;; amdgpu-corpus repo=ROCm/rocThrust kind=compiled arch=gfx1100 opt=O3
	.text
	.amdgcn_target "amdgcn-amd-amdhsa--gfx1100"
	.amdhsa_code_object_version 6
	.protected	_Z17ReduceByKeyKerneliPiS_S_S_S_ ; -- Begin function _Z17ReduceByKeyKerneliPiS_S_S_S_
	.globl	_Z17ReduceByKeyKerneliPiS_S_S_S_
	.p2align	8
	.type	_Z17ReduceByKeyKerneliPiS_S_S_S_,@function
_Z17ReduceByKeyKerneliPiS_S_S_S_:       ; @_Z17ReduceByKeyKerneliPiS_S_S_S_
; %bb.0:
	s_mov_b32 s2, exec_lo
	v_cmpx_eq_u32_e32 0, v0
	s_cbranch_execz .LBB0_15
; %bb.1:
	s_clause 0x2
	s_load_b32 s2, s[0:1], 0x0
	s_load_b256 s[4:11], s[0:1], 0x8
	s_load_b64 s[0:1], s[0:1], 0x28
	s_waitcnt lgkmcnt(0)
	s_ashr_i32 s3, s2, 31
	s_delay_alu instid0(SALU_CYCLE_1) | instskip(NEXT) | instid1(SALU_CYCLE_1)
	s_lshl_b64 s[12:13], s[2:3], 2
	s_cmp_eq_u64 s[12:13], 0
	s_cbranch_scc1 .LBB0_10
; %bb.2:
	s_load_b32 s15, s[6:7], 0x0
	s_load_b32 s14, s[4:5], 0x0
	s_cmp_eq_u32 s2, 1
	s_cbranch_scc1 .LBB0_11
; %bb.3:
	s_add_u32 s2, s4, 4
	s_addc_u32 s3, s5, 0
	s_add_u32 s4, s6, 4
	s_waitcnt lgkmcnt(0)
	v_dual_mov_b32 v4, s15 :: v_dual_mov_b32 v3, s14
	v_mov_b32_e32 v2, 0
	s_addc_u32 s5, s7, 0
	s_add_u32 s6, s12, -4
	s_addc_u32 s7, s13, -1
	s_mov_b64 s[16:17], s[8:9]
	s_mov_b64 s[18:19], s[10:11]
	s_set_inst_prefetch_distance 0x1
	.p2align	6
.LBB0_4:                                ; =>This Inner Loop Header: Depth=1
	s_clause 0x1
	global_load_b32 v1, v2, s[2:3]
	global_load_b32 v0, v2, s[4:5]
	s_waitcnt vmcnt(1)
	v_cmp_ne_u32_e32 vcc_lo, v3, v1
	s_cbranch_vccz .LBB0_6
; %bb.5:                                ;   in Loop: Header=BB0_4 Depth=1
	s_add_u32 s12, s16, 4
	s_addc_u32 s13, s17, 0
	s_add_u32 s14, s18, 4
	global_store_b32 v2, v3, s[16:17]
	s_addc_u32 s15, s19, 0
	global_store_b32 v2, v4, s[18:19]
	s_cbranch_execz .LBB0_7
	s_branch .LBB0_8
	.p2align	6
.LBB0_6:                                ;   in Loop: Header=BB0_4 Depth=1
                                        ; implicit-def: $sgpr12_sgpr13
                                        ; implicit-def: $sgpr14_sgpr15
                                        ; implicit-def: $vgpr1
.LBB0_7:                                ;   in Loop: Header=BB0_4 Depth=1
	s_waitcnt vmcnt(0)
	v_dual_mov_b32 v1, v3 :: v_dual_add_nc_u32 v0, v0, v4
	s_mov_b64 s[14:15], s[18:19]
	s_mov_b64 s[12:13], s[16:17]
.LBB0_8:                                ;   in Loop: Header=BB0_4 Depth=1
	s_add_u32 s2, s2, 4
	s_addc_u32 s3, s3, 0
	s_add_u32 s4, s4, 4
	s_addc_u32 s5, s5, 0
	s_add_u32 s6, s6, -4
	s_addc_u32 s7, s7, -1
	s_delay_alu instid0(SALU_CYCLE_1)
	s_cmp_lg_u64 s[6:7], 0
	s_cbranch_scc0 .LBB0_12
; %bb.9:                                ;   in Loop: Header=BB0_4 Depth=1
	s_waitcnt vmcnt(0)
	v_dual_mov_b32 v3, v1 :: v_dual_mov_b32 v4, v0
	s_mov_b64 s[16:17], s[12:13]
	s_mov_b64 s[18:19], s[14:15]
	s_branch .LBB0_4
.LBB0_10:
	s_mov_b64 s[2:3], s[8:9]
	s_mov_b64 s[4:5], s[10:11]
	s_branch .LBB0_14
.LBB0_11:
	s_waitcnt lgkmcnt(0)
	v_dual_mov_b32 v0, s15 :: v_dual_mov_b32 v1, s14
	s_mov_b64 s[12:13], s[8:9]
	s_mov_b64 s[14:15], s[10:11]
	;; [unrolled: 1-line block ×4, first 2 shown]
	s_branch .LBB0_13
.LBB0_12:
	s_set_inst_prefetch_distance 0x2
	s_mov_b64 s[2:3], s[12:13]
	s_mov_b64 s[4:5], s[14:15]
.LBB0_13:
	v_mov_b32_e32 v2, 0
	s_add_u32 s2, s2, 4
	s_addc_u32 s3, s3, 0
	s_add_u32 s4, s4, 4
	s_addc_u32 s5, s5, 0
	global_store_b32 v2, v1, s[12:13]
	s_waitcnt vmcnt(0)
	global_store_b32 v2, v0, s[14:15]
.LBB0_14:
	s_sub_u32 s2, s8, s2
	s_subb_u32 s3, s9, s3
	s_sub_u32 s4, s10, s4
	s_subb_u32 s5, s11, s5
	v_alignbit_b32 v0, s3, s2, 2
	v_alignbit_b32 v1, s5, s4, 2
	v_mov_b32_e32 v2, 0
	s_delay_alu instid0(VALU_DEP_3) | instskip(NEXT) | instid1(VALU_DEP_3)
	v_sub_nc_u32_e32 v0, 0, v0
	v_sub_nc_u32_e32 v1, 0, v1
	global_store_b64 v2, v[0:1], s[0:1]
.LBB0_15:
	s_nop 0
	s_sendmsg sendmsg(MSG_DEALLOC_VGPRS)
	s_endpgm
	.section	.rodata,"a",@progbits
	.p2align	6, 0x0
	.amdhsa_kernel _Z17ReduceByKeyKerneliPiS_S_S_S_
		.amdhsa_group_segment_fixed_size 0
		.amdhsa_private_segment_fixed_size 0
		.amdhsa_kernarg_size 48
		.amdhsa_user_sgpr_count 15
		.amdhsa_user_sgpr_dispatch_ptr 0
		.amdhsa_user_sgpr_queue_ptr 0
		.amdhsa_user_sgpr_kernarg_segment_ptr 1
		.amdhsa_user_sgpr_dispatch_id 0
		.amdhsa_user_sgpr_private_segment_size 0
		.amdhsa_wavefront_size32 1
		.amdhsa_uses_dynamic_stack 0
		.amdhsa_enable_private_segment 0
		.amdhsa_system_sgpr_workgroup_id_x 1
		.amdhsa_system_sgpr_workgroup_id_y 0
		.amdhsa_system_sgpr_workgroup_id_z 0
		.amdhsa_system_sgpr_workgroup_info 0
		.amdhsa_system_vgpr_workitem_id 0
		.amdhsa_next_free_vgpr 5
		.amdhsa_next_free_sgpr 20
		.amdhsa_reserve_vcc 1
		.amdhsa_float_round_mode_32 0
		.amdhsa_float_round_mode_16_64 0
		.amdhsa_float_denorm_mode_32 3
		.amdhsa_float_denorm_mode_16_64 3
		.amdhsa_dx10_clamp 1
		.amdhsa_ieee_mode 1
		.amdhsa_fp16_overflow 0
		.amdhsa_workgroup_processor_mode 1
		.amdhsa_memory_ordered 1
		.amdhsa_forward_progress 0
		.amdhsa_shared_vgpr_count 0
		.amdhsa_exception_fp_ieee_invalid_op 0
		.amdhsa_exception_fp_denorm_src 0
		.amdhsa_exception_fp_ieee_div_zero 0
		.amdhsa_exception_fp_ieee_overflow 0
		.amdhsa_exception_fp_ieee_underflow 0
		.amdhsa_exception_fp_ieee_inexact 0
		.amdhsa_exception_int_div_zero 0
	.end_amdhsa_kernel
	.text
.Lfunc_end0:
	.size	_Z17ReduceByKeyKerneliPiS_S_S_S_, .Lfunc_end0-_Z17ReduceByKeyKerneliPiS_S_S_S_
                                        ; -- End function
	.section	.AMDGPU.csdata,"",@progbits
; Kernel info:
; codeLenInByte = 456
; NumSgprs: 22
; NumVgprs: 5
; ScratchSize: 0
; MemoryBound: 0
; FloatMode: 240
; IeeeMode: 1
; LDSByteSize: 0 bytes/workgroup (compile time only)
; SGPRBlocks: 2
; VGPRBlocks: 0
; NumSGPRsForWavesPerEU: 22
; NumVGPRsForWavesPerEU: 5
; Occupancy: 16
; WaveLimiterHint : 0
; COMPUTE_PGM_RSRC2:SCRATCH_EN: 0
; COMPUTE_PGM_RSRC2:USER_SGPR: 15
; COMPUTE_PGM_RSRC2:TRAP_HANDLER: 0
; COMPUTE_PGM_RSRC2:TGID_X_EN: 1
; COMPUTE_PGM_RSRC2:TGID_Y_EN: 0
; COMPUTE_PGM_RSRC2:TGID_Z_EN: 0
; COMPUTE_PGM_RSRC2:TIDIG_COMP_CNT: 0
	.section	.text._ZN6thrust23THRUST_200600_302600_NS11hip_rocprim14__parallel_for6kernelILj256ENS1_20__uninitialized_fill7functorINS0_10device_ptrIdEEdEEmLj1EEEvT0_T1_SA_,"axG",@progbits,_ZN6thrust23THRUST_200600_302600_NS11hip_rocprim14__parallel_for6kernelILj256ENS1_20__uninitialized_fill7functorINS0_10device_ptrIdEEdEEmLj1EEEvT0_T1_SA_,comdat
	.protected	_ZN6thrust23THRUST_200600_302600_NS11hip_rocprim14__parallel_for6kernelILj256ENS1_20__uninitialized_fill7functorINS0_10device_ptrIdEEdEEmLj1EEEvT0_T1_SA_ ; -- Begin function _ZN6thrust23THRUST_200600_302600_NS11hip_rocprim14__parallel_for6kernelILj256ENS1_20__uninitialized_fill7functorINS0_10device_ptrIdEEdEEmLj1EEEvT0_T1_SA_
	.globl	_ZN6thrust23THRUST_200600_302600_NS11hip_rocprim14__parallel_for6kernelILj256ENS1_20__uninitialized_fill7functorINS0_10device_ptrIdEEdEEmLj1EEEvT0_T1_SA_
	.p2align	8
	.type	_ZN6thrust23THRUST_200600_302600_NS11hip_rocprim14__parallel_for6kernelILj256ENS1_20__uninitialized_fill7functorINS0_10device_ptrIdEEdEEmLj1EEEvT0_T1_SA_,@function
_ZN6thrust23THRUST_200600_302600_NS11hip_rocprim14__parallel_for6kernelILj256ENS1_20__uninitialized_fill7functorINS0_10device_ptrIdEEdEEmLj1EEEvT0_T1_SA_: ; @_ZN6thrust23THRUST_200600_302600_NS11hip_rocprim14__parallel_for6kernelILj256ENS1_20__uninitialized_fill7functorINS0_10device_ptrIdEEdEEmLj1EEEvT0_T1_SA_
; %bb.0:
	s_load_b256 s[0:7], s[0:1], 0x0
	s_lshl_b32 s8, s15, 8
	s_waitcnt lgkmcnt(0)
	s_add_u32 s6, s8, s6
	s_addc_u32 s7, 0, s7
	s_sub_u32 s4, s4, s6
	s_subb_u32 s5, s5, s7
	s_delay_alu instid0(SALU_CYCLE_1) | instskip(NEXT) | instid1(VALU_DEP_1)
	v_cmp_gt_u64_e64 s5, 0x100, s[4:5]
	s_and_b32 vcc_lo, exec_lo, s5
	s_mov_b32 s5, 0
	s_cbranch_vccz .LBB1_2
; %bb.1:
	v_cmp_gt_u32_e32 vcc_lo, s4, v0
	s_and_b32 s5, vcc_lo, exec_lo
	s_cbranch_execz .LBB1_3
	s_branch .LBB1_4
.LBB1_2:
.LBB1_3:
	s_or_b32 s5, s5, exec_lo
.LBB1_4:
	s_delay_alu instid0(SALU_CYCLE_1)
	s_and_saveexec_b32 s4, s5
	s_cbranch_execnz .LBB1_6
; %bb.5:
	s_endpgm
.LBB1_6:
	v_dual_mov_b32 v1, 0 :: v_dual_mov_b32 v2, s2
	s_lshl_b64 s[4:5], s[6:7], 3
	v_mov_b32_e32 v3, s3
	s_add_u32 s0, s0, s4
	s_delay_alu instid0(VALU_DEP_2) | instskip(SKIP_1) | instid1(VALU_DEP_1)
	v_lshlrev_b64 v[0:1], 3, v[0:1]
	s_addc_u32 s1, s1, s5
	v_add_co_u32 v0, vcc_lo, s0, v0
	s_delay_alu instid0(VALU_DEP_2)
	v_add_co_ci_u32_e32 v1, vcc_lo, s1, v1, vcc_lo
	flat_store_b64 v[0:1], v[2:3]
	s_endpgm
	.section	.rodata,"a",@progbits
	.p2align	6, 0x0
	.amdhsa_kernel _ZN6thrust23THRUST_200600_302600_NS11hip_rocprim14__parallel_for6kernelILj256ENS1_20__uninitialized_fill7functorINS0_10device_ptrIdEEdEEmLj1EEEvT0_T1_SA_
		.amdhsa_group_segment_fixed_size 0
		.amdhsa_private_segment_fixed_size 0
		.amdhsa_kernarg_size 32
		.amdhsa_user_sgpr_count 15
		.amdhsa_user_sgpr_dispatch_ptr 0
		.amdhsa_user_sgpr_queue_ptr 0
		.amdhsa_user_sgpr_kernarg_segment_ptr 1
		.amdhsa_user_sgpr_dispatch_id 0
		.amdhsa_user_sgpr_private_segment_size 0
		.amdhsa_wavefront_size32 1
		.amdhsa_uses_dynamic_stack 0
		.amdhsa_enable_private_segment 0
		.amdhsa_system_sgpr_workgroup_id_x 1
		.amdhsa_system_sgpr_workgroup_id_y 0
		.amdhsa_system_sgpr_workgroup_id_z 0
		.amdhsa_system_sgpr_workgroup_info 0
		.amdhsa_system_vgpr_workitem_id 0
		.amdhsa_next_free_vgpr 4
		.amdhsa_next_free_sgpr 16
		.amdhsa_reserve_vcc 1
		.amdhsa_float_round_mode_32 0
		.amdhsa_float_round_mode_16_64 0
		.amdhsa_float_denorm_mode_32 3
		.amdhsa_float_denorm_mode_16_64 3
		.amdhsa_dx10_clamp 1
		.amdhsa_ieee_mode 1
		.amdhsa_fp16_overflow 0
		.amdhsa_workgroup_processor_mode 1
		.amdhsa_memory_ordered 1
		.amdhsa_forward_progress 0
		.amdhsa_shared_vgpr_count 0
		.amdhsa_exception_fp_ieee_invalid_op 0
		.amdhsa_exception_fp_denorm_src 0
		.amdhsa_exception_fp_ieee_div_zero 0
		.amdhsa_exception_fp_ieee_overflow 0
		.amdhsa_exception_fp_ieee_underflow 0
		.amdhsa_exception_fp_ieee_inexact 0
		.amdhsa_exception_int_div_zero 0
	.end_amdhsa_kernel
	.section	.text._ZN6thrust23THRUST_200600_302600_NS11hip_rocprim14__parallel_for6kernelILj256ENS1_20__uninitialized_fill7functorINS0_10device_ptrIdEEdEEmLj1EEEvT0_T1_SA_,"axG",@progbits,_ZN6thrust23THRUST_200600_302600_NS11hip_rocprim14__parallel_for6kernelILj256ENS1_20__uninitialized_fill7functorINS0_10device_ptrIdEEdEEmLj1EEEvT0_T1_SA_,comdat
.Lfunc_end1:
	.size	_ZN6thrust23THRUST_200600_302600_NS11hip_rocprim14__parallel_for6kernelILj256ENS1_20__uninitialized_fill7functorINS0_10device_ptrIdEEdEEmLj1EEEvT0_T1_SA_, .Lfunc_end1-_ZN6thrust23THRUST_200600_302600_NS11hip_rocprim14__parallel_for6kernelILj256ENS1_20__uninitialized_fill7functorINS0_10device_ptrIdEEdEEmLj1EEEvT0_T1_SA_
                                        ; -- End function
	.section	.AMDGPU.csdata,"",@progbits
; Kernel info:
; codeLenInByte = 160
; NumSgprs: 18
; NumVgprs: 4
; ScratchSize: 0
; MemoryBound: 0
; FloatMode: 240
; IeeeMode: 1
; LDSByteSize: 0 bytes/workgroup (compile time only)
; SGPRBlocks: 2
; VGPRBlocks: 0
; NumSGPRsForWavesPerEU: 18
; NumVGPRsForWavesPerEU: 4
; Occupancy: 16
; WaveLimiterHint : 0
; COMPUTE_PGM_RSRC2:SCRATCH_EN: 0
; COMPUTE_PGM_RSRC2:USER_SGPR: 15
; COMPUTE_PGM_RSRC2:TRAP_HANDLER: 0
; COMPUTE_PGM_RSRC2:TGID_X_EN: 1
; COMPUTE_PGM_RSRC2:TGID_Y_EN: 0
; COMPUTE_PGM_RSRC2:TGID_Z_EN: 0
; COMPUTE_PGM_RSRC2:TIDIG_COMP_CNT: 0
	.section	.text._ZN7rocprim17ROCPRIM_400000_NS6detail17trampoline_kernelINS0_14default_configENS1_25transform_config_selectorImLb0EEEZNS1_14transform_implILb0ES3_S5_NS0_17constant_iteratorImlEEPmNS0_8identityImEEEE10hipError_tT2_T3_mT4_P12ihipStream_tbEUlT_E_NS1_11comp_targetILNS1_3genE0ELNS1_11target_archE4294967295ELNS1_3gpuE0ELNS1_3repE0EEENS1_30default_config_static_selectorELNS0_4arch9wavefront6targetE0EEEvT1_,"axG",@progbits,_ZN7rocprim17ROCPRIM_400000_NS6detail17trampoline_kernelINS0_14default_configENS1_25transform_config_selectorImLb0EEEZNS1_14transform_implILb0ES3_S5_NS0_17constant_iteratorImlEEPmNS0_8identityImEEEE10hipError_tT2_T3_mT4_P12ihipStream_tbEUlT_E_NS1_11comp_targetILNS1_3genE0ELNS1_11target_archE4294967295ELNS1_3gpuE0ELNS1_3repE0EEENS1_30default_config_static_selectorELNS0_4arch9wavefront6targetE0EEEvT1_,comdat
	.protected	_ZN7rocprim17ROCPRIM_400000_NS6detail17trampoline_kernelINS0_14default_configENS1_25transform_config_selectorImLb0EEEZNS1_14transform_implILb0ES3_S5_NS0_17constant_iteratorImlEEPmNS0_8identityImEEEE10hipError_tT2_T3_mT4_P12ihipStream_tbEUlT_E_NS1_11comp_targetILNS1_3genE0ELNS1_11target_archE4294967295ELNS1_3gpuE0ELNS1_3repE0EEENS1_30default_config_static_selectorELNS0_4arch9wavefront6targetE0EEEvT1_ ; -- Begin function _ZN7rocprim17ROCPRIM_400000_NS6detail17trampoline_kernelINS0_14default_configENS1_25transform_config_selectorImLb0EEEZNS1_14transform_implILb0ES3_S5_NS0_17constant_iteratorImlEEPmNS0_8identityImEEEE10hipError_tT2_T3_mT4_P12ihipStream_tbEUlT_E_NS1_11comp_targetILNS1_3genE0ELNS1_11target_archE4294967295ELNS1_3gpuE0ELNS1_3repE0EEENS1_30default_config_static_selectorELNS0_4arch9wavefront6targetE0EEEvT1_
	.globl	_ZN7rocprim17ROCPRIM_400000_NS6detail17trampoline_kernelINS0_14default_configENS1_25transform_config_selectorImLb0EEEZNS1_14transform_implILb0ES3_S5_NS0_17constant_iteratorImlEEPmNS0_8identityImEEEE10hipError_tT2_T3_mT4_P12ihipStream_tbEUlT_E_NS1_11comp_targetILNS1_3genE0ELNS1_11target_archE4294967295ELNS1_3gpuE0ELNS1_3repE0EEENS1_30default_config_static_selectorELNS0_4arch9wavefront6targetE0EEEvT1_
	.p2align	8
	.type	_ZN7rocprim17ROCPRIM_400000_NS6detail17trampoline_kernelINS0_14default_configENS1_25transform_config_selectorImLb0EEEZNS1_14transform_implILb0ES3_S5_NS0_17constant_iteratorImlEEPmNS0_8identityImEEEE10hipError_tT2_T3_mT4_P12ihipStream_tbEUlT_E_NS1_11comp_targetILNS1_3genE0ELNS1_11target_archE4294967295ELNS1_3gpuE0ELNS1_3repE0EEENS1_30default_config_static_selectorELNS0_4arch9wavefront6targetE0EEEvT1_,@function
_ZN7rocprim17ROCPRIM_400000_NS6detail17trampoline_kernelINS0_14default_configENS1_25transform_config_selectorImLb0EEEZNS1_14transform_implILb0ES3_S5_NS0_17constant_iteratorImlEEPmNS0_8identityImEEEE10hipError_tT2_T3_mT4_P12ihipStream_tbEUlT_E_NS1_11comp_targetILNS1_3genE0ELNS1_11target_archE4294967295ELNS1_3gpuE0ELNS1_3repE0EEENS1_30default_config_static_selectorELNS0_4arch9wavefront6targetE0EEEvT1_: ; @_ZN7rocprim17ROCPRIM_400000_NS6detail17trampoline_kernelINS0_14default_configENS1_25transform_config_selectorImLb0EEEZNS1_14transform_implILb0ES3_S5_NS0_17constant_iteratorImlEEPmNS0_8identityImEEEE10hipError_tT2_T3_mT4_P12ihipStream_tbEUlT_E_NS1_11comp_targetILNS1_3genE0ELNS1_11target_archE4294967295ELNS1_3gpuE0ELNS1_3repE0EEENS1_30default_config_static_selectorELNS0_4arch9wavefront6targetE0EEEvT1_
; %bb.0:
	.section	.rodata,"a",@progbits
	.p2align	6, 0x0
	.amdhsa_kernel _ZN7rocprim17ROCPRIM_400000_NS6detail17trampoline_kernelINS0_14default_configENS1_25transform_config_selectorImLb0EEEZNS1_14transform_implILb0ES3_S5_NS0_17constant_iteratorImlEEPmNS0_8identityImEEEE10hipError_tT2_T3_mT4_P12ihipStream_tbEUlT_E_NS1_11comp_targetILNS1_3genE0ELNS1_11target_archE4294967295ELNS1_3gpuE0ELNS1_3repE0EEENS1_30default_config_static_selectorELNS0_4arch9wavefront6targetE0EEEvT1_
		.amdhsa_group_segment_fixed_size 0
		.amdhsa_private_segment_fixed_size 0
		.amdhsa_kernarg_size 48
		.amdhsa_user_sgpr_count 15
		.amdhsa_user_sgpr_dispatch_ptr 0
		.amdhsa_user_sgpr_queue_ptr 0
		.amdhsa_user_sgpr_kernarg_segment_ptr 1
		.amdhsa_user_sgpr_dispatch_id 0
		.amdhsa_user_sgpr_private_segment_size 0
		.amdhsa_wavefront_size32 1
		.amdhsa_uses_dynamic_stack 0
		.amdhsa_enable_private_segment 0
		.amdhsa_system_sgpr_workgroup_id_x 1
		.amdhsa_system_sgpr_workgroup_id_y 0
		.amdhsa_system_sgpr_workgroup_id_z 0
		.amdhsa_system_sgpr_workgroup_info 0
		.amdhsa_system_vgpr_workitem_id 0
		.amdhsa_next_free_vgpr 1
		.amdhsa_next_free_sgpr 1
		.amdhsa_reserve_vcc 0
		.amdhsa_float_round_mode_32 0
		.amdhsa_float_round_mode_16_64 0
		.amdhsa_float_denorm_mode_32 3
		.amdhsa_float_denorm_mode_16_64 3
		.amdhsa_dx10_clamp 1
		.amdhsa_ieee_mode 1
		.amdhsa_fp16_overflow 0
		.amdhsa_workgroup_processor_mode 1
		.amdhsa_memory_ordered 1
		.amdhsa_forward_progress 0
		.amdhsa_shared_vgpr_count 0
		.amdhsa_exception_fp_ieee_invalid_op 0
		.amdhsa_exception_fp_denorm_src 0
		.amdhsa_exception_fp_ieee_div_zero 0
		.amdhsa_exception_fp_ieee_overflow 0
		.amdhsa_exception_fp_ieee_underflow 0
		.amdhsa_exception_fp_ieee_inexact 0
		.amdhsa_exception_int_div_zero 0
	.end_amdhsa_kernel
	.section	.text._ZN7rocprim17ROCPRIM_400000_NS6detail17trampoline_kernelINS0_14default_configENS1_25transform_config_selectorImLb0EEEZNS1_14transform_implILb0ES3_S5_NS0_17constant_iteratorImlEEPmNS0_8identityImEEEE10hipError_tT2_T3_mT4_P12ihipStream_tbEUlT_E_NS1_11comp_targetILNS1_3genE0ELNS1_11target_archE4294967295ELNS1_3gpuE0ELNS1_3repE0EEENS1_30default_config_static_selectorELNS0_4arch9wavefront6targetE0EEEvT1_,"axG",@progbits,_ZN7rocprim17ROCPRIM_400000_NS6detail17trampoline_kernelINS0_14default_configENS1_25transform_config_selectorImLb0EEEZNS1_14transform_implILb0ES3_S5_NS0_17constant_iteratorImlEEPmNS0_8identityImEEEE10hipError_tT2_T3_mT4_P12ihipStream_tbEUlT_E_NS1_11comp_targetILNS1_3genE0ELNS1_11target_archE4294967295ELNS1_3gpuE0ELNS1_3repE0EEENS1_30default_config_static_selectorELNS0_4arch9wavefront6targetE0EEEvT1_,comdat
.Lfunc_end2:
	.size	_ZN7rocprim17ROCPRIM_400000_NS6detail17trampoline_kernelINS0_14default_configENS1_25transform_config_selectorImLb0EEEZNS1_14transform_implILb0ES3_S5_NS0_17constant_iteratorImlEEPmNS0_8identityImEEEE10hipError_tT2_T3_mT4_P12ihipStream_tbEUlT_E_NS1_11comp_targetILNS1_3genE0ELNS1_11target_archE4294967295ELNS1_3gpuE0ELNS1_3repE0EEENS1_30default_config_static_selectorELNS0_4arch9wavefront6targetE0EEEvT1_, .Lfunc_end2-_ZN7rocprim17ROCPRIM_400000_NS6detail17trampoline_kernelINS0_14default_configENS1_25transform_config_selectorImLb0EEEZNS1_14transform_implILb0ES3_S5_NS0_17constant_iteratorImlEEPmNS0_8identityImEEEE10hipError_tT2_T3_mT4_P12ihipStream_tbEUlT_E_NS1_11comp_targetILNS1_3genE0ELNS1_11target_archE4294967295ELNS1_3gpuE0ELNS1_3repE0EEENS1_30default_config_static_selectorELNS0_4arch9wavefront6targetE0EEEvT1_
                                        ; -- End function
	.section	.AMDGPU.csdata,"",@progbits
; Kernel info:
; codeLenInByte = 0
; NumSgprs: 0
; NumVgprs: 0
; ScratchSize: 0
; MemoryBound: 0
; FloatMode: 240
; IeeeMode: 1
; LDSByteSize: 0 bytes/workgroup (compile time only)
; SGPRBlocks: 0
; VGPRBlocks: 0
; NumSGPRsForWavesPerEU: 1
; NumVGPRsForWavesPerEU: 1
; Occupancy: 16
; WaveLimiterHint : 0
; COMPUTE_PGM_RSRC2:SCRATCH_EN: 0
; COMPUTE_PGM_RSRC2:USER_SGPR: 15
; COMPUTE_PGM_RSRC2:TRAP_HANDLER: 0
; COMPUTE_PGM_RSRC2:TGID_X_EN: 1
; COMPUTE_PGM_RSRC2:TGID_Y_EN: 0
; COMPUTE_PGM_RSRC2:TGID_Z_EN: 0
; COMPUTE_PGM_RSRC2:TIDIG_COMP_CNT: 0
	.section	.text._ZN7rocprim17ROCPRIM_400000_NS6detail17trampoline_kernelINS0_14default_configENS1_25transform_config_selectorImLb0EEEZNS1_14transform_implILb0ES3_S5_NS0_17constant_iteratorImlEEPmNS0_8identityImEEEE10hipError_tT2_T3_mT4_P12ihipStream_tbEUlT_E_NS1_11comp_targetILNS1_3genE5ELNS1_11target_archE942ELNS1_3gpuE9ELNS1_3repE0EEENS1_30default_config_static_selectorELNS0_4arch9wavefront6targetE0EEEvT1_,"axG",@progbits,_ZN7rocprim17ROCPRIM_400000_NS6detail17trampoline_kernelINS0_14default_configENS1_25transform_config_selectorImLb0EEEZNS1_14transform_implILb0ES3_S5_NS0_17constant_iteratorImlEEPmNS0_8identityImEEEE10hipError_tT2_T3_mT4_P12ihipStream_tbEUlT_E_NS1_11comp_targetILNS1_3genE5ELNS1_11target_archE942ELNS1_3gpuE9ELNS1_3repE0EEENS1_30default_config_static_selectorELNS0_4arch9wavefront6targetE0EEEvT1_,comdat
	.protected	_ZN7rocprim17ROCPRIM_400000_NS6detail17trampoline_kernelINS0_14default_configENS1_25transform_config_selectorImLb0EEEZNS1_14transform_implILb0ES3_S5_NS0_17constant_iteratorImlEEPmNS0_8identityImEEEE10hipError_tT2_T3_mT4_P12ihipStream_tbEUlT_E_NS1_11comp_targetILNS1_3genE5ELNS1_11target_archE942ELNS1_3gpuE9ELNS1_3repE0EEENS1_30default_config_static_selectorELNS0_4arch9wavefront6targetE0EEEvT1_ ; -- Begin function _ZN7rocprim17ROCPRIM_400000_NS6detail17trampoline_kernelINS0_14default_configENS1_25transform_config_selectorImLb0EEEZNS1_14transform_implILb0ES3_S5_NS0_17constant_iteratorImlEEPmNS0_8identityImEEEE10hipError_tT2_T3_mT4_P12ihipStream_tbEUlT_E_NS1_11comp_targetILNS1_3genE5ELNS1_11target_archE942ELNS1_3gpuE9ELNS1_3repE0EEENS1_30default_config_static_selectorELNS0_4arch9wavefront6targetE0EEEvT1_
	.globl	_ZN7rocprim17ROCPRIM_400000_NS6detail17trampoline_kernelINS0_14default_configENS1_25transform_config_selectorImLb0EEEZNS1_14transform_implILb0ES3_S5_NS0_17constant_iteratorImlEEPmNS0_8identityImEEEE10hipError_tT2_T3_mT4_P12ihipStream_tbEUlT_E_NS1_11comp_targetILNS1_3genE5ELNS1_11target_archE942ELNS1_3gpuE9ELNS1_3repE0EEENS1_30default_config_static_selectorELNS0_4arch9wavefront6targetE0EEEvT1_
	.p2align	8
	.type	_ZN7rocprim17ROCPRIM_400000_NS6detail17trampoline_kernelINS0_14default_configENS1_25transform_config_selectorImLb0EEEZNS1_14transform_implILb0ES3_S5_NS0_17constant_iteratorImlEEPmNS0_8identityImEEEE10hipError_tT2_T3_mT4_P12ihipStream_tbEUlT_E_NS1_11comp_targetILNS1_3genE5ELNS1_11target_archE942ELNS1_3gpuE9ELNS1_3repE0EEENS1_30default_config_static_selectorELNS0_4arch9wavefront6targetE0EEEvT1_,@function
_ZN7rocprim17ROCPRIM_400000_NS6detail17trampoline_kernelINS0_14default_configENS1_25transform_config_selectorImLb0EEEZNS1_14transform_implILb0ES3_S5_NS0_17constant_iteratorImlEEPmNS0_8identityImEEEE10hipError_tT2_T3_mT4_P12ihipStream_tbEUlT_E_NS1_11comp_targetILNS1_3genE5ELNS1_11target_archE942ELNS1_3gpuE9ELNS1_3repE0EEENS1_30default_config_static_selectorELNS0_4arch9wavefront6targetE0EEEvT1_: ; @_ZN7rocprim17ROCPRIM_400000_NS6detail17trampoline_kernelINS0_14default_configENS1_25transform_config_selectorImLb0EEEZNS1_14transform_implILb0ES3_S5_NS0_17constant_iteratorImlEEPmNS0_8identityImEEEE10hipError_tT2_T3_mT4_P12ihipStream_tbEUlT_E_NS1_11comp_targetILNS1_3genE5ELNS1_11target_archE942ELNS1_3gpuE9ELNS1_3repE0EEENS1_30default_config_static_selectorELNS0_4arch9wavefront6targetE0EEEvT1_
; %bb.0:
	.section	.rodata,"a",@progbits
	.p2align	6, 0x0
	.amdhsa_kernel _ZN7rocprim17ROCPRIM_400000_NS6detail17trampoline_kernelINS0_14default_configENS1_25transform_config_selectorImLb0EEEZNS1_14transform_implILb0ES3_S5_NS0_17constant_iteratorImlEEPmNS0_8identityImEEEE10hipError_tT2_T3_mT4_P12ihipStream_tbEUlT_E_NS1_11comp_targetILNS1_3genE5ELNS1_11target_archE942ELNS1_3gpuE9ELNS1_3repE0EEENS1_30default_config_static_selectorELNS0_4arch9wavefront6targetE0EEEvT1_
		.amdhsa_group_segment_fixed_size 0
		.amdhsa_private_segment_fixed_size 0
		.amdhsa_kernarg_size 48
		.amdhsa_user_sgpr_count 15
		.amdhsa_user_sgpr_dispatch_ptr 0
		.amdhsa_user_sgpr_queue_ptr 0
		.amdhsa_user_sgpr_kernarg_segment_ptr 1
		.amdhsa_user_sgpr_dispatch_id 0
		.amdhsa_user_sgpr_private_segment_size 0
		.amdhsa_wavefront_size32 1
		.amdhsa_uses_dynamic_stack 0
		.amdhsa_enable_private_segment 0
		.amdhsa_system_sgpr_workgroup_id_x 1
		.amdhsa_system_sgpr_workgroup_id_y 0
		.amdhsa_system_sgpr_workgroup_id_z 0
		.amdhsa_system_sgpr_workgroup_info 0
		.amdhsa_system_vgpr_workitem_id 0
		.amdhsa_next_free_vgpr 1
		.amdhsa_next_free_sgpr 1
		.amdhsa_reserve_vcc 0
		.amdhsa_float_round_mode_32 0
		.amdhsa_float_round_mode_16_64 0
		.amdhsa_float_denorm_mode_32 3
		.amdhsa_float_denorm_mode_16_64 3
		.amdhsa_dx10_clamp 1
		.amdhsa_ieee_mode 1
		.amdhsa_fp16_overflow 0
		.amdhsa_workgroup_processor_mode 1
		.amdhsa_memory_ordered 1
		.amdhsa_forward_progress 0
		.amdhsa_shared_vgpr_count 0
		.amdhsa_exception_fp_ieee_invalid_op 0
		.amdhsa_exception_fp_denorm_src 0
		.amdhsa_exception_fp_ieee_div_zero 0
		.amdhsa_exception_fp_ieee_overflow 0
		.amdhsa_exception_fp_ieee_underflow 0
		.amdhsa_exception_fp_ieee_inexact 0
		.amdhsa_exception_int_div_zero 0
	.end_amdhsa_kernel
	.section	.text._ZN7rocprim17ROCPRIM_400000_NS6detail17trampoline_kernelINS0_14default_configENS1_25transform_config_selectorImLb0EEEZNS1_14transform_implILb0ES3_S5_NS0_17constant_iteratorImlEEPmNS0_8identityImEEEE10hipError_tT2_T3_mT4_P12ihipStream_tbEUlT_E_NS1_11comp_targetILNS1_3genE5ELNS1_11target_archE942ELNS1_3gpuE9ELNS1_3repE0EEENS1_30default_config_static_selectorELNS0_4arch9wavefront6targetE0EEEvT1_,"axG",@progbits,_ZN7rocprim17ROCPRIM_400000_NS6detail17trampoline_kernelINS0_14default_configENS1_25transform_config_selectorImLb0EEEZNS1_14transform_implILb0ES3_S5_NS0_17constant_iteratorImlEEPmNS0_8identityImEEEE10hipError_tT2_T3_mT4_P12ihipStream_tbEUlT_E_NS1_11comp_targetILNS1_3genE5ELNS1_11target_archE942ELNS1_3gpuE9ELNS1_3repE0EEENS1_30default_config_static_selectorELNS0_4arch9wavefront6targetE0EEEvT1_,comdat
.Lfunc_end3:
	.size	_ZN7rocprim17ROCPRIM_400000_NS6detail17trampoline_kernelINS0_14default_configENS1_25transform_config_selectorImLb0EEEZNS1_14transform_implILb0ES3_S5_NS0_17constant_iteratorImlEEPmNS0_8identityImEEEE10hipError_tT2_T3_mT4_P12ihipStream_tbEUlT_E_NS1_11comp_targetILNS1_3genE5ELNS1_11target_archE942ELNS1_3gpuE9ELNS1_3repE0EEENS1_30default_config_static_selectorELNS0_4arch9wavefront6targetE0EEEvT1_, .Lfunc_end3-_ZN7rocprim17ROCPRIM_400000_NS6detail17trampoline_kernelINS0_14default_configENS1_25transform_config_selectorImLb0EEEZNS1_14transform_implILb0ES3_S5_NS0_17constant_iteratorImlEEPmNS0_8identityImEEEE10hipError_tT2_T3_mT4_P12ihipStream_tbEUlT_E_NS1_11comp_targetILNS1_3genE5ELNS1_11target_archE942ELNS1_3gpuE9ELNS1_3repE0EEENS1_30default_config_static_selectorELNS0_4arch9wavefront6targetE0EEEvT1_
                                        ; -- End function
	.section	.AMDGPU.csdata,"",@progbits
; Kernel info:
; codeLenInByte = 0
; NumSgprs: 0
; NumVgprs: 0
; ScratchSize: 0
; MemoryBound: 0
; FloatMode: 240
; IeeeMode: 1
; LDSByteSize: 0 bytes/workgroup (compile time only)
; SGPRBlocks: 0
; VGPRBlocks: 0
; NumSGPRsForWavesPerEU: 1
; NumVGPRsForWavesPerEU: 1
; Occupancy: 16
; WaveLimiterHint : 0
; COMPUTE_PGM_RSRC2:SCRATCH_EN: 0
; COMPUTE_PGM_RSRC2:USER_SGPR: 15
; COMPUTE_PGM_RSRC2:TRAP_HANDLER: 0
; COMPUTE_PGM_RSRC2:TGID_X_EN: 1
; COMPUTE_PGM_RSRC2:TGID_Y_EN: 0
; COMPUTE_PGM_RSRC2:TGID_Z_EN: 0
; COMPUTE_PGM_RSRC2:TIDIG_COMP_CNT: 0
	.section	.text._ZN7rocprim17ROCPRIM_400000_NS6detail17trampoline_kernelINS0_14default_configENS1_25transform_config_selectorImLb0EEEZNS1_14transform_implILb0ES3_S5_NS0_17constant_iteratorImlEEPmNS0_8identityImEEEE10hipError_tT2_T3_mT4_P12ihipStream_tbEUlT_E_NS1_11comp_targetILNS1_3genE4ELNS1_11target_archE910ELNS1_3gpuE8ELNS1_3repE0EEENS1_30default_config_static_selectorELNS0_4arch9wavefront6targetE0EEEvT1_,"axG",@progbits,_ZN7rocprim17ROCPRIM_400000_NS6detail17trampoline_kernelINS0_14default_configENS1_25transform_config_selectorImLb0EEEZNS1_14transform_implILb0ES3_S5_NS0_17constant_iteratorImlEEPmNS0_8identityImEEEE10hipError_tT2_T3_mT4_P12ihipStream_tbEUlT_E_NS1_11comp_targetILNS1_3genE4ELNS1_11target_archE910ELNS1_3gpuE8ELNS1_3repE0EEENS1_30default_config_static_selectorELNS0_4arch9wavefront6targetE0EEEvT1_,comdat
	.protected	_ZN7rocprim17ROCPRIM_400000_NS6detail17trampoline_kernelINS0_14default_configENS1_25transform_config_selectorImLb0EEEZNS1_14transform_implILb0ES3_S5_NS0_17constant_iteratorImlEEPmNS0_8identityImEEEE10hipError_tT2_T3_mT4_P12ihipStream_tbEUlT_E_NS1_11comp_targetILNS1_3genE4ELNS1_11target_archE910ELNS1_3gpuE8ELNS1_3repE0EEENS1_30default_config_static_selectorELNS0_4arch9wavefront6targetE0EEEvT1_ ; -- Begin function _ZN7rocprim17ROCPRIM_400000_NS6detail17trampoline_kernelINS0_14default_configENS1_25transform_config_selectorImLb0EEEZNS1_14transform_implILb0ES3_S5_NS0_17constant_iteratorImlEEPmNS0_8identityImEEEE10hipError_tT2_T3_mT4_P12ihipStream_tbEUlT_E_NS1_11comp_targetILNS1_3genE4ELNS1_11target_archE910ELNS1_3gpuE8ELNS1_3repE0EEENS1_30default_config_static_selectorELNS0_4arch9wavefront6targetE0EEEvT1_
	.globl	_ZN7rocprim17ROCPRIM_400000_NS6detail17trampoline_kernelINS0_14default_configENS1_25transform_config_selectorImLb0EEEZNS1_14transform_implILb0ES3_S5_NS0_17constant_iteratorImlEEPmNS0_8identityImEEEE10hipError_tT2_T3_mT4_P12ihipStream_tbEUlT_E_NS1_11comp_targetILNS1_3genE4ELNS1_11target_archE910ELNS1_3gpuE8ELNS1_3repE0EEENS1_30default_config_static_selectorELNS0_4arch9wavefront6targetE0EEEvT1_
	.p2align	8
	.type	_ZN7rocprim17ROCPRIM_400000_NS6detail17trampoline_kernelINS0_14default_configENS1_25transform_config_selectorImLb0EEEZNS1_14transform_implILb0ES3_S5_NS0_17constant_iteratorImlEEPmNS0_8identityImEEEE10hipError_tT2_T3_mT4_P12ihipStream_tbEUlT_E_NS1_11comp_targetILNS1_3genE4ELNS1_11target_archE910ELNS1_3gpuE8ELNS1_3repE0EEENS1_30default_config_static_selectorELNS0_4arch9wavefront6targetE0EEEvT1_,@function
_ZN7rocprim17ROCPRIM_400000_NS6detail17trampoline_kernelINS0_14default_configENS1_25transform_config_selectorImLb0EEEZNS1_14transform_implILb0ES3_S5_NS0_17constant_iteratorImlEEPmNS0_8identityImEEEE10hipError_tT2_T3_mT4_P12ihipStream_tbEUlT_E_NS1_11comp_targetILNS1_3genE4ELNS1_11target_archE910ELNS1_3gpuE8ELNS1_3repE0EEENS1_30default_config_static_selectorELNS0_4arch9wavefront6targetE0EEEvT1_: ; @_ZN7rocprim17ROCPRIM_400000_NS6detail17trampoline_kernelINS0_14default_configENS1_25transform_config_selectorImLb0EEEZNS1_14transform_implILb0ES3_S5_NS0_17constant_iteratorImlEEPmNS0_8identityImEEEE10hipError_tT2_T3_mT4_P12ihipStream_tbEUlT_E_NS1_11comp_targetILNS1_3genE4ELNS1_11target_archE910ELNS1_3gpuE8ELNS1_3repE0EEENS1_30default_config_static_selectorELNS0_4arch9wavefront6targetE0EEEvT1_
; %bb.0:
	.section	.rodata,"a",@progbits
	.p2align	6, 0x0
	.amdhsa_kernel _ZN7rocprim17ROCPRIM_400000_NS6detail17trampoline_kernelINS0_14default_configENS1_25transform_config_selectorImLb0EEEZNS1_14transform_implILb0ES3_S5_NS0_17constant_iteratorImlEEPmNS0_8identityImEEEE10hipError_tT2_T3_mT4_P12ihipStream_tbEUlT_E_NS1_11comp_targetILNS1_3genE4ELNS1_11target_archE910ELNS1_3gpuE8ELNS1_3repE0EEENS1_30default_config_static_selectorELNS0_4arch9wavefront6targetE0EEEvT1_
		.amdhsa_group_segment_fixed_size 0
		.amdhsa_private_segment_fixed_size 0
		.amdhsa_kernarg_size 48
		.amdhsa_user_sgpr_count 15
		.amdhsa_user_sgpr_dispatch_ptr 0
		.amdhsa_user_sgpr_queue_ptr 0
		.amdhsa_user_sgpr_kernarg_segment_ptr 1
		.amdhsa_user_sgpr_dispatch_id 0
		.amdhsa_user_sgpr_private_segment_size 0
		.amdhsa_wavefront_size32 1
		.amdhsa_uses_dynamic_stack 0
		.amdhsa_enable_private_segment 0
		.amdhsa_system_sgpr_workgroup_id_x 1
		.amdhsa_system_sgpr_workgroup_id_y 0
		.amdhsa_system_sgpr_workgroup_id_z 0
		.amdhsa_system_sgpr_workgroup_info 0
		.amdhsa_system_vgpr_workitem_id 0
		.amdhsa_next_free_vgpr 1
		.amdhsa_next_free_sgpr 1
		.amdhsa_reserve_vcc 0
		.amdhsa_float_round_mode_32 0
		.amdhsa_float_round_mode_16_64 0
		.amdhsa_float_denorm_mode_32 3
		.amdhsa_float_denorm_mode_16_64 3
		.amdhsa_dx10_clamp 1
		.amdhsa_ieee_mode 1
		.amdhsa_fp16_overflow 0
		.amdhsa_workgroup_processor_mode 1
		.amdhsa_memory_ordered 1
		.amdhsa_forward_progress 0
		.amdhsa_shared_vgpr_count 0
		.amdhsa_exception_fp_ieee_invalid_op 0
		.amdhsa_exception_fp_denorm_src 0
		.amdhsa_exception_fp_ieee_div_zero 0
		.amdhsa_exception_fp_ieee_overflow 0
		.amdhsa_exception_fp_ieee_underflow 0
		.amdhsa_exception_fp_ieee_inexact 0
		.amdhsa_exception_int_div_zero 0
	.end_amdhsa_kernel
	.section	.text._ZN7rocprim17ROCPRIM_400000_NS6detail17trampoline_kernelINS0_14default_configENS1_25transform_config_selectorImLb0EEEZNS1_14transform_implILb0ES3_S5_NS0_17constant_iteratorImlEEPmNS0_8identityImEEEE10hipError_tT2_T3_mT4_P12ihipStream_tbEUlT_E_NS1_11comp_targetILNS1_3genE4ELNS1_11target_archE910ELNS1_3gpuE8ELNS1_3repE0EEENS1_30default_config_static_selectorELNS0_4arch9wavefront6targetE0EEEvT1_,"axG",@progbits,_ZN7rocprim17ROCPRIM_400000_NS6detail17trampoline_kernelINS0_14default_configENS1_25transform_config_selectorImLb0EEEZNS1_14transform_implILb0ES3_S5_NS0_17constant_iteratorImlEEPmNS0_8identityImEEEE10hipError_tT2_T3_mT4_P12ihipStream_tbEUlT_E_NS1_11comp_targetILNS1_3genE4ELNS1_11target_archE910ELNS1_3gpuE8ELNS1_3repE0EEENS1_30default_config_static_selectorELNS0_4arch9wavefront6targetE0EEEvT1_,comdat
.Lfunc_end4:
	.size	_ZN7rocprim17ROCPRIM_400000_NS6detail17trampoline_kernelINS0_14default_configENS1_25transform_config_selectorImLb0EEEZNS1_14transform_implILb0ES3_S5_NS0_17constant_iteratorImlEEPmNS0_8identityImEEEE10hipError_tT2_T3_mT4_P12ihipStream_tbEUlT_E_NS1_11comp_targetILNS1_3genE4ELNS1_11target_archE910ELNS1_3gpuE8ELNS1_3repE0EEENS1_30default_config_static_selectorELNS0_4arch9wavefront6targetE0EEEvT1_, .Lfunc_end4-_ZN7rocprim17ROCPRIM_400000_NS6detail17trampoline_kernelINS0_14default_configENS1_25transform_config_selectorImLb0EEEZNS1_14transform_implILb0ES3_S5_NS0_17constant_iteratorImlEEPmNS0_8identityImEEEE10hipError_tT2_T3_mT4_P12ihipStream_tbEUlT_E_NS1_11comp_targetILNS1_3genE4ELNS1_11target_archE910ELNS1_3gpuE8ELNS1_3repE0EEENS1_30default_config_static_selectorELNS0_4arch9wavefront6targetE0EEEvT1_
                                        ; -- End function
	.section	.AMDGPU.csdata,"",@progbits
; Kernel info:
; codeLenInByte = 0
; NumSgprs: 0
; NumVgprs: 0
; ScratchSize: 0
; MemoryBound: 0
; FloatMode: 240
; IeeeMode: 1
; LDSByteSize: 0 bytes/workgroup (compile time only)
; SGPRBlocks: 0
; VGPRBlocks: 0
; NumSGPRsForWavesPerEU: 1
; NumVGPRsForWavesPerEU: 1
; Occupancy: 16
; WaveLimiterHint : 0
; COMPUTE_PGM_RSRC2:SCRATCH_EN: 0
; COMPUTE_PGM_RSRC2:USER_SGPR: 15
; COMPUTE_PGM_RSRC2:TRAP_HANDLER: 0
; COMPUTE_PGM_RSRC2:TGID_X_EN: 1
; COMPUTE_PGM_RSRC2:TGID_Y_EN: 0
; COMPUTE_PGM_RSRC2:TGID_Z_EN: 0
; COMPUTE_PGM_RSRC2:TIDIG_COMP_CNT: 0
	.section	.text._ZN7rocprim17ROCPRIM_400000_NS6detail17trampoline_kernelINS0_14default_configENS1_25transform_config_selectorImLb0EEEZNS1_14transform_implILb0ES3_S5_NS0_17constant_iteratorImlEEPmNS0_8identityImEEEE10hipError_tT2_T3_mT4_P12ihipStream_tbEUlT_E_NS1_11comp_targetILNS1_3genE3ELNS1_11target_archE908ELNS1_3gpuE7ELNS1_3repE0EEENS1_30default_config_static_selectorELNS0_4arch9wavefront6targetE0EEEvT1_,"axG",@progbits,_ZN7rocprim17ROCPRIM_400000_NS6detail17trampoline_kernelINS0_14default_configENS1_25transform_config_selectorImLb0EEEZNS1_14transform_implILb0ES3_S5_NS0_17constant_iteratorImlEEPmNS0_8identityImEEEE10hipError_tT2_T3_mT4_P12ihipStream_tbEUlT_E_NS1_11comp_targetILNS1_3genE3ELNS1_11target_archE908ELNS1_3gpuE7ELNS1_3repE0EEENS1_30default_config_static_selectorELNS0_4arch9wavefront6targetE0EEEvT1_,comdat
	.protected	_ZN7rocprim17ROCPRIM_400000_NS6detail17trampoline_kernelINS0_14default_configENS1_25transform_config_selectorImLb0EEEZNS1_14transform_implILb0ES3_S5_NS0_17constant_iteratorImlEEPmNS0_8identityImEEEE10hipError_tT2_T3_mT4_P12ihipStream_tbEUlT_E_NS1_11comp_targetILNS1_3genE3ELNS1_11target_archE908ELNS1_3gpuE7ELNS1_3repE0EEENS1_30default_config_static_selectorELNS0_4arch9wavefront6targetE0EEEvT1_ ; -- Begin function _ZN7rocprim17ROCPRIM_400000_NS6detail17trampoline_kernelINS0_14default_configENS1_25transform_config_selectorImLb0EEEZNS1_14transform_implILb0ES3_S5_NS0_17constant_iteratorImlEEPmNS0_8identityImEEEE10hipError_tT2_T3_mT4_P12ihipStream_tbEUlT_E_NS1_11comp_targetILNS1_3genE3ELNS1_11target_archE908ELNS1_3gpuE7ELNS1_3repE0EEENS1_30default_config_static_selectorELNS0_4arch9wavefront6targetE0EEEvT1_
	.globl	_ZN7rocprim17ROCPRIM_400000_NS6detail17trampoline_kernelINS0_14default_configENS1_25transform_config_selectorImLb0EEEZNS1_14transform_implILb0ES3_S5_NS0_17constant_iteratorImlEEPmNS0_8identityImEEEE10hipError_tT2_T3_mT4_P12ihipStream_tbEUlT_E_NS1_11comp_targetILNS1_3genE3ELNS1_11target_archE908ELNS1_3gpuE7ELNS1_3repE0EEENS1_30default_config_static_selectorELNS0_4arch9wavefront6targetE0EEEvT1_
	.p2align	8
	.type	_ZN7rocprim17ROCPRIM_400000_NS6detail17trampoline_kernelINS0_14default_configENS1_25transform_config_selectorImLb0EEEZNS1_14transform_implILb0ES3_S5_NS0_17constant_iteratorImlEEPmNS0_8identityImEEEE10hipError_tT2_T3_mT4_P12ihipStream_tbEUlT_E_NS1_11comp_targetILNS1_3genE3ELNS1_11target_archE908ELNS1_3gpuE7ELNS1_3repE0EEENS1_30default_config_static_selectorELNS0_4arch9wavefront6targetE0EEEvT1_,@function
_ZN7rocprim17ROCPRIM_400000_NS6detail17trampoline_kernelINS0_14default_configENS1_25transform_config_selectorImLb0EEEZNS1_14transform_implILb0ES3_S5_NS0_17constant_iteratorImlEEPmNS0_8identityImEEEE10hipError_tT2_T3_mT4_P12ihipStream_tbEUlT_E_NS1_11comp_targetILNS1_3genE3ELNS1_11target_archE908ELNS1_3gpuE7ELNS1_3repE0EEENS1_30default_config_static_selectorELNS0_4arch9wavefront6targetE0EEEvT1_: ; @_ZN7rocprim17ROCPRIM_400000_NS6detail17trampoline_kernelINS0_14default_configENS1_25transform_config_selectorImLb0EEEZNS1_14transform_implILb0ES3_S5_NS0_17constant_iteratorImlEEPmNS0_8identityImEEEE10hipError_tT2_T3_mT4_P12ihipStream_tbEUlT_E_NS1_11comp_targetILNS1_3genE3ELNS1_11target_archE908ELNS1_3gpuE7ELNS1_3repE0EEENS1_30default_config_static_selectorELNS0_4arch9wavefront6targetE0EEEvT1_
; %bb.0:
	.section	.rodata,"a",@progbits
	.p2align	6, 0x0
	.amdhsa_kernel _ZN7rocprim17ROCPRIM_400000_NS6detail17trampoline_kernelINS0_14default_configENS1_25transform_config_selectorImLb0EEEZNS1_14transform_implILb0ES3_S5_NS0_17constant_iteratorImlEEPmNS0_8identityImEEEE10hipError_tT2_T3_mT4_P12ihipStream_tbEUlT_E_NS1_11comp_targetILNS1_3genE3ELNS1_11target_archE908ELNS1_3gpuE7ELNS1_3repE0EEENS1_30default_config_static_selectorELNS0_4arch9wavefront6targetE0EEEvT1_
		.amdhsa_group_segment_fixed_size 0
		.amdhsa_private_segment_fixed_size 0
		.amdhsa_kernarg_size 48
		.amdhsa_user_sgpr_count 15
		.amdhsa_user_sgpr_dispatch_ptr 0
		.amdhsa_user_sgpr_queue_ptr 0
		.amdhsa_user_sgpr_kernarg_segment_ptr 1
		.amdhsa_user_sgpr_dispatch_id 0
		.amdhsa_user_sgpr_private_segment_size 0
		.amdhsa_wavefront_size32 1
		.amdhsa_uses_dynamic_stack 0
		.amdhsa_enable_private_segment 0
		.amdhsa_system_sgpr_workgroup_id_x 1
		.amdhsa_system_sgpr_workgroup_id_y 0
		.amdhsa_system_sgpr_workgroup_id_z 0
		.amdhsa_system_sgpr_workgroup_info 0
		.amdhsa_system_vgpr_workitem_id 0
		.amdhsa_next_free_vgpr 1
		.amdhsa_next_free_sgpr 1
		.amdhsa_reserve_vcc 0
		.amdhsa_float_round_mode_32 0
		.amdhsa_float_round_mode_16_64 0
		.amdhsa_float_denorm_mode_32 3
		.amdhsa_float_denorm_mode_16_64 3
		.amdhsa_dx10_clamp 1
		.amdhsa_ieee_mode 1
		.amdhsa_fp16_overflow 0
		.amdhsa_workgroup_processor_mode 1
		.amdhsa_memory_ordered 1
		.amdhsa_forward_progress 0
		.amdhsa_shared_vgpr_count 0
		.amdhsa_exception_fp_ieee_invalid_op 0
		.amdhsa_exception_fp_denorm_src 0
		.amdhsa_exception_fp_ieee_div_zero 0
		.amdhsa_exception_fp_ieee_overflow 0
		.amdhsa_exception_fp_ieee_underflow 0
		.amdhsa_exception_fp_ieee_inexact 0
		.amdhsa_exception_int_div_zero 0
	.end_amdhsa_kernel
	.section	.text._ZN7rocprim17ROCPRIM_400000_NS6detail17trampoline_kernelINS0_14default_configENS1_25transform_config_selectorImLb0EEEZNS1_14transform_implILb0ES3_S5_NS0_17constant_iteratorImlEEPmNS0_8identityImEEEE10hipError_tT2_T3_mT4_P12ihipStream_tbEUlT_E_NS1_11comp_targetILNS1_3genE3ELNS1_11target_archE908ELNS1_3gpuE7ELNS1_3repE0EEENS1_30default_config_static_selectorELNS0_4arch9wavefront6targetE0EEEvT1_,"axG",@progbits,_ZN7rocprim17ROCPRIM_400000_NS6detail17trampoline_kernelINS0_14default_configENS1_25transform_config_selectorImLb0EEEZNS1_14transform_implILb0ES3_S5_NS0_17constant_iteratorImlEEPmNS0_8identityImEEEE10hipError_tT2_T3_mT4_P12ihipStream_tbEUlT_E_NS1_11comp_targetILNS1_3genE3ELNS1_11target_archE908ELNS1_3gpuE7ELNS1_3repE0EEENS1_30default_config_static_selectorELNS0_4arch9wavefront6targetE0EEEvT1_,comdat
.Lfunc_end5:
	.size	_ZN7rocprim17ROCPRIM_400000_NS6detail17trampoline_kernelINS0_14default_configENS1_25transform_config_selectorImLb0EEEZNS1_14transform_implILb0ES3_S5_NS0_17constant_iteratorImlEEPmNS0_8identityImEEEE10hipError_tT2_T3_mT4_P12ihipStream_tbEUlT_E_NS1_11comp_targetILNS1_3genE3ELNS1_11target_archE908ELNS1_3gpuE7ELNS1_3repE0EEENS1_30default_config_static_selectorELNS0_4arch9wavefront6targetE0EEEvT1_, .Lfunc_end5-_ZN7rocprim17ROCPRIM_400000_NS6detail17trampoline_kernelINS0_14default_configENS1_25transform_config_selectorImLb0EEEZNS1_14transform_implILb0ES3_S5_NS0_17constant_iteratorImlEEPmNS0_8identityImEEEE10hipError_tT2_T3_mT4_P12ihipStream_tbEUlT_E_NS1_11comp_targetILNS1_3genE3ELNS1_11target_archE908ELNS1_3gpuE7ELNS1_3repE0EEENS1_30default_config_static_selectorELNS0_4arch9wavefront6targetE0EEEvT1_
                                        ; -- End function
	.section	.AMDGPU.csdata,"",@progbits
; Kernel info:
; codeLenInByte = 0
; NumSgprs: 0
; NumVgprs: 0
; ScratchSize: 0
; MemoryBound: 0
; FloatMode: 240
; IeeeMode: 1
; LDSByteSize: 0 bytes/workgroup (compile time only)
; SGPRBlocks: 0
; VGPRBlocks: 0
; NumSGPRsForWavesPerEU: 1
; NumVGPRsForWavesPerEU: 1
; Occupancy: 16
; WaveLimiterHint : 0
; COMPUTE_PGM_RSRC2:SCRATCH_EN: 0
; COMPUTE_PGM_RSRC2:USER_SGPR: 15
; COMPUTE_PGM_RSRC2:TRAP_HANDLER: 0
; COMPUTE_PGM_RSRC2:TGID_X_EN: 1
; COMPUTE_PGM_RSRC2:TGID_Y_EN: 0
; COMPUTE_PGM_RSRC2:TGID_Z_EN: 0
; COMPUTE_PGM_RSRC2:TIDIG_COMP_CNT: 0
	.section	.text._ZN7rocprim17ROCPRIM_400000_NS6detail17trampoline_kernelINS0_14default_configENS1_25transform_config_selectorImLb0EEEZNS1_14transform_implILb0ES3_S5_NS0_17constant_iteratorImlEEPmNS0_8identityImEEEE10hipError_tT2_T3_mT4_P12ihipStream_tbEUlT_E_NS1_11comp_targetILNS1_3genE2ELNS1_11target_archE906ELNS1_3gpuE6ELNS1_3repE0EEENS1_30default_config_static_selectorELNS0_4arch9wavefront6targetE0EEEvT1_,"axG",@progbits,_ZN7rocprim17ROCPRIM_400000_NS6detail17trampoline_kernelINS0_14default_configENS1_25transform_config_selectorImLb0EEEZNS1_14transform_implILb0ES3_S5_NS0_17constant_iteratorImlEEPmNS0_8identityImEEEE10hipError_tT2_T3_mT4_P12ihipStream_tbEUlT_E_NS1_11comp_targetILNS1_3genE2ELNS1_11target_archE906ELNS1_3gpuE6ELNS1_3repE0EEENS1_30default_config_static_selectorELNS0_4arch9wavefront6targetE0EEEvT1_,comdat
	.protected	_ZN7rocprim17ROCPRIM_400000_NS6detail17trampoline_kernelINS0_14default_configENS1_25transform_config_selectorImLb0EEEZNS1_14transform_implILb0ES3_S5_NS0_17constant_iteratorImlEEPmNS0_8identityImEEEE10hipError_tT2_T3_mT4_P12ihipStream_tbEUlT_E_NS1_11comp_targetILNS1_3genE2ELNS1_11target_archE906ELNS1_3gpuE6ELNS1_3repE0EEENS1_30default_config_static_selectorELNS0_4arch9wavefront6targetE0EEEvT1_ ; -- Begin function _ZN7rocprim17ROCPRIM_400000_NS6detail17trampoline_kernelINS0_14default_configENS1_25transform_config_selectorImLb0EEEZNS1_14transform_implILb0ES3_S5_NS0_17constant_iteratorImlEEPmNS0_8identityImEEEE10hipError_tT2_T3_mT4_P12ihipStream_tbEUlT_E_NS1_11comp_targetILNS1_3genE2ELNS1_11target_archE906ELNS1_3gpuE6ELNS1_3repE0EEENS1_30default_config_static_selectorELNS0_4arch9wavefront6targetE0EEEvT1_
	.globl	_ZN7rocprim17ROCPRIM_400000_NS6detail17trampoline_kernelINS0_14default_configENS1_25transform_config_selectorImLb0EEEZNS1_14transform_implILb0ES3_S5_NS0_17constant_iteratorImlEEPmNS0_8identityImEEEE10hipError_tT2_T3_mT4_P12ihipStream_tbEUlT_E_NS1_11comp_targetILNS1_3genE2ELNS1_11target_archE906ELNS1_3gpuE6ELNS1_3repE0EEENS1_30default_config_static_selectorELNS0_4arch9wavefront6targetE0EEEvT1_
	.p2align	8
	.type	_ZN7rocprim17ROCPRIM_400000_NS6detail17trampoline_kernelINS0_14default_configENS1_25transform_config_selectorImLb0EEEZNS1_14transform_implILb0ES3_S5_NS0_17constant_iteratorImlEEPmNS0_8identityImEEEE10hipError_tT2_T3_mT4_P12ihipStream_tbEUlT_E_NS1_11comp_targetILNS1_3genE2ELNS1_11target_archE906ELNS1_3gpuE6ELNS1_3repE0EEENS1_30default_config_static_selectorELNS0_4arch9wavefront6targetE0EEEvT1_,@function
_ZN7rocprim17ROCPRIM_400000_NS6detail17trampoline_kernelINS0_14default_configENS1_25transform_config_selectorImLb0EEEZNS1_14transform_implILb0ES3_S5_NS0_17constant_iteratorImlEEPmNS0_8identityImEEEE10hipError_tT2_T3_mT4_P12ihipStream_tbEUlT_E_NS1_11comp_targetILNS1_3genE2ELNS1_11target_archE906ELNS1_3gpuE6ELNS1_3repE0EEENS1_30default_config_static_selectorELNS0_4arch9wavefront6targetE0EEEvT1_: ; @_ZN7rocprim17ROCPRIM_400000_NS6detail17trampoline_kernelINS0_14default_configENS1_25transform_config_selectorImLb0EEEZNS1_14transform_implILb0ES3_S5_NS0_17constant_iteratorImlEEPmNS0_8identityImEEEE10hipError_tT2_T3_mT4_P12ihipStream_tbEUlT_E_NS1_11comp_targetILNS1_3genE2ELNS1_11target_archE906ELNS1_3gpuE6ELNS1_3repE0EEENS1_30default_config_static_selectorELNS0_4arch9wavefront6targetE0EEEvT1_
; %bb.0:
	.section	.rodata,"a",@progbits
	.p2align	6, 0x0
	.amdhsa_kernel _ZN7rocprim17ROCPRIM_400000_NS6detail17trampoline_kernelINS0_14default_configENS1_25transform_config_selectorImLb0EEEZNS1_14transform_implILb0ES3_S5_NS0_17constant_iteratorImlEEPmNS0_8identityImEEEE10hipError_tT2_T3_mT4_P12ihipStream_tbEUlT_E_NS1_11comp_targetILNS1_3genE2ELNS1_11target_archE906ELNS1_3gpuE6ELNS1_3repE0EEENS1_30default_config_static_selectorELNS0_4arch9wavefront6targetE0EEEvT1_
		.amdhsa_group_segment_fixed_size 0
		.amdhsa_private_segment_fixed_size 0
		.amdhsa_kernarg_size 48
		.amdhsa_user_sgpr_count 15
		.amdhsa_user_sgpr_dispatch_ptr 0
		.amdhsa_user_sgpr_queue_ptr 0
		.amdhsa_user_sgpr_kernarg_segment_ptr 1
		.amdhsa_user_sgpr_dispatch_id 0
		.amdhsa_user_sgpr_private_segment_size 0
		.amdhsa_wavefront_size32 1
		.amdhsa_uses_dynamic_stack 0
		.amdhsa_enable_private_segment 0
		.amdhsa_system_sgpr_workgroup_id_x 1
		.amdhsa_system_sgpr_workgroup_id_y 0
		.amdhsa_system_sgpr_workgroup_id_z 0
		.amdhsa_system_sgpr_workgroup_info 0
		.amdhsa_system_vgpr_workitem_id 0
		.amdhsa_next_free_vgpr 1
		.amdhsa_next_free_sgpr 1
		.amdhsa_reserve_vcc 0
		.amdhsa_float_round_mode_32 0
		.amdhsa_float_round_mode_16_64 0
		.amdhsa_float_denorm_mode_32 3
		.amdhsa_float_denorm_mode_16_64 3
		.amdhsa_dx10_clamp 1
		.amdhsa_ieee_mode 1
		.amdhsa_fp16_overflow 0
		.amdhsa_workgroup_processor_mode 1
		.amdhsa_memory_ordered 1
		.amdhsa_forward_progress 0
		.amdhsa_shared_vgpr_count 0
		.amdhsa_exception_fp_ieee_invalid_op 0
		.amdhsa_exception_fp_denorm_src 0
		.amdhsa_exception_fp_ieee_div_zero 0
		.amdhsa_exception_fp_ieee_overflow 0
		.amdhsa_exception_fp_ieee_underflow 0
		.amdhsa_exception_fp_ieee_inexact 0
		.amdhsa_exception_int_div_zero 0
	.end_amdhsa_kernel
	.section	.text._ZN7rocprim17ROCPRIM_400000_NS6detail17trampoline_kernelINS0_14default_configENS1_25transform_config_selectorImLb0EEEZNS1_14transform_implILb0ES3_S5_NS0_17constant_iteratorImlEEPmNS0_8identityImEEEE10hipError_tT2_T3_mT4_P12ihipStream_tbEUlT_E_NS1_11comp_targetILNS1_3genE2ELNS1_11target_archE906ELNS1_3gpuE6ELNS1_3repE0EEENS1_30default_config_static_selectorELNS0_4arch9wavefront6targetE0EEEvT1_,"axG",@progbits,_ZN7rocprim17ROCPRIM_400000_NS6detail17trampoline_kernelINS0_14default_configENS1_25transform_config_selectorImLb0EEEZNS1_14transform_implILb0ES3_S5_NS0_17constant_iteratorImlEEPmNS0_8identityImEEEE10hipError_tT2_T3_mT4_P12ihipStream_tbEUlT_E_NS1_11comp_targetILNS1_3genE2ELNS1_11target_archE906ELNS1_3gpuE6ELNS1_3repE0EEENS1_30default_config_static_selectorELNS0_4arch9wavefront6targetE0EEEvT1_,comdat
.Lfunc_end6:
	.size	_ZN7rocprim17ROCPRIM_400000_NS6detail17trampoline_kernelINS0_14default_configENS1_25transform_config_selectorImLb0EEEZNS1_14transform_implILb0ES3_S5_NS0_17constant_iteratorImlEEPmNS0_8identityImEEEE10hipError_tT2_T3_mT4_P12ihipStream_tbEUlT_E_NS1_11comp_targetILNS1_3genE2ELNS1_11target_archE906ELNS1_3gpuE6ELNS1_3repE0EEENS1_30default_config_static_selectorELNS0_4arch9wavefront6targetE0EEEvT1_, .Lfunc_end6-_ZN7rocprim17ROCPRIM_400000_NS6detail17trampoline_kernelINS0_14default_configENS1_25transform_config_selectorImLb0EEEZNS1_14transform_implILb0ES3_S5_NS0_17constant_iteratorImlEEPmNS0_8identityImEEEE10hipError_tT2_T3_mT4_P12ihipStream_tbEUlT_E_NS1_11comp_targetILNS1_3genE2ELNS1_11target_archE906ELNS1_3gpuE6ELNS1_3repE0EEENS1_30default_config_static_selectorELNS0_4arch9wavefront6targetE0EEEvT1_
                                        ; -- End function
	.section	.AMDGPU.csdata,"",@progbits
; Kernel info:
; codeLenInByte = 0
; NumSgprs: 0
; NumVgprs: 0
; ScratchSize: 0
; MemoryBound: 0
; FloatMode: 240
; IeeeMode: 1
; LDSByteSize: 0 bytes/workgroup (compile time only)
; SGPRBlocks: 0
; VGPRBlocks: 0
; NumSGPRsForWavesPerEU: 1
; NumVGPRsForWavesPerEU: 1
; Occupancy: 16
; WaveLimiterHint : 0
; COMPUTE_PGM_RSRC2:SCRATCH_EN: 0
; COMPUTE_PGM_RSRC2:USER_SGPR: 15
; COMPUTE_PGM_RSRC2:TRAP_HANDLER: 0
; COMPUTE_PGM_RSRC2:TGID_X_EN: 1
; COMPUTE_PGM_RSRC2:TGID_Y_EN: 0
; COMPUTE_PGM_RSRC2:TGID_Z_EN: 0
; COMPUTE_PGM_RSRC2:TIDIG_COMP_CNT: 0
	.section	.text._ZN7rocprim17ROCPRIM_400000_NS6detail17trampoline_kernelINS0_14default_configENS1_25transform_config_selectorImLb0EEEZNS1_14transform_implILb0ES3_S5_NS0_17constant_iteratorImlEEPmNS0_8identityImEEEE10hipError_tT2_T3_mT4_P12ihipStream_tbEUlT_E_NS1_11comp_targetILNS1_3genE10ELNS1_11target_archE1201ELNS1_3gpuE5ELNS1_3repE0EEENS1_30default_config_static_selectorELNS0_4arch9wavefront6targetE0EEEvT1_,"axG",@progbits,_ZN7rocprim17ROCPRIM_400000_NS6detail17trampoline_kernelINS0_14default_configENS1_25transform_config_selectorImLb0EEEZNS1_14transform_implILb0ES3_S5_NS0_17constant_iteratorImlEEPmNS0_8identityImEEEE10hipError_tT2_T3_mT4_P12ihipStream_tbEUlT_E_NS1_11comp_targetILNS1_3genE10ELNS1_11target_archE1201ELNS1_3gpuE5ELNS1_3repE0EEENS1_30default_config_static_selectorELNS0_4arch9wavefront6targetE0EEEvT1_,comdat
	.protected	_ZN7rocprim17ROCPRIM_400000_NS6detail17trampoline_kernelINS0_14default_configENS1_25transform_config_selectorImLb0EEEZNS1_14transform_implILb0ES3_S5_NS0_17constant_iteratorImlEEPmNS0_8identityImEEEE10hipError_tT2_T3_mT4_P12ihipStream_tbEUlT_E_NS1_11comp_targetILNS1_3genE10ELNS1_11target_archE1201ELNS1_3gpuE5ELNS1_3repE0EEENS1_30default_config_static_selectorELNS0_4arch9wavefront6targetE0EEEvT1_ ; -- Begin function _ZN7rocprim17ROCPRIM_400000_NS6detail17trampoline_kernelINS0_14default_configENS1_25transform_config_selectorImLb0EEEZNS1_14transform_implILb0ES3_S5_NS0_17constant_iteratorImlEEPmNS0_8identityImEEEE10hipError_tT2_T3_mT4_P12ihipStream_tbEUlT_E_NS1_11comp_targetILNS1_3genE10ELNS1_11target_archE1201ELNS1_3gpuE5ELNS1_3repE0EEENS1_30default_config_static_selectorELNS0_4arch9wavefront6targetE0EEEvT1_
	.globl	_ZN7rocprim17ROCPRIM_400000_NS6detail17trampoline_kernelINS0_14default_configENS1_25transform_config_selectorImLb0EEEZNS1_14transform_implILb0ES3_S5_NS0_17constant_iteratorImlEEPmNS0_8identityImEEEE10hipError_tT2_T3_mT4_P12ihipStream_tbEUlT_E_NS1_11comp_targetILNS1_3genE10ELNS1_11target_archE1201ELNS1_3gpuE5ELNS1_3repE0EEENS1_30default_config_static_selectorELNS0_4arch9wavefront6targetE0EEEvT1_
	.p2align	8
	.type	_ZN7rocprim17ROCPRIM_400000_NS6detail17trampoline_kernelINS0_14default_configENS1_25transform_config_selectorImLb0EEEZNS1_14transform_implILb0ES3_S5_NS0_17constant_iteratorImlEEPmNS0_8identityImEEEE10hipError_tT2_T3_mT4_P12ihipStream_tbEUlT_E_NS1_11comp_targetILNS1_3genE10ELNS1_11target_archE1201ELNS1_3gpuE5ELNS1_3repE0EEENS1_30default_config_static_selectorELNS0_4arch9wavefront6targetE0EEEvT1_,@function
_ZN7rocprim17ROCPRIM_400000_NS6detail17trampoline_kernelINS0_14default_configENS1_25transform_config_selectorImLb0EEEZNS1_14transform_implILb0ES3_S5_NS0_17constant_iteratorImlEEPmNS0_8identityImEEEE10hipError_tT2_T3_mT4_P12ihipStream_tbEUlT_E_NS1_11comp_targetILNS1_3genE10ELNS1_11target_archE1201ELNS1_3gpuE5ELNS1_3repE0EEENS1_30default_config_static_selectorELNS0_4arch9wavefront6targetE0EEEvT1_: ; @_ZN7rocprim17ROCPRIM_400000_NS6detail17trampoline_kernelINS0_14default_configENS1_25transform_config_selectorImLb0EEEZNS1_14transform_implILb0ES3_S5_NS0_17constant_iteratorImlEEPmNS0_8identityImEEEE10hipError_tT2_T3_mT4_P12ihipStream_tbEUlT_E_NS1_11comp_targetILNS1_3genE10ELNS1_11target_archE1201ELNS1_3gpuE5ELNS1_3repE0EEENS1_30default_config_static_selectorELNS0_4arch9wavefront6targetE0EEEvT1_
; %bb.0:
	.section	.rodata,"a",@progbits
	.p2align	6, 0x0
	.amdhsa_kernel _ZN7rocprim17ROCPRIM_400000_NS6detail17trampoline_kernelINS0_14default_configENS1_25transform_config_selectorImLb0EEEZNS1_14transform_implILb0ES3_S5_NS0_17constant_iteratorImlEEPmNS0_8identityImEEEE10hipError_tT2_T3_mT4_P12ihipStream_tbEUlT_E_NS1_11comp_targetILNS1_3genE10ELNS1_11target_archE1201ELNS1_3gpuE5ELNS1_3repE0EEENS1_30default_config_static_selectorELNS0_4arch9wavefront6targetE0EEEvT1_
		.amdhsa_group_segment_fixed_size 0
		.amdhsa_private_segment_fixed_size 0
		.amdhsa_kernarg_size 48
		.amdhsa_user_sgpr_count 15
		.amdhsa_user_sgpr_dispatch_ptr 0
		.amdhsa_user_sgpr_queue_ptr 0
		.amdhsa_user_sgpr_kernarg_segment_ptr 1
		.amdhsa_user_sgpr_dispatch_id 0
		.amdhsa_user_sgpr_private_segment_size 0
		.amdhsa_wavefront_size32 1
		.amdhsa_uses_dynamic_stack 0
		.amdhsa_enable_private_segment 0
		.amdhsa_system_sgpr_workgroup_id_x 1
		.amdhsa_system_sgpr_workgroup_id_y 0
		.amdhsa_system_sgpr_workgroup_id_z 0
		.amdhsa_system_sgpr_workgroup_info 0
		.amdhsa_system_vgpr_workitem_id 0
		.amdhsa_next_free_vgpr 1
		.amdhsa_next_free_sgpr 1
		.amdhsa_reserve_vcc 0
		.amdhsa_float_round_mode_32 0
		.amdhsa_float_round_mode_16_64 0
		.amdhsa_float_denorm_mode_32 3
		.amdhsa_float_denorm_mode_16_64 3
		.amdhsa_dx10_clamp 1
		.amdhsa_ieee_mode 1
		.amdhsa_fp16_overflow 0
		.amdhsa_workgroup_processor_mode 1
		.amdhsa_memory_ordered 1
		.amdhsa_forward_progress 0
		.amdhsa_shared_vgpr_count 0
		.amdhsa_exception_fp_ieee_invalid_op 0
		.amdhsa_exception_fp_denorm_src 0
		.amdhsa_exception_fp_ieee_div_zero 0
		.amdhsa_exception_fp_ieee_overflow 0
		.amdhsa_exception_fp_ieee_underflow 0
		.amdhsa_exception_fp_ieee_inexact 0
		.amdhsa_exception_int_div_zero 0
	.end_amdhsa_kernel
	.section	.text._ZN7rocprim17ROCPRIM_400000_NS6detail17trampoline_kernelINS0_14default_configENS1_25transform_config_selectorImLb0EEEZNS1_14transform_implILb0ES3_S5_NS0_17constant_iteratorImlEEPmNS0_8identityImEEEE10hipError_tT2_T3_mT4_P12ihipStream_tbEUlT_E_NS1_11comp_targetILNS1_3genE10ELNS1_11target_archE1201ELNS1_3gpuE5ELNS1_3repE0EEENS1_30default_config_static_selectorELNS0_4arch9wavefront6targetE0EEEvT1_,"axG",@progbits,_ZN7rocprim17ROCPRIM_400000_NS6detail17trampoline_kernelINS0_14default_configENS1_25transform_config_selectorImLb0EEEZNS1_14transform_implILb0ES3_S5_NS0_17constant_iteratorImlEEPmNS0_8identityImEEEE10hipError_tT2_T3_mT4_P12ihipStream_tbEUlT_E_NS1_11comp_targetILNS1_3genE10ELNS1_11target_archE1201ELNS1_3gpuE5ELNS1_3repE0EEENS1_30default_config_static_selectorELNS0_4arch9wavefront6targetE0EEEvT1_,comdat
.Lfunc_end7:
	.size	_ZN7rocprim17ROCPRIM_400000_NS6detail17trampoline_kernelINS0_14default_configENS1_25transform_config_selectorImLb0EEEZNS1_14transform_implILb0ES3_S5_NS0_17constant_iteratorImlEEPmNS0_8identityImEEEE10hipError_tT2_T3_mT4_P12ihipStream_tbEUlT_E_NS1_11comp_targetILNS1_3genE10ELNS1_11target_archE1201ELNS1_3gpuE5ELNS1_3repE0EEENS1_30default_config_static_selectorELNS0_4arch9wavefront6targetE0EEEvT1_, .Lfunc_end7-_ZN7rocprim17ROCPRIM_400000_NS6detail17trampoline_kernelINS0_14default_configENS1_25transform_config_selectorImLb0EEEZNS1_14transform_implILb0ES3_S5_NS0_17constant_iteratorImlEEPmNS0_8identityImEEEE10hipError_tT2_T3_mT4_P12ihipStream_tbEUlT_E_NS1_11comp_targetILNS1_3genE10ELNS1_11target_archE1201ELNS1_3gpuE5ELNS1_3repE0EEENS1_30default_config_static_selectorELNS0_4arch9wavefront6targetE0EEEvT1_
                                        ; -- End function
	.section	.AMDGPU.csdata,"",@progbits
; Kernel info:
; codeLenInByte = 0
; NumSgprs: 0
; NumVgprs: 0
; ScratchSize: 0
; MemoryBound: 0
; FloatMode: 240
; IeeeMode: 1
; LDSByteSize: 0 bytes/workgroup (compile time only)
; SGPRBlocks: 0
; VGPRBlocks: 0
; NumSGPRsForWavesPerEU: 1
; NumVGPRsForWavesPerEU: 1
; Occupancy: 16
; WaveLimiterHint : 0
; COMPUTE_PGM_RSRC2:SCRATCH_EN: 0
; COMPUTE_PGM_RSRC2:USER_SGPR: 15
; COMPUTE_PGM_RSRC2:TRAP_HANDLER: 0
; COMPUTE_PGM_RSRC2:TGID_X_EN: 1
; COMPUTE_PGM_RSRC2:TGID_Y_EN: 0
; COMPUTE_PGM_RSRC2:TGID_Z_EN: 0
; COMPUTE_PGM_RSRC2:TIDIG_COMP_CNT: 0
	.section	.text._ZN7rocprim17ROCPRIM_400000_NS6detail17trampoline_kernelINS0_14default_configENS1_25transform_config_selectorImLb0EEEZNS1_14transform_implILb0ES3_S5_NS0_17constant_iteratorImlEEPmNS0_8identityImEEEE10hipError_tT2_T3_mT4_P12ihipStream_tbEUlT_E_NS1_11comp_targetILNS1_3genE10ELNS1_11target_archE1200ELNS1_3gpuE4ELNS1_3repE0EEENS1_30default_config_static_selectorELNS0_4arch9wavefront6targetE0EEEvT1_,"axG",@progbits,_ZN7rocprim17ROCPRIM_400000_NS6detail17trampoline_kernelINS0_14default_configENS1_25transform_config_selectorImLb0EEEZNS1_14transform_implILb0ES3_S5_NS0_17constant_iteratorImlEEPmNS0_8identityImEEEE10hipError_tT2_T3_mT4_P12ihipStream_tbEUlT_E_NS1_11comp_targetILNS1_3genE10ELNS1_11target_archE1200ELNS1_3gpuE4ELNS1_3repE0EEENS1_30default_config_static_selectorELNS0_4arch9wavefront6targetE0EEEvT1_,comdat
	.protected	_ZN7rocprim17ROCPRIM_400000_NS6detail17trampoline_kernelINS0_14default_configENS1_25transform_config_selectorImLb0EEEZNS1_14transform_implILb0ES3_S5_NS0_17constant_iteratorImlEEPmNS0_8identityImEEEE10hipError_tT2_T3_mT4_P12ihipStream_tbEUlT_E_NS1_11comp_targetILNS1_3genE10ELNS1_11target_archE1200ELNS1_3gpuE4ELNS1_3repE0EEENS1_30default_config_static_selectorELNS0_4arch9wavefront6targetE0EEEvT1_ ; -- Begin function _ZN7rocprim17ROCPRIM_400000_NS6detail17trampoline_kernelINS0_14default_configENS1_25transform_config_selectorImLb0EEEZNS1_14transform_implILb0ES3_S5_NS0_17constant_iteratorImlEEPmNS0_8identityImEEEE10hipError_tT2_T3_mT4_P12ihipStream_tbEUlT_E_NS1_11comp_targetILNS1_3genE10ELNS1_11target_archE1200ELNS1_3gpuE4ELNS1_3repE0EEENS1_30default_config_static_selectorELNS0_4arch9wavefront6targetE0EEEvT1_
	.globl	_ZN7rocprim17ROCPRIM_400000_NS6detail17trampoline_kernelINS0_14default_configENS1_25transform_config_selectorImLb0EEEZNS1_14transform_implILb0ES3_S5_NS0_17constant_iteratorImlEEPmNS0_8identityImEEEE10hipError_tT2_T3_mT4_P12ihipStream_tbEUlT_E_NS1_11comp_targetILNS1_3genE10ELNS1_11target_archE1200ELNS1_3gpuE4ELNS1_3repE0EEENS1_30default_config_static_selectorELNS0_4arch9wavefront6targetE0EEEvT1_
	.p2align	8
	.type	_ZN7rocprim17ROCPRIM_400000_NS6detail17trampoline_kernelINS0_14default_configENS1_25transform_config_selectorImLb0EEEZNS1_14transform_implILb0ES3_S5_NS0_17constant_iteratorImlEEPmNS0_8identityImEEEE10hipError_tT2_T3_mT4_P12ihipStream_tbEUlT_E_NS1_11comp_targetILNS1_3genE10ELNS1_11target_archE1200ELNS1_3gpuE4ELNS1_3repE0EEENS1_30default_config_static_selectorELNS0_4arch9wavefront6targetE0EEEvT1_,@function
_ZN7rocprim17ROCPRIM_400000_NS6detail17trampoline_kernelINS0_14default_configENS1_25transform_config_selectorImLb0EEEZNS1_14transform_implILb0ES3_S5_NS0_17constant_iteratorImlEEPmNS0_8identityImEEEE10hipError_tT2_T3_mT4_P12ihipStream_tbEUlT_E_NS1_11comp_targetILNS1_3genE10ELNS1_11target_archE1200ELNS1_3gpuE4ELNS1_3repE0EEENS1_30default_config_static_selectorELNS0_4arch9wavefront6targetE0EEEvT1_: ; @_ZN7rocprim17ROCPRIM_400000_NS6detail17trampoline_kernelINS0_14default_configENS1_25transform_config_selectorImLb0EEEZNS1_14transform_implILb0ES3_S5_NS0_17constant_iteratorImlEEPmNS0_8identityImEEEE10hipError_tT2_T3_mT4_P12ihipStream_tbEUlT_E_NS1_11comp_targetILNS1_3genE10ELNS1_11target_archE1200ELNS1_3gpuE4ELNS1_3repE0EEENS1_30default_config_static_selectorELNS0_4arch9wavefront6targetE0EEEvT1_
; %bb.0:
	.section	.rodata,"a",@progbits
	.p2align	6, 0x0
	.amdhsa_kernel _ZN7rocprim17ROCPRIM_400000_NS6detail17trampoline_kernelINS0_14default_configENS1_25transform_config_selectorImLb0EEEZNS1_14transform_implILb0ES3_S5_NS0_17constant_iteratorImlEEPmNS0_8identityImEEEE10hipError_tT2_T3_mT4_P12ihipStream_tbEUlT_E_NS1_11comp_targetILNS1_3genE10ELNS1_11target_archE1200ELNS1_3gpuE4ELNS1_3repE0EEENS1_30default_config_static_selectorELNS0_4arch9wavefront6targetE0EEEvT1_
		.amdhsa_group_segment_fixed_size 0
		.amdhsa_private_segment_fixed_size 0
		.amdhsa_kernarg_size 48
		.amdhsa_user_sgpr_count 15
		.amdhsa_user_sgpr_dispatch_ptr 0
		.amdhsa_user_sgpr_queue_ptr 0
		.amdhsa_user_sgpr_kernarg_segment_ptr 1
		.amdhsa_user_sgpr_dispatch_id 0
		.amdhsa_user_sgpr_private_segment_size 0
		.amdhsa_wavefront_size32 1
		.amdhsa_uses_dynamic_stack 0
		.amdhsa_enable_private_segment 0
		.amdhsa_system_sgpr_workgroup_id_x 1
		.amdhsa_system_sgpr_workgroup_id_y 0
		.amdhsa_system_sgpr_workgroup_id_z 0
		.amdhsa_system_sgpr_workgroup_info 0
		.amdhsa_system_vgpr_workitem_id 0
		.amdhsa_next_free_vgpr 1
		.amdhsa_next_free_sgpr 1
		.amdhsa_reserve_vcc 0
		.amdhsa_float_round_mode_32 0
		.amdhsa_float_round_mode_16_64 0
		.amdhsa_float_denorm_mode_32 3
		.amdhsa_float_denorm_mode_16_64 3
		.amdhsa_dx10_clamp 1
		.amdhsa_ieee_mode 1
		.amdhsa_fp16_overflow 0
		.amdhsa_workgroup_processor_mode 1
		.amdhsa_memory_ordered 1
		.amdhsa_forward_progress 0
		.amdhsa_shared_vgpr_count 0
		.amdhsa_exception_fp_ieee_invalid_op 0
		.amdhsa_exception_fp_denorm_src 0
		.amdhsa_exception_fp_ieee_div_zero 0
		.amdhsa_exception_fp_ieee_overflow 0
		.amdhsa_exception_fp_ieee_underflow 0
		.amdhsa_exception_fp_ieee_inexact 0
		.amdhsa_exception_int_div_zero 0
	.end_amdhsa_kernel
	.section	.text._ZN7rocprim17ROCPRIM_400000_NS6detail17trampoline_kernelINS0_14default_configENS1_25transform_config_selectorImLb0EEEZNS1_14transform_implILb0ES3_S5_NS0_17constant_iteratorImlEEPmNS0_8identityImEEEE10hipError_tT2_T3_mT4_P12ihipStream_tbEUlT_E_NS1_11comp_targetILNS1_3genE10ELNS1_11target_archE1200ELNS1_3gpuE4ELNS1_3repE0EEENS1_30default_config_static_selectorELNS0_4arch9wavefront6targetE0EEEvT1_,"axG",@progbits,_ZN7rocprim17ROCPRIM_400000_NS6detail17trampoline_kernelINS0_14default_configENS1_25transform_config_selectorImLb0EEEZNS1_14transform_implILb0ES3_S5_NS0_17constant_iteratorImlEEPmNS0_8identityImEEEE10hipError_tT2_T3_mT4_P12ihipStream_tbEUlT_E_NS1_11comp_targetILNS1_3genE10ELNS1_11target_archE1200ELNS1_3gpuE4ELNS1_3repE0EEENS1_30default_config_static_selectorELNS0_4arch9wavefront6targetE0EEEvT1_,comdat
.Lfunc_end8:
	.size	_ZN7rocprim17ROCPRIM_400000_NS6detail17trampoline_kernelINS0_14default_configENS1_25transform_config_selectorImLb0EEEZNS1_14transform_implILb0ES3_S5_NS0_17constant_iteratorImlEEPmNS0_8identityImEEEE10hipError_tT2_T3_mT4_P12ihipStream_tbEUlT_E_NS1_11comp_targetILNS1_3genE10ELNS1_11target_archE1200ELNS1_3gpuE4ELNS1_3repE0EEENS1_30default_config_static_selectorELNS0_4arch9wavefront6targetE0EEEvT1_, .Lfunc_end8-_ZN7rocprim17ROCPRIM_400000_NS6detail17trampoline_kernelINS0_14default_configENS1_25transform_config_selectorImLb0EEEZNS1_14transform_implILb0ES3_S5_NS0_17constant_iteratorImlEEPmNS0_8identityImEEEE10hipError_tT2_T3_mT4_P12ihipStream_tbEUlT_E_NS1_11comp_targetILNS1_3genE10ELNS1_11target_archE1200ELNS1_3gpuE4ELNS1_3repE0EEENS1_30default_config_static_selectorELNS0_4arch9wavefront6targetE0EEEvT1_
                                        ; -- End function
	.section	.AMDGPU.csdata,"",@progbits
; Kernel info:
; codeLenInByte = 0
; NumSgprs: 0
; NumVgprs: 0
; ScratchSize: 0
; MemoryBound: 0
; FloatMode: 240
; IeeeMode: 1
; LDSByteSize: 0 bytes/workgroup (compile time only)
; SGPRBlocks: 0
; VGPRBlocks: 0
; NumSGPRsForWavesPerEU: 1
; NumVGPRsForWavesPerEU: 1
; Occupancy: 16
; WaveLimiterHint : 0
; COMPUTE_PGM_RSRC2:SCRATCH_EN: 0
; COMPUTE_PGM_RSRC2:USER_SGPR: 15
; COMPUTE_PGM_RSRC2:TRAP_HANDLER: 0
; COMPUTE_PGM_RSRC2:TGID_X_EN: 1
; COMPUTE_PGM_RSRC2:TGID_Y_EN: 0
; COMPUTE_PGM_RSRC2:TGID_Z_EN: 0
; COMPUTE_PGM_RSRC2:TIDIG_COMP_CNT: 0
	.section	.text._ZN7rocprim17ROCPRIM_400000_NS6detail17trampoline_kernelINS0_14default_configENS1_25transform_config_selectorImLb0EEEZNS1_14transform_implILb0ES3_S5_NS0_17constant_iteratorImlEEPmNS0_8identityImEEEE10hipError_tT2_T3_mT4_P12ihipStream_tbEUlT_E_NS1_11comp_targetILNS1_3genE9ELNS1_11target_archE1100ELNS1_3gpuE3ELNS1_3repE0EEENS1_30default_config_static_selectorELNS0_4arch9wavefront6targetE0EEEvT1_,"axG",@progbits,_ZN7rocprim17ROCPRIM_400000_NS6detail17trampoline_kernelINS0_14default_configENS1_25transform_config_selectorImLb0EEEZNS1_14transform_implILb0ES3_S5_NS0_17constant_iteratorImlEEPmNS0_8identityImEEEE10hipError_tT2_T3_mT4_P12ihipStream_tbEUlT_E_NS1_11comp_targetILNS1_3genE9ELNS1_11target_archE1100ELNS1_3gpuE3ELNS1_3repE0EEENS1_30default_config_static_selectorELNS0_4arch9wavefront6targetE0EEEvT1_,comdat
	.protected	_ZN7rocprim17ROCPRIM_400000_NS6detail17trampoline_kernelINS0_14default_configENS1_25transform_config_selectorImLb0EEEZNS1_14transform_implILb0ES3_S5_NS0_17constant_iteratorImlEEPmNS0_8identityImEEEE10hipError_tT2_T3_mT4_P12ihipStream_tbEUlT_E_NS1_11comp_targetILNS1_3genE9ELNS1_11target_archE1100ELNS1_3gpuE3ELNS1_3repE0EEENS1_30default_config_static_selectorELNS0_4arch9wavefront6targetE0EEEvT1_ ; -- Begin function _ZN7rocprim17ROCPRIM_400000_NS6detail17trampoline_kernelINS0_14default_configENS1_25transform_config_selectorImLb0EEEZNS1_14transform_implILb0ES3_S5_NS0_17constant_iteratorImlEEPmNS0_8identityImEEEE10hipError_tT2_T3_mT4_P12ihipStream_tbEUlT_E_NS1_11comp_targetILNS1_3genE9ELNS1_11target_archE1100ELNS1_3gpuE3ELNS1_3repE0EEENS1_30default_config_static_selectorELNS0_4arch9wavefront6targetE0EEEvT1_
	.globl	_ZN7rocprim17ROCPRIM_400000_NS6detail17trampoline_kernelINS0_14default_configENS1_25transform_config_selectorImLb0EEEZNS1_14transform_implILb0ES3_S5_NS0_17constant_iteratorImlEEPmNS0_8identityImEEEE10hipError_tT2_T3_mT4_P12ihipStream_tbEUlT_E_NS1_11comp_targetILNS1_3genE9ELNS1_11target_archE1100ELNS1_3gpuE3ELNS1_3repE0EEENS1_30default_config_static_selectorELNS0_4arch9wavefront6targetE0EEEvT1_
	.p2align	8
	.type	_ZN7rocprim17ROCPRIM_400000_NS6detail17trampoline_kernelINS0_14default_configENS1_25transform_config_selectorImLb0EEEZNS1_14transform_implILb0ES3_S5_NS0_17constant_iteratorImlEEPmNS0_8identityImEEEE10hipError_tT2_T3_mT4_P12ihipStream_tbEUlT_E_NS1_11comp_targetILNS1_3genE9ELNS1_11target_archE1100ELNS1_3gpuE3ELNS1_3repE0EEENS1_30default_config_static_selectorELNS0_4arch9wavefront6targetE0EEEvT1_,@function
_ZN7rocprim17ROCPRIM_400000_NS6detail17trampoline_kernelINS0_14default_configENS1_25transform_config_selectorImLb0EEEZNS1_14transform_implILb0ES3_S5_NS0_17constant_iteratorImlEEPmNS0_8identityImEEEE10hipError_tT2_T3_mT4_P12ihipStream_tbEUlT_E_NS1_11comp_targetILNS1_3genE9ELNS1_11target_archE1100ELNS1_3gpuE3ELNS1_3repE0EEENS1_30default_config_static_selectorELNS0_4arch9wavefront6targetE0EEEvT1_: ; @_ZN7rocprim17ROCPRIM_400000_NS6detail17trampoline_kernelINS0_14default_configENS1_25transform_config_selectorImLb0EEEZNS1_14transform_implILb0ES3_S5_NS0_17constant_iteratorImlEEPmNS0_8identityImEEEE10hipError_tT2_T3_mT4_P12ihipStream_tbEUlT_E_NS1_11comp_targetILNS1_3genE9ELNS1_11target_archE1100ELNS1_3gpuE3ELNS1_3repE0EEENS1_30default_config_static_selectorELNS0_4arch9wavefront6targetE0EEEvT1_
; %bb.0:
	s_clause 0x1
	s_load_b32 s2, s[0:1], 0x30
	s_load_b32 s3, s[0:1], 0x18
	s_waitcnt lgkmcnt(0)
	s_add_i32 s4, s2, -1
	s_lshl_b32 s2, s15, 9
	s_cmp_lg_u32 s15, s4
	s_cselect_b32 s4, -1, 0
	s_sub_i32 s3, s3, s2
	s_delay_alu instid0(SALU_CYCLE_1) | instskip(SKIP_1) | instid1(SALU_CYCLE_1)
	v_cmp_gt_u32_e32 vcc_lo, s3, v0
	s_or_b32 s3, vcc_lo, s4
	s_and_saveexec_b32 s4, s3
	s_cbranch_execz .LBB9_2
; %bb.1:
	s_clause 0x2
	s_load_b64 s[4:5], s[0:1], 0x10
	s_load_b64 s[6:7], s[0:1], 0x20
	;; [unrolled: 1-line block ×3, first 2 shown]
	s_mov_b32 s3, 0
	v_lshlrev_b32_e32 v2, 3, v0
	s_waitcnt lgkmcnt(0)
	s_lshl_b64 s[4:5], s[4:5], 3
	s_delay_alu instid0(SALU_CYCLE_1) | instskip(SKIP_3) | instid1(SALU_CYCLE_1)
	s_add_u32 s4, s6, s4
	v_dual_mov_b32 v0, s0 :: v_dual_mov_b32 v1, s1
	s_addc_u32 s5, s7, s5
	s_lshl_b64 s[2:3], s[2:3], 3
	s_add_u32 s0, s4, s2
	s_addc_u32 s1, s5, s3
	global_store_b64 v2, v[0:1], s[0:1]
.LBB9_2:
	s_nop 0
	s_sendmsg sendmsg(MSG_DEALLOC_VGPRS)
	s_endpgm
	.section	.rodata,"a",@progbits
	.p2align	6, 0x0
	.amdhsa_kernel _ZN7rocprim17ROCPRIM_400000_NS6detail17trampoline_kernelINS0_14default_configENS1_25transform_config_selectorImLb0EEEZNS1_14transform_implILb0ES3_S5_NS0_17constant_iteratorImlEEPmNS0_8identityImEEEE10hipError_tT2_T3_mT4_P12ihipStream_tbEUlT_E_NS1_11comp_targetILNS1_3genE9ELNS1_11target_archE1100ELNS1_3gpuE3ELNS1_3repE0EEENS1_30default_config_static_selectorELNS0_4arch9wavefront6targetE0EEEvT1_
		.amdhsa_group_segment_fixed_size 0
		.amdhsa_private_segment_fixed_size 0
		.amdhsa_kernarg_size 304
		.amdhsa_user_sgpr_count 15
		.amdhsa_user_sgpr_dispatch_ptr 0
		.amdhsa_user_sgpr_queue_ptr 0
		.amdhsa_user_sgpr_kernarg_segment_ptr 1
		.amdhsa_user_sgpr_dispatch_id 0
		.amdhsa_user_sgpr_private_segment_size 0
		.amdhsa_wavefront_size32 1
		.amdhsa_uses_dynamic_stack 0
		.amdhsa_enable_private_segment 0
		.amdhsa_system_sgpr_workgroup_id_x 1
		.amdhsa_system_sgpr_workgroup_id_y 0
		.amdhsa_system_sgpr_workgroup_id_z 0
		.amdhsa_system_sgpr_workgroup_info 0
		.amdhsa_system_vgpr_workitem_id 0
		.amdhsa_next_free_vgpr 3
		.amdhsa_next_free_sgpr 16
		.amdhsa_reserve_vcc 1
		.amdhsa_float_round_mode_32 0
		.amdhsa_float_round_mode_16_64 0
		.amdhsa_float_denorm_mode_32 3
		.amdhsa_float_denorm_mode_16_64 3
		.amdhsa_dx10_clamp 1
		.amdhsa_ieee_mode 1
		.amdhsa_fp16_overflow 0
		.amdhsa_workgroup_processor_mode 1
		.amdhsa_memory_ordered 1
		.amdhsa_forward_progress 0
		.amdhsa_shared_vgpr_count 0
		.amdhsa_exception_fp_ieee_invalid_op 0
		.amdhsa_exception_fp_denorm_src 0
		.amdhsa_exception_fp_ieee_div_zero 0
		.amdhsa_exception_fp_ieee_overflow 0
		.amdhsa_exception_fp_ieee_underflow 0
		.amdhsa_exception_fp_ieee_inexact 0
		.amdhsa_exception_int_div_zero 0
	.end_amdhsa_kernel
	.section	.text._ZN7rocprim17ROCPRIM_400000_NS6detail17trampoline_kernelINS0_14default_configENS1_25transform_config_selectorImLb0EEEZNS1_14transform_implILb0ES3_S5_NS0_17constant_iteratorImlEEPmNS0_8identityImEEEE10hipError_tT2_T3_mT4_P12ihipStream_tbEUlT_E_NS1_11comp_targetILNS1_3genE9ELNS1_11target_archE1100ELNS1_3gpuE3ELNS1_3repE0EEENS1_30default_config_static_selectorELNS0_4arch9wavefront6targetE0EEEvT1_,"axG",@progbits,_ZN7rocprim17ROCPRIM_400000_NS6detail17trampoline_kernelINS0_14default_configENS1_25transform_config_selectorImLb0EEEZNS1_14transform_implILb0ES3_S5_NS0_17constant_iteratorImlEEPmNS0_8identityImEEEE10hipError_tT2_T3_mT4_P12ihipStream_tbEUlT_E_NS1_11comp_targetILNS1_3genE9ELNS1_11target_archE1100ELNS1_3gpuE3ELNS1_3repE0EEENS1_30default_config_static_selectorELNS0_4arch9wavefront6targetE0EEEvT1_,comdat
.Lfunc_end9:
	.size	_ZN7rocprim17ROCPRIM_400000_NS6detail17trampoline_kernelINS0_14default_configENS1_25transform_config_selectorImLb0EEEZNS1_14transform_implILb0ES3_S5_NS0_17constant_iteratorImlEEPmNS0_8identityImEEEE10hipError_tT2_T3_mT4_P12ihipStream_tbEUlT_E_NS1_11comp_targetILNS1_3genE9ELNS1_11target_archE1100ELNS1_3gpuE3ELNS1_3repE0EEENS1_30default_config_static_selectorELNS0_4arch9wavefront6targetE0EEEvT1_, .Lfunc_end9-_ZN7rocprim17ROCPRIM_400000_NS6detail17trampoline_kernelINS0_14default_configENS1_25transform_config_selectorImLb0EEEZNS1_14transform_implILb0ES3_S5_NS0_17constant_iteratorImlEEPmNS0_8identityImEEEE10hipError_tT2_T3_mT4_P12ihipStream_tbEUlT_E_NS1_11comp_targetILNS1_3genE9ELNS1_11target_archE1100ELNS1_3gpuE3ELNS1_3repE0EEENS1_30default_config_static_selectorELNS0_4arch9wavefront6targetE0EEEvT1_
                                        ; -- End function
	.section	.AMDGPU.csdata,"",@progbits
; Kernel info:
; codeLenInByte = 160
; NumSgprs: 18
; NumVgprs: 3
; ScratchSize: 0
; MemoryBound: 0
; FloatMode: 240
; IeeeMode: 1
; LDSByteSize: 0 bytes/workgroup (compile time only)
; SGPRBlocks: 2
; VGPRBlocks: 0
; NumSGPRsForWavesPerEU: 18
; NumVGPRsForWavesPerEU: 3
; Occupancy: 16
; WaveLimiterHint : 0
; COMPUTE_PGM_RSRC2:SCRATCH_EN: 0
; COMPUTE_PGM_RSRC2:USER_SGPR: 15
; COMPUTE_PGM_RSRC2:TRAP_HANDLER: 0
; COMPUTE_PGM_RSRC2:TGID_X_EN: 1
; COMPUTE_PGM_RSRC2:TGID_Y_EN: 0
; COMPUTE_PGM_RSRC2:TGID_Z_EN: 0
; COMPUTE_PGM_RSRC2:TIDIG_COMP_CNT: 0
	.section	.text._ZN7rocprim17ROCPRIM_400000_NS6detail17trampoline_kernelINS0_14default_configENS1_25transform_config_selectorImLb0EEEZNS1_14transform_implILb0ES3_S5_NS0_17constant_iteratorImlEEPmNS0_8identityImEEEE10hipError_tT2_T3_mT4_P12ihipStream_tbEUlT_E_NS1_11comp_targetILNS1_3genE8ELNS1_11target_archE1030ELNS1_3gpuE2ELNS1_3repE0EEENS1_30default_config_static_selectorELNS0_4arch9wavefront6targetE0EEEvT1_,"axG",@progbits,_ZN7rocprim17ROCPRIM_400000_NS6detail17trampoline_kernelINS0_14default_configENS1_25transform_config_selectorImLb0EEEZNS1_14transform_implILb0ES3_S5_NS0_17constant_iteratorImlEEPmNS0_8identityImEEEE10hipError_tT2_T3_mT4_P12ihipStream_tbEUlT_E_NS1_11comp_targetILNS1_3genE8ELNS1_11target_archE1030ELNS1_3gpuE2ELNS1_3repE0EEENS1_30default_config_static_selectorELNS0_4arch9wavefront6targetE0EEEvT1_,comdat
	.protected	_ZN7rocprim17ROCPRIM_400000_NS6detail17trampoline_kernelINS0_14default_configENS1_25transform_config_selectorImLb0EEEZNS1_14transform_implILb0ES3_S5_NS0_17constant_iteratorImlEEPmNS0_8identityImEEEE10hipError_tT2_T3_mT4_P12ihipStream_tbEUlT_E_NS1_11comp_targetILNS1_3genE8ELNS1_11target_archE1030ELNS1_3gpuE2ELNS1_3repE0EEENS1_30default_config_static_selectorELNS0_4arch9wavefront6targetE0EEEvT1_ ; -- Begin function _ZN7rocprim17ROCPRIM_400000_NS6detail17trampoline_kernelINS0_14default_configENS1_25transform_config_selectorImLb0EEEZNS1_14transform_implILb0ES3_S5_NS0_17constant_iteratorImlEEPmNS0_8identityImEEEE10hipError_tT2_T3_mT4_P12ihipStream_tbEUlT_E_NS1_11comp_targetILNS1_3genE8ELNS1_11target_archE1030ELNS1_3gpuE2ELNS1_3repE0EEENS1_30default_config_static_selectorELNS0_4arch9wavefront6targetE0EEEvT1_
	.globl	_ZN7rocprim17ROCPRIM_400000_NS6detail17trampoline_kernelINS0_14default_configENS1_25transform_config_selectorImLb0EEEZNS1_14transform_implILb0ES3_S5_NS0_17constant_iteratorImlEEPmNS0_8identityImEEEE10hipError_tT2_T3_mT4_P12ihipStream_tbEUlT_E_NS1_11comp_targetILNS1_3genE8ELNS1_11target_archE1030ELNS1_3gpuE2ELNS1_3repE0EEENS1_30default_config_static_selectorELNS0_4arch9wavefront6targetE0EEEvT1_
	.p2align	8
	.type	_ZN7rocprim17ROCPRIM_400000_NS6detail17trampoline_kernelINS0_14default_configENS1_25transform_config_selectorImLb0EEEZNS1_14transform_implILb0ES3_S5_NS0_17constant_iteratorImlEEPmNS0_8identityImEEEE10hipError_tT2_T3_mT4_P12ihipStream_tbEUlT_E_NS1_11comp_targetILNS1_3genE8ELNS1_11target_archE1030ELNS1_3gpuE2ELNS1_3repE0EEENS1_30default_config_static_selectorELNS0_4arch9wavefront6targetE0EEEvT1_,@function
_ZN7rocprim17ROCPRIM_400000_NS6detail17trampoline_kernelINS0_14default_configENS1_25transform_config_selectorImLb0EEEZNS1_14transform_implILb0ES3_S5_NS0_17constant_iteratorImlEEPmNS0_8identityImEEEE10hipError_tT2_T3_mT4_P12ihipStream_tbEUlT_E_NS1_11comp_targetILNS1_3genE8ELNS1_11target_archE1030ELNS1_3gpuE2ELNS1_3repE0EEENS1_30default_config_static_selectorELNS0_4arch9wavefront6targetE0EEEvT1_: ; @_ZN7rocprim17ROCPRIM_400000_NS6detail17trampoline_kernelINS0_14default_configENS1_25transform_config_selectorImLb0EEEZNS1_14transform_implILb0ES3_S5_NS0_17constant_iteratorImlEEPmNS0_8identityImEEEE10hipError_tT2_T3_mT4_P12ihipStream_tbEUlT_E_NS1_11comp_targetILNS1_3genE8ELNS1_11target_archE1030ELNS1_3gpuE2ELNS1_3repE0EEENS1_30default_config_static_selectorELNS0_4arch9wavefront6targetE0EEEvT1_
; %bb.0:
	.section	.rodata,"a",@progbits
	.p2align	6, 0x0
	.amdhsa_kernel _ZN7rocprim17ROCPRIM_400000_NS6detail17trampoline_kernelINS0_14default_configENS1_25transform_config_selectorImLb0EEEZNS1_14transform_implILb0ES3_S5_NS0_17constant_iteratorImlEEPmNS0_8identityImEEEE10hipError_tT2_T3_mT4_P12ihipStream_tbEUlT_E_NS1_11comp_targetILNS1_3genE8ELNS1_11target_archE1030ELNS1_3gpuE2ELNS1_3repE0EEENS1_30default_config_static_selectorELNS0_4arch9wavefront6targetE0EEEvT1_
		.amdhsa_group_segment_fixed_size 0
		.amdhsa_private_segment_fixed_size 0
		.amdhsa_kernarg_size 48
		.amdhsa_user_sgpr_count 15
		.amdhsa_user_sgpr_dispatch_ptr 0
		.amdhsa_user_sgpr_queue_ptr 0
		.amdhsa_user_sgpr_kernarg_segment_ptr 1
		.amdhsa_user_sgpr_dispatch_id 0
		.amdhsa_user_sgpr_private_segment_size 0
		.amdhsa_wavefront_size32 1
		.amdhsa_uses_dynamic_stack 0
		.amdhsa_enable_private_segment 0
		.amdhsa_system_sgpr_workgroup_id_x 1
		.amdhsa_system_sgpr_workgroup_id_y 0
		.amdhsa_system_sgpr_workgroup_id_z 0
		.amdhsa_system_sgpr_workgroup_info 0
		.amdhsa_system_vgpr_workitem_id 0
		.amdhsa_next_free_vgpr 1
		.amdhsa_next_free_sgpr 1
		.amdhsa_reserve_vcc 0
		.amdhsa_float_round_mode_32 0
		.amdhsa_float_round_mode_16_64 0
		.amdhsa_float_denorm_mode_32 3
		.amdhsa_float_denorm_mode_16_64 3
		.amdhsa_dx10_clamp 1
		.amdhsa_ieee_mode 1
		.amdhsa_fp16_overflow 0
		.amdhsa_workgroup_processor_mode 1
		.amdhsa_memory_ordered 1
		.amdhsa_forward_progress 0
		.amdhsa_shared_vgpr_count 0
		.amdhsa_exception_fp_ieee_invalid_op 0
		.amdhsa_exception_fp_denorm_src 0
		.amdhsa_exception_fp_ieee_div_zero 0
		.amdhsa_exception_fp_ieee_overflow 0
		.amdhsa_exception_fp_ieee_underflow 0
		.amdhsa_exception_fp_ieee_inexact 0
		.amdhsa_exception_int_div_zero 0
	.end_amdhsa_kernel
	.section	.text._ZN7rocprim17ROCPRIM_400000_NS6detail17trampoline_kernelINS0_14default_configENS1_25transform_config_selectorImLb0EEEZNS1_14transform_implILb0ES3_S5_NS0_17constant_iteratorImlEEPmNS0_8identityImEEEE10hipError_tT2_T3_mT4_P12ihipStream_tbEUlT_E_NS1_11comp_targetILNS1_3genE8ELNS1_11target_archE1030ELNS1_3gpuE2ELNS1_3repE0EEENS1_30default_config_static_selectorELNS0_4arch9wavefront6targetE0EEEvT1_,"axG",@progbits,_ZN7rocprim17ROCPRIM_400000_NS6detail17trampoline_kernelINS0_14default_configENS1_25transform_config_selectorImLb0EEEZNS1_14transform_implILb0ES3_S5_NS0_17constant_iteratorImlEEPmNS0_8identityImEEEE10hipError_tT2_T3_mT4_P12ihipStream_tbEUlT_E_NS1_11comp_targetILNS1_3genE8ELNS1_11target_archE1030ELNS1_3gpuE2ELNS1_3repE0EEENS1_30default_config_static_selectorELNS0_4arch9wavefront6targetE0EEEvT1_,comdat
.Lfunc_end10:
	.size	_ZN7rocprim17ROCPRIM_400000_NS6detail17trampoline_kernelINS0_14default_configENS1_25transform_config_selectorImLb0EEEZNS1_14transform_implILb0ES3_S5_NS0_17constant_iteratorImlEEPmNS0_8identityImEEEE10hipError_tT2_T3_mT4_P12ihipStream_tbEUlT_E_NS1_11comp_targetILNS1_3genE8ELNS1_11target_archE1030ELNS1_3gpuE2ELNS1_3repE0EEENS1_30default_config_static_selectorELNS0_4arch9wavefront6targetE0EEEvT1_, .Lfunc_end10-_ZN7rocprim17ROCPRIM_400000_NS6detail17trampoline_kernelINS0_14default_configENS1_25transform_config_selectorImLb0EEEZNS1_14transform_implILb0ES3_S5_NS0_17constant_iteratorImlEEPmNS0_8identityImEEEE10hipError_tT2_T3_mT4_P12ihipStream_tbEUlT_E_NS1_11comp_targetILNS1_3genE8ELNS1_11target_archE1030ELNS1_3gpuE2ELNS1_3repE0EEENS1_30default_config_static_selectorELNS0_4arch9wavefront6targetE0EEEvT1_
                                        ; -- End function
	.section	.AMDGPU.csdata,"",@progbits
; Kernel info:
; codeLenInByte = 0
; NumSgprs: 0
; NumVgprs: 0
; ScratchSize: 0
; MemoryBound: 0
; FloatMode: 240
; IeeeMode: 1
; LDSByteSize: 0 bytes/workgroup (compile time only)
; SGPRBlocks: 0
; VGPRBlocks: 0
; NumSGPRsForWavesPerEU: 1
; NumVGPRsForWavesPerEU: 1
; Occupancy: 16
; WaveLimiterHint : 0
; COMPUTE_PGM_RSRC2:SCRATCH_EN: 0
; COMPUTE_PGM_RSRC2:USER_SGPR: 15
; COMPUTE_PGM_RSRC2:TRAP_HANDLER: 0
; COMPUTE_PGM_RSRC2:TGID_X_EN: 1
; COMPUTE_PGM_RSRC2:TGID_Y_EN: 0
; COMPUTE_PGM_RSRC2:TGID_Z_EN: 0
; COMPUTE_PGM_RSRC2:TIDIG_COMP_CNT: 0
	.section	.text._ZN7rocprim17ROCPRIM_400000_NS6detail25reduce_by_key_init_kernelINS1_19lookback_scan_stateINS0_5tupleIJjdEEELb0ELb0EEEdNS1_16block_id_wrapperIjLb0EEEEEvT_jbjPmPT0_T1_,"axG",@progbits,_ZN7rocprim17ROCPRIM_400000_NS6detail25reduce_by_key_init_kernelINS1_19lookback_scan_stateINS0_5tupleIJjdEEELb0ELb0EEEdNS1_16block_id_wrapperIjLb0EEEEEvT_jbjPmPT0_T1_,comdat
	.protected	_ZN7rocprim17ROCPRIM_400000_NS6detail25reduce_by_key_init_kernelINS1_19lookback_scan_stateINS0_5tupleIJjdEEELb0ELb0EEEdNS1_16block_id_wrapperIjLb0EEEEEvT_jbjPmPT0_T1_ ; -- Begin function _ZN7rocprim17ROCPRIM_400000_NS6detail25reduce_by_key_init_kernelINS1_19lookback_scan_stateINS0_5tupleIJjdEEELb0ELb0EEEdNS1_16block_id_wrapperIjLb0EEEEEvT_jbjPmPT0_T1_
	.globl	_ZN7rocprim17ROCPRIM_400000_NS6detail25reduce_by_key_init_kernelINS1_19lookback_scan_stateINS0_5tupleIJjdEEELb0ELb0EEEdNS1_16block_id_wrapperIjLb0EEEEEvT_jbjPmPT0_T1_
	.p2align	8
	.type	_ZN7rocprim17ROCPRIM_400000_NS6detail25reduce_by_key_init_kernelINS1_19lookback_scan_stateINS0_5tupleIJjdEEELb0ELb0EEEdNS1_16block_id_wrapperIjLb0EEEEEvT_jbjPmPT0_T1_,@function
_ZN7rocprim17ROCPRIM_400000_NS6detail25reduce_by_key_init_kernelINS1_19lookback_scan_stateINS0_5tupleIJjdEEELb0ELb0EEEdNS1_16block_id_wrapperIjLb0EEEEEvT_jbjPmPT0_T1_: ; @_ZN7rocprim17ROCPRIM_400000_NS6detail25reduce_by_key_init_kernelINS1_19lookback_scan_stateINS0_5tupleIJjdEEELb0ELb0EEEdNS1_16block_id_wrapperIjLb0EEEEEvT_jbjPmPT0_T1_
; %bb.0:
	s_clause 0x2
	s_load_b32 s2, s[0:1], 0x4c
	s_load_b256 s[4:11], s[0:1], 0x18
	s_load_b64 s[12:13], s[0:1], 0x10
	s_waitcnt lgkmcnt(0)
	s_and_b32 s2, s2, 0xffff
	s_delay_alu instid0(SALU_CYCLE_1) | instskip(SKIP_1) | instid1(SALU_CYCLE_1)
	v_mad_u64_u32 v[1:2], null, s15, s2, v[0:1]
	s_and_b32 s2, s5, 1
	s_cmp_eq_u32 s2, 0
	s_mov_b32 s2, -1
	s_cbranch_scc1 .LBB11_7
; %bb.1:
	s_and_not1_b32 vcc_lo, exec_lo, s2
	s_cbranch_vccz .LBB11_13
.LBB11_2:
	s_mov_b32 s0, exec_lo
	v_cmpx_gt_u32_e64 s4, v1
	s_cbranch_execz .LBB11_4
.LBB11_3:
	v_add_nc_u32_e32 v0, 32, v1
	v_mov_b32_e32 v2, 0
	global_store_b8 v0, v2, s[12:13]
.LBB11_4:
	s_or_b32 exec_lo, exec_lo, s0
	s_delay_alu instid0(SALU_CYCLE_1)
	s_mov_b32 s0, exec_lo
	v_cmpx_gt_u32_e32 32, v1
	s_cbranch_execz .LBB11_6
; %bb.5:
	v_mov_b32_e32 v0, 0xff
	global_store_b8 v1, v0, s[12:13]
.LBB11_6:
	s_nop 0
	s_sendmsg sendmsg(MSG_DEALLOC_VGPRS)
	s_endpgm
.LBB11_7:
	s_cmp_lt_u32 s6, s4
	s_mov_b32 s5, exec_lo
	s_cselect_b32 s2, s6, 0
	s_delay_alu instid0(SALU_CYCLE_1)
	v_cmpx_eq_u32_e64 s2, v1
	s_cbranch_execz .LBB11_12
; %bb.8:
	s_add_i32 s6, s6, 32
	s_load_b128 s[0:3], s[0:1], 0x0
	v_mov_b32_e32 v0, s6
	s_add_u32 s14, s12, s6
	s_addc_u32 s15, s13, 0
	s_mov_b32 s7, 0
	global_load_u8 v0, v0, s[12:13] glc
	s_waitcnt vmcnt(0)
	v_cmp_ne_u16_e32 vcc_lo, 0, v0
	v_readfirstlane_b32 s16, v0
	s_cbranch_vccnz .LBB11_11
; %bb.9:
	v_mov_b32_e32 v0, 0
.LBB11_10:                              ; =>This Inner Loop Header: Depth=1
	global_load_u8 v2, v0, s[14:15] glc
	s_waitcnt vmcnt(0)
	v_cmp_eq_u16_e32 vcc_lo, 0, v2
	v_readfirstlane_b32 s16, v2
	s_cbranch_vccnz .LBB11_10
.LBB11_11:
	s_delay_alu instid0(VALU_DEP_1)
	s_and_b32 s14, 0xffff, s16
	v_mov_b32_e32 v0, 0
	s_cmp_eq_u32 s14, 1
	s_waitcnt lgkmcnt(0)
	buffer_gl1_inv
	buffer_gl0_inv
	s_cselect_b32 s3, s1, s3
	s_cselect_b32 s2, s0, s2
	s_lshl_b64 s[0:1], s[6:7], 4
	s_delay_alu instid0(SALU_CYCLE_1)
	s_add_u32 s0, s2, s0
	s_addc_u32 s1, s3, s1
	s_clause 0x2
	global_load_b64 v[2:3], v0, s[8:9]
	global_load_b32 v6, v0, s[0:1]
	global_load_b64 v[4:5], v0, s[0:1] offset:8
	s_waitcnt vmcnt(1)
	v_add_co_u32 v2, vcc_lo, v2, v6
	v_add_co_ci_u32_e32 v3, vcc_lo, 0, v3, vcc_lo
	global_store_b64 v0, v[2:3], s[8:9]
	s_waitcnt vmcnt(0)
	global_store_b64 v0, v[4:5], s[10:11]
.LBB11_12:
	s_or_b32 exec_lo, exec_lo, s5
	s_cbranch_execnz .LBB11_2
.LBB11_13:
	s_delay_alu instid0(VALU_DEP_1) | instskip(SKIP_2) | instid1(SALU_CYCLE_1)
	v_cmp_eq_u32_e32 vcc_lo, 0, v1
	s_cmp_lg_u64 s[8:9], 0
	s_cselect_b32 s0, -1, 0
	s_and_b32 s1, s0, vcc_lo
	s_delay_alu instid0(SALU_CYCLE_1)
	s_and_saveexec_b32 s0, s1
	s_cbranch_execz .LBB11_15
; %bb.14:
	v_mov_b32_e32 v2, 0
	s_delay_alu instid0(VALU_DEP_1)
	v_mov_b32_e32 v3, v2
	global_store_b64 v2, v[2:3], s[8:9]
.LBB11_15:
	s_or_b32 exec_lo, exec_lo, s0
	s_delay_alu instid0(SALU_CYCLE_1)
	s_mov_b32 s0, exec_lo
	v_cmpx_gt_u32_e64 s4, v1
	s_cbranch_execnz .LBB11_3
	s_branch .LBB11_4
	.section	.rodata,"a",@progbits
	.p2align	6, 0x0
	.amdhsa_kernel _ZN7rocprim17ROCPRIM_400000_NS6detail25reduce_by_key_init_kernelINS1_19lookback_scan_stateINS0_5tupleIJjdEEELb0ELb0EEEdNS1_16block_id_wrapperIjLb0EEEEEvT_jbjPmPT0_T1_
		.amdhsa_group_segment_fixed_size 0
		.amdhsa_private_segment_fixed_size 0
		.amdhsa_kernarg_size 320
		.amdhsa_user_sgpr_count 15
		.amdhsa_user_sgpr_dispatch_ptr 0
		.amdhsa_user_sgpr_queue_ptr 0
		.amdhsa_user_sgpr_kernarg_segment_ptr 1
		.amdhsa_user_sgpr_dispatch_id 0
		.amdhsa_user_sgpr_private_segment_size 0
		.amdhsa_wavefront_size32 1
		.amdhsa_uses_dynamic_stack 0
		.amdhsa_enable_private_segment 0
		.amdhsa_system_sgpr_workgroup_id_x 1
		.amdhsa_system_sgpr_workgroup_id_y 0
		.amdhsa_system_sgpr_workgroup_id_z 0
		.amdhsa_system_sgpr_workgroup_info 0
		.amdhsa_system_vgpr_workitem_id 0
		.amdhsa_next_free_vgpr 7
		.amdhsa_next_free_sgpr 17
		.amdhsa_reserve_vcc 1
		.amdhsa_float_round_mode_32 0
		.amdhsa_float_round_mode_16_64 0
		.amdhsa_float_denorm_mode_32 3
		.amdhsa_float_denorm_mode_16_64 3
		.amdhsa_dx10_clamp 1
		.amdhsa_ieee_mode 1
		.amdhsa_fp16_overflow 0
		.amdhsa_workgroup_processor_mode 1
		.amdhsa_memory_ordered 1
		.amdhsa_forward_progress 0
		.amdhsa_shared_vgpr_count 0
		.amdhsa_exception_fp_ieee_invalid_op 0
		.amdhsa_exception_fp_denorm_src 0
		.amdhsa_exception_fp_ieee_div_zero 0
		.amdhsa_exception_fp_ieee_overflow 0
		.amdhsa_exception_fp_ieee_underflow 0
		.amdhsa_exception_fp_ieee_inexact 0
		.amdhsa_exception_int_div_zero 0
	.end_amdhsa_kernel
	.section	.text._ZN7rocprim17ROCPRIM_400000_NS6detail25reduce_by_key_init_kernelINS1_19lookback_scan_stateINS0_5tupleIJjdEEELb0ELb0EEEdNS1_16block_id_wrapperIjLb0EEEEEvT_jbjPmPT0_T1_,"axG",@progbits,_ZN7rocprim17ROCPRIM_400000_NS6detail25reduce_by_key_init_kernelINS1_19lookback_scan_stateINS0_5tupleIJjdEEELb0ELb0EEEdNS1_16block_id_wrapperIjLb0EEEEEvT_jbjPmPT0_T1_,comdat
.Lfunc_end11:
	.size	_ZN7rocprim17ROCPRIM_400000_NS6detail25reduce_by_key_init_kernelINS1_19lookback_scan_stateINS0_5tupleIJjdEEELb0ELb0EEEdNS1_16block_id_wrapperIjLb0EEEEEvT_jbjPmPT0_T1_, .Lfunc_end11-_ZN7rocprim17ROCPRIM_400000_NS6detail25reduce_by_key_init_kernelINS1_19lookback_scan_stateINS0_5tupleIJjdEEELb0ELb0EEEdNS1_16block_id_wrapperIjLb0EEEEEvT_jbjPmPT0_T1_
                                        ; -- End function
	.section	.AMDGPU.csdata,"",@progbits
; Kernel info:
; codeLenInByte = 480
; NumSgprs: 19
; NumVgprs: 7
; ScratchSize: 0
; MemoryBound: 0
; FloatMode: 240
; IeeeMode: 1
; LDSByteSize: 0 bytes/workgroup (compile time only)
; SGPRBlocks: 2
; VGPRBlocks: 0
; NumSGPRsForWavesPerEU: 19
; NumVGPRsForWavesPerEU: 7
; Occupancy: 16
; WaveLimiterHint : 0
; COMPUTE_PGM_RSRC2:SCRATCH_EN: 0
; COMPUTE_PGM_RSRC2:USER_SGPR: 15
; COMPUTE_PGM_RSRC2:TRAP_HANDLER: 0
; COMPUTE_PGM_RSRC2:TGID_X_EN: 1
; COMPUTE_PGM_RSRC2:TGID_Y_EN: 0
; COMPUTE_PGM_RSRC2:TGID_Z_EN: 0
; COMPUTE_PGM_RSRC2:TIDIG_COMP_CNT: 0
	.section	.text._ZN7rocprim17ROCPRIM_400000_NS6detail17trampoline_kernelINS0_14default_configENS1_29reduce_by_key_config_selectorIddN6thrust23THRUST_200600_302600_NS4plusIdEEEEZZNS1_33reduce_by_key_impl_wrapped_configILNS1_25lookback_scan_determinismE0ES3_S9_NS6_6detail15normal_iteratorINS6_10device_ptrIdEEEESG_SG_SG_PmS8_NS6_8equal_toIdEEEE10hipError_tPvRmT2_T3_mT4_T5_T6_T7_T8_P12ihipStream_tbENKUlT_T0_E_clISt17integral_constantIbLb0EES11_EEDaSW_SX_EUlSW_E_NS1_11comp_targetILNS1_3genE0ELNS1_11target_archE4294967295ELNS1_3gpuE0ELNS1_3repE0EEENS1_30default_config_static_selectorELNS0_4arch9wavefront6targetE0EEEvT1_,"axG",@progbits,_ZN7rocprim17ROCPRIM_400000_NS6detail17trampoline_kernelINS0_14default_configENS1_29reduce_by_key_config_selectorIddN6thrust23THRUST_200600_302600_NS4plusIdEEEEZZNS1_33reduce_by_key_impl_wrapped_configILNS1_25lookback_scan_determinismE0ES3_S9_NS6_6detail15normal_iteratorINS6_10device_ptrIdEEEESG_SG_SG_PmS8_NS6_8equal_toIdEEEE10hipError_tPvRmT2_T3_mT4_T5_T6_T7_T8_P12ihipStream_tbENKUlT_T0_E_clISt17integral_constantIbLb0EES11_EEDaSW_SX_EUlSW_E_NS1_11comp_targetILNS1_3genE0ELNS1_11target_archE4294967295ELNS1_3gpuE0ELNS1_3repE0EEENS1_30default_config_static_selectorELNS0_4arch9wavefront6targetE0EEEvT1_,comdat
	.protected	_ZN7rocprim17ROCPRIM_400000_NS6detail17trampoline_kernelINS0_14default_configENS1_29reduce_by_key_config_selectorIddN6thrust23THRUST_200600_302600_NS4plusIdEEEEZZNS1_33reduce_by_key_impl_wrapped_configILNS1_25lookback_scan_determinismE0ES3_S9_NS6_6detail15normal_iteratorINS6_10device_ptrIdEEEESG_SG_SG_PmS8_NS6_8equal_toIdEEEE10hipError_tPvRmT2_T3_mT4_T5_T6_T7_T8_P12ihipStream_tbENKUlT_T0_E_clISt17integral_constantIbLb0EES11_EEDaSW_SX_EUlSW_E_NS1_11comp_targetILNS1_3genE0ELNS1_11target_archE4294967295ELNS1_3gpuE0ELNS1_3repE0EEENS1_30default_config_static_selectorELNS0_4arch9wavefront6targetE0EEEvT1_ ; -- Begin function _ZN7rocprim17ROCPRIM_400000_NS6detail17trampoline_kernelINS0_14default_configENS1_29reduce_by_key_config_selectorIddN6thrust23THRUST_200600_302600_NS4plusIdEEEEZZNS1_33reduce_by_key_impl_wrapped_configILNS1_25lookback_scan_determinismE0ES3_S9_NS6_6detail15normal_iteratorINS6_10device_ptrIdEEEESG_SG_SG_PmS8_NS6_8equal_toIdEEEE10hipError_tPvRmT2_T3_mT4_T5_T6_T7_T8_P12ihipStream_tbENKUlT_T0_E_clISt17integral_constantIbLb0EES11_EEDaSW_SX_EUlSW_E_NS1_11comp_targetILNS1_3genE0ELNS1_11target_archE4294967295ELNS1_3gpuE0ELNS1_3repE0EEENS1_30default_config_static_selectorELNS0_4arch9wavefront6targetE0EEEvT1_
	.globl	_ZN7rocprim17ROCPRIM_400000_NS6detail17trampoline_kernelINS0_14default_configENS1_29reduce_by_key_config_selectorIddN6thrust23THRUST_200600_302600_NS4plusIdEEEEZZNS1_33reduce_by_key_impl_wrapped_configILNS1_25lookback_scan_determinismE0ES3_S9_NS6_6detail15normal_iteratorINS6_10device_ptrIdEEEESG_SG_SG_PmS8_NS6_8equal_toIdEEEE10hipError_tPvRmT2_T3_mT4_T5_T6_T7_T8_P12ihipStream_tbENKUlT_T0_E_clISt17integral_constantIbLb0EES11_EEDaSW_SX_EUlSW_E_NS1_11comp_targetILNS1_3genE0ELNS1_11target_archE4294967295ELNS1_3gpuE0ELNS1_3repE0EEENS1_30default_config_static_selectorELNS0_4arch9wavefront6targetE0EEEvT1_
	.p2align	8
	.type	_ZN7rocprim17ROCPRIM_400000_NS6detail17trampoline_kernelINS0_14default_configENS1_29reduce_by_key_config_selectorIddN6thrust23THRUST_200600_302600_NS4plusIdEEEEZZNS1_33reduce_by_key_impl_wrapped_configILNS1_25lookback_scan_determinismE0ES3_S9_NS6_6detail15normal_iteratorINS6_10device_ptrIdEEEESG_SG_SG_PmS8_NS6_8equal_toIdEEEE10hipError_tPvRmT2_T3_mT4_T5_T6_T7_T8_P12ihipStream_tbENKUlT_T0_E_clISt17integral_constantIbLb0EES11_EEDaSW_SX_EUlSW_E_NS1_11comp_targetILNS1_3genE0ELNS1_11target_archE4294967295ELNS1_3gpuE0ELNS1_3repE0EEENS1_30default_config_static_selectorELNS0_4arch9wavefront6targetE0EEEvT1_,@function
_ZN7rocprim17ROCPRIM_400000_NS6detail17trampoline_kernelINS0_14default_configENS1_29reduce_by_key_config_selectorIddN6thrust23THRUST_200600_302600_NS4plusIdEEEEZZNS1_33reduce_by_key_impl_wrapped_configILNS1_25lookback_scan_determinismE0ES3_S9_NS6_6detail15normal_iteratorINS6_10device_ptrIdEEEESG_SG_SG_PmS8_NS6_8equal_toIdEEEE10hipError_tPvRmT2_T3_mT4_T5_T6_T7_T8_P12ihipStream_tbENKUlT_T0_E_clISt17integral_constantIbLb0EES11_EEDaSW_SX_EUlSW_E_NS1_11comp_targetILNS1_3genE0ELNS1_11target_archE4294967295ELNS1_3gpuE0ELNS1_3repE0EEENS1_30default_config_static_selectorELNS0_4arch9wavefront6targetE0EEEvT1_: ; @_ZN7rocprim17ROCPRIM_400000_NS6detail17trampoline_kernelINS0_14default_configENS1_29reduce_by_key_config_selectorIddN6thrust23THRUST_200600_302600_NS4plusIdEEEEZZNS1_33reduce_by_key_impl_wrapped_configILNS1_25lookback_scan_determinismE0ES3_S9_NS6_6detail15normal_iteratorINS6_10device_ptrIdEEEESG_SG_SG_PmS8_NS6_8equal_toIdEEEE10hipError_tPvRmT2_T3_mT4_T5_T6_T7_T8_P12ihipStream_tbENKUlT_T0_E_clISt17integral_constantIbLb0EES11_EEDaSW_SX_EUlSW_E_NS1_11comp_targetILNS1_3genE0ELNS1_11target_archE4294967295ELNS1_3gpuE0ELNS1_3repE0EEENS1_30default_config_static_selectorELNS0_4arch9wavefront6targetE0EEEvT1_
; %bb.0:
	.section	.rodata,"a",@progbits
	.p2align	6, 0x0
	.amdhsa_kernel _ZN7rocprim17ROCPRIM_400000_NS6detail17trampoline_kernelINS0_14default_configENS1_29reduce_by_key_config_selectorIddN6thrust23THRUST_200600_302600_NS4plusIdEEEEZZNS1_33reduce_by_key_impl_wrapped_configILNS1_25lookback_scan_determinismE0ES3_S9_NS6_6detail15normal_iteratorINS6_10device_ptrIdEEEESG_SG_SG_PmS8_NS6_8equal_toIdEEEE10hipError_tPvRmT2_T3_mT4_T5_T6_T7_T8_P12ihipStream_tbENKUlT_T0_E_clISt17integral_constantIbLb0EES11_EEDaSW_SX_EUlSW_E_NS1_11comp_targetILNS1_3genE0ELNS1_11target_archE4294967295ELNS1_3gpuE0ELNS1_3repE0EEENS1_30default_config_static_selectorELNS0_4arch9wavefront6targetE0EEEvT1_
		.amdhsa_group_segment_fixed_size 0
		.amdhsa_private_segment_fixed_size 0
		.amdhsa_kernarg_size 136
		.amdhsa_user_sgpr_count 15
		.amdhsa_user_sgpr_dispatch_ptr 0
		.amdhsa_user_sgpr_queue_ptr 0
		.amdhsa_user_sgpr_kernarg_segment_ptr 1
		.amdhsa_user_sgpr_dispatch_id 0
		.amdhsa_user_sgpr_private_segment_size 0
		.amdhsa_wavefront_size32 1
		.amdhsa_uses_dynamic_stack 0
		.amdhsa_enable_private_segment 0
		.amdhsa_system_sgpr_workgroup_id_x 1
		.amdhsa_system_sgpr_workgroup_id_y 0
		.amdhsa_system_sgpr_workgroup_id_z 0
		.amdhsa_system_sgpr_workgroup_info 0
		.amdhsa_system_vgpr_workitem_id 0
		.amdhsa_next_free_vgpr 1
		.amdhsa_next_free_sgpr 1
		.amdhsa_reserve_vcc 0
		.amdhsa_float_round_mode_32 0
		.amdhsa_float_round_mode_16_64 0
		.amdhsa_float_denorm_mode_32 3
		.amdhsa_float_denorm_mode_16_64 3
		.amdhsa_dx10_clamp 1
		.amdhsa_ieee_mode 1
		.amdhsa_fp16_overflow 0
		.amdhsa_workgroup_processor_mode 1
		.amdhsa_memory_ordered 1
		.amdhsa_forward_progress 0
		.amdhsa_shared_vgpr_count 0
		.amdhsa_exception_fp_ieee_invalid_op 0
		.amdhsa_exception_fp_denorm_src 0
		.amdhsa_exception_fp_ieee_div_zero 0
		.amdhsa_exception_fp_ieee_overflow 0
		.amdhsa_exception_fp_ieee_underflow 0
		.amdhsa_exception_fp_ieee_inexact 0
		.amdhsa_exception_int_div_zero 0
	.end_amdhsa_kernel
	.section	.text._ZN7rocprim17ROCPRIM_400000_NS6detail17trampoline_kernelINS0_14default_configENS1_29reduce_by_key_config_selectorIddN6thrust23THRUST_200600_302600_NS4plusIdEEEEZZNS1_33reduce_by_key_impl_wrapped_configILNS1_25lookback_scan_determinismE0ES3_S9_NS6_6detail15normal_iteratorINS6_10device_ptrIdEEEESG_SG_SG_PmS8_NS6_8equal_toIdEEEE10hipError_tPvRmT2_T3_mT4_T5_T6_T7_T8_P12ihipStream_tbENKUlT_T0_E_clISt17integral_constantIbLb0EES11_EEDaSW_SX_EUlSW_E_NS1_11comp_targetILNS1_3genE0ELNS1_11target_archE4294967295ELNS1_3gpuE0ELNS1_3repE0EEENS1_30default_config_static_selectorELNS0_4arch9wavefront6targetE0EEEvT1_,"axG",@progbits,_ZN7rocprim17ROCPRIM_400000_NS6detail17trampoline_kernelINS0_14default_configENS1_29reduce_by_key_config_selectorIddN6thrust23THRUST_200600_302600_NS4plusIdEEEEZZNS1_33reduce_by_key_impl_wrapped_configILNS1_25lookback_scan_determinismE0ES3_S9_NS6_6detail15normal_iteratorINS6_10device_ptrIdEEEESG_SG_SG_PmS8_NS6_8equal_toIdEEEE10hipError_tPvRmT2_T3_mT4_T5_T6_T7_T8_P12ihipStream_tbENKUlT_T0_E_clISt17integral_constantIbLb0EES11_EEDaSW_SX_EUlSW_E_NS1_11comp_targetILNS1_3genE0ELNS1_11target_archE4294967295ELNS1_3gpuE0ELNS1_3repE0EEENS1_30default_config_static_selectorELNS0_4arch9wavefront6targetE0EEEvT1_,comdat
.Lfunc_end12:
	.size	_ZN7rocprim17ROCPRIM_400000_NS6detail17trampoline_kernelINS0_14default_configENS1_29reduce_by_key_config_selectorIddN6thrust23THRUST_200600_302600_NS4plusIdEEEEZZNS1_33reduce_by_key_impl_wrapped_configILNS1_25lookback_scan_determinismE0ES3_S9_NS6_6detail15normal_iteratorINS6_10device_ptrIdEEEESG_SG_SG_PmS8_NS6_8equal_toIdEEEE10hipError_tPvRmT2_T3_mT4_T5_T6_T7_T8_P12ihipStream_tbENKUlT_T0_E_clISt17integral_constantIbLb0EES11_EEDaSW_SX_EUlSW_E_NS1_11comp_targetILNS1_3genE0ELNS1_11target_archE4294967295ELNS1_3gpuE0ELNS1_3repE0EEENS1_30default_config_static_selectorELNS0_4arch9wavefront6targetE0EEEvT1_, .Lfunc_end12-_ZN7rocprim17ROCPRIM_400000_NS6detail17trampoline_kernelINS0_14default_configENS1_29reduce_by_key_config_selectorIddN6thrust23THRUST_200600_302600_NS4plusIdEEEEZZNS1_33reduce_by_key_impl_wrapped_configILNS1_25lookback_scan_determinismE0ES3_S9_NS6_6detail15normal_iteratorINS6_10device_ptrIdEEEESG_SG_SG_PmS8_NS6_8equal_toIdEEEE10hipError_tPvRmT2_T3_mT4_T5_T6_T7_T8_P12ihipStream_tbENKUlT_T0_E_clISt17integral_constantIbLb0EES11_EEDaSW_SX_EUlSW_E_NS1_11comp_targetILNS1_3genE0ELNS1_11target_archE4294967295ELNS1_3gpuE0ELNS1_3repE0EEENS1_30default_config_static_selectorELNS0_4arch9wavefront6targetE0EEEvT1_
                                        ; -- End function
	.section	.AMDGPU.csdata,"",@progbits
; Kernel info:
; codeLenInByte = 0
; NumSgprs: 0
; NumVgprs: 0
; ScratchSize: 0
; MemoryBound: 0
; FloatMode: 240
; IeeeMode: 1
; LDSByteSize: 0 bytes/workgroup (compile time only)
; SGPRBlocks: 0
; VGPRBlocks: 0
; NumSGPRsForWavesPerEU: 1
; NumVGPRsForWavesPerEU: 1
; Occupancy: 16
; WaveLimiterHint : 0
; COMPUTE_PGM_RSRC2:SCRATCH_EN: 0
; COMPUTE_PGM_RSRC2:USER_SGPR: 15
; COMPUTE_PGM_RSRC2:TRAP_HANDLER: 0
; COMPUTE_PGM_RSRC2:TGID_X_EN: 1
; COMPUTE_PGM_RSRC2:TGID_Y_EN: 0
; COMPUTE_PGM_RSRC2:TGID_Z_EN: 0
; COMPUTE_PGM_RSRC2:TIDIG_COMP_CNT: 0
	.section	.text._ZN7rocprim17ROCPRIM_400000_NS6detail17trampoline_kernelINS0_14default_configENS1_29reduce_by_key_config_selectorIddN6thrust23THRUST_200600_302600_NS4plusIdEEEEZZNS1_33reduce_by_key_impl_wrapped_configILNS1_25lookback_scan_determinismE0ES3_S9_NS6_6detail15normal_iteratorINS6_10device_ptrIdEEEESG_SG_SG_PmS8_NS6_8equal_toIdEEEE10hipError_tPvRmT2_T3_mT4_T5_T6_T7_T8_P12ihipStream_tbENKUlT_T0_E_clISt17integral_constantIbLb0EES11_EEDaSW_SX_EUlSW_E_NS1_11comp_targetILNS1_3genE5ELNS1_11target_archE942ELNS1_3gpuE9ELNS1_3repE0EEENS1_30default_config_static_selectorELNS0_4arch9wavefront6targetE0EEEvT1_,"axG",@progbits,_ZN7rocprim17ROCPRIM_400000_NS6detail17trampoline_kernelINS0_14default_configENS1_29reduce_by_key_config_selectorIddN6thrust23THRUST_200600_302600_NS4plusIdEEEEZZNS1_33reduce_by_key_impl_wrapped_configILNS1_25lookback_scan_determinismE0ES3_S9_NS6_6detail15normal_iteratorINS6_10device_ptrIdEEEESG_SG_SG_PmS8_NS6_8equal_toIdEEEE10hipError_tPvRmT2_T3_mT4_T5_T6_T7_T8_P12ihipStream_tbENKUlT_T0_E_clISt17integral_constantIbLb0EES11_EEDaSW_SX_EUlSW_E_NS1_11comp_targetILNS1_3genE5ELNS1_11target_archE942ELNS1_3gpuE9ELNS1_3repE0EEENS1_30default_config_static_selectorELNS0_4arch9wavefront6targetE0EEEvT1_,comdat
	.protected	_ZN7rocprim17ROCPRIM_400000_NS6detail17trampoline_kernelINS0_14default_configENS1_29reduce_by_key_config_selectorIddN6thrust23THRUST_200600_302600_NS4plusIdEEEEZZNS1_33reduce_by_key_impl_wrapped_configILNS1_25lookback_scan_determinismE0ES3_S9_NS6_6detail15normal_iteratorINS6_10device_ptrIdEEEESG_SG_SG_PmS8_NS6_8equal_toIdEEEE10hipError_tPvRmT2_T3_mT4_T5_T6_T7_T8_P12ihipStream_tbENKUlT_T0_E_clISt17integral_constantIbLb0EES11_EEDaSW_SX_EUlSW_E_NS1_11comp_targetILNS1_3genE5ELNS1_11target_archE942ELNS1_3gpuE9ELNS1_3repE0EEENS1_30default_config_static_selectorELNS0_4arch9wavefront6targetE0EEEvT1_ ; -- Begin function _ZN7rocprim17ROCPRIM_400000_NS6detail17trampoline_kernelINS0_14default_configENS1_29reduce_by_key_config_selectorIddN6thrust23THRUST_200600_302600_NS4plusIdEEEEZZNS1_33reduce_by_key_impl_wrapped_configILNS1_25lookback_scan_determinismE0ES3_S9_NS6_6detail15normal_iteratorINS6_10device_ptrIdEEEESG_SG_SG_PmS8_NS6_8equal_toIdEEEE10hipError_tPvRmT2_T3_mT4_T5_T6_T7_T8_P12ihipStream_tbENKUlT_T0_E_clISt17integral_constantIbLb0EES11_EEDaSW_SX_EUlSW_E_NS1_11comp_targetILNS1_3genE5ELNS1_11target_archE942ELNS1_3gpuE9ELNS1_3repE0EEENS1_30default_config_static_selectorELNS0_4arch9wavefront6targetE0EEEvT1_
	.globl	_ZN7rocprim17ROCPRIM_400000_NS6detail17trampoline_kernelINS0_14default_configENS1_29reduce_by_key_config_selectorIddN6thrust23THRUST_200600_302600_NS4plusIdEEEEZZNS1_33reduce_by_key_impl_wrapped_configILNS1_25lookback_scan_determinismE0ES3_S9_NS6_6detail15normal_iteratorINS6_10device_ptrIdEEEESG_SG_SG_PmS8_NS6_8equal_toIdEEEE10hipError_tPvRmT2_T3_mT4_T5_T6_T7_T8_P12ihipStream_tbENKUlT_T0_E_clISt17integral_constantIbLb0EES11_EEDaSW_SX_EUlSW_E_NS1_11comp_targetILNS1_3genE5ELNS1_11target_archE942ELNS1_3gpuE9ELNS1_3repE0EEENS1_30default_config_static_selectorELNS0_4arch9wavefront6targetE0EEEvT1_
	.p2align	8
	.type	_ZN7rocprim17ROCPRIM_400000_NS6detail17trampoline_kernelINS0_14default_configENS1_29reduce_by_key_config_selectorIddN6thrust23THRUST_200600_302600_NS4plusIdEEEEZZNS1_33reduce_by_key_impl_wrapped_configILNS1_25lookback_scan_determinismE0ES3_S9_NS6_6detail15normal_iteratorINS6_10device_ptrIdEEEESG_SG_SG_PmS8_NS6_8equal_toIdEEEE10hipError_tPvRmT2_T3_mT4_T5_T6_T7_T8_P12ihipStream_tbENKUlT_T0_E_clISt17integral_constantIbLb0EES11_EEDaSW_SX_EUlSW_E_NS1_11comp_targetILNS1_3genE5ELNS1_11target_archE942ELNS1_3gpuE9ELNS1_3repE0EEENS1_30default_config_static_selectorELNS0_4arch9wavefront6targetE0EEEvT1_,@function
_ZN7rocprim17ROCPRIM_400000_NS6detail17trampoline_kernelINS0_14default_configENS1_29reduce_by_key_config_selectorIddN6thrust23THRUST_200600_302600_NS4plusIdEEEEZZNS1_33reduce_by_key_impl_wrapped_configILNS1_25lookback_scan_determinismE0ES3_S9_NS6_6detail15normal_iteratorINS6_10device_ptrIdEEEESG_SG_SG_PmS8_NS6_8equal_toIdEEEE10hipError_tPvRmT2_T3_mT4_T5_T6_T7_T8_P12ihipStream_tbENKUlT_T0_E_clISt17integral_constantIbLb0EES11_EEDaSW_SX_EUlSW_E_NS1_11comp_targetILNS1_3genE5ELNS1_11target_archE942ELNS1_3gpuE9ELNS1_3repE0EEENS1_30default_config_static_selectorELNS0_4arch9wavefront6targetE0EEEvT1_: ; @_ZN7rocprim17ROCPRIM_400000_NS6detail17trampoline_kernelINS0_14default_configENS1_29reduce_by_key_config_selectorIddN6thrust23THRUST_200600_302600_NS4plusIdEEEEZZNS1_33reduce_by_key_impl_wrapped_configILNS1_25lookback_scan_determinismE0ES3_S9_NS6_6detail15normal_iteratorINS6_10device_ptrIdEEEESG_SG_SG_PmS8_NS6_8equal_toIdEEEE10hipError_tPvRmT2_T3_mT4_T5_T6_T7_T8_P12ihipStream_tbENKUlT_T0_E_clISt17integral_constantIbLb0EES11_EEDaSW_SX_EUlSW_E_NS1_11comp_targetILNS1_3genE5ELNS1_11target_archE942ELNS1_3gpuE9ELNS1_3repE0EEENS1_30default_config_static_selectorELNS0_4arch9wavefront6targetE0EEEvT1_
; %bb.0:
	.section	.rodata,"a",@progbits
	.p2align	6, 0x0
	.amdhsa_kernel _ZN7rocprim17ROCPRIM_400000_NS6detail17trampoline_kernelINS0_14default_configENS1_29reduce_by_key_config_selectorIddN6thrust23THRUST_200600_302600_NS4plusIdEEEEZZNS1_33reduce_by_key_impl_wrapped_configILNS1_25lookback_scan_determinismE0ES3_S9_NS6_6detail15normal_iteratorINS6_10device_ptrIdEEEESG_SG_SG_PmS8_NS6_8equal_toIdEEEE10hipError_tPvRmT2_T3_mT4_T5_T6_T7_T8_P12ihipStream_tbENKUlT_T0_E_clISt17integral_constantIbLb0EES11_EEDaSW_SX_EUlSW_E_NS1_11comp_targetILNS1_3genE5ELNS1_11target_archE942ELNS1_3gpuE9ELNS1_3repE0EEENS1_30default_config_static_selectorELNS0_4arch9wavefront6targetE0EEEvT1_
		.amdhsa_group_segment_fixed_size 0
		.amdhsa_private_segment_fixed_size 0
		.amdhsa_kernarg_size 136
		.amdhsa_user_sgpr_count 15
		.amdhsa_user_sgpr_dispatch_ptr 0
		.amdhsa_user_sgpr_queue_ptr 0
		.amdhsa_user_sgpr_kernarg_segment_ptr 1
		.amdhsa_user_sgpr_dispatch_id 0
		.amdhsa_user_sgpr_private_segment_size 0
		.amdhsa_wavefront_size32 1
		.amdhsa_uses_dynamic_stack 0
		.amdhsa_enable_private_segment 0
		.amdhsa_system_sgpr_workgroup_id_x 1
		.amdhsa_system_sgpr_workgroup_id_y 0
		.amdhsa_system_sgpr_workgroup_id_z 0
		.amdhsa_system_sgpr_workgroup_info 0
		.amdhsa_system_vgpr_workitem_id 0
		.amdhsa_next_free_vgpr 1
		.amdhsa_next_free_sgpr 1
		.amdhsa_reserve_vcc 0
		.amdhsa_float_round_mode_32 0
		.amdhsa_float_round_mode_16_64 0
		.amdhsa_float_denorm_mode_32 3
		.amdhsa_float_denorm_mode_16_64 3
		.amdhsa_dx10_clamp 1
		.amdhsa_ieee_mode 1
		.amdhsa_fp16_overflow 0
		.amdhsa_workgroup_processor_mode 1
		.amdhsa_memory_ordered 1
		.amdhsa_forward_progress 0
		.amdhsa_shared_vgpr_count 0
		.amdhsa_exception_fp_ieee_invalid_op 0
		.amdhsa_exception_fp_denorm_src 0
		.amdhsa_exception_fp_ieee_div_zero 0
		.amdhsa_exception_fp_ieee_overflow 0
		.amdhsa_exception_fp_ieee_underflow 0
		.amdhsa_exception_fp_ieee_inexact 0
		.amdhsa_exception_int_div_zero 0
	.end_amdhsa_kernel
	.section	.text._ZN7rocprim17ROCPRIM_400000_NS6detail17trampoline_kernelINS0_14default_configENS1_29reduce_by_key_config_selectorIddN6thrust23THRUST_200600_302600_NS4plusIdEEEEZZNS1_33reduce_by_key_impl_wrapped_configILNS1_25lookback_scan_determinismE0ES3_S9_NS6_6detail15normal_iteratorINS6_10device_ptrIdEEEESG_SG_SG_PmS8_NS6_8equal_toIdEEEE10hipError_tPvRmT2_T3_mT4_T5_T6_T7_T8_P12ihipStream_tbENKUlT_T0_E_clISt17integral_constantIbLb0EES11_EEDaSW_SX_EUlSW_E_NS1_11comp_targetILNS1_3genE5ELNS1_11target_archE942ELNS1_3gpuE9ELNS1_3repE0EEENS1_30default_config_static_selectorELNS0_4arch9wavefront6targetE0EEEvT1_,"axG",@progbits,_ZN7rocprim17ROCPRIM_400000_NS6detail17trampoline_kernelINS0_14default_configENS1_29reduce_by_key_config_selectorIddN6thrust23THRUST_200600_302600_NS4plusIdEEEEZZNS1_33reduce_by_key_impl_wrapped_configILNS1_25lookback_scan_determinismE0ES3_S9_NS6_6detail15normal_iteratorINS6_10device_ptrIdEEEESG_SG_SG_PmS8_NS6_8equal_toIdEEEE10hipError_tPvRmT2_T3_mT4_T5_T6_T7_T8_P12ihipStream_tbENKUlT_T0_E_clISt17integral_constantIbLb0EES11_EEDaSW_SX_EUlSW_E_NS1_11comp_targetILNS1_3genE5ELNS1_11target_archE942ELNS1_3gpuE9ELNS1_3repE0EEENS1_30default_config_static_selectorELNS0_4arch9wavefront6targetE0EEEvT1_,comdat
.Lfunc_end13:
	.size	_ZN7rocprim17ROCPRIM_400000_NS6detail17trampoline_kernelINS0_14default_configENS1_29reduce_by_key_config_selectorIddN6thrust23THRUST_200600_302600_NS4plusIdEEEEZZNS1_33reduce_by_key_impl_wrapped_configILNS1_25lookback_scan_determinismE0ES3_S9_NS6_6detail15normal_iteratorINS6_10device_ptrIdEEEESG_SG_SG_PmS8_NS6_8equal_toIdEEEE10hipError_tPvRmT2_T3_mT4_T5_T6_T7_T8_P12ihipStream_tbENKUlT_T0_E_clISt17integral_constantIbLb0EES11_EEDaSW_SX_EUlSW_E_NS1_11comp_targetILNS1_3genE5ELNS1_11target_archE942ELNS1_3gpuE9ELNS1_3repE0EEENS1_30default_config_static_selectorELNS0_4arch9wavefront6targetE0EEEvT1_, .Lfunc_end13-_ZN7rocprim17ROCPRIM_400000_NS6detail17trampoline_kernelINS0_14default_configENS1_29reduce_by_key_config_selectorIddN6thrust23THRUST_200600_302600_NS4plusIdEEEEZZNS1_33reduce_by_key_impl_wrapped_configILNS1_25lookback_scan_determinismE0ES3_S9_NS6_6detail15normal_iteratorINS6_10device_ptrIdEEEESG_SG_SG_PmS8_NS6_8equal_toIdEEEE10hipError_tPvRmT2_T3_mT4_T5_T6_T7_T8_P12ihipStream_tbENKUlT_T0_E_clISt17integral_constantIbLb0EES11_EEDaSW_SX_EUlSW_E_NS1_11comp_targetILNS1_3genE5ELNS1_11target_archE942ELNS1_3gpuE9ELNS1_3repE0EEENS1_30default_config_static_selectorELNS0_4arch9wavefront6targetE0EEEvT1_
                                        ; -- End function
	.section	.AMDGPU.csdata,"",@progbits
; Kernel info:
; codeLenInByte = 0
; NumSgprs: 0
; NumVgprs: 0
; ScratchSize: 0
; MemoryBound: 0
; FloatMode: 240
; IeeeMode: 1
; LDSByteSize: 0 bytes/workgroup (compile time only)
; SGPRBlocks: 0
; VGPRBlocks: 0
; NumSGPRsForWavesPerEU: 1
; NumVGPRsForWavesPerEU: 1
; Occupancy: 16
; WaveLimiterHint : 0
; COMPUTE_PGM_RSRC2:SCRATCH_EN: 0
; COMPUTE_PGM_RSRC2:USER_SGPR: 15
; COMPUTE_PGM_RSRC2:TRAP_HANDLER: 0
; COMPUTE_PGM_RSRC2:TGID_X_EN: 1
; COMPUTE_PGM_RSRC2:TGID_Y_EN: 0
; COMPUTE_PGM_RSRC2:TGID_Z_EN: 0
; COMPUTE_PGM_RSRC2:TIDIG_COMP_CNT: 0
	.section	.text._ZN7rocprim17ROCPRIM_400000_NS6detail17trampoline_kernelINS0_14default_configENS1_29reduce_by_key_config_selectorIddN6thrust23THRUST_200600_302600_NS4plusIdEEEEZZNS1_33reduce_by_key_impl_wrapped_configILNS1_25lookback_scan_determinismE0ES3_S9_NS6_6detail15normal_iteratorINS6_10device_ptrIdEEEESG_SG_SG_PmS8_NS6_8equal_toIdEEEE10hipError_tPvRmT2_T3_mT4_T5_T6_T7_T8_P12ihipStream_tbENKUlT_T0_E_clISt17integral_constantIbLb0EES11_EEDaSW_SX_EUlSW_E_NS1_11comp_targetILNS1_3genE4ELNS1_11target_archE910ELNS1_3gpuE8ELNS1_3repE0EEENS1_30default_config_static_selectorELNS0_4arch9wavefront6targetE0EEEvT1_,"axG",@progbits,_ZN7rocprim17ROCPRIM_400000_NS6detail17trampoline_kernelINS0_14default_configENS1_29reduce_by_key_config_selectorIddN6thrust23THRUST_200600_302600_NS4plusIdEEEEZZNS1_33reduce_by_key_impl_wrapped_configILNS1_25lookback_scan_determinismE0ES3_S9_NS6_6detail15normal_iteratorINS6_10device_ptrIdEEEESG_SG_SG_PmS8_NS6_8equal_toIdEEEE10hipError_tPvRmT2_T3_mT4_T5_T6_T7_T8_P12ihipStream_tbENKUlT_T0_E_clISt17integral_constantIbLb0EES11_EEDaSW_SX_EUlSW_E_NS1_11comp_targetILNS1_3genE4ELNS1_11target_archE910ELNS1_3gpuE8ELNS1_3repE0EEENS1_30default_config_static_selectorELNS0_4arch9wavefront6targetE0EEEvT1_,comdat
	.protected	_ZN7rocprim17ROCPRIM_400000_NS6detail17trampoline_kernelINS0_14default_configENS1_29reduce_by_key_config_selectorIddN6thrust23THRUST_200600_302600_NS4plusIdEEEEZZNS1_33reduce_by_key_impl_wrapped_configILNS1_25lookback_scan_determinismE0ES3_S9_NS6_6detail15normal_iteratorINS6_10device_ptrIdEEEESG_SG_SG_PmS8_NS6_8equal_toIdEEEE10hipError_tPvRmT2_T3_mT4_T5_T6_T7_T8_P12ihipStream_tbENKUlT_T0_E_clISt17integral_constantIbLb0EES11_EEDaSW_SX_EUlSW_E_NS1_11comp_targetILNS1_3genE4ELNS1_11target_archE910ELNS1_3gpuE8ELNS1_3repE0EEENS1_30default_config_static_selectorELNS0_4arch9wavefront6targetE0EEEvT1_ ; -- Begin function _ZN7rocprim17ROCPRIM_400000_NS6detail17trampoline_kernelINS0_14default_configENS1_29reduce_by_key_config_selectorIddN6thrust23THRUST_200600_302600_NS4plusIdEEEEZZNS1_33reduce_by_key_impl_wrapped_configILNS1_25lookback_scan_determinismE0ES3_S9_NS6_6detail15normal_iteratorINS6_10device_ptrIdEEEESG_SG_SG_PmS8_NS6_8equal_toIdEEEE10hipError_tPvRmT2_T3_mT4_T5_T6_T7_T8_P12ihipStream_tbENKUlT_T0_E_clISt17integral_constantIbLb0EES11_EEDaSW_SX_EUlSW_E_NS1_11comp_targetILNS1_3genE4ELNS1_11target_archE910ELNS1_3gpuE8ELNS1_3repE0EEENS1_30default_config_static_selectorELNS0_4arch9wavefront6targetE0EEEvT1_
	.globl	_ZN7rocprim17ROCPRIM_400000_NS6detail17trampoline_kernelINS0_14default_configENS1_29reduce_by_key_config_selectorIddN6thrust23THRUST_200600_302600_NS4plusIdEEEEZZNS1_33reduce_by_key_impl_wrapped_configILNS1_25lookback_scan_determinismE0ES3_S9_NS6_6detail15normal_iteratorINS6_10device_ptrIdEEEESG_SG_SG_PmS8_NS6_8equal_toIdEEEE10hipError_tPvRmT2_T3_mT4_T5_T6_T7_T8_P12ihipStream_tbENKUlT_T0_E_clISt17integral_constantIbLb0EES11_EEDaSW_SX_EUlSW_E_NS1_11comp_targetILNS1_3genE4ELNS1_11target_archE910ELNS1_3gpuE8ELNS1_3repE0EEENS1_30default_config_static_selectorELNS0_4arch9wavefront6targetE0EEEvT1_
	.p2align	8
	.type	_ZN7rocprim17ROCPRIM_400000_NS6detail17trampoline_kernelINS0_14default_configENS1_29reduce_by_key_config_selectorIddN6thrust23THRUST_200600_302600_NS4plusIdEEEEZZNS1_33reduce_by_key_impl_wrapped_configILNS1_25lookback_scan_determinismE0ES3_S9_NS6_6detail15normal_iteratorINS6_10device_ptrIdEEEESG_SG_SG_PmS8_NS6_8equal_toIdEEEE10hipError_tPvRmT2_T3_mT4_T5_T6_T7_T8_P12ihipStream_tbENKUlT_T0_E_clISt17integral_constantIbLb0EES11_EEDaSW_SX_EUlSW_E_NS1_11comp_targetILNS1_3genE4ELNS1_11target_archE910ELNS1_3gpuE8ELNS1_3repE0EEENS1_30default_config_static_selectorELNS0_4arch9wavefront6targetE0EEEvT1_,@function
_ZN7rocprim17ROCPRIM_400000_NS6detail17trampoline_kernelINS0_14default_configENS1_29reduce_by_key_config_selectorIddN6thrust23THRUST_200600_302600_NS4plusIdEEEEZZNS1_33reduce_by_key_impl_wrapped_configILNS1_25lookback_scan_determinismE0ES3_S9_NS6_6detail15normal_iteratorINS6_10device_ptrIdEEEESG_SG_SG_PmS8_NS6_8equal_toIdEEEE10hipError_tPvRmT2_T3_mT4_T5_T6_T7_T8_P12ihipStream_tbENKUlT_T0_E_clISt17integral_constantIbLb0EES11_EEDaSW_SX_EUlSW_E_NS1_11comp_targetILNS1_3genE4ELNS1_11target_archE910ELNS1_3gpuE8ELNS1_3repE0EEENS1_30default_config_static_selectorELNS0_4arch9wavefront6targetE0EEEvT1_: ; @_ZN7rocprim17ROCPRIM_400000_NS6detail17trampoline_kernelINS0_14default_configENS1_29reduce_by_key_config_selectorIddN6thrust23THRUST_200600_302600_NS4plusIdEEEEZZNS1_33reduce_by_key_impl_wrapped_configILNS1_25lookback_scan_determinismE0ES3_S9_NS6_6detail15normal_iteratorINS6_10device_ptrIdEEEESG_SG_SG_PmS8_NS6_8equal_toIdEEEE10hipError_tPvRmT2_T3_mT4_T5_T6_T7_T8_P12ihipStream_tbENKUlT_T0_E_clISt17integral_constantIbLb0EES11_EEDaSW_SX_EUlSW_E_NS1_11comp_targetILNS1_3genE4ELNS1_11target_archE910ELNS1_3gpuE8ELNS1_3repE0EEENS1_30default_config_static_selectorELNS0_4arch9wavefront6targetE0EEEvT1_
; %bb.0:
	.section	.rodata,"a",@progbits
	.p2align	6, 0x0
	.amdhsa_kernel _ZN7rocprim17ROCPRIM_400000_NS6detail17trampoline_kernelINS0_14default_configENS1_29reduce_by_key_config_selectorIddN6thrust23THRUST_200600_302600_NS4plusIdEEEEZZNS1_33reduce_by_key_impl_wrapped_configILNS1_25lookback_scan_determinismE0ES3_S9_NS6_6detail15normal_iteratorINS6_10device_ptrIdEEEESG_SG_SG_PmS8_NS6_8equal_toIdEEEE10hipError_tPvRmT2_T3_mT4_T5_T6_T7_T8_P12ihipStream_tbENKUlT_T0_E_clISt17integral_constantIbLb0EES11_EEDaSW_SX_EUlSW_E_NS1_11comp_targetILNS1_3genE4ELNS1_11target_archE910ELNS1_3gpuE8ELNS1_3repE0EEENS1_30default_config_static_selectorELNS0_4arch9wavefront6targetE0EEEvT1_
		.amdhsa_group_segment_fixed_size 0
		.amdhsa_private_segment_fixed_size 0
		.amdhsa_kernarg_size 136
		.amdhsa_user_sgpr_count 15
		.amdhsa_user_sgpr_dispatch_ptr 0
		.amdhsa_user_sgpr_queue_ptr 0
		.amdhsa_user_sgpr_kernarg_segment_ptr 1
		.amdhsa_user_sgpr_dispatch_id 0
		.amdhsa_user_sgpr_private_segment_size 0
		.amdhsa_wavefront_size32 1
		.amdhsa_uses_dynamic_stack 0
		.amdhsa_enable_private_segment 0
		.amdhsa_system_sgpr_workgroup_id_x 1
		.amdhsa_system_sgpr_workgroup_id_y 0
		.amdhsa_system_sgpr_workgroup_id_z 0
		.amdhsa_system_sgpr_workgroup_info 0
		.amdhsa_system_vgpr_workitem_id 0
		.amdhsa_next_free_vgpr 1
		.amdhsa_next_free_sgpr 1
		.amdhsa_reserve_vcc 0
		.amdhsa_float_round_mode_32 0
		.amdhsa_float_round_mode_16_64 0
		.amdhsa_float_denorm_mode_32 3
		.amdhsa_float_denorm_mode_16_64 3
		.amdhsa_dx10_clamp 1
		.amdhsa_ieee_mode 1
		.amdhsa_fp16_overflow 0
		.amdhsa_workgroup_processor_mode 1
		.amdhsa_memory_ordered 1
		.amdhsa_forward_progress 0
		.amdhsa_shared_vgpr_count 0
		.amdhsa_exception_fp_ieee_invalid_op 0
		.amdhsa_exception_fp_denorm_src 0
		.amdhsa_exception_fp_ieee_div_zero 0
		.amdhsa_exception_fp_ieee_overflow 0
		.amdhsa_exception_fp_ieee_underflow 0
		.amdhsa_exception_fp_ieee_inexact 0
		.amdhsa_exception_int_div_zero 0
	.end_amdhsa_kernel
	.section	.text._ZN7rocprim17ROCPRIM_400000_NS6detail17trampoline_kernelINS0_14default_configENS1_29reduce_by_key_config_selectorIddN6thrust23THRUST_200600_302600_NS4plusIdEEEEZZNS1_33reduce_by_key_impl_wrapped_configILNS1_25lookback_scan_determinismE0ES3_S9_NS6_6detail15normal_iteratorINS6_10device_ptrIdEEEESG_SG_SG_PmS8_NS6_8equal_toIdEEEE10hipError_tPvRmT2_T3_mT4_T5_T6_T7_T8_P12ihipStream_tbENKUlT_T0_E_clISt17integral_constantIbLb0EES11_EEDaSW_SX_EUlSW_E_NS1_11comp_targetILNS1_3genE4ELNS1_11target_archE910ELNS1_3gpuE8ELNS1_3repE0EEENS1_30default_config_static_selectorELNS0_4arch9wavefront6targetE0EEEvT1_,"axG",@progbits,_ZN7rocprim17ROCPRIM_400000_NS6detail17trampoline_kernelINS0_14default_configENS1_29reduce_by_key_config_selectorIddN6thrust23THRUST_200600_302600_NS4plusIdEEEEZZNS1_33reduce_by_key_impl_wrapped_configILNS1_25lookback_scan_determinismE0ES3_S9_NS6_6detail15normal_iteratorINS6_10device_ptrIdEEEESG_SG_SG_PmS8_NS6_8equal_toIdEEEE10hipError_tPvRmT2_T3_mT4_T5_T6_T7_T8_P12ihipStream_tbENKUlT_T0_E_clISt17integral_constantIbLb0EES11_EEDaSW_SX_EUlSW_E_NS1_11comp_targetILNS1_3genE4ELNS1_11target_archE910ELNS1_3gpuE8ELNS1_3repE0EEENS1_30default_config_static_selectorELNS0_4arch9wavefront6targetE0EEEvT1_,comdat
.Lfunc_end14:
	.size	_ZN7rocprim17ROCPRIM_400000_NS6detail17trampoline_kernelINS0_14default_configENS1_29reduce_by_key_config_selectorIddN6thrust23THRUST_200600_302600_NS4plusIdEEEEZZNS1_33reduce_by_key_impl_wrapped_configILNS1_25lookback_scan_determinismE0ES3_S9_NS6_6detail15normal_iteratorINS6_10device_ptrIdEEEESG_SG_SG_PmS8_NS6_8equal_toIdEEEE10hipError_tPvRmT2_T3_mT4_T5_T6_T7_T8_P12ihipStream_tbENKUlT_T0_E_clISt17integral_constantIbLb0EES11_EEDaSW_SX_EUlSW_E_NS1_11comp_targetILNS1_3genE4ELNS1_11target_archE910ELNS1_3gpuE8ELNS1_3repE0EEENS1_30default_config_static_selectorELNS0_4arch9wavefront6targetE0EEEvT1_, .Lfunc_end14-_ZN7rocprim17ROCPRIM_400000_NS6detail17trampoline_kernelINS0_14default_configENS1_29reduce_by_key_config_selectorIddN6thrust23THRUST_200600_302600_NS4plusIdEEEEZZNS1_33reduce_by_key_impl_wrapped_configILNS1_25lookback_scan_determinismE0ES3_S9_NS6_6detail15normal_iteratorINS6_10device_ptrIdEEEESG_SG_SG_PmS8_NS6_8equal_toIdEEEE10hipError_tPvRmT2_T3_mT4_T5_T6_T7_T8_P12ihipStream_tbENKUlT_T0_E_clISt17integral_constantIbLb0EES11_EEDaSW_SX_EUlSW_E_NS1_11comp_targetILNS1_3genE4ELNS1_11target_archE910ELNS1_3gpuE8ELNS1_3repE0EEENS1_30default_config_static_selectorELNS0_4arch9wavefront6targetE0EEEvT1_
                                        ; -- End function
	.section	.AMDGPU.csdata,"",@progbits
; Kernel info:
; codeLenInByte = 0
; NumSgprs: 0
; NumVgprs: 0
; ScratchSize: 0
; MemoryBound: 0
; FloatMode: 240
; IeeeMode: 1
; LDSByteSize: 0 bytes/workgroup (compile time only)
; SGPRBlocks: 0
; VGPRBlocks: 0
; NumSGPRsForWavesPerEU: 1
; NumVGPRsForWavesPerEU: 1
; Occupancy: 16
; WaveLimiterHint : 0
; COMPUTE_PGM_RSRC2:SCRATCH_EN: 0
; COMPUTE_PGM_RSRC2:USER_SGPR: 15
; COMPUTE_PGM_RSRC2:TRAP_HANDLER: 0
; COMPUTE_PGM_RSRC2:TGID_X_EN: 1
; COMPUTE_PGM_RSRC2:TGID_Y_EN: 0
; COMPUTE_PGM_RSRC2:TGID_Z_EN: 0
; COMPUTE_PGM_RSRC2:TIDIG_COMP_CNT: 0
	.section	.text._ZN7rocprim17ROCPRIM_400000_NS6detail17trampoline_kernelINS0_14default_configENS1_29reduce_by_key_config_selectorIddN6thrust23THRUST_200600_302600_NS4plusIdEEEEZZNS1_33reduce_by_key_impl_wrapped_configILNS1_25lookback_scan_determinismE0ES3_S9_NS6_6detail15normal_iteratorINS6_10device_ptrIdEEEESG_SG_SG_PmS8_NS6_8equal_toIdEEEE10hipError_tPvRmT2_T3_mT4_T5_T6_T7_T8_P12ihipStream_tbENKUlT_T0_E_clISt17integral_constantIbLb0EES11_EEDaSW_SX_EUlSW_E_NS1_11comp_targetILNS1_3genE3ELNS1_11target_archE908ELNS1_3gpuE7ELNS1_3repE0EEENS1_30default_config_static_selectorELNS0_4arch9wavefront6targetE0EEEvT1_,"axG",@progbits,_ZN7rocprim17ROCPRIM_400000_NS6detail17trampoline_kernelINS0_14default_configENS1_29reduce_by_key_config_selectorIddN6thrust23THRUST_200600_302600_NS4plusIdEEEEZZNS1_33reduce_by_key_impl_wrapped_configILNS1_25lookback_scan_determinismE0ES3_S9_NS6_6detail15normal_iteratorINS6_10device_ptrIdEEEESG_SG_SG_PmS8_NS6_8equal_toIdEEEE10hipError_tPvRmT2_T3_mT4_T5_T6_T7_T8_P12ihipStream_tbENKUlT_T0_E_clISt17integral_constantIbLb0EES11_EEDaSW_SX_EUlSW_E_NS1_11comp_targetILNS1_3genE3ELNS1_11target_archE908ELNS1_3gpuE7ELNS1_3repE0EEENS1_30default_config_static_selectorELNS0_4arch9wavefront6targetE0EEEvT1_,comdat
	.protected	_ZN7rocprim17ROCPRIM_400000_NS6detail17trampoline_kernelINS0_14default_configENS1_29reduce_by_key_config_selectorIddN6thrust23THRUST_200600_302600_NS4plusIdEEEEZZNS1_33reduce_by_key_impl_wrapped_configILNS1_25lookback_scan_determinismE0ES3_S9_NS6_6detail15normal_iteratorINS6_10device_ptrIdEEEESG_SG_SG_PmS8_NS6_8equal_toIdEEEE10hipError_tPvRmT2_T3_mT4_T5_T6_T7_T8_P12ihipStream_tbENKUlT_T0_E_clISt17integral_constantIbLb0EES11_EEDaSW_SX_EUlSW_E_NS1_11comp_targetILNS1_3genE3ELNS1_11target_archE908ELNS1_3gpuE7ELNS1_3repE0EEENS1_30default_config_static_selectorELNS0_4arch9wavefront6targetE0EEEvT1_ ; -- Begin function _ZN7rocprim17ROCPRIM_400000_NS6detail17trampoline_kernelINS0_14default_configENS1_29reduce_by_key_config_selectorIddN6thrust23THRUST_200600_302600_NS4plusIdEEEEZZNS1_33reduce_by_key_impl_wrapped_configILNS1_25lookback_scan_determinismE0ES3_S9_NS6_6detail15normal_iteratorINS6_10device_ptrIdEEEESG_SG_SG_PmS8_NS6_8equal_toIdEEEE10hipError_tPvRmT2_T3_mT4_T5_T6_T7_T8_P12ihipStream_tbENKUlT_T0_E_clISt17integral_constantIbLb0EES11_EEDaSW_SX_EUlSW_E_NS1_11comp_targetILNS1_3genE3ELNS1_11target_archE908ELNS1_3gpuE7ELNS1_3repE0EEENS1_30default_config_static_selectorELNS0_4arch9wavefront6targetE0EEEvT1_
	.globl	_ZN7rocprim17ROCPRIM_400000_NS6detail17trampoline_kernelINS0_14default_configENS1_29reduce_by_key_config_selectorIddN6thrust23THRUST_200600_302600_NS4plusIdEEEEZZNS1_33reduce_by_key_impl_wrapped_configILNS1_25lookback_scan_determinismE0ES3_S9_NS6_6detail15normal_iteratorINS6_10device_ptrIdEEEESG_SG_SG_PmS8_NS6_8equal_toIdEEEE10hipError_tPvRmT2_T3_mT4_T5_T6_T7_T8_P12ihipStream_tbENKUlT_T0_E_clISt17integral_constantIbLb0EES11_EEDaSW_SX_EUlSW_E_NS1_11comp_targetILNS1_3genE3ELNS1_11target_archE908ELNS1_3gpuE7ELNS1_3repE0EEENS1_30default_config_static_selectorELNS0_4arch9wavefront6targetE0EEEvT1_
	.p2align	8
	.type	_ZN7rocprim17ROCPRIM_400000_NS6detail17trampoline_kernelINS0_14default_configENS1_29reduce_by_key_config_selectorIddN6thrust23THRUST_200600_302600_NS4plusIdEEEEZZNS1_33reduce_by_key_impl_wrapped_configILNS1_25lookback_scan_determinismE0ES3_S9_NS6_6detail15normal_iteratorINS6_10device_ptrIdEEEESG_SG_SG_PmS8_NS6_8equal_toIdEEEE10hipError_tPvRmT2_T3_mT4_T5_T6_T7_T8_P12ihipStream_tbENKUlT_T0_E_clISt17integral_constantIbLb0EES11_EEDaSW_SX_EUlSW_E_NS1_11comp_targetILNS1_3genE3ELNS1_11target_archE908ELNS1_3gpuE7ELNS1_3repE0EEENS1_30default_config_static_selectorELNS0_4arch9wavefront6targetE0EEEvT1_,@function
_ZN7rocprim17ROCPRIM_400000_NS6detail17trampoline_kernelINS0_14default_configENS1_29reduce_by_key_config_selectorIddN6thrust23THRUST_200600_302600_NS4plusIdEEEEZZNS1_33reduce_by_key_impl_wrapped_configILNS1_25lookback_scan_determinismE0ES3_S9_NS6_6detail15normal_iteratorINS6_10device_ptrIdEEEESG_SG_SG_PmS8_NS6_8equal_toIdEEEE10hipError_tPvRmT2_T3_mT4_T5_T6_T7_T8_P12ihipStream_tbENKUlT_T0_E_clISt17integral_constantIbLb0EES11_EEDaSW_SX_EUlSW_E_NS1_11comp_targetILNS1_3genE3ELNS1_11target_archE908ELNS1_3gpuE7ELNS1_3repE0EEENS1_30default_config_static_selectorELNS0_4arch9wavefront6targetE0EEEvT1_: ; @_ZN7rocprim17ROCPRIM_400000_NS6detail17trampoline_kernelINS0_14default_configENS1_29reduce_by_key_config_selectorIddN6thrust23THRUST_200600_302600_NS4plusIdEEEEZZNS1_33reduce_by_key_impl_wrapped_configILNS1_25lookback_scan_determinismE0ES3_S9_NS6_6detail15normal_iteratorINS6_10device_ptrIdEEEESG_SG_SG_PmS8_NS6_8equal_toIdEEEE10hipError_tPvRmT2_T3_mT4_T5_T6_T7_T8_P12ihipStream_tbENKUlT_T0_E_clISt17integral_constantIbLb0EES11_EEDaSW_SX_EUlSW_E_NS1_11comp_targetILNS1_3genE3ELNS1_11target_archE908ELNS1_3gpuE7ELNS1_3repE0EEENS1_30default_config_static_selectorELNS0_4arch9wavefront6targetE0EEEvT1_
; %bb.0:
	.section	.rodata,"a",@progbits
	.p2align	6, 0x0
	.amdhsa_kernel _ZN7rocprim17ROCPRIM_400000_NS6detail17trampoline_kernelINS0_14default_configENS1_29reduce_by_key_config_selectorIddN6thrust23THRUST_200600_302600_NS4plusIdEEEEZZNS1_33reduce_by_key_impl_wrapped_configILNS1_25lookback_scan_determinismE0ES3_S9_NS6_6detail15normal_iteratorINS6_10device_ptrIdEEEESG_SG_SG_PmS8_NS6_8equal_toIdEEEE10hipError_tPvRmT2_T3_mT4_T5_T6_T7_T8_P12ihipStream_tbENKUlT_T0_E_clISt17integral_constantIbLb0EES11_EEDaSW_SX_EUlSW_E_NS1_11comp_targetILNS1_3genE3ELNS1_11target_archE908ELNS1_3gpuE7ELNS1_3repE0EEENS1_30default_config_static_selectorELNS0_4arch9wavefront6targetE0EEEvT1_
		.amdhsa_group_segment_fixed_size 0
		.amdhsa_private_segment_fixed_size 0
		.amdhsa_kernarg_size 136
		.amdhsa_user_sgpr_count 15
		.amdhsa_user_sgpr_dispatch_ptr 0
		.amdhsa_user_sgpr_queue_ptr 0
		.amdhsa_user_sgpr_kernarg_segment_ptr 1
		.amdhsa_user_sgpr_dispatch_id 0
		.amdhsa_user_sgpr_private_segment_size 0
		.amdhsa_wavefront_size32 1
		.amdhsa_uses_dynamic_stack 0
		.amdhsa_enable_private_segment 0
		.amdhsa_system_sgpr_workgroup_id_x 1
		.amdhsa_system_sgpr_workgroup_id_y 0
		.amdhsa_system_sgpr_workgroup_id_z 0
		.amdhsa_system_sgpr_workgroup_info 0
		.amdhsa_system_vgpr_workitem_id 0
		.amdhsa_next_free_vgpr 1
		.amdhsa_next_free_sgpr 1
		.amdhsa_reserve_vcc 0
		.amdhsa_float_round_mode_32 0
		.amdhsa_float_round_mode_16_64 0
		.amdhsa_float_denorm_mode_32 3
		.amdhsa_float_denorm_mode_16_64 3
		.amdhsa_dx10_clamp 1
		.amdhsa_ieee_mode 1
		.amdhsa_fp16_overflow 0
		.amdhsa_workgroup_processor_mode 1
		.amdhsa_memory_ordered 1
		.amdhsa_forward_progress 0
		.amdhsa_shared_vgpr_count 0
		.amdhsa_exception_fp_ieee_invalid_op 0
		.amdhsa_exception_fp_denorm_src 0
		.amdhsa_exception_fp_ieee_div_zero 0
		.amdhsa_exception_fp_ieee_overflow 0
		.amdhsa_exception_fp_ieee_underflow 0
		.amdhsa_exception_fp_ieee_inexact 0
		.amdhsa_exception_int_div_zero 0
	.end_amdhsa_kernel
	.section	.text._ZN7rocprim17ROCPRIM_400000_NS6detail17trampoline_kernelINS0_14default_configENS1_29reduce_by_key_config_selectorIddN6thrust23THRUST_200600_302600_NS4plusIdEEEEZZNS1_33reduce_by_key_impl_wrapped_configILNS1_25lookback_scan_determinismE0ES3_S9_NS6_6detail15normal_iteratorINS6_10device_ptrIdEEEESG_SG_SG_PmS8_NS6_8equal_toIdEEEE10hipError_tPvRmT2_T3_mT4_T5_T6_T7_T8_P12ihipStream_tbENKUlT_T0_E_clISt17integral_constantIbLb0EES11_EEDaSW_SX_EUlSW_E_NS1_11comp_targetILNS1_3genE3ELNS1_11target_archE908ELNS1_3gpuE7ELNS1_3repE0EEENS1_30default_config_static_selectorELNS0_4arch9wavefront6targetE0EEEvT1_,"axG",@progbits,_ZN7rocprim17ROCPRIM_400000_NS6detail17trampoline_kernelINS0_14default_configENS1_29reduce_by_key_config_selectorIddN6thrust23THRUST_200600_302600_NS4plusIdEEEEZZNS1_33reduce_by_key_impl_wrapped_configILNS1_25lookback_scan_determinismE0ES3_S9_NS6_6detail15normal_iteratorINS6_10device_ptrIdEEEESG_SG_SG_PmS8_NS6_8equal_toIdEEEE10hipError_tPvRmT2_T3_mT4_T5_T6_T7_T8_P12ihipStream_tbENKUlT_T0_E_clISt17integral_constantIbLb0EES11_EEDaSW_SX_EUlSW_E_NS1_11comp_targetILNS1_3genE3ELNS1_11target_archE908ELNS1_3gpuE7ELNS1_3repE0EEENS1_30default_config_static_selectorELNS0_4arch9wavefront6targetE0EEEvT1_,comdat
.Lfunc_end15:
	.size	_ZN7rocprim17ROCPRIM_400000_NS6detail17trampoline_kernelINS0_14default_configENS1_29reduce_by_key_config_selectorIddN6thrust23THRUST_200600_302600_NS4plusIdEEEEZZNS1_33reduce_by_key_impl_wrapped_configILNS1_25lookback_scan_determinismE0ES3_S9_NS6_6detail15normal_iteratorINS6_10device_ptrIdEEEESG_SG_SG_PmS8_NS6_8equal_toIdEEEE10hipError_tPvRmT2_T3_mT4_T5_T6_T7_T8_P12ihipStream_tbENKUlT_T0_E_clISt17integral_constantIbLb0EES11_EEDaSW_SX_EUlSW_E_NS1_11comp_targetILNS1_3genE3ELNS1_11target_archE908ELNS1_3gpuE7ELNS1_3repE0EEENS1_30default_config_static_selectorELNS0_4arch9wavefront6targetE0EEEvT1_, .Lfunc_end15-_ZN7rocprim17ROCPRIM_400000_NS6detail17trampoline_kernelINS0_14default_configENS1_29reduce_by_key_config_selectorIddN6thrust23THRUST_200600_302600_NS4plusIdEEEEZZNS1_33reduce_by_key_impl_wrapped_configILNS1_25lookback_scan_determinismE0ES3_S9_NS6_6detail15normal_iteratorINS6_10device_ptrIdEEEESG_SG_SG_PmS8_NS6_8equal_toIdEEEE10hipError_tPvRmT2_T3_mT4_T5_T6_T7_T8_P12ihipStream_tbENKUlT_T0_E_clISt17integral_constantIbLb0EES11_EEDaSW_SX_EUlSW_E_NS1_11comp_targetILNS1_3genE3ELNS1_11target_archE908ELNS1_3gpuE7ELNS1_3repE0EEENS1_30default_config_static_selectorELNS0_4arch9wavefront6targetE0EEEvT1_
                                        ; -- End function
	.section	.AMDGPU.csdata,"",@progbits
; Kernel info:
; codeLenInByte = 0
; NumSgprs: 0
; NumVgprs: 0
; ScratchSize: 0
; MemoryBound: 0
; FloatMode: 240
; IeeeMode: 1
; LDSByteSize: 0 bytes/workgroup (compile time only)
; SGPRBlocks: 0
; VGPRBlocks: 0
; NumSGPRsForWavesPerEU: 1
; NumVGPRsForWavesPerEU: 1
; Occupancy: 16
; WaveLimiterHint : 0
; COMPUTE_PGM_RSRC2:SCRATCH_EN: 0
; COMPUTE_PGM_RSRC2:USER_SGPR: 15
; COMPUTE_PGM_RSRC2:TRAP_HANDLER: 0
; COMPUTE_PGM_RSRC2:TGID_X_EN: 1
; COMPUTE_PGM_RSRC2:TGID_Y_EN: 0
; COMPUTE_PGM_RSRC2:TGID_Z_EN: 0
; COMPUTE_PGM_RSRC2:TIDIG_COMP_CNT: 0
	.section	.text._ZN7rocprim17ROCPRIM_400000_NS6detail17trampoline_kernelINS0_14default_configENS1_29reduce_by_key_config_selectorIddN6thrust23THRUST_200600_302600_NS4plusIdEEEEZZNS1_33reduce_by_key_impl_wrapped_configILNS1_25lookback_scan_determinismE0ES3_S9_NS6_6detail15normal_iteratorINS6_10device_ptrIdEEEESG_SG_SG_PmS8_NS6_8equal_toIdEEEE10hipError_tPvRmT2_T3_mT4_T5_T6_T7_T8_P12ihipStream_tbENKUlT_T0_E_clISt17integral_constantIbLb0EES11_EEDaSW_SX_EUlSW_E_NS1_11comp_targetILNS1_3genE2ELNS1_11target_archE906ELNS1_3gpuE6ELNS1_3repE0EEENS1_30default_config_static_selectorELNS0_4arch9wavefront6targetE0EEEvT1_,"axG",@progbits,_ZN7rocprim17ROCPRIM_400000_NS6detail17trampoline_kernelINS0_14default_configENS1_29reduce_by_key_config_selectorIddN6thrust23THRUST_200600_302600_NS4plusIdEEEEZZNS1_33reduce_by_key_impl_wrapped_configILNS1_25lookback_scan_determinismE0ES3_S9_NS6_6detail15normal_iteratorINS6_10device_ptrIdEEEESG_SG_SG_PmS8_NS6_8equal_toIdEEEE10hipError_tPvRmT2_T3_mT4_T5_T6_T7_T8_P12ihipStream_tbENKUlT_T0_E_clISt17integral_constantIbLb0EES11_EEDaSW_SX_EUlSW_E_NS1_11comp_targetILNS1_3genE2ELNS1_11target_archE906ELNS1_3gpuE6ELNS1_3repE0EEENS1_30default_config_static_selectorELNS0_4arch9wavefront6targetE0EEEvT1_,comdat
	.protected	_ZN7rocprim17ROCPRIM_400000_NS6detail17trampoline_kernelINS0_14default_configENS1_29reduce_by_key_config_selectorIddN6thrust23THRUST_200600_302600_NS4plusIdEEEEZZNS1_33reduce_by_key_impl_wrapped_configILNS1_25lookback_scan_determinismE0ES3_S9_NS6_6detail15normal_iteratorINS6_10device_ptrIdEEEESG_SG_SG_PmS8_NS6_8equal_toIdEEEE10hipError_tPvRmT2_T3_mT4_T5_T6_T7_T8_P12ihipStream_tbENKUlT_T0_E_clISt17integral_constantIbLb0EES11_EEDaSW_SX_EUlSW_E_NS1_11comp_targetILNS1_3genE2ELNS1_11target_archE906ELNS1_3gpuE6ELNS1_3repE0EEENS1_30default_config_static_selectorELNS0_4arch9wavefront6targetE0EEEvT1_ ; -- Begin function _ZN7rocprim17ROCPRIM_400000_NS6detail17trampoline_kernelINS0_14default_configENS1_29reduce_by_key_config_selectorIddN6thrust23THRUST_200600_302600_NS4plusIdEEEEZZNS1_33reduce_by_key_impl_wrapped_configILNS1_25lookback_scan_determinismE0ES3_S9_NS6_6detail15normal_iteratorINS6_10device_ptrIdEEEESG_SG_SG_PmS8_NS6_8equal_toIdEEEE10hipError_tPvRmT2_T3_mT4_T5_T6_T7_T8_P12ihipStream_tbENKUlT_T0_E_clISt17integral_constantIbLb0EES11_EEDaSW_SX_EUlSW_E_NS1_11comp_targetILNS1_3genE2ELNS1_11target_archE906ELNS1_3gpuE6ELNS1_3repE0EEENS1_30default_config_static_selectorELNS0_4arch9wavefront6targetE0EEEvT1_
	.globl	_ZN7rocprim17ROCPRIM_400000_NS6detail17trampoline_kernelINS0_14default_configENS1_29reduce_by_key_config_selectorIddN6thrust23THRUST_200600_302600_NS4plusIdEEEEZZNS1_33reduce_by_key_impl_wrapped_configILNS1_25lookback_scan_determinismE0ES3_S9_NS6_6detail15normal_iteratorINS6_10device_ptrIdEEEESG_SG_SG_PmS8_NS6_8equal_toIdEEEE10hipError_tPvRmT2_T3_mT4_T5_T6_T7_T8_P12ihipStream_tbENKUlT_T0_E_clISt17integral_constantIbLb0EES11_EEDaSW_SX_EUlSW_E_NS1_11comp_targetILNS1_3genE2ELNS1_11target_archE906ELNS1_3gpuE6ELNS1_3repE0EEENS1_30default_config_static_selectorELNS0_4arch9wavefront6targetE0EEEvT1_
	.p2align	8
	.type	_ZN7rocprim17ROCPRIM_400000_NS6detail17trampoline_kernelINS0_14default_configENS1_29reduce_by_key_config_selectorIddN6thrust23THRUST_200600_302600_NS4plusIdEEEEZZNS1_33reduce_by_key_impl_wrapped_configILNS1_25lookback_scan_determinismE0ES3_S9_NS6_6detail15normal_iteratorINS6_10device_ptrIdEEEESG_SG_SG_PmS8_NS6_8equal_toIdEEEE10hipError_tPvRmT2_T3_mT4_T5_T6_T7_T8_P12ihipStream_tbENKUlT_T0_E_clISt17integral_constantIbLb0EES11_EEDaSW_SX_EUlSW_E_NS1_11comp_targetILNS1_3genE2ELNS1_11target_archE906ELNS1_3gpuE6ELNS1_3repE0EEENS1_30default_config_static_selectorELNS0_4arch9wavefront6targetE0EEEvT1_,@function
_ZN7rocprim17ROCPRIM_400000_NS6detail17trampoline_kernelINS0_14default_configENS1_29reduce_by_key_config_selectorIddN6thrust23THRUST_200600_302600_NS4plusIdEEEEZZNS1_33reduce_by_key_impl_wrapped_configILNS1_25lookback_scan_determinismE0ES3_S9_NS6_6detail15normal_iteratorINS6_10device_ptrIdEEEESG_SG_SG_PmS8_NS6_8equal_toIdEEEE10hipError_tPvRmT2_T3_mT4_T5_T6_T7_T8_P12ihipStream_tbENKUlT_T0_E_clISt17integral_constantIbLb0EES11_EEDaSW_SX_EUlSW_E_NS1_11comp_targetILNS1_3genE2ELNS1_11target_archE906ELNS1_3gpuE6ELNS1_3repE0EEENS1_30default_config_static_selectorELNS0_4arch9wavefront6targetE0EEEvT1_: ; @_ZN7rocprim17ROCPRIM_400000_NS6detail17trampoline_kernelINS0_14default_configENS1_29reduce_by_key_config_selectorIddN6thrust23THRUST_200600_302600_NS4plusIdEEEEZZNS1_33reduce_by_key_impl_wrapped_configILNS1_25lookback_scan_determinismE0ES3_S9_NS6_6detail15normal_iteratorINS6_10device_ptrIdEEEESG_SG_SG_PmS8_NS6_8equal_toIdEEEE10hipError_tPvRmT2_T3_mT4_T5_T6_T7_T8_P12ihipStream_tbENKUlT_T0_E_clISt17integral_constantIbLb0EES11_EEDaSW_SX_EUlSW_E_NS1_11comp_targetILNS1_3genE2ELNS1_11target_archE906ELNS1_3gpuE6ELNS1_3repE0EEENS1_30default_config_static_selectorELNS0_4arch9wavefront6targetE0EEEvT1_
; %bb.0:
	.section	.rodata,"a",@progbits
	.p2align	6, 0x0
	.amdhsa_kernel _ZN7rocprim17ROCPRIM_400000_NS6detail17trampoline_kernelINS0_14default_configENS1_29reduce_by_key_config_selectorIddN6thrust23THRUST_200600_302600_NS4plusIdEEEEZZNS1_33reduce_by_key_impl_wrapped_configILNS1_25lookback_scan_determinismE0ES3_S9_NS6_6detail15normal_iteratorINS6_10device_ptrIdEEEESG_SG_SG_PmS8_NS6_8equal_toIdEEEE10hipError_tPvRmT2_T3_mT4_T5_T6_T7_T8_P12ihipStream_tbENKUlT_T0_E_clISt17integral_constantIbLb0EES11_EEDaSW_SX_EUlSW_E_NS1_11comp_targetILNS1_3genE2ELNS1_11target_archE906ELNS1_3gpuE6ELNS1_3repE0EEENS1_30default_config_static_selectorELNS0_4arch9wavefront6targetE0EEEvT1_
		.amdhsa_group_segment_fixed_size 0
		.amdhsa_private_segment_fixed_size 0
		.amdhsa_kernarg_size 136
		.amdhsa_user_sgpr_count 15
		.amdhsa_user_sgpr_dispatch_ptr 0
		.amdhsa_user_sgpr_queue_ptr 0
		.amdhsa_user_sgpr_kernarg_segment_ptr 1
		.amdhsa_user_sgpr_dispatch_id 0
		.amdhsa_user_sgpr_private_segment_size 0
		.amdhsa_wavefront_size32 1
		.amdhsa_uses_dynamic_stack 0
		.amdhsa_enable_private_segment 0
		.amdhsa_system_sgpr_workgroup_id_x 1
		.amdhsa_system_sgpr_workgroup_id_y 0
		.amdhsa_system_sgpr_workgroup_id_z 0
		.amdhsa_system_sgpr_workgroup_info 0
		.amdhsa_system_vgpr_workitem_id 0
		.amdhsa_next_free_vgpr 1
		.amdhsa_next_free_sgpr 1
		.amdhsa_reserve_vcc 0
		.amdhsa_float_round_mode_32 0
		.amdhsa_float_round_mode_16_64 0
		.amdhsa_float_denorm_mode_32 3
		.amdhsa_float_denorm_mode_16_64 3
		.amdhsa_dx10_clamp 1
		.amdhsa_ieee_mode 1
		.amdhsa_fp16_overflow 0
		.amdhsa_workgroup_processor_mode 1
		.amdhsa_memory_ordered 1
		.amdhsa_forward_progress 0
		.amdhsa_shared_vgpr_count 0
		.amdhsa_exception_fp_ieee_invalid_op 0
		.amdhsa_exception_fp_denorm_src 0
		.amdhsa_exception_fp_ieee_div_zero 0
		.amdhsa_exception_fp_ieee_overflow 0
		.amdhsa_exception_fp_ieee_underflow 0
		.amdhsa_exception_fp_ieee_inexact 0
		.amdhsa_exception_int_div_zero 0
	.end_amdhsa_kernel
	.section	.text._ZN7rocprim17ROCPRIM_400000_NS6detail17trampoline_kernelINS0_14default_configENS1_29reduce_by_key_config_selectorIddN6thrust23THRUST_200600_302600_NS4plusIdEEEEZZNS1_33reduce_by_key_impl_wrapped_configILNS1_25lookback_scan_determinismE0ES3_S9_NS6_6detail15normal_iteratorINS6_10device_ptrIdEEEESG_SG_SG_PmS8_NS6_8equal_toIdEEEE10hipError_tPvRmT2_T3_mT4_T5_T6_T7_T8_P12ihipStream_tbENKUlT_T0_E_clISt17integral_constantIbLb0EES11_EEDaSW_SX_EUlSW_E_NS1_11comp_targetILNS1_3genE2ELNS1_11target_archE906ELNS1_3gpuE6ELNS1_3repE0EEENS1_30default_config_static_selectorELNS0_4arch9wavefront6targetE0EEEvT1_,"axG",@progbits,_ZN7rocprim17ROCPRIM_400000_NS6detail17trampoline_kernelINS0_14default_configENS1_29reduce_by_key_config_selectorIddN6thrust23THRUST_200600_302600_NS4plusIdEEEEZZNS1_33reduce_by_key_impl_wrapped_configILNS1_25lookback_scan_determinismE0ES3_S9_NS6_6detail15normal_iteratorINS6_10device_ptrIdEEEESG_SG_SG_PmS8_NS6_8equal_toIdEEEE10hipError_tPvRmT2_T3_mT4_T5_T6_T7_T8_P12ihipStream_tbENKUlT_T0_E_clISt17integral_constantIbLb0EES11_EEDaSW_SX_EUlSW_E_NS1_11comp_targetILNS1_3genE2ELNS1_11target_archE906ELNS1_3gpuE6ELNS1_3repE0EEENS1_30default_config_static_selectorELNS0_4arch9wavefront6targetE0EEEvT1_,comdat
.Lfunc_end16:
	.size	_ZN7rocprim17ROCPRIM_400000_NS6detail17trampoline_kernelINS0_14default_configENS1_29reduce_by_key_config_selectorIddN6thrust23THRUST_200600_302600_NS4plusIdEEEEZZNS1_33reduce_by_key_impl_wrapped_configILNS1_25lookback_scan_determinismE0ES3_S9_NS6_6detail15normal_iteratorINS6_10device_ptrIdEEEESG_SG_SG_PmS8_NS6_8equal_toIdEEEE10hipError_tPvRmT2_T3_mT4_T5_T6_T7_T8_P12ihipStream_tbENKUlT_T0_E_clISt17integral_constantIbLb0EES11_EEDaSW_SX_EUlSW_E_NS1_11comp_targetILNS1_3genE2ELNS1_11target_archE906ELNS1_3gpuE6ELNS1_3repE0EEENS1_30default_config_static_selectorELNS0_4arch9wavefront6targetE0EEEvT1_, .Lfunc_end16-_ZN7rocprim17ROCPRIM_400000_NS6detail17trampoline_kernelINS0_14default_configENS1_29reduce_by_key_config_selectorIddN6thrust23THRUST_200600_302600_NS4plusIdEEEEZZNS1_33reduce_by_key_impl_wrapped_configILNS1_25lookback_scan_determinismE0ES3_S9_NS6_6detail15normal_iteratorINS6_10device_ptrIdEEEESG_SG_SG_PmS8_NS6_8equal_toIdEEEE10hipError_tPvRmT2_T3_mT4_T5_T6_T7_T8_P12ihipStream_tbENKUlT_T0_E_clISt17integral_constantIbLb0EES11_EEDaSW_SX_EUlSW_E_NS1_11comp_targetILNS1_3genE2ELNS1_11target_archE906ELNS1_3gpuE6ELNS1_3repE0EEENS1_30default_config_static_selectorELNS0_4arch9wavefront6targetE0EEEvT1_
                                        ; -- End function
	.section	.AMDGPU.csdata,"",@progbits
; Kernel info:
; codeLenInByte = 0
; NumSgprs: 0
; NumVgprs: 0
; ScratchSize: 0
; MemoryBound: 0
; FloatMode: 240
; IeeeMode: 1
; LDSByteSize: 0 bytes/workgroup (compile time only)
; SGPRBlocks: 0
; VGPRBlocks: 0
; NumSGPRsForWavesPerEU: 1
; NumVGPRsForWavesPerEU: 1
; Occupancy: 16
; WaveLimiterHint : 0
; COMPUTE_PGM_RSRC2:SCRATCH_EN: 0
; COMPUTE_PGM_RSRC2:USER_SGPR: 15
; COMPUTE_PGM_RSRC2:TRAP_HANDLER: 0
; COMPUTE_PGM_RSRC2:TGID_X_EN: 1
; COMPUTE_PGM_RSRC2:TGID_Y_EN: 0
; COMPUTE_PGM_RSRC2:TGID_Z_EN: 0
; COMPUTE_PGM_RSRC2:TIDIG_COMP_CNT: 0
	.section	.text._ZN7rocprim17ROCPRIM_400000_NS6detail17trampoline_kernelINS0_14default_configENS1_29reduce_by_key_config_selectorIddN6thrust23THRUST_200600_302600_NS4plusIdEEEEZZNS1_33reduce_by_key_impl_wrapped_configILNS1_25lookback_scan_determinismE0ES3_S9_NS6_6detail15normal_iteratorINS6_10device_ptrIdEEEESG_SG_SG_PmS8_NS6_8equal_toIdEEEE10hipError_tPvRmT2_T3_mT4_T5_T6_T7_T8_P12ihipStream_tbENKUlT_T0_E_clISt17integral_constantIbLb0EES11_EEDaSW_SX_EUlSW_E_NS1_11comp_targetILNS1_3genE10ELNS1_11target_archE1201ELNS1_3gpuE5ELNS1_3repE0EEENS1_30default_config_static_selectorELNS0_4arch9wavefront6targetE0EEEvT1_,"axG",@progbits,_ZN7rocprim17ROCPRIM_400000_NS6detail17trampoline_kernelINS0_14default_configENS1_29reduce_by_key_config_selectorIddN6thrust23THRUST_200600_302600_NS4plusIdEEEEZZNS1_33reduce_by_key_impl_wrapped_configILNS1_25lookback_scan_determinismE0ES3_S9_NS6_6detail15normal_iteratorINS6_10device_ptrIdEEEESG_SG_SG_PmS8_NS6_8equal_toIdEEEE10hipError_tPvRmT2_T3_mT4_T5_T6_T7_T8_P12ihipStream_tbENKUlT_T0_E_clISt17integral_constantIbLb0EES11_EEDaSW_SX_EUlSW_E_NS1_11comp_targetILNS1_3genE10ELNS1_11target_archE1201ELNS1_3gpuE5ELNS1_3repE0EEENS1_30default_config_static_selectorELNS0_4arch9wavefront6targetE0EEEvT1_,comdat
	.protected	_ZN7rocprim17ROCPRIM_400000_NS6detail17trampoline_kernelINS0_14default_configENS1_29reduce_by_key_config_selectorIddN6thrust23THRUST_200600_302600_NS4plusIdEEEEZZNS1_33reduce_by_key_impl_wrapped_configILNS1_25lookback_scan_determinismE0ES3_S9_NS6_6detail15normal_iteratorINS6_10device_ptrIdEEEESG_SG_SG_PmS8_NS6_8equal_toIdEEEE10hipError_tPvRmT2_T3_mT4_T5_T6_T7_T8_P12ihipStream_tbENKUlT_T0_E_clISt17integral_constantIbLb0EES11_EEDaSW_SX_EUlSW_E_NS1_11comp_targetILNS1_3genE10ELNS1_11target_archE1201ELNS1_3gpuE5ELNS1_3repE0EEENS1_30default_config_static_selectorELNS0_4arch9wavefront6targetE0EEEvT1_ ; -- Begin function _ZN7rocprim17ROCPRIM_400000_NS6detail17trampoline_kernelINS0_14default_configENS1_29reduce_by_key_config_selectorIddN6thrust23THRUST_200600_302600_NS4plusIdEEEEZZNS1_33reduce_by_key_impl_wrapped_configILNS1_25lookback_scan_determinismE0ES3_S9_NS6_6detail15normal_iteratorINS6_10device_ptrIdEEEESG_SG_SG_PmS8_NS6_8equal_toIdEEEE10hipError_tPvRmT2_T3_mT4_T5_T6_T7_T8_P12ihipStream_tbENKUlT_T0_E_clISt17integral_constantIbLb0EES11_EEDaSW_SX_EUlSW_E_NS1_11comp_targetILNS1_3genE10ELNS1_11target_archE1201ELNS1_3gpuE5ELNS1_3repE0EEENS1_30default_config_static_selectorELNS0_4arch9wavefront6targetE0EEEvT1_
	.globl	_ZN7rocprim17ROCPRIM_400000_NS6detail17trampoline_kernelINS0_14default_configENS1_29reduce_by_key_config_selectorIddN6thrust23THRUST_200600_302600_NS4plusIdEEEEZZNS1_33reduce_by_key_impl_wrapped_configILNS1_25lookback_scan_determinismE0ES3_S9_NS6_6detail15normal_iteratorINS6_10device_ptrIdEEEESG_SG_SG_PmS8_NS6_8equal_toIdEEEE10hipError_tPvRmT2_T3_mT4_T5_T6_T7_T8_P12ihipStream_tbENKUlT_T0_E_clISt17integral_constantIbLb0EES11_EEDaSW_SX_EUlSW_E_NS1_11comp_targetILNS1_3genE10ELNS1_11target_archE1201ELNS1_3gpuE5ELNS1_3repE0EEENS1_30default_config_static_selectorELNS0_4arch9wavefront6targetE0EEEvT1_
	.p2align	8
	.type	_ZN7rocprim17ROCPRIM_400000_NS6detail17trampoline_kernelINS0_14default_configENS1_29reduce_by_key_config_selectorIddN6thrust23THRUST_200600_302600_NS4plusIdEEEEZZNS1_33reduce_by_key_impl_wrapped_configILNS1_25lookback_scan_determinismE0ES3_S9_NS6_6detail15normal_iteratorINS6_10device_ptrIdEEEESG_SG_SG_PmS8_NS6_8equal_toIdEEEE10hipError_tPvRmT2_T3_mT4_T5_T6_T7_T8_P12ihipStream_tbENKUlT_T0_E_clISt17integral_constantIbLb0EES11_EEDaSW_SX_EUlSW_E_NS1_11comp_targetILNS1_3genE10ELNS1_11target_archE1201ELNS1_3gpuE5ELNS1_3repE0EEENS1_30default_config_static_selectorELNS0_4arch9wavefront6targetE0EEEvT1_,@function
_ZN7rocprim17ROCPRIM_400000_NS6detail17trampoline_kernelINS0_14default_configENS1_29reduce_by_key_config_selectorIddN6thrust23THRUST_200600_302600_NS4plusIdEEEEZZNS1_33reduce_by_key_impl_wrapped_configILNS1_25lookback_scan_determinismE0ES3_S9_NS6_6detail15normal_iteratorINS6_10device_ptrIdEEEESG_SG_SG_PmS8_NS6_8equal_toIdEEEE10hipError_tPvRmT2_T3_mT4_T5_T6_T7_T8_P12ihipStream_tbENKUlT_T0_E_clISt17integral_constantIbLb0EES11_EEDaSW_SX_EUlSW_E_NS1_11comp_targetILNS1_3genE10ELNS1_11target_archE1201ELNS1_3gpuE5ELNS1_3repE0EEENS1_30default_config_static_selectorELNS0_4arch9wavefront6targetE0EEEvT1_: ; @_ZN7rocprim17ROCPRIM_400000_NS6detail17trampoline_kernelINS0_14default_configENS1_29reduce_by_key_config_selectorIddN6thrust23THRUST_200600_302600_NS4plusIdEEEEZZNS1_33reduce_by_key_impl_wrapped_configILNS1_25lookback_scan_determinismE0ES3_S9_NS6_6detail15normal_iteratorINS6_10device_ptrIdEEEESG_SG_SG_PmS8_NS6_8equal_toIdEEEE10hipError_tPvRmT2_T3_mT4_T5_T6_T7_T8_P12ihipStream_tbENKUlT_T0_E_clISt17integral_constantIbLb0EES11_EEDaSW_SX_EUlSW_E_NS1_11comp_targetILNS1_3genE10ELNS1_11target_archE1201ELNS1_3gpuE5ELNS1_3repE0EEENS1_30default_config_static_selectorELNS0_4arch9wavefront6targetE0EEEvT1_
; %bb.0:
	.section	.rodata,"a",@progbits
	.p2align	6, 0x0
	.amdhsa_kernel _ZN7rocprim17ROCPRIM_400000_NS6detail17trampoline_kernelINS0_14default_configENS1_29reduce_by_key_config_selectorIddN6thrust23THRUST_200600_302600_NS4plusIdEEEEZZNS1_33reduce_by_key_impl_wrapped_configILNS1_25lookback_scan_determinismE0ES3_S9_NS6_6detail15normal_iteratorINS6_10device_ptrIdEEEESG_SG_SG_PmS8_NS6_8equal_toIdEEEE10hipError_tPvRmT2_T3_mT4_T5_T6_T7_T8_P12ihipStream_tbENKUlT_T0_E_clISt17integral_constantIbLb0EES11_EEDaSW_SX_EUlSW_E_NS1_11comp_targetILNS1_3genE10ELNS1_11target_archE1201ELNS1_3gpuE5ELNS1_3repE0EEENS1_30default_config_static_selectorELNS0_4arch9wavefront6targetE0EEEvT1_
		.amdhsa_group_segment_fixed_size 0
		.amdhsa_private_segment_fixed_size 0
		.amdhsa_kernarg_size 136
		.amdhsa_user_sgpr_count 15
		.amdhsa_user_sgpr_dispatch_ptr 0
		.amdhsa_user_sgpr_queue_ptr 0
		.amdhsa_user_sgpr_kernarg_segment_ptr 1
		.amdhsa_user_sgpr_dispatch_id 0
		.amdhsa_user_sgpr_private_segment_size 0
		.amdhsa_wavefront_size32 1
		.amdhsa_uses_dynamic_stack 0
		.amdhsa_enable_private_segment 0
		.amdhsa_system_sgpr_workgroup_id_x 1
		.amdhsa_system_sgpr_workgroup_id_y 0
		.amdhsa_system_sgpr_workgroup_id_z 0
		.amdhsa_system_sgpr_workgroup_info 0
		.amdhsa_system_vgpr_workitem_id 0
		.amdhsa_next_free_vgpr 1
		.amdhsa_next_free_sgpr 1
		.amdhsa_reserve_vcc 0
		.amdhsa_float_round_mode_32 0
		.amdhsa_float_round_mode_16_64 0
		.amdhsa_float_denorm_mode_32 3
		.amdhsa_float_denorm_mode_16_64 3
		.amdhsa_dx10_clamp 1
		.amdhsa_ieee_mode 1
		.amdhsa_fp16_overflow 0
		.amdhsa_workgroup_processor_mode 1
		.amdhsa_memory_ordered 1
		.amdhsa_forward_progress 0
		.amdhsa_shared_vgpr_count 0
		.amdhsa_exception_fp_ieee_invalid_op 0
		.amdhsa_exception_fp_denorm_src 0
		.amdhsa_exception_fp_ieee_div_zero 0
		.amdhsa_exception_fp_ieee_overflow 0
		.amdhsa_exception_fp_ieee_underflow 0
		.amdhsa_exception_fp_ieee_inexact 0
		.amdhsa_exception_int_div_zero 0
	.end_amdhsa_kernel
	.section	.text._ZN7rocprim17ROCPRIM_400000_NS6detail17trampoline_kernelINS0_14default_configENS1_29reduce_by_key_config_selectorIddN6thrust23THRUST_200600_302600_NS4plusIdEEEEZZNS1_33reduce_by_key_impl_wrapped_configILNS1_25lookback_scan_determinismE0ES3_S9_NS6_6detail15normal_iteratorINS6_10device_ptrIdEEEESG_SG_SG_PmS8_NS6_8equal_toIdEEEE10hipError_tPvRmT2_T3_mT4_T5_T6_T7_T8_P12ihipStream_tbENKUlT_T0_E_clISt17integral_constantIbLb0EES11_EEDaSW_SX_EUlSW_E_NS1_11comp_targetILNS1_3genE10ELNS1_11target_archE1201ELNS1_3gpuE5ELNS1_3repE0EEENS1_30default_config_static_selectorELNS0_4arch9wavefront6targetE0EEEvT1_,"axG",@progbits,_ZN7rocprim17ROCPRIM_400000_NS6detail17trampoline_kernelINS0_14default_configENS1_29reduce_by_key_config_selectorIddN6thrust23THRUST_200600_302600_NS4plusIdEEEEZZNS1_33reduce_by_key_impl_wrapped_configILNS1_25lookback_scan_determinismE0ES3_S9_NS6_6detail15normal_iteratorINS6_10device_ptrIdEEEESG_SG_SG_PmS8_NS6_8equal_toIdEEEE10hipError_tPvRmT2_T3_mT4_T5_T6_T7_T8_P12ihipStream_tbENKUlT_T0_E_clISt17integral_constantIbLb0EES11_EEDaSW_SX_EUlSW_E_NS1_11comp_targetILNS1_3genE10ELNS1_11target_archE1201ELNS1_3gpuE5ELNS1_3repE0EEENS1_30default_config_static_selectorELNS0_4arch9wavefront6targetE0EEEvT1_,comdat
.Lfunc_end17:
	.size	_ZN7rocprim17ROCPRIM_400000_NS6detail17trampoline_kernelINS0_14default_configENS1_29reduce_by_key_config_selectorIddN6thrust23THRUST_200600_302600_NS4plusIdEEEEZZNS1_33reduce_by_key_impl_wrapped_configILNS1_25lookback_scan_determinismE0ES3_S9_NS6_6detail15normal_iteratorINS6_10device_ptrIdEEEESG_SG_SG_PmS8_NS6_8equal_toIdEEEE10hipError_tPvRmT2_T3_mT4_T5_T6_T7_T8_P12ihipStream_tbENKUlT_T0_E_clISt17integral_constantIbLb0EES11_EEDaSW_SX_EUlSW_E_NS1_11comp_targetILNS1_3genE10ELNS1_11target_archE1201ELNS1_3gpuE5ELNS1_3repE0EEENS1_30default_config_static_selectorELNS0_4arch9wavefront6targetE0EEEvT1_, .Lfunc_end17-_ZN7rocprim17ROCPRIM_400000_NS6detail17trampoline_kernelINS0_14default_configENS1_29reduce_by_key_config_selectorIddN6thrust23THRUST_200600_302600_NS4plusIdEEEEZZNS1_33reduce_by_key_impl_wrapped_configILNS1_25lookback_scan_determinismE0ES3_S9_NS6_6detail15normal_iteratorINS6_10device_ptrIdEEEESG_SG_SG_PmS8_NS6_8equal_toIdEEEE10hipError_tPvRmT2_T3_mT4_T5_T6_T7_T8_P12ihipStream_tbENKUlT_T0_E_clISt17integral_constantIbLb0EES11_EEDaSW_SX_EUlSW_E_NS1_11comp_targetILNS1_3genE10ELNS1_11target_archE1201ELNS1_3gpuE5ELNS1_3repE0EEENS1_30default_config_static_selectorELNS0_4arch9wavefront6targetE0EEEvT1_
                                        ; -- End function
	.section	.AMDGPU.csdata,"",@progbits
; Kernel info:
; codeLenInByte = 0
; NumSgprs: 0
; NumVgprs: 0
; ScratchSize: 0
; MemoryBound: 0
; FloatMode: 240
; IeeeMode: 1
; LDSByteSize: 0 bytes/workgroup (compile time only)
; SGPRBlocks: 0
; VGPRBlocks: 0
; NumSGPRsForWavesPerEU: 1
; NumVGPRsForWavesPerEU: 1
; Occupancy: 16
; WaveLimiterHint : 0
; COMPUTE_PGM_RSRC2:SCRATCH_EN: 0
; COMPUTE_PGM_RSRC2:USER_SGPR: 15
; COMPUTE_PGM_RSRC2:TRAP_HANDLER: 0
; COMPUTE_PGM_RSRC2:TGID_X_EN: 1
; COMPUTE_PGM_RSRC2:TGID_Y_EN: 0
; COMPUTE_PGM_RSRC2:TGID_Z_EN: 0
; COMPUTE_PGM_RSRC2:TIDIG_COMP_CNT: 0
	.section	.text._ZN7rocprim17ROCPRIM_400000_NS6detail17trampoline_kernelINS0_14default_configENS1_29reduce_by_key_config_selectorIddN6thrust23THRUST_200600_302600_NS4plusIdEEEEZZNS1_33reduce_by_key_impl_wrapped_configILNS1_25lookback_scan_determinismE0ES3_S9_NS6_6detail15normal_iteratorINS6_10device_ptrIdEEEESG_SG_SG_PmS8_NS6_8equal_toIdEEEE10hipError_tPvRmT2_T3_mT4_T5_T6_T7_T8_P12ihipStream_tbENKUlT_T0_E_clISt17integral_constantIbLb0EES11_EEDaSW_SX_EUlSW_E_NS1_11comp_targetILNS1_3genE10ELNS1_11target_archE1200ELNS1_3gpuE4ELNS1_3repE0EEENS1_30default_config_static_selectorELNS0_4arch9wavefront6targetE0EEEvT1_,"axG",@progbits,_ZN7rocprim17ROCPRIM_400000_NS6detail17trampoline_kernelINS0_14default_configENS1_29reduce_by_key_config_selectorIddN6thrust23THRUST_200600_302600_NS4plusIdEEEEZZNS1_33reduce_by_key_impl_wrapped_configILNS1_25lookback_scan_determinismE0ES3_S9_NS6_6detail15normal_iteratorINS6_10device_ptrIdEEEESG_SG_SG_PmS8_NS6_8equal_toIdEEEE10hipError_tPvRmT2_T3_mT4_T5_T6_T7_T8_P12ihipStream_tbENKUlT_T0_E_clISt17integral_constantIbLb0EES11_EEDaSW_SX_EUlSW_E_NS1_11comp_targetILNS1_3genE10ELNS1_11target_archE1200ELNS1_3gpuE4ELNS1_3repE0EEENS1_30default_config_static_selectorELNS0_4arch9wavefront6targetE0EEEvT1_,comdat
	.protected	_ZN7rocprim17ROCPRIM_400000_NS6detail17trampoline_kernelINS0_14default_configENS1_29reduce_by_key_config_selectorIddN6thrust23THRUST_200600_302600_NS4plusIdEEEEZZNS1_33reduce_by_key_impl_wrapped_configILNS1_25lookback_scan_determinismE0ES3_S9_NS6_6detail15normal_iteratorINS6_10device_ptrIdEEEESG_SG_SG_PmS8_NS6_8equal_toIdEEEE10hipError_tPvRmT2_T3_mT4_T5_T6_T7_T8_P12ihipStream_tbENKUlT_T0_E_clISt17integral_constantIbLb0EES11_EEDaSW_SX_EUlSW_E_NS1_11comp_targetILNS1_3genE10ELNS1_11target_archE1200ELNS1_3gpuE4ELNS1_3repE0EEENS1_30default_config_static_selectorELNS0_4arch9wavefront6targetE0EEEvT1_ ; -- Begin function _ZN7rocprim17ROCPRIM_400000_NS6detail17trampoline_kernelINS0_14default_configENS1_29reduce_by_key_config_selectorIddN6thrust23THRUST_200600_302600_NS4plusIdEEEEZZNS1_33reduce_by_key_impl_wrapped_configILNS1_25lookback_scan_determinismE0ES3_S9_NS6_6detail15normal_iteratorINS6_10device_ptrIdEEEESG_SG_SG_PmS8_NS6_8equal_toIdEEEE10hipError_tPvRmT2_T3_mT4_T5_T6_T7_T8_P12ihipStream_tbENKUlT_T0_E_clISt17integral_constantIbLb0EES11_EEDaSW_SX_EUlSW_E_NS1_11comp_targetILNS1_3genE10ELNS1_11target_archE1200ELNS1_3gpuE4ELNS1_3repE0EEENS1_30default_config_static_selectorELNS0_4arch9wavefront6targetE0EEEvT1_
	.globl	_ZN7rocprim17ROCPRIM_400000_NS6detail17trampoline_kernelINS0_14default_configENS1_29reduce_by_key_config_selectorIddN6thrust23THRUST_200600_302600_NS4plusIdEEEEZZNS1_33reduce_by_key_impl_wrapped_configILNS1_25lookback_scan_determinismE0ES3_S9_NS6_6detail15normal_iteratorINS6_10device_ptrIdEEEESG_SG_SG_PmS8_NS6_8equal_toIdEEEE10hipError_tPvRmT2_T3_mT4_T5_T6_T7_T8_P12ihipStream_tbENKUlT_T0_E_clISt17integral_constantIbLb0EES11_EEDaSW_SX_EUlSW_E_NS1_11comp_targetILNS1_3genE10ELNS1_11target_archE1200ELNS1_3gpuE4ELNS1_3repE0EEENS1_30default_config_static_selectorELNS0_4arch9wavefront6targetE0EEEvT1_
	.p2align	8
	.type	_ZN7rocprim17ROCPRIM_400000_NS6detail17trampoline_kernelINS0_14default_configENS1_29reduce_by_key_config_selectorIddN6thrust23THRUST_200600_302600_NS4plusIdEEEEZZNS1_33reduce_by_key_impl_wrapped_configILNS1_25lookback_scan_determinismE0ES3_S9_NS6_6detail15normal_iteratorINS6_10device_ptrIdEEEESG_SG_SG_PmS8_NS6_8equal_toIdEEEE10hipError_tPvRmT2_T3_mT4_T5_T6_T7_T8_P12ihipStream_tbENKUlT_T0_E_clISt17integral_constantIbLb0EES11_EEDaSW_SX_EUlSW_E_NS1_11comp_targetILNS1_3genE10ELNS1_11target_archE1200ELNS1_3gpuE4ELNS1_3repE0EEENS1_30default_config_static_selectorELNS0_4arch9wavefront6targetE0EEEvT1_,@function
_ZN7rocprim17ROCPRIM_400000_NS6detail17trampoline_kernelINS0_14default_configENS1_29reduce_by_key_config_selectorIddN6thrust23THRUST_200600_302600_NS4plusIdEEEEZZNS1_33reduce_by_key_impl_wrapped_configILNS1_25lookback_scan_determinismE0ES3_S9_NS6_6detail15normal_iteratorINS6_10device_ptrIdEEEESG_SG_SG_PmS8_NS6_8equal_toIdEEEE10hipError_tPvRmT2_T3_mT4_T5_T6_T7_T8_P12ihipStream_tbENKUlT_T0_E_clISt17integral_constantIbLb0EES11_EEDaSW_SX_EUlSW_E_NS1_11comp_targetILNS1_3genE10ELNS1_11target_archE1200ELNS1_3gpuE4ELNS1_3repE0EEENS1_30default_config_static_selectorELNS0_4arch9wavefront6targetE0EEEvT1_: ; @_ZN7rocprim17ROCPRIM_400000_NS6detail17trampoline_kernelINS0_14default_configENS1_29reduce_by_key_config_selectorIddN6thrust23THRUST_200600_302600_NS4plusIdEEEEZZNS1_33reduce_by_key_impl_wrapped_configILNS1_25lookback_scan_determinismE0ES3_S9_NS6_6detail15normal_iteratorINS6_10device_ptrIdEEEESG_SG_SG_PmS8_NS6_8equal_toIdEEEE10hipError_tPvRmT2_T3_mT4_T5_T6_T7_T8_P12ihipStream_tbENKUlT_T0_E_clISt17integral_constantIbLb0EES11_EEDaSW_SX_EUlSW_E_NS1_11comp_targetILNS1_3genE10ELNS1_11target_archE1200ELNS1_3gpuE4ELNS1_3repE0EEENS1_30default_config_static_selectorELNS0_4arch9wavefront6targetE0EEEvT1_
; %bb.0:
	.section	.rodata,"a",@progbits
	.p2align	6, 0x0
	.amdhsa_kernel _ZN7rocprim17ROCPRIM_400000_NS6detail17trampoline_kernelINS0_14default_configENS1_29reduce_by_key_config_selectorIddN6thrust23THRUST_200600_302600_NS4plusIdEEEEZZNS1_33reduce_by_key_impl_wrapped_configILNS1_25lookback_scan_determinismE0ES3_S9_NS6_6detail15normal_iteratorINS6_10device_ptrIdEEEESG_SG_SG_PmS8_NS6_8equal_toIdEEEE10hipError_tPvRmT2_T3_mT4_T5_T6_T7_T8_P12ihipStream_tbENKUlT_T0_E_clISt17integral_constantIbLb0EES11_EEDaSW_SX_EUlSW_E_NS1_11comp_targetILNS1_3genE10ELNS1_11target_archE1200ELNS1_3gpuE4ELNS1_3repE0EEENS1_30default_config_static_selectorELNS0_4arch9wavefront6targetE0EEEvT1_
		.amdhsa_group_segment_fixed_size 0
		.amdhsa_private_segment_fixed_size 0
		.amdhsa_kernarg_size 136
		.amdhsa_user_sgpr_count 15
		.amdhsa_user_sgpr_dispatch_ptr 0
		.amdhsa_user_sgpr_queue_ptr 0
		.amdhsa_user_sgpr_kernarg_segment_ptr 1
		.amdhsa_user_sgpr_dispatch_id 0
		.amdhsa_user_sgpr_private_segment_size 0
		.amdhsa_wavefront_size32 1
		.amdhsa_uses_dynamic_stack 0
		.amdhsa_enable_private_segment 0
		.amdhsa_system_sgpr_workgroup_id_x 1
		.amdhsa_system_sgpr_workgroup_id_y 0
		.amdhsa_system_sgpr_workgroup_id_z 0
		.amdhsa_system_sgpr_workgroup_info 0
		.amdhsa_system_vgpr_workitem_id 0
		.amdhsa_next_free_vgpr 1
		.amdhsa_next_free_sgpr 1
		.amdhsa_reserve_vcc 0
		.amdhsa_float_round_mode_32 0
		.amdhsa_float_round_mode_16_64 0
		.amdhsa_float_denorm_mode_32 3
		.amdhsa_float_denorm_mode_16_64 3
		.amdhsa_dx10_clamp 1
		.amdhsa_ieee_mode 1
		.amdhsa_fp16_overflow 0
		.amdhsa_workgroup_processor_mode 1
		.amdhsa_memory_ordered 1
		.amdhsa_forward_progress 0
		.amdhsa_shared_vgpr_count 0
		.amdhsa_exception_fp_ieee_invalid_op 0
		.amdhsa_exception_fp_denorm_src 0
		.amdhsa_exception_fp_ieee_div_zero 0
		.amdhsa_exception_fp_ieee_overflow 0
		.amdhsa_exception_fp_ieee_underflow 0
		.amdhsa_exception_fp_ieee_inexact 0
		.amdhsa_exception_int_div_zero 0
	.end_amdhsa_kernel
	.section	.text._ZN7rocprim17ROCPRIM_400000_NS6detail17trampoline_kernelINS0_14default_configENS1_29reduce_by_key_config_selectorIddN6thrust23THRUST_200600_302600_NS4plusIdEEEEZZNS1_33reduce_by_key_impl_wrapped_configILNS1_25lookback_scan_determinismE0ES3_S9_NS6_6detail15normal_iteratorINS6_10device_ptrIdEEEESG_SG_SG_PmS8_NS6_8equal_toIdEEEE10hipError_tPvRmT2_T3_mT4_T5_T6_T7_T8_P12ihipStream_tbENKUlT_T0_E_clISt17integral_constantIbLb0EES11_EEDaSW_SX_EUlSW_E_NS1_11comp_targetILNS1_3genE10ELNS1_11target_archE1200ELNS1_3gpuE4ELNS1_3repE0EEENS1_30default_config_static_selectorELNS0_4arch9wavefront6targetE0EEEvT1_,"axG",@progbits,_ZN7rocprim17ROCPRIM_400000_NS6detail17trampoline_kernelINS0_14default_configENS1_29reduce_by_key_config_selectorIddN6thrust23THRUST_200600_302600_NS4plusIdEEEEZZNS1_33reduce_by_key_impl_wrapped_configILNS1_25lookback_scan_determinismE0ES3_S9_NS6_6detail15normal_iteratorINS6_10device_ptrIdEEEESG_SG_SG_PmS8_NS6_8equal_toIdEEEE10hipError_tPvRmT2_T3_mT4_T5_T6_T7_T8_P12ihipStream_tbENKUlT_T0_E_clISt17integral_constantIbLb0EES11_EEDaSW_SX_EUlSW_E_NS1_11comp_targetILNS1_3genE10ELNS1_11target_archE1200ELNS1_3gpuE4ELNS1_3repE0EEENS1_30default_config_static_selectorELNS0_4arch9wavefront6targetE0EEEvT1_,comdat
.Lfunc_end18:
	.size	_ZN7rocprim17ROCPRIM_400000_NS6detail17trampoline_kernelINS0_14default_configENS1_29reduce_by_key_config_selectorIddN6thrust23THRUST_200600_302600_NS4plusIdEEEEZZNS1_33reduce_by_key_impl_wrapped_configILNS1_25lookback_scan_determinismE0ES3_S9_NS6_6detail15normal_iteratorINS6_10device_ptrIdEEEESG_SG_SG_PmS8_NS6_8equal_toIdEEEE10hipError_tPvRmT2_T3_mT4_T5_T6_T7_T8_P12ihipStream_tbENKUlT_T0_E_clISt17integral_constantIbLb0EES11_EEDaSW_SX_EUlSW_E_NS1_11comp_targetILNS1_3genE10ELNS1_11target_archE1200ELNS1_3gpuE4ELNS1_3repE0EEENS1_30default_config_static_selectorELNS0_4arch9wavefront6targetE0EEEvT1_, .Lfunc_end18-_ZN7rocprim17ROCPRIM_400000_NS6detail17trampoline_kernelINS0_14default_configENS1_29reduce_by_key_config_selectorIddN6thrust23THRUST_200600_302600_NS4plusIdEEEEZZNS1_33reduce_by_key_impl_wrapped_configILNS1_25lookback_scan_determinismE0ES3_S9_NS6_6detail15normal_iteratorINS6_10device_ptrIdEEEESG_SG_SG_PmS8_NS6_8equal_toIdEEEE10hipError_tPvRmT2_T3_mT4_T5_T6_T7_T8_P12ihipStream_tbENKUlT_T0_E_clISt17integral_constantIbLb0EES11_EEDaSW_SX_EUlSW_E_NS1_11comp_targetILNS1_3genE10ELNS1_11target_archE1200ELNS1_3gpuE4ELNS1_3repE0EEENS1_30default_config_static_selectorELNS0_4arch9wavefront6targetE0EEEvT1_
                                        ; -- End function
	.section	.AMDGPU.csdata,"",@progbits
; Kernel info:
; codeLenInByte = 0
; NumSgprs: 0
; NumVgprs: 0
; ScratchSize: 0
; MemoryBound: 0
; FloatMode: 240
; IeeeMode: 1
; LDSByteSize: 0 bytes/workgroup (compile time only)
; SGPRBlocks: 0
; VGPRBlocks: 0
; NumSGPRsForWavesPerEU: 1
; NumVGPRsForWavesPerEU: 1
; Occupancy: 16
; WaveLimiterHint : 0
; COMPUTE_PGM_RSRC2:SCRATCH_EN: 0
; COMPUTE_PGM_RSRC2:USER_SGPR: 15
; COMPUTE_PGM_RSRC2:TRAP_HANDLER: 0
; COMPUTE_PGM_RSRC2:TGID_X_EN: 1
; COMPUTE_PGM_RSRC2:TGID_Y_EN: 0
; COMPUTE_PGM_RSRC2:TGID_Z_EN: 0
; COMPUTE_PGM_RSRC2:TIDIG_COMP_CNT: 0
	.section	.text._ZN7rocprim17ROCPRIM_400000_NS6detail17trampoline_kernelINS0_14default_configENS1_29reduce_by_key_config_selectorIddN6thrust23THRUST_200600_302600_NS4plusIdEEEEZZNS1_33reduce_by_key_impl_wrapped_configILNS1_25lookback_scan_determinismE0ES3_S9_NS6_6detail15normal_iteratorINS6_10device_ptrIdEEEESG_SG_SG_PmS8_NS6_8equal_toIdEEEE10hipError_tPvRmT2_T3_mT4_T5_T6_T7_T8_P12ihipStream_tbENKUlT_T0_E_clISt17integral_constantIbLb0EES11_EEDaSW_SX_EUlSW_E_NS1_11comp_targetILNS1_3genE9ELNS1_11target_archE1100ELNS1_3gpuE3ELNS1_3repE0EEENS1_30default_config_static_selectorELNS0_4arch9wavefront6targetE0EEEvT1_,"axG",@progbits,_ZN7rocprim17ROCPRIM_400000_NS6detail17trampoline_kernelINS0_14default_configENS1_29reduce_by_key_config_selectorIddN6thrust23THRUST_200600_302600_NS4plusIdEEEEZZNS1_33reduce_by_key_impl_wrapped_configILNS1_25lookback_scan_determinismE0ES3_S9_NS6_6detail15normal_iteratorINS6_10device_ptrIdEEEESG_SG_SG_PmS8_NS6_8equal_toIdEEEE10hipError_tPvRmT2_T3_mT4_T5_T6_T7_T8_P12ihipStream_tbENKUlT_T0_E_clISt17integral_constantIbLb0EES11_EEDaSW_SX_EUlSW_E_NS1_11comp_targetILNS1_3genE9ELNS1_11target_archE1100ELNS1_3gpuE3ELNS1_3repE0EEENS1_30default_config_static_selectorELNS0_4arch9wavefront6targetE0EEEvT1_,comdat
	.protected	_ZN7rocprim17ROCPRIM_400000_NS6detail17trampoline_kernelINS0_14default_configENS1_29reduce_by_key_config_selectorIddN6thrust23THRUST_200600_302600_NS4plusIdEEEEZZNS1_33reduce_by_key_impl_wrapped_configILNS1_25lookback_scan_determinismE0ES3_S9_NS6_6detail15normal_iteratorINS6_10device_ptrIdEEEESG_SG_SG_PmS8_NS6_8equal_toIdEEEE10hipError_tPvRmT2_T3_mT4_T5_T6_T7_T8_P12ihipStream_tbENKUlT_T0_E_clISt17integral_constantIbLb0EES11_EEDaSW_SX_EUlSW_E_NS1_11comp_targetILNS1_3genE9ELNS1_11target_archE1100ELNS1_3gpuE3ELNS1_3repE0EEENS1_30default_config_static_selectorELNS0_4arch9wavefront6targetE0EEEvT1_ ; -- Begin function _ZN7rocprim17ROCPRIM_400000_NS6detail17trampoline_kernelINS0_14default_configENS1_29reduce_by_key_config_selectorIddN6thrust23THRUST_200600_302600_NS4plusIdEEEEZZNS1_33reduce_by_key_impl_wrapped_configILNS1_25lookback_scan_determinismE0ES3_S9_NS6_6detail15normal_iteratorINS6_10device_ptrIdEEEESG_SG_SG_PmS8_NS6_8equal_toIdEEEE10hipError_tPvRmT2_T3_mT4_T5_T6_T7_T8_P12ihipStream_tbENKUlT_T0_E_clISt17integral_constantIbLb0EES11_EEDaSW_SX_EUlSW_E_NS1_11comp_targetILNS1_3genE9ELNS1_11target_archE1100ELNS1_3gpuE3ELNS1_3repE0EEENS1_30default_config_static_selectorELNS0_4arch9wavefront6targetE0EEEvT1_
	.globl	_ZN7rocprim17ROCPRIM_400000_NS6detail17trampoline_kernelINS0_14default_configENS1_29reduce_by_key_config_selectorIddN6thrust23THRUST_200600_302600_NS4plusIdEEEEZZNS1_33reduce_by_key_impl_wrapped_configILNS1_25lookback_scan_determinismE0ES3_S9_NS6_6detail15normal_iteratorINS6_10device_ptrIdEEEESG_SG_SG_PmS8_NS6_8equal_toIdEEEE10hipError_tPvRmT2_T3_mT4_T5_T6_T7_T8_P12ihipStream_tbENKUlT_T0_E_clISt17integral_constantIbLb0EES11_EEDaSW_SX_EUlSW_E_NS1_11comp_targetILNS1_3genE9ELNS1_11target_archE1100ELNS1_3gpuE3ELNS1_3repE0EEENS1_30default_config_static_selectorELNS0_4arch9wavefront6targetE0EEEvT1_
	.p2align	8
	.type	_ZN7rocprim17ROCPRIM_400000_NS6detail17trampoline_kernelINS0_14default_configENS1_29reduce_by_key_config_selectorIddN6thrust23THRUST_200600_302600_NS4plusIdEEEEZZNS1_33reduce_by_key_impl_wrapped_configILNS1_25lookback_scan_determinismE0ES3_S9_NS6_6detail15normal_iteratorINS6_10device_ptrIdEEEESG_SG_SG_PmS8_NS6_8equal_toIdEEEE10hipError_tPvRmT2_T3_mT4_T5_T6_T7_T8_P12ihipStream_tbENKUlT_T0_E_clISt17integral_constantIbLb0EES11_EEDaSW_SX_EUlSW_E_NS1_11comp_targetILNS1_3genE9ELNS1_11target_archE1100ELNS1_3gpuE3ELNS1_3repE0EEENS1_30default_config_static_selectorELNS0_4arch9wavefront6targetE0EEEvT1_,@function
_ZN7rocprim17ROCPRIM_400000_NS6detail17trampoline_kernelINS0_14default_configENS1_29reduce_by_key_config_selectorIddN6thrust23THRUST_200600_302600_NS4plusIdEEEEZZNS1_33reduce_by_key_impl_wrapped_configILNS1_25lookback_scan_determinismE0ES3_S9_NS6_6detail15normal_iteratorINS6_10device_ptrIdEEEESG_SG_SG_PmS8_NS6_8equal_toIdEEEE10hipError_tPvRmT2_T3_mT4_T5_T6_T7_T8_P12ihipStream_tbENKUlT_T0_E_clISt17integral_constantIbLb0EES11_EEDaSW_SX_EUlSW_E_NS1_11comp_targetILNS1_3genE9ELNS1_11target_archE1100ELNS1_3gpuE3ELNS1_3repE0EEENS1_30default_config_static_selectorELNS0_4arch9wavefront6targetE0EEEvT1_: ; @_ZN7rocprim17ROCPRIM_400000_NS6detail17trampoline_kernelINS0_14default_configENS1_29reduce_by_key_config_selectorIddN6thrust23THRUST_200600_302600_NS4plusIdEEEEZZNS1_33reduce_by_key_impl_wrapped_configILNS1_25lookback_scan_determinismE0ES3_S9_NS6_6detail15normal_iteratorINS6_10device_ptrIdEEEESG_SG_SG_PmS8_NS6_8equal_toIdEEEE10hipError_tPvRmT2_T3_mT4_T5_T6_T7_T8_P12ihipStream_tbENKUlT_T0_E_clISt17integral_constantIbLb0EES11_EEDaSW_SX_EUlSW_E_NS1_11comp_targetILNS1_3genE9ELNS1_11target_archE1100ELNS1_3gpuE3ELNS1_3repE0EEENS1_30default_config_static_selectorELNS0_4arch9wavefront6targetE0EEEvT1_
; %bb.0:
	s_clause 0x2
	s_load_b256 s[16:23], s[0:1], 0x0
	s_load_b512 s[36:51], s[0:1], 0x38
	s_load_b128 s[24:27], s[0:1], 0x20
	s_mov_b32 s3, 0
	s_mul_i32 s2, s15, 0xf00
	s_waitcnt lgkmcnt(0)
	s_lshl_b64 s[4:5], s[18:19], 3
	s_mul_i32 s6, s44, s43
	s_add_u32 s10, s16, s4
	s_mul_hi_u32 s7, s44, s42
	s_addc_u32 s11, s17, s5
	s_add_u32 s12, s20, s4
	s_mul_i32 s8, s45, s42
	s_addc_u32 s13, s21, s5
	s_add_i32 s6, s7, s6
	s_lshl_b64 s[4:5], s[2:3], 3
	s_add_i32 s6, s6, s8
	s_add_u32 s19, s10, s4
	s_addc_u32 s18, s11, s5
	s_mul_i32 s9, s44, s42
	s_add_u32 s20, s12, s4
	s_addc_u32 s30, s13, s5
	s_add_u32 s16, s9, s15
	s_addc_u32 s17, s6, 0
	s_add_u32 s4, s46, -1
	s_addc_u32 s5, s47, -1
	s_mul_i32 s33, s4, 0xfffff100
	s_cmp_eq_u64 s[16:17], s[4:5]
	s_cselect_b32 s21, -1, 0
	s_cmp_lg_u64 s[16:17], s[4:5]
	s_cselect_b32 s14, -1, 0
	s_and_b32 vcc_lo, exec_lo, s21
	s_cbranch_vccnz .LBB19_2
; %bb.1:
	v_lshlrev_b32_e32 v62, 3, v0
	s_delay_alu instid0(VALU_DEP_1) | instskip(NEXT) | instid1(VALU_DEP_1)
	v_add_co_u32 v1, s2, s19, v62
	v_add_co_ci_u32_e64 v2, null, s18, 0, s2
	v_add_co_u32 v31, s2, s20, v62
	s_delay_alu instid0(VALU_DEP_3) | instskip(NEXT) | instid1(VALU_DEP_3)
	v_add_co_u32 v3, vcc_lo, 0x1000, v1
	v_add_co_ci_u32_e32 v4, vcc_lo, 0, v2, vcc_lo
	v_add_co_u32 v5, vcc_lo, 0x2000, v1
	v_add_co_ci_u32_e32 v6, vcc_lo, 0, v2, vcc_lo
	;; [unrolled: 2-line block ×6, first 2 shown]
	s_clause 0x7
	flat_load_b64 v[9:10], v[1:2]
	flat_load_b64 v[11:12], v[1:2] offset:2048
	flat_load_b64 v[13:14], v[3:4]
	flat_load_b64 v[3:4], v[3:4] offset:2048
	;; [unrolled: 2-line block ×4, first 2 shown]
	v_add_co_u32 v1, vcc_lo, 0x7000, v1
	v_add_co_ci_u32_e32 v2, vcc_lo, 0, v2, vcc_lo
	s_clause 0x6
	flat_load_b64 v[25:26], v[19:20]
	flat_load_b64 v[19:20], v[19:20] offset:2048
	flat_load_b64 v[27:28], v[21:22]
	flat_load_b64 v[21:22], v[21:22] offset:2048
	;; [unrolled: 2-line block ×3, first 2 shown]
	flat_load_b64 v[1:2], v[1:2]
	v_add_co_ci_u32_e64 v32, null, s30, 0, s2
	v_add_co_u32 v33, vcc_lo, 0x1000, v31
	v_mad_u32_u24 v61, 0x70, v0, v62
	s_delay_alu instid0(VALU_DEP_3)
	v_add_co_ci_u32_e32 v34, vcc_lo, 0, v32, vcc_lo
	v_add_co_u32 v35, vcc_lo, 0x2000, v31
	v_add_co_ci_u32_e32 v36, vcc_lo, 0, v32, vcc_lo
	v_add_co_u32 v37, vcc_lo, 0x3000, v31
	;; [unrolled: 2-line block ×6, first 2 shown]
	v_add_co_ci_u32_e32 v46, vcc_lo, 0, v32, vcc_lo
	s_waitcnt vmcnt(13) lgkmcnt(13)
	ds_store_2addr_stride64_b64 v62, v[9:10], v[11:12] offset1:4
	s_waitcnt vmcnt(11) lgkmcnt(12)
	ds_store_2addr_stride64_b64 v62, v[13:14], v[3:4] offset0:8 offset1:12
	s_waitcnt vmcnt(9) lgkmcnt(11)
	ds_store_2addr_stride64_b64 v62, v[15:16], v[5:6] offset0:16 offset1:20
	;; [unrolled: 2-line block ×6, first 2 shown]
	s_waitcnt vmcnt(0) lgkmcnt(7)
	ds_store_b64 v62, v[1:2] offset:28672
	s_waitcnt lgkmcnt(0)
	s_barrier
	buffer_gl0_inv
	ds_load_2addr_b64 v[25:28], v61 offset1:1
	ds_load_2addr_b64 v[21:24], v61 offset0:2 offset1:3
	ds_load_2addr_b64 v[17:20], v61 offset0:4 offset1:5
	ds_load_2addr_b64 v[13:16], v61 offset0:6 offset1:7
	ds_load_2addr_b64 v[9:12], v61 offset0:8 offset1:9
	ds_load_2addr_b64 v[5:8], v61 offset0:10 offset1:11
	ds_load_2addr_b64 v[1:4], v61 offset0:12 offset1:13
	ds_load_b64 v[57:58], v61 offset:112
	s_waitcnt lgkmcnt(0)
	s_barrier
	buffer_gl0_inv
	s_clause 0xe
	flat_load_b64 v[29:30], v[31:32]
	flat_load_b64 v[31:32], v[31:32] offset:2048
	flat_load_b64 v[47:48], v[33:34]
	flat_load_b64 v[33:34], v[33:34] offset:2048
	;; [unrolled: 2-line block ×7, first 2 shown]
	flat_load_b64 v[45:46], v[45:46]
	s_waitcnt vmcnt(13) lgkmcnt(13)
	ds_store_2addr_stride64_b64 v62, v[29:30], v[31:32] offset1:4
	s_waitcnt vmcnt(11) lgkmcnt(12)
	ds_store_2addr_stride64_b64 v62, v[47:48], v[33:34] offset0:8 offset1:12
	s_waitcnt vmcnt(9) lgkmcnt(11)
	ds_store_2addr_stride64_b64 v62, v[49:50], v[35:36] offset0:16 offset1:20
	;; [unrolled: 2-line block ×6, first 2 shown]
	s_waitcnt vmcnt(0) lgkmcnt(7)
	ds_store_b64 v62, v[45:46] offset:28672
	s_waitcnt lgkmcnt(0)
	s_barrier
	s_load_b64 s[28:29], s[0:1], 0x78
	s_and_not1_b32 vcc_lo, exec_lo, s3
	s_add_i32 s33, s33, s48
	s_cbranch_vccz .LBB19_3
	s_branch .LBB19_50
.LBB19_2:
                                        ; implicit-def: $vgpr61
                                        ; implicit-def: $vgpr25_vgpr26
                                        ; implicit-def: $vgpr21_vgpr22
                                        ; implicit-def: $vgpr17_vgpr18
                                        ; implicit-def: $vgpr13_vgpr14
                                        ; implicit-def: $vgpr9_vgpr10
                                        ; implicit-def: $vgpr5_vgpr6
                                        ; implicit-def: $vgpr1_vgpr2
                                        ; implicit-def: $vgpr57_vgpr58
	s_load_b64 s[28:29], s[0:1], 0x78
	s_add_i32 s33, s33, s48
.LBB19_3:
	s_delay_alu instid0(SALU_CYCLE_1)
	v_cmp_gt_u32_e32 vcc_lo, s33, v0
                                        ; implicit-def: $vgpr1_vgpr2
	s_and_saveexec_b32 s0, vcc_lo
	s_cbranch_execz .LBB19_5
; %bb.4:
	v_lshlrev_b32_e32 v1, 3, v0
	s_delay_alu instid0(VALU_DEP_1) | instskip(NEXT) | instid1(VALU_DEP_1)
	v_add_co_u32 v1, s1, s19, v1
	v_add_co_ci_u32_e64 v2, null, s18, 0, s1
	flat_load_b64 v[1:2], v[1:2]
.LBB19_5:
	s_or_b32 exec_lo, exec_lo, s0
	v_or_b32_e32 v3, 0x100, v0
	s_delay_alu instid0(VALU_DEP_1) | instskip(NEXT) | instid1(VALU_DEP_1)
	v_cmp_gt_u32_e64 s0, s33, v3
                                        ; implicit-def: $vgpr3_vgpr4
	s_and_saveexec_b32 s1, s0
	s_cbranch_execz .LBB19_7
; %bb.6:
	v_lshlrev_b32_e32 v3, 3, v0
	s_delay_alu instid0(VALU_DEP_1) | instskip(NEXT) | instid1(VALU_DEP_1)
	v_add_co_u32 v3, s2, s19, v3
	v_add_co_ci_u32_e64 v4, null, s18, 0, s2
	flat_load_b64 v[3:4], v[3:4] offset:2048
.LBB19_7:
	s_or_b32 exec_lo, exec_lo, s1
	v_or_b32_e32 v5, 0x200, v0
	s_delay_alu instid0(VALU_DEP_1) | instskip(SKIP_1) | instid1(VALU_DEP_2)
	v_cmp_gt_u32_e64 s1, s33, v5
	v_lshlrev_b32_e32 v35, 3, v5
                                        ; implicit-def: $vgpr5_vgpr6
	s_and_saveexec_b32 s2, s1
	s_cbranch_execz .LBB19_9
; %bb.8:
	s_delay_alu instid0(VALU_DEP_1) | instskip(NEXT) | instid1(VALU_DEP_1)
	v_add_co_u32 v5, s3, s19, v35
	v_add_co_ci_u32_e64 v6, null, s18, 0, s3
	flat_load_b64 v[5:6], v[5:6]
.LBB19_9:
	s_or_b32 exec_lo, exec_lo, s2
	v_or_b32_e32 v7, 0x300, v0
	s_delay_alu instid0(VALU_DEP_1) | instskip(SKIP_1) | instid1(VALU_DEP_2)
	v_cmp_gt_u32_e64 s2, s33, v7
	v_lshlrev_b32_e32 v37, 3, v7
                                        ; implicit-def: $vgpr7_vgpr8
	s_and_saveexec_b32 s3, s2
	s_cbranch_execz .LBB19_11
; %bb.10:
	s_delay_alu instid0(VALU_DEP_1) | instskip(NEXT) | instid1(VALU_DEP_1)
	v_add_co_u32 v7, s4, s19, v37
	v_add_co_ci_u32_e64 v8, null, s18, 0, s4
	flat_load_b64 v[7:8], v[7:8]
.LBB19_11:
	s_or_b32 exec_lo, exec_lo, s3
	v_or_b32_e32 v9, 0x400, v0
	s_delay_alu instid0(VALU_DEP_1) | instskip(SKIP_1) | instid1(VALU_DEP_2)
	v_cmp_gt_u32_e64 s3, s33, v9
	v_lshlrev_b32_e32 v39, 3, v9
                                        ; implicit-def: $vgpr9_vgpr10
	s_and_saveexec_b32 s4, s3
	s_cbranch_execz .LBB19_13
; %bb.12:
	s_delay_alu instid0(VALU_DEP_1) | instskip(NEXT) | instid1(VALU_DEP_1)
	v_add_co_u32 v9, s5, s19, v39
	v_add_co_ci_u32_e64 v10, null, s18, 0, s5
	flat_load_b64 v[9:10], v[9:10]
.LBB19_13:
	s_or_b32 exec_lo, exec_lo, s4
	v_or_b32_e32 v11, 0x500, v0
	s_delay_alu instid0(VALU_DEP_1) | instskip(SKIP_1) | instid1(VALU_DEP_2)
	v_cmp_gt_u32_e64 s4, s33, v11
	v_lshlrev_b32_e32 v41, 3, v11
                                        ; implicit-def: $vgpr11_vgpr12
	s_and_saveexec_b32 s5, s4
	s_cbranch_execz .LBB19_15
; %bb.14:
	s_delay_alu instid0(VALU_DEP_1) | instskip(NEXT) | instid1(VALU_DEP_1)
	v_add_co_u32 v11, s6, s19, v41
	v_add_co_ci_u32_e64 v12, null, s18, 0, s6
	flat_load_b64 v[11:12], v[11:12]
.LBB19_15:
	s_or_b32 exec_lo, exec_lo, s5
	v_or_b32_e32 v13, 0x600, v0
	s_delay_alu instid0(VALU_DEP_1) | instskip(SKIP_1) | instid1(VALU_DEP_2)
	v_cmp_gt_u32_e64 s5, s33, v13
	v_lshlrev_b32_e32 v43, 3, v13
                                        ; implicit-def: $vgpr13_vgpr14
	s_and_saveexec_b32 s6, s5
	s_cbranch_execz .LBB19_17
; %bb.16:
	s_delay_alu instid0(VALU_DEP_1) | instskip(NEXT) | instid1(VALU_DEP_1)
	v_add_co_u32 v13, s7, s19, v43
	v_add_co_ci_u32_e64 v14, null, s18, 0, s7
	flat_load_b64 v[13:14], v[13:14]
.LBB19_17:
	s_or_b32 exec_lo, exec_lo, s6
	v_or_b32_e32 v15, 0x700, v0
	s_delay_alu instid0(VALU_DEP_1) | instskip(SKIP_1) | instid1(VALU_DEP_2)
	v_cmp_gt_u32_e64 s6, s33, v15
	v_lshlrev_b32_e32 v45, 3, v15
                                        ; implicit-def: $vgpr15_vgpr16
	s_and_saveexec_b32 s7, s6
	s_cbranch_execz .LBB19_19
; %bb.18:
	s_delay_alu instid0(VALU_DEP_1) | instskip(NEXT) | instid1(VALU_DEP_1)
	v_add_co_u32 v15, s8, s19, v45
	v_add_co_ci_u32_e64 v16, null, s18, 0, s8
	flat_load_b64 v[15:16], v[15:16]
.LBB19_19:
	s_or_b32 exec_lo, exec_lo, s7
	v_or_b32_e32 v17, 0x800, v0
	s_delay_alu instid0(VALU_DEP_1) | instskip(SKIP_1) | instid1(VALU_DEP_2)
	v_cmp_gt_u32_e64 s7, s33, v17
	v_lshlrev_b32_e32 v47, 3, v17
                                        ; implicit-def: $vgpr17_vgpr18
	s_and_saveexec_b32 s8, s7
	s_cbranch_execz .LBB19_21
; %bb.20:
	s_delay_alu instid0(VALU_DEP_1) | instskip(NEXT) | instid1(VALU_DEP_1)
	v_add_co_u32 v17, s9, s19, v47
	v_add_co_ci_u32_e64 v18, null, s18, 0, s9
	flat_load_b64 v[17:18], v[17:18]
.LBB19_21:
	s_or_b32 exec_lo, exec_lo, s8
	v_or_b32_e32 v19, 0x900, v0
	s_delay_alu instid0(VALU_DEP_1) | instskip(SKIP_1) | instid1(VALU_DEP_2)
	v_cmp_gt_u32_e64 s8, s33, v19
	v_lshlrev_b32_e32 v49, 3, v19
                                        ; implicit-def: $vgpr19_vgpr20
	s_and_saveexec_b32 s9, s8
	s_cbranch_execz .LBB19_23
; %bb.22:
	s_delay_alu instid0(VALU_DEP_1) | instskip(NEXT) | instid1(VALU_DEP_1)
	v_add_co_u32 v19, s10, s19, v49
	v_add_co_ci_u32_e64 v20, null, s18, 0, s10
	flat_load_b64 v[19:20], v[19:20]
.LBB19_23:
	s_or_b32 exec_lo, exec_lo, s9
	v_or_b32_e32 v21, 0xa00, v0
	s_delay_alu instid0(VALU_DEP_1) | instskip(SKIP_1) | instid1(VALU_DEP_2)
	v_cmp_gt_u32_e64 s9, s33, v21
	v_lshlrev_b32_e32 v51, 3, v21
                                        ; implicit-def: $vgpr21_vgpr22
	s_and_saveexec_b32 s10, s9
	s_cbranch_execz .LBB19_25
; %bb.24:
	s_delay_alu instid0(VALU_DEP_1) | instskip(NEXT) | instid1(VALU_DEP_1)
	v_add_co_u32 v21, s11, s19, v51
	v_add_co_ci_u32_e64 v22, null, s18, 0, s11
	flat_load_b64 v[21:22], v[21:22]
.LBB19_25:
	s_or_b32 exec_lo, exec_lo, s10
	v_or_b32_e32 v23, 0xb00, v0
	s_delay_alu instid0(VALU_DEP_1) | instskip(SKIP_1) | instid1(VALU_DEP_2)
	v_cmp_gt_u32_e64 s10, s33, v23
	v_lshlrev_b32_e32 v53, 3, v23
                                        ; implicit-def: $vgpr23_vgpr24
	s_and_saveexec_b32 s11, s10
	s_cbranch_execz .LBB19_27
; %bb.26:
	s_delay_alu instid0(VALU_DEP_1) | instskip(NEXT) | instid1(VALU_DEP_1)
	v_add_co_u32 v23, s12, s19, v53
	v_add_co_ci_u32_e64 v24, null, s18, 0, s12
	flat_load_b64 v[23:24], v[23:24]
.LBB19_27:
	s_or_b32 exec_lo, exec_lo, s11
	v_or_b32_e32 v25, 0xc00, v0
	s_delay_alu instid0(VALU_DEP_1) | instskip(SKIP_1) | instid1(VALU_DEP_2)
	v_cmp_gt_u32_e64 s11, s33, v25
	v_lshlrev_b32_e32 v55, 3, v25
                                        ; implicit-def: $vgpr25_vgpr26
	s_and_saveexec_b32 s12, s11
	s_cbranch_execz .LBB19_29
; %bb.28:
	s_delay_alu instid0(VALU_DEP_1) | instskip(NEXT) | instid1(VALU_DEP_1)
	v_add_co_u32 v25, s13, s19, v55
	v_add_co_ci_u32_e64 v26, null, s18, 0, s13
	flat_load_b64 v[25:26], v[25:26]
.LBB19_29:
	s_or_b32 exec_lo, exec_lo, s12
	v_or_b32_e32 v27, 0xd00, v0
	s_delay_alu instid0(VALU_DEP_1) | instskip(SKIP_1) | instid1(VALU_DEP_2)
	v_cmp_gt_u32_e64 s12, s33, v27
	v_lshlrev_b32_e32 v59, 3, v27
                                        ; implicit-def: $vgpr27_vgpr28
	s_and_saveexec_b32 s13, s12
	s_cbranch_execz .LBB19_31
; %bb.30:
	s_delay_alu instid0(VALU_DEP_1) | instskip(NEXT) | instid1(VALU_DEP_1)
	v_add_co_u32 v27, s31, s19, v59
	v_add_co_ci_u32_e64 v28, null, s18, 0, s31
	flat_load_b64 v[27:28], v[27:28]
.LBB19_31:
	s_or_b32 exec_lo, exec_lo, s13
	v_or_b32_e32 v29, 0xe00, v0
	s_delay_alu instid0(VALU_DEP_1) | instskip(SKIP_1) | instid1(VALU_DEP_2)
	v_cmp_gt_u32_e64 s13, s33, v29
	v_lshlrev_b32_e32 v63, 3, v29
                                        ; implicit-def: $vgpr29_vgpr30
	s_and_saveexec_b32 s31, s13
	s_cbranch_execz .LBB19_33
; %bb.32:
	s_delay_alu instid0(VALU_DEP_1) | instskip(NEXT) | instid1(VALU_DEP_1)
	v_add_co_u32 v29, s34, s19, v63
	v_add_co_ci_u32_e64 v30, null, s18, 0, s34
	flat_load_b64 v[29:30], v[29:30]
.LBB19_33:
	s_or_b32 exec_lo, exec_lo, s31
	v_lshlrev_b32_e32 v62, 3, v0
	s_waitcnt vmcnt(0) lgkmcnt(0)
	ds_store_2addr_stride64_b64 v62, v[1:2], v[3:4] offset1:4
	ds_store_2addr_stride64_b64 v62, v[5:6], v[7:8] offset0:8 offset1:12
	ds_store_2addr_stride64_b64 v62, v[9:10], v[11:12] offset0:16 offset1:20
	;; [unrolled: 1-line block ×6, first 2 shown]
	v_mad_u32_u24 v61, 0x70, v0, v62
	ds_store_b64 v62, v[29:30] offset:28672
	s_waitcnt lgkmcnt(0)
	s_barrier
	buffer_gl0_inv
	ds_load_2addr_b64 v[25:28], v61 offset1:1
	ds_load_2addr_b64 v[21:24], v61 offset0:2 offset1:3
	ds_load_2addr_b64 v[17:20], v61 offset0:4 offset1:5
	;; [unrolled: 1-line block ×6, first 2 shown]
	ds_load_b64 v[57:58], v61 offset:112
	s_waitcnt lgkmcnt(0)
	s_barrier
	buffer_gl0_inv
                                        ; implicit-def: $vgpr29_vgpr30
	s_and_saveexec_b32 s31, vcc_lo
	s_cbranch_execnz .LBB19_57
; %bb.34:
	s_or_b32 exec_lo, exec_lo, s31
                                        ; implicit-def: $vgpr31_vgpr32
	s_and_saveexec_b32 s31, s0
	s_cbranch_execnz .LBB19_58
.LBB19_35:
	s_or_b32 exec_lo, exec_lo, s31
                                        ; implicit-def: $vgpr33_vgpr34
	s_and_saveexec_b32 s0, s1
	s_cbranch_execnz .LBB19_59
.LBB19_36:
	s_or_b32 exec_lo, exec_lo, s0
                                        ; implicit-def: $vgpr35_vgpr36
	s_and_saveexec_b32 s0, s2
	s_cbranch_execnz .LBB19_60
.LBB19_37:
	s_or_b32 exec_lo, exec_lo, s0
                                        ; implicit-def: $vgpr37_vgpr38
	s_and_saveexec_b32 s0, s3
	s_cbranch_execnz .LBB19_61
.LBB19_38:
	s_or_b32 exec_lo, exec_lo, s0
                                        ; implicit-def: $vgpr39_vgpr40
	s_and_saveexec_b32 s0, s4
	s_cbranch_execnz .LBB19_62
.LBB19_39:
	s_or_b32 exec_lo, exec_lo, s0
                                        ; implicit-def: $vgpr41_vgpr42
	s_and_saveexec_b32 s0, s5
	s_cbranch_execnz .LBB19_63
.LBB19_40:
	s_or_b32 exec_lo, exec_lo, s0
                                        ; implicit-def: $vgpr43_vgpr44
	s_and_saveexec_b32 s0, s6
	s_cbranch_execnz .LBB19_64
.LBB19_41:
	s_or_b32 exec_lo, exec_lo, s0
                                        ; implicit-def: $vgpr45_vgpr46
	s_and_saveexec_b32 s0, s7
	s_cbranch_execnz .LBB19_65
.LBB19_42:
	s_or_b32 exec_lo, exec_lo, s0
                                        ; implicit-def: $vgpr47_vgpr48
	s_and_saveexec_b32 s0, s8
	s_cbranch_execnz .LBB19_66
.LBB19_43:
	s_or_b32 exec_lo, exec_lo, s0
                                        ; implicit-def: $vgpr49_vgpr50
	s_and_saveexec_b32 s0, s9
	s_cbranch_execnz .LBB19_67
.LBB19_44:
	s_or_b32 exec_lo, exec_lo, s0
                                        ; implicit-def: $vgpr51_vgpr52
	s_and_saveexec_b32 s0, s10
	s_cbranch_execnz .LBB19_68
.LBB19_45:
	s_or_b32 exec_lo, exec_lo, s0
                                        ; implicit-def: $vgpr53_vgpr54
	s_and_saveexec_b32 s0, s11
	s_cbranch_execnz .LBB19_69
.LBB19_46:
	s_or_b32 exec_lo, exec_lo, s0
                                        ; implicit-def: $vgpr55_vgpr56
	s_and_saveexec_b32 s0, s12
	s_cbranch_execnz .LBB19_70
.LBB19_47:
	s_or_b32 exec_lo, exec_lo, s0
                                        ; implicit-def: $vgpr59_vgpr60
	s_and_saveexec_b32 s0, s13
	s_cbranch_execz .LBB19_49
.LBB19_48:
	v_add_co_u32 v59, s1, s20, v63
	s_delay_alu instid0(VALU_DEP_1)
	v_add_co_ci_u32_e64 v60, null, s30, 0, s1
	flat_load_b64 v[59:60], v[59:60]
.LBB19_49:
	s_or_b32 exec_lo, exec_lo, s0
	s_waitcnt vmcnt(0) lgkmcnt(0)
	ds_store_2addr_stride64_b64 v62, v[29:30], v[31:32] offset1:4
	ds_store_2addr_stride64_b64 v62, v[33:34], v[35:36] offset0:8 offset1:12
	ds_store_2addr_stride64_b64 v62, v[37:38], v[39:40] offset0:16 offset1:20
	ds_store_2addr_stride64_b64 v62, v[41:42], v[43:44] offset0:24 offset1:28
	ds_store_2addr_stride64_b64 v62, v[45:46], v[47:48] offset0:32 offset1:36
	ds_store_2addr_stride64_b64 v62, v[49:50], v[51:52] offset0:40 offset1:44
	ds_store_2addr_stride64_b64 v62, v[53:54], v[55:56] offset0:48 offset1:52
	ds_store_b64 v62, v[59:60] offset:28672
	s_waitcnt lgkmcnt(0)
	s_barrier
.LBB19_50:
	s_waitcnt lgkmcnt(0)
	buffer_gl0_inv
	ds_load_2addr_b64 v[53:56], v61 offset1:1
	ds_load_2addr_b64 v[49:52], v61 offset0:2 offset1:3
	ds_load_2addr_b64 v[45:48], v61 offset0:4 offset1:5
	;; [unrolled: 1-line block ×6, first 2 shown]
	ds_load_b64 v[59:60], v61 offset:112
	s_cmp_eq_u64 s[16:17], 0
	s_waitcnt lgkmcnt(0)
	s_cselect_b32 s34, -1, 0
	s_cmp_lg_u64 s[16:17], 0
	s_barrier
	s_cselect_b32 s20, -1, 0
	s_and_b32 vcc_lo, exec_lo, s14
	buffer_gl0_inv
	s_cbranch_vccz .LBB19_56
; %bb.51:
	s_and_b32 vcc_lo, exec_lo, s20
	s_cbranch_vccz .LBB19_71
; %bb.52:
	v_add_co_u32 v61, s0, -8, s19
	s_delay_alu instid0(VALU_DEP_1)
	v_add_co_ci_u32_e64 v62, null, -1, s18, s0
	v_cmp_neq_f64_e32 vcc_lo, v[3:4], v[57:58]
	v_cmp_neq_f64_e64 s0, v[1:2], v[3:4]
	v_cmp_neq_f64_e64 s1, v[7:8], v[1:2]
	flat_load_b64 v[61:62], v[61:62]
	v_cmp_neq_f64_e64 s2, v[5:6], v[7:8]
	v_cmp_neq_f64_e64 s3, v[11:12], v[5:6]
	;; [unrolled: 1-line block ×11, first 2 shown]
	v_lshlrev_b32_e32 v63, 3, v0
	s_mov_b32 s35, -1
	s_mov_b32 s14, 0
	s_mov_b32 s30, exec_lo
	ds_store_b64 v63, v[57:58]
	s_waitcnt vmcnt(0) lgkmcnt(0)
	s_barrier
	buffer_gl0_inv
	v_cmpx_ne_u32_e32 0, v0
	s_cbranch_execz .LBB19_54
; %bb.53:
	v_add_nc_u32_e32 v61, -8, v63
	ds_load_b64 v[61:62], v61
.LBB19_54:
	s_or_b32 exec_lo, exec_lo, s30
	s_waitcnt lgkmcnt(0)
	v_cmp_neq_f64_e64 s13, v[61:62], v[25:26]
	v_cndmask_b32_e64 v106, 0, 1, vcc_lo
	v_cndmask_b32_e64 v99, 0, 1, s0
	v_cndmask_b32_e64 v100, 0, 1, s1
	;; [unrolled: 1-line block ×13, first 2 shown]
	s_and_b32 vcc_lo, exec_lo, s14
	s_cbranch_vccnz .LBB19_72
.LBB19_55:
                                        ; implicit-def: $sgpr1
	s_branch .LBB19_83
.LBB19_56:
	s_mov_b32 s35, 0
                                        ; implicit-def: $sgpr13
                                        ; implicit-def: $vgpr106
                                        ; implicit-def: $vgpr99
                                        ; implicit-def: $vgpr100
                                        ; implicit-def: $vgpr101
                                        ; implicit-def: $vgpr102
                                        ; implicit-def: $vgpr103
                                        ; implicit-def: $vgpr104
                                        ; implicit-def: $vgpr105
                                        ; implicit-def: $vgpr107
                                        ; implicit-def: $vgpr108
                                        ; implicit-def: $vgpr109
                                        ; implicit-def: $vgpr110
                                        ; implicit-def: $vgpr111
                                        ; implicit-def: $vgpr112
                                        ; implicit-def: $sgpr1
	s_cbranch_execnz .LBB19_75
	s_branch .LBB19_83
.LBB19_57:
	v_add_co_u32 v29, s34, s20, v62
	s_delay_alu instid0(VALU_DEP_1)
	v_add_co_ci_u32_e64 v30, null, s30, 0, s34
	flat_load_b64 v[29:30], v[29:30]
	s_or_b32 exec_lo, exec_lo, s31
                                        ; implicit-def: $vgpr31_vgpr32
	s_and_saveexec_b32 s31, s0
	s_cbranch_execz .LBB19_35
.LBB19_58:
	v_add_co_u32 v31, s0, s20, v62
	s_delay_alu instid0(VALU_DEP_1)
	v_add_co_ci_u32_e64 v32, null, s30, 0, s0
	flat_load_b64 v[31:32], v[31:32] offset:2048
	s_or_b32 exec_lo, exec_lo, s31
                                        ; implicit-def: $vgpr33_vgpr34
	s_and_saveexec_b32 s0, s1
	s_cbranch_execz .LBB19_36
.LBB19_59:
	v_add_co_u32 v33, s1, s20, v35
	s_delay_alu instid0(VALU_DEP_1)
	v_add_co_ci_u32_e64 v34, null, s30, 0, s1
	flat_load_b64 v[33:34], v[33:34]
	s_or_b32 exec_lo, exec_lo, s0
                                        ; implicit-def: $vgpr35_vgpr36
	s_and_saveexec_b32 s0, s2
	s_cbranch_execz .LBB19_37
.LBB19_60:
	v_add_co_u32 v35, s1, s20, v37
	s_delay_alu instid0(VALU_DEP_1)
	v_add_co_ci_u32_e64 v36, null, s30, 0, s1
	flat_load_b64 v[35:36], v[35:36]
	s_or_b32 exec_lo, exec_lo, s0
                                        ; implicit-def: $vgpr37_vgpr38
	s_and_saveexec_b32 s0, s3
	s_cbranch_execz .LBB19_38
.LBB19_61:
	v_add_co_u32 v37, s1, s20, v39
	s_delay_alu instid0(VALU_DEP_1)
	v_add_co_ci_u32_e64 v38, null, s30, 0, s1
	flat_load_b64 v[37:38], v[37:38]
	s_or_b32 exec_lo, exec_lo, s0
                                        ; implicit-def: $vgpr39_vgpr40
	s_and_saveexec_b32 s0, s4
	s_cbranch_execz .LBB19_39
.LBB19_62:
	v_add_co_u32 v39, s1, s20, v41
	s_delay_alu instid0(VALU_DEP_1)
	v_add_co_ci_u32_e64 v40, null, s30, 0, s1
	flat_load_b64 v[39:40], v[39:40]
	s_or_b32 exec_lo, exec_lo, s0
                                        ; implicit-def: $vgpr41_vgpr42
	s_and_saveexec_b32 s0, s5
	s_cbranch_execz .LBB19_40
.LBB19_63:
	v_add_co_u32 v41, s1, s20, v43
	s_delay_alu instid0(VALU_DEP_1)
	v_add_co_ci_u32_e64 v42, null, s30, 0, s1
	flat_load_b64 v[41:42], v[41:42]
	s_or_b32 exec_lo, exec_lo, s0
                                        ; implicit-def: $vgpr43_vgpr44
	s_and_saveexec_b32 s0, s6
	s_cbranch_execz .LBB19_41
.LBB19_64:
	v_add_co_u32 v43, s1, s20, v45
	s_delay_alu instid0(VALU_DEP_1)
	v_add_co_ci_u32_e64 v44, null, s30, 0, s1
	flat_load_b64 v[43:44], v[43:44]
	s_or_b32 exec_lo, exec_lo, s0
                                        ; implicit-def: $vgpr45_vgpr46
	s_and_saveexec_b32 s0, s7
	s_cbranch_execz .LBB19_42
.LBB19_65:
	v_add_co_u32 v45, s1, s20, v47
	s_delay_alu instid0(VALU_DEP_1)
	v_add_co_ci_u32_e64 v46, null, s30, 0, s1
	flat_load_b64 v[45:46], v[45:46]
	s_or_b32 exec_lo, exec_lo, s0
                                        ; implicit-def: $vgpr47_vgpr48
	s_and_saveexec_b32 s0, s8
	s_cbranch_execz .LBB19_43
.LBB19_66:
	v_add_co_u32 v47, s1, s20, v49
	s_delay_alu instid0(VALU_DEP_1)
	v_add_co_ci_u32_e64 v48, null, s30, 0, s1
	flat_load_b64 v[47:48], v[47:48]
	s_or_b32 exec_lo, exec_lo, s0
                                        ; implicit-def: $vgpr49_vgpr50
	s_and_saveexec_b32 s0, s9
	s_cbranch_execz .LBB19_44
.LBB19_67:
	v_add_co_u32 v49, s1, s20, v51
	s_delay_alu instid0(VALU_DEP_1)
	v_add_co_ci_u32_e64 v50, null, s30, 0, s1
	flat_load_b64 v[49:50], v[49:50]
	s_or_b32 exec_lo, exec_lo, s0
                                        ; implicit-def: $vgpr51_vgpr52
	s_and_saveexec_b32 s0, s10
	s_cbranch_execz .LBB19_45
.LBB19_68:
	v_add_co_u32 v51, s1, s20, v53
	s_delay_alu instid0(VALU_DEP_1)
	v_add_co_ci_u32_e64 v52, null, s30, 0, s1
	flat_load_b64 v[51:52], v[51:52]
	s_or_b32 exec_lo, exec_lo, s0
                                        ; implicit-def: $vgpr53_vgpr54
	s_and_saveexec_b32 s0, s11
	s_cbranch_execz .LBB19_46
.LBB19_69:
	v_add_co_u32 v53, s1, s20, v55
	s_delay_alu instid0(VALU_DEP_1)
	v_add_co_ci_u32_e64 v54, null, s30, 0, s1
	flat_load_b64 v[53:54], v[53:54]
	s_or_b32 exec_lo, exec_lo, s0
                                        ; implicit-def: $vgpr55_vgpr56
	s_and_saveexec_b32 s0, s12
	s_cbranch_execz .LBB19_47
.LBB19_70:
	v_add_co_u32 v55, s1, s20, v59
	s_delay_alu instid0(VALU_DEP_1)
	v_add_co_ci_u32_e64 v56, null, s30, 0, s1
	flat_load_b64 v[55:56], v[55:56]
	s_or_b32 exec_lo, exec_lo, s0
                                        ; implicit-def: $vgpr59_vgpr60
	s_and_saveexec_b32 s0, s13
	s_cbranch_execnz .LBB19_48
	s_branch .LBB19_49
.LBB19_71:
	s_mov_b32 s35, 0
                                        ; implicit-def: $sgpr13
                                        ; implicit-def: $vgpr106
                                        ; implicit-def: $vgpr99
                                        ; implicit-def: $vgpr100
                                        ; implicit-def: $vgpr101
                                        ; implicit-def: $vgpr102
                                        ; implicit-def: $vgpr103
                                        ; implicit-def: $vgpr104
                                        ; implicit-def: $vgpr105
                                        ; implicit-def: $vgpr107
                                        ; implicit-def: $vgpr108
                                        ; implicit-def: $vgpr109
                                        ; implicit-def: $vgpr110
                                        ; implicit-def: $vgpr111
                                        ; implicit-def: $vgpr112
	s_cbranch_execz .LBB19_55
.LBB19_72:
	v_cmp_neq_f64_e32 vcc_lo, v[3:4], v[57:58]
	v_lshlrev_b32_e32 v61, 3, v0
	s_mov_b32 s0, exec_lo
                                        ; implicit-def: $sgpr13
	ds_store_b64 v61, v[57:58]
	s_waitcnt lgkmcnt(0)
	s_barrier
	buffer_gl0_inv
	v_cndmask_b32_e64 v106, 0, 1, vcc_lo
	v_cmp_neq_f64_e32 vcc_lo, v[1:2], v[3:4]
	v_cndmask_b32_e64 v99, 0, 1, vcc_lo
	v_cmp_neq_f64_e32 vcc_lo, v[7:8], v[1:2]
	;; [unrolled: 2-line block ×13, first 2 shown]
	v_cndmask_b32_e64 v112, 0, 1, vcc_lo
	v_cmpx_ne_u32_e32 0, v0
	s_xor_b32 s0, exec_lo, s0
	s_cbranch_execz .LBB19_74
; %bb.73:
	v_add_nc_u32_e32 v61, -8, v61
	s_or_b32 s35, s35, exec_lo
	ds_load_b64 v[61:62], v61
	s_waitcnt lgkmcnt(0)
	v_cmp_neq_f64_e32 vcc_lo, v[61:62], v[25:26]
	s_and_b32 s13, vcc_lo, exec_lo
.LBB19_74:
	s_or_b32 exec_lo, exec_lo, s0
	s_mov_b32 s1, 1
	s_branch .LBB19_83
.LBB19_75:
	v_cmp_neq_f64_e64 s13, v[3:4], v[57:58]
	v_cmp_neq_f64_e64 s14, v[1:2], v[3:4]
	v_cmp_neq_f64_e64 s12, v[7:8], v[1:2]
	v_cmp_neq_f64_e64 s11, v[5:6], v[7:8]
	v_cmp_neq_f64_e64 s7, v[11:12], v[5:6]
	v_cmp_neq_f64_e64 s8, v[9:10], v[11:12]
	v_cmp_neq_f64_e64 s9, v[15:16], v[9:10]
	v_cmp_neq_f64_e64 s10, v[13:14], v[15:16]
	v_cmp_neq_f64_e64 s0, v[19:20], v[13:14]
	v_cmp_neq_f64_e64 s1, v[17:18], v[19:20]
	v_cmp_neq_f64_e64 s2, v[23:24], v[17:18]
	v_cmp_neq_f64_e64 s3, v[21:22], v[23:24]
	v_cmp_neq_f64_e64 s4, v[27:28], v[21:22]
	v_cmp_neq_f64_e64 s5, v[25:26], v[27:28]
	s_mul_hi_u32 s6, s16, 0xfffff100
	s_mulk_i32 s17, 0xf100
	s_sub_i32 s6, s6, s16
	s_mulk_i32 s16, 0xf100
	s_add_i32 s6, s6, s17
	s_add_u32 s30, s16, s48
	s_addc_u32 s31, s6, s49
	v_mad_u32_u24 v61, v0, 15, 14
	v_mad_u32_u24 v87, v0, 15, 13
	;; [unrolled: 1-line block ×14, first 2 shown]
	v_cmp_ne_u32_e64 s6, 0, v0
	s_and_b32 vcc_lo, exec_lo, s20
	s_cbranch_vccz .LBB19_80
; %bb.76:
	v_add_co_u32 v88, s16, -8, s19
	s_delay_alu instid0(VALU_DEP_1)
	v_add_co_ci_u32_e64 v89, null, -1, s18, s16
	v_dual_mov_b32 v62, 0 :: v_dual_lshlrev_b32 v91, 3, v0
	s_mov_b32 s35, -1
	flat_load_b64 v[89:90], v[88:89]
	s_mov_b32 s17, 0
	v_cmp_gt_u64_e32 vcc_lo, s[30:31], v[61:62]
	v_mov_b32_e32 v88, v62
	v_mov_b32_e32 v86, v62
	v_mov_b32_e32 v84, v62
	v_mov_b32_e32 v82, v62
	v_mov_b32_e32 v80, v62
	v_cmp_gt_u64_e64 s16, s[30:31], v[87:88]
	s_and_b32 s18, vcc_lo, s13
	v_cmp_gt_u64_e32 vcc_lo, s[30:31], v[85:86]
	v_mov_b32_e32 v78, v62
	v_mov_b32_e32 v76, v62
	v_cmp_gt_u64_e64 s13, s[30:31], v[83:84]
	s_and_b32 s19, s16, s14
	v_mov_b32_e32 v74, v62
	s_and_b32 s20, vcc_lo, s12
	v_cmp_gt_u64_e32 vcc_lo, s[30:31], v[81:82]
	v_cmp_gt_u64_e64 s12, s[30:31], v[79:80]
	v_cmp_gt_u64_e64 s14, s[30:31], v[77:78]
	;; [unrolled: 1-line block ×3, first 2 shown]
	v_mov_b32_e32 v72, v62
	v_mov_b32_e32 v70, v62
	;; [unrolled: 1-line block ×5, first 2 shown]
	s_and_b32 s13, s13, s11
	s_and_b32 s44, vcc_lo, s7
	s_and_b32 s45, s12, s8
	s_and_b32 s14, s14, s9
	;; [unrolled: 1-line block ×3, first 2 shown]
	v_cmp_gt_u64_e32 vcc_lo, s[30:31], v[73:74]
	v_cmp_gt_u64_e64 s7, s[30:31], v[71:72]
	v_cmp_gt_u64_e64 s8, s[30:31], v[69:70]
	;; [unrolled: 1-line block ×5, first 2 shown]
	v_mul_u32_u24_e32 v88, 15, v0
	s_and_b32 s0, vcc_lo, s0
	s_and_b32 s7, s7, s1
	s_and_b32 s8, s8, s2
	s_and_b32 s1, s9, s3
	s_and_b32 s2, s10, s4
	s_and_b32 s3, s11, s5
	ds_store_b64 v91, v[57:58]
	s_waitcnt vmcnt(0) lgkmcnt(0)
	s_barrier
	buffer_gl0_inv
	s_and_saveexec_b32 s4, s6
	s_cbranch_execz .LBB19_78
; %bb.77:
	v_add_nc_u32_e32 v64, -8, v91
	ds_load_b64 v[89:90], v64
.LBB19_78:
	s_or_b32 exec_lo, exec_lo, s4
	s_waitcnt lgkmcnt(0)
	v_cmp_neq_f64_e32 vcc_lo, v[89:90], v[25:26]
	v_mov_b32_e32 v89, v62
	v_cndmask_b32_e64 v107, 0, 1, s0
	v_cndmask_b32_e64 v106, 0, 1, s18
	;; [unrolled: 1-line block ×4, first 2 shown]
	v_cmp_gt_u64_e64 s0, s[30:31], v[88:89]
	v_cndmask_b32_e64 v101, 0, 1, s13
	v_cndmask_b32_e64 v102, 0, 1, s44
	;; [unrolled: 1-line block ×10, first 2 shown]
	s_and_b32 s13, s0, vcc_lo
	s_and_b32 vcc_lo, exec_lo, s17
	s_cbranch_vccnz .LBB19_81
.LBB19_79:
                                        ; implicit-def: $sgpr1
	v_mov_b32_e32 v113, s1
	s_and_saveexec_b32 s0, s35
	s_cbranch_execnz .LBB19_84
	s_branch .LBB19_85
.LBB19_80:
                                        ; implicit-def: $sgpr13
                                        ; implicit-def: $vgpr106
                                        ; implicit-def: $vgpr99
                                        ; implicit-def: $vgpr100
                                        ; implicit-def: $vgpr101
                                        ; implicit-def: $vgpr102
                                        ; implicit-def: $vgpr103
                                        ; implicit-def: $vgpr104
                                        ; implicit-def: $vgpr105
                                        ; implicit-def: $vgpr107
                                        ; implicit-def: $vgpr108
                                        ; implicit-def: $vgpr109
                                        ; implicit-def: $vgpr110
                                        ; implicit-def: $vgpr111
                                        ; implicit-def: $vgpr112
	s_cbranch_execz .LBB19_79
.LBB19_81:
	v_cmp_neq_f64_e64 s0, v[1:2], v[3:4]
	v_cmp_neq_f64_e64 s1, v[7:8], v[1:2]
	v_cmp_neq_f64_e64 s2, v[5:6], v[7:8]
	v_cmp_neq_f64_e64 s3, v[11:12], v[5:6]
	v_cmp_neq_f64_e64 s4, v[9:10], v[11:12]
	v_cmp_neq_f64_e64 s5, v[15:16], v[9:10]
	v_cmp_neq_f64_e32 vcc_lo, v[3:4], v[57:58]
	v_cmp_neq_f64_e64 s6, v[13:14], v[15:16]
	v_cmp_neq_f64_e64 s7, v[19:20], v[13:14]
	v_dual_mov_b32 v62, 0 :: v_dual_lshlrev_b32 v89, 3, v0
	v_cmp_neq_f64_e64 s8, v[17:18], v[19:20]
	v_cmp_neq_f64_e64 s9, v[23:24], v[17:18]
	v_cmp_neq_f64_e64 s10, v[21:22], v[23:24]
	v_cmp_neq_f64_e64 s11, v[27:28], v[21:22]
	v_mov_b32_e32 v88, v62
	v_mov_b32_e32 v86, v62
	;; [unrolled: 1-line block ×3, first 2 shown]
	v_cmp_neq_f64_e64 s12, v[25:26], v[27:28]
	v_mov_b32_e32 v82, v62
	v_cmp_gt_u64_e64 s14, s[30:31], v[87:88]
	v_cmp_gt_u64_e64 s16, s[30:31], v[85:86]
	v_mov_b32_e32 v80, v62
	v_cmp_gt_u64_e64 s17, s[30:31], v[83:84]
	v_mov_b32_e32 v78, v62
	v_cmp_gt_u64_e64 s18, s[30:31], v[81:82]
	v_cmp_gt_u64_e64 s13, s[30:31], v[61:62]
	;; [unrolled: 1-line block ×3, first 2 shown]
	v_mov_b32_e32 v76, v62
	v_cmp_gt_u64_e64 s20, s[30:31], v[77:78]
	v_mov_b32_e32 v74, v62
	v_mov_b32_e32 v72, v62
	v_mov_b32_e32 v70, v62
	v_mov_b32_e32 v68, v62
	v_mov_b32_e32 v66, v62
	v_mov_b32_e32 v64, v62
	ds_store_b64 v89, v[57:58]
	s_waitcnt lgkmcnt(0)
	s_and_b32 s0, s14, s0
	s_barrier
	v_cndmask_b32_e64 v99, 0, 1, s0
	s_and_b32 s0, s16, s1
	buffer_gl0_inv
	v_cndmask_b32_e64 v100, 0, 1, s0
	s_and_b32 s0, s17, s2
	s_and_b32 s13, s13, vcc_lo
	v_cndmask_b32_e64 v101, 0, 1, s0
	s_and_b32 s0, s18, s3
	v_cmp_gt_u64_e32 vcc_lo, s[30:31], v[75:76]
	v_cndmask_b32_e64 v102, 0, 1, s0
	s_and_b32 s0, s19, s4
	v_cndmask_b32_e64 v106, 0, 1, s13
	v_cndmask_b32_e64 v103, 0, 1, s0
	s_and_b32 s0, s20, s5
	s_and_b32 s1, vcc_lo, s6
	v_cndmask_b32_e64 v104, 0, 1, s0
	v_cmp_gt_u64_e64 s0, s[30:31], v[73:74]
	v_cmp_gt_u64_e32 vcc_lo, s[30:31], v[71:72]
	v_cndmask_b32_e64 v105, 0, 1, s1
	v_cmp_gt_u64_e64 s1, s[30:31], v[67:68]
                                        ; implicit-def: $sgpr13
	s_delay_alu instid0(VALU_DEP_4)
	s_and_b32 s0, s0, s7
	s_and_b32 s2, vcc_lo, s8
	v_cndmask_b32_e64 v107, 0, 1, s0
	v_cmp_gt_u64_e64 s0, s[30:31], v[69:70]
	v_cmp_gt_u64_e32 vcc_lo, s[30:31], v[65:66]
	v_cndmask_b32_e64 v108, 0, 1, s2
	v_cmp_gt_u64_e64 s2, s[30:31], v[63:64]
	s_delay_alu instid0(VALU_DEP_4) | instskip(NEXT) | instid1(SALU_CYCLE_1)
	s_and_b32 s0, s0, s9
	v_cndmask_b32_e64 v109, 0, 1, s0
	s_and_b32 s0, s1, s10
	s_mov_b32 s1, 1
	v_cndmask_b32_e64 v110, 0, 1, s0
	s_and_b32 s0, vcc_lo, s11
	s_delay_alu instid0(SALU_CYCLE_1)
	v_cndmask_b32_e64 v111, 0, 1, s0
	s_and_b32 s0, s2, s12
	s_mov_b32 s2, exec_lo
	v_cndmask_b32_e64 v112, 0, 1, s0
	v_cmpx_ne_u32_e32 0, v0
	s_cbranch_execz .LBB19_216
; %bb.82:
	v_add_nc_u32_e32 v61, -8, v89
	s_or_b32 s35, s35, exec_lo
	ds_load_b64 v[63:64], v61
	v_mul_u32_u24_e32 v61, 15, v0
	s_delay_alu instid0(VALU_DEP_1) | instskip(SKIP_2) | instid1(VALU_DEP_2)
	v_cmp_gt_u64_e64 s0, s[30:31], v[61:62]
	s_waitcnt lgkmcnt(0)
	v_cmp_neq_f64_e32 vcc_lo, v[63:64], v[25:26]
	s_and_b32 s0, s0, vcc_lo
	s_delay_alu instid0(SALU_CYCLE_1)
	s_and_b32 s13, s0, exec_lo
	s_or_b32 exec_lo, exec_lo, s2
.LBB19_83:
	v_mov_b32_e32 v113, s1
	s_and_saveexec_b32 s0, s35
.LBB19_84:
	v_cndmask_b32_e64 v113, 0, 1, s13
.LBB19_85:
	s_or_b32 exec_lo, exec_lo, s0
	v_add_f64 v[97:98], v[53:54], v[55:56]
	s_delay_alu instid0(VALU_DEP_2)
	v_add3_u32 v61, v112, v113, v111
	v_cmp_eq_u32_e64 s12, 0, v112
	v_cmp_eq_u32_e64 s11, 0, v111
	;; [unrolled: 1-line block ×4, first 2 shown]
	v_add3_u32 v116, v61, v110, v109
	v_cmp_eq_u32_e64 s8, 0, v108
	v_cmp_eq_u32_e64 s7, 0, v107
	;; [unrolled: 1-line block ×9, first 2 shown]
	v_cmp_eq_u32_e32 vcc_lo, 0, v106
	v_mbcnt_lo_u32_b32 v115, -1, 0
	s_cmp_eq_u64 s[42:43], 0
	s_cselect_b32 s14, -1, 0
	s_cmp_lg_u32 s15, 0
	s_cbranch_scc0 .LBB19_148
; %bb.86:
	v_cndmask_b32_e64 v62, v56, v98, s12
	v_cndmask_b32_e64 v61, v55, v97, s12
	v_add3_u32 v63, v116, v108, v107
	v_and_b32_e32 v65, 15, v115
	s_mov_b32 s13, exec_lo
	s_delay_alu instid0(VALU_DEP_3) | instskip(NEXT) | instid1(VALU_DEP_3)
	v_add_f64 v[61:62], v[49:50], v[61:62]
	v_add3_u32 v63, v63, v105, v104
	s_delay_alu instid0(VALU_DEP_1) | instskip(NEXT) | instid1(VALU_DEP_1)
	v_add3_u32 v63, v63, v103, v102
	v_add3_u32 v63, v63, v101, v100
	s_delay_alu instid0(VALU_DEP_1) | instskip(NEXT) | instid1(VALU_DEP_1)
	v_add3_u32 v67, v63, v99, v106
	v_mov_b32_dpp v66, v67 row_shr:1 row_mask:0xf bank_mask:0xf
	v_cndmask_b32_e64 v62, v50, v62, s11
	v_cndmask_b32_e64 v61, v49, v61, s11
	s_delay_alu instid0(VALU_DEP_1) | instskip(NEXT) | instid1(VALU_DEP_1)
	v_add_f64 v[61:62], v[51:52], v[61:62]
	v_cndmask_b32_e64 v62, v52, v62, s10
	s_delay_alu instid0(VALU_DEP_2) | instskip(NEXT) | instid1(VALU_DEP_1)
	v_cndmask_b32_e64 v61, v51, v61, s10
	v_add_f64 v[61:62], v[45:46], v[61:62]
	s_delay_alu instid0(VALU_DEP_1) | instskip(NEXT) | instid1(VALU_DEP_2)
	v_cndmask_b32_e64 v62, v46, v62, s9
	v_cndmask_b32_e64 v61, v45, v61, s9
	s_delay_alu instid0(VALU_DEP_1) | instskip(NEXT) | instid1(VALU_DEP_1)
	v_add_f64 v[61:62], v[47:48], v[61:62]
	v_cndmask_b32_e64 v62, v48, v62, s8
	s_delay_alu instid0(VALU_DEP_2) | instskip(NEXT) | instid1(VALU_DEP_1)
	v_cndmask_b32_e64 v61, v47, v61, s8
	v_add_f64 v[61:62], v[41:42], v[61:62]
	s_delay_alu instid0(VALU_DEP_1) | instskip(NEXT) | instid1(VALU_DEP_2)
	;; [unrolled: 9-line block ×5, first 2 shown]
	v_cndmask_b32_e64 v62, v30, v62, s1
	v_cndmask_b32_e64 v61, v29, v61, s1
	s_delay_alu instid0(VALU_DEP_1) | instskip(NEXT) | instid1(VALU_DEP_1)
	v_add_f64 v[61:62], v[31:32], v[61:62]
	v_cndmask_b32_e64 v62, v32, v62, s0
	s_delay_alu instid0(VALU_DEP_2) | instskip(NEXT) | instid1(VALU_DEP_1)
	v_cndmask_b32_e64 v61, v31, v61, s0
	v_add_f64 v[61:62], v[59:60], v[61:62]
	s_delay_alu instid0(VALU_DEP_1) | instskip(NEXT) | instid1(VALU_DEP_1)
	v_dual_cndmask_b32 v63, v59, v61 :: v_dual_cndmask_b32 v64, v60, v62
	v_mov_b32_dpp v61, v63 row_shr:1 row_mask:0xf bank_mask:0xf
	s_delay_alu instid0(VALU_DEP_2)
	v_mov_b32_dpp v62, v64 row_shr:1 row_mask:0xf bank_mask:0xf
	v_cmpx_ne_u32_e32 0, v65
; %bb.87:
	s_delay_alu instid0(VALU_DEP_2) | instskip(SKIP_1) | instid1(VALU_DEP_2)
	v_add_f64 v[61:62], v[63:64], v[61:62]
	v_cmp_eq_u32_e32 vcc_lo, 0, v67
	v_dual_cndmask_b32 v64, v64, v62 :: v_dual_add_nc_u32 v67, v66, v67
	s_delay_alu instid0(VALU_DEP_3)
	v_cndmask_b32_e32 v63, v63, v61, vcc_lo
; %bb.88:
	s_or_b32 exec_lo, exec_lo, s13
	s_delay_alu instid0(VALU_DEP_2) | instskip(NEXT) | instid1(VALU_DEP_2)
	v_mov_b32_dpp v66, v67 row_shr:2 row_mask:0xf bank_mask:0xf
	v_mov_b32_dpp v61, v63 row_shr:2 row_mask:0xf bank_mask:0xf
	v_mov_b32_dpp v62, v64 row_shr:2 row_mask:0xf bank_mask:0xf
	s_mov_b32 s13, exec_lo
	v_cmpx_lt_u32_e32 1, v65
; %bb.89:
	s_delay_alu instid0(VALU_DEP_2) | instskip(SKIP_1) | instid1(VALU_DEP_2)
	v_add_f64 v[61:62], v[63:64], v[61:62]
	v_cmp_eq_u32_e32 vcc_lo, 0, v67
	v_dual_cndmask_b32 v64, v64, v62 :: v_dual_add_nc_u32 v67, v66, v67
	s_delay_alu instid0(VALU_DEP_3)
	v_cndmask_b32_e32 v63, v63, v61, vcc_lo
; %bb.90:
	s_or_b32 exec_lo, exec_lo, s13
	s_delay_alu instid0(VALU_DEP_2) | instskip(NEXT) | instid1(VALU_DEP_2)
	v_mov_b32_dpp v66, v67 row_shr:4 row_mask:0xf bank_mask:0xf
	v_mov_b32_dpp v61, v63 row_shr:4 row_mask:0xf bank_mask:0xf
	v_mov_b32_dpp v62, v64 row_shr:4 row_mask:0xf bank_mask:0xf
	s_mov_b32 s13, exec_lo
	v_cmpx_lt_u32_e32 3, v65
; %bb.91:
	s_delay_alu instid0(VALU_DEP_2) | instskip(SKIP_1) | instid1(VALU_DEP_2)
	v_add_f64 v[61:62], v[63:64], v[61:62]
	v_cmp_eq_u32_e32 vcc_lo, 0, v67
	v_dual_cndmask_b32 v64, v64, v62 :: v_dual_add_nc_u32 v67, v66, v67
	s_delay_alu instid0(VALU_DEP_3)
	v_cndmask_b32_e32 v63, v63, v61, vcc_lo
; %bb.92:
	s_or_b32 exec_lo, exec_lo, s13
	s_delay_alu instid0(VALU_DEP_2) | instskip(NEXT) | instid1(VALU_DEP_2)
	v_mov_b32_dpp v66, v67 row_shr:8 row_mask:0xf bank_mask:0xf
	v_mov_b32_dpp v61, v63 row_shr:8 row_mask:0xf bank_mask:0xf
	v_mov_b32_dpp v62, v64 row_shr:8 row_mask:0xf bank_mask:0xf
	s_mov_b32 s13, exec_lo
	v_cmpx_lt_u32_e32 7, v65
; %bb.93:
	s_delay_alu instid0(VALU_DEP_2) | instskip(SKIP_1) | instid1(VALU_DEP_2)
	v_add_f64 v[61:62], v[63:64], v[61:62]
	v_cmp_eq_u32_e32 vcc_lo, 0, v67
	v_dual_cndmask_b32 v64, v64, v62 :: v_dual_add_nc_u32 v67, v66, v67
	s_delay_alu instid0(VALU_DEP_3)
	v_cndmask_b32_e32 v63, v63, v61, vcc_lo
; %bb.94:
	s_or_b32 exec_lo, exec_lo, s13
	ds_swizzle_b32 v65, v67 offset:swizzle(BROADCAST,32,15)
	ds_swizzle_b32 v61, v63 offset:swizzle(BROADCAST,32,15)
	;; [unrolled: 1-line block ×3, first 2 shown]
	v_and_b32_e32 v66, 16, v115
	s_mov_b32 s13, exec_lo
	s_delay_alu instid0(VALU_DEP_1)
	v_cmpx_ne_u32_e32 0, v66
	s_cbranch_execz .LBB19_96
; %bb.95:
	s_waitcnt lgkmcnt(0)
	v_add_f64 v[61:62], v[63:64], v[61:62]
	v_cmp_eq_u32_e32 vcc_lo, 0, v67
	s_delay_alu instid0(VALU_DEP_2) | instskip(NEXT) | instid1(VALU_DEP_3)
	v_dual_cndmask_b32 v64, v64, v62 :: v_dual_add_nc_u32 v67, v65, v67
	v_cndmask_b32_e32 v63, v63, v61, vcc_lo
.LBB19_96:
	s_or_b32 exec_lo, exec_lo, s13
	s_waitcnt lgkmcnt(0)
	v_lshrrev_b32_e32 v62, 5, v0
	v_or_b32_e32 v61, 31, v0
	s_mov_b32 s13, exec_lo
	s_delay_alu instid0(VALU_DEP_2) | instskip(NEXT) | instid1(VALU_DEP_2)
	v_lshlrev_b32_e32 v68, 4, v62
	v_cmpx_eq_u32_e64 v61, v0
	s_cbranch_execz .LBB19_98
; %bb.97:
	ds_store_b32 v68, v67 offset:4128
	ds_store_b64 v68, v[63:64] offset:4136
.LBB19_98:
	s_or_b32 exec_lo, exec_lo, s13
	s_delay_alu instid0(SALU_CYCLE_1)
	s_mov_b32 s13, exec_lo
	s_waitcnt lgkmcnt(0)
	s_barrier
	buffer_gl0_inv
	v_cmpx_gt_u32_e32 8, v0
	s_cbranch_execz .LBB19_106
; %bb.99:
	v_lshlrev_b32_e32 v69, 4, v0
	v_and_b32_e32 v71, 7, v115
	s_mov_b32 s16, exec_lo
	ds_load_b32 v70, v69 offset:4128
	ds_load_b64 v[61:62], v69 offset:4136
	s_waitcnt lgkmcnt(1)
	v_mov_b32_dpp v72, v70 row_shr:1 row_mask:0xf bank_mask:0xf
	s_waitcnt lgkmcnt(0)
	v_mov_b32_dpp v65, v61 row_shr:1 row_mask:0xf bank_mask:0xf
	v_mov_b32_dpp v66, v62 row_shr:1 row_mask:0xf bank_mask:0xf
	v_cmpx_ne_u32_e32 0, v71
; %bb.100:
	s_delay_alu instid0(VALU_DEP_2) | instskip(SKIP_1) | instid1(VALU_DEP_2)
	v_add_f64 v[65:66], v[61:62], v[65:66]
	v_cmp_eq_u32_e32 vcc_lo, 0, v70
	v_dual_cndmask_b32 v61, v61, v65 :: v_dual_add_nc_u32 v70, v72, v70
	s_delay_alu instid0(VALU_DEP_3)
	v_cndmask_b32_e32 v62, v62, v66, vcc_lo
; %bb.101:
	s_or_b32 exec_lo, exec_lo, s16
	s_delay_alu instid0(VALU_DEP_2) | instskip(NEXT) | instid1(VALU_DEP_3)
	v_mov_b32_dpp v72, v70 row_shr:2 row_mask:0xf bank_mask:0xf
	v_mov_b32_dpp v65, v61 row_shr:2 row_mask:0xf bank_mask:0xf
	s_delay_alu instid0(VALU_DEP_3)
	v_mov_b32_dpp v66, v62 row_shr:2 row_mask:0xf bank_mask:0xf
	s_mov_b32 s16, exec_lo
	v_cmpx_lt_u32_e32 1, v71
; %bb.102:
	s_delay_alu instid0(VALU_DEP_2) | instskip(SKIP_1) | instid1(VALU_DEP_2)
	v_add_f64 v[65:66], v[61:62], v[65:66]
	v_cmp_eq_u32_e32 vcc_lo, 0, v70
	v_dual_cndmask_b32 v61, v61, v65 :: v_dual_add_nc_u32 v70, v72, v70
	s_delay_alu instid0(VALU_DEP_3)
	v_cndmask_b32_e32 v62, v62, v66, vcc_lo
; %bb.103:
	s_or_b32 exec_lo, exec_lo, s16
	s_delay_alu instid0(VALU_DEP_2) | instskip(NEXT) | instid1(VALU_DEP_3)
	v_mov_b32_dpp v72, v70 row_shr:4 row_mask:0xf bank_mask:0xf
	v_mov_b32_dpp v65, v61 row_shr:4 row_mask:0xf bank_mask:0xf
	s_delay_alu instid0(VALU_DEP_3)
	v_mov_b32_dpp v66, v62 row_shr:4 row_mask:0xf bank_mask:0xf
	s_mov_b32 s16, exec_lo
	v_cmpx_lt_u32_e32 3, v71
; %bb.104:
	s_delay_alu instid0(VALU_DEP_2) | instskip(SKIP_1) | instid1(VALU_DEP_2)
	v_add_f64 v[65:66], v[61:62], v[65:66]
	v_cmp_eq_u32_e32 vcc_lo, 0, v70
	v_dual_cndmask_b32 v61, v61, v65 :: v_dual_add_nc_u32 v70, v72, v70
	s_delay_alu instid0(VALU_DEP_3)
	v_cndmask_b32_e32 v62, v62, v66, vcc_lo
; %bb.105:
	s_or_b32 exec_lo, exec_lo, s16
	ds_store_b32 v69, v70 offset:4128
	ds_store_b64 v69, v[61:62] offset:4136
.LBB19_106:
	s_or_b32 exec_lo, exec_lo, s13
	v_mov_b32_e32 v61, 0
	v_cmp_gt_u32_e32 vcc_lo, 32, v0
	v_dual_mov_b32 v62, 0 :: v_dual_mov_b32 v73, 0
	s_mov_b32 s16, exec_lo
	s_waitcnt lgkmcnt(0)
	s_barrier
	buffer_gl0_inv
	v_cmpx_lt_u32_e32 31, v0
	s_cbranch_execz .LBB19_108
; %bb.107:
	ds_load_b64 v[61:62], v68 offset:4120
	ds_load_b32 v73, v68 offset:4112
	v_cmp_eq_u32_e64 s13, 0, v67
	s_waitcnt lgkmcnt(1)
	v_add_f64 v[65:66], v[63:64], v[61:62]
	s_waitcnt lgkmcnt(0)
	v_add_nc_u32_e32 v67, v73, v67
	s_delay_alu instid0(VALU_DEP_2) | instskip(NEXT) | instid1(VALU_DEP_3)
	v_cndmask_b32_e64 v64, v64, v66, s13
	v_cndmask_b32_e64 v63, v63, v65, s13
.LBB19_108:
	s_or_b32 exec_lo, exec_lo, s16
	v_add_nc_u32_e32 v65, -1, v115
	s_delay_alu instid0(VALU_DEP_1) | instskip(NEXT) | instid1(VALU_DEP_1)
	v_cmp_gt_i32_e64 s13, 0, v65
	v_cndmask_b32_e64 v65, v65, v115, s13
	v_cmp_eq_u32_e64 s13, 0, v115
	s_delay_alu instid0(VALU_DEP_2)
	v_lshlrev_b32_e32 v65, 2, v65
	ds_bpermute_b32 v74, v65, v67
	ds_bpermute_b32 v75, v65, v63
	;; [unrolled: 1-line block ×3, first 2 shown]
	s_and_saveexec_b32 s16, vcc_lo
	s_cbranch_execz .LBB19_147
; %bb.109:
	v_mov_b32_e32 v67, 0
	ds_load_b32 v77, v67 offset:4240
	ds_load_b64 v[63:64], v67 offset:4248
	s_and_saveexec_b32 s17, s13
	s_cbranch_execz .LBB19_111
; %bb.110:
	s_add_i32 s18, s15, 32
	s_mov_b32 s19, 0
	v_dual_mov_b32 v65, s18 :: v_dual_mov_b32 v66, 1
	s_lshl_b64 s[30:31], s[18:19], 4
	s_delay_alu instid0(SALU_CYCLE_1)
	s_add_u32 s18, s36, s30
	s_addc_u32 s19, s37, s31
	s_waitcnt lgkmcnt(1)
	global_store_b32 v67, v77, s[18:19]
	s_waitcnt lgkmcnt(0)
	global_store_b64 v67, v[63:64], s[18:19] offset:8
	s_waitcnt_vscnt null, 0x0
	buffer_gl1_inv
	buffer_gl0_inv
	global_store_b8 v65, v66, s[40:41]
.LBB19_111:
	s_or_b32 exec_lo, exec_lo, s17
	v_xad_u32 v65, v115, -1, s15
	s_mov_b32 s18, 0
	s_mov_b32 s17, exec_lo
	s_delay_alu instid0(VALU_DEP_1)
	v_add_nc_u32_e32 v66, 32, v65
	global_load_u8 v78, v66, s[40:41] glc
	s_waitcnt vmcnt(0)
	v_cmpx_eq_u16_e32 0, v78
	s_cbranch_execz .LBB19_115
; %bb.112:
	v_add_co_u32 v68, s19, s40, v66
	s_delay_alu instid0(VALU_DEP_1)
	v_add_co_ci_u32_e64 v69, null, s41, 0, s19
.LBB19_113:                             ; =>This Inner Loop Header: Depth=1
	global_load_u8 v78, v[68:69], off glc
	s_waitcnt vmcnt(0)
	v_cmp_ne_u16_e32 vcc_lo, 0, v78
	s_or_b32 s18, vcc_lo, s18
	s_delay_alu instid0(SALU_CYCLE_1)
	s_and_not1_b32 exec_lo, exec_lo, s18
	s_cbranch_execnz .LBB19_113
; %bb.114:
	s_or_b32 exec_lo, exec_lo, s18
.LBB19_115:
	s_delay_alu instid0(SALU_CYCLE_1)
	s_or_b32 exec_lo, exec_lo, s17
	v_dual_mov_b32 v68, s37 :: v_dual_mov_b32 v69, s36
	v_cmp_eq_u16_e32 vcc_lo, 1, v78
	v_lshlrev_b64 v[66:67], 4, v[66:67]
	s_waitcnt lgkmcnt(0)
	s_waitcnt_vscnt null, 0x0
	buffer_gl1_inv
	buffer_gl0_inv
	v_lshlrev_b32_e64 v80, v115, -1
	s_mov_b32 s17, exec_lo
	v_cndmask_b32_e32 v69, s38, v69, vcc_lo
	v_cndmask_b32_e32 v68, s39, v68, vcc_lo
	s_delay_alu instid0(VALU_DEP_2) | instskip(NEXT) | instid1(VALU_DEP_2)
	v_add_co_u32 v66, vcc_lo, v69, v66
	v_add_co_ci_u32_e32 v67, vcc_lo, v68, v67, vcc_lo
	v_cmp_ne_u32_e32 vcc_lo, 31, v115
	s_clause 0x1
	global_load_b32 v71, v[66:67], off
	global_load_b64 v[69:70], v[66:67], off offset:8
	v_add_co_ci_u32_e32 v66, vcc_lo, 0, v115, vcc_lo
	v_cmp_eq_u16_e32 vcc_lo, 2, v78
	s_delay_alu instid0(VALU_DEP_2) | instskip(SKIP_1) | instid1(VALU_DEP_1)
	v_lshlrev_b32_e32 v79, 2, v66
	v_and_or_b32 v68, vcc_lo, v80, 0x80000000
	v_ctz_i32_b32_e32 v68, v68
	s_waitcnt vmcnt(1)
	ds_bpermute_b32 v72, v79, v71
	s_waitcnt vmcnt(0)
	ds_bpermute_b32 v66, v79, v69
	ds_bpermute_b32 v67, v79, v70
	v_cmpx_lt_u32_e64 v115, v68
	s_cbranch_execz .LBB19_117
; %bb.116:
	s_waitcnt lgkmcnt(0)
	v_add_f64 v[66:67], v[69:70], v[66:67]
	v_cmp_eq_u32_e32 vcc_lo, 0, v71
	v_add_nc_u32_e32 v71, v72, v71
	s_delay_alu instid0(VALU_DEP_3)
	v_dual_cndmask_b32 v70, v70, v67 :: v_dual_cndmask_b32 v69, v69, v66
.LBB19_117:
	s_or_b32 exec_lo, exec_lo, s17
	v_cmp_gt_u32_e32 vcc_lo, 30, v115
	v_add_nc_u32_e32 v82, 2, v115
	s_mov_b32 s17, exec_lo
	s_waitcnt lgkmcnt(1)
	v_cndmask_b32_e64 v66, 0, 1, vcc_lo
	s_delay_alu instid0(VALU_DEP_1) | instskip(NEXT) | instid1(VALU_DEP_1)
	v_lshlrev_b32_e32 v66, 1, v66
	v_add_lshl_u32 v81, v66, v115, 2
	ds_bpermute_b32 v72, v81, v71
	ds_bpermute_b32 v66, v81, v69
	s_waitcnt lgkmcnt(2)
	ds_bpermute_b32 v67, v81, v70
	v_cmpx_le_u32_e64 v82, v68
	s_cbranch_execz .LBB19_119
; %bb.118:
	s_waitcnt lgkmcnt(0)
	v_add_f64 v[66:67], v[69:70], v[66:67]
	v_cmp_eq_u32_e32 vcc_lo, 0, v71
	v_add_nc_u32_e32 v71, v72, v71
	s_delay_alu instid0(VALU_DEP_3)
	v_dual_cndmask_b32 v70, v70, v67 :: v_dual_cndmask_b32 v69, v69, v66
.LBB19_119:
	s_or_b32 exec_lo, exec_lo, s17
	v_cmp_gt_u32_e32 vcc_lo, 28, v115
	v_add_nc_u32_e32 v84, 4, v115
	s_mov_b32 s17, exec_lo
	s_waitcnt lgkmcnt(1)
	v_cndmask_b32_e64 v66, 0, 1, vcc_lo
	s_delay_alu instid0(VALU_DEP_1) | instskip(NEXT) | instid1(VALU_DEP_1)
	v_lshlrev_b32_e32 v66, 2, v66
	v_add_lshl_u32 v83, v66, v115, 2
	ds_bpermute_b32 v72, v83, v71
	ds_bpermute_b32 v66, v83, v69
	s_waitcnt lgkmcnt(2)
	ds_bpermute_b32 v67, v83, v70
	v_cmpx_le_u32_e64 v84, v68
	;; [unrolled: 23-line block ×4, first 2 shown]
	s_cbranch_execz .LBB19_125
; %bb.124:
	s_waitcnt lgkmcnt(0)
	v_add_f64 v[66:67], v[69:70], v[66:67]
	v_cmp_eq_u32_e32 vcc_lo, 0, v71
	v_add_nc_u32_e32 v71, v72, v71
	s_delay_alu instid0(VALU_DEP_3)
	v_dual_cndmask_b32 v70, v70, v67 :: v_dual_cndmask_b32 v69, v69, v66
.LBB19_125:
	s_or_b32 exec_lo, exec_lo, s17
	s_waitcnt lgkmcnt(1)
	v_mov_b32_e32 v66, 0
	s_branch .LBB19_127
.LBB19_126:                             ;   in Loop: Header=BB19_127 Depth=1
	s_or_b32 exec_lo, exec_lo, s17
	s_delay_alu instid0(VALU_DEP_1) | instskip(SKIP_4) | instid1(VALU_DEP_4)
	v_add_f64 v[69:70], v[67:68], v[69:70]
	v_cmp_eq_u32_e32 vcc_lo, 0, v87
	v_subrev_nc_u32_e32 v65, 32, v65
	s_waitcnt lgkmcnt(1)
	v_add_nc_u32_e32 v71, v90, v87
	v_dual_cndmask_b32 v70, v68, v70 :: v_dual_cndmask_b32 v69, v67, v69
.LBB19_127:                             ; =>This Loop Header: Depth=1
                                        ;     Child Loop BB19_130 Depth 2
	s_waitcnt lgkmcnt(0)
	v_and_b32_e32 v67, 0xff, v78
	s_delay_alu instid0(VALU_DEP_3) | instskip(NEXT) | instid1(VALU_DEP_2)
	v_mov_b32_e32 v87, v71
	v_cmp_ne_u16_e32 vcc_lo, 2, v67
	v_cndmask_b32_e64 v67, 0, 1, vcc_lo
	;;#ASMSTART
	;;#ASMEND
	s_delay_alu instid0(VALU_DEP_1)
	v_cmp_ne_u32_e32 vcc_lo, 0, v67
	v_dual_mov_b32 v67, v69 :: v_dual_mov_b32 v68, v70
	s_cmp_lg_u32 vcc_lo, exec_lo
	s_cbranch_scc1 .LBB19_142
; %bb.128:                              ;   in Loop: Header=BB19_127 Depth=1
	global_load_u8 v78, v65, s[40:41] glc
	s_mov_b32 s17, exec_lo
	s_waitcnt vmcnt(0)
	v_cmpx_eq_u16_e32 0, v78
	s_cbranch_execz .LBB19_132
; %bb.129:                              ;   in Loop: Header=BB19_127 Depth=1
	v_add_co_u32 v69, s18, s40, v65
	s_delay_alu instid0(VALU_DEP_1)
	v_add_co_ci_u32_e64 v70, null, s41, 0, s18
	s_mov_b32 s18, 0
.LBB19_130:                             ;   Parent Loop BB19_127 Depth=1
                                        ; =>  This Inner Loop Header: Depth=2
	global_load_u8 v78, v[69:70], off glc
	s_waitcnt vmcnt(0)
	v_cmp_ne_u16_e32 vcc_lo, 0, v78
	s_or_b32 s18, vcc_lo, s18
	s_delay_alu instid0(SALU_CYCLE_1)
	s_and_not1_b32 exec_lo, exec_lo, s18
	s_cbranch_execnz .LBB19_130
; %bb.131:                              ;   in Loop: Header=BB19_127 Depth=1
	s_or_b32 exec_lo, exec_lo, s18
.LBB19_132:                             ;   in Loop: Header=BB19_127 Depth=1
	s_delay_alu instid0(SALU_CYCLE_1)
	s_or_b32 exec_lo, exec_lo, s17
	v_dual_mov_b32 v71, s37 :: v_dual_mov_b32 v72, s36
	v_cmp_eq_u16_e32 vcc_lo, 1, v78
	v_lshlrev_b64 v[69:70], 4, v[65:66]
	buffer_gl1_inv
	buffer_gl0_inv
	s_mov_b32 s17, exec_lo
	v_cndmask_b32_e32 v72, s38, v72, vcc_lo
	v_cndmask_b32_e32 v71, s39, v71, vcc_lo
	s_delay_alu instid0(VALU_DEP_2) | instskip(NEXT) | instid1(VALU_DEP_2)
	v_add_co_u32 v69, vcc_lo, v72, v69
	v_add_co_ci_u32_e32 v70, vcc_lo, v71, v70, vcc_lo
	v_cmp_eq_u16_e32 vcc_lo, 2, v78
	s_clause 0x1
	global_load_b32 v90, v[69:70], off
	global_load_b64 v[69:70], v[69:70], off offset:8
	v_and_or_b32 v91, vcc_lo, v80, 0x80000000
	s_delay_alu instid0(VALU_DEP_1)
	v_ctz_i32_b32_e32 v91, v91
	s_waitcnt vmcnt(1)
	ds_bpermute_b32 v92, v79, v90
	s_waitcnt vmcnt(0)
	ds_bpermute_b32 v71, v79, v69
	ds_bpermute_b32 v72, v79, v70
	v_cmpx_lt_u32_e64 v115, v91
	s_cbranch_execz .LBB19_134
; %bb.133:                              ;   in Loop: Header=BB19_127 Depth=1
	s_waitcnt lgkmcnt(0)
	v_add_f64 v[71:72], v[69:70], v[71:72]
	v_cmp_eq_u32_e32 vcc_lo, 0, v90
	s_delay_alu instid0(VALU_DEP_2) | instskip(NEXT) | instid1(VALU_DEP_3)
	v_dual_cndmask_b32 v69, v69, v71 :: v_dual_add_nc_u32 v90, v92, v90
	v_cndmask_b32_e32 v70, v70, v72, vcc_lo
.LBB19_134:                             ;   in Loop: Header=BB19_127 Depth=1
	s_or_b32 exec_lo, exec_lo, s17
	s_waitcnt lgkmcnt(2)
	ds_bpermute_b32 v92, v81, v90
	s_waitcnt lgkmcnt(2)
	ds_bpermute_b32 v71, v81, v69
	s_waitcnt lgkmcnt(2)
	ds_bpermute_b32 v72, v81, v70
	s_mov_b32 s17, exec_lo
	v_cmpx_le_u32_e64 v82, v91
	s_cbranch_execz .LBB19_136
; %bb.135:                              ;   in Loop: Header=BB19_127 Depth=1
	s_waitcnt lgkmcnt(0)
	v_add_f64 v[71:72], v[69:70], v[71:72]
	v_cmp_eq_u32_e32 vcc_lo, 0, v90
	s_delay_alu instid0(VALU_DEP_2) | instskip(NEXT) | instid1(VALU_DEP_3)
	v_dual_cndmask_b32 v69, v69, v71 :: v_dual_add_nc_u32 v90, v92, v90
	v_cndmask_b32_e32 v70, v70, v72, vcc_lo
.LBB19_136:                             ;   in Loop: Header=BB19_127 Depth=1
	s_or_b32 exec_lo, exec_lo, s17
	s_waitcnt lgkmcnt(2)
	ds_bpermute_b32 v92, v83, v90
	s_waitcnt lgkmcnt(2)
	ds_bpermute_b32 v71, v83, v69
	s_waitcnt lgkmcnt(2)
	ds_bpermute_b32 v72, v83, v70
	s_mov_b32 s17, exec_lo
	v_cmpx_le_u32_e64 v84, v91
	;; [unrolled: 18-line block ×4, first 2 shown]
	s_cbranch_execz .LBB19_126
; %bb.141:                              ;   in Loop: Header=BB19_127 Depth=1
	s_waitcnt lgkmcnt(0)
	v_add_f64 v[71:72], v[69:70], v[71:72]
	v_cmp_eq_u32_e32 vcc_lo, 0, v90
	s_delay_alu instid0(VALU_DEP_2) | instskip(NEXT) | instid1(VALU_DEP_3)
	v_dual_cndmask_b32 v69, v69, v71 :: v_dual_add_nc_u32 v90, v92, v90
	v_cndmask_b32_e32 v70, v70, v72, vcc_lo
	s_branch .LBB19_126
.LBB19_142:                             ;   in Loop: Header=BB19_127 Depth=1
                                        ; implicit-def: $vgpr69_vgpr70
                                        ; implicit-def: $vgpr71
                                        ; implicit-def: $vgpr78
	s_cbranch_execz .LBB19_127
; %bb.143:
	s_and_saveexec_b32 s17, s13
	s_cbranch_execz .LBB19_145
; %bb.144:
	v_add_f64 v[65:66], v[63:64], v[67:68]
	v_cmp_eq_u32_e32 vcc_lo, 0, v77
	s_mov_b32 s19, 0
	s_add_i32 s18, s15, 32
	v_dual_mov_b32 v70, 0 :: v_dual_add_nc_u32 v69, v87, v77
	s_waitcnt lgkmcnt(0)
	v_dual_mov_b32 v71, 2 :: v_dual_mov_b32 v72, s18
	s_lshl_b64 s[30:31], s[18:19], 4
	s_delay_alu instid0(SALU_CYCLE_1) | instskip(SKIP_1) | instid1(VALU_DEP_4)
	s_add_u32 s18, s38, s30
	s_addc_u32 s19, s39, s31
	v_dual_cndmask_b32 v66, v64, v66 :: v_dual_cndmask_b32 v65, v63, v65
	s_clause 0x1
	global_store_b32 v70, v69, s[18:19]
	global_store_b64 v70, v[65:66], s[18:19] offset:8
	s_waitcnt_vscnt null, 0x0
	buffer_gl1_inv
	buffer_gl0_inv
	global_store_b8 v72, v71, s[40:41]
	ds_store_b32 v70, v77 offset:4096
	ds_store_b64 v70, v[63:64] offset:4104
	ds_store_b32 v70, v87 offset:4112
	ds_store_b64 v70, v[67:68] offset:4120
.LBB19_145:
	s_or_b32 exec_lo, exec_lo, s17
	v_cmp_eq_u32_e32 vcc_lo, 0, v0
	s_and_b32 exec_lo, exec_lo, vcc_lo
	s_cbranch_execz .LBB19_147
; %bb.146:
	v_mov_b32_e32 v63, 0
	ds_store_b32 v63, v87 offset:4240
	ds_store_b64 v63, v[67:68] offset:4248
.LBB19_147:
	s_or_b32 exec_lo, exec_lo, s16
	s_waitcnt lgkmcnt(2)
	v_cndmask_b32_e64 v67, v74, v73, s13
	s_waitcnt lgkmcnt(1)
	v_cndmask_b32_e64 v61, v75, v61, s13
	s_waitcnt lgkmcnt(0)
	s_waitcnt_vscnt null, 0x0
	s_barrier
	buffer_gl0_inv
	v_cmp_eq_u32_e32 vcc_lo, 0, v67
	v_mov_b32_e32 v114, 0
	v_cndmask_b32_e64 v62, v76, v62, s13
	ds_load_b64 v[63:64], v114 offset:4248
	ds_load_b32 v119, v114 offset:4240
	s_waitcnt lgkmcnt(0)
	s_barrier
	buffer_gl0_inv
	v_add_f64 v[65:66], v[61:62], v[63:64]
	s_delay_alu instid0(VALU_DEP_1) | instskip(SKIP_1) | instid1(VALU_DEP_2)
	v_dual_cndmask_b32 v61, v61, v65 :: v_dual_cndmask_b32 v62, v62, v66
	v_cmp_eq_u32_e32 vcc_lo, 0, v0
	v_dual_cndmask_b32 v87, v61, v63 :: v_dual_cndmask_b32 v88, v62, v64
	v_cndmask_b32_e64 v66, v67, 0, vcc_lo
	v_cmp_eq_u32_e32 vcc_lo, 0, v113
	ds_load_b64 v[63:64], v114 offset:4120
	ds_load_b64 v[117:118], v114 offset:4104
	ds_load_b32 v65, v114 offset:4112
	v_add_f64 v[61:62], v[53:54], v[87:88]
	s_delay_alu instid0(VALU_DEP_1) | instskip(NEXT) | instid1(VALU_DEP_1)
	v_dual_cndmask_b32 v90, v54, v62 :: v_dual_cndmask_b32 v89, v53, v61
	v_add_f64 v[61:62], v[55:56], v[89:90]
	s_delay_alu instid0(VALU_DEP_1) | instskip(NEXT) | instid1(VALU_DEP_2)
	v_cndmask_b32_e64 v94, v56, v62, s12
	v_cndmask_b32_e64 v93, v55, v61, s12
	s_delay_alu instid0(VALU_DEP_1) | instskip(NEXT) | instid1(VALU_DEP_1)
	v_add_f64 v[61:62], v[49:50], v[93:94]
	v_cndmask_b32_e64 v92, v50, v62, s11
	s_delay_alu instid0(VALU_DEP_2) | instskip(NEXT) | instid1(VALU_DEP_1)
	v_cndmask_b32_e64 v91, v49, v61, s11
	v_add_f64 v[61:62], v[51:52], v[91:92]
	s_delay_alu instid0(VALU_DEP_1) | instskip(NEXT) | instid1(VALU_DEP_2)
	v_cndmask_b32_e64 v76, v52, v62, s10
	v_cndmask_b32_e64 v75, v51, v61, s10
	s_delay_alu instid0(VALU_DEP_1) | instskip(NEXT) | instid1(VALU_DEP_1)
	v_add_f64 v[61:62], v[45:46], v[75:76]
	v_cndmask_b32_e64 v78, v46, v62, s9
	s_delay_alu instid0(VALU_DEP_2) | instskip(NEXT) | instid1(VALU_DEP_1)
	v_cndmask_b32_e64 v77, v45, v61, s9
	;; [unrolled: 9-line block ×5, first 2 shown]
	v_add_f64 v[61:62], v[35:36], v[71:72]
	s_delay_alu instid0(VALU_DEP_1) | instskip(NEXT) | instid1(VALU_DEP_2)
	v_cndmask_b32_e64 v74, v36, v62, s2
	v_cndmask_b32_e64 v73, v35, v61, s2
	s_delay_alu instid0(VALU_DEP_1) | instskip(NEXT) | instid1(VALU_DEP_1)
	v_add_f64 v[61:62], v[29:30], v[73:74]
	v_cndmask_b32_e64 v96, v30, v62, s1
	s_delay_alu instid0(VALU_DEP_2)
	v_cndmask_b32_e64 v95, v29, v61, s1
	ds_load_b32 v61, v114 offset:4096
	s_waitcnt lgkmcnt(2)
	v_add_f64 v[62:63], v[63:64], v[117:118]
	v_add_nc_u32_e32 v114, v119, v66
	v_add_f64 v[85:86], v[31:32], v[95:96]
	s_waitcnt lgkmcnt(0)
	v_cmp_eq_u32_e32 vcc_lo, 0, v61
	s_delay_alu instid0(VALU_DEP_4) | instskip(NEXT) | instid1(VALU_DEP_3)
	v_dual_cndmask_b32 v64, v118, v63 :: v_dual_cndmask_b32 v63, v117, v62
	v_cndmask_b32_e64 v86, v32, v86, s0
	s_delay_alu instid0(VALU_DEP_4)
	v_cndmask_b32_e64 v85, v31, v85, s0
	s_branch .LBB19_176
.LBB19_148:
                                        ; implicit-def: $vgpr61
                                        ; implicit-def: $vgpr63_vgpr64
                                        ; implicit-def: $vgpr65
                                        ; implicit-def: $vgpr87_vgpr88
                                        ; implicit-def: $vgpr89_vgpr90
                                        ; implicit-def: $vgpr93_vgpr94
                                        ; implicit-def: $vgpr91_vgpr92
                                        ; implicit-def: $vgpr75_vgpr76
                                        ; implicit-def: $vgpr77_vgpr78
                                        ; implicit-def: $vgpr79_vgpr80
                                        ; implicit-def: $vgpr83_vgpr84
                                        ; implicit-def: $vgpr81_vgpr82
                                        ; implicit-def: $vgpr67_vgpr68
                                        ; implicit-def: $vgpr69_vgpr70
                                        ; implicit-def: $vgpr71_vgpr72
                                        ; implicit-def: $vgpr73_vgpr74
                                        ; implicit-def: $vgpr95_vgpr96
                                        ; implicit-def: $vgpr85_vgpr86
                                        ; implicit-def: $vgpr114
	s_cbranch_execz .LBB19_176
; %bb.149:
	s_and_b32 s0, s14, exec_lo
	v_dual_mov_b32 v66, v54 :: v_dual_mov_b32 v65, v53
	s_cselect_b32 s1, 0, s29
	s_cselect_b32 s0, 0, s28
	s_delay_alu instid0(SALU_CYCLE_1)
	s_cmp_eq_u64 s[0:1], 0
	s_cbranch_scc1 .LBB19_151
; %bb.150:
	v_mov_b32_e32 v61, 0
	global_load_b64 v[65:66], v61, s[0:1]
.LBB19_151:
	v_cmp_eq_u32_e32 vcc_lo, 0, v112
	v_cmp_eq_u32_e64 s0, 0, v111
	v_cmp_eq_u32_e64 s1, 0, v110
	;; [unrolled: 1-line block ×4, first 2 shown]
	v_dual_cndmask_b32 v62, v56, v98 :: v_dual_cndmask_b32 v61, v55, v97
	v_cmp_eq_u32_e64 s4, 0, v107
	v_cmp_eq_u32_e64 s5, 0, v105
	v_cmp_eq_u32_e64 s6, 0, v104
	v_cmp_eq_u32_e64 s9, 0, v103
	v_add_f64 v[61:62], v[49:50], v[61:62]
	v_cmp_eq_u32_e64 s10, 0, v102
	v_cmp_eq_u32_e64 s11, 0, v101
	;; [unrolled: 1-line block ×4, first 2 shown]
	v_add3_u32 v63, v116, v108, v107
	v_cmp_eq_u32_e64 s12, 0, v106
	s_mov_b32 s13, exec_lo
	s_delay_alu instid0(VALU_DEP_2) | instskip(NEXT) | instid1(VALU_DEP_1)
	v_add3_u32 v63, v63, v105, v104
	v_add3_u32 v63, v63, v103, v102
	s_delay_alu instid0(VALU_DEP_1) | instskip(NEXT) | instid1(VALU_DEP_1)
	v_add3_u32 v63, v63, v101, v100
	v_add3_u32 v67, v63, v99, v106
	v_and_b32_e32 v63, 15, v115
	s_delay_alu instid0(VALU_DEP_2) | instskip(SKIP_2) | instid1(VALU_DEP_1)
	v_mov_b32_dpp v64, v67 row_shr:1 row_mask:0xf bank_mask:0xf
	v_cndmask_b32_e64 v62, v50, v62, s0
	v_cndmask_b32_e64 v61, v49, v61, s0
	v_add_f64 v[61:62], v[51:52], v[61:62]
	s_delay_alu instid0(VALU_DEP_1) | instskip(NEXT) | instid1(VALU_DEP_2)
	v_cndmask_b32_e64 v62, v52, v62, s1
	v_cndmask_b32_e64 v61, v51, v61, s1
	s_delay_alu instid0(VALU_DEP_1) | instskip(NEXT) | instid1(VALU_DEP_1)
	v_add_f64 v[61:62], v[45:46], v[61:62]
	v_cndmask_b32_e64 v62, v46, v62, s2
	s_delay_alu instid0(VALU_DEP_2) | instskip(NEXT) | instid1(VALU_DEP_1)
	v_cndmask_b32_e64 v61, v45, v61, s2
	v_add_f64 v[61:62], v[47:48], v[61:62]
	s_delay_alu instid0(VALU_DEP_1) | instskip(NEXT) | instid1(VALU_DEP_2)
	v_cndmask_b32_e64 v62, v48, v62, s3
	v_cndmask_b32_e64 v61, v47, v61, s3
	s_delay_alu instid0(VALU_DEP_1) | instskip(NEXT) | instid1(VALU_DEP_1)
	v_add_f64 v[61:62], v[41:42], v[61:62]
	v_cndmask_b32_e64 v62, v42, v62, s4
	s_delay_alu instid0(VALU_DEP_2) | instskip(NEXT) | instid1(VALU_DEP_1)
	;; [unrolled: 9-line block ×5, first 2 shown]
	v_cndmask_b32_e64 v61, v29, v61, s8
	v_add_f64 v[61:62], v[31:32], v[61:62]
	s_delay_alu instid0(VALU_DEP_1) | instskip(NEXT) | instid1(VALU_DEP_2)
	v_cndmask_b32_e64 v62, v32, v62, s7
	v_cndmask_b32_e64 v61, v31, v61, s7
	s_delay_alu instid0(VALU_DEP_1) | instskip(NEXT) | instid1(VALU_DEP_1)
	v_add_f64 v[61:62], v[59:60], v[61:62]
	v_cndmask_b32_e64 v60, v60, v62, s12
	s_delay_alu instid0(VALU_DEP_2) | instskip(NEXT) | instid1(VALU_DEP_2)
	v_cndmask_b32_e64 v59, v59, v61, s12
	v_mov_b32_dpp v62, v60 row_shr:1 row_mask:0xf bank_mask:0xf
	s_delay_alu instid0(VALU_DEP_2)
	v_mov_b32_dpp v61, v59 row_shr:1 row_mask:0xf bank_mask:0xf
	v_cmpx_ne_u32_e32 0, v63
; %bb.152:
	s_delay_alu instid0(VALU_DEP_2) | instskip(SKIP_2) | instid1(VALU_DEP_2)
	v_add_f64 v[61:62], v[59:60], v[61:62]
	v_cmp_eq_u32_e64 s12, 0, v67
	v_add_nc_u32_e32 v67, v64, v67
	v_cndmask_b32_e64 v60, v60, v62, s12
	s_delay_alu instid0(VALU_DEP_4)
	v_cndmask_b32_e64 v59, v59, v61, s12
; %bb.153:
	s_or_b32 exec_lo, exec_lo, s13
	s_delay_alu instid0(VALU_DEP_3) | instskip(NEXT) | instid1(VALU_DEP_2)
	v_mov_b32_dpp v64, v67 row_shr:2 row_mask:0xf bank_mask:0xf
	v_mov_b32_dpp v61, v59 row_shr:2 row_mask:0xf bank_mask:0xf
	v_mov_b32_dpp v62, v60 row_shr:2 row_mask:0xf bank_mask:0xf
	s_mov_b32 s13, exec_lo
	v_cmpx_lt_u32_e32 1, v63
; %bb.154:
	s_delay_alu instid0(VALU_DEP_2) | instskip(SKIP_2) | instid1(VALU_DEP_2)
	v_add_f64 v[61:62], v[59:60], v[61:62]
	v_cmp_eq_u32_e64 s12, 0, v67
	v_add_nc_u32_e32 v67, v64, v67
	v_cndmask_b32_e64 v60, v60, v62, s12
	s_delay_alu instid0(VALU_DEP_4)
	v_cndmask_b32_e64 v59, v59, v61, s12
; %bb.155:
	s_or_b32 exec_lo, exec_lo, s13
	s_delay_alu instid0(VALU_DEP_3) | instskip(NEXT) | instid1(VALU_DEP_2)
	v_mov_b32_dpp v64, v67 row_shr:4 row_mask:0xf bank_mask:0xf
	v_mov_b32_dpp v61, v59 row_shr:4 row_mask:0xf bank_mask:0xf
	v_mov_b32_dpp v62, v60 row_shr:4 row_mask:0xf bank_mask:0xf
	s_mov_b32 s13, exec_lo
	v_cmpx_lt_u32_e32 3, v63
; %bb.156:
	s_delay_alu instid0(VALU_DEP_2) | instskip(SKIP_2) | instid1(VALU_DEP_2)
	v_add_f64 v[61:62], v[59:60], v[61:62]
	v_cmp_eq_u32_e64 s12, 0, v67
	v_add_nc_u32_e32 v67, v64, v67
	v_cndmask_b32_e64 v60, v60, v62, s12
	s_delay_alu instid0(VALU_DEP_4)
	v_cndmask_b32_e64 v59, v59, v61, s12
; %bb.157:
	s_or_b32 exec_lo, exec_lo, s13
	s_delay_alu instid0(VALU_DEP_3) | instskip(NEXT) | instid1(VALU_DEP_2)
	v_mov_b32_dpp v64, v67 row_shr:8 row_mask:0xf bank_mask:0xf
	v_mov_b32_dpp v61, v59 row_shr:8 row_mask:0xf bank_mask:0xf
	v_mov_b32_dpp v62, v60 row_shr:8 row_mask:0xf bank_mask:0xf
	s_mov_b32 s13, exec_lo
	v_cmpx_lt_u32_e32 7, v63
; %bb.158:
	s_delay_alu instid0(VALU_DEP_2) | instskip(SKIP_2) | instid1(VALU_DEP_2)
	v_add_f64 v[61:62], v[59:60], v[61:62]
	v_cmp_eq_u32_e64 s12, 0, v67
	v_add_nc_u32_e32 v67, v64, v67
	v_cndmask_b32_e64 v60, v60, v62, s12
	s_delay_alu instid0(VALU_DEP_4)
	v_cndmask_b32_e64 v59, v59, v61, s12
; %bb.159:
	s_or_b32 exec_lo, exec_lo, s13
	ds_swizzle_b32 v63, v67 offset:swizzle(BROADCAST,32,15)
	ds_swizzle_b32 v61, v59 offset:swizzle(BROADCAST,32,15)
	;; [unrolled: 1-line block ×3, first 2 shown]
	v_and_b32_e32 v64, 16, v115
	s_mov_b32 s13, exec_lo
	s_delay_alu instid0(VALU_DEP_1)
	v_cmpx_ne_u32_e32 0, v64
	s_cbranch_execz .LBB19_161
; %bb.160:
	s_waitcnt lgkmcnt(0)
	v_add_f64 v[61:62], v[59:60], v[61:62]
	v_cmp_eq_u32_e64 s12, 0, v67
	v_add_nc_u32_e32 v67, v63, v67
	s_delay_alu instid0(VALU_DEP_2) | instskip(NEXT) | instid1(VALU_DEP_4)
	v_cndmask_b32_e64 v60, v60, v62, s12
	v_cndmask_b32_e64 v59, v59, v61, s12
.LBB19_161:
	s_or_b32 exec_lo, exec_lo, s13
	s_waitcnt lgkmcnt(0)
	v_lshrrev_b32_e32 v62, 5, v0
	v_or_b32_e32 v61, 31, v0
	s_mov_b32 s13, exec_lo
	s_delay_alu instid0(VALU_DEP_2) | instskip(NEXT) | instid1(VALU_DEP_2)
	v_lshlrev_b32_e32 v68, 4, v62
	v_cmpx_eq_u32_e64 v61, v0
	s_cbranch_execz .LBB19_163
; %bb.162:
	ds_store_b32 v68, v67 offset:4128
	ds_store_b64 v68, v[59:60] offset:4136
.LBB19_163:
	s_or_b32 exec_lo, exec_lo, s13
	s_delay_alu instid0(SALU_CYCLE_1)
	s_mov_b32 s13, exec_lo
	s_waitcnt vmcnt(0) lgkmcnt(0)
	s_barrier
	buffer_gl0_inv
	v_cmpx_gt_u32_e32 8, v0
	s_cbranch_execz .LBB19_171
; %bb.164:
	v_lshlrev_b32_e32 v69, 4, v0
	v_and_b32_e32 v71, 7, v115
	s_mov_b32 s15, exec_lo
	ds_load_b32 v70, v69 offset:4128
	ds_load_b64 v[61:62], v69 offset:4136
	s_waitcnt lgkmcnt(1)
	v_mov_b32_dpp v72, v70 row_shr:1 row_mask:0xf bank_mask:0xf
	s_waitcnt lgkmcnt(0)
	v_mov_b32_dpp v63, v61 row_shr:1 row_mask:0xf bank_mask:0xf
	v_mov_b32_dpp v64, v62 row_shr:1 row_mask:0xf bank_mask:0xf
	v_cmpx_ne_u32_e32 0, v71
; %bb.165:
	s_delay_alu instid0(VALU_DEP_2) | instskip(SKIP_2) | instid1(VALU_DEP_2)
	v_add_f64 v[63:64], v[61:62], v[63:64]
	v_cmp_eq_u32_e64 s12, 0, v70
	v_add_nc_u32_e32 v70, v72, v70
	v_cndmask_b32_e64 v62, v62, v64, s12
	s_delay_alu instid0(VALU_DEP_4)
	v_cndmask_b32_e64 v61, v61, v63, s12
; %bb.166:
	s_or_b32 exec_lo, exec_lo, s15
	s_delay_alu instid0(VALU_DEP_3) | instskip(NEXT) | instid1(VALU_DEP_2)
	v_mov_b32_dpp v72, v70 row_shr:2 row_mask:0xf bank_mask:0xf
	v_mov_b32_dpp v63, v61 row_shr:2 row_mask:0xf bank_mask:0xf
	;; [unrolled: 1-line block ×3, first 2 shown]
	s_mov_b32 s15, exec_lo
	v_cmpx_lt_u32_e32 1, v71
; %bb.167:
	s_delay_alu instid0(VALU_DEP_2) | instskip(SKIP_2) | instid1(VALU_DEP_2)
	v_add_f64 v[63:64], v[61:62], v[63:64]
	v_cmp_eq_u32_e64 s12, 0, v70
	v_add_nc_u32_e32 v70, v72, v70
	v_cndmask_b32_e64 v62, v62, v64, s12
	s_delay_alu instid0(VALU_DEP_4)
	v_cndmask_b32_e64 v61, v61, v63, s12
; %bb.168:
	s_or_b32 exec_lo, exec_lo, s15
	s_delay_alu instid0(VALU_DEP_3) | instskip(NEXT) | instid1(VALU_DEP_2)
	v_mov_b32_dpp v72, v70 row_shr:4 row_mask:0xf bank_mask:0xf
	v_mov_b32_dpp v63, v61 row_shr:4 row_mask:0xf bank_mask:0xf
	;; [unrolled: 1-line block ×3, first 2 shown]
	s_mov_b32 s15, exec_lo
	v_cmpx_lt_u32_e32 3, v71
; %bb.169:
	s_delay_alu instid0(VALU_DEP_2) | instskip(SKIP_2) | instid1(VALU_DEP_2)
	v_add_f64 v[63:64], v[61:62], v[63:64]
	v_cmp_eq_u32_e64 s12, 0, v70
	v_add_nc_u32_e32 v70, v72, v70
	v_cndmask_b32_e64 v62, v62, v64, s12
	s_delay_alu instid0(VALU_DEP_4)
	v_cndmask_b32_e64 v61, v61, v63, s12
; %bb.170:
	s_or_b32 exec_lo, exec_lo, s15
	ds_store_b32 v69, v70 offset:4128
	ds_store_b64 v69, v[61:62] offset:4136
.LBB19_171:
	s_or_b32 exec_lo, exec_lo, s13
	v_dual_mov_b32 v63, 0 :: v_dual_mov_b32 v64, 0
	v_dual_mov_b32 v61, v65 :: v_dual_mov_b32 v62, v66
	s_mov_b32 s13, exec_lo
	s_waitcnt lgkmcnt(0)
	s_barrier
	buffer_gl0_inv
	v_cmpx_lt_u32_e32 31, v0
	s_cbranch_execz .LBB19_173
; %bb.172:
	ds_load_b64 v[61:62], v68 offset:4120
	ds_load_b32 v64, v68 offset:4112
	s_waitcnt lgkmcnt(1)
	v_add_f64 v[69:70], v[65:66], v[61:62]
	s_waitcnt lgkmcnt(0)
	v_cmp_eq_u32_e64 s12, 0, v64
	s_delay_alu instid0(VALU_DEP_1) | instskip(NEXT) | instid1(VALU_DEP_3)
	v_cndmask_b32_e64 v62, v62, v70, s12
	v_cndmask_b32_e64 v61, v61, v69, s12
.LBB19_173:
	s_or_b32 exec_lo, exec_lo, s13
	s_delay_alu instid0(VALU_DEP_1) | instskip(SKIP_2) | instid1(VALU_DEP_2)
	v_add_f64 v[68:69], v[59:60], v[61:62]
	v_add_nc_u32_e32 v70, -1, v115
	v_cmp_eq_u32_e64 s13, 0, v113
	v_cmp_gt_i32_e64 s12, 0, v70
	s_delay_alu instid0(VALU_DEP_1) | instskip(SKIP_2) | instid1(VALU_DEP_3)
	v_cndmask_b32_e64 v70, v70, v115, s12
	v_cmp_eq_u32_e64 s12, 0, v67
	v_add_nc_u32_e32 v67, v64, v67
	v_lshlrev_b32_e32 v70, 2, v70
	ds_bpermute_b32 v67, v70, v67
	v_cndmask_b32_e64 v60, v60, v69, s12
	v_cndmask_b32_e64 v59, v59, v68, s12
	v_cmp_eq_u32_e64 s12, 0, v115
	ds_bpermute_b32 v60, v70, v60
	ds_bpermute_b32 v59, v70, v59
	s_waitcnt lgkmcnt(2)
	v_cndmask_b32_e64 v114, v67, v64, s12
	s_waitcnt lgkmcnt(1)
	v_cndmask_b32_e64 v88, v60, v62, s12
	;; [unrolled: 2-line block ×3, first 2 shown]
	v_cmp_eq_u32_e64 s12, 0, v0
	ds_load_b32 v61, v63 offset:4240
	v_cndmask_b32_e64 v60, v88, v66, s12
	v_cndmask_b32_e64 v59, v87, v65, s12
	s_delay_alu instid0(VALU_DEP_1) | instskip(NEXT) | instid1(VALU_DEP_1)
	v_add_f64 v[59:60], v[53:54], v[59:60]
	v_cndmask_b32_e64 v90, v54, v60, s13
	s_delay_alu instid0(VALU_DEP_2) | instskip(NEXT) | instid1(VALU_DEP_1)
	v_cndmask_b32_e64 v89, v53, v59, s13
	v_add_f64 v[53:54], v[55:56], v[89:90]
	s_delay_alu instid0(VALU_DEP_1) | instskip(SKIP_2) | instid1(VALU_DEP_2)
	v_dual_cndmask_b32 v94, v56, v54 :: v_dual_cndmask_b32 v93, v55, v53
	s_waitcnt lgkmcnt(0)
	v_cmp_eq_u32_e32 vcc_lo, 0, v61
	v_add_f64 v[53:54], v[49:50], v[93:94]
	s_delay_alu instid0(VALU_DEP_1) | instskip(NEXT) | instid1(VALU_DEP_2)
	v_cndmask_b32_e64 v92, v50, v54, s0
	v_cndmask_b32_e64 v91, v49, v53, s0
	s_delay_alu instid0(VALU_DEP_1) | instskip(NEXT) | instid1(VALU_DEP_1)
	v_add_f64 v[49:50], v[51:52], v[91:92]
	v_cndmask_b32_e64 v76, v52, v50, s1
	s_delay_alu instid0(VALU_DEP_2) | instskip(NEXT) | instid1(VALU_DEP_1)
	v_cndmask_b32_e64 v75, v51, v49, s1
	v_add_f64 v[49:50], v[45:46], v[75:76]
	s_delay_alu instid0(VALU_DEP_1) | instskip(NEXT) | instid1(VALU_DEP_2)
	v_cndmask_b32_e64 v78, v46, v50, s2
	v_cndmask_b32_e64 v77, v45, v49, s2
	s_delay_alu instid0(VALU_DEP_1) | instskip(NEXT) | instid1(VALU_DEP_1)
	v_add_f64 v[45:46], v[47:48], v[77:78]
	v_cndmask_b32_e64 v80, v48, v46, s3
	s_delay_alu instid0(VALU_DEP_2) | instskip(NEXT) | instid1(VALU_DEP_1)
	v_cndmask_b32_e64 v79, v47, v45, s3
	;; [unrolled: 9-line block ×4, first 2 shown]
	v_add_f64 v[37:38], v[33:34], v[69:70]
	s_delay_alu instid0(VALU_DEP_1) | instskip(NEXT) | instid1(VALU_DEP_2)
	v_cndmask_b32_e64 v72, v34, v38, s10
	v_cndmask_b32_e64 v71, v33, v37, s10
	s_delay_alu instid0(VALU_DEP_1) | instskip(NEXT) | instid1(VALU_DEP_1)
	v_add_f64 v[33:34], v[35:36], v[71:72]
	v_cndmask_b32_e64 v74, v36, v34, s11
	s_delay_alu instid0(VALU_DEP_2) | instskip(SKIP_2) | instid1(VALU_DEP_1)
	v_cndmask_b32_e64 v73, v35, v33, s11
	ds_load_b64 v[35:36], v63 offset:4248
	v_add_f64 v[33:34], v[29:30], v[73:74]
	v_cndmask_b32_e64 v96, v30, v34, s8
	s_delay_alu instid0(VALU_DEP_2) | instskip(SKIP_2) | instid1(VALU_DEP_2)
	v_cndmask_b32_e64 v95, v29, v33, s8
	s_waitcnt lgkmcnt(0)
	v_add_f64 v[29:30], v[65:66], v[35:36]
	v_add_f64 v[33:34], v[31:32], v[95:96]
	s_delay_alu instid0(VALU_DEP_2) | instskip(NEXT) | instid1(VALU_DEP_2)
	v_dual_cndmask_b32 v64, v36, v30 :: v_dual_cndmask_b32 v63, v35, v29
	v_cndmask_b32_e64 v86, v32, v34, s7
	s_delay_alu instid0(VALU_DEP_3)
	v_cndmask_b32_e64 v85, v31, v33, s7
	s_and_saveexec_b32 s0, s12
	s_cbranch_execz .LBB19_175
; %bb.174:
	v_dual_mov_b32 v114, 0 :: v_dual_mov_b32 v29, 2
	v_dual_mov_b32 v88, v66 :: v_dual_mov_b32 v87, v65
	s_clause 0x1
	global_store_b32 v114, v61, s[38:39] offset:512
	global_store_b64 v114, v[63:64], s[38:39] offset:520
	s_waitcnt_vscnt null, 0x0
	buffer_gl1_inv
	buffer_gl0_inv
	global_store_b8 v114, v29, s[40:41] offset:32
.LBB19_175:
	s_or_b32 exec_lo, exec_lo, s0
	v_mov_b32_e32 v65, 0
.LBB19_176:
	v_mov_b32_e32 v29, 0
	s_and_b32 s0, s14, exec_lo
	v_mov_b32_e32 v30, 0
	s_cselect_b32 s1, 0, s51
	s_cselect_b32 s0, 0, s50
	s_waitcnt_vscnt null, 0x0
	s_cmp_eq_u64 s[0:1], 0
	s_barrier
	buffer_gl0_inv
	s_cbranch_scc1 .LBB19_178
; %bb.177:
	v_mov_b32_e32 v29, 0
	global_load_b64 v[29:30], v29, s[0:1]
.LBB19_178:
	v_cmp_eq_u32_e32 vcc_lo, 0, v113
	v_add_nc_u32_e32 v46, v114, v113
	v_cmp_ne_u32_e64 s12, 0, v113
	v_cmp_ne_u32_e64 s11, 0, v112
	;; [unrolled: 1-line block ×3, first 2 shown]
	v_cndmask_b32_e64 v31, 1, 2, vcc_lo
	v_cmp_eq_u32_e32 vcc_lo, 0, v112
	v_add_nc_u32_e32 v48, v46, v112
	v_cmp_ne_u32_e64 s8, 0, v110
	v_cmp_ne_u32_e64 s14, 0, v109
	;; [unrolled: 1-line block ×3, first 2 shown]
	v_cndmask_b32_e64 v32, 1, 2, vcc_lo
	v_cmp_eq_u32_e32 vcc_lo, 0, v111
	v_add_nc_u32_e32 v47, v48, v111
	v_cmp_ne_u32_e64 s10, 0, v107
	s_delay_alu instid0(VALU_DEP_4)
	v_dual_mov_b32 v66, 0 :: v_dual_and_b32 v31, v32, v31
	v_cndmask_b32_e64 v33, 1, 2, vcc_lo
	v_cmp_eq_u32_e32 vcc_lo, 0, v110
	v_add_nc_u32_e32 v45, v47, v110
	v_cmp_ne_u32_e64 s7, 0, v105
	v_cmp_ne_u32_e64 s6, 0, v104
	v_and_b32_e32 v33, v31, v33
	v_cndmask_b32_e64 v34, 1, 2, vcc_lo
	v_cmp_eq_u32_e32 vcc_lo, 0, v109
	v_add_nc_u32_e32 v44, v45, v109
	s_waitcnt vmcnt(0)
	v_lshlrev_b64 v[31:32], 3, v[29:30]
	v_cmp_ne_u32_e64 s5, 0, v103
	v_and_b32_e32 v33, v33, v34
	v_cndmask_b32_e64 v35, 1, 2, vcc_lo
	v_cmp_eq_u32_e32 vcc_lo, 0, v108
	v_add_nc_u32_e32 v43, v44, v108
	v_cmp_ne_u32_e64 s4, 0, v102
	v_cmp_ne_u32_e64 s3, 0, v101
	v_and_b32_e32 v33, v33, v35
	v_cndmask_b32_e64 v34, 1, 2, vcc_lo
	v_cmp_eq_u32_e32 vcc_lo, 0, v107
	v_add_nc_u32_e32 v42, v43, v107
	v_cmp_ne_u32_e64 s2, 0, v100
	;; [unrolled: 6-line block ×3, first 2 shown]
	s_mov_b32 s16, -1
	v_and_b32_e32 v33, v33, v35
	v_cndmask_b32_e64 v34, 1, 2, vcc_lo
	v_cmp_eq_u32_e32 vcc_lo, 0, v104
	v_add_nc_u32_e32 v40, v41, v104
	s_delay_alu instid0(VALU_DEP_3) | instskip(SKIP_2) | instid1(VALU_DEP_4)
	v_and_b32_e32 v33, v33, v34
	v_cndmask_b32_e64 v35, 1, 2, vcc_lo
	v_cmp_eq_u32_e32 vcc_lo, 0, v103
	v_add_nc_u32_e32 v39, v40, v103
	s_delay_alu instid0(VALU_DEP_3) | instskip(SKIP_2) | instid1(VALU_DEP_4)
	v_and_b32_e32 v33, v33, v35
	v_cndmask_b32_e64 v34, 1, 2, vcc_lo
	v_cmp_eq_u32_e32 vcc_lo, 0, v102
	v_add_nc_u32_e32 v38, v39, v102
	s_delay_alu instid0(VALU_DEP_3) | instskip(SKIP_3) | instid1(VALU_DEP_3)
	v_and_b32_e32 v37, v33, v34
	v_cndmask_b32_e64 v35, 1, 2, vcc_lo
	v_cmp_eq_u32_e32 vcc_lo, 0, v101
	v_lshlrev_b64 v[33:34], 3, v[65:66]
	v_and_b32_e32 v35, v37, v35
	v_cndmask_b32_e64 v36, 1, 2, vcc_lo
	v_cmp_eq_u32_e32 vcc_lo, 0, v100
	v_add_nc_u32_e32 v37, v38, v101
	s_delay_alu instid0(VALU_DEP_3) | instskip(SKIP_3) | instid1(VALU_DEP_3)
	v_and_b32_e32 v52, v35, v36
	v_cndmask_b32_e64 v51, 1, 2, vcc_lo
	v_add_co_u32 v49, vcc_lo, s22, v31
	v_add_co_ci_u32_e32 v50, vcc_lo, s23, v32, vcc_lo
	v_and_b32_e32 v51, v52, v51
	s_delay_alu instid0(VALU_DEP_3) | instskip(NEXT) | instid1(VALU_DEP_3)
	v_add_co_u32 v49, vcc_lo, v49, v33
	v_add_co_ci_u32_e32 v50, vcc_lo, v50, v34, vcc_lo
	v_cmp_eq_u32_e32 vcc_lo, 0, v99
	v_add_nc_u32_e32 v36, v37, v100
	v_cndmask_b32_e64 v52, 1, 2, vcc_lo
	v_cmp_eq_u32_e32 vcc_lo, 0, v106
	s_delay_alu instid0(VALU_DEP_3) | instskip(NEXT) | instid1(VALU_DEP_3)
	v_add_nc_u32_e32 v35, v36, v99
	v_and_b32_e32 v51, v51, v52
	v_cndmask_b32_e64 v52, 1, 2, vcc_lo
	v_cmp_gt_u32_e32 vcc_lo, 0x100, v61
	s_delay_alu instid0(VALU_DEP_2) | instskip(NEXT) | instid1(VALU_DEP_1)
	v_and_b32_e32 v51, v51, v52
	v_cmp_gt_i16_e64 s15, 2, v51
	s_cbranch_vccz .LBB19_185
; %bb.179:
	s_delay_alu instid0(VALU_DEP_1)
	s_and_saveexec_b32 s16, s15
	s_cbranch_execz .LBB19_184
; %bb.180:
	s_mov_b32 s17, 0
	s_mov_b32 s15, exec_lo
	v_cmpx_ne_u16_e32 1, v51
	s_xor_b32 s15, exec_lo, s15
	s_cbranch_execnz .LBB19_217
; %bb.181:
	s_and_not1_saveexec_b32 s15, s15
	s_cbranch_execnz .LBB19_233
.LBB19_182:
	s_or_b32 exec_lo, exec_lo, s15
	s_delay_alu instid0(SALU_CYCLE_1)
	s_and_b32 exec_lo, exec_lo, s17
	s_cbranch_execz .LBB19_184
.LBB19_183:
	v_sub_nc_u32_e32 v52, v35, v65
	v_mov_b32_e32 v53, 0
	s_delay_alu instid0(VALU_DEP_1) | instskip(NEXT) | instid1(VALU_DEP_1)
	v_lshlrev_b64 v[52:53], 3, v[52:53]
	v_add_co_u32 v52, vcc_lo, v49, v52
	s_delay_alu instid0(VALU_DEP_2)
	v_add_co_ci_u32_e32 v53, vcc_lo, v50, v53, vcc_lo
	global_store_b64 v[52:53], v[57:58], off
.LBB19_184:
	s_or_b32 exec_lo, exec_lo, s16
	s_mov_b32 s16, 0
.LBB19_185:
	s_delay_alu instid0(SALU_CYCLE_1)
	s_and_b32 vcc_lo, exec_lo, s16
	s_cbranch_vccz .LBB19_195
; %bb.186:
	s_mov_b32 s15, exec_lo
	v_cmpx_gt_i16_e32 2, v51
	s_cbranch_execz .LBB19_191
; %bb.187:
	s_mov_b32 s17, 0
	s_mov_b32 s16, exec_lo
	v_cmpx_ne_u16_e32 1, v51
	s_xor_b32 s16, exec_lo, s16
	s_cbranch_execnz .LBB19_234
; %bb.188:
	s_and_not1_saveexec_b32 s0, s16
	s_cbranch_execnz .LBB19_250
.LBB19_189:
	s_or_b32 exec_lo, exec_lo, s0
	s_delay_alu instid0(SALU_CYCLE_1)
	s_and_b32 exec_lo, exec_lo, s17
	s_cbranch_execz .LBB19_191
.LBB19_190:
	v_sub_nc_u32_e32 v1, v35, v65
	s_delay_alu instid0(VALU_DEP_1)
	v_lshlrev_b32_e32 v1, 3, v1
	ds_store_b64 v1, v[57:58]
.LBB19_191:
	s_or_b32 exec_lo, exec_lo, s15
	s_delay_alu instid0(SALU_CYCLE_1)
	s_mov_b32 s1, exec_lo
	s_waitcnt lgkmcnt(0)
	s_waitcnt_vscnt null, 0x0
	s_barrier
	buffer_gl0_inv
	v_cmpx_lt_u32_e64 v0, v61
	s_cbranch_execz .LBB19_194
; %bb.192:
	v_dual_mov_b32 v2, 0 :: v_dual_lshlrev_b32 v3, 3, v0
	v_mov_b32_e32 v1, v0
	s_mov_b32 s2, 0
	.p2align	6
.LBB19_193:                             ; =>This Inner Loop Header: Depth=1
	ds_load_b64 v[4:5], v3
	v_lshlrev_b64 v[6:7], 3, v[1:2]
	v_add_nc_u32_e32 v1, 0x100, v1
	v_add_nc_u32_e32 v3, 0x800, v3
	s_delay_alu instid0(VALU_DEP_2) | instskip(NEXT) | instid1(VALU_DEP_4)
	v_cmp_ge_u32_e32 vcc_lo, v1, v61
	v_add_co_u32 v6, s0, v49, v6
	s_delay_alu instid0(VALU_DEP_1)
	v_add_co_ci_u32_e64 v7, s0, v50, v7, s0
	s_or_b32 s2, vcc_lo, s2
	s_waitcnt lgkmcnt(0)
	global_store_b64 v[6:7], v[4:5], off
	s_and_not1_b32 exec_lo, exec_lo, s2
	s_cbranch_execnz .LBB19_193
.LBB19_194:
	s_or_b32 exec_lo, exec_lo, s1
.LBB19_195:
	s_cmpk_lg_i32 s33, 0xf00
	v_cmp_eq_u32_e32 vcc_lo, 0, v0
	s_cselect_b32 s0, -1, 0
	v_cndmask_b32_e64 v1, 0, 1, s34
	s_and_b32 s0, s21, s0
	v_mad_i32_i24 v4, v0, -15, s33
	v_cndmask_b32_e64 v3, 0, 1, s0
	s_mul_hi_u32 s0, s33, 0x88888889
	s_and_b32 s1, vcc_lo, s34
	s_lshr_b32 s0, s0, 3
	v_sub_nc_u32_e32 v2, v61, v1
	v_cndmask_b32_e64 v5, v113, 0, s1
	v_cmp_eq_u32_e32 vcc_lo, s0, v0
	v_cmp_ne_u32_e64 s0, 0, v4
	s_mov_b32 s16, -1
	s_waitcnt_vscnt null, 0x0
	s_barrier
	s_and_b32 vcc_lo, s21, vcc_lo
	v_add_nc_u32_e32 v3, v2, v3
	v_cndmask_b32_e64 v2, 1, v5, s0
	v_cmp_ne_u32_e64 s0, 1, v4
	buffer_gl0_inv
	v_cndmask_b32_e32 v2, v5, v2, vcc_lo
	v_cndmask_b32_e64 v6, 1, v112, s0
	v_cmp_ne_u32_e64 s0, 14, v4
	s_delay_alu instid0(VALU_DEP_3) | instskip(NEXT) | instid1(VALU_DEP_3)
	v_cmp_ne_u32_e64 s14, 0, v2
	v_cndmask_b32_e32 v11, v112, v6, vcc_lo
	s_delay_alu instid0(VALU_DEP_3) | instskip(SKIP_1) | instid1(VALU_DEP_3)
	v_cndmask_b32_e64 v7, 1, v106, s0
	v_cmp_ne_u32_e64 s0, 2, v4
	v_cmp_ne_u32_e64 s13, 0, v11
	s_delay_alu instid0(VALU_DEP_3) | instskip(NEXT) | instid1(VALU_DEP_3)
	v_cndmask_b32_e32 v10, v106, v7, vcc_lo
	v_cndmask_b32_e64 v8, 1, v111, s0
	v_cmp_ne_u32_e64 s0, 3, v4
	s_delay_alu instid0(VALU_DEP_1) | instskip(SKIP_1) | instid1(VALU_DEP_2)
	v_cndmask_b32_e64 v9, 1, v110, s0
	v_cmp_ne_u32_e64 s0, 4, v4
	v_dual_cndmask_b32 v8, v111, v8 :: v_dual_cndmask_b32 v9, v110, v9
	s_delay_alu instid0(VALU_DEP_2) | instskip(SKIP_1) | instid1(VALU_DEP_3)
	v_cndmask_b32_e64 v5, 1, v109, s0
	v_cmp_ne_u32_e64 s0, 5, v4
	v_cmp_ne_u32_e64 s12, 0, v8
	s_delay_alu instid0(VALU_DEP_4) | instskip(NEXT) | instid1(VALU_DEP_4)
	v_cmp_ne_u32_e64 s11, 0, v9
	v_cndmask_b32_e32 v16, v109, v5, vcc_lo
	s_delay_alu instid0(VALU_DEP_4) | instskip(SKIP_1) | instid1(VALU_DEP_3)
	v_cndmask_b32_e64 v6, 1, v108, s0
	v_cmp_eq_u32_e64 s0, 0, v2
	v_cmp_ne_u32_e64 s10, 0, v16
	s_delay_alu instid0(VALU_DEP_2) | instskip(SKIP_1) | instid1(VALU_DEP_1)
	v_cndmask_b32_e64 v7, 1, 2, s0
	v_cmp_eq_u32_e64 s0, 0, v11
	v_cndmask_b32_e64 v12, 1, 2, s0
	v_cmp_ne_u32_e64 s0, 6, v4
	s_delay_alu instid0(VALU_DEP_2) | instskip(NEXT) | instid1(VALU_DEP_2)
	v_and_b32_e32 v7, v12, v7
	v_cndmask_b32_e64 v13, 1, v107, s0
	v_cmp_eq_u32_e64 s0, 0, v8
	s_delay_alu instid0(VALU_DEP_2) | instskip(NEXT) | instid1(VALU_DEP_2)
	v_cndmask_b32_e32 v13, v107, v13, vcc_lo
	v_cndmask_b32_e64 v12, 1, 2, s0
	v_cmp_ne_u32_e64 s0, 7, v4
	s_delay_alu instid0(VALU_DEP_3) | instskip(NEXT) | instid1(VALU_DEP_2)
	v_cmp_ne_u32_e64 s8, 0, v13
	v_cndmask_b32_e64 v14, 1, v105, s0
	v_cmp_ne_u32_e64 s0, 8, v4
	s_delay_alu instid0(VALU_DEP_2) | instskip(NEXT) | instid1(VALU_DEP_2)
	v_dual_cndmask_b32 v14, v105, v14 :: v_dual_and_b32 v7, v7, v12
	v_cndmask_b32_e64 v15, 1, v104, s0
	v_cmp_eq_u32_e64 s0, 0, v9
	s_delay_alu instid0(VALU_DEP_3) | instskip(NEXT) | instid1(VALU_DEP_2)
	v_cmp_ne_u32_e64 s7, 0, v14
	v_cndmask_b32_e64 v12, 1, 2, s0
	v_cmp_ne_u32_e64 s0, 9, v4
	s_delay_alu instid0(VALU_DEP_2) | instskip(NEXT) | instid1(VALU_DEP_2)
	v_dual_cndmask_b32 v17, v108, v6 :: v_dual_and_b32 v6, v7, v12
	v_cndmask_b32_e64 v5, 1, v103, s0
	v_cmp_eq_u32_e64 s0, 0, v16
	s_delay_alu instid0(VALU_DEP_3) | instskip(NEXT) | instid1(VALU_DEP_3)
	v_cmp_ne_u32_e64 s9, 0, v17
	v_cndmask_b32_e32 v21, v103, v5, vcc_lo
	s_delay_alu instid0(VALU_DEP_3) | instskip(SKIP_1) | instid1(VALU_DEP_3)
	v_cndmask_b32_e64 v7, 1, 2, s0
	v_cmp_ne_u32_e64 s0, 10, v4
	v_cmp_ne_u32_e64 s5, 0, v21
	s_delay_alu instid0(VALU_DEP_3) | instskip(NEXT) | instid1(VALU_DEP_3)
	v_and_b32_e32 v6, v6, v7
	v_cndmask_b32_e64 v12, 1, v102, s0
	v_cmp_ne_u32_e64 s0, 12, v4
	s_delay_alu instid0(VALU_DEP_2) | instskip(NEXT) | instid1(VALU_DEP_2)
	v_cndmask_b32_e32 v12, v102, v12, vcc_lo
	v_cndmask_b32_e64 v18, 1, v100, s0
	v_cmp_eq_u32_e64 s0, 0, v17
	s_delay_alu instid0(VALU_DEP_2) | instskip(NEXT) | instid1(VALU_DEP_2)
	v_cndmask_b32_e32 v18, v100, v18, vcc_lo
	v_cndmask_b32_e64 v7, 1, 2, s0
	v_cmp_ne_u32_e64 s0, 13, v4
	s_delay_alu instid0(VALU_DEP_3) | instskip(NEXT) | instid1(VALU_DEP_3)
	v_cmp_ne_u32_e64 s2, 0, v18
	v_and_b32_e32 v6, v6, v7
	s_delay_alu instid0(VALU_DEP_3) | instskip(SKIP_1) | instid1(VALU_DEP_2)
	v_cndmask_b32_e64 v19, 1, v99, s0
	v_cmp_eq_u32_e64 s0, 0, v13
	v_cndmask_b32_e32 v19, v99, v19, vcc_lo
	s_delay_alu instid0(VALU_DEP_2) | instskip(SKIP_1) | instid1(VALU_DEP_3)
	v_cndmask_b32_e64 v7, 1, 2, s0
	v_cmp_ne_u32_e64 s0, 11, v4
	v_cmp_ne_u32_e64 s1, 0, v19
	s_delay_alu instid0(VALU_DEP_3) | instskip(NEXT) | instid1(VALU_DEP_3)
	v_and_b32_e32 v6, v6, v7
	v_cndmask_b32_e64 v4, 1, v101, s0
	v_cmp_eq_u32_e64 s0, 0, v14
	s_delay_alu instid0(VALU_DEP_2) | instskip(NEXT) | instid1(VALU_DEP_2)
	v_dual_cndmask_b32 v15, v104, v15 :: v_dual_cndmask_b32 v20, v101, v4
	v_cndmask_b32_e64 v7, 1, 2, s0
	s_delay_alu instid0(VALU_DEP_2)
	v_cmp_eq_u32_e32 vcc_lo, 0, v15
	v_cmp_ne_u32_e64 s6, 0, v15
	v_cmp_ne_u32_e64 s0, 0, v10
	;; [unrolled: 1-line block ×3, first 2 shown]
	v_and_b32_e32 v4, v6, v7
	v_cndmask_b32_e64 v5, 1, 2, vcc_lo
	v_add_co_u32 v6, vcc_lo, s24, v31
	v_add_co_ci_u32_e32 v7, vcc_lo, s25, v32, vcc_lo
	v_cmp_eq_u32_e32 vcc_lo, 0, v21
	s_delay_alu instid0(VALU_DEP_4)
	v_and_b32_e32 v22, v4, v5
	v_cndmask_b32_e64 v23, 1, 2, vcc_lo
	v_add_co_u32 v4, vcc_lo, v6, v33
	v_add_co_ci_u32_e32 v5, vcc_lo, v7, v34, vcc_lo
	v_lshlrev_b32_e32 v6, 3, v1
	v_add_nc_u32_e32 v1, v65, v1
	v_cmp_eq_u32_e32 vcc_lo, 0, v12
	v_and_b32_e32 v7, v22, v23
	v_cmp_ne_u32_e64 s4, 0, v12
	v_cndmask_b32_e64 v22, 1, 2, vcc_lo
	v_add_co_u32 v6, vcc_lo, v6, v4
	v_add_co_ci_u32_e32 v23, vcc_lo, 0, v5, vcc_lo
	v_cmp_eq_u32_e32 vcc_lo, 0, v20
	s_delay_alu instid0(VALU_DEP_4) | instskip(SKIP_4) | instid1(VALU_DEP_4)
	v_and_b32_e32 v22, v7, v22
	v_cndmask_b32_e64 v24, 1, 2, vcc_lo
	v_add_co_u32 v6, vcc_lo, v6, -8
	v_add_co_ci_u32_e32 v7, vcc_lo, -1, v23, vcc_lo
	v_cmp_eq_u32_e32 vcc_lo, 0, v18
	v_and_b32_e32 v22, v22, v24
	v_cndmask_b32_e64 v23, 1, 2, vcc_lo
	v_cmp_eq_u32_e32 vcc_lo, 0, v19
	s_delay_alu instid0(VALU_DEP_2) | instskip(SKIP_2) | instid1(VALU_DEP_2)
	v_and_b32_e32 v2, v22, v23
	v_cndmask_b32_e64 v8, 1, 2, vcc_lo
	v_cmp_eq_u32_e32 vcc_lo, 0, v10
	v_and_b32_e32 v2, v2, v8
	v_cndmask_b32_e64 v8, 1, 2, vcc_lo
	v_cmp_gt_u32_e32 vcc_lo, 0x100, v3
	s_delay_alu instid0(VALU_DEP_2) | instskip(NEXT) | instid1(VALU_DEP_1)
	v_and_b32_e32 v2, v2, v8
	v_cmp_gt_i16_e64 s15, 2, v2
	s_cbranch_vccnz .LBB19_199
; %bb.196:
	s_and_b32 vcc_lo, exec_lo, s16
	s_cbranch_vccnz .LBB19_205
.LBB19_197:
	v_cmp_eq_u32_e32 vcc_lo, 0xff, v0
	s_and_b32 s0, vcc_lo, s21
	s_delay_alu instid0(SALU_CYCLE_1)
	s_and_saveexec_b32 s1, s0
	s_cbranch_execnz .LBB19_214
.LBB19_198:
	s_nop 0
	s_sendmsg sendmsg(MSG_DEALLOC_VGPRS)
	s_endpgm
.LBB19_199:
	s_delay_alu instid0(VALU_DEP_1)
	s_and_saveexec_b32 s16, s15
	s_cbranch_execz .LBB19_204
; %bb.200:
	s_mov_b32 s17, 0
	s_mov_b32 s15, exec_lo
	v_cmpx_ne_u16_e32 1, v2
	s_xor_b32 s15, exec_lo, s15
	s_cbranch_execnz .LBB19_251
; %bb.201:
	s_and_not1_saveexec_b32 s15, s15
	s_cbranch_execnz .LBB19_267
.LBB19_202:
	s_or_b32 exec_lo, exec_lo, s15
	s_delay_alu instid0(SALU_CYCLE_1)
	s_and_b32 exec_lo, exec_lo, s17
	s_cbranch_execz .LBB19_204
.LBB19_203:
	v_sub_nc_u32_e32 v8, v35, v1
	v_mov_b32_e32 v9, 0
	s_delay_alu instid0(VALU_DEP_1) | instskip(NEXT) | instid1(VALU_DEP_1)
	v_lshlrev_b64 v[8:9], 3, v[8:9]
	v_add_co_u32 v8, vcc_lo, v6, v8
	s_delay_alu instid0(VALU_DEP_2)
	v_add_co_ci_u32_e32 v9, vcc_lo, v7, v9, vcc_lo
	global_store_b64 v[8:9], v[85:86], off
.LBB19_204:
	s_or_b32 exec_lo, exec_lo, s16
	s_branch .LBB19_197
.LBB19_205:
	s_mov_b32 s15, exec_lo
	v_cmpx_gt_i16_e32 2, v2
	s_cbranch_execz .LBB19_210
; %bb.206:
	s_mov_b32 s17, 0
	s_mov_b32 s16, exec_lo
	v_cmpx_ne_u16_e32 1, v2
	s_xor_b32 s16, exec_lo, s16
	s_cbranch_execnz .LBB19_268
; %bb.207:
	s_and_not1_saveexec_b32 s0, s16
	s_cbranch_execnz .LBB19_284
.LBB19_208:
	s_or_b32 exec_lo, exec_lo, s0
	s_delay_alu instid0(SALU_CYCLE_1)
	s_and_b32 exec_lo, exec_lo, s17
	s_cbranch_execz .LBB19_210
.LBB19_209:
	v_sub_nc_u32_e32 v1, v35, v1
	s_delay_alu instid0(VALU_DEP_1)
	v_lshlrev_b32_e32 v1, 3, v1
	ds_store_b64 v1, v[85:86]
.LBB19_210:
	s_or_b32 exec_lo, exec_lo, s15
	s_delay_alu instid0(SALU_CYCLE_1)
	s_mov_b32 s1, exec_lo
	s_waitcnt lgkmcnt(0)
	s_waitcnt_vscnt null, 0x0
	s_barrier
	buffer_gl0_inv
	v_cmpx_lt_u32_e64 v0, v3
	s_cbranch_execz .LBB19_213
; %bb.211:
	v_dual_mov_b32 v1, v0 :: v_dual_lshlrev_b32 v8, 3, v0
	v_mov_b32_e32 v2, 0
	s_mov_b32 s2, 0
	.p2align	6
.LBB19_212:                             ; =>This Inner Loop Header: Depth=1
	ds_load_b64 v[9:10], v8
	v_lshlrev_b64 v[11:12], 3, v[1:2]
	v_add_nc_u32_e32 v1, 0x100, v1
	v_add_nc_u32_e32 v8, 0x800, v8
	s_delay_alu instid0(VALU_DEP_2) | instskip(NEXT) | instid1(VALU_DEP_4)
	v_cmp_ge_u32_e32 vcc_lo, v1, v3
	v_add_co_u32 v11, s0, v6, v11
	s_delay_alu instid0(VALU_DEP_1)
	v_add_co_ci_u32_e64 v12, s0, v7, v12, s0
	s_or_b32 s2, vcc_lo, s2
	s_waitcnt lgkmcnt(0)
	global_store_b64 v[11:12], v[9:10], off
	s_and_not1_b32 exec_lo, exec_lo, s2
	s_cbranch_execnz .LBB19_212
.LBB19_213:
	s_or_b32 exec_lo, exec_lo, s1
	v_cmp_eq_u32_e32 vcc_lo, 0xff, v0
	s_and_b32 s0, vcc_lo, s21
	s_delay_alu instid0(SALU_CYCLE_1)
	s_and_saveexec_b32 s1, s0
	s_cbranch_execz .LBB19_198
.LBB19_214:
	v_add_co_u32 v0, s0, v61, v65
	s_delay_alu instid0(VALU_DEP_1) | instskip(SKIP_1) | instid1(VALU_DEP_3)
	v_add_co_ci_u32_e64 v1, null, 0, 0, s0
	v_mov_b32_e32 v62, 0
	v_add_co_u32 v0, vcc_lo, v0, v29
	s_delay_alu instid0(VALU_DEP_3)
	v_add_co_ci_u32_e32 v1, vcc_lo, v1, v30, vcc_lo
	s_cmpk_lg_i32 s33, 0xf00
	global_store_b64 v62, v[0:1], s[26:27]
	s_cbranch_scc1 .LBB19_198
; %bb.215:
	v_lshlrev_b64 v[0:1], 3, v[61:62]
	s_delay_alu instid0(VALU_DEP_1) | instskip(NEXT) | instid1(VALU_DEP_2)
	v_add_co_u32 v0, vcc_lo, v4, v0
	v_add_co_ci_u32_e32 v1, vcc_lo, v5, v1, vcc_lo
	global_store_b64 v[0:1], v[63:64], off offset:-8
	s_nop 0
	s_sendmsg sendmsg(MSG_DEALLOC_VGPRS)
	s_endpgm
.LBB19_216:
	s_or_b32 exec_lo, exec_lo, s2
	v_mov_b32_e32 v113, s1
	s_and_saveexec_b32 s0, s35
	s_cbranch_execnz .LBB19_84
	s_branch .LBB19_85
.LBB19_217:
	s_and_saveexec_b32 s17, s12
	s_cbranch_execnz .LBB19_285
; %bb.218:
	s_or_b32 exec_lo, exec_lo, s17
	s_and_saveexec_b32 s17, s11
	s_cbranch_execnz .LBB19_286
.LBB19_219:
	s_or_b32 exec_lo, exec_lo, s17
	s_and_saveexec_b32 s17, s9
	s_cbranch_execnz .LBB19_287
.LBB19_220:
	s_or_b32 exec_lo, exec_lo, s17
	s_and_saveexec_b32 s17, s8
	s_cbranch_execnz .LBB19_288
.LBB19_221:
	s_or_b32 exec_lo, exec_lo, s17
	s_and_saveexec_b32 s17, s14
	s_cbranch_execnz .LBB19_289
.LBB19_222:
	s_or_b32 exec_lo, exec_lo, s17
	s_and_saveexec_b32 s17, s13
	s_cbranch_execnz .LBB19_290
.LBB19_223:
	s_or_b32 exec_lo, exec_lo, s17
	s_and_saveexec_b32 s17, s10
	s_cbranch_execnz .LBB19_291
.LBB19_224:
	s_or_b32 exec_lo, exec_lo, s17
	s_and_saveexec_b32 s17, s7
	s_cbranch_execnz .LBB19_292
.LBB19_225:
	s_or_b32 exec_lo, exec_lo, s17
	s_and_saveexec_b32 s17, s6
	s_cbranch_execnz .LBB19_293
.LBB19_226:
	s_or_b32 exec_lo, exec_lo, s17
	s_and_saveexec_b32 s17, s5
	s_cbranch_execnz .LBB19_294
.LBB19_227:
	s_or_b32 exec_lo, exec_lo, s17
	s_and_saveexec_b32 s17, s4
	s_cbranch_execnz .LBB19_295
.LBB19_228:
	s_or_b32 exec_lo, exec_lo, s17
	s_and_saveexec_b32 s17, s3
	s_cbranch_execnz .LBB19_296
.LBB19_229:
	s_or_b32 exec_lo, exec_lo, s17
	s_and_saveexec_b32 s17, s2
	s_cbranch_execnz .LBB19_297
.LBB19_230:
	s_or_b32 exec_lo, exec_lo, s17
	s_and_saveexec_b32 s17, s1
	s_cbranch_execz .LBB19_232
.LBB19_231:
	v_sub_nc_u32_e32 v52, v36, v65
	v_mov_b32_e32 v53, 0
	s_delay_alu instid0(VALU_DEP_1) | instskip(NEXT) | instid1(VALU_DEP_1)
	v_lshlrev_b64 v[52:53], 3, v[52:53]
	v_add_co_u32 v52, vcc_lo, v49, v52
	s_delay_alu instid0(VALU_DEP_2)
	v_add_co_ci_u32_e32 v53, vcc_lo, v50, v53, vcc_lo
	global_store_b64 v[52:53], v[3:4], off
.LBB19_232:
	s_or_b32 exec_lo, exec_lo, s17
	s_delay_alu instid0(SALU_CYCLE_1)
	s_and_b32 s17, s0, exec_lo
	s_and_not1_saveexec_b32 s15, s15
	s_cbranch_execz .LBB19_182
.LBB19_233:
	v_sub_nc_u32_e32 v52, v114, v65
	v_mov_b32_e32 v53, 0
	s_or_b32 s17, s17, exec_lo
	s_delay_alu instid0(VALU_DEP_1) | instskip(SKIP_1) | instid1(VALU_DEP_1)
	v_lshlrev_b64 v[54:55], 3, v[52:53]
	v_sub_nc_u32_e32 v52, v46, v65
	v_lshlrev_b64 v[59:60], 3, v[52:53]
	v_sub_nc_u32_e32 v52, v48, v65
	s_delay_alu instid0(VALU_DEP_4) | instskip(SKIP_1) | instid1(VALU_DEP_3)
	v_add_co_u32 v54, vcc_lo, v49, v54
	v_add_co_ci_u32_e32 v55, vcc_lo, v50, v55, vcc_lo
	v_lshlrev_b64 v[97:98], 3, v[52:53]
	v_sub_nc_u32_e32 v52, v47, v65
	v_add_co_u32 v59, vcc_lo, v49, v59
	v_add_co_ci_u32_e32 v60, vcc_lo, v50, v60, vcc_lo
	global_store_b64 v[54:55], v[25:26], off
	v_lshlrev_b64 v[54:55], 3, v[52:53]
	v_sub_nc_u32_e32 v52, v45, v65
	global_store_b64 v[59:60], v[27:28], off
	v_add_co_u32 v59, vcc_lo, v49, v97
	v_add_co_ci_u32_e32 v60, vcc_lo, v50, v98, vcc_lo
	v_lshlrev_b64 v[97:98], 3, v[52:53]
	v_sub_nc_u32_e32 v52, v44, v65
	v_add_co_u32 v54, vcc_lo, v49, v54
	v_add_co_ci_u32_e32 v55, vcc_lo, v50, v55, vcc_lo
	s_delay_alu instid0(VALU_DEP_3) | instskip(SKIP_3) | instid1(VALU_DEP_3)
	v_lshlrev_b64 v[115:116], 3, v[52:53]
	v_sub_nc_u32_e32 v52, v43, v65
	v_add_co_u32 v97, vcc_lo, v49, v97
	v_add_co_ci_u32_e32 v98, vcc_lo, v50, v98, vcc_lo
	v_lshlrev_b64 v[117:118], 3, v[52:53]
	v_sub_nc_u32_e32 v52, v42, v65
	v_add_co_u32 v115, vcc_lo, v49, v115
	v_add_co_ci_u32_e32 v116, vcc_lo, v50, v116, vcc_lo
	s_clause 0x3
	global_store_b64 v[59:60], v[21:22], off
	global_store_b64 v[54:55], v[23:24], off
	;; [unrolled: 1-line block ×4, first 2 shown]
	v_lshlrev_b64 v[54:55], 3, v[52:53]
	v_sub_nc_u32_e32 v52, v41, v65
	v_add_co_u32 v59, vcc_lo, v49, v117
	v_add_co_ci_u32_e32 v60, vcc_lo, v50, v118, vcc_lo
	s_delay_alu instid0(VALU_DEP_3) | instskip(SKIP_3) | instid1(VALU_DEP_3)
	v_lshlrev_b64 v[97:98], 3, v[52:53]
	v_sub_nc_u32_e32 v52, v40, v65
	v_add_co_u32 v54, vcc_lo, v49, v54
	v_add_co_ci_u32_e32 v55, vcc_lo, v50, v55, vcc_lo
	v_lshlrev_b64 v[115:116], 3, v[52:53]
	v_sub_nc_u32_e32 v52, v39, v65
	v_add_co_u32 v97, vcc_lo, v49, v97
	v_add_co_ci_u32_e32 v98, vcc_lo, v50, v98, vcc_lo
	s_delay_alu instid0(VALU_DEP_3)
	v_lshlrev_b64 v[117:118], 3, v[52:53]
	v_sub_nc_u32_e32 v52, v38, v65
	v_add_co_u32 v115, vcc_lo, v49, v115
	v_add_co_ci_u32_e32 v116, vcc_lo, v50, v116, vcc_lo
	s_clause 0x3
	global_store_b64 v[59:60], v[13:14], off
	global_store_b64 v[54:55], v[15:16], off
	;; [unrolled: 1-line block ×4, first 2 shown]
	v_lshlrev_b64 v[54:55], 3, v[52:53]
	v_sub_nc_u32_e32 v52, v37, v65
	v_add_co_u32 v59, vcc_lo, v49, v117
	v_add_co_ci_u32_e32 v60, vcc_lo, v50, v118, vcc_lo
	s_delay_alu instid0(VALU_DEP_3) | instskip(SKIP_3) | instid1(VALU_DEP_3)
	v_lshlrev_b64 v[97:98], 3, v[52:53]
	v_sub_nc_u32_e32 v52, v36, v65
	v_add_co_u32 v54, vcc_lo, v49, v54
	v_add_co_ci_u32_e32 v55, vcc_lo, v50, v55, vcc_lo
	v_lshlrev_b64 v[52:53], 3, v[52:53]
	v_add_co_u32 v97, vcc_lo, v49, v97
	v_add_co_ci_u32_e32 v98, vcc_lo, v50, v98, vcc_lo
	s_clause 0x2
	global_store_b64 v[59:60], v[5:6], off
	global_store_b64 v[54:55], v[7:8], off
	;; [unrolled: 1-line block ×3, first 2 shown]
	v_add_co_u32 v52, vcc_lo, v49, v52
	v_add_co_ci_u32_e32 v53, vcc_lo, v50, v53, vcc_lo
	global_store_b64 v[52:53], v[3:4], off
	s_or_b32 exec_lo, exec_lo, s15
	s_delay_alu instid0(SALU_CYCLE_1)
	s_and_b32 exec_lo, exec_lo, s17
	s_cbranch_execnz .LBB19_183
	s_branch .LBB19_184
.LBB19_234:
	s_and_saveexec_b32 s17, s12
	s_cbranch_execnz .LBB19_298
; %bb.235:
	s_or_b32 exec_lo, exec_lo, s17
	s_and_saveexec_b32 s12, s11
	s_cbranch_execnz .LBB19_299
.LBB19_236:
	s_or_b32 exec_lo, exec_lo, s12
	s_and_saveexec_b32 s11, s9
	s_cbranch_execnz .LBB19_300
.LBB19_237:
	s_or_b32 exec_lo, exec_lo, s11
	s_and_saveexec_b32 s9, s8
	s_cbranch_execnz .LBB19_301
.LBB19_238:
	s_or_b32 exec_lo, exec_lo, s9
	s_and_saveexec_b32 s8, s14
	s_cbranch_execnz .LBB19_302
.LBB19_239:
	s_or_b32 exec_lo, exec_lo, s8
	s_and_saveexec_b32 s8, s13
	s_cbranch_execnz .LBB19_303
.LBB19_240:
	s_or_b32 exec_lo, exec_lo, s8
	s_and_saveexec_b32 s8, s10
	s_cbranch_execnz .LBB19_304
.LBB19_241:
	s_or_b32 exec_lo, exec_lo, s8
	s_and_saveexec_b32 s8, s7
	s_cbranch_execnz .LBB19_305
.LBB19_242:
	s_or_b32 exec_lo, exec_lo, s8
	s_and_saveexec_b32 s7, s6
	s_cbranch_execnz .LBB19_306
.LBB19_243:
	s_or_b32 exec_lo, exec_lo, s7
	s_and_saveexec_b32 s6, s5
	s_cbranch_execnz .LBB19_307
.LBB19_244:
	s_or_b32 exec_lo, exec_lo, s6
	s_and_saveexec_b32 s5, s4
	s_cbranch_execnz .LBB19_308
.LBB19_245:
	s_or_b32 exec_lo, exec_lo, s5
	s_and_saveexec_b32 s4, s3
	s_cbranch_execnz .LBB19_309
.LBB19_246:
	s_or_b32 exec_lo, exec_lo, s4
	s_and_saveexec_b32 s3, s2
	s_cbranch_execnz .LBB19_310
.LBB19_247:
	s_or_b32 exec_lo, exec_lo, s3
	s_and_saveexec_b32 s2, s1
	s_cbranch_execz .LBB19_249
.LBB19_248:
	v_sub_nc_u32_e32 v1, v36, v65
	s_delay_alu instid0(VALU_DEP_1)
	v_lshlrev_b32_e32 v1, 3, v1
	ds_store_b64 v1, v[3:4]
.LBB19_249:
	s_or_b32 exec_lo, exec_lo, s2
	s_delay_alu instid0(SALU_CYCLE_1)
	s_and_b32 s17, s0, exec_lo
                                        ; implicit-def: $vgpr25_vgpr26
                                        ; implicit-def: $vgpr21_vgpr22
                                        ; implicit-def: $vgpr17_vgpr18
                                        ; implicit-def: $vgpr13_vgpr14
                                        ; implicit-def: $vgpr9_vgpr10
                                        ; implicit-def: $vgpr5_vgpr6
                                        ; implicit-def: $vgpr1_vgpr2
	s_and_not1_saveexec_b32 s0, s16
	s_cbranch_execz .LBB19_189
.LBB19_250:
	v_sub_nc_u32_e32 v51, v114, v65
	v_sub_nc_u32_e32 v52, v46, v65
	;; [unrolled: 1-line block ×4, first 2 shown]
	s_or_b32 s17, s17, exec_lo
	v_lshlrev_b32_e32 v51, 3, v51
	v_lshlrev_b32_e32 v52, 3, v52
	;; [unrolled: 1-line block ×4, first 2 shown]
	ds_store_b64 v51, v[25:26]
	ds_store_b64 v52, v[27:28]
	;; [unrolled: 1-line block ×3, first 2 shown]
	v_sub_nc_u32_e32 v21, v45, v65
	v_sub_nc_u32_e32 v22, v44, v65
	ds_store_b64 v54, v[23:24]
	v_sub_nc_u32_e32 v23, v43, v65
	v_sub_nc_u32_e32 v24, v42, v65
	v_lshlrev_b32_e32 v21, 3, v21
	v_sub_nc_u32_e32 v25, v41, v65
	v_lshlrev_b32_e32 v22, 3, v22
	v_lshlrev_b32_e32 v23, 3, v23
	;; [unrolled: 1-line block ×3, first 2 shown]
	ds_store_b64 v21, v[17:18]
	v_lshlrev_b32_e32 v17, 3, v25
	ds_store_b64 v22, v[19:20]
	ds_store_b64 v23, v[13:14]
	;; [unrolled: 1-line block ×3, first 2 shown]
	v_sub_nc_u32_e32 v13, v40, v65
	v_sub_nc_u32_e32 v15, v36, v65
	v_sub_nc_u32_e32 v14, v37, v65
	ds_store_b64 v17, v[9:10]
	v_sub_nc_u32_e32 v9, v39, v65
	v_lshlrev_b32_e32 v13, 3, v13
	v_sub_nc_u32_e32 v10, v38, v65
	v_lshlrev_b32_e32 v14, 3, v14
	s_delay_alu instid0(VALU_DEP_4)
	v_lshlrev_b32_e32 v9, 3, v9
	ds_store_b64 v13, v[11:12]
	v_lshlrev_b32_e32 v11, 3, v15
	v_lshlrev_b32_e32 v10, 3, v10
	ds_store_b64 v9, v[5:6]
	ds_store_b64 v10, v[7:8]
	;; [unrolled: 1-line block ×4, first 2 shown]
	s_or_b32 exec_lo, exec_lo, s0
	s_delay_alu instid0(SALU_CYCLE_1)
	s_and_b32 exec_lo, exec_lo, s17
	s_cbranch_execnz .LBB19_190
	s_branch .LBB19_191
.LBB19_251:
	s_and_saveexec_b32 s17, s14
	s_cbranch_execnz .LBB19_311
; %bb.252:
	s_or_b32 exec_lo, exec_lo, s17
	s_and_saveexec_b32 s17, s13
	s_cbranch_execnz .LBB19_312
.LBB19_253:
	s_or_b32 exec_lo, exec_lo, s17
	s_and_saveexec_b32 s17, s12
	s_cbranch_execnz .LBB19_313
.LBB19_254:
	s_or_b32 exec_lo, exec_lo, s17
	s_and_saveexec_b32 s17, s11
	s_cbranch_execnz .LBB19_314
.LBB19_255:
	s_or_b32 exec_lo, exec_lo, s17
	s_and_saveexec_b32 s17, s10
	s_cbranch_execnz .LBB19_315
.LBB19_256:
	s_or_b32 exec_lo, exec_lo, s17
	s_and_saveexec_b32 s17, s9
	s_cbranch_execnz .LBB19_316
.LBB19_257:
	s_or_b32 exec_lo, exec_lo, s17
	s_and_saveexec_b32 s17, s8
	s_cbranch_execnz .LBB19_317
.LBB19_258:
	s_or_b32 exec_lo, exec_lo, s17
	s_and_saveexec_b32 s17, s7
	s_cbranch_execnz .LBB19_318
.LBB19_259:
	s_or_b32 exec_lo, exec_lo, s17
	s_and_saveexec_b32 s17, s6
	s_cbranch_execnz .LBB19_319
.LBB19_260:
	s_or_b32 exec_lo, exec_lo, s17
	s_and_saveexec_b32 s17, s5
	s_cbranch_execnz .LBB19_320
.LBB19_261:
	s_or_b32 exec_lo, exec_lo, s17
	s_and_saveexec_b32 s17, s4
	s_cbranch_execnz .LBB19_321
.LBB19_262:
	s_or_b32 exec_lo, exec_lo, s17
	s_and_saveexec_b32 s17, s3
	s_cbranch_execnz .LBB19_322
.LBB19_263:
	s_or_b32 exec_lo, exec_lo, s17
	s_and_saveexec_b32 s17, s2
	s_cbranch_execnz .LBB19_323
.LBB19_264:
	s_or_b32 exec_lo, exec_lo, s17
	s_and_saveexec_b32 s17, s1
	s_cbranch_execz .LBB19_266
.LBB19_265:
	v_sub_nc_u32_e32 v8, v36, v1
	v_mov_b32_e32 v9, 0
	s_delay_alu instid0(VALU_DEP_1) | instskip(NEXT) | instid1(VALU_DEP_1)
	v_lshlrev_b64 v[8:9], 3, v[8:9]
	v_add_co_u32 v8, vcc_lo, v6, v8
	s_delay_alu instid0(VALU_DEP_2)
	v_add_co_ci_u32_e32 v9, vcc_lo, v7, v9, vcc_lo
	global_store_b64 v[8:9], v[95:96], off
.LBB19_266:
	s_or_b32 exec_lo, exec_lo, s17
	s_delay_alu instid0(SALU_CYCLE_1)
	s_and_b32 s17, s0, exec_lo
	s_and_not1_saveexec_b32 s15, s15
	s_cbranch_execz .LBB19_202
.LBB19_267:
	v_sub_nc_u32_e32 v8, v114, v1
	v_mov_b32_e32 v9, 0
	s_or_b32 s17, s17, exec_lo
	s_delay_alu instid0(VALU_DEP_1) | instskip(SKIP_1) | instid1(VALU_DEP_1)
	v_lshlrev_b64 v[10:11], 3, v[8:9]
	v_sub_nc_u32_e32 v8, v46, v1
	v_lshlrev_b64 v[12:13], 3, v[8:9]
	v_sub_nc_u32_e32 v8, v48, v1
	s_delay_alu instid0(VALU_DEP_4) | instskip(SKIP_1) | instid1(VALU_DEP_3)
	v_add_co_u32 v10, vcc_lo, v6, v10
	v_add_co_ci_u32_e32 v11, vcc_lo, v7, v11, vcc_lo
	v_lshlrev_b64 v[14:15], 3, v[8:9]
	v_sub_nc_u32_e32 v8, v47, v1
	v_add_co_u32 v12, vcc_lo, v6, v12
	v_add_co_ci_u32_e32 v13, vcc_lo, v7, v13, vcc_lo
	global_store_b64 v[10:11], v[87:88], off
	v_lshlrev_b64 v[10:11], 3, v[8:9]
	v_sub_nc_u32_e32 v8, v45, v1
	global_store_b64 v[12:13], v[89:90], off
	v_add_co_u32 v12, vcc_lo, v6, v14
	v_add_co_ci_u32_e32 v13, vcc_lo, v7, v15, vcc_lo
	v_lshlrev_b64 v[14:15], 3, v[8:9]
	v_sub_nc_u32_e32 v8, v44, v1
	v_add_co_u32 v10, vcc_lo, v6, v10
	v_add_co_ci_u32_e32 v11, vcc_lo, v7, v11, vcc_lo
	s_delay_alu instid0(VALU_DEP_3) | instskip(SKIP_3) | instid1(VALU_DEP_3)
	v_lshlrev_b64 v[16:17], 3, v[8:9]
	v_sub_nc_u32_e32 v8, v43, v1
	v_add_co_u32 v14, vcc_lo, v6, v14
	v_add_co_ci_u32_e32 v15, vcc_lo, v7, v15, vcc_lo
	v_lshlrev_b64 v[18:19], 3, v[8:9]
	v_sub_nc_u32_e32 v8, v42, v1
	v_add_co_u32 v16, vcc_lo, v6, v16
	v_add_co_ci_u32_e32 v17, vcc_lo, v7, v17, vcc_lo
	s_clause 0x3
	global_store_b64 v[12:13], v[93:94], off
	global_store_b64 v[10:11], v[91:92], off
	;; [unrolled: 1-line block ×4, first 2 shown]
	v_lshlrev_b64 v[10:11], 3, v[8:9]
	v_sub_nc_u32_e32 v8, v41, v1
	v_add_co_u32 v12, vcc_lo, v6, v18
	v_add_co_ci_u32_e32 v13, vcc_lo, v7, v19, vcc_lo
	s_delay_alu instid0(VALU_DEP_3) | instskip(SKIP_3) | instid1(VALU_DEP_3)
	v_lshlrev_b64 v[14:15], 3, v[8:9]
	v_sub_nc_u32_e32 v8, v40, v1
	v_add_co_u32 v10, vcc_lo, v6, v10
	v_add_co_ci_u32_e32 v11, vcc_lo, v7, v11, vcc_lo
	v_lshlrev_b64 v[16:17], 3, v[8:9]
	v_sub_nc_u32_e32 v8, v39, v1
	v_add_co_u32 v14, vcc_lo, v6, v14
	v_add_co_ci_u32_e32 v15, vcc_lo, v7, v15, vcc_lo
	s_delay_alu instid0(VALU_DEP_3)
	v_lshlrev_b64 v[18:19], 3, v[8:9]
	v_sub_nc_u32_e32 v8, v38, v1
	v_add_co_u32 v16, vcc_lo, v6, v16
	v_add_co_ci_u32_e32 v17, vcc_lo, v7, v17, vcc_lo
	s_clause 0x3
	global_store_b64 v[12:13], v[79:80], off
	global_store_b64 v[10:11], v[83:84], off
	;; [unrolled: 1-line block ×4, first 2 shown]
	v_lshlrev_b64 v[10:11], 3, v[8:9]
	v_sub_nc_u32_e32 v8, v37, v1
	v_add_co_u32 v12, vcc_lo, v6, v18
	v_add_co_ci_u32_e32 v13, vcc_lo, v7, v19, vcc_lo
	s_delay_alu instid0(VALU_DEP_3) | instskip(SKIP_3) | instid1(VALU_DEP_3)
	v_lshlrev_b64 v[14:15], 3, v[8:9]
	v_sub_nc_u32_e32 v8, v36, v1
	v_add_co_u32 v10, vcc_lo, v6, v10
	v_add_co_ci_u32_e32 v11, vcc_lo, v7, v11, vcc_lo
	v_lshlrev_b64 v[8:9], 3, v[8:9]
	v_add_co_u32 v14, vcc_lo, v6, v14
	v_add_co_ci_u32_e32 v15, vcc_lo, v7, v15, vcc_lo
	s_clause 0x2
	global_store_b64 v[12:13], v[69:70], off
	global_store_b64 v[10:11], v[71:72], off
	;; [unrolled: 1-line block ×3, first 2 shown]
	v_add_co_u32 v8, vcc_lo, v6, v8
	v_add_co_ci_u32_e32 v9, vcc_lo, v7, v9, vcc_lo
	global_store_b64 v[8:9], v[95:96], off
	s_or_b32 exec_lo, exec_lo, s15
	s_delay_alu instid0(SALU_CYCLE_1)
	s_and_b32 exec_lo, exec_lo, s17
	s_cbranch_execnz .LBB19_203
	s_branch .LBB19_204
.LBB19_268:
	s_and_saveexec_b32 s17, s14
	s_cbranch_execnz .LBB19_324
; %bb.269:
	s_or_b32 exec_lo, exec_lo, s17
	s_and_saveexec_b32 s14, s13
	s_cbranch_execnz .LBB19_325
.LBB19_270:
	s_or_b32 exec_lo, exec_lo, s14
	s_and_saveexec_b32 s13, s12
	s_cbranch_execnz .LBB19_326
.LBB19_271:
	s_or_b32 exec_lo, exec_lo, s13
	s_and_saveexec_b32 s12, s11
	s_cbranch_execnz .LBB19_327
.LBB19_272:
	s_or_b32 exec_lo, exec_lo, s12
	s_and_saveexec_b32 s11, s10
	s_cbranch_execnz .LBB19_328
.LBB19_273:
	s_or_b32 exec_lo, exec_lo, s11
	s_and_saveexec_b32 s10, s9
	s_cbranch_execnz .LBB19_329
.LBB19_274:
	s_or_b32 exec_lo, exec_lo, s10
	s_and_saveexec_b32 s9, s8
	s_cbranch_execnz .LBB19_330
.LBB19_275:
	s_or_b32 exec_lo, exec_lo, s9
	s_and_saveexec_b32 s8, s7
	s_cbranch_execnz .LBB19_331
.LBB19_276:
	s_or_b32 exec_lo, exec_lo, s8
	s_and_saveexec_b32 s7, s6
	s_cbranch_execnz .LBB19_332
.LBB19_277:
	s_or_b32 exec_lo, exec_lo, s7
	s_and_saveexec_b32 s6, s5
	s_cbranch_execnz .LBB19_333
.LBB19_278:
	s_or_b32 exec_lo, exec_lo, s6
	s_and_saveexec_b32 s5, s4
	s_cbranch_execnz .LBB19_334
.LBB19_279:
	s_or_b32 exec_lo, exec_lo, s5
	s_and_saveexec_b32 s4, s3
	s_cbranch_execnz .LBB19_335
.LBB19_280:
	s_or_b32 exec_lo, exec_lo, s4
	s_and_saveexec_b32 s3, s2
	s_cbranch_execnz .LBB19_336
.LBB19_281:
	s_or_b32 exec_lo, exec_lo, s3
	s_and_saveexec_b32 s2, s1
	s_cbranch_execz .LBB19_283
.LBB19_282:
	v_sub_nc_u32_e32 v2, v36, v1
	s_delay_alu instid0(VALU_DEP_1)
	v_lshlrev_b32_e32 v2, 3, v2
	ds_store_b64 v2, v[95:96]
.LBB19_283:
	s_or_b32 exec_lo, exec_lo, s2
	s_delay_alu instid0(SALU_CYCLE_1)
	s_and_b32 s17, s0, exec_lo
                                        ; implicit-def: $vgpr87_vgpr88
                                        ; implicit-def: $vgpr89_vgpr90
                                        ; implicit-def: $vgpr93_vgpr94
                                        ; implicit-def: $vgpr91_vgpr92
                                        ; implicit-def: $vgpr75_vgpr76
                                        ; implicit-def: $vgpr77_vgpr78
                                        ; implicit-def: $vgpr79_vgpr80
                                        ; implicit-def: $vgpr83_vgpr84
                                        ; implicit-def: $vgpr81_vgpr82
                                        ; implicit-def: $vgpr67_vgpr68
                                        ; implicit-def: $vgpr69_vgpr70
                                        ; implicit-def: $vgpr71_vgpr72
                                        ; implicit-def: $vgpr73_vgpr74
                                        ; implicit-def: $vgpr95_vgpr96
                                        ; implicit-def: $vgpr114
                                        ; implicit-def: $vgpr46
                                        ; implicit-def: $vgpr48
                                        ; implicit-def: $vgpr47
                                        ; implicit-def: $vgpr45
                                        ; implicit-def: $vgpr44
                                        ; implicit-def: $vgpr43
                                        ; implicit-def: $vgpr42
                                        ; implicit-def: $vgpr41
                                        ; implicit-def: $vgpr40
                                        ; implicit-def: $vgpr39
                                        ; implicit-def: $vgpr38
                                        ; implicit-def: $vgpr37
                                        ; implicit-def: $vgpr36
	s_and_not1_saveexec_b32 s0, s16
	s_cbranch_execz .LBB19_208
.LBB19_284:
	v_sub_nc_u32_e32 v2, v114, v1
	v_sub_nc_u32_e32 v8, v46, v1
	v_sub_nc_u32_e32 v9, v48, v1
	v_sub_nc_u32_e32 v10, v47, v1
	v_sub_nc_u32_e32 v11, v41, v1
	v_lshlrev_b32_e32 v2, 3, v2
	v_lshlrev_b32_e32 v8, 3, v8
	;; [unrolled: 1-line block ×4, first 2 shown]
	s_or_b32 s17, s17, exec_lo
	ds_store_b64 v2, v[87:88]
	ds_store_b64 v8, v[89:90]
	;; [unrolled: 1-line block ×3, first 2 shown]
	v_sub_nc_u32_e32 v2, v45, v1
	v_sub_nc_u32_e32 v8, v44, v1
	;; [unrolled: 1-line block ×3, first 2 shown]
	ds_store_b64 v10, v[91:92]
	v_sub_nc_u32_e32 v10, v42, v1
	v_lshlrev_b32_e32 v2, 3, v2
	v_lshlrev_b32_e32 v8, 3, v8
	;; [unrolled: 1-line block ×3, first 2 shown]
	s_delay_alu instid0(VALU_DEP_4)
	v_lshlrev_b32_e32 v10, 3, v10
	ds_store_b64 v2, v[75:76]
	v_lshlrev_b32_e32 v2, 3, v11
	ds_store_b64 v8, v[77:78]
	ds_store_b64 v9, v[79:80]
	;; [unrolled: 1-line block ×3, first 2 shown]
	v_sub_nc_u32_e32 v8, v40, v1
	v_sub_nc_u32_e32 v11, v36, v1
	;; [unrolled: 1-line block ×3, first 2 shown]
	ds_store_b64 v2, v[81:82]
	v_sub_nc_u32_e32 v2, v39, v1
	v_lshlrev_b32_e32 v8, 3, v8
	v_sub_nc_u32_e32 v10, v37, v1
	v_lshlrev_b32_e32 v9, 3, v9
	s_delay_alu instid0(VALU_DEP_4)
	v_lshlrev_b32_e32 v2, 3, v2
	ds_store_b64 v8, v[67:68]
	v_lshlrev_b32_e32 v8, 3, v11
	v_lshlrev_b32_e32 v10, 3, v10
	ds_store_b64 v2, v[69:70]
	ds_store_b64 v9, v[71:72]
	;; [unrolled: 1-line block ×4, first 2 shown]
	s_or_b32 exec_lo, exec_lo, s0
	s_delay_alu instid0(SALU_CYCLE_1)
	s_and_b32 exec_lo, exec_lo, s17
	s_cbranch_execnz .LBB19_209
	s_branch .LBB19_210
.LBB19_285:
	v_sub_nc_u32_e32 v52, v114, v65
	v_mov_b32_e32 v53, 0
	s_delay_alu instid0(VALU_DEP_1) | instskip(NEXT) | instid1(VALU_DEP_1)
	v_lshlrev_b64 v[52:53], 3, v[52:53]
	v_add_co_u32 v52, vcc_lo, v49, v52
	s_delay_alu instid0(VALU_DEP_2)
	v_add_co_ci_u32_e32 v53, vcc_lo, v50, v53, vcc_lo
	global_store_b64 v[52:53], v[25:26], off
	s_or_b32 exec_lo, exec_lo, s17
	s_and_saveexec_b32 s17, s11
	s_cbranch_execz .LBB19_219
.LBB19_286:
	v_sub_nc_u32_e32 v52, v46, v65
	v_mov_b32_e32 v53, 0
	s_delay_alu instid0(VALU_DEP_1) | instskip(NEXT) | instid1(VALU_DEP_1)
	v_lshlrev_b64 v[52:53], 3, v[52:53]
	v_add_co_u32 v52, vcc_lo, v49, v52
	s_delay_alu instid0(VALU_DEP_2)
	v_add_co_ci_u32_e32 v53, vcc_lo, v50, v53, vcc_lo
	global_store_b64 v[52:53], v[27:28], off
	s_or_b32 exec_lo, exec_lo, s17
	s_and_saveexec_b32 s17, s9
	s_cbranch_execz .LBB19_220
.LBB19_287:
	v_sub_nc_u32_e32 v52, v48, v65
	v_mov_b32_e32 v53, 0
	s_delay_alu instid0(VALU_DEP_1) | instskip(NEXT) | instid1(VALU_DEP_1)
	v_lshlrev_b64 v[52:53], 3, v[52:53]
	v_add_co_u32 v52, vcc_lo, v49, v52
	s_delay_alu instid0(VALU_DEP_2)
	v_add_co_ci_u32_e32 v53, vcc_lo, v50, v53, vcc_lo
	global_store_b64 v[52:53], v[21:22], off
	s_or_b32 exec_lo, exec_lo, s17
	s_and_saveexec_b32 s17, s8
	s_cbranch_execz .LBB19_221
.LBB19_288:
	v_sub_nc_u32_e32 v52, v47, v65
	v_mov_b32_e32 v53, 0
	s_delay_alu instid0(VALU_DEP_1) | instskip(NEXT) | instid1(VALU_DEP_1)
	v_lshlrev_b64 v[52:53], 3, v[52:53]
	v_add_co_u32 v52, vcc_lo, v49, v52
	s_delay_alu instid0(VALU_DEP_2)
	v_add_co_ci_u32_e32 v53, vcc_lo, v50, v53, vcc_lo
	global_store_b64 v[52:53], v[23:24], off
	s_or_b32 exec_lo, exec_lo, s17
	s_and_saveexec_b32 s17, s14
	s_cbranch_execz .LBB19_222
.LBB19_289:
	v_sub_nc_u32_e32 v52, v45, v65
	v_mov_b32_e32 v53, 0
	s_delay_alu instid0(VALU_DEP_1) | instskip(NEXT) | instid1(VALU_DEP_1)
	v_lshlrev_b64 v[52:53], 3, v[52:53]
	v_add_co_u32 v52, vcc_lo, v49, v52
	s_delay_alu instid0(VALU_DEP_2)
	v_add_co_ci_u32_e32 v53, vcc_lo, v50, v53, vcc_lo
	global_store_b64 v[52:53], v[17:18], off
	s_or_b32 exec_lo, exec_lo, s17
	s_and_saveexec_b32 s17, s13
	s_cbranch_execz .LBB19_223
.LBB19_290:
	v_sub_nc_u32_e32 v52, v44, v65
	v_mov_b32_e32 v53, 0
	s_delay_alu instid0(VALU_DEP_1) | instskip(NEXT) | instid1(VALU_DEP_1)
	v_lshlrev_b64 v[52:53], 3, v[52:53]
	v_add_co_u32 v52, vcc_lo, v49, v52
	s_delay_alu instid0(VALU_DEP_2)
	v_add_co_ci_u32_e32 v53, vcc_lo, v50, v53, vcc_lo
	global_store_b64 v[52:53], v[19:20], off
	s_or_b32 exec_lo, exec_lo, s17
	s_and_saveexec_b32 s17, s10
	s_cbranch_execz .LBB19_224
.LBB19_291:
	v_sub_nc_u32_e32 v52, v43, v65
	v_mov_b32_e32 v53, 0
	s_delay_alu instid0(VALU_DEP_1) | instskip(NEXT) | instid1(VALU_DEP_1)
	v_lshlrev_b64 v[52:53], 3, v[52:53]
	v_add_co_u32 v52, vcc_lo, v49, v52
	s_delay_alu instid0(VALU_DEP_2)
	v_add_co_ci_u32_e32 v53, vcc_lo, v50, v53, vcc_lo
	global_store_b64 v[52:53], v[13:14], off
	s_or_b32 exec_lo, exec_lo, s17
	s_and_saveexec_b32 s17, s7
	s_cbranch_execz .LBB19_225
.LBB19_292:
	v_sub_nc_u32_e32 v52, v42, v65
	v_mov_b32_e32 v53, 0
	s_delay_alu instid0(VALU_DEP_1) | instskip(NEXT) | instid1(VALU_DEP_1)
	v_lshlrev_b64 v[52:53], 3, v[52:53]
	v_add_co_u32 v52, vcc_lo, v49, v52
	s_delay_alu instid0(VALU_DEP_2)
	v_add_co_ci_u32_e32 v53, vcc_lo, v50, v53, vcc_lo
	global_store_b64 v[52:53], v[15:16], off
	s_or_b32 exec_lo, exec_lo, s17
	s_and_saveexec_b32 s17, s6
	s_cbranch_execz .LBB19_226
.LBB19_293:
	v_sub_nc_u32_e32 v52, v41, v65
	v_mov_b32_e32 v53, 0
	s_delay_alu instid0(VALU_DEP_1) | instskip(NEXT) | instid1(VALU_DEP_1)
	v_lshlrev_b64 v[52:53], 3, v[52:53]
	v_add_co_u32 v52, vcc_lo, v49, v52
	s_delay_alu instid0(VALU_DEP_2)
	v_add_co_ci_u32_e32 v53, vcc_lo, v50, v53, vcc_lo
	global_store_b64 v[52:53], v[9:10], off
	s_or_b32 exec_lo, exec_lo, s17
	s_and_saveexec_b32 s17, s5
	s_cbranch_execz .LBB19_227
.LBB19_294:
	v_sub_nc_u32_e32 v52, v40, v65
	v_mov_b32_e32 v53, 0
	s_delay_alu instid0(VALU_DEP_1) | instskip(NEXT) | instid1(VALU_DEP_1)
	v_lshlrev_b64 v[52:53], 3, v[52:53]
	v_add_co_u32 v52, vcc_lo, v49, v52
	s_delay_alu instid0(VALU_DEP_2)
	v_add_co_ci_u32_e32 v53, vcc_lo, v50, v53, vcc_lo
	global_store_b64 v[52:53], v[11:12], off
	s_or_b32 exec_lo, exec_lo, s17
	s_and_saveexec_b32 s17, s4
	s_cbranch_execz .LBB19_228
.LBB19_295:
	v_sub_nc_u32_e32 v52, v39, v65
	v_mov_b32_e32 v53, 0
	s_delay_alu instid0(VALU_DEP_1) | instskip(NEXT) | instid1(VALU_DEP_1)
	v_lshlrev_b64 v[52:53], 3, v[52:53]
	v_add_co_u32 v52, vcc_lo, v49, v52
	s_delay_alu instid0(VALU_DEP_2)
	v_add_co_ci_u32_e32 v53, vcc_lo, v50, v53, vcc_lo
	global_store_b64 v[52:53], v[5:6], off
	s_or_b32 exec_lo, exec_lo, s17
	s_and_saveexec_b32 s17, s3
	s_cbranch_execz .LBB19_229
.LBB19_296:
	v_sub_nc_u32_e32 v52, v38, v65
	v_mov_b32_e32 v53, 0
	s_delay_alu instid0(VALU_DEP_1) | instskip(NEXT) | instid1(VALU_DEP_1)
	v_lshlrev_b64 v[52:53], 3, v[52:53]
	v_add_co_u32 v52, vcc_lo, v49, v52
	s_delay_alu instid0(VALU_DEP_2)
	v_add_co_ci_u32_e32 v53, vcc_lo, v50, v53, vcc_lo
	global_store_b64 v[52:53], v[7:8], off
	s_or_b32 exec_lo, exec_lo, s17
	s_and_saveexec_b32 s17, s2
	s_cbranch_execz .LBB19_230
.LBB19_297:
	v_sub_nc_u32_e32 v52, v37, v65
	v_mov_b32_e32 v53, 0
	s_delay_alu instid0(VALU_DEP_1) | instskip(NEXT) | instid1(VALU_DEP_1)
	v_lshlrev_b64 v[52:53], 3, v[52:53]
	v_add_co_u32 v52, vcc_lo, v49, v52
	s_delay_alu instid0(VALU_DEP_2)
	v_add_co_ci_u32_e32 v53, vcc_lo, v50, v53, vcc_lo
	global_store_b64 v[52:53], v[1:2], off
	s_or_b32 exec_lo, exec_lo, s17
	s_and_saveexec_b32 s17, s1
	s_cbranch_execnz .LBB19_231
	s_branch .LBB19_232
.LBB19_298:
	v_sub_nc_u32_e32 v51, v114, v65
	s_delay_alu instid0(VALU_DEP_1)
	v_lshlrev_b32_e32 v51, 3, v51
	ds_store_b64 v51, v[25:26]
	s_or_b32 exec_lo, exec_lo, s17
	s_and_saveexec_b32 s12, s11
	s_cbranch_execz .LBB19_236
.LBB19_299:
	v_sub_nc_u32_e32 v25, v46, v65
	s_delay_alu instid0(VALU_DEP_1)
	v_lshlrev_b32_e32 v25, 3, v25
	ds_store_b64 v25, v[27:28]
	s_or_b32 exec_lo, exec_lo, s12
	s_and_saveexec_b32 s11, s9
	s_cbranch_execz .LBB19_237
.LBB19_300:
	v_sub_nc_u32_e32 v25, v48, v65
	s_delay_alu instid0(VALU_DEP_1)
	v_lshlrev_b32_e32 v25, 3, v25
	ds_store_b64 v25, v[21:22]
	s_or_b32 exec_lo, exec_lo, s11
	s_and_saveexec_b32 s9, s8
	s_cbranch_execz .LBB19_238
.LBB19_301:
	v_sub_nc_u32_e32 v21, v47, v65
	s_delay_alu instid0(VALU_DEP_1)
	v_lshlrev_b32_e32 v21, 3, v21
	ds_store_b64 v21, v[23:24]
	s_or_b32 exec_lo, exec_lo, s9
	s_and_saveexec_b32 s8, s14
	s_cbranch_execz .LBB19_239
.LBB19_302:
	v_sub_nc_u32_e32 v21, v45, v65
	s_delay_alu instid0(VALU_DEP_1)
	v_lshlrev_b32_e32 v21, 3, v21
	ds_store_b64 v21, v[17:18]
	s_or_b32 exec_lo, exec_lo, s8
	s_and_saveexec_b32 s8, s13
	s_cbranch_execz .LBB19_240
.LBB19_303:
	v_sub_nc_u32_e32 v17, v44, v65
	s_delay_alu instid0(VALU_DEP_1)
	v_lshlrev_b32_e32 v17, 3, v17
	ds_store_b64 v17, v[19:20]
	s_or_b32 exec_lo, exec_lo, s8
	s_and_saveexec_b32 s8, s10
	s_cbranch_execz .LBB19_241
.LBB19_304:
	v_sub_nc_u32_e32 v17, v43, v65
	s_delay_alu instid0(VALU_DEP_1)
	v_lshlrev_b32_e32 v17, 3, v17
	ds_store_b64 v17, v[13:14]
	s_or_b32 exec_lo, exec_lo, s8
	s_and_saveexec_b32 s8, s7
	s_cbranch_execz .LBB19_242
.LBB19_305:
	v_sub_nc_u32_e32 v13, v42, v65
	s_delay_alu instid0(VALU_DEP_1)
	v_lshlrev_b32_e32 v13, 3, v13
	ds_store_b64 v13, v[15:16]
	s_or_b32 exec_lo, exec_lo, s8
	s_and_saveexec_b32 s7, s6
	s_cbranch_execz .LBB19_243
.LBB19_306:
	v_sub_nc_u32_e32 v13, v41, v65
	s_delay_alu instid0(VALU_DEP_1)
	v_lshlrev_b32_e32 v13, 3, v13
	ds_store_b64 v13, v[9:10]
	s_or_b32 exec_lo, exec_lo, s7
	s_and_saveexec_b32 s6, s5
	s_cbranch_execz .LBB19_244
.LBB19_307:
	v_sub_nc_u32_e32 v9, v40, v65
	s_delay_alu instid0(VALU_DEP_1)
	v_lshlrev_b32_e32 v9, 3, v9
	ds_store_b64 v9, v[11:12]
	s_or_b32 exec_lo, exec_lo, s6
	s_and_saveexec_b32 s5, s4
	s_cbranch_execz .LBB19_245
.LBB19_308:
	v_sub_nc_u32_e32 v9, v39, v65
	s_delay_alu instid0(VALU_DEP_1)
	v_lshlrev_b32_e32 v9, 3, v9
	ds_store_b64 v9, v[5:6]
	s_or_b32 exec_lo, exec_lo, s5
	s_and_saveexec_b32 s4, s3
	s_cbranch_execz .LBB19_246
.LBB19_309:
	v_sub_nc_u32_e32 v5, v38, v65
	s_delay_alu instid0(VALU_DEP_1)
	v_lshlrev_b32_e32 v5, 3, v5
	ds_store_b64 v5, v[7:8]
	s_or_b32 exec_lo, exec_lo, s4
	s_and_saveexec_b32 s3, s2
	s_cbranch_execz .LBB19_247
.LBB19_310:
	v_sub_nc_u32_e32 v5, v37, v65
	s_delay_alu instid0(VALU_DEP_1)
	v_lshlrev_b32_e32 v5, 3, v5
	ds_store_b64 v5, v[1:2]
	s_or_b32 exec_lo, exec_lo, s3
	s_and_saveexec_b32 s2, s1
	s_cbranch_execnz .LBB19_248
	s_branch .LBB19_249
.LBB19_311:
	v_sub_nc_u32_e32 v8, v114, v1
	v_mov_b32_e32 v9, 0
	s_delay_alu instid0(VALU_DEP_1) | instskip(NEXT) | instid1(VALU_DEP_1)
	v_lshlrev_b64 v[8:9], 3, v[8:9]
	v_add_co_u32 v8, vcc_lo, v6, v8
	s_delay_alu instid0(VALU_DEP_2)
	v_add_co_ci_u32_e32 v9, vcc_lo, v7, v9, vcc_lo
	global_store_b64 v[8:9], v[87:88], off
	s_or_b32 exec_lo, exec_lo, s17
	s_and_saveexec_b32 s17, s13
	s_cbranch_execz .LBB19_253
.LBB19_312:
	v_sub_nc_u32_e32 v8, v46, v1
	v_mov_b32_e32 v9, 0
	s_delay_alu instid0(VALU_DEP_1) | instskip(NEXT) | instid1(VALU_DEP_1)
	v_lshlrev_b64 v[8:9], 3, v[8:9]
	v_add_co_u32 v8, vcc_lo, v6, v8
	s_delay_alu instid0(VALU_DEP_2)
	v_add_co_ci_u32_e32 v9, vcc_lo, v7, v9, vcc_lo
	global_store_b64 v[8:9], v[89:90], off
	s_or_b32 exec_lo, exec_lo, s17
	s_and_saveexec_b32 s17, s12
	s_cbranch_execz .LBB19_254
.LBB19_313:
	v_sub_nc_u32_e32 v8, v48, v1
	v_mov_b32_e32 v9, 0
	s_delay_alu instid0(VALU_DEP_1) | instskip(NEXT) | instid1(VALU_DEP_1)
	v_lshlrev_b64 v[8:9], 3, v[8:9]
	v_add_co_u32 v8, vcc_lo, v6, v8
	s_delay_alu instid0(VALU_DEP_2)
	v_add_co_ci_u32_e32 v9, vcc_lo, v7, v9, vcc_lo
	global_store_b64 v[8:9], v[93:94], off
	s_or_b32 exec_lo, exec_lo, s17
	s_and_saveexec_b32 s17, s11
	s_cbranch_execz .LBB19_255
.LBB19_314:
	v_sub_nc_u32_e32 v8, v47, v1
	v_mov_b32_e32 v9, 0
	s_delay_alu instid0(VALU_DEP_1) | instskip(NEXT) | instid1(VALU_DEP_1)
	v_lshlrev_b64 v[8:9], 3, v[8:9]
	v_add_co_u32 v8, vcc_lo, v6, v8
	s_delay_alu instid0(VALU_DEP_2)
	v_add_co_ci_u32_e32 v9, vcc_lo, v7, v9, vcc_lo
	global_store_b64 v[8:9], v[91:92], off
	s_or_b32 exec_lo, exec_lo, s17
	s_and_saveexec_b32 s17, s10
	s_cbranch_execz .LBB19_256
.LBB19_315:
	v_sub_nc_u32_e32 v8, v45, v1
	v_mov_b32_e32 v9, 0
	s_delay_alu instid0(VALU_DEP_1) | instskip(NEXT) | instid1(VALU_DEP_1)
	v_lshlrev_b64 v[8:9], 3, v[8:9]
	v_add_co_u32 v8, vcc_lo, v6, v8
	s_delay_alu instid0(VALU_DEP_2)
	v_add_co_ci_u32_e32 v9, vcc_lo, v7, v9, vcc_lo
	global_store_b64 v[8:9], v[75:76], off
	s_or_b32 exec_lo, exec_lo, s17
	s_and_saveexec_b32 s17, s9
	s_cbranch_execz .LBB19_257
.LBB19_316:
	v_sub_nc_u32_e32 v8, v44, v1
	v_mov_b32_e32 v9, 0
	s_delay_alu instid0(VALU_DEP_1) | instskip(NEXT) | instid1(VALU_DEP_1)
	v_lshlrev_b64 v[8:9], 3, v[8:9]
	v_add_co_u32 v8, vcc_lo, v6, v8
	s_delay_alu instid0(VALU_DEP_2)
	v_add_co_ci_u32_e32 v9, vcc_lo, v7, v9, vcc_lo
	global_store_b64 v[8:9], v[77:78], off
	s_or_b32 exec_lo, exec_lo, s17
	s_and_saveexec_b32 s17, s8
	s_cbranch_execz .LBB19_258
.LBB19_317:
	v_sub_nc_u32_e32 v8, v43, v1
	v_mov_b32_e32 v9, 0
	s_delay_alu instid0(VALU_DEP_1) | instskip(NEXT) | instid1(VALU_DEP_1)
	v_lshlrev_b64 v[8:9], 3, v[8:9]
	v_add_co_u32 v8, vcc_lo, v6, v8
	s_delay_alu instid0(VALU_DEP_2)
	v_add_co_ci_u32_e32 v9, vcc_lo, v7, v9, vcc_lo
	global_store_b64 v[8:9], v[79:80], off
	s_or_b32 exec_lo, exec_lo, s17
	s_and_saveexec_b32 s17, s7
	s_cbranch_execz .LBB19_259
.LBB19_318:
	v_sub_nc_u32_e32 v8, v42, v1
	v_mov_b32_e32 v9, 0
	s_delay_alu instid0(VALU_DEP_1) | instskip(NEXT) | instid1(VALU_DEP_1)
	v_lshlrev_b64 v[8:9], 3, v[8:9]
	v_add_co_u32 v8, vcc_lo, v6, v8
	s_delay_alu instid0(VALU_DEP_2)
	v_add_co_ci_u32_e32 v9, vcc_lo, v7, v9, vcc_lo
	global_store_b64 v[8:9], v[83:84], off
	s_or_b32 exec_lo, exec_lo, s17
	s_and_saveexec_b32 s17, s6
	s_cbranch_execz .LBB19_260
.LBB19_319:
	v_sub_nc_u32_e32 v8, v41, v1
	v_mov_b32_e32 v9, 0
	s_delay_alu instid0(VALU_DEP_1) | instskip(NEXT) | instid1(VALU_DEP_1)
	v_lshlrev_b64 v[8:9], 3, v[8:9]
	v_add_co_u32 v8, vcc_lo, v6, v8
	s_delay_alu instid0(VALU_DEP_2)
	v_add_co_ci_u32_e32 v9, vcc_lo, v7, v9, vcc_lo
	global_store_b64 v[8:9], v[81:82], off
	s_or_b32 exec_lo, exec_lo, s17
	s_and_saveexec_b32 s17, s5
	s_cbranch_execz .LBB19_261
.LBB19_320:
	v_sub_nc_u32_e32 v8, v40, v1
	v_mov_b32_e32 v9, 0
	s_delay_alu instid0(VALU_DEP_1) | instskip(NEXT) | instid1(VALU_DEP_1)
	v_lshlrev_b64 v[8:9], 3, v[8:9]
	v_add_co_u32 v8, vcc_lo, v6, v8
	s_delay_alu instid0(VALU_DEP_2)
	v_add_co_ci_u32_e32 v9, vcc_lo, v7, v9, vcc_lo
	global_store_b64 v[8:9], v[67:68], off
	s_or_b32 exec_lo, exec_lo, s17
	s_and_saveexec_b32 s17, s4
	s_cbranch_execz .LBB19_262
.LBB19_321:
	v_sub_nc_u32_e32 v8, v39, v1
	v_mov_b32_e32 v9, 0
	s_delay_alu instid0(VALU_DEP_1) | instskip(NEXT) | instid1(VALU_DEP_1)
	v_lshlrev_b64 v[8:9], 3, v[8:9]
	v_add_co_u32 v8, vcc_lo, v6, v8
	s_delay_alu instid0(VALU_DEP_2)
	v_add_co_ci_u32_e32 v9, vcc_lo, v7, v9, vcc_lo
	global_store_b64 v[8:9], v[69:70], off
	s_or_b32 exec_lo, exec_lo, s17
	s_and_saveexec_b32 s17, s3
	s_cbranch_execz .LBB19_263
.LBB19_322:
	v_sub_nc_u32_e32 v8, v38, v1
	v_mov_b32_e32 v9, 0
	s_delay_alu instid0(VALU_DEP_1) | instskip(NEXT) | instid1(VALU_DEP_1)
	v_lshlrev_b64 v[8:9], 3, v[8:9]
	v_add_co_u32 v8, vcc_lo, v6, v8
	s_delay_alu instid0(VALU_DEP_2)
	v_add_co_ci_u32_e32 v9, vcc_lo, v7, v9, vcc_lo
	global_store_b64 v[8:9], v[71:72], off
	s_or_b32 exec_lo, exec_lo, s17
	s_and_saveexec_b32 s17, s2
	s_cbranch_execz .LBB19_264
.LBB19_323:
	v_sub_nc_u32_e32 v8, v37, v1
	v_mov_b32_e32 v9, 0
	s_delay_alu instid0(VALU_DEP_1) | instskip(NEXT) | instid1(VALU_DEP_1)
	v_lshlrev_b64 v[8:9], 3, v[8:9]
	v_add_co_u32 v8, vcc_lo, v6, v8
	s_delay_alu instid0(VALU_DEP_2)
	v_add_co_ci_u32_e32 v9, vcc_lo, v7, v9, vcc_lo
	global_store_b64 v[8:9], v[73:74], off
	s_or_b32 exec_lo, exec_lo, s17
	s_and_saveexec_b32 s17, s1
	s_cbranch_execnz .LBB19_265
	s_branch .LBB19_266
.LBB19_324:
	v_sub_nc_u32_e32 v2, v114, v1
	s_delay_alu instid0(VALU_DEP_1)
	v_lshlrev_b32_e32 v2, 3, v2
	ds_store_b64 v2, v[87:88]
	s_or_b32 exec_lo, exec_lo, s17
	s_and_saveexec_b32 s14, s13
	s_cbranch_execz .LBB19_270
.LBB19_325:
	v_sub_nc_u32_e32 v2, v46, v1
	s_delay_alu instid0(VALU_DEP_1)
	v_lshlrev_b32_e32 v2, 3, v2
	ds_store_b64 v2, v[89:90]
	s_or_b32 exec_lo, exec_lo, s14
	s_and_saveexec_b32 s13, s12
	s_cbranch_execz .LBB19_271
.LBB19_326:
	v_sub_nc_u32_e32 v2, v48, v1
	s_delay_alu instid0(VALU_DEP_1)
	v_lshlrev_b32_e32 v2, 3, v2
	ds_store_b64 v2, v[93:94]
	s_or_b32 exec_lo, exec_lo, s13
	s_and_saveexec_b32 s12, s11
	s_cbranch_execz .LBB19_272
.LBB19_327:
	v_sub_nc_u32_e32 v2, v47, v1
	s_delay_alu instid0(VALU_DEP_1)
	v_lshlrev_b32_e32 v2, 3, v2
	ds_store_b64 v2, v[91:92]
	s_or_b32 exec_lo, exec_lo, s12
	s_and_saveexec_b32 s11, s10
	s_cbranch_execz .LBB19_273
.LBB19_328:
	v_sub_nc_u32_e32 v2, v45, v1
	s_delay_alu instid0(VALU_DEP_1)
	v_lshlrev_b32_e32 v2, 3, v2
	ds_store_b64 v2, v[75:76]
	s_or_b32 exec_lo, exec_lo, s11
	s_and_saveexec_b32 s10, s9
	s_cbranch_execz .LBB19_274
.LBB19_329:
	v_sub_nc_u32_e32 v2, v44, v1
	s_delay_alu instid0(VALU_DEP_1)
	v_lshlrev_b32_e32 v2, 3, v2
	ds_store_b64 v2, v[77:78]
	s_or_b32 exec_lo, exec_lo, s10
	s_and_saveexec_b32 s9, s8
	s_cbranch_execz .LBB19_275
.LBB19_330:
	v_sub_nc_u32_e32 v2, v43, v1
	s_delay_alu instid0(VALU_DEP_1)
	v_lshlrev_b32_e32 v2, 3, v2
	ds_store_b64 v2, v[79:80]
	s_or_b32 exec_lo, exec_lo, s9
	s_and_saveexec_b32 s8, s7
	s_cbranch_execz .LBB19_276
.LBB19_331:
	v_sub_nc_u32_e32 v2, v42, v1
	s_delay_alu instid0(VALU_DEP_1)
	v_lshlrev_b32_e32 v2, 3, v2
	ds_store_b64 v2, v[83:84]
	s_or_b32 exec_lo, exec_lo, s8
	s_and_saveexec_b32 s7, s6
	s_cbranch_execz .LBB19_277
.LBB19_332:
	v_sub_nc_u32_e32 v2, v41, v1
	s_delay_alu instid0(VALU_DEP_1)
	v_lshlrev_b32_e32 v2, 3, v2
	ds_store_b64 v2, v[81:82]
	s_or_b32 exec_lo, exec_lo, s7
	s_and_saveexec_b32 s6, s5
	s_cbranch_execz .LBB19_278
.LBB19_333:
	v_sub_nc_u32_e32 v2, v40, v1
	s_delay_alu instid0(VALU_DEP_1)
	v_lshlrev_b32_e32 v2, 3, v2
	ds_store_b64 v2, v[67:68]
	s_or_b32 exec_lo, exec_lo, s6
	s_and_saveexec_b32 s5, s4
	s_cbranch_execz .LBB19_279
.LBB19_334:
	v_sub_nc_u32_e32 v2, v39, v1
	s_delay_alu instid0(VALU_DEP_1)
	v_lshlrev_b32_e32 v2, 3, v2
	ds_store_b64 v2, v[69:70]
	s_or_b32 exec_lo, exec_lo, s5
	s_and_saveexec_b32 s4, s3
	s_cbranch_execz .LBB19_280
.LBB19_335:
	v_sub_nc_u32_e32 v2, v38, v1
	s_delay_alu instid0(VALU_DEP_1)
	v_lshlrev_b32_e32 v2, 3, v2
	ds_store_b64 v2, v[71:72]
	s_or_b32 exec_lo, exec_lo, s4
	s_and_saveexec_b32 s3, s2
	s_cbranch_execz .LBB19_281
.LBB19_336:
	v_sub_nc_u32_e32 v2, v37, v1
	s_delay_alu instid0(VALU_DEP_1)
	v_lshlrev_b32_e32 v2, 3, v2
	ds_store_b64 v2, v[73:74]
	s_or_b32 exec_lo, exec_lo, s3
	s_and_saveexec_b32 s2, s1
	s_cbranch_execnz .LBB19_282
	s_branch .LBB19_283
	.section	.rodata,"a",@progbits
	.p2align	6, 0x0
	.amdhsa_kernel _ZN7rocprim17ROCPRIM_400000_NS6detail17trampoline_kernelINS0_14default_configENS1_29reduce_by_key_config_selectorIddN6thrust23THRUST_200600_302600_NS4plusIdEEEEZZNS1_33reduce_by_key_impl_wrapped_configILNS1_25lookback_scan_determinismE0ES3_S9_NS6_6detail15normal_iteratorINS6_10device_ptrIdEEEESG_SG_SG_PmS8_NS6_8equal_toIdEEEE10hipError_tPvRmT2_T3_mT4_T5_T6_T7_T8_P12ihipStream_tbENKUlT_T0_E_clISt17integral_constantIbLb0EES11_EEDaSW_SX_EUlSW_E_NS1_11comp_targetILNS1_3genE9ELNS1_11target_archE1100ELNS1_3gpuE3ELNS1_3repE0EEENS1_30default_config_static_selectorELNS0_4arch9wavefront6targetE0EEEvT1_
		.amdhsa_group_segment_fixed_size 30720
		.amdhsa_private_segment_fixed_size 0
		.amdhsa_kernarg_size 136
		.amdhsa_user_sgpr_count 15
		.amdhsa_user_sgpr_dispatch_ptr 0
		.amdhsa_user_sgpr_queue_ptr 0
		.amdhsa_user_sgpr_kernarg_segment_ptr 1
		.amdhsa_user_sgpr_dispatch_id 0
		.amdhsa_user_sgpr_private_segment_size 0
		.amdhsa_wavefront_size32 1
		.amdhsa_uses_dynamic_stack 0
		.amdhsa_enable_private_segment 0
		.amdhsa_system_sgpr_workgroup_id_x 1
		.amdhsa_system_sgpr_workgroup_id_y 0
		.amdhsa_system_sgpr_workgroup_id_z 0
		.amdhsa_system_sgpr_workgroup_info 0
		.amdhsa_system_vgpr_workitem_id 0
		.amdhsa_next_free_vgpr 120
		.amdhsa_next_free_sgpr 52
		.amdhsa_reserve_vcc 1
		.amdhsa_float_round_mode_32 0
		.amdhsa_float_round_mode_16_64 0
		.amdhsa_float_denorm_mode_32 3
		.amdhsa_float_denorm_mode_16_64 3
		.amdhsa_dx10_clamp 1
		.amdhsa_ieee_mode 1
		.amdhsa_fp16_overflow 0
		.amdhsa_workgroup_processor_mode 1
		.amdhsa_memory_ordered 1
		.amdhsa_forward_progress 0
		.amdhsa_shared_vgpr_count 0
		.amdhsa_exception_fp_ieee_invalid_op 0
		.amdhsa_exception_fp_denorm_src 0
		.amdhsa_exception_fp_ieee_div_zero 0
		.amdhsa_exception_fp_ieee_overflow 0
		.amdhsa_exception_fp_ieee_underflow 0
		.amdhsa_exception_fp_ieee_inexact 0
		.amdhsa_exception_int_div_zero 0
	.end_amdhsa_kernel
	.section	.text._ZN7rocprim17ROCPRIM_400000_NS6detail17trampoline_kernelINS0_14default_configENS1_29reduce_by_key_config_selectorIddN6thrust23THRUST_200600_302600_NS4plusIdEEEEZZNS1_33reduce_by_key_impl_wrapped_configILNS1_25lookback_scan_determinismE0ES3_S9_NS6_6detail15normal_iteratorINS6_10device_ptrIdEEEESG_SG_SG_PmS8_NS6_8equal_toIdEEEE10hipError_tPvRmT2_T3_mT4_T5_T6_T7_T8_P12ihipStream_tbENKUlT_T0_E_clISt17integral_constantIbLb0EES11_EEDaSW_SX_EUlSW_E_NS1_11comp_targetILNS1_3genE9ELNS1_11target_archE1100ELNS1_3gpuE3ELNS1_3repE0EEENS1_30default_config_static_selectorELNS0_4arch9wavefront6targetE0EEEvT1_,"axG",@progbits,_ZN7rocprim17ROCPRIM_400000_NS6detail17trampoline_kernelINS0_14default_configENS1_29reduce_by_key_config_selectorIddN6thrust23THRUST_200600_302600_NS4plusIdEEEEZZNS1_33reduce_by_key_impl_wrapped_configILNS1_25lookback_scan_determinismE0ES3_S9_NS6_6detail15normal_iteratorINS6_10device_ptrIdEEEESG_SG_SG_PmS8_NS6_8equal_toIdEEEE10hipError_tPvRmT2_T3_mT4_T5_T6_T7_T8_P12ihipStream_tbENKUlT_T0_E_clISt17integral_constantIbLb0EES11_EEDaSW_SX_EUlSW_E_NS1_11comp_targetILNS1_3genE9ELNS1_11target_archE1100ELNS1_3gpuE3ELNS1_3repE0EEENS1_30default_config_static_selectorELNS0_4arch9wavefront6targetE0EEEvT1_,comdat
.Lfunc_end19:
	.size	_ZN7rocprim17ROCPRIM_400000_NS6detail17trampoline_kernelINS0_14default_configENS1_29reduce_by_key_config_selectorIddN6thrust23THRUST_200600_302600_NS4plusIdEEEEZZNS1_33reduce_by_key_impl_wrapped_configILNS1_25lookback_scan_determinismE0ES3_S9_NS6_6detail15normal_iteratorINS6_10device_ptrIdEEEESG_SG_SG_PmS8_NS6_8equal_toIdEEEE10hipError_tPvRmT2_T3_mT4_T5_T6_T7_T8_P12ihipStream_tbENKUlT_T0_E_clISt17integral_constantIbLb0EES11_EEDaSW_SX_EUlSW_E_NS1_11comp_targetILNS1_3genE9ELNS1_11target_archE1100ELNS1_3gpuE3ELNS1_3repE0EEENS1_30default_config_static_selectorELNS0_4arch9wavefront6targetE0EEEvT1_, .Lfunc_end19-_ZN7rocprim17ROCPRIM_400000_NS6detail17trampoline_kernelINS0_14default_configENS1_29reduce_by_key_config_selectorIddN6thrust23THRUST_200600_302600_NS4plusIdEEEEZZNS1_33reduce_by_key_impl_wrapped_configILNS1_25lookback_scan_determinismE0ES3_S9_NS6_6detail15normal_iteratorINS6_10device_ptrIdEEEESG_SG_SG_PmS8_NS6_8equal_toIdEEEE10hipError_tPvRmT2_T3_mT4_T5_T6_T7_T8_P12ihipStream_tbENKUlT_T0_E_clISt17integral_constantIbLb0EES11_EEDaSW_SX_EUlSW_E_NS1_11comp_targetILNS1_3genE9ELNS1_11target_archE1100ELNS1_3gpuE3ELNS1_3repE0EEENS1_30default_config_static_selectorELNS0_4arch9wavefront6targetE0EEEvT1_
                                        ; -- End function
	.section	.AMDGPU.csdata,"",@progbits
; Kernel info:
; codeLenInByte = 18356
; NumSgprs: 54
; NumVgprs: 120
; ScratchSize: 0
; MemoryBound: 0
; FloatMode: 240
; IeeeMode: 1
; LDSByteSize: 30720 bytes/workgroup (compile time only)
; SGPRBlocks: 6
; VGPRBlocks: 14
; NumSGPRsForWavesPerEU: 54
; NumVGPRsForWavesPerEU: 120
; Occupancy: 8
; WaveLimiterHint : 1
; COMPUTE_PGM_RSRC2:SCRATCH_EN: 0
; COMPUTE_PGM_RSRC2:USER_SGPR: 15
; COMPUTE_PGM_RSRC2:TRAP_HANDLER: 0
; COMPUTE_PGM_RSRC2:TGID_X_EN: 1
; COMPUTE_PGM_RSRC2:TGID_Y_EN: 0
; COMPUTE_PGM_RSRC2:TGID_Z_EN: 0
; COMPUTE_PGM_RSRC2:TIDIG_COMP_CNT: 0
	.section	.text._ZN7rocprim17ROCPRIM_400000_NS6detail17trampoline_kernelINS0_14default_configENS1_29reduce_by_key_config_selectorIddN6thrust23THRUST_200600_302600_NS4plusIdEEEEZZNS1_33reduce_by_key_impl_wrapped_configILNS1_25lookback_scan_determinismE0ES3_S9_NS6_6detail15normal_iteratorINS6_10device_ptrIdEEEESG_SG_SG_PmS8_NS6_8equal_toIdEEEE10hipError_tPvRmT2_T3_mT4_T5_T6_T7_T8_P12ihipStream_tbENKUlT_T0_E_clISt17integral_constantIbLb0EES11_EEDaSW_SX_EUlSW_E_NS1_11comp_targetILNS1_3genE8ELNS1_11target_archE1030ELNS1_3gpuE2ELNS1_3repE0EEENS1_30default_config_static_selectorELNS0_4arch9wavefront6targetE0EEEvT1_,"axG",@progbits,_ZN7rocprim17ROCPRIM_400000_NS6detail17trampoline_kernelINS0_14default_configENS1_29reduce_by_key_config_selectorIddN6thrust23THRUST_200600_302600_NS4plusIdEEEEZZNS1_33reduce_by_key_impl_wrapped_configILNS1_25lookback_scan_determinismE0ES3_S9_NS6_6detail15normal_iteratorINS6_10device_ptrIdEEEESG_SG_SG_PmS8_NS6_8equal_toIdEEEE10hipError_tPvRmT2_T3_mT4_T5_T6_T7_T8_P12ihipStream_tbENKUlT_T0_E_clISt17integral_constantIbLb0EES11_EEDaSW_SX_EUlSW_E_NS1_11comp_targetILNS1_3genE8ELNS1_11target_archE1030ELNS1_3gpuE2ELNS1_3repE0EEENS1_30default_config_static_selectorELNS0_4arch9wavefront6targetE0EEEvT1_,comdat
	.protected	_ZN7rocprim17ROCPRIM_400000_NS6detail17trampoline_kernelINS0_14default_configENS1_29reduce_by_key_config_selectorIddN6thrust23THRUST_200600_302600_NS4plusIdEEEEZZNS1_33reduce_by_key_impl_wrapped_configILNS1_25lookback_scan_determinismE0ES3_S9_NS6_6detail15normal_iteratorINS6_10device_ptrIdEEEESG_SG_SG_PmS8_NS6_8equal_toIdEEEE10hipError_tPvRmT2_T3_mT4_T5_T6_T7_T8_P12ihipStream_tbENKUlT_T0_E_clISt17integral_constantIbLb0EES11_EEDaSW_SX_EUlSW_E_NS1_11comp_targetILNS1_3genE8ELNS1_11target_archE1030ELNS1_3gpuE2ELNS1_3repE0EEENS1_30default_config_static_selectorELNS0_4arch9wavefront6targetE0EEEvT1_ ; -- Begin function _ZN7rocprim17ROCPRIM_400000_NS6detail17trampoline_kernelINS0_14default_configENS1_29reduce_by_key_config_selectorIddN6thrust23THRUST_200600_302600_NS4plusIdEEEEZZNS1_33reduce_by_key_impl_wrapped_configILNS1_25lookback_scan_determinismE0ES3_S9_NS6_6detail15normal_iteratorINS6_10device_ptrIdEEEESG_SG_SG_PmS8_NS6_8equal_toIdEEEE10hipError_tPvRmT2_T3_mT4_T5_T6_T7_T8_P12ihipStream_tbENKUlT_T0_E_clISt17integral_constantIbLb0EES11_EEDaSW_SX_EUlSW_E_NS1_11comp_targetILNS1_3genE8ELNS1_11target_archE1030ELNS1_3gpuE2ELNS1_3repE0EEENS1_30default_config_static_selectorELNS0_4arch9wavefront6targetE0EEEvT1_
	.globl	_ZN7rocprim17ROCPRIM_400000_NS6detail17trampoline_kernelINS0_14default_configENS1_29reduce_by_key_config_selectorIddN6thrust23THRUST_200600_302600_NS4plusIdEEEEZZNS1_33reduce_by_key_impl_wrapped_configILNS1_25lookback_scan_determinismE0ES3_S9_NS6_6detail15normal_iteratorINS6_10device_ptrIdEEEESG_SG_SG_PmS8_NS6_8equal_toIdEEEE10hipError_tPvRmT2_T3_mT4_T5_T6_T7_T8_P12ihipStream_tbENKUlT_T0_E_clISt17integral_constantIbLb0EES11_EEDaSW_SX_EUlSW_E_NS1_11comp_targetILNS1_3genE8ELNS1_11target_archE1030ELNS1_3gpuE2ELNS1_3repE0EEENS1_30default_config_static_selectorELNS0_4arch9wavefront6targetE0EEEvT1_
	.p2align	8
	.type	_ZN7rocprim17ROCPRIM_400000_NS6detail17trampoline_kernelINS0_14default_configENS1_29reduce_by_key_config_selectorIddN6thrust23THRUST_200600_302600_NS4plusIdEEEEZZNS1_33reduce_by_key_impl_wrapped_configILNS1_25lookback_scan_determinismE0ES3_S9_NS6_6detail15normal_iteratorINS6_10device_ptrIdEEEESG_SG_SG_PmS8_NS6_8equal_toIdEEEE10hipError_tPvRmT2_T3_mT4_T5_T6_T7_T8_P12ihipStream_tbENKUlT_T0_E_clISt17integral_constantIbLb0EES11_EEDaSW_SX_EUlSW_E_NS1_11comp_targetILNS1_3genE8ELNS1_11target_archE1030ELNS1_3gpuE2ELNS1_3repE0EEENS1_30default_config_static_selectorELNS0_4arch9wavefront6targetE0EEEvT1_,@function
_ZN7rocprim17ROCPRIM_400000_NS6detail17trampoline_kernelINS0_14default_configENS1_29reduce_by_key_config_selectorIddN6thrust23THRUST_200600_302600_NS4plusIdEEEEZZNS1_33reduce_by_key_impl_wrapped_configILNS1_25lookback_scan_determinismE0ES3_S9_NS6_6detail15normal_iteratorINS6_10device_ptrIdEEEESG_SG_SG_PmS8_NS6_8equal_toIdEEEE10hipError_tPvRmT2_T3_mT4_T5_T6_T7_T8_P12ihipStream_tbENKUlT_T0_E_clISt17integral_constantIbLb0EES11_EEDaSW_SX_EUlSW_E_NS1_11comp_targetILNS1_3genE8ELNS1_11target_archE1030ELNS1_3gpuE2ELNS1_3repE0EEENS1_30default_config_static_selectorELNS0_4arch9wavefront6targetE0EEEvT1_: ; @_ZN7rocprim17ROCPRIM_400000_NS6detail17trampoline_kernelINS0_14default_configENS1_29reduce_by_key_config_selectorIddN6thrust23THRUST_200600_302600_NS4plusIdEEEEZZNS1_33reduce_by_key_impl_wrapped_configILNS1_25lookback_scan_determinismE0ES3_S9_NS6_6detail15normal_iteratorINS6_10device_ptrIdEEEESG_SG_SG_PmS8_NS6_8equal_toIdEEEE10hipError_tPvRmT2_T3_mT4_T5_T6_T7_T8_P12ihipStream_tbENKUlT_T0_E_clISt17integral_constantIbLb0EES11_EEDaSW_SX_EUlSW_E_NS1_11comp_targetILNS1_3genE8ELNS1_11target_archE1030ELNS1_3gpuE2ELNS1_3repE0EEENS1_30default_config_static_selectorELNS0_4arch9wavefront6targetE0EEEvT1_
; %bb.0:
	.section	.rodata,"a",@progbits
	.p2align	6, 0x0
	.amdhsa_kernel _ZN7rocprim17ROCPRIM_400000_NS6detail17trampoline_kernelINS0_14default_configENS1_29reduce_by_key_config_selectorIddN6thrust23THRUST_200600_302600_NS4plusIdEEEEZZNS1_33reduce_by_key_impl_wrapped_configILNS1_25lookback_scan_determinismE0ES3_S9_NS6_6detail15normal_iteratorINS6_10device_ptrIdEEEESG_SG_SG_PmS8_NS6_8equal_toIdEEEE10hipError_tPvRmT2_T3_mT4_T5_T6_T7_T8_P12ihipStream_tbENKUlT_T0_E_clISt17integral_constantIbLb0EES11_EEDaSW_SX_EUlSW_E_NS1_11comp_targetILNS1_3genE8ELNS1_11target_archE1030ELNS1_3gpuE2ELNS1_3repE0EEENS1_30default_config_static_selectorELNS0_4arch9wavefront6targetE0EEEvT1_
		.amdhsa_group_segment_fixed_size 0
		.amdhsa_private_segment_fixed_size 0
		.amdhsa_kernarg_size 136
		.amdhsa_user_sgpr_count 15
		.amdhsa_user_sgpr_dispatch_ptr 0
		.amdhsa_user_sgpr_queue_ptr 0
		.amdhsa_user_sgpr_kernarg_segment_ptr 1
		.amdhsa_user_sgpr_dispatch_id 0
		.amdhsa_user_sgpr_private_segment_size 0
		.amdhsa_wavefront_size32 1
		.amdhsa_uses_dynamic_stack 0
		.amdhsa_enable_private_segment 0
		.amdhsa_system_sgpr_workgroup_id_x 1
		.amdhsa_system_sgpr_workgroup_id_y 0
		.amdhsa_system_sgpr_workgroup_id_z 0
		.amdhsa_system_sgpr_workgroup_info 0
		.amdhsa_system_vgpr_workitem_id 0
		.amdhsa_next_free_vgpr 1
		.amdhsa_next_free_sgpr 1
		.amdhsa_reserve_vcc 0
		.amdhsa_float_round_mode_32 0
		.amdhsa_float_round_mode_16_64 0
		.amdhsa_float_denorm_mode_32 3
		.amdhsa_float_denorm_mode_16_64 3
		.amdhsa_dx10_clamp 1
		.amdhsa_ieee_mode 1
		.amdhsa_fp16_overflow 0
		.amdhsa_workgroup_processor_mode 1
		.amdhsa_memory_ordered 1
		.amdhsa_forward_progress 0
		.amdhsa_shared_vgpr_count 0
		.amdhsa_exception_fp_ieee_invalid_op 0
		.amdhsa_exception_fp_denorm_src 0
		.amdhsa_exception_fp_ieee_div_zero 0
		.amdhsa_exception_fp_ieee_overflow 0
		.amdhsa_exception_fp_ieee_underflow 0
		.amdhsa_exception_fp_ieee_inexact 0
		.amdhsa_exception_int_div_zero 0
	.end_amdhsa_kernel
	.section	.text._ZN7rocprim17ROCPRIM_400000_NS6detail17trampoline_kernelINS0_14default_configENS1_29reduce_by_key_config_selectorIddN6thrust23THRUST_200600_302600_NS4plusIdEEEEZZNS1_33reduce_by_key_impl_wrapped_configILNS1_25lookback_scan_determinismE0ES3_S9_NS6_6detail15normal_iteratorINS6_10device_ptrIdEEEESG_SG_SG_PmS8_NS6_8equal_toIdEEEE10hipError_tPvRmT2_T3_mT4_T5_T6_T7_T8_P12ihipStream_tbENKUlT_T0_E_clISt17integral_constantIbLb0EES11_EEDaSW_SX_EUlSW_E_NS1_11comp_targetILNS1_3genE8ELNS1_11target_archE1030ELNS1_3gpuE2ELNS1_3repE0EEENS1_30default_config_static_selectorELNS0_4arch9wavefront6targetE0EEEvT1_,"axG",@progbits,_ZN7rocprim17ROCPRIM_400000_NS6detail17trampoline_kernelINS0_14default_configENS1_29reduce_by_key_config_selectorIddN6thrust23THRUST_200600_302600_NS4plusIdEEEEZZNS1_33reduce_by_key_impl_wrapped_configILNS1_25lookback_scan_determinismE0ES3_S9_NS6_6detail15normal_iteratorINS6_10device_ptrIdEEEESG_SG_SG_PmS8_NS6_8equal_toIdEEEE10hipError_tPvRmT2_T3_mT4_T5_T6_T7_T8_P12ihipStream_tbENKUlT_T0_E_clISt17integral_constantIbLb0EES11_EEDaSW_SX_EUlSW_E_NS1_11comp_targetILNS1_3genE8ELNS1_11target_archE1030ELNS1_3gpuE2ELNS1_3repE0EEENS1_30default_config_static_selectorELNS0_4arch9wavefront6targetE0EEEvT1_,comdat
.Lfunc_end20:
	.size	_ZN7rocprim17ROCPRIM_400000_NS6detail17trampoline_kernelINS0_14default_configENS1_29reduce_by_key_config_selectorIddN6thrust23THRUST_200600_302600_NS4plusIdEEEEZZNS1_33reduce_by_key_impl_wrapped_configILNS1_25lookback_scan_determinismE0ES3_S9_NS6_6detail15normal_iteratorINS6_10device_ptrIdEEEESG_SG_SG_PmS8_NS6_8equal_toIdEEEE10hipError_tPvRmT2_T3_mT4_T5_T6_T7_T8_P12ihipStream_tbENKUlT_T0_E_clISt17integral_constantIbLb0EES11_EEDaSW_SX_EUlSW_E_NS1_11comp_targetILNS1_3genE8ELNS1_11target_archE1030ELNS1_3gpuE2ELNS1_3repE0EEENS1_30default_config_static_selectorELNS0_4arch9wavefront6targetE0EEEvT1_, .Lfunc_end20-_ZN7rocprim17ROCPRIM_400000_NS6detail17trampoline_kernelINS0_14default_configENS1_29reduce_by_key_config_selectorIddN6thrust23THRUST_200600_302600_NS4plusIdEEEEZZNS1_33reduce_by_key_impl_wrapped_configILNS1_25lookback_scan_determinismE0ES3_S9_NS6_6detail15normal_iteratorINS6_10device_ptrIdEEEESG_SG_SG_PmS8_NS6_8equal_toIdEEEE10hipError_tPvRmT2_T3_mT4_T5_T6_T7_T8_P12ihipStream_tbENKUlT_T0_E_clISt17integral_constantIbLb0EES11_EEDaSW_SX_EUlSW_E_NS1_11comp_targetILNS1_3genE8ELNS1_11target_archE1030ELNS1_3gpuE2ELNS1_3repE0EEENS1_30default_config_static_selectorELNS0_4arch9wavefront6targetE0EEEvT1_
                                        ; -- End function
	.section	.AMDGPU.csdata,"",@progbits
; Kernel info:
; codeLenInByte = 0
; NumSgprs: 0
; NumVgprs: 0
; ScratchSize: 0
; MemoryBound: 0
; FloatMode: 240
; IeeeMode: 1
; LDSByteSize: 0 bytes/workgroup (compile time only)
; SGPRBlocks: 0
; VGPRBlocks: 0
; NumSGPRsForWavesPerEU: 1
; NumVGPRsForWavesPerEU: 1
; Occupancy: 16
; WaveLimiterHint : 0
; COMPUTE_PGM_RSRC2:SCRATCH_EN: 0
; COMPUTE_PGM_RSRC2:USER_SGPR: 15
; COMPUTE_PGM_RSRC2:TRAP_HANDLER: 0
; COMPUTE_PGM_RSRC2:TGID_X_EN: 1
; COMPUTE_PGM_RSRC2:TGID_Y_EN: 0
; COMPUTE_PGM_RSRC2:TGID_Z_EN: 0
; COMPUTE_PGM_RSRC2:TIDIG_COMP_CNT: 0
	.section	.text._ZN7rocprim17ROCPRIM_400000_NS6detail25reduce_by_key_init_kernelINS1_19lookback_scan_stateINS0_5tupleIJjdEEELb1ELb0EEEdNS1_16block_id_wrapperIjLb1EEEEEvT_jbjPmPT0_T1_,"axG",@progbits,_ZN7rocprim17ROCPRIM_400000_NS6detail25reduce_by_key_init_kernelINS1_19lookback_scan_stateINS0_5tupleIJjdEEELb1ELb0EEEdNS1_16block_id_wrapperIjLb1EEEEEvT_jbjPmPT0_T1_,comdat
	.protected	_ZN7rocprim17ROCPRIM_400000_NS6detail25reduce_by_key_init_kernelINS1_19lookback_scan_stateINS0_5tupleIJjdEEELb1ELb0EEEdNS1_16block_id_wrapperIjLb1EEEEEvT_jbjPmPT0_T1_ ; -- Begin function _ZN7rocprim17ROCPRIM_400000_NS6detail25reduce_by_key_init_kernelINS1_19lookback_scan_stateINS0_5tupleIJjdEEELb1ELb0EEEdNS1_16block_id_wrapperIjLb1EEEEEvT_jbjPmPT0_T1_
	.globl	_ZN7rocprim17ROCPRIM_400000_NS6detail25reduce_by_key_init_kernelINS1_19lookback_scan_stateINS0_5tupleIJjdEEELb1ELb0EEEdNS1_16block_id_wrapperIjLb1EEEEEvT_jbjPmPT0_T1_
	.p2align	8
	.type	_ZN7rocprim17ROCPRIM_400000_NS6detail25reduce_by_key_init_kernelINS1_19lookback_scan_stateINS0_5tupleIJjdEEELb1ELb0EEEdNS1_16block_id_wrapperIjLb1EEEEEvT_jbjPmPT0_T1_,@function
_ZN7rocprim17ROCPRIM_400000_NS6detail25reduce_by_key_init_kernelINS1_19lookback_scan_stateINS0_5tupleIJjdEEELb1ELb0EEEdNS1_16block_id_wrapperIjLb1EEEEEvT_jbjPmPT0_T1_: ; @_ZN7rocprim17ROCPRIM_400000_NS6detail25reduce_by_key_init_kernelINS1_19lookback_scan_stateINS0_5tupleIJjdEEELb1ELb0EEEdNS1_16block_id_wrapperIjLb1EEEEEvT_jbjPmPT0_T1_
; %bb.0:
	s_clause 0x3
	s_load_b32 s2, s[0:1], 0x4c
	s_load_b256 s[4:11], s[0:1], 0x18
	s_load_b64 s[16:17], s[0:1], 0x38
	s_load_b64 s[12:13], s[0:1], 0x10
	s_waitcnt lgkmcnt(0)
	s_and_b32 s2, s2, 0xffff
	s_delay_alu instid0(SALU_CYCLE_1) | instskip(SKIP_1) | instid1(SALU_CYCLE_1)
	v_mad_u64_u32 v[1:2], null, s15, s2, v[0:1]
	s_and_b32 s2, s5, 1
	s_cmp_eq_u32 s2, 0
	s_mov_b32 s2, -1
	s_cbranch_scc0 .LBB21_11
; %bb.1:
	s_cmp_lt_u32 s6, s4
	s_mov_b32 s5, exec_lo
	s_cselect_b32 s2, s6, 0
	s_delay_alu instid0(SALU_CYCLE_1)
	v_cmpx_eq_u32_e64 s2, v1
	s_cbranch_execz .LBB21_10
; %bb.2:
	s_add_i32 s6, s6, 32
	s_load_b128 s[0:3], s[0:1], 0x0
	v_mov_b32_e32 v0, s6
	s_add_u32 s14, s12, s6
	s_addc_u32 s15, s13, 0
	s_mov_b32 s7, 0
	global_load_u8 v0, v0, s[12:13] glc
	s_waitcnt vmcnt(0)
	v_cmp_ne_u16_e32 vcc_lo, 0, v0
	v_readfirstlane_b32 s18, v0
	s_cbranch_vccz .LBB21_4
; %bb.3:
	s_delay_alu instid0(VALU_DEP_1)
	s_and_b32 s14, 0xffff, s18
	s_branch .LBB21_9
.LBB21_4:
	v_mov_b32_e32 v0, 0
	s_mov_b32 s18, 1
.LBB21_5:                               ; =>This Loop Header: Depth=1
                                        ;     Child Loop BB21_6 Depth 2
	s_delay_alu instid0(SALU_CYCLE_1)
	s_max_u32 s19, s18, 1
.LBB21_6:                               ;   Parent Loop BB21_5 Depth=1
                                        ; =>  This Inner Loop Header: Depth=2
	s_delay_alu instid0(SALU_CYCLE_1)
	s_add_i32 s19, s19, -1
	s_sleep 1
	s_cmp_eq_u32 s19, 0
	s_cbranch_scc0 .LBB21_6
; %bb.7:                                ;   in Loop: Header=BB21_5 Depth=1
	global_load_u8 v2, v0, s[14:15] glc
	s_cmp_lt_u32 s18, 32
	s_cselect_b32 s19, -1, 0
	s_delay_alu instid0(SALU_CYCLE_1)
	s_cmp_lg_u32 s19, 0
	s_addc_u32 s18, s18, 0
	s_waitcnt vmcnt(0)
	v_cmp_ne_u16_e32 vcc_lo, 0, v2
	v_readfirstlane_b32 s19, v2
	s_cbranch_vccz .LBB21_5
; %bb.8:
	s_delay_alu instid0(VALU_DEP_1)
	s_and_b32 s14, 0xffff, s19
.LBB21_9:
	s_delay_alu instid0(SALU_CYCLE_1)
	s_cmp_eq_u32 s14, 1
	v_mov_b32_e32 v0, 0
	s_waitcnt lgkmcnt(0)
	s_cselect_b32 s3, s1, s3
	s_cselect_b32 s2, s0, s2
	s_lshl_b64 s[0:1], s[6:7], 4
	buffer_gl1_inv
	buffer_gl0_inv
	s_add_u32 s0, s2, s0
	s_addc_u32 s1, s3, s1
	s_clause 0x2
	global_load_b64 v[2:3], v0, s[8:9]
	global_load_b32 v6, v0, s[0:1]
	global_load_b64 v[4:5], v0, s[0:1] offset:8
	s_waitcnt vmcnt(1)
	v_add_co_u32 v2, vcc_lo, v2, v6
	v_add_co_ci_u32_e32 v3, vcc_lo, 0, v3, vcc_lo
	global_store_b64 v0, v[2:3], s[8:9]
	s_waitcnt vmcnt(0)
	global_store_b64 v0, v[4:5], s[10:11]
.LBB21_10:
	s_or_b32 exec_lo, exec_lo, s5
	s_mov_b32 s2, 0
.LBB21_11:
	s_delay_alu instid0(VALU_DEP_1)
	v_cmp_eq_u32_e64 s0, 0, v1
	s_and_not1_b32 vcc_lo, exec_lo, s2
	s_cbranch_vccnz .LBB21_15
; %bb.12:
	s_cmp_lg_u64 s[8:9], 0
	s_cselect_b32 s1, -1, 0
	s_delay_alu instid0(SALU_CYCLE_1) | instskip(NEXT) | instid1(SALU_CYCLE_1)
	s_and_b32 s1, s1, s0
	s_and_saveexec_b32 s0, s1
	s_cbranch_execz .LBB21_14
; %bb.13:
	v_mov_b32_e32 v2, 0
	s_delay_alu instid0(VALU_DEP_1)
	v_mov_b32_e32 v3, v2
	global_store_b64 v2, v[2:3], s[8:9]
.LBB21_14:
	s_or_b32 exec_lo, exec_lo, s0
.LBB21_15:
	s_delay_alu instid0(SALU_CYCLE_1)
	s_mov_b32 s0, exec_lo
	v_cmpx_eq_u32_e32 0, v1
	s_cbranch_execz .LBB21_17
; %bb.16:
	v_mov_b32_e32 v0, 0
	global_store_b32 v0, v0, s[16:17]
.LBB21_17:
	s_or_b32 exec_lo, exec_lo, s0
	s_delay_alu instid0(SALU_CYCLE_1)
	s_mov_b32 s0, exec_lo
	v_cmpx_gt_u32_e64 s4, v1
	s_cbranch_execz .LBB21_19
; %bb.18:
	v_add_nc_u32_e32 v0, 32, v1
	v_mov_b32_e32 v2, 0
	global_store_b8 v0, v2, s[12:13]
.LBB21_19:
	s_or_b32 exec_lo, exec_lo, s0
	s_delay_alu instid0(SALU_CYCLE_1)
	s_mov_b32 s0, exec_lo
	v_cmpx_gt_u32_e32 32, v1
	s_cbranch_execz .LBB21_21
; %bb.20:
	v_mov_b32_e32 v0, 0xff
	global_store_b8 v1, v0, s[12:13]
.LBB21_21:
	s_nop 0
	s_sendmsg sendmsg(MSG_DEALLOC_VGPRS)
	s_endpgm
	.section	.rodata,"a",@progbits
	.p2align	6, 0x0
	.amdhsa_kernel _ZN7rocprim17ROCPRIM_400000_NS6detail25reduce_by_key_init_kernelINS1_19lookback_scan_stateINS0_5tupleIJjdEEELb1ELb0EEEdNS1_16block_id_wrapperIjLb1EEEEEvT_jbjPmPT0_T1_
		.amdhsa_group_segment_fixed_size 0
		.amdhsa_private_segment_fixed_size 0
		.amdhsa_kernarg_size 320
		.amdhsa_user_sgpr_count 15
		.amdhsa_user_sgpr_dispatch_ptr 0
		.amdhsa_user_sgpr_queue_ptr 0
		.amdhsa_user_sgpr_kernarg_segment_ptr 1
		.amdhsa_user_sgpr_dispatch_id 0
		.amdhsa_user_sgpr_private_segment_size 0
		.amdhsa_wavefront_size32 1
		.amdhsa_uses_dynamic_stack 0
		.amdhsa_enable_private_segment 0
		.amdhsa_system_sgpr_workgroup_id_x 1
		.amdhsa_system_sgpr_workgroup_id_y 0
		.amdhsa_system_sgpr_workgroup_id_z 0
		.amdhsa_system_sgpr_workgroup_info 0
		.amdhsa_system_vgpr_workitem_id 0
		.amdhsa_next_free_vgpr 7
		.amdhsa_next_free_sgpr 20
		.amdhsa_reserve_vcc 1
		.amdhsa_float_round_mode_32 0
		.amdhsa_float_round_mode_16_64 0
		.amdhsa_float_denorm_mode_32 3
		.amdhsa_float_denorm_mode_16_64 3
		.amdhsa_dx10_clamp 1
		.amdhsa_ieee_mode 1
		.amdhsa_fp16_overflow 0
		.amdhsa_workgroup_processor_mode 1
		.amdhsa_memory_ordered 1
		.amdhsa_forward_progress 0
		.amdhsa_shared_vgpr_count 0
		.amdhsa_exception_fp_ieee_invalid_op 0
		.amdhsa_exception_fp_denorm_src 0
		.amdhsa_exception_fp_ieee_div_zero 0
		.amdhsa_exception_fp_ieee_overflow 0
		.amdhsa_exception_fp_ieee_underflow 0
		.amdhsa_exception_fp_ieee_inexact 0
		.amdhsa_exception_int_div_zero 0
	.end_amdhsa_kernel
	.section	.text._ZN7rocprim17ROCPRIM_400000_NS6detail25reduce_by_key_init_kernelINS1_19lookback_scan_stateINS0_5tupleIJjdEEELb1ELb0EEEdNS1_16block_id_wrapperIjLb1EEEEEvT_jbjPmPT0_T1_,"axG",@progbits,_ZN7rocprim17ROCPRIM_400000_NS6detail25reduce_by_key_init_kernelINS1_19lookback_scan_stateINS0_5tupleIJjdEEELb1ELb0EEEdNS1_16block_id_wrapperIjLb1EEEEEvT_jbjPmPT0_T1_,comdat
.Lfunc_end21:
	.size	_ZN7rocprim17ROCPRIM_400000_NS6detail25reduce_by_key_init_kernelINS1_19lookback_scan_stateINS0_5tupleIJjdEEELb1ELb0EEEdNS1_16block_id_wrapperIjLb1EEEEEvT_jbjPmPT0_T1_, .Lfunc_end21-_ZN7rocprim17ROCPRIM_400000_NS6detail25reduce_by_key_init_kernelINS1_19lookback_scan_stateINS0_5tupleIJjdEEELb1ELb0EEEdNS1_16block_id_wrapperIjLb1EEEEEvT_jbjPmPT0_T1_
                                        ; -- End function
	.section	.AMDGPU.csdata,"",@progbits
; Kernel info:
; codeLenInByte = 572
; NumSgprs: 22
; NumVgprs: 7
; ScratchSize: 0
; MemoryBound: 0
; FloatMode: 240
; IeeeMode: 1
; LDSByteSize: 0 bytes/workgroup (compile time only)
; SGPRBlocks: 2
; VGPRBlocks: 0
; NumSGPRsForWavesPerEU: 22
; NumVGPRsForWavesPerEU: 7
; Occupancy: 16
; WaveLimiterHint : 0
; COMPUTE_PGM_RSRC2:SCRATCH_EN: 0
; COMPUTE_PGM_RSRC2:USER_SGPR: 15
; COMPUTE_PGM_RSRC2:TRAP_HANDLER: 0
; COMPUTE_PGM_RSRC2:TGID_X_EN: 1
; COMPUTE_PGM_RSRC2:TGID_Y_EN: 0
; COMPUTE_PGM_RSRC2:TGID_Z_EN: 0
; COMPUTE_PGM_RSRC2:TIDIG_COMP_CNT: 0
	.section	.text._ZN7rocprim17ROCPRIM_400000_NS6detail17trampoline_kernelINS0_14default_configENS1_29reduce_by_key_config_selectorIddN6thrust23THRUST_200600_302600_NS4plusIdEEEEZZNS1_33reduce_by_key_impl_wrapped_configILNS1_25lookback_scan_determinismE0ES3_S9_NS6_6detail15normal_iteratorINS6_10device_ptrIdEEEESG_SG_SG_PmS8_NS6_8equal_toIdEEEE10hipError_tPvRmT2_T3_mT4_T5_T6_T7_T8_P12ihipStream_tbENKUlT_T0_E_clISt17integral_constantIbLb1EES11_EEDaSW_SX_EUlSW_E_NS1_11comp_targetILNS1_3genE0ELNS1_11target_archE4294967295ELNS1_3gpuE0ELNS1_3repE0EEENS1_30default_config_static_selectorELNS0_4arch9wavefront6targetE0EEEvT1_,"axG",@progbits,_ZN7rocprim17ROCPRIM_400000_NS6detail17trampoline_kernelINS0_14default_configENS1_29reduce_by_key_config_selectorIddN6thrust23THRUST_200600_302600_NS4plusIdEEEEZZNS1_33reduce_by_key_impl_wrapped_configILNS1_25lookback_scan_determinismE0ES3_S9_NS6_6detail15normal_iteratorINS6_10device_ptrIdEEEESG_SG_SG_PmS8_NS6_8equal_toIdEEEE10hipError_tPvRmT2_T3_mT4_T5_T6_T7_T8_P12ihipStream_tbENKUlT_T0_E_clISt17integral_constantIbLb1EES11_EEDaSW_SX_EUlSW_E_NS1_11comp_targetILNS1_3genE0ELNS1_11target_archE4294967295ELNS1_3gpuE0ELNS1_3repE0EEENS1_30default_config_static_selectorELNS0_4arch9wavefront6targetE0EEEvT1_,comdat
	.protected	_ZN7rocprim17ROCPRIM_400000_NS6detail17trampoline_kernelINS0_14default_configENS1_29reduce_by_key_config_selectorIddN6thrust23THRUST_200600_302600_NS4plusIdEEEEZZNS1_33reduce_by_key_impl_wrapped_configILNS1_25lookback_scan_determinismE0ES3_S9_NS6_6detail15normal_iteratorINS6_10device_ptrIdEEEESG_SG_SG_PmS8_NS6_8equal_toIdEEEE10hipError_tPvRmT2_T3_mT4_T5_T6_T7_T8_P12ihipStream_tbENKUlT_T0_E_clISt17integral_constantIbLb1EES11_EEDaSW_SX_EUlSW_E_NS1_11comp_targetILNS1_3genE0ELNS1_11target_archE4294967295ELNS1_3gpuE0ELNS1_3repE0EEENS1_30default_config_static_selectorELNS0_4arch9wavefront6targetE0EEEvT1_ ; -- Begin function _ZN7rocprim17ROCPRIM_400000_NS6detail17trampoline_kernelINS0_14default_configENS1_29reduce_by_key_config_selectorIddN6thrust23THRUST_200600_302600_NS4plusIdEEEEZZNS1_33reduce_by_key_impl_wrapped_configILNS1_25lookback_scan_determinismE0ES3_S9_NS6_6detail15normal_iteratorINS6_10device_ptrIdEEEESG_SG_SG_PmS8_NS6_8equal_toIdEEEE10hipError_tPvRmT2_T3_mT4_T5_T6_T7_T8_P12ihipStream_tbENKUlT_T0_E_clISt17integral_constantIbLb1EES11_EEDaSW_SX_EUlSW_E_NS1_11comp_targetILNS1_3genE0ELNS1_11target_archE4294967295ELNS1_3gpuE0ELNS1_3repE0EEENS1_30default_config_static_selectorELNS0_4arch9wavefront6targetE0EEEvT1_
	.globl	_ZN7rocprim17ROCPRIM_400000_NS6detail17trampoline_kernelINS0_14default_configENS1_29reduce_by_key_config_selectorIddN6thrust23THRUST_200600_302600_NS4plusIdEEEEZZNS1_33reduce_by_key_impl_wrapped_configILNS1_25lookback_scan_determinismE0ES3_S9_NS6_6detail15normal_iteratorINS6_10device_ptrIdEEEESG_SG_SG_PmS8_NS6_8equal_toIdEEEE10hipError_tPvRmT2_T3_mT4_T5_T6_T7_T8_P12ihipStream_tbENKUlT_T0_E_clISt17integral_constantIbLb1EES11_EEDaSW_SX_EUlSW_E_NS1_11comp_targetILNS1_3genE0ELNS1_11target_archE4294967295ELNS1_3gpuE0ELNS1_3repE0EEENS1_30default_config_static_selectorELNS0_4arch9wavefront6targetE0EEEvT1_
	.p2align	8
	.type	_ZN7rocprim17ROCPRIM_400000_NS6detail17trampoline_kernelINS0_14default_configENS1_29reduce_by_key_config_selectorIddN6thrust23THRUST_200600_302600_NS4plusIdEEEEZZNS1_33reduce_by_key_impl_wrapped_configILNS1_25lookback_scan_determinismE0ES3_S9_NS6_6detail15normal_iteratorINS6_10device_ptrIdEEEESG_SG_SG_PmS8_NS6_8equal_toIdEEEE10hipError_tPvRmT2_T3_mT4_T5_T6_T7_T8_P12ihipStream_tbENKUlT_T0_E_clISt17integral_constantIbLb1EES11_EEDaSW_SX_EUlSW_E_NS1_11comp_targetILNS1_3genE0ELNS1_11target_archE4294967295ELNS1_3gpuE0ELNS1_3repE0EEENS1_30default_config_static_selectorELNS0_4arch9wavefront6targetE0EEEvT1_,@function
_ZN7rocprim17ROCPRIM_400000_NS6detail17trampoline_kernelINS0_14default_configENS1_29reduce_by_key_config_selectorIddN6thrust23THRUST_200600_302600_NS4plusIdEEEEZZNS1_33reduce_by_key_impl_wrapped_configILNS1_25lookback_scan_determinismE0ES3_S9_NS6_6detail15normal_iteratorINS6_10device_ptrIdEEEESG_SG_SG_PmS8_NS6_8equal_toIdEEEE10hipError_tPvRmT2_T3_mT4_T5_T6_T7_T8_P12ihipStream_tbENKUlT_T0_E_clISt17integral_constantIbLb1EES11_EEDaSW_SX_EUlSW_E_NS1_11comp_targetILNS1_3genE0ELNS1_11target_archE4294967295ELNS1_3gpuE0ELNS1_3repE0EEENS1_30default_config_static_selectorELNS0_4arch9wavefront6targetE0EEEvT1_: ; @_ZN7rocprim17ROCPRIM_400000_NS6detail17trampoline_kernelINS0_14default_configENS1_29reduce_by_key_config_selectorIddN6thrust23THRUST_200600_302600_NS4plusIdEEEEZZNS1_33reduce_by_key_impl_wrapped_configILNS1_25lookback_scan_determinismE0ES3_S9_NS6_6detail15normal_iteratorINS6_10device_ptrIdEEEESG_SG_SG_PmS8_NS6_8equal_toIdEEEE10hipError_tPvRmT2_T3_mT4_T5_T6_T7_T8_P12ihipStream_tbENKUlT_T0_E_clISt17integral_constantIbLb1EES11_EEDaSW_SX_EUlSW_E_NS1_11comp_targetILNS1_3genE0ELNS1_11target_archE4294967295ELNS1_3gpuE0ELNS1_3repE0EEENS1_30default_config_static_selectorELNS0_4arch9wavefront6targetE0EEEvT1_
; %bb.0:
	.section	.rodata,"a",@progbits
	.p2align	6, 0x0
	.amdhsa_kernel _ZN7rocprim17ROCPRIM_400000_NS6detail17trampoline_kernelINS0_14default_configENS1_29reduce_by_key_config_selectorIddN6thrust23THRUST_200600_302600_NS4plusIdEEEEZZNS1_33reduce_by_key_impl_wrapped_configILNS1_25lookback_scan_determinismE0ES3_S9_NS6_6detail15normal_iteratorINS6_10device_ptrIdEEEESG_SG_SG_PmS8_NS6_8equal_toIdEEEE10hipError_tPvRmT2_T3_mT4_T5_T6_T7_T8_P12ihipStream_tbENKUlT_T0_E_clISt17integral_constantIbLb1EES11_EEDaSW_SX_EUlSW_E_NS1_11comp_targetILNS1_3genE0ELNS1_11target_archE4294967295ELNS1_3gpuE0ELNS1_3repE0EEENS1_30default_config_static_selectorELNS0_4arch9wavefront6targetE0EEEvT1_
		.amdhsa_group_segment_fixed_size 0
		.amdhsa_private_segment_fixed_size 0
		.amdhsa_kernarg_size 136
		.amdhsa_user_sgpr_count 15
		.amdhsa_user_sgpr_dispatch_ptr 0
		.amdhsa_user_sgpr_queue_ptr 0
		.amdhsa_user_sgpr_kernarg_segment_ptr 1
		.amdhsa_user_sgpr_dispatch_id 0
		.amdhsa_user_sgpr_private_segment_size 0
		.amdhsa_wavefront_size32 1
		.amdhsa_uses_dynamic_stack 0
		.amdhsa_enable_private_segment 0
		.amdhsa_system_sgpr_workgroup_id_x 1
		.amdhsa_system_sgpr_workgroup_id_y 0
		.amdhsa_system_sgpr_workgroup_id_z 0
		.amdhsa_system_sgpr_workgroup_info 0
		.amdhsa_system_vgpr_workitem_id 0
		.amdhsa_next_free_vgpr 1
		.amdhsa_next_free_sgpr 1
		.amdhsa_reserve_vcc 0
		.amdhsa_float_round_mode_32 0
		.amdhsa_float_round_mode_16_64 0
		.amdhsa_float_denorm_mode_32 3
		.amdhsa_float_denorm_mode_16_64 3
		.amdhsa_dx10_clamp 1
		.amdhsa_ieee_mode 1
		.amdhsa_fp16_overflow 0
		.amdhsa_workgroup_processor_mode 1
		.amdhsa_memory_ordered 1
		.amdhsa_forward_progress 0
		.amdhsa_shared_vgpr_count 0
		.amdhsa_exception_fp_ieee_invalid_op 0
		.amdhsa_exception_fp_denorm_src 0
		.amdhsa_exception_fp_ieee_div_zero 0
		.amdhsa_exception_fp_ieee_overflow 0
		.amdhsa_exception_fp_ieee_underflow 0
		.amdhsa_exception_fp_ieee_inexact 0
		.amdhsa_exception_int_div_zero 0
	.end_amdhsa_kernel
	.section	.text._ZN7rocprim17ROCPRIM_400000_NS6detail17trampoline_kernelINS0_14default_configENS1_29reduce_by_key_config_selectorIddN6thrust23THRUST_200600_302600_NS4plusIdEEEEZZNS1_33reduce_by_key_impl_wrapped_configILNS1_25lookback_scan_determinismE0ES3_S9_NS6_6detail15normal_iteratorINS6_10device_ptrIdEEEESG_SG_SG_PmS8_NS6_8equal_toIdEEEE10hipError_tPvRmT2_T3_mT4_T5_T6_T7_T8_P12ihipStream_tbENKUlT_T0_E_clISt17integral_constantIbLb1EES11_EEDaSW_SX_EUlSW_E_NS1_11comp_targetILNS1_3genE0ELNS1_11target_archE4294967295ELNS1_3gpuE0ELNS1_3repE0EEENS1_30default_config_static_selectorELNS0_4arch9wavefront6targetE0EEEvT1_,"axG",@progbits,_ZN7rocprim17ROCPRIM_400000_NS6detail17trampoline_kernelINS0_14default_configENS1_29reduce_by_key_config_selectorIddN6thrust23THRUST_200600_302600_NS4plusIdEEEEZZNS1_33reduce_by_key_impl_wrapped_configILNS1_25lookback_scan_determinismE0ES3_S9_NS6_6detail15normal_iteratorINS6_10device_ptrIdEEEESG_SG_SG_PmS8_NS6_8equal_toIdEEEE10hipError_tPvRmT2_T3_mT4_T5_T6_T7_T8_P12ihipStream_tbENKUlT_T0_E_clISt17integral_constantIbLb1EES11_EEDaSW_SX_EUlSW_E_NS1_11comp_targetILNS1_3genE0ELNS1_11target_archE4294967295ELNS1_3gpuE0ELNS1_3repE0EEENS1_30default_config_static_selectorELNS0_4arch9wavefront6targetE0EEEvT1_,comdat
.Lfunc_end22:
	.size	_ZN7rocprim17ROCPRIM_400000_NS6detail17trampoline_kernelINS0_14default_configENS1_29reduce_by_key_config_selectorIddN6thrust23THRUST_200600_302600_NS4plusIdEEEEZZNS1_33reduce_by_key_impl_wrapped_configILNS1_25lookback_scan_determinismE0ES3_S9_NS6_6detail15normal_iteratorINS6_10device_ptrIdEEEESG_SG_SG_PmS8_NS6_8equal_toIdEEEE10hipError_tPvRmT2_T3_mT4_T5_T6_T7_T8_P12ihipStream_tbENKUlT_T0_E_clISt17integral_constantIbLb1EES11_EEDaSW_SX_EUlSW_E_NS1_11comp_targetILNS1_3genE0ELNS1_11target_archE4294967295ELNS1_3gpuE0ELNS1_3repE0EEENS1_30default_config_static_selectorELNS0_4arch9wavefront6targetE0EEEvT1_, .Lfunc_end22-_ZN7rocprim17ROCPRIM_400000_NS6detail17trampoline_kernelINS0_14default_configENS1_29reduce_by_key_config_selectorIddN6thrust23THRUST_200600_302600_NS4plusIdEEEEZZNS1_33reduce_by_key_impl_wrapped_configILNS1_25lookback_scan_determinismE0ES3_S9_NS6_6detail15normal_iteratorINS6_10device_ptrIdEEEESG_SG_SG_PmS8_NS6_8equal_toIdEEEE10hipError_tPvRmT2_T3_mT4_T5_T6_T7_T8_P12ihipStream_tbENKUlT_T0_E_clISt17integral_constantIbLb1EES11_EEDaSW_SX_EUlSW_E_NS1_11comp_targetILNS1_3genE0ELNS1_11target_archE4294967295ELNS1_3gpuE0ELNS1_3repE0EEENS1_30default_config_static_selectorELNS0_4arch9wavefront6targetE0EEEvT1_
                                        ; -- End function
	.section	.AMDGPU.csdata,"",@progbits
; Kernel info:
; codeLenInByte = 0
; NumSgprs: 0
; NumVgprs: 0
; ScratchSize: 0
; MemoryBound: 0
; FloatMode: 240
; IeeeMode: 1
; LDSByteSize: 0 bytes/workgroup (compile time only)
; SGPRBlocks: 0
; VGPRBlocks: 0
; NumSGPRsForWavesPerEU: 1
; NumVGPRsForWavesPerEU: 1
; Occupancy: 16
; WaveLimiterHint : 0
; COMPUTE_PGM_RSRC2:SCRATCH_EN: 0
; COMPUTE_PGM_RSRC2:USER_SGPR: 15
; COMPUTE_PGM_RSRC2:TRAP_HANDLER: 0
; COMPUTE_PGM_RSRC2:TGID_X_EN: 1
; COMPUTE_PGM_RSRC2:TGID_Y_EN: 0
; COMPUTE_PGM_RSRC2:TGID_Z_EN: 0
; COMPUTE_PGM_RSRC2:TIDIG_COMP_CNT: 0
	.section	.text._ZN7rocprim17ROCPRIM_400000_NS6detail17trampoline_kernelINS0_14default_configENS1_29reduce_by_key_config_selectorIddN6thrust23THRUST_200600_302600_NS4plusIdEEEEZZNS1_33reduce_by_key_impl_wrapped_configILNS1_25lookback_scan_determinismE0ES3_S9_NS6_6detail15normal_iteratorINS6_10device_ptrIdEEEESG_SG_SG_PmS8_NS6_8equal_toIdEEEE10hipError_tPvRmT2_T3_mT4_T5_T6_T7_T8_P12ihipStream_tbENKUlT_T0_E_clISt17integral_constantIbLb1EES11_EEDaSW_SX_EUlSW_E_NS1_11comp_targetILNS1_3genE5ELNS1_11target_archE942ELNS1_3gpuE9ELNS1_3repE0EEENS1_30default_config_static_selectorELNS0_4arch9wavefront6targetE0EEEvT1_,"axG",@progbits,_ZN7rocprim17ROCPRIM_400000_NS6detail17trampoline_kernelINS0_14default_configENS1_29reduce_by_key_config_selectorIddN6thrust23THRUST_200600_302600_NS4plusIdEEEEZZNS1_33reduce_by_key_impl_wrapped_configILNS1_25lookback_scan_determinismE0ES3_S9_NS6_6detail15normal_iteratorINS6_10device_ptrIdEEEESG_SG_SG_PmS8_NS6_8equal_toIdEEEE10hipError_tPvRmT2_T3_mT4_T5_T6_T7_T8_P12ihipStream_tbENKUlT_T0_E_clISt17integral_constantIbLb1EES11_EEDaSW_SX_EUlSW_E_NS1_11comp_targetILNS1_3genE5ELNS1_11target_archE942ELNS1_3gpuE9ELNS1_3repE0EEENS1_30default_config_static_selectorELNS0_4arch9wavefront6targetE0EEEvT1_,comdat
	.protected	_ZN7rocprim17ROCPRIM_400000_NS6detail17trampoline_kernelINS0_14default_configENS1_29reduce_by_key_config_selectorIddN6thrust23THRUST_200600_302600_NS4plusIdEEEEZZNS1_33reduce_by_key_impl_wrapped_configILNS1_25lookback_scan_determinismE0ES3_S9_NS6_6detail15normal_iteratorINS6_10device_ptrIdEEEESG_SG_SG_PmS8_NS6_8equal_toIdEEEE10hipError_tPvRmT2_T3_mT4_T5_T6_T7_T8_P12ihipStream_tbENKUlT_T0_E_clISt17integral_constantIbLb1EES11_EEDaSW_SX_EUlSW_E_NS1_11comp_targetILNS1_3genE5ELNS1_11target_archE942ELNS1_3gpuE9ELNS1_3repE0EEENS1_30default_config_static_selectorELNS0_4arch9wavefront6targetE0EEEvT1_ ; -- Begin function _ZN7rocprim17ROCPRIM_400000_NS6detail17trampoline_kernelINS0_14default_configENS1_29reduce_by_key_config_selectorIddN6thrust23THRUST_200600_302600_NS4plusIdEEEEZZNS1_33reduce_by_key_impl_wrapped_configILNS1_25lookback_scan_determinismE0ES3_S9_NS6_6detail15normal_iteratorINS6_10device_ptrIdEEEESG_SG_SG_PmS8_NS6_8equal_toIdEEEE10hipError_tPvRmT2_T3_mT4_T5_T6_T7_T8_P12ihipStream_tbENKUlT_T0_E_clISt17integral_constantIbLb1EES11_EEDaSW_SX_EUlSW_E_NS1_11comp_targetILNS1_3genE5ELNS1_11target_archE942ELNS1_3gpuE9ELNS1_3repE0EEENS1_30default_config_static_selectorELNS0_4arch9wavefront6targetE0EEEvT1_
	.globl	_ZN7rocprim17ROCPRIM_400000_NS6detail17trampoline_kernelINS0_14default_configENS1_29reduce_by_key_config_selectorIddN6thrust23THRUST_200600_302600_NS4plusIdEEEEZZNS1_33reduce_by_key_impl_wrapped_configILNS1_25lookback_scan_determinismE0ES3_S9_NS6_6detail15normal_iteratorINS6_10device_ptrIdEEEESG_SG_SG_PmS8_NS6_8equal_toIdEEEE10hipError_tPvRmT2_T3_mT4_T5_T6_T7_T8_P12ihipStream_tbENKUlT_T0_E_clISt17integral_constantIbLb1EES11_EEDaSW_SX_EUlSW_E_NS1_11comp_targetILNS1_3genE5ELNS1_11target_archE942ELNS1_3gpuE9ELNS1_3repE0EEENS1_30default_config_static_selectorELNS0_4arch9wavefront6targetE0EEEvT1_
	.p2align	8
	.type	_ZN7rocprim17ROCPRIM_400000_NS6detail17trampoline_kernelINS0_14default_configENS1_29reduce_by_key_config_selectorIddN6thrust23THRUST_200600_302600_NS4plusIdEEEEZZNS1_33reduce_by_key_impl_wrapped_configILNS1_25lookback_scan_determinismE0ES3_S9_NS6_6detail15normal_iteratorINS6_10device_ptrIdEEEESG_SG_SG_PmS8_NS6_8equal_toIdEEEE10hipError_tPvRmT2_T3_mT4_T5_T6_T7_T8_P12ihipStream_tbENKUlT_T0_E_clISt17integral_constantIbLb1EES11_EEDaSW_SX_EUlSW_E_NS1_11comp_targetILNS1_3genE5ELNS1_11target_archE942ELNS1_3gpuE9ELNS1_3repE0EEENS1_30default_config_static_selectorELNS0_4arch9wavefront6targetE0EEEvT1_,@function
_ZN7rocprim17ROCPRIM_400000_NS6detail17trampoline_kernelINS0_14default_configENS1_29reduce_by_key_config_selectorIddN6thrust23THRUST_200600_302600_NS4plusIdEEEEZZNS1_33reduce_by_key_impl_wrapped_configILNS1_25lookback_scan_determinismE0ES3_S9_NS6_6detail15normal_iteratorINS6_10device_ptrIdEEEESG_SG_SG_PmS8_NS6_8equal_toIdEEEE10hipError_tPvRmT2_T3_mT4_T5_T6_T7_T8_P12ihipStream_tbENKUlT_T0_E_clISt17integral_constantIbLb1EES11_EEDaSW_SX_EUlSW_E_NS1_11comp_targetILNS1_3genE5ELNS1_11target_archE942ELNS1_3gpuE9ELNS1_3repE0EEENS1_30default_config_static_selectorELNS0_4arch9wavefront6targetE0EEEvT1_: ; @_ZN7rocprim17ROCPRIM_400000_NS6detail17trampoline_kernelINS0_14default_configENS1_29reduce_by_key_config_selectorIddN6thrust23THRUST_200600_302600_NS4plusIdEEEEZZNS1_33reduce_by_key_impl_wrapped_configILNS1_25lookback_scan_determinismE0ES3_S9_NS6_6detail15normal_iteratorINS6_10device_ptrIdEEEESG_SG_SG_PmS8_NS6_8equal_toIdEEEE10hipError_tPvRmT2_T3_mT4_T5_T6_T7_T8_P12ihipStream_tbENKUlT_T0_E_clISt17integral_constantIbLb1EES11_EEDaSW_SX_EUlSW_E_NS1_11comp_targetILNS1_3genE5ELNS1_11target_archE942ELNS1_3gpuE9ELNS1_3repE0EEENS1_30default_config_static_selectorELNS0_4arch9wavefront6targetE0EEEvT1_
; %bb.0:
	.section	.rodata,"a",@progbits
	.p2align	6, 0x0
	.amdhsa_kernel _ZN7rocprim17ROCPRIM_400000_NS6detail17trampoline_kernelINS0_14default_configENS1_29reduce_by_key_config_selectorIddN6thrust23THRUST_200600_302600_NS4plusIdEEEEZZNS1_33reduce_by_key_impl_wrapped_configILNS1_25lookback_scan_determinismE0ES3_S9_NS6_6detail15normal_iteratorINS6_10device_ptrIdEEEESG_SG_SG_PmS8_NS6_8equal_toIdEEEE10hipError_tPvRmT2_T3_mT4_T5_T6_T7_T8_P12ihipStream_tbENKUlT_T0_E_clISt17integral_constantIbLb1EES11_EEDaSW_SX_EUlSW_E_NS1_11comp_targetILNS1_3genE5ELNS1_11target_archE942ELNS1_3gpuE9ELNS1_3repE0EEENS1_30default_config_static_selectorELNS0_4arch9wavefront6targetE0EEEvT1_
		.amdhsa_group_segment_fixed_size 0
		.amdhsa_private_segment_fixed_size 0
		.amdhsa_kernarg_size 136
		.amdhsa_user_sgpr_count 15
		.amdhsa_user_sgpr_dispatch_ptr 0
		.amdhsa_user_sgpr_queue_ptr 0
		.amdhsa_user_sgpr_kernarg_segment_ptr 1
		.amdhsa_user_sgpr_dispatch_id 0
		.amdhsa_user_sgpr_private_segment_size 0
		.amdhsa_wavefront_size32 1
		.amdhsa_uses_dynamic_stack 0
		.amdhsa_enable_private_segment 0
		.amdhsa_system_sgpr_workgroup_id_x 1
		.amdhsa_system_sgpr_workgroup_id_y 0
		.amdhsa_system_sgpr_workgroup_id_z 0
		.amdhsa_system_sgpr_workgroup_info 0
		.amdhsa_system_vgpr_workitem_id 0
		.amdhsa_next_free_vgpr 1
		.amdhsa_next_free_sgpr 1
		.amdhsa_reserve_vcc 0
		.amdhsa_float_round_mode_32 0
		.amdhsa_float_round_mode_16_64 0
		.amdhsa_float_denorm_mode_32 3
		.amdhsa_float_denorm_mode_16_64 3
		.amdhsa_dx10_clamp 1
		.amdhsa_ieee_mode 1
		.amdhsa_fp16_overflow 0
		.amdhsa_workgroup_processor_mode 1
		.amdhsa_memory_ordered 1
		.amdhsa_forward_progress 0
		.amdhsa_shared_vgpr_count 0
		.amdhsa_exception_fp_ieee_invalid_op 0
		.amdhsa_exception_fp_denorm_src 0
		.amdhsa_exception_fp_ieee_div_zero 0
		.amdhsa_exception_fp_ieee_overflow 0
		.amdhsa_exception_fp_ieee_underflow 0
		.amdhsa_exception_fp_ieee_inexact 0
		.amdhsa_exception_int_div_zero 0
	.end_amdhsa_kernel
	.section	.text._ZN7rocprim17ROCPRIM_400000_NS6detail17trampoline_kernelINS0_14default_configENS1_29reduce_by_key_config_selectorIddN6thrust23THRUST_200600_302600_NS4plusIdEEEEZZNS1_33reduce_by_key_impl_wrapped_configILNS1_25lookback_scan_determinismE0ES3_S9_NS6_6detail15normal_iteratorINS6_10device_ptrIdEEEESG_SG_SG_PmS8_NS6_8equal_toIdEEEE10hipError_tPvRmT2_T3_mT4_T5_T6_T7_T8_P12ihipStream_tbENKUlT_T0_E_clISt17integral_constantIbLb1EES11_EEDaSW_SX_EUlSW_E_NS1_11comp_targetILNS1_3genE5ELNS1_11target_archE942ELNS1_3gpuE9ELNS1_3repE0EEENS1_30default_config_static_selectorELNS0_4arch9wavefront6targetE0EEEvT1_,"axG",@progbits,_ZN7rocprim17ROCPRIM_400000_NS6detail17trampoline_kernelINS0_14default_configENS1_29reduce_by_key_config_selectorIddN6thrust23THRUST_200600_302600_NS4plusIdEEEEZZNS1_33reduce_by_key_impl_wrapped_configILNS1_25lookback_scan_determinismE0ES3_S9_NS6_6detail15normal_iteratorINS6_10device_ptrIdEEEESG_SG_SG_PmS8_NS6_8equal_toIdEEEE10hipError_tPvRmT2_T3_mT4_T5_T6_T7_T8_P12ihipStream_tbENKUlT_T0_E_clISt17integral_constantIbLb1EES11_EEDaSW_SX_EUlSW_E_NS1_11comp_targetILNS1_3genE5ELNS1_11target_archE942ELNS1_3gpuE9ELNS1_3repE0EEENS1_30default_config_static_selectorELNS0_4arch9wavefront6targetE0EEEvT1_,comdat
.Lfunc_end23:
	.size	_ZN7rocprim17ROCPRIM_400000_NS6detail17trampoline_kernelINS0_14default_configENS1_29reduce_by_key_config_selectorIddN6thrust23THRUST_200600_302600_NS4plusIdEEEEZZNS1_33reduce_by_key_impl_wrapped_configILNS1_25lookback_scan_determinismE0ES3_S9_NS6_6detail15normal_iteratorINS6_10device_ptrIdEEEESG_SG_SG_PmS8_NS6_8equal_toIdEEEE10hipError_tPvRmT2_T3_mT4_T5_T6_T7_T8_P12ihipStream_tbENKUlT_T0_E_clISt17integral_constantIbLb1EES11_EEDaSW_SX_EUlSW_E_NS1_11comp_targetILNS1_3genE5ELNS1_11target_archE942ELNS1_3gpuE9ELNS1_3repE0EEENS1_30default_config_static_selectorELNS0_4arch9wavefront6targetE0EEEvT1_, .Lfunc_end23-_ZN7rocprim17ROCPRIM_400000_NS6detail17trampoline_kernelINS0_14default_configENS1_29reduce_by_key_config_selectorIddN6thrust23THRUST_200600_302600_NS4plusIdEEEEZZNS1_33reduce_by_key_impl_wrapped_configILNS1_25lookback_scan_determinismE0ES3_S9_NS6_6detail15normal_iteratorINS6_10device_ptrIdEEEESG_SG_SG_PmS8_NS6_8equal_toIdEEEE10hipError_tPvRmT2_T3_mT4_T5_T6_T7_T8_P12ihipStream_tbENKUlT_T0_E_clISt17integral_constantIbLb1EES11_EEDaSW_SX_EUlSW_E_NS1_11comp_targetILNS1_3genE5ELNS1_11target_archE942ELNS1_3gpuE9ELNS1_3repE0EEENS1_30default_config_static_selectorELNS0_4arch9wavefront6targetE0EEEvT1_
                                        ; -- End function
	.section	.AMDGPU.csdata,"",@progbits
; Kernel info:
; codeLenInByte = 0
; NumSgprs: 0
; NumVgprs: 0
; ScratchSize: 0
; MemoryBound: 0
; FloatMode: 240
; IeeeMode: 1
; LDSByteSize: 0 bytes/workgroup (compile time only)
; SGPRBlocks: 0
; VGPRBlocks: 0
; NumSGPRsForWavesPerEU: 1
; NumVGPRsForWavesPerEU: 1
; Occupancy: 16
; WaveLimiterHint : 0
; COMPUTE_PGM_RSRC2:SCRATCH_EN: 0
; COMPUTE_PGM_RSRC2:USER_SGPR: 15
; COMPUTE_PGM_RSRC2:TRAP_HANDLER: 0
; COMPUTE_PGM_RSRC2:TGID_X_EN: 1
; COMPUTE_PGM_RSRC2:TGID_Y_EN: 0
; COMPUTE_PGM_RSRC2:TGID_Z_EN: 0
; COMPUTE_PGM_RSRC2:TIDIG_COMP_CNT: 0
	.section	.text._ZN7rocprim17ROCPRIM_400000_NS6detail17trampoline_kernelINS0_14default_configENS1_29reduce_by_key_config_selectorIddN6thrust23THRUST_200600_302600_NS4plusIdEEEEZZNS1_33reduce_by_key_impl_wrapped_configILNS1_25lookback_scan_determinismE0ES3_S9_NS6_6detail15normal_iteratorINS6_10device_ptrIdEEEESG_SG_SG_PmS8_NS6_8equal_toIdEEEE10hipError_tPvRmT2_T3_mT4_T5_T6_T7_T8_P12ihipStream_tbENKUlT_T0_E_clISt17integral_constantIbLb1EES11_EEDaSW_SX_EUlSW_E_NS1_11comp_targetILNS1_3genE4ELNS1_11target_archE910ELNS1_3gpuE8ELNS1_3repE0EEENS1_30default_config_static_selectorELNS0_4arch9wavefront6targetE0EEEvT1_,"axG",@progbits,_ZN7rocprim17ROCPRIM_400000_NS6detail17trampoline_kernelINS0_14default_configENS1_29reduce_by_key_config_selectorIddN6thrust23THRUST_200600_302600_NS4plusIdEEEEZZNS1_33reduce_by_key_impl_wrapped_configILNS1_25lookback_scan_determinismE0ES3_S9_NS6_6detail15normal_iteratorINS6_10device_ptrIdEEEESG_SG_SG_PmS8_NS6_8equal_toIdEEEE10hipError_tPvRmT2_T3_mT4_T5_T6_T7_T8_P12ihipStream_tbENKUlT_T0_E_clISt17integral_constantIbLb1EES11_EEDaSW_SX_EUlSW_E_NS1_11comp_targetILNS1_3genE4ELNS1_11target_archE910ELNS1_3gpuE8ELNS1_3repE0EEENS1_30default_config_static_selectorELNS0_4arch9wavefront6targetE0EEEvT1_,comdat
	.protected	_ZN7rocprim17ROCPRIM_400000_NS6detail17trampoline_kernelINS0_14default_configENS1_29reduce_by_key_config_selectorIddN6thrust23THRUST_200600_302600_NS4plusIdEEEEZZNS1_33reduce_by_key_impl_wrapped_configILNS1_25lookback_scan_determinismE0ES3_S9_NS6_6detail15normal_iteratorINS6_10device_ptrIdEEEESG_SG_SG_PmS8_NS6_8equal_toIdEEEE10hipError_tPvRmT2_T3_mT4_T5_T6_T7_T8_P12ihipStream_tbENKUlT_T0_E_clISt17integral_constantIbLb1EES11_EEDaSW_SX_EUlSW_E_NS1_11comp_targetILNS1_3genE4ELNS1_11target_archE910ELNS1_3gpuE8ELNS1_3repE0EEENS1_30default_config_static_selectorELNS0_4arch9wavefront6targetE0EEEvT1_ ; -- Begin function _ZN7rocprim17ROCPRIM_400000_NS6detail17trampoline_kernelINS0_14default_configENS1_29reduce_by_key_config_selectorIddN6thrust23THRUST_200600_302600_NS4plusIdEEEEZZNS1_33reduce_by_key_impl_wrapped_configILNS1_25lookback_scan_determinismE0ES3_S9_NS6_6detail15normal_iteratorINS6_10device_ptrIdEEEESG_SG_SG_PmS8_NS6_8equal_toIdEEEE10hipError_tPvRmT2_T3_mT4_T5_T6_T7_T8_P12ihipStream_tbENKUlT_T0_E_clISt17integral_constantIbLb1EES11_EEDaSW_SX_EUlSW_E_NS1_11comp_targetILNS1_3genE4ELNS1_11target_archE910ELNS1_3gpuE8ELNS1_3repE0EEENS1_30default_config_static_selectorELNS0_4arch9wavefront6targetE0EEEvT1_
	.globl	_ZN7rocprim17ROCPRIM_400000_NS6detail17trampoline_kernelINS0_14default_configENS1_29reduce_by_key_config_selectorIddN6thrust23THRUST_200600_302600_NS4plusIdEEEEZZNS1_33reduce_by_key_impl_wrapped_configILNS1_25lookback_scan_determinismE0ES3_S9_NS6_6detail15normal_iteratorINS6_10device_ptrIdEEEESG_SG_SG_PmS8_NS6_8equal_toIdEEEE10hipError_tPvRmT2_T3_mT4_T5_T6_T7_T8_P12ihipStream_tbENKUlT_T0_E_clISt17integral_constantIbLb1EES11_EEDaSW_SX_EUlSW_E_NS1_11comp_targetILNS1_3genE4ELNS1_11target_archE910ELNS1_3gpuE8ELNS1_3repE0EEENS1_30default_config_static_selectorELNS0_4arch9wavefront6targetE0EEEvT1_
	.p2align	8
	.type	_ZN7rocprim17ROCPRIM_400000_NS6detail17trampoline_kernelINS0_14default_configENS1_29reduce_by_key_config_selectorIddN6thrust23THRUST_200600_302600_NS4plusIdEEEEZZNS1_33reduce_by_key_impl_wrapped_configILNS1_25lookback_scan_determinismE0ES3_S9_NS6_6detail15normal_iteratorINS6_10device_ptrIdEEEESG_SG_SG_PmS8_NS6_8equal_toIdEEEE10hipError_tPvRmT2_T3_mT4_T5_T6_T7_T8_P12ihipStream_tbENKUlT_T0_E_clISt17integral_constantIbLb1EES11_EEDaSW_SX_EUlSW_E_NS1_11comp_targetILNS1_3genE4ELNS1_11target_archE910ELNS1_3gpuE8ELNS1_3repE0EEENS1_30default_config_static_selectorELNS0_4arch9wavefront6targetE0EEEvT1_,@function
_ZN7rocprim17ROCPRIM_400000_NS6detail17trampoline_kernelINS0_14default_configENS1_29reduce_by_key_config_selectorIddN6thrust23THRUST_200600_302600_NS4plusIdEEEEZZNS1_33reduce_by_key_impl_wrapped_configILNS1_25lookback_scan_determinismE0ES3_S9_NS6_6detail15normal_iteratorINS6_10device_ptrIdEEEESG_SG_SG_PmS8_NS6_8equal_toIdEEEE10hipError_tPvRmT2_T3_mT4_T5_T6_T7_T8_P12ihipStream_tbENKUlT_T0_E_clISt17integral_constantIbLb1EES11_EEDaSW_SX_EUlSW_E_NS1_11comp_targetILNS1_3genE4ELNS1_11target_archE910ELNS1_3gpuE8ELNS1_3repE0EEENS1_30default_config_static_selectorELNS0_4arch9wavefront6targetE0EEEvT1_: ; @_ZN7rocprim17ROCPRIM_400000_NS6detail17trampoline_kernelINS0_14default_configENS1_29reduce_by_key_config_selectorIddN6thrust23THRUST_200600_302600_NS4plusIdEEEEZZNS1_33reduce_by_key_impl_wrapped_configILNS1_25lookback_scan_determinismE0ES3_S9_NS6_6detail15normal_iteratorINS6_10device_ptrIdEEEESG_SG_SG_PmS8_NS6_8equal_toIdEEEE10hipError_tPvRmT2_T3_mT4_T5_T6_T7_T8_P12ihipStream_tbENKUlT_T0_E_clISt17integral_constantIbLb1EES11_EEDaSW_SX_EUlSW_E_NS1_11comp_targetILNS1_3genE4ELNS1_11target_archE910ELNS1_3gpuE8ELNS1_3repE0EEENS1_30default_config_static_selectorELNS0_4arch9wavefront6targetE0EEEvT1_
; %bb.0:
	.section	.rodata,"a",@progbits
	.p2align	6, 0x0
	.amdhsa_kernel _ZN7rocprim17ROCPRIM_400000_NS6detail17trampoline_kernelINS0_14default_configENS1_29reduce_by_key_config_selectorIddN6thrust23THRUST_200600_302600_NS4plusIdEEEEZZNS1_33reduce_by_key_impl_wrapped_configILNS1_25lookback_scan_determinismE0ES3_S9_NS6_6detail15normal_iteratorINS6_10device_ptrIdEEEESG_SG_SG_PmS8_NS6_8equal_toIdEEEE10hipError_tPvRmT2_T3_mT4_T5_T6_T7_T8_P12ihipStream_tbENKUlT_T0_E_clISt17integral_constantIbLb1EES11_EEDaSW_SX_EUlSW_E_NS1_11comp_targetILNS1_3genE4ELNS1_11target_archE910ELNS1_3gpuE8ELNS1_3repE0EEENS1_30default_config_static_selectorELNS0_4arch9wavefront6targetE0EEEvT1_
		.amdhsa_group_segment_fixed_size 0
		.amdhsa_private_segment_fixed_size 0
		.amdhsa_kernarg_size 136
		.amdhsa_user_sgpr_count 15
		.amdhsa_user_sgpr_dispatch_ptr 0
		.amdhsa_user_sgpr_queue_ptr 0
		.amdhsa_user_sgpr_kernarg_segment_ptr 1
		.amdhsa_user_sgpr_dispatch_id 0
		.amdhsa_user_sgpr_private_segment_size 0
		.amdhsa_wavefront_size32 1
		.amdhsa_uses_dynamic_stack 0
		.amdhsa_enable_private_segment 0
		.amdhsa_system_sgpr_workgroup_id_x 1
		.amdhsa_system_sgpr_workgroup_id_y 0
		.amdhsa_system_sgpr_workgroup_id_z 0
		.amdhsa_system_sgpr_workgroup_info 0
		.amdhsa_system_vgpr_workitem_id 0
		.amdhsa_next_free_vgpr 1
		.amdhsa_next_free_sgpr 1
		.amdhsa_reserve_vcc 0
		.amdhsa_float_round_mode_32 0
		.amdhsa_float_round_mode_16_64 0
		.amdhsa_float_denorm_mode_32 3
		.amdhsa_float_denorm_mode_16_64 3
		.amdhsa_dx10_clamp 1
		.amdhsa_ieee_mode 1
		.amdhsa_fp16_overflow 0
		.amdhsa_workgroup_processor_mode 1
		.amdhsa_memory_ordered 1
		.amdhsa_forward_progress 0
		.amdhsa_shared_vgpr_count 0
		.amdhsa_exception_fp_ieee_invalid_op 0
		.amdhsa_exception_fp_denorm_src 0
		.amdhsa_exception_fp_ieee_div_zero 0
		.amdhsa_exception_fp_ieee_overflow 0
		.amdhsa_exception_fp_ieee_underflow 0
		.amdhsa_exception_fp_ieee_inexact 0
		.amdhsa_exception_int_div_zero 0
	.end_amdhsa_kernel
	.section	.text._ZN7rocprim17ROCPRIM_400000_NS6detail17trampoline_kernelINS0_14default_configENS1_29reduce_by_key_config_selectorIddN6thrust23THRUST_200600_302600_NS4plusIdEEEEZZNS1_33reduce_by_key_impl_wrapped_configILNS1_25lookback_scan_determinismE0ES3_S9_NS6_6detail15normal_iteratorINS6_10device_ptrIdEEEESG_SG_SG_PmS8_NS6_8equal_toIdEEEE10hipError_tPvRmT2_T3_mT4_T5_T6_T7_T8_P12ihipStream_tbENKUlT_T0_E_clISt17integral_constantIbLb1EES11_EEDaSW_SX_EUlSW_E_NS1_11comp_targetILNS1_3genE4ELNS1_11target_archE910ELNS1_3gpuE8ELNS1_3repE0EEENS1_30default_config_static_selectorELNS0_4arch9wavefront6targetE0EEEvT1_,"axG",@progbits,_ZN7rocprim17ROCPRIM_400000_NS6detail17trampoline_kernelINS0_14default_configENS1_29reduce_by_key_config_selectorIddN6thrust23THRUST_200600_302600_NS4plusIdEEEEZZNS1_33reduce_by_key_impl_wrapped_configILNS1_25lookback_scan_determinismE0ES3_S9_NS6_6detail15normal_iteratorINS6_10device_ptrIdEEEESG_SG_SG_PmS8_NS6_8equal_toIdEEEE10hipError_tPvRmT2_T3_mT4_T5_T6_T7_T8_P12ihipStream_tbENKUlT_T0_E_clISt17integral_constantIbLb1EES11_EEDaSW_SX_EUlSW_E_NS1_11comp_targetILNS1_3genE4ELNS1_11target_archE910ELNS1_3gpuE8ELNS1_3repE0EEENS1_30default_config_static_selectorELNS0_4arch9wavefront6targetE0EEEvT1_,comdat
.Lfunc_end24:
	.size	_ZN7rocprim17ROCPRIM_400000_NS6detail17trampoline_kernelINS0_14default_configENS1_29reduce_by_key_config_selectorIddN6thrust23THRUST_200600_302600_NS4plusIdEEEEZZNS1_33reduce_by_key_impl_wrapped_configILNS1_25lookback_scan_determinismE0ES3_S9_NS6_6detail15normal_iteratorINS6_10device_ptrIdEEEESG_SG_SG_PmS8_NS6_8equal_toIdEEEE10hipError_tPvRmT2_T3_mT4_T5_T6_T7_T8_P12ihipStream_tbENKUlT_T0_E_clISt17integral_constantIbLb1EES11_EEDaSW_SX_EUlSW_E_NS1_11comp_targetILNS1_3genE4ELNS1_11target_archE910ELNS1_3gpuE8ELNS1_3repE0EEENS1_30default_config_static_selectorELNS0_4arch9wavefront6targetE0EEEvT1_, .Lfunc_end24-_ZN7rocprim17ROCPRIM_400000_NS6detail17trampoline_kernelINS0_14default_configENS1_29reduce_by_key_config_selectorIddN6thrust23THRUST_200600_302600_NS4plusIdEEEEZZNS1_33reduce_by_key_impl_wrapped_configILNS1_25lookback_scan_determinismE0ES3_S9_NS6_6detail15normal_iteratorINS6_10device_ptrIdEEEESG_SG_SG_PmS8_NS6_8equal_toIdEEEE10hipError_tPvRmT2_T3_mT4_T5_T6_T7_T8_P12ihipStream_tbENKUlT_T0_E_clISt17integral_constantIbLb1EES11_EEDaSW_SX_EUlSW_E_NS1_11comp_targetILNS1_3genE4ELNS1_11target_archE910ELNS1_3gpuE8ELNS1_3repE0EEENS1_30default_config_static_selectorELNS0_4arch9wavefront6targetE0EEEvT1_
                                        ; -- End function
	.section	.AMDGPU.csdata,"",@progbits
; Kernel info:
; codeLenInByte = 0
; NumSgprs: 0
; NumVgprs: 0
; ScratchSize: 0
; MemoryBound: 0
; FloatMode: 240
; IeeeMode: 1
; LDSByteSize: 0 bytes/workgroup (compile time only)
; SGPRBlocks: 0
; VGPRBlocks: 0
; NumSGPRsForWavesPerEU: 1
; NumVGPRsForWavesPerEU: 1
; Occupancy: 16
; WaveLimiterHint : 0
; COMPUTE_PGM_RSRC2:SCRATCH_EN: 0
; COMPUTE_PGM_RSRC2:USER_SGPR: 15
; COMPUTE_PGM_RSRC2:TRAP_HANDLER: 0
; COMPUTE_PGM_RSRC2:TGID_X_EN: 1
; COMPUTE_PGM_RSRC2:TGID_Y_EN: 0
; COMPUTE_PGM_RSRC2:TGID_Z_EN: 0
; COMPUTE_PGM_RSRC2:TIDIG_COMP_CNT: 0
	.section	.text._ZN7rocprim17ROCPRIM_400000_NS6detail17trampoline_kernelINS0_14default_configENS1_29reduce_by_key_config_selectorIddN6thrust23THRUST_200600_302600_NS4plusIdEEEEZZNS1_33reduce_by_key_impl_wrapped_configILNS1_25lookback_scan_determinismE0ES3_S9_NS6_6detail15normal_iteratorINS6_10device_ptrIdEEEESG_SG_SG_PmS8_NS6_8equal_toIdEEEE10hipError_tPvRmT2_T3_mT4_T5_T6_T7_T8_P12ihipStream_tbENKUlT_T0_E_clISt17integral_constantIbLb1EES11_EEDaSW_SX_EUlSW_E_NS1_11comp_targetILNS1_3genE3ELNS1_11target_archE908ELNS1_3gpuE7ELNS1_3repE0EEENS1_30default_config_static_selectorELNS0_4arch9wavefront6targetE0EEEvT1_,"axG",@progbits,_ZN7rocprim17ROCPRIM_400000_NS6detail17trampoline_kernelINS0_14default_configENS1_29reduce_by_key_config_selectorIddN6thrust23THRUST_200600_302600_NS4plusIdEEEEZZNS1_33reduce_by_key_impl_wrapped_configILNS1_25lookback_scan_determinismE0ES3_S9_NS6_6detail15normal_iteratorINS6_10device_ptrIdEEEESG_SG_SG_PmS8_NS6_8equal_toIdEEEE10hipError_tPvRmT2_T3_mT4_T5_T6_T7_T8_P12ihipStream_tbENKUlT_T0_E_clISt17integral_constantIbLb1EES11_EEDaSW_SX_EUlSW_E_NS1_11comp_targetILNS1_3genE3ELNS1_11target_archE908ELNS1_3gpuE7ELNS1_3repE0EEENS1_30default_config_static_selectorELNS0_4arch9wavefront6targetE0EEEvT1_,comdat
	.protected	_ZN7rocprim17ROCPRIM_400000_NS6detail17trampoline_kernelINS0_14default_configENS1_29reduce_by_key_config_selectorIddN6thrust23THRUST_200600_302600_NS4plusIdEEEEZZNS1_33reduce_by_key_impl_wrapped_configILNS1_25lookback_scan_determinismE0ES3_S9_NS6_6detail15normal_iteratorINS6_10device_ptrIdEEEESG_SG_SG_PmS8_NS6_8equal_toIdEEEE10hipError_tPvRmT2_T3_mT4_T5_T6_T7_T8_P12ihipStream_tbENKUlT_T0_E_clISt17integral_constantIbLb1EES11_EEDaSW_SX_EUlSW_E_NS1_11comp_targetILNS1_3genE3ELNS1_11target_archE908ELNS1_3gpuE7ELNS1_3repE0EEENS1_30default_config_static_selectorELNS0_4arch9wavefront6targetE0EEEvT1_ ; -- Begin function _ZN7rocprim17ROCPRIM_400000_NS6detail17trampoline_kernelINS0_14default_configENS1_29reduce_by_key_config_selectorIddN6thrust23THRUST_200600_302600_NS4plusIdEEEEZZNS1_33reduce_by_key_impl_wrapped_configILNS1_25lookback_scan_determinismE0ES3_S9_NS6_6detail15normal_iteratorINS6_10device_ptrIdEEEESG_SG_SG_PmS8_NS6_8equal_toIdEEEE10hipError_tPvRmT2_T3_mT4_T5_T6_T7_T8_P12ihipStream_tbENKUlT_T0_E_clISt17integral_constantIbLb1EES11_EEDaSW_SX_EUlSW_E_NS1_11comp_targetILNS1_3genE3ELNS1_11target_archE908ELNS1_3gpuE7ELNS1_3repE0EEENS1_30default_config_static_selectorELNS0_4arch9wavefront6targetE0EEEvT1_
	.globl	_ZN7rocprim17ROCPRIM_400000_NS6detail17trampoline_kernelINS0_14default_configENS1_29reduce_by_key_config_selectorIddN6thrust23THRUST_200600_302600_NS4plusIdEEEEZZNS1_33reduce_by_key_impl_wrapped_configILNS1_25lookback_scan_determinismE0ES3_S9_NS6_6detail15normal_iteratorINS6_10device_ptrIdEEEESG_SG_SG_PmS8_NS6_8equal_toIdEEEE10hipError_tPvRmT2_T3_mT4_T5_T6_T7_T8_P12ihipStream_tbENKUlT_T0_E_clISt17integral_constantIbLb1EES11_EEDaSW_SX_EUlSW_E_NS1_11comp_targetILNS1_3genE3ELNS1_11target_archE908ELNS1_3gpuE7ELNS1_3repE0EEENS1_30default_config_static_selectorELNS0_4arch9wavefront6targetE0EEEvT1_
	.p2align	8
	.type	_ZN7rocprim17ROCPRIM_400000_NS6detail17trampoline_kernelINS0_14default_configENS1_29reduce_by_key_config_selectorIddN6thrust23THRUST_200600_302600_NS4plusIdEEEEZZNS1_33reduce_by_key_impl_wrapped_configILNS1_25lookback_scan_determinismE0ES3_S9_NS6_6detail15normal_iteratorINS6_10device_ptrIdEEEESG_SG_SG_PmS8_NS6_8equal_toIdEEEE10hipError_tPvRmT2_T3_mT4_T5_T6_T7_T8_P12ihipStream_tbENKUlT_T0_E_clISt17integral_constantIbLb1EES11_EEDaSW_SX_EUlSW_E_NS1_11comp_targetILNS1_3genE3ELNS1_11target_archE908ELNS1_3gpuE7ELNS1_3repE0EEENS1_30default_config_static_selectorELNS0_4arch9wavefront6targetE0EEEvT1_,@function
_ZN7rocprim17ROCPRIM_400000_NS6detail17trampoline_kernelINS0_14default_configENS1_29reduce_by_key_config_selectorIddN6thrust23THRUST_200600_302600_NS4plusIdEEEEZZNS1_33reduce_by_key_impl_wrapped_configILNS1_25lookback_scan_determinismE0ES3_S9_NS6_6detail15normal_iteratorINS6_10device_ptrIdEEEESG_SG_SG_PmS8_NS6_8equal_toIdEEEE10hipError_tPvRmT2_T3_mT4_T5_T6_T7_T8_P12ihipStream_tbENKUlT_T0_E_clISt17integral_constantIbLb1EES11_EEDaSW_SX_EUlSW_E_NS1_11comp_targetILNS1_3genE3ELNS1_11target_archE908ELNS1_3gpuE7ELNS1_3repE0EEENS1_30default_config_static_selectorELNS0_4arch9wavefront6targetE0EEEvT1_: ; @_ZN7rocprim17ROCPRIM_400000_NS6detail17trampoline_kernelINS0_14default_configENS1_29reduce_by_key_config_selectorIddN6thrust23THRUST_200600_302600_NS4plusIdEEEEZZNS1_33reduce_by_key_impl_wrapped_configILNS1_25lookback_scan_determinismE0ES3_S9_NS6_6detail15normal_iteratorINS6_10device_ptrIdEEEESG_SG_SG_PmS8_NS6_8equal_toIdEEEE10hipError_tPvRmT2_T3_mT4_T5_T6_T7_T8_P12ihipStream_tbENKUlT_T0_E_clISt17integral_constantIbLb1EES11_EEDaSW_SX_EUlSW_E_NS1_11comp_targetILNS1_3genE3ELNS1_11target_archE908ELNS1_3gpuE7ELNS1_3repE0EEENS1_30default_config_static_selectorELNS0_4arch9wavefront6targetE0EEEvT1_
; %bb.0:
	.section	.rodata,"a",@progbits
	.p2align	6, 0x0
	.amdhsa_kernel _ZN7rocprim17ROCPRIM_400000_NS6detail17trampoline_kernelINS0_14default_configENS1_29reduce_by_key_config_selectorIddN6thrust23THRUST_200600_302600_NS4plusIdEEEEZZNS1_33reduce_by_key_impl_wrapped_configILNS1_25lookback_scan_determinismE0ES3_S9_NS6_6detail15normal_iteratorINS6_10device_ptrIdEEEESG_SG_SG_PmS8_NS6_8equal_toIdEEEE10hipError_tPvRmT2_T3_mT4_T5_T6_T7_T8_P12ihipStream_tbENKUlT_T0_E_clISt17integral_constantIbLb1EES11_EEDaSW_SX_EUlSW_E_NS1_11comp_targetILNS1_3genE3ELNS1_11target_archE908ELNS1_3gpuE7ELNS1_3repE0EEENS1_30default_config_static_selectorELNS0_4arch9wavefront6targetE0EEEvT1_
		.amdhsa_group_segment_fixed_size 0
		.amdhsa_private_segment_fixed_size 0
		.amdhsa_kernarg_size 136
		.amdhsa_user_sgpr_count 15
		.amdhsa_user_sgpr_dispatch_ptr 0
		.amdhsa_user_sgpr_queue_ptr 0
		.amdhsa_user_sgpr_kernarg_segment_ptr 1
		.amdhsa_user_sgpr_dispatch_id 0
		.amdhsa_user_sgpr_private_segment_size 0
		.amdhsa_wavefront_size32 1
		.amdhsa_uses_dynamic_stack 0
		.amdhsa_enable_private_segment 0
		.amdhsa_system_sgpr_workgroup_id_x 1
		.amdhsa_system_sgpr_workgroup_id_y 0
		.amdhsa_system_sgpr_workgroup_id_z 0
		.amdhsa_system_sgpr_workgroup_info 0
		.amdhsa_system_vgpr_workitem_id 0
		.amdhsa_next_free_vgpr 1
		.amdhsa_next_free_sgpr 1
		.amdhsa_reserve_vcc 0
		.amdhsa_float_round_mode_32 0
		.amdhsa_float_round_mode_16_64 0
		.amdhsa_float_denorm_mode_32 3
		.amdhsa_float_denorm_mode_16_64 3
		.amdhsa_dx10_clamp 1
		.amdhsa_ieee_mode 1
		.amdhsa_fp16_overflow 0
		.amdhsa_workgroup_processor_mode 1
		.amdhsa_memory_ordered 1
		.amdhsa_forward_progress 0
		.amdhsa_shared_vgpr_count 0
		.amdhsa_exception_fp_ieee_invalid_op 0
		.amdhsa_exception_fp_denorm_src 0
		.amdhsa_exception_fp_ieee_div_zero 0
		.amdhsa_exception_fp_ieee_overflow 0
		.amdhsa_exception_fp_ieee_underflow 0
		.amdhsa_exception_fp_ieee_inexact 0
		.amdhsa_exception_int_div_zero 0
	.end_amdhsa_kernel
	.section	.text._ZN7rocprim17ROCPRIM_400000_NS6detail17trampoline_kernelINS0_14default_configENS1_29reduce_by_key_config_selectorIddN6thrust23THRUST_200600_302600_NS4plusIdEEEEZZNS1_33reduce_by_key_impl_wrapped_configILNS1_25lookback_scan_determinismE0ES3_S9_NS6_6detail15normal_iteratorINS6_10device_ptrIdEEEESG_SG_SG_PmS8_NS6_8equal_toIdEEEE10hipError_tPvRmT2_T3_mT4_T5_T6_T7_T8_P12ihipStream_tbENKUlT_T0_E_clISt17integral_constantIbLb1EES11_EEDaSW_SX_EUlSW_E_NS1_11comp_targetILNS1_3genE3ELNS1_11target_archE908ELNS1_3gpuE7ELNS1_3repE0EEENS1_30default_config_static_selectorELNS0_4arch9wavefront6targetE0EEEvT1_,"axG",@progbits,_ZN7rocprim17ROCPRIM_400000_NS6detail17trampoline_kernelINS0_14default_configENS1_29reduce_by_key_config_selectorIddN6thrust23THRUST_200600_302600_NS4plusIdEEEEZZNS1_33reduce_by_key_impl_wrapped_configILNS1_25lookback_scan_determinismE0ES3_S9_NS6_6detail15normal_iteratorINS6_10device_ptrIdEEEESG_SG_SG_PmS8_NS6_8equal_toIdEEEE10hipError_tPvRmT2_T3_mT4_T5_T6_T7_T8_P12ihipStream_tbENKUlT_T0_E_clISt17integral_constantIbLb1EES11_EEDaSW_SX_EUlSW_E_NS1_11comp_targetILNS1_3genE3ELNS1_11target_archE908ELNS1_3gpuE7ELNS1_3repE0EEENS1_30default_config_static_selectorELNS0_4arch9wavefront6targetE0EEEvT1_,comdat
.Lfunc_end25:
	.size	_ZN7rocprim17ROCPRIM_400000_NS6detail17trampoline_kernelINS0_14default_configENS1_29reduce_by_key_config_selectorIddN6thrust23THRUST_200600_302600_NS4plusIdEEEEZZNS1_33reduce_by_key_impl_wrapped_configILNS1_25lookback_scan_determinismE0ES3_S9_NS6_6detail15normal_iteratorINS6_10device_ptrIdEEEESG_SG_SG_PmS8_NS6_8equal_toIdEEEE10hipError_tPvRmT2_T3_mT4_T5_T6_T7_T8_P12ihipStream_tbENKUlT_T0_E_clISt17integral_constantIbLb1EES11_EEDaSW_SX_EUlSW_E_NS1_11comp_targetILNS1_3genE3ELNS1_11target_archE908ELNS1_3gpuE7ELNS1_3repE0EEENS1_30default_config_static_selectorELNS0_4arch9wavefront6targetE0EEEvT1_, .Lfunc_end25-_ZN7rocprim17ROCPRIM_400000_NS6detail17trampoline_kernelINS0_14default_configENS1_29reduce_by_key_config_selectorIddN6thrust23THRUST_200600_302600_NS4plusIdEEEEZZNS1_33reduce_by_key_impl_wrapped_configILNS1_25lookback_scan_determinismE0ES3_S9_NS6_6detail15normal_iteratorINS6_10device_ptrIdEEEESG_SG_SG_PmS8_NS6_8equal_toIdEEEE10hipError_tPvRmT2_T3_mT4_T5_T6_T7_T8_P12ihipStream_tbENKUlT_T0_E_clISt17integral_constantIbLb1EES11_EEDaSW_SX_EUlSW_E_NS1_11comp_targetILNS1_3genE3ELNS1_11target_archE908ELNS1_3gpuE7ELNS1_3repE0EEENS1_30default_config_static_selectorELNS0_4arch9wavefront6targetE0EEEvT1_
                                        ; -- End function
	.section	.AMDGPU.csdata,"",@progbits
; Kernel info:
; codeLenInByte = 0
; NumSgprs: 0
; NumVgprs: 0
; ScratchSize: 0
; MemoryBound: 0
; FloatMode: 240
; IeeeMode: 1
; LDSByteSize: 0 bytes/workgroup (compile time only)
; SGPRBlocks: 0
; VGPRBlocks: 0
; NumSGPRsForWavesPerEU: 1
; NumVGPRsForWavesPerEU: 1
; Occupancy: 16
; WaveLimiterHint : 0
; COMPUTE_PGM_RSRC2:SCRATCH_EN: 0
; COMPUTE_PGM_RSRC2:USER_SGPR: 15
; COMPUTE_PGM_RSRC2:TRAP_HANDLER: 0
; COMPUTE_PGM_RSRC2:TGID_X_EN: 1
; COMPUTE_PGM_RSRC2:TGID_Y_EN: 0
; COMPUTE_PGM_RSRC2:TGID_Z_EN: 0
; COMPUTE_PGM_RSRC2:TIDIG_COMP_CNT: 0
	.section	.text._ZN7rocprim17ROCPRIM_400000_NS6detail17trampoline_kernelINS0_14default_configENS1_29reduce_by_key_config_selectorIddN6thrust23THRUST_200600_302600_NS4plusIdEEEEZZNS1_33reduce_by_key_impl_wrapped_configILNS1_25lookback_scan_determinismE0ES3_S9_NS6_6detail15normal_iteratorINS6_10device_ptrIdEEEESG_SG_SG_PmS8_NS6_8equal_toIdEEEE10hipError_tPvRmT2_T3_mT4_T5_T6_T7_T8_P12ihipStream_tbENKUlT_T0_E_clISt17integral_constantIbLb1EES11_EEDaSW_SX_EUlSW_E_NS1_11comp_targetILNS1_3genE2ELNS1_11target_archE906ELNS1_3gpuE6ELNS1_3repE0EEENS1_30default_config_static_selectorELNS0_4arch9wavefront6targetE0EEEvT1_,"axG",@progbits,_ZN7rocprim17ROCPRIM_400000_NS6detail17trampoline_kernelINS0_14default_configENS1_29reduce_by_key_config_selectorIddN6thrust23THRUST_200600_302600_NS4plusIdEEEEZZNS1_33reduce_by_key_impl_wrapped_configILNS1_25lookback_scan_determinismE0ES3_S9_NS6_6detail15normal_iteratorINS6_10device_ptrIdEEEESG_SG_SG_PmS8_NS6_8equal_toIdEEEE10hipError_tPvRmT2_T3_mT4_T5_T6_T7_T8_P12ihipStream_tbENKUlT_T0_E_clISt17integral_constantIbLb1EES11_EEDaSW_SX_EUlSW_E_NS1_11comp_targetILNS1_3genE2ELNS1_11target_archE906ELNS1_3gpuE6ELNS1_3repE0EEENS1_30default_config_static_selectorELNS0_4arch9wavefront6targetE0EEEvT1_,comdat
	.protected	_ZN7rocprim17ROCPRIM_400000_NS6detail17trampoline_kernelINS0_14default_configENS1_29reduce_by_key_config_selectorIddN6thrust23THRUST_200600_302600_NS4plusIdEEEEZZNS1_33reduce_by_key_impl_wrapped_configILNS1_25lookback_scan_determinismE0ES3_S9_NS6_6detail15normal_iteratorINS6_10device_ptrIdEEEESG_SG_SG_PmS8_NS6_8equal_toIdEEEE10hipError_tPvRmT2_T3_mT4_T5_T6_T7_T8_P12ihipStream_tbENKUlT_T0_E_clISt17integral_constantIbLb1EES11_EEDaSW_SX_EUlSW_E_NS1_11comp_targetILNS1_3genE2ELNS1_11target_archE906ELNS1_3gpuE6ELNS1_3repE0EEENS1_30default_config_static_selectorELNS0_4arch9wavefront6targetE0EEEvT1_ ; -- Begin function _ZN7rocprim17ROCPRIM_400000_NS6detail17trampoline_kernelINS0_14default_configENS1_29reduce_by_key_config_selectorIddN6thrust23THRUST_200600_302600_NS4plusIdEEEEZZNS1_33reduce_by_key_impl_wrapped_configILNS1_25lookback_scan_determinismE0ES3_S9_NS6_6detail15normal_iteratorINS6_10device_ptrIdEEEESG_SG_SG_PmS8_NS6_8equal_toIdEEEE10hipError_tPvRmT2_T3_mT4_T5_T6_T7_T8_P12ihipStream_tbENKUlT_T0_E_clISt17integral_constantIbLb1EES11_EEDaSW_SX_EUlSW_E_NS1_11comp_targetILNS1_3genE2ELNS1_11target_archE906ELNS1_3gpuE6ELNS1_3repE0EEENS1_30default_config_static_selectorELNS0_4arch9wavefront6targetE0EEEvT1_
	.globl	_ZN7rocprim17ROCPRIM_400000_NS6detail17trampoline_kernelINS0_14default_configENS1_29reduce_by_key_config_selectorIddN6thrust23THRUST_200600_302600_NS4plusIdEEEEZZNS1_33reduce_by_key_impl_wrapped_configILNS1_25lookback_scan_determinismE0ES3_S9_NS6_6detail15normal_iteratorINS6_10device_ptrIdEEEESG_SG_SG_PmS8_NS6_8equal_toIdEEEE10hipError_tPvRmT2_T3_mT4_T5_T6_T7_T8_P12ihipStream_tbENKUlT_T0_E_clISt17integral_constantIbLb1EES11_EEDaSW_SX_EUlSW_E_NS1_11comp_targetILNS1_3genE2ELNS1_11target_archE906ELNS1_3gpuE6ELNS1_3repE0EEENS1_30default_config_static_selectorELNS0_4arch9wavefront6targetE0EEEvT1_
	.p2align	8
	.type	_ZN7rocprim17ROCPRIM_400000_NS6detail17trampoline_kernelINS0_14default_configENS1_29reduce_by_key_config_selectorIddN6thrust23THRUST_200600_302600_NS4plusIdEEEEZZNS1_33reduce_by_key_impl_wrapped_configILNS1_25lookback_scan_determinismE0ES3_S9_NS6_6detail15normal_iteratorINS6_10device_ptrIdEEEESG_SG_SG_PmS8_NS6_8equal_toIdEEEE10hipError_tPvRmT2_T3_mT4_T5_T6_T7_T8_P12ihipStream_tbENKUlT_T0_E_clISt17integral_constantIbLb1EES11_EEDaSW_SX_EUlSW_E_NS1_11comp_targetILNS1_3genE2ELNS1_11target_archE906ELNS1_3gpuE6ELNS1_3repE0EEENS1_30default_config_static_selectorELNS0_4arch9wavefront6targetE0EEEvT1_,@function
_ZN7rocprim17ROCPRIM_400000_NS6detail17trampoline_kernelINS0_14default_configENS1_29reduce_by_key_config_selectorIddN6thrust23THRUST_200600_302600_NS4plusIdEEEEZZNS1_33reduce_by_key_impl_wrapped_configILNS1_25lookback_scan_determinismE0ES3_S9_NS6_6detail15normal_iteratorINS6_10device_ptrIdEEEESG_SG_SG_PmS8_NS6_8equal_toIdEEEE10hipError_tPvRmT2_T3_mT4_T5_T6_T7_T8_P12ihipStream_tbENKUlT_T0_E_clISt17integral_constantIbLb1EES11_EEDaSW_SX_EUlSW_E_NS1_11comp_targetILNS1_3genE2ELNS1_11target_archE906ELNS1_3gpuE6ELNS1_3repE0EEENS1_30default_config_static_selectorELNS0_4arch9wavefront6targetE0EEEvT1_: ; @_ZN7rocprim17ROCPRIM_400000_NS6detail17trampoline_kernelINS0_14default_configENS1_29reduce_by_key_config_selectorIddN6thrust23THRUST_200600_302600_NS4plusIdEEEEZZNS1_33reduce_by_key_impl_wrapped_configILNS1_25lookback_scan_determinismE0ES3_S9_NS6_6detail15normal_iteratorINS6_10device_ptrIdEEEESG_SG_SG_PmS8_NS6_8equal_toIdEEEE10hipError_tPvRmT2_T3_mT4_T5_T6_T7_T8_P12ihipStream_tbENKUlT_T0_E_clISt17integral_constantIbLb1EES11_EEDaSW_SX_EUlSW_E_NS1_11comp_targetILNS1_3genE2ELNS1_11target_archE906ELNS1_3gpuE6ELNS1_3repE0EEENS1_30default_config_static_selectorELNS0_4arch9wavefront6targetE0EEEvT1_
; %bb.0:
	.section	.rodata,"a",@progbits
	.p2align	6, 0x0
	.amdhsa_kernel _ZN7rocprim17ROCPRIM_400000_NS6detail17trampoline_kernelINS0_14default_configENS1_29reduce_by_key_config_selectorIddN6thrust23THRUST_200600_302600_NS4plusIdEEEEZZNS1_33reduce_by_key_impl_wrapped_configILNS1_25lookback_scan_determinismE0ES3_S9_NS6_6detail15normal_iteratorINS6_10device_ptrIdEEEESG_SG_SG_PmS8_NS6_8equal_toIdEEEE10hipError_tPvRmT2_T3_mT4_T5_T6_T7_T8_P12ihipStream_tbENKUlT_T0_E_clISt17integral_constantIbLb1EES11_EEDaSW_SX_EUlSW_E_NS1_11comp_targetILNS1_3genE2ELNS1_11target_archE906ELNS1_3gpuE6ELNS1_3repE0EEENS1_30default_config_static_selectorELNS0_4arch9wavefront6targetE0EEEvT1_
		.amdhsa_group_segment_fixed_size 0
		.amdhsa_private_segment_fixed_size 0
		.amdhsa_kernarg_size 136
		.amdhsa_user_sgpr_count 15
		.amdhsa_user_sgpr_dispatch_ptr 0
		.amdhsa_user_sgpr_queue_ptr 0
		.amdhsa_user_sgpr_kernarg_segment_ptr 1
		.amdhsa_user_sgpr_dispatch_id 0
		.amdhsa_user_sgpr_private_segment_size 0
		.amdhsa_wavefront_size32 1
		.amdhsa_uses_dynamic_stack 0
		.amdhsa_enable_private_segment 0
		.amdhsa_system_sgpr_workgroup_id_x 1
		.amdhsa_system_sgpr_workgroup_id_y 0
		.amdhsa_system_sgpr_workgroup_id_z 0
		.amdhsa_system_sgpr_workgroup_info 0
		.amdhsa_system_vgpr_workitem_id 0
		.amdhsa_next_free_vgpr 1
		.amdhsa_next_free_sgpr 1
		.amdhsa_reserve_vcc 0
		.amdhsa_float_round_mode_32 0
		.amdhsa_float_round_mode_16_64 0
		.amdhsa_float_denorm_mode_32 3
		.amdhsa_float_denorm_mode_16_64 3
		.amdhsa_dx10_clamp 1
		.amdhsa_ieee_mode 1
		.amdhsa_fp16_overflow 0
		.amdhsa_workgroup_processor_mode 1
		.amdhsa_memory_ordered 1
		.amdhsa_forward_progress 0
		.amdhsa_shared_vgpr_count 0
		.amdhsa_exception_fp_ieee_invalid_op 0
		.amdhsa_exception_fp_denorm_src 0
		.amdhsa_exception_fp_ieee_div_zero 0
		.amdhsa_exception_fp_ieee_overflow 0
		.amdhsa_exception_fp_ieee_underflow 0
		.amdhsa_exception_fp_ieee_inexact 0
		.amdhsa_exception_int_div_zero 0
	.end_amdhsa_kernel
	.section	.text._ZN7rocprim17ROCPRIM_400000_NS6detail17trampoline_kernelINS0_14default_configENS1_29reduce_by_key_config_selectorIddN6thrust23THRUST_200600_302600_NS4plusIdEEEEZZNS1_33reduce_by_key_impl_wrapped_configILNS1_25lookback_scan_determinismE0ES3_S9_NS6_6detail15normal_iteratorINS6_10device_ptrIdEEEESG_SG_SG_PmS8_NS6_8equal_toIdEEEE10hipError_tPvRmT2_T3_mT4_T5_T6_T7_T8_P12ihipStream_tbENKUlT_T0_E_clISt17integral_constantIbLb1EES11_EEDaSW_SX_EUlSW_E_NS1_11comp_targetILNS1_3genE2ELNS1_11target_archE906ELNS1_3gpuE6ELNS1_3repE0EEENS1_30default_config_static_selectorELNS0_4arch9wavefront6targetE0EEEvT1_,"axG",@progbits,_ZN7rocprim17ROCPRIM_400000_NS6detail17trampoline_kernelINS0_14default_configENS1_29reduce_by_key_config_selectorIddN6thrust23THRUST_200600_302600_NS4plusIdEEEEZZNS1_33reduce_by_key_impl_wrapped_configILNS1_25lookback_scan_determinismE0ES3_S9_NS6_6detail15normal_iteratorINS6_10device_ptrIdEEEESG_SG_SG_PmS8_NS6_8equal_toIdEEEE10hipError_tPvRmT2_T3_mT4_T5_T6_T7_T8_P12ihipStream_tbENKUlT_T0_E_clISt17integral_constantIbLb1EES11_EEDaSW_SX_EUlSW_E_NS1_11comp_targetILNS1_3genE2ELNS1_11target_archE906ELNS1_3gpuE6ELNS1_3repE0EEENS1_30default_config_static_selectorELNS0_4arch9wavefront6targetE0EEEvT1_,comdat
.Lfunc_end26:
	.size	_ZN7rocprim17ROCPRIM_400000_NS6detail17trampoline_kernelINS0_14default_configENS1_29reduce_by_key_config_selectorIddN6thrust23THRUST_200600_302600_NS4plusIdEEEEZZNS1_33reduce_by_key_impl_wrapped_configILNS1_25lookback_scan_determinismE0ES3_S9_NS6_6detail15normal_iteratorINS6_10device_ptrIdEEEESG_SG_SG_PmS8_NS6_8equal_toIdEEEE10hipError_tPvRmT2_T3_mT4_T5_T6_T7_T8_P12ihipStream_tbENKUlT_T0_E_clISt17integral_constantIbLb1EES11_EEDaSW_SX_EUlSW_E_NS1_11comp_targetILNS1_3genE2ELNS1_11target_archE906ELNS1_3gpuE6ELNS1_3repE0EEENS1_30default_config_static_selectorELNS0_4arch9wavefront6targetE0EEEvT1_, .Lfunc_end26-_ZN7rocprim17ROCPRIM_400000_NS6detail17trampoline_kernelINS0_14default_configENS1_29reduce_by_key_config_selectorIddN6thrust23THRUST_200600_302600_NS4plusIdEEEEZZNS1_33reduce_by_key_impl_wrapped_configILNS1_25lookback_scan_determinismE0ES3_S9_NS6_6detail15normal_iteratorINS6_10device_ptrIdEEEESG_SG_SG_PmS8_NS6_8equal_toIdEEEE10hipError_tPvRmT2_T3_mT4_T5_T6_T7_T8_P12ihipStream_tbENKUlT_T0_E_clISt17integral_constantIbLb1EES11_EEDaSW_SX_EUlSW_E_NS1_11comp_targetILNS1_3genE2ELNS1_11target_archE906ELNS1_3gpuE6ELNS1_3repE0EEENS1_30default_config_static_selectorELNS0_4arch9wavefront6targetE0EEEvT1_
                                        ; -- End function
	.section	.AMDGPU.csdata,"",@progbits
; Kernel info:
; codeLenInByte = 0
; NumSgprs: 0
; NumVgprs: 0
; ScratchSize: 0
; MemoryBound: 0
; FloatMode: 240
; IeeeMode: 1
; LDSByteSize: 0 bytes/workgroup (compile time only)
; SGPRBlocks: 0
; VGPRBlocks: 0
; NumSGPRsForWavesPerEU: 1
; NumVGPRsForWavesPerEU: 1
; Occupancy: 16
; WaveLimiterHint : 0
; COMPUTE_PGM_RSRC2:SCRATCH_EN: 0
; COMPUTE_PGM_RSRC2:USER_SGPR: 15
; COMPUTE_PGM_RSRC2:TRAP_HANDLER: 0
; COMPUTE_PGM_RSRC2:TGID_X_EN: 1
; COMPUTE_PGM_RSRC2:TGID_Y_EN: 0
; COMPUTE_PGM_RSRC2:TGID_Z_EN: 0
; COMPUTE_PGM_RSRC2:TIDIG_COMP_CNT: 0
	.section	.text._ZN7rocprim17ROCPRIM_400000_NS6detail17trampoline_kernelINS0_14default_configENS1_29reduce_by_key_config_selectorIddN6thrust23THRUST_200600_302600_NS4plusIdEEEEZZNS1_33reduce_by_key_impl_wrapped_configILNS1_25lookback_scan_determinismE0ES3_S9_NS6_6detail15normal_iteratorINS6_10device_ptrIdEEEESG_SG_SG_PmS8_NS6_8equal_toIdEEEE10hipError_tPvRmT2_T3_mT4_T5_T6_T7_T8_P12ihipStream_tbENKUlT_T0_E_clISt17integral_constantIbLb1EES11_EEDaSW_SX_EUlSW_E_NS1_11comp_targetILNS1_3genE10ELNS1_11target_archE1201ELNS1_3gpuE5ELNS1_3repE0EEENS1_30default_config_static_selectorELNS0_4arch9wavefront6targetE0EEEvT1_,"axG",@progbits,_ZN7rocprim17ROCPRIM_400000_NS6detail17trampoline_kernelINS0_14default_configENS1_29reduce_by_key_config_selectorIddN6thrust23THRUST_200600_302600_NS4plusIdEEEEZZNS1_33reduce_by_key_impl_wrapped_configILNS1_25lookback_scan_determinismE0ES3_S9_NS6_6detail15normal_iteratorINS6_10device_ptrIdEEEESG_SG_SG_PmS8_NS6_8equal_toIdEEEE10hipError_tPvRmT2_T3_mT4_T5_T6_T7_T8_P12ihipStream_tbENKUlT_T0_E_clISt17integral_constantIbLb1EES11_EEDaSW_SX_EUlSW_E_NS1_11comp_targetILNS1_3genE10ELNS1_11target_archE1201ELNS1_3gpuE5ELNS1_3repE0EEENS1_30default_config_static_selectorELNS0_4arch9wavefront6targetE0EEEvT1_,comdat
	.protected	_ZN7rocprim17ROCPRIM_400000_NS6detail17trampoline_kernelINS0_14default_configENS1_29reduce_by_key_config_selectorIddN6thrust23THRUST_200600_302600_NS4plusIdEEEEZZNS1_33reduce_by_key_impl_wrapped_configILNS1_25lookback_scan_determinismE0ES3_S9_NS6_6detail15normal_iteratorINS6_10device_ptrIdEEEESG_SG_SG_PmS8_NS6_8equal_toIdEEEE10hipError_tPvRmT2_T3_mT4_T5_T6_T7_T8_P12ihipStream_tbENKUlT_T0_E_clISt17integral_constantIbLb1EES11_EEDaSW_SX_EUlSW_E_NS1_11comp_targetILNS1_3genE10ELNS1_11target_archE1201ELNS1_3gpuE5ELNS1_3repE0EEENS1_30default_config_static_selectorELNS0_4arch9wavefront6targetE0EEEvT1_ ; -- Begin function _ZN7rocprim17ROCPRIM_400000_NS6detail17trampoline_kernelINS0_14default_configENS1_29reduce_by_key_config_selectorIddN6thrust23THRUST_200600_302600_NS4plusIdEEEEZZNS1_33reduce_by_key_impl_wrapped_configILNS1_25lookback_scan_determinismE0ES3_S9_NS6_6detail15normal_iteratorINS6_10device_ptrIdEEEESG_SG_SG_PmS8_NS6_8equal_toIdEEEE10hipError_tPvRmT2_T3_mT4_T5_T6_T7_T8_P12ihipStream_tbENKUlT_T0_E_clISt17integral_constantIbLb1EES11_EEDaSW_SX_EUlSW_E_NS1_11comp_targetILNS1_3genE10ELNS1_11target_archE1201ELNS1_3gpuE5ELNS1_3repE0EEENS1_30default_config_static_selectorELNS0_4arch9wavefront6targetE0EEEvT1_
	.globl	_ZN7rocprim17ROCPRIM_400000_NS6detail17trampoline_kernelINS0_14default_configENS1_29reduce_by_key_config_selectorIddN6thrust23THRUST_200600_302600_NS4plusIdEEEEZZNS1_33reduce_by_key_impl_wrapped_configILNS1_25lookback_scan_determinismE0ES3_S9_NS6_6detail15normal_iteratorINS6_10device_ptrIdEEEESG_SG_SG_PmS8_NS6_8equal_toIdEEEE10hipError_tPvRmT2_T3_mT4_T5_T6_T7_T8_P12ihipStream_tbENKUlT_T0_E_clISt17integral_constantIbLb1EES11_EEDaSW_SX_EUlSW_E_NS1_11comp_targetILNS1_3genE10ELNS1_11target_archE1201ELNS1_3gpuE5ELNS1_3repE0EEENS1_30default_config_static_selectorELNS0_4arch9wavefront6targetE0EEEvT1_
	.p2align	8
	.type	_ZN7rocprim17ROCPRIM_400000_NS6detail17trampoline_kernelINS0_14default_configENS1_29reduce_by_key_config_selectorIddN6thrust23THRUST_200600_302600_NS4plusIdEEEEZZNS1_33reduce_by_key_impl_wrapped_configILNS1_25lookback_scan_determinismE0ES3_S9_NS6_6detail15normal_iteratorINS6_10device_ptrIdEEEESG_SG_SG_PmS8_NS6_8equal_toIdEEEE10hipError_tPvRmT2_T3_mT4_T5_T6_T7_T8_P12ihipStream_tbENKUlT_T0_E_clISt17integral_constantIbLb1EES11_EEDaSW_SX_EUlSW_E_NS1_11comp_targetILNS1_3genE10ELNS1_11target_archE1201ELNS1_3gpuE5ELNS1_3repE0EEENS1_30default_config_static_selectorELNS0_4arch9wavefront6targetE0EEEvT1_,@function
_ZN7rocprim17ROCPRIM_400000_NS6detail17trampoline_kernelINS0_14default_configENS1_29reduce_by_key_config_selectorIddN6thrust23THRUST_200600_302600_NS4plusIdEEEEZZNS1_33reduce_by_key_impl_wrapped_configILNS1_25lookback_scan_determinismE0ES3_S9_NS6_6detail15normal_iteratorINS6_10device_ptrIdEEEESG_SG_SG_PmS8_NS6_8equal_toIdEEEE10hipError_tPvRmT2_T3_mT4_T5_T6_T7_T8_P12ihipStream_tbENKUlT_T0_E_clISt17integral_constantIbLb1EES11_EEDaSW_SX_EUlSW_E_NS1_11comp_targetILNS1_3genE10ELNS1_11target_archE1201ELNS1_3gpuE5ELNS1_3repE0EEENS1_30default_config_static_selectorELNS0_4arch9wavefront6targetE0EEEvT1_: ; @_ZN7rocprim17ROCPRIM_400000_NS6detail17trampoline_kernelINS0_14default_configENS1_29reduce_by_key_config_selectorIddN6thrust23THRUST_200600_302600_NS4plusIdEEEEZZNS1_33reduce_by_key_impl_wrapped_configILNS1_25lookback_scan_determinismE0ES3_S9_NS6_6detail15normal_iteratorINS6_10device_ptrIdEEEESG_SG_SG_PmS8_NS6_8equal_toIdEEEE10hipError_tPvRmT2_T3_mT4_T5_T6_T7_T8_P12ihipStream_tbENKUlT_T0_E_clISt17integral_constantIbLb1EES11_EEDaSW_SX_EUlSW_E_NS1_11comp_targetILNS1_3genE10ELNS1_11target_archE1201ELNS1_3gpuE5ELNS1_3repE0EEENS1_30default_config_static_selectorELNS0_4arch9wavefront6targetE0EEEvT1_
; %bb.0:
	.section	.rodata,"a",@progbits
	.p2align	6, 0x0
	.amdhsa_kernel _ZN7rocprim17ROCPRIM_400000_NS6detail17trampoline_kernelINS0_14default_configENS1_29reduce_by_key_config_selectorIddN6thrust23THRUST_200600_302600_NS4plusIdEEEEZZNS1_33reduce_by_key_impl_wrapped_configILNS1_25lookback_scan_determinismE0ES3_S9_NS6_6detail15normal_iteratorINS6_10device_ptrIdEEEESG_SG_SG_PmS8_NS6_8equal_toIdEEEE10hipError_tPvRmT2_T3_mT4_T5_T6_T7_T8_P12ihipStream_tbENKUlT_T0_E_clISt17integral_constantIbLb1EES11_EEDaSW_SX_EUlSW_E_NS1_11comp_targetILNS1_3genE10ELNS1_11target_archE1201ELNS1_3gpuE5ELNS1_3repE0EEENS1_30default_config_static_selectorELNS0_4arch9wavefront6targetE0EEEvT1_
		.amdhsa_group_segment_fixed_size 0
		.amdhsa_private_segment_fixed_size 0
		.amdhsa_kernarg_size 136
		.amdhsa_user_sgpr_count 15
		.amdhsa_user_sgpr_dispatch_ptr 0
		.amdhsa_user_sgpr_queue_ptr 0
		.amdhsa_user_sgpr_kernarg_segment_ptr 1
		.amdhsa_user_sgpr_dispatch_id 0
		.amdhsa_user_sgpr_private_segment_size 0
		.amdhsa_wavefront_size32 1
		.amdhsa_uses_dynamic_stack 0
		.amdhsa_enable_private_segment 0
		.amdhsa_system_sgpr_workgroup_id_x 1
		.amdhsa_system_sgpr_workgroup_id_y 0
		.amdhsa_system_sgpr_workgroup_id_z 0
		.amdhsa_system_sgpr_workgroup_info 0
		.amdhsa_system_vgpr_workitem_id 0
		.amdhsa_next_free_vgpr 1
		.amdhsa_next_free_sgpr 1
		.amdhsa_reserve_vcc 0
		.amdhsa_float_round_mode_32 0
		.amdhsa_float_round_mode_16_64 0
		.amdhsa_float_denorm_mode_32 3
		.amdhsa_float_denorm_mode_16_64 3
		.amdhsa_dx10_clamp 1
		.amdhsa_ieee_mode 1
		.amdhsa_fp16_overflow 0
		.amdhsa_workgroup_processor_mode 1
		.amdhsa_memory_ordered 1
		.amdhsa_forward_progress 0
		.amdhsa_shared_vgpr_count 0
		.amdhsa_exception_fp_ieee_invalid_op 0
		.amdhsa_exception_fp_denorm_src 0
		.amdhsa_exception_fp_ieee_div_zero 0
		.amdhsa_exception_fp_ieee_overflow 0
		.amdhsa_exception_fp_ieee_underflow 0
		.amdhsa_exception_fp_ieee_inexact 0
		.amdhsa_exception_int_div_zero 0
	.end_amdhsa_kernel
	.section	.text._ZN7rocprim17ROCPRIM_400000_NS6detail17trampoline_kernelINS0_14default_configENS1_29reduce_by_key_config_selectorIddN6thrust23THRUST_200600_302600_NS4plusIdEEEEZZNS1_33reduce_by_key_impl_wrapped_configILNS1_25lookback_scan_determinismE0ES3_S9_NS6_6detail15normal_iteratorINS6_10device_ptrIdEEEESG_SG_SG_PmS8_NS6_8equal_toIdEEEE10hipError_tPvRmT2_T3_mT4_T5_T6_T7_T8_P12ihipStream_tbENKUlT_T0_E_clISt17integral_constantIbLb1EES11_EEDaSW_SX_EUlSW_E_NS1_11comp_targetILNS1_3genE10ELNS1_11target_archE1201ELNS1_3gpuE5ELNS1_3repE0EEENS1_30default_config_static_selectorELNS0_4arch9wavefront6targetE0EEEvT1_,"axG",@progbits,_ZN7rocprim17ROCPRIM_400000_NS6detail17trampoline_kernelINS0_14default_configENS1_29reduce_by_key_config_selectorIddN6thrust23THRUST_200600_302600_NS4plusIdEEEEZZNS1_33reduce_by_key_impl_wrapped_configILNS1_25lookback_scan_determinismE0ES3_S9_NS6_6detail15normal_iteratorINS6_10device_ptrIdEEEESG_SG_SG_PmS8_NS6_8equal_toIdEEEE10hipError_tPvRmT2_T3_mT4_T5_T6_T7_T8_P12ihipStream_tbENKUlT_T0_E_clISt17integral_constantIbLb1EES11_EEDaSW_SX_EUlSW_E_NS1_11comp_targetILNS1_3genE10ELNS1_11target_archE1201ELNS1_3gpuE5ELNS1_3repE0EEENS1_30default_config_static_selectorELNS0_4arch9wavefront6targetE0EEEvT1_,comdat
.Lfunc_end27:
	.size	_ZN7rocprim17ROCPRIM_400000_NS6detail17trampoline_kernelINS0_14default_configENS1_29reduce_by_key_config_selectorIddN6thrust23THRUST_200600_302600_NS4plusIdEEEEZZNS1_33reduce_by_key_impl_wrapped_configILNS1_25lookback_scan_determinismE0ES3_S9_NS6_6detail15normal_iteratorINS6_10device_ptrIdEEEESG_SG_SG_PmS8_NS6_8equal_toIdEEEE10hipError_tPvRmT2_T3_mT4_T5_T6_T7_T8_P12ihipStream_tbENKUlT_T0_E_clISt17integral_constantIbLb1EES11_EEDaSW_SX_EUlSW_E_NS1_11comp_targetILNS1_3genE10ELNS1_11target_archE1201ELNS1_3gpuE5ELNS1_3repE0EEENS1_30default_config_static_selectorELNS0_4arch9wavefront6targetE0EEEvT1_, .Lfunc_end27-_ZN7rocprim17ROCPRIM_400000_NS6detail17trampoline_kernelINS0_14default_configENS1_29reduce_by_key_config_selectorIddN6thrust23THRUST_200600_302600_NS4plusIdEEEEZZNS1_33reduce_by_key_impl_wrapped_configILNS1_25lookback_scan_determinismE0ES3_S9_NS6_6detail15normal_iteratorINS6_10device_ptrIdEEEESG_SG_SG_PmS8_NS6_8equal_toIdEEEE10hipError_tPvRmT2_T3_mT4_T5_T6_T7_T8_P12ihipStream_tbENKUlT_T0_E_clISt17integral_constantIbLb1EES11_EEDaSW_SX_EUlSW_E_NS1_11comp_targetILNS1_3genE10ELNS1_11target_archE1201ELNS1_3gpuE5ELNS1_3repE0EEENS1_30default_config_static_selectorELNS0_4arch9wavefront6targetE0EEEvT1_
                                        ; -- End function
	.section	.AMDGPU.csdata,"",@progbits
; Kernel info:
; codeLenInByte = 0
; NumSgprs: 0
; NumVgprs: 0
; ScratchSize: 0
; MemoryBound: 0
; FloatMode: 240
; IeeeMode: 1
; LDSByteSize: 0 bytes/workgroup (compile time only)
; SGPRBlocks: 0
; VGPRBlocks: 0
; NumSGPRsForWavesPerEU: 1
; NumVGPRsForWavesPerEU: 1
; Occupancy: 16
; WaveLimiterHint : 0
; COMPUTE_PGM_RSRC2:SCRATCH_EN: 0
; COMPUTE_PGM_RSRC2:USER_SGPR: 15
; COMPUTE_PGM_RSRC2:TRAP_HANDLER: 0
; COMPUTE_PGM_RSRC2:TGID_X_EN: 1
; COMPUTE_PGM_RSRC2:TGID_Y_EN: 0
; COMPUTE_PGM_RSRC2:TGID_Z_EN: 0
; COMPUTE_PGM_RSRC2:TIDIG_COMP_CNT: 0
	.section	.text._ZN7rocprim17ROCPRIM_400000_NS6detail17trampoline_kernelINS0_14default_configENS1_29reduce_by_key_config_selectorIddN6thrust23THRUST_200600_302600_NS4plusIdEEEEZZNS1_33reduce_by_key_impl_wrapped_configILNS1_25lookback_scan_determinismE0ES3_S9_NS6_6detail15normal_iteratorINS6_10device_ptrIdEEEESG_SG_SG_PmS8_NS6_8equal_toIdEEEE10hipError_tPvRmT2_T3_mT4_T5_T6_T7_T8_P12ihipStream_tbENKUlT_T0_E_clISt17integral_constantIbLb1EES11_EEDaSW_SX_EUlSW_E_NS1_11comp_targetILNS1_3genE10ELNS1_11target_archE1200ELNS1_3gpuE4ELNS1_3repE0EEENS1_30default_config_static_selectorELNS0_4arch9wavefront6targetE0EEEvT1_,"axG",@progbits,_ZN7rocprim17ROCPRIM_400000_NS6detail17trampoline_kernelINS0_14default_configENS1_29reduce_by_key_config_selectorIddN6thrust23THRUST_200600_302600_NS4plusIdEEEEZZNS1_33reduce_by_key_impl_wrapped_configILNS1_25lookback_scan_determinismE0ES3_S9_NS6_6detail15normal_iteratorINS6_10device_ptrIdEEEESG_SG_SG_PmS8_NS6_8equal_toIdEEEE10hipError_tPvRmT2_T3_mT4_T5_T6_T7_T8_P12ihipStream_tbENKUlT_T0_E_clISt17integral_constantIbLb1EES11_EEDaSW_SX_EUlSW_E_NS1_11comp_targetILNS1_3genE10ELNS1_11target_archE1200ELNS1_3gpuE4ELNS1_3repE0EEENS1_30default_config_static_selectorELNS0_4arch9wavefront6targetE0EEEvT1_,comdat
	.protected	_ZN7rocprim17ROCPRIM_400000_NS6detail17trampoline_kernelINS0_14default_configENS1_29reduce_by_key_config_selectorIddN6thrust23THRUST_200600_302600_NS4plusIdEEEEZZNS1_33reduce_by_key_impl_wrapped_configILNS1_25lookback_scan_determinismE0ES3_S9_NS6_6detail15normal_iteratorINS6_10device_ptrIdEEEESG_SG_SG_PmS8_NS6_8equal_toIdEEEE10hipError_tPvRmT2_T3_mT4_T5_T6_T7_T8_P12ihipStream_tbENKUlT_T0_E_clISt17integral_constantIbLb1EES11_EEDaSW_SX_EUlSW_E_NS1_11comp_targetILNS1_3genE10ELNS1_11target_archE1200ELNS1_3gpuE4ELNS1_3repE0EEENS1_30default_config_static_selectorELNS0_4arch9wavefront6targetE0EEEvT1_ ; -- Begin function _ZN7rocprim17ROCPRIM_400000_NS6detail17trampoline_kernelINS0_14default_configENS1_29reduce_by_key_config_selectorIddN6thrust23THRUST_200600_302600_NS4plusIdEEEEZZNS1_33reduce_by_key_impl_wrapped_configILNS1_25lookback_scan_determinismE0ES3_S9_NS6_6detail15normal_iteratorINS6_10device_ptrIdEEEESG_SG_SG_PmS8_NS6_8equal_toIdEEEE10hipError_tPvRmT2_T3_mT4_T5_T6_T7_T8_P12ihipStream_tbENKUlT_T0_E_clISt17integral_constantIbLb1EES11_EEDaSW_SX_EUlSW_E_NS1_11comp_targetILNS1_3genE10ELNS1_11target_archE1200ELNS1_3gpuE4ELNS1_3repE0EEENS1_30default_config_static_selectorELNS0_4arch9wavefront6targetE0EEEvT1_
	.globl	_ZN7rocprim17ROCPRIM_400000_NS6detail17trampoline_kernelINS0_14default_configENS1_29reduce_by_key_config_selectorIddN6thrust23THRUST_200600_302600_NS4plusIdEEEEZZNS1_33reduce_by_key_impl_wrapped_configILNS1_25lookback_scan_determinismE0ES3_S9_NS6_6detail15normal_iteratorINS6_10device_ptrIdEEEESG_SG_SG_PmS8_NS6_8equal_toIdEEEE10hipError_tPvRmT2_T3_mT4_T5_T6_T7_T8_P12ihipStream_tbENKUlT_T0_E_clISt17integral_constantIbLb1EES11_EEDaSW_SX_EUlSW_E_NS1_11comp_targetILNS1_3genE10ELNS1_11target_archE1200ELNS1_3gpuE4ELNS1_3repE0EEENS1_30default_config_static_selectorELNS0_4arch9wavefront6targetE0EEEvT1_
	.p2align	8
	.type	_ZN7rocprim17ROCPRIM_400000_NS6detail17trampoline_kernelINS0_14default_configENS1_29reduce_by_key_config_selectorIddN6thrust23THRUST_200600_302600_NS4plusIdEEEEZZNS1_33reduce_by_key_impl_wrapped_configILNS1_25lookback_scan_determinismE0ES3_S9_NS6_6detail15normal_iteratorINS6_10device_ptrIdEEEESG_SG_SG_PmS8_NS6_8equal_toIdEEEE10hipError_tPvRmT2_T3_mT4_T5_T6_T7_T8_P12ihipStream_tbENKUlT_T0_E_clISt17integral_constantIbLb1EES11_EEDaSW_SX_EUlSW_E_NS1_11comp_targetILNS1_3genE10ELNS1_11target_archE1200ELNS1_3gpuE4ELNS1_3repE0EEENS1_30default_config_static_selectorELNS0_4arch9wavefront6targetE0EEEvT1_,@function
_ZN7rocprim17ROCPRIM_400000_NS6detail17trampoline_kernelINS0_14default_configENS1_29reduce_by_key_config_selectorIddN6thrust23THRUST_200600_302600_NS4plusIdEEEEZZNS1_33reduce_by_key_impl_wrapped_configILNS1_25lookback_scan_determinismE0ES3_S9_NS6_6detail15normal_iteratorINS6_10device_ptrIdEEEESG_SG_SG_PmS8_NS6_8equal_toIdEEEE10hipError_tPvRmT2_T3_mT4_T5_T6_T7_T8_P12ihipStream_tbENKUlT_T0_E_clISt17integral_constantIbLb1EES11_EEDaSW_SX_EUlSW_E_NS1_11comp_targetILNS1_3genE10ELNS1_11target_archE1200ELNS1_3gpuE4ELNS1_3repE0EEENS1_30default_config_static_selectorELNS0_4arch9wavefront6targetE0EEEvT1_: ; @_ZN7rocprim17ROCPRIM_400000_NS6detail17trampoline_kernelINS0_14default_configENS1_29reduce_by_key_config_selectorIddN6thrust23THRUST_200600_302600_NS4plusIdEEEEZZNS1_33reduce_by_key_impl_wrapped_configILNS1_25lookback_scan_determinismE0ES3_S9_NS6_6detail15normal_iteratorINS6_10device_ptrIdEEEESG_SG_SG_PmS8_NS6_8equal_toIdEEEE10hipError_tPvRmT2_T3_mT4_T5_T6_T7_T8_P12ihipStream_tbENKUlT_T0_E_clISt17integral_constantIbLb1EES11_EEDaSW_SX_EUlSW_E_NS1_11comp_targetILNS1_3genE10ELNS1_11target_archE1200ELNS1_3gpuE4ELNS1_3repE0EEENS1_30default_config_static_selectorELNS0_4arch9wavefront6targetE0EEEvT1_
; %bb.0:
	.section	.rodata,"a",@progbits
	.p2align	6, 0x0
	.amdhsa_kernel _ZN7rocprim17ROCPRIM_400000_NS6detail17trampoline_kernelINS0_14default_configENS1_29reduce_by_key_config_selectorIddN6thrust23THRUST_200600_302600_NS4plusIdEEEEZZNS1_33reduce_by_key_impl_wrapped_configILNS1_25lookback_scan_determinismE0ES3_S9_NS6_6detail15normal_iteratorINS6_10device_ptrIdEEEESG_SG_SG_PmS8_NS6_8equal_toIdEEEE10hipError_tPvRmT2_T3_mT4_T5_T6_T7_T8_P12ihipStream_tbENKUlT_T0_E_clISt17integral_constantIbLb1EES11_EEDaSW_SX_EUlSW_E_NS1_11comp_targetILNS1_3genE10ELNS1_11target_archE1200ELNS1_3gpuE4ELNS1_3repE0EEENS1_30default_config_static_selectorELNS0_4arch9wavefront6targetE0EEEvT1_
		.amdhsa_group_segment_fixed_size 0
		.amdhsa_private_segment_fixed_size 0
		.amdhsa_kernarg_size 136
		.amdhsa_user_sgpr_count 15
		.amdhsa_user_sgpr_dispatch_ptr 0
		.amdhsa_user_sgpr_queue_ptr 0
		.amdhsa_user_sgpr_kernarg_segment_ptr 1
		.amdhsa_user_sgpr_dispatch_id 0
		.amdhsa_user_sgpr_private_segment_size 0
		.amdhsa_wavefront_size32 1
		.amdhsa_uses_dynamic_stack 0
		.amdhsa_enable_private_segment 0
		.amdhsa_system_sgpr_workgroup_id_x 1
		.amdhsa_system_sgpr_workgroup_id_y 0
		.amdhsa_system_sgpr_workgroup_id_z 0
		.amdhsa_system_sgpr_workgroup_info 0
		.amdhsa_system_vgpr_workitem_id 0
		.amdhsa_next_free_vgpr 1
		.amdhsa_next_free_sgpr 1
		.amdhsa_reserve_vcc 0
		.amdhsa_float_round_mode_32 0
		.amdhsa_float_round_mode_16_64 0
		.amdhsa_float_denorm_mode_32 3
		.amdhsa_float_denorm_mode_16_64 3
		.amdhsa_dx10_clamp 1
		.amdhsa_ieee_mode 1
		.amdhsa_fp16_overflow 0
		.amdhsa_workgroup_processor_mode 1
		.amdhsa_memory_ordered 1
		.amdhsa_forward_progress 0
		.amdhsa_shared_vgpr_count 0
		.amdhsa_exception_fp_ieee_invalid_op 0
		.amdhsa_exception_fp_denorm_src 0
		.amdhsa_exception_fp_ieee_div_zero 0
		.amdhsa_exception_fp_ieee_overflow 0
		.amdhsa_exception_fp_ieee_underflow 0
		.amdhsa_exception_fp_ieee_inexact 0
		.amdhsa_exception_int_div_zero 0
	.end_amdhsa_kernel
	.section	.text._ZN7rocprim17ROCPRIM_400000_NS6detail17trampoline_kernelINS0_14default_configENS1_29reduce_by_key_config_selectorIddN6thrust23THRUST_200600_302600_NS4plusIdEEEEZZNS1_33reduce_by_key_impl_wrapped_configILNS1_25lookback_scan_determinismE0ES3_S9_NS6_6detail15normal_iteratorINS6_10device_ptrIdEEEESG_SG_SG_PmS8_NS6_8equal_toIdEEEE10hipError_tPvRmT2_T3_mT4_T5_T6_T7_T8_P12ihipStream_tbENKUlT_T0_E_clISt17integral_constantIbLb1EES11_EEDaSW_SX_EUlSW_E_NS1_11comp_targetILNS1_3genE10ELNS1_11target_archE1200ELNS1_3gpuE4ELNS1_3repE0EEENS1_30default_config_static_selectorELNS0_4arch9wavefront6targetE0EEEvT1_,"axG",@progbits,_ZN7rocprim17ROCPRIM_400000_NS6detail17trampoline_kernelINS0_14default_configENS1_29reduce_by_key_config_selectorIddN6thrust23THRUST_200600_302600_NS4plusIdEEEEZZNS1_33reduce_by_key_impl_wrapped_configILNS1_25lookback_scan_determinismE0ES3_S9_NS6_6detail15normal_iteratorINS6_10device_ptrIdEEEESG_SG_SG_PmS8_NS6_8equal_toIdEEEE10hipError_tPvRmT2_T3_mT4_T5_T6_T7_T8_P12ihipStream_tbENKUlT_T0_E_clISt17integral_constantIbLb1EES11_EEDaSW_SX_EUlSW_E_NS1_11comp_targetILNS1_3genE10ELNS1_11target_archE1200ELNS1_3gpuE4ELNS1_3repE0EEENS1_30default_config_static_selectorELNS0_4arch9wavefront6targetE0EEEvT1_,comdat
.Lfunc_end28:
	.size	_ZN7rocprim17ROCPRIM_400000_NS6detail17trampoline_kernelINS0_14default_configENS1_29reduce_by_key_config_selectorIddN6thrust23THRUST_200600_302600_NS4plusIdEEEEZZNS1_33reduce_by_key_impl_wrapped_configILNS1_25lookback_scan_determinismE0ES3_S9_NS6_6detail15normal_iteratorINS6_10device_ptrIdEEEESG_SG_SG_PmS8_NS6_8equal_toIdEEEE10hipError_tPvRmT2_T3_mT4_T5_T6_T7_T8_P12ihipStream_tbENKUlT_T0_E_clISt17integral_constantIbLb1EES11_EEDaSW_SX_EUlSW_E_NS1_11comp_targetILNS1_3genE10ELNS1_11target_archE1200ELNS1_3gpuE4ELNS1_3repE0EEENS1_30default_config_static_selectorELNS0_4arch9wavefront6targetE0EEEvT1_, .Lfunc_end28-_ZN7rocprim17ROCPRIM_400000_NS6detail17trampoline_kernelINS0_14default_configENS1_29reduce_by_key_config_selectorIddN6thrust23THRUST_200600_302600_NS4plusIdEEEEZZNS1_33reduce_by_key_impl_wrapped_configILNS1_25lookback_scan_determinismE0ES3_S9_NS6_6detail15normal_iteratorINS6_10device_ptrIdEEEESG_SG_SG_PmS8_NS6_8equal_toIdEEEE10hipError_tPvRmT2_T3_mT4_T5_T6_T7_T8_P12ihipStream_tbENKUlT_T0_E_clISt17integral_constantIbLb1EES11_EEDaSW_SX_EUlSW_E_NS1_11comp_targetILNS1_3genE10ELNS1_11target_archE1200ELNS1_3gpuE4ELNS1_3repE0EEENS1_30default_config_static_selectorELNS0_4arch9wavefront6targetE0EEEvT1_
                                        ; -- End function
	.section	.AMDGPU.csdata,"",@progbits
; Kernel info:
; codeLenInByte = 0
; NumSgprs: 0
; NumVgprs: 0
; ScratchSize: 0
; MemoryBound: 0
; FloatMode: 240
; IeeeMode: 1
; LDSByteSize: 0 bytes/workgroup (compile time only)
; SGPRBlocks: 0
; VGPRBlocks: 0
; NumSGPRsForWavesPerEU: 1
; NumVGPRsForWavesPerEU: 1
; Occupancy: 16
; WaveLimiterHint : 0
; COMPUTE_PGM_RSRC2:SCRATCH_EN: 0
; COMPUTE_PGM_RSRC2:USER_SGPR: 15
; COMPUTE_PGM_RSRC2:TRAP_HANDLER: 0
; COMPUTE_PGM_RSRC2:TGID_X_EN: 1
; COMPUTE_PGM_RSRC2:TGID_Y_EN: 0
; COMPUTE_PGM_RSRC2:TGID_Z_EN: 0
; COMPUTE_PGM_RSRC2:TIDIG_COMP_CNT: 0
	.section	.text._ZN7rocprim17ROCPRIM_400000_NS6detail17trampoline_kernelINS0_14default_configENS1_29reduce_by_key_config_selectorIddN6thrust23THRUST_200600_302600_NS4plusIdEEEEZZNS1_33reduce_by_key_impl_wrapped_configILNS1_25lookback_scan_determinismE0ES3_S9_NS6_6detail15normal_iteratorINS6_10device_ptrIdEEEESG_SG_SG_PmS8_NS6_8equal_toIdEEEE10hipError_tPvRmT2_T3_mT4_T5_T6_T7_T8_P12ihipStream_tbENKUlT_T0_E_clISt17integral_constantIbLb1EES11_EEDaSW_SX_EUlSW_E_NS1_11comp_targetILNS1_3genE9ELNS1_11target_archE1100ELNS1_3gpuE3ELNS1_3repE0EEENS1_30default_config_static_selectorELNS0_4arch9wavefront6targetE0EEEvT1_,"axG",@progbits,_ZN7rocprim17ROCPRIM_400000_NS6detail17trampoline_kernelINS0_14default_configENS1_29reduce_by_key_config_selectorIddN6thrust23THRUST_200600_302600_NS4plusIdEEEEZZNS1_33reduce_by_key_impl_wrapped_configILNS1_25lookback_scan_determinismE0ES3_S9_NS6_6detail15normal_iteratorINS6_10device_ptrIdEEEESG_SG_SG_PmS8_NS6_8equal_toIdEEEE10hipError_tPvRmT2_T3_mT4_T5_T6_T7_T8_P12ihipStream_tbENKUlT_T0_E_clISt17integral_constantIbLb1EES11_EEDaSW_SX_EUlSW_E_NS1_11comp_targetILNS1_3genE9ELNS1_11target_archE1100ELNS1_3gpuE3ELNS1_3repE0EEENS1_30default_config_static_selectorELNS0_4arch9wavefront6targetE0EEEvT1_,comdat
	.protected	_ZN7rocprim17ROCPRIM_400000_NS6detail17trampoline_kernelINS0_14default_configENS1_29reduce_by_key_config_selectorIddN6thrust23THRUST_200600_302600_NS4plusIdEEEEZZNS1_33reduce_by_key_impl_wrapped_configILNS1_25lookback_scan_determinismE0ES3_S9_NS6_6detail15normal_iteratorINS6_10device_ptrIdEEEESG_SG_SG_PmS8_NS6_8equal_toIdEEEE10hipError_tPvRmT2_T3_mT4_T5_T6_T7_T8_P12ihipStream_tbENKUlT_T0_E_clISt17integral_constantIbLb1EES11_EEDaSW_SX_EUlSW_E_NS1_11comp_targetILNS1_3genE9ELNS1_11target_archE1100ELNS1_3gpuE3ELNS1_3repE0EEENS1_30default_config_static_selectorELNS0_4arch9wavefront6targetE0EEEvT1_ ; -- Begin function _ZN7rocprim17ROCPRIM_400000_NS6detail17trampoline_kernelINS0_14default_configENS1_29reduce_by_key_config_selectorIddN6thrust23THRUST_200600_302600_NS4plusIdEEEEZZNS1_33reduce_by_key_impl_wrapped_configILNS1_25lookback_scan_determinismE0ES3_S9_NS6_6detail15normal_iteratorINS6_10device_ptrIdEEEESG_SG_SG_PmS8_NS6_8equal_toIdEEEE10hipError_tPvRmT2_T3_mT4_T5_T6_T7_T8_P12ihipStream_tbENKUlT_T0_E_clISt17integral_constantIbLb1EES11_EEDaSW_SX_EUlSW_E_NS1_11comp_targetILNS1_3genE9ELNS1_11target_archE1100ELNS1_3gpuE3ELNS1_3repE0EEENS1_30default_config_static_selectorELNS0_4arch9wavefront6targetE0EEEvT1_
	.globl	_ZN7rocprim17ROCPRIM_400000_NS6detail17trampoline_kernelINS0_14default_configENS1_29reduce_by_key_config_selectorIddN6thrust23THRUST_200600_302600_NS4plusIdEEEEZZNS1_33reduce_by_key_impl_wrapped_configILNS1_25lookback_scan_determinismE0ES3_S9_NS6_6detail15normal_iteratorINS6_10device_ptrIdEEEESG_SG_SG_PmS8_NS6_8equal_toIdEEEE10hipError_tPvRmT2_T3_mT4_T5_T6_T7_T8_P12ihipStream_tbENKUlT_T0_E_clISt17integral_constantIbLb1EES11_EEDaSW_SX_EUlSW_E_NS1_11comp_targetILNS1_3genE9ELNS1_11target_archE1100ELNS1_3gpuE3ELNS1_3repE0EEENS1_30default_config_static_selectorELNS0_4arch9wavefront6targetE0EEEvT1_
	.p2align	8
	.type	_ZN7rocprim17ROCPRIM_400000_NS6detail17trampoline_kernelINS0_14default_configENS1_29reduce_by_key_config_selectorIddN6thrust23THRUST_200600_302600_NS4plusIdEEEEZZNS1_33reduce_by_key_impl_wrapped_configILNS1_25lookback_scan_determinismE0ES3_S9_NS6_6detail15normal_iteratorINS6_10device_ptrIdEEEESG_SG_SG_PmS8_NS6_8equal_toIdEEEE10hipError_tPvRmT2_T3_mT4_T5_T6_T7_T8_P12ihipStream_tbENKUlT_T0_E_clISt17integral_constantIbLb1EES11_EEDaSW_SX_EUlSW_E_NS1_11comp_targetILNS1_3genE9ELNS1_11target_archE1100ELNS1_3gpuE3ELNS1_3repE0EEENS1_30default_config_static_selectorELNS0_4arch9wavefront6targetE0EEEvT1_,@function
_ZN7rocprim17ROCPRIM_400000_NS6detail17trampoline_kernelINS0_14default_configENS1_29reduce_by_key_config_selectorIddN6thrust23THRUST_200600_302600_NS4plusIdEEEEZZNS1_33reduce_by_key_impl_wrapped_configILNS1_25lookback_scan_determinismE0ES3_S9_NS6_6detail15normal_iteratorINS6_10device_ptrIdEEEESG_SG_SG_PmS8_NS6_8equal_toIdEEEE10hipError_tPvRmT2_T3_mT4_T5_T6_T7_T8_P12ihipStream_tbENKUlT_T0_E_clISt17integral_constantIbLb1EES11_EEDaSW_SX_EUlSW_E_NS1_11comp_targetILNS1_3genE9ELNS1_11target_archE1100ELNS1_3gpuE3ELNS1_3repE0EEENS1_30default_config_static_selectorELNS0_4arch9wavefront6targetE0EEEvT1_: ; @_ZN7rocprim17ROCPRIM_400000_NS6detail17trampoline_kernelINS0_14default_configENS1_29reduce_by_key_config_selectorIddN6thrust23THRUST_200600_302600_NS4plusIdEEEEZZNS1_33reduce_by_key_impl_wrapped_configILNS1_25lookback_scan_determinismE0ES3_S9_NS6_6detail15normal_iteratorINS6_10device_ptrIdEEEESG_SG_SG_PmS8_NS6_8equal_toIdEEEE10hipError_tPvRmT2_T3_mT4_T5_T6_T7_T8_P12ihipStream_tbENKUlT_T0_E_clISt17integral_constantIbLb1EES11_EEDaSW_SX_EUlSW_E_NS1_11comp_targetILNS1_3genE9ELNS1_11target_archE1100ELNS1_3gpuE3ELNS1_3repE0EEENS1_30default_config_static_selectorELNS0_4arch9wavefront6targetE0EEEvT1_
; %bb.0:
	s_clause 0x2
	s_load_b256 s[24:31], s[0:1], 0x0
	s_load_b128 s[52:55], s[0:1], 0x20
	s_load_b64 s[34:35], s[0:1], 0x78
	v_cmp_ne_u32_e64 s3, 0, v0
	v_cmp_eq_u32_e64 s2, 0, v0
	s_delay_alu instid0(VALU_DEP_1)
	s_and_saveexec_b32 s4, s2
	s_cbranch_execz .LBB29_4
; %bb.1:
	s_mov_b32 s6, exec_lo
	s_mov_b32 s5, exec_lo
	v_mbcnt_lo_u32_b32 v1, s6, 0
                                        ; implicit-def: $vgpr2
	s_delay_alu instid0(VALU_DEP_1)
	v_cmpx_eq_u32_e32 0, v1
	s_cbranch_execz .LBB29_3
; %bb.2:
	s_load_b64 s[8:9], s[0:1], 0x80
	s_bcnt1_i32_b32 s6, s6
	s_delay_alu instid0(SALU_CYCLE_1)
	v_dual_mov_b32 v2, 0 :: v_dual_mov_b32 v3, s6
	s_waitcnt lgkmcnt(0)
	global_atomic_add_u32 v2, v2, v3, s[8:9] glc
.LBB29_3:
	s_or_b32 exec_lo, exec_lo, s5
	s_waitcnt vmcnt(0)
	v_readfirstlane_b32 s5, v2
	s_delay_alu instid0(VALU_DEP_1)
	v_dual_mov_b32 v2, 0 :: v_dual_add_nc_u32 v1, s5, v1
	ds_store_b32 v2, v1
.LBB29_4:
	s_or_b32 exec_lo, exec_lo, s4
	v_mov_b32_e32 v2, 0
	s_load_b512 s[36:51], s[0:1], 0x38
	s_waitcnt lgkmcnt(0)
	s_barrier
	buffer_gl0_inv
	ds_load_b32 v1, v2
	s_lshl_b64 s[4:5], s[26:27], 3
	s_mov_b32 s0, 0
	s_add_u32 s9, s24, s4
	s_addc_u32 s10, s25, s5
	s_add_u32 s11, s28, s4
	s_addc_u32 s12, s29, s5
	s_waitcnt lgkmcnt(0)
	s_barrier
	buffer_gl0_inv
	s_mul_i32 s7, s45, s42
	s_mul_i32 s1, s44, s43
	s_mul_hi_u32 s6, s44, s42
	s_mul_i32 s8, s44, s42
	v_readfirstlane_b32 s45, v1
	v_mul_lo_u32 v1, 0xf00, v1
	s_add_i32 s1, s6, s1
	s_delay_alu instid0(SALU_CYCLE_1) | instskip(NEXT) | instid1(VALU_DEP_2)
	s_add_i32 s1, s1, s7
	s_add_u32 s18, s8, s45
	s_addc_u32 s19, s1, 0
	s_add_u32 s4, s46, -1
	s_addc_u32 s5, s47, -1
	s_delay_alu instid0(VALU_DEP_1) | instskip(SKIP_4) | instid1(VALU_DEP_1)
	v_lshlrev_b64 v[1:2], 3, v[1:2]
	s_cmp_eq_u64 s[18:19], s[4:5]
	s_mul_i32 s33, s4, 0xfffff100
	s_cselect_b32 s27, -1, 0
	s_cmp_lg_u64 s[18:19], s[4:5]
	v_add_co_u32 v64, vcc_lo, s9, v1
	v_add_co_ci_u32_e32 v63, vcc_lo, s10, v2, vcc_lo
	v_add_co_u32 v61, vcc_lo, s11, v1
	v_add_co_ci_u32_e32 v62, vcc_lo, s12, v2, vcc_lo
	s_cselect_b32 s17, -1, 0
	s_and_b32 vcc_lo, exec_lo, s27
	s_cbranch_vccnz .LBB29_6
; %bb.5:
	v_lshlrev_b32_e32 v66, 3, v0
	s_delay_alu instid0(VALU_DEP_1) | instskip(SKIP_2) | instid1(VALU_DEP_3)
	v_add_co_u32 v1, vcc_lo, v64, v66
	v_add_co_ci_u32_e32 v2, vcc_lo, 0, v63, vcc_lo
	v_mad_u32_u24 v65, 0x70, v0, v66
	v_add_co_u32 v3, vcc_lo, 0x1000, v1
	s_delay_alu instid0(VALU_DEP_3)
	v_add_co_ci_u32_e32 v4, vcc_lo, 0, v2, vcc_lo
	v_add_co_u32 v5, vcc_lo, 0x2000, v1
	v_add_co_ci_u32_e32 v6, vcc_lo, 0, v2, vcc_lo
	v_add_co_u32 v7, vcc_lo, 0x3000, v1
	;; [unrolled: 2-line block ×5, first 2 shown]
	v_add_co_ci_u32_e32 v24, vcc_lo, 0, v2, vcc_lo
	s_clause 0x7
	flat_load_b64 v[9:10], v[1:2]
	flat_load_b64 v[11:12], v[1:2] offset:2048
	flat_load_b64 v[13:14], v[3:4]
	flat_load_b64 v[3:4], v[3:4] offset:2048
	;; [unrolled: 2-line block ×4, first 2 shown]
	v_add_co_u32 v1, vcc_lo, 0x7000, v1
	v_add_co_ci_u32_e32 v2, vcc_lo, 0, v2, vcc_lo
	s_clause 0x6
	flat_load_b64 v[25:26], v[19:20]
	flat_load_b64 v[19:20], v[19:20] offset:2048
	flat_load_b64 v[27:28], v[21:22]
	flat_load_b64 v[21:22], v[21:22] offset:2048
	;; [unrolled: 2-line block ×3, first 2 shown]
	flat_load_b64 v[1:2], v[1:2]
	v_add_co_u32 v31, vcc_lo, v61, v66
	v_add_co_ci_u32_e32 v32, vcc_lo, 0, v62, vcc_lo
	s_waitcnt vmcnt(13) lgkmcnt(13)
	ds_store_2addr_stride64_b64 v66, v[9:10], v[11:12] offset1:4
	s_waitcnt vmcnt(11) lgkmcnt(12)
	ds_store_2addr_stride64_b64 v66, v[13:14], v[3:4] offset0:8 offset1:12
	s_waitcnt vmcnt(9) lgkmcnt(11)
	ds_store_2addr_stride64_b64 v66, v[15:16], v[5:6] offset0:16 offset1:20
	;; [unrolled: 2-line block ×6, first 2 shown]
	s_waitcnt vmcnt(0) lgkmcnt(7)
	ds_store_b64 v66, v[1:2] offset:28672
	v_add_co_u32 v33, vcc_lo, 0x1000, v31
	v_add_co_ci_u32_e32 v34, vcc_lo, 0, v32, vcc_lo
	v_add_co_u32 v35, vcc_lo, 0x2000, v31
	v_add_co_ci_u32_e32 v36, vcc_lo, 0, v32, vcc_lo
	;; [unrolled: 2-line block ×7, first 2 shown]
	s_waitcnt lgkmcnt(0)
	s_barrier
	buffer_gl0_inv
	ds_load_2addr_b64 v[25:28], v65 offset1:1
	ds_load_2addr_b64 v[21:24], v65 offset0:2 offset1:3
	ds_load_2addr_b64 v[17:20], v65 offset0:4 offset1:5
	;; [unrolled: 1-line block ×6, first 2 shown]
	ds_load_b64 v[57:58], v65 offset:112
	s_waitcnt lgkmcnt(0)
	s_barrier
	buffer_gl0_inv
	s_clause 0xe
	flat_load_b64 v[29:30], v[31:32]
	flat_load_b64 v[31:32], v[31:32] offset:2048
	flat_load_b64 v[47:48], v[33:34]
	flat_load_b64 v[33:34], v[33:34] offset:2048
	;; [unrolled: 2-line block ×7, first 2 shown]
	flat_load_b64 v[45:46], v[45:46]
	s_waitcnt vmcnt(13) lgkmcnt(13)
	ds_store_2addr_stride64_b64 v66, v[29:30], v[31:32] offset1:4
	s_waitcnt vmcnt(11) lgkmcnt(12)
	ds_store_2addr_stride64_b64 v66, v[47:48], v[33:34] offset0:8 offset1:12
	s_waitcnt vmcnt(9) lgkmcnt(11)
	ds_store_2addr_stride64_b64 v66, v[49:50], v[35:36] offset0:16 offset1:20
	;; [unrolled: 2-line block ×6, first 2 shown]
	s_waitcnt vmcnt(0) lgkmcnt(7)
	ds_store_b64 v66, v[45:46] offset:28672
	s_waitcnt lgkmcnt(0)
	s_barrier
	s_and_not1_b32 vcc_lo, exec_lo, s0
	s_add_i32 s33, s33, s48
	s_cbranch_vccz .LBB29_7
	s_branch .LBB29_54
.LBB29_6:
                                        ; implicit-def: $vgpr65
                                        ; implicit-def: $vgpr25_vgpr26
                                        ; implicit-def: $vgpr21_vgpr22
                                        ; implicit-def: $vgpr17_vgpr18
                                        ; implicit-def: $vgpr13_vgpr14
                                        ; implicit-def: $vgpr9_vgpr10
                                        ; implicit-def: $vgpr5_vgpr6
                                        ; implicit-def: $vgpr1_vgpr2
                                        ; implicit-def: $vgpr57_vgpr58
	s_add_i32 s33, s33, s48
.LBB29_7:
	s_delay_alu instid0(SALU_CYCLE_1)
	v_cmp_gt_u32_e32 vcc_lo, s33, v0
                                        ; implicit-def: $vgpr1_vgpr2
	s_and_saveexec_b32 s1, vcc_lo
	s_cbranch_execz .LBB29_9
; %bb.8:
	v_lshlrev_b32_e32 v1, 3, v0
	s_delay_alu instid0(VALU_DEP_1) | instskip(NEXT) | instid1(VALU_DEP_1)
	v_add_co_u32 v1, s0, v64, v1
	v_add_co_ci_u32_e64 v2, s0, 0, v63, s0
	flat_load_b64 v[1:2], v[1:2]
.LBB29_9:
	s_or_b32 exec_lo, exec_lo, s1
	v_or_b32_e32 v3, 0x100, v0
	s_delay_alu instid0(VALU_DEP_1) | instskip(NEXT) | instid1(VALU_DEP_1)
	v_cmp_gt_u32_e64 s0, s33, v3
                                        ; implicit-def: $vgpr3_vgpr4
	s_and_saveexec_b32 s4, s0
	s_cbranch_execz .LBB29_11
; %bb.10:
	v_lshlrev_b32_e32 v3, 3, v0
	s_delay_alu instid0(VALU_DEP_1) | instskip(NEXT) | instid1(VALU_DEP_1)
	v_add_co_u32 v3, s1, v64, v3
	v_add_co_ci_u32_e64 v4, s1, 0, v63, s1
	flat_load_b64 v[3:4], v[3:4] offset:2048
.LBB29_11:
	s_or_b32 exec_lo, exec_lo, s4
	v_or_b32_e32 v35, 0x200, v0
                                        ; implicit-def: $vgpr5_vgpr6
	s_delay_alu instid0(VALU_DEP_1) | instskip(NEXT) | instid1(VALU_DEP_1)
	v_cmp_gt_u32_e64 s1, s33, v35
	s_and_saveexec_b32 s5, s1
	s_cbranch_execz .LBB29_13
; %bb.12:
	v_lshlrev_b32_e32 v5, 3, v35
	s_delay_alu instid0(VALU_DEP_1) | instskip(NEXT) | instid1(VALU_DEP_1)
	v_add_co_u32 v5, s4, v64, v5
	v_add_co_ci_u32_e64 v6, s4, 0, v63, s4
	flat_load_b64 v[5:6], v[5:6]
.LBB29_13:
	s_or_b32 exec_lo, exec_lo, s5
	v_or_b32_e32 v37, 0x300, v0
                                        ; implicit-def: $vgpr7_vgpr8
	s_delay_alu instid0(VALU_DEP_1) | instskip(NEXT) | instid1(VALU_DEP_1)
	v_cmp_gt_u32_e64 s4, s33, v37
	s_and_saveexec_b32 s6, s4
	s_cbranch_execz .LBB29_15
; %bb.14:
	v_lshlrev_b32_e32 v7, 3, v37
	s_delay_alu instid0(VALU_DEP_1) | instskip(NEXT) | instid1(VALU_DEP_1)
	v_add_co_u32 v7, s5, v64, v7
	v_add_co_ci_u32_e64 v8, s5, 0, v63, s5
	flat_load_b64 v[7:8], v[7:8]
.LBB29_15:
	s_or_b32 exec_lo, exec_lo, s6
	v_or_b32_e32 v39, 0x400, v0
                                        ; implicit-def: $vgpr9_vgpr10
	s_delay_alu instid0(VALU_DEP_1) | instskip(NEXT) | instid1(VALU_DEP_1)
	v_cmp_gt_u32_e64 s5, s33, v39
	s_and_saveexec_b32 s7, s5
	s_cbranch_execz .LBB29_17
; %bb.16:
	v_lshlrev_b32_e32 v9, 3, v39
	s_delay_alu instid0(VALU_DEP_1) | instskip(NEXT) | instid1(VALU_DEP_1)
	v_add_co_u32 v9, s6, v64, v9
	v_add_co_ci_u32_e64 v10, s6, 0, v63, s6
	flat_load_b64 v[9:10], v[9:10]
.LBB29_17:
	s_or_b32 exec_lo, exec_lo, s7
	v_or_b32_e32 v41, 0x500, v0
                                        ; implicit-def: $vgpr11_vgpr12
	s_delay_alu instid0(VALU_DEP_1) | instskip(NEXT) | instid1(VALU_DEP_1)
	v_cmp_gt_u32_e64 s6, s33, v41
	s_and_saveexec_b32 s8, s6
	s_cbranch_execz .LBB29_19
; %bb.18:
	v_lshlrev_b32_e32 v11, 3, v41
	s_delay_alu instid0(VALU_DEP_1) | instskip(NEXT) | instid1(VALU_DEP_1)
	v_add_co_u32 v11, s7, v64, v11
	v_add_co_ci_u32_e64 v12, s7, 0, v63, s7
	flat_load_b64 v[11:12], v[11:12]
.LBB29_19:
	s_or_b32 exec_lo, exec_lo, s8
	v_or_b32_e32 v43, 0x600, v0
                                        ; implicit-def: $vgpr13_vgpr14
	s_delay_alu instid0(VALU_DEP_1) | instskip(NEXT) | instid1(VALU_DEP_1)
	v_cmp_gt_u32_e64 s7, s33, v43
	s_and_saveexec_b32 s9, s7
	s_cbranch_execz .LBB29_21
; %bb.20:
	v_lshlrev_b32_e32 v13, 3, v43
	s_delay_alu instid0(VALU_DEP_1) | instskip(NEXT) | instid1(VALU_DEP_1)
	v_add_co_u32 v13, s8, v64, v13
	v_add_co_ci_u32_e64 v14, s8, 0, v63, s8
	flat_load_b64 v[13:14], v[13:14]
.LBB29_21:
	s_or_b32 exec_lo, exec_lo, s9
	v_or_b32_e32 v45, 0x700, v0
                                        ; implicit-def: $vgpr15_vgpr16
	s_delay_alu instid0(VALU_DEP_1) | instskip(NEXT) | instid1(VALU_DEP_1)
	v_cmp_gt_u32_e64 s8, s33, v45
	s_and_saveexec_b32 s10, s8
	s_cbranch_execz .LBB29_23
; %bb.22:
	v_lshlrev_b32_e32 v15, 3, v45
	s_delay_alu instid0(VALU_DEP_1) | instskip(NEXT) | instid1(VALU_DEP_1)
	v_add_co_u32 v15, s9, v64, v15
	v_add_co_ci_u32_e64 v16, s9, 0, v63, s9
	flat_load_b64 v[15:16], v[15:16]
.LBB29_23:
	s_or_b32 exec_lo, exec_lo, s10
	v_or_b32_e32 v47, 0x800, v0
                                        ; implicit-def: $vgpr17_vgpr18
	s_delay_alu instid0(VALU_DEP_1) | instskip(NEXT) | instid1(VALU_DEP_1)
	v_cmp_gt_u32_e64 s9, s33, v47
	s_and_saveexec_b32 s11, s9
	s_cbranch_execz .LBB29_25
; %bb.24:
	v_lshlrev_b32_e32 v17, 3, v47
	s_delay_alu instid0(VALU_DEP_1) | instskip(NEXT) | instid1(VALU_DEP_1)
	v_add_co_u32 v17, s10, v64, v17
	v_add_co_ci_u32_e64 v18, s10, 0, v63, s10
	flat_load_b64 v[17:18], v[17:18]
.LBB29_25:
	s_or_b32 exec_lo, exec_lo, s11
	v_or_b32_e32 v49, 0x900, v0
                                        ; implicit-def: $vgpr19_vgpr20
	s_delay_alu instid0(VALU_DEP_1) | instskip(NEXT) | instid1(VALU_DEP_1)
	v_cmp_gt_u32_e64 s10, s33, v49
	s_and_saveexec_b32 s12, s10
	s_cbranch_execz .LBB29_27
; %bb.26:
	v_lshlrev_b32_e32 v19, 3, v49
	s_delay_alu instid0(VALU_DEP_1) | instskip(NEXT) | instid1(VALU_DEP_1)
	v_add_co_u32 v19, s11, v64, v19
	v_add_co_ci_u32_e64 v20, s11, 0, v63, s11
	flat_load_b64 v[19:20], v[19:20]
.LBB29_27:
	s_or_b32 exec_lo, exec_lo, s12
	v_or_b32_e32 v51, 0xa00, v0
                                        ; implicit-def: $vgpr21_vgpr22
	s_delay_alu instid0(VALU_DEP_1) | instskip(NEXT) | instid1(VALU_DEP_1)
	v_cmp_gt_u32_e64 s11, s33, v51
	s_and_saveexec_b32 s13, s11
	s_cbranch_execz .LBB29_29
; %bb.28:
	v_lshlrev_b32_e32 v21, 3, v51
	s_delay_alu instid0(VALU_DEP_1) | instskip(NEXT) | instid1(VALU_DEP_1)
	v_add_co_u32 v21, s12, v64, v21
	v_add_co_ci_u32_e64 v22, s12, 0, v63, s12
	flat_load_b64 v[21:22], v[21:22]
.LBB29_29:
	s_or_b32 exec_lo, exec_lo, s13
	v_or_b32_e32 v53, 0xb00, v0
                                        ; implicit-def: $vgpr23_vgpr24
	s_delay_alu instid0(VALU_DEP_1) | instskip(NEXT) | instid1(VALU_DEP_1)
	v_cmp_gt_u32_e64 s12, s33, v53
	s_and_saveexec_b32 s14, s12
	s_cbranch_execz .LBB29_31
; %bb.30:
	v_lshlrev_b32_e32 v23, 3, v53
	s_delay_alu instid0(VALU_DEP_1) | instskip(NEXT) | instid1(VALU_DEP_1)
	v_add_co_u32 v23, s13, v64, v23
	v_add_co_ci_u32_e64 v24, s13, 0, v63, s13
	flat_load_b64 v[23:24], v[23:24]
.LBB29_31:
	s_or_b32 exec_lo, exec_lo, s14
	v_or_b32_e32 v55, 0xc00, v0
                                        ; implicit-def: $vgpr25_vgpr26
	s_delay_alu instid0(VALU_DEP_1) | instskip(NEXT) | instid1(VALU_DEP_1)
	v_cmp_gt_u32_e64 s13, s33, v55
	s_and_saveexec_b32 s15, s13
	s_cbranch_execz .LBB29_33
; %bb.32:
	v_lshlrev_b32_e32 v25, 3, v55
	s_delay_alu instid0(VALU_DEP_1) | instskip(NEXT) | instid1(VALU_DEP_1)
	v_add_co_u32 v25, s14, v64, v25
	v_add_co_ci_u32_e64 v26, s14, 0, v63, s14
	flat_load_b64 v[25:26], v[25:26]
.LBB29_33:
	s_or_b32 exec_lo, exec_lo, s15
	v_or_b32_e32 v59, 0xd00, v0
                                        ; implicit-def: $vgpr27_vgpr28
	s_delay_alu instid0(VALU_DEP_1) | instskip(NEXT) | instid1(VALU_DEP_1)
	v_cmp_gt_u32_e64 s14, s33, v59
	s_and_saveexec_b32 s16, s14
	s_cbranch_execz .LBB29_35
; %bb.34:
	v_lshlrev_b32_e32 v27, 3, v59
	s_delay_alu instid0(VALU_DEP_1) | instskip(NEXT) | instid1(VALU_DEP_1)
	v_add_co_u32 v27, s15, v64, v27
	v_add_co_ci_u32_e64 v28, s15, 0, v63, s15
	flat_load_b64 v[27:28], v[27:28]
.LBB29_35:
	s_or_b32 exec_lo, exec_lo, s16
	v_or_b32_e32 v67, 0xe00, v0
                                        ; implicit-def: $vgpr29_vgpr30
	s_delay_alu instid0(VALU_DEP_1) | instskip(NEXT) | instid1(VALU_DEP_1)
	v_cmp_gt_u32_e64 s15, s33, v67
	s_and_saveexec_b32 s20, s15
	s_cbranch_execz .LBB29_37
; %bb.36:
	v_lshlrev_b32_e32 v29, 3, v67
	s_delay_alu instid0(VALU_DEP_1) | instskip(NEXT) | instid1(VALU_DEP_1)
	v_add_co_u32 v29, s16, v64, v29
	v_add_co_ci_u32_e64 v30, s16, 0, v63, s16
	flat_load_b64 v[29:30], v[29:30]
.LBB29_37:
	s_or_b32 exec_lo, exec_lo, s20
	v_lshlrev_b32_e32 v66, 3, v0
	s_waitcnt vmcnt(0) lgkmcnt(0)
	ds_store_2addr_stride64_b64 v66, v[1:2], v[3:4] offset1:4
	ds_store_2addr_stride64_b64 v66, v[5:6], v[7:8] offset0:8 offset1:12
	ds_store_2addr_stride64_b64 v66, v[9:10], v[11:12] offset0:16 offset1:20
	;; [unrolled: 1-line block ×6, first 2 shown]
	v_mad_u32_u24 v65, 0x70, v0, v66
	ds_store_b64 v66, v[29:30] offset:28672
	s_waitcnt lgkmcnt(0)
	s_barrier
	buffer_gl0_inv
	ds_load_2addr_b64 v[25:28], v65 offset1:1
	ds_load_2addr_b64 v[21:24], v65 offset0:2 offset1:3
	ds_load_2addr_b64 v[17:20], v65 offset0:4 offset1:5
	;; [unrolled: 1-line block ×6, first 2 shown]
	ds_load_b64 v[57:58], v65 offset:112
	s_waitcnt lgkmcnt(0)
	s_barrier
	buffer_gl0_inv
                                        ; implicit-def: $vgpr29_vgpr30
	s_and_saveexec_b32 s16, vcc_lo
	s_cbranch_execnz .LBB29_61
; %bb.38:
	s_or_b32 exec_lo, exec_lo, s16
                                        ; implicit-def: $vgpr31_vgpr32
	s_and_saveexec_b32 s16, s0
	s_cbranch_execnz .LBB29_62
.LBB29_39:
	s_or_b32 exec_lo, exec_lo, s16
                                        ; implicit-def: $vgpr33_vgpr34
	s_and_saveexec_b32 s0, s1
	s_cbranch_execnz .LBB29_63
.LBB29_40:
	s_or_b32 exec_lo, exec_lo, s0
                                        ; implicit-def: $vgpr35_vgpr36
	s_and_saveexec_b32 s0, s4
	s_cbranch_execnz .LBB29_64
.LBB29_41:
	s_or_b32 exec_lo, exec_lo, s0
                                        ; implicit-def: $vgpr37_vgpr38
	s_and_saveexec_b32 s0, s5
	s_cbranch_execnz .LBB29_65
.LBB29_42:
	s_or_b32 exec_lo, exec_lo, s0
                                        ; implicit-def: $vgpr39_vgpr40
	s_and_saveexec_b32 s0, s6
	s_cbranch_execnz .LBB29_66
.LBB29_43:
	s_or_b32 exec_lo, exec_lo, s0
                                        ; implicit-def: $vgpr41_vgpr42
	s_and_saveexec_b32 s0, s7
	s_cbranch_execnz .LBB29_67
.LBB29_44:
	s_or_b32 exec_lo, exec_lo, s0
                                        ; implicit-def: $vgpr43_vgpr44
	s_and_saveexec_b32 s0, s8
	s_cbranch_execnz .LBB29_68
.LBB29_45:
	s_or_b32 exec_lo, exec_lo, s0
                                        ; implicit-def: $vgpr45_vgpr46
	s_and_saveexec_b32 s0, s9
	s_cbranch_execnz .LBB29_69
.LBB29_46:
	s_or_b32 exec_lo, exec_lo, s0
                                        ; implicit-def: $vgpr47_vgpr48
	s_and_saveexec_b32 s0, s10
	s_cbranch_execnz .LBB29_70
.LBB29_47:
	s_or_b32 exec_lo, exec_lo, s0
                                        ; implicit-def: $vgpr49_vgpr50
	s_and_saveexec_b32 s0, s11
	s_cbranch_execnz .LBB29_71
.LBB29_48:
	s_or_b32 exec_lo, exec_lo, s0
                                        ; implicit-def: $vgpr51_vgpr52
	s_and_saveexec_b32 s0, s12
	s_cbranch_execnz .LBB29_72
.LBB29_49:
	s_or_b32 exec_lo, exec_lo, s0
                                        ; implicit-def: $vgpr53_vgpr54
	s_and_saveexec_b32 s0, s13
	s_cbranch_execnz .LBB29_73
.LBB29_50:
	s_or_b32 exec_lo, exec_lo, s0
                                        ; implicit-def: $vgpr55_vgpr56
	s_and_saveexec_b32 s0, s14
	s_cbranch_execnz .LBB29_74
.LBB29_51:
	s_or_b32 exec_lo, exec_lo, s0
                                        ; implicit-def: $vgpr59_vgpr60
	s_and_saveexec_b32 s0, s15
	s_cbranch_execz .LBB29_53
.LBB29_52:
	v_lshlrev_b32_e32 v59, 3, v67
	s_delay_alu instid0(VALU_DEP_1)
	v_add_co_u32 v59, vcc_lo, v61, v59
	v_add_co_ci_u32_e32 v60, vcc_lo, 0, v62, vcc_lo
	flat_load_b64 v[59:60], v[59:60]
.LBB29_53:
	s_or_b32 exec_lo, exec_lo, s0
	s_waitcnt vmcnt(0) lgkmcnt(0)
	ds_store_2addr_stride64_b64 v66, v[29:30], v[31:32] offset1:4
	ds_store_2addr_stride64_b64 v66, v[33:34], v[35:36] offset0:8 offset1:12
	ds_store_2addr_stride64_b64 v66, v[37:38], v[39:40] offset0:16 offset1:20
	;; [unrolled: 1-line block ×6, first 2 shown]
	ds_store_b64 v66, v[59:60] offset:28672
	s_waitcnt lgkmcnt(0)
	s_barrier
.LBB29_54:
	buffer_gl0_inv
	ds_load_2addr_b64 v[53:56], v65 offset1:1
	ds_load_2addr_b64 v[49:52], v65 offset0:2 offset1:3
	ds_load_2addr_b64 v[45:48], v65 offset0:4 offset1:5
	;; [unrolled: 1-line block ×6, first 2 shown]
	ds_load_b64 v[59:60], v65 offset:112
	s_cmp_eq_u64 s[18:19], 0
	s_waitcnt lgkmcnt(0)
	s_cselect_b32 s44, -1, 0
	s_cmp_lg_u64 s[18:19], 0
	s_barrier
	s_cselect_b32 s16, -1, 0
	s_and_b32 vcc_lo, exec_lo, s17
	buffer_gl0_inv
	s_cbranch_vccz .LBB29_60
; %bb.55:
	s_and_b32 vcc_lo, exec_lo, s16
	s_cbranch_vccz .LBB29_75
; %bb.56:
	v_add_co_u32 v61, vcc_lo, -8, v64
	v_add_co_ci_u32_e32 v62, vcc_lo, -1, v63, vcc_lo
	v_cmp_neq_f64_e32 vcc_lo, v[3:4], v[57:58]
	v_cmp_neq_f64_e64 s0, v[1:2], v[3:4]
	v_cmp_neq_f64_e64 s1, v[7:8], v[1:2]
	flat_load_b64 v[61:62], v[61:62]
	v_cmp_neq_f64_e64 s4, v[5:6], v[7:8]
	v_cmp_neq_f64_e64 s5, v[11:12], v[5:6]
	v_cmp_neq_f64_e64 s6, v[9:10], v[11:12]
	v_cmp_neq_f64_e64 s7, v[15:16], v[9:10]
	v_cmp_neq_f64_e64 s8, v[13:14], v[15:16]
	v_cmp_neq_f64_e64 s9, v[19:20], v[13:14]
	v_cmp_neq_f64_e64 s10, v[17:18], v[19:20]
	v_cmp_neq_f64_e64 s11, v[23:24], v[17:18]
	v_cmp_neq_f64_e64 s12, v[21:22], v[23:24]
	v_cmp_neq_f64_e64 s13, v[27:28], v[21:22]
	v_cmp_neq_f64_e64 s14, v[25:26], v[27:28]
	v_lshlrev_b32_e32 v65, 3, v0
	s_mov_b32 s46, -1
	ds_store_b64 v65, v[57:58]
	s_waitcnt vmcnt(0) lgkmcnt(0)
	s_barrier
	buffer_gl0_inv
	s_and_saveexec_b32 s15, s3
	s_cbranch_execz .LBB29_58
; %bb.57:
	v_add_nc_u32_e32 v61, -8, v65
	ds_load_b64 v[61:62], v61
.LBB29_58:
	s_or_b32 exec_lo, exec_lo, s15
	s_waitcnt lgkmcnt(0)
	v_cmp_neq_f64_e64 s15, v[61:62], v[25:26]
	v_cndmask_b32_e64 v106, 0, 1, vcc_lo
	v_cndmask_b32_e64 v99, 0, 1, s0
	v_cndmask_b32_e64 v100, 0, 1, s1
	v_cndmask_b32_e64 v101, 0, 1, s4
	v_cndmask_b32_e64 v102, 0, 1, s5
	v_cndmask_b32_e64 v103, 0, 1, s6
	v_cndmask_b32_e64 v104, 0, 1, s7
	v_cndmask_b32_e64 v105, 0, 1, s8
	v_cndmask_b32_e64 v107, 0, 1, s9
	v_cndmask_b32_e64 v108, 0, 1, s10
	v_cndmask_b32_e64 v109, 0, 1, s11
	v_cndmask_b32_e64 v110, 0, 1, s12
	v_cndmask_b32_e64 v111, 0, 1, s13
	v_cndmask_b32_e64 v112, 0, 1, s14
.LBB29_59:
                                        ; implicit-def: $sgpr1
	s_branch .LBB29_87
.LBB29_60:
	s_mov_b32 s46, 0
                                        ; implicit-def: $sgpr15
                                        ; implicit-def: $vgpr106
                                        ; implicit-def: $vgpr99
                                        ; implicit-def: $vgpr100
                                        ; implicit-def: $vgpr101
                                        ; implicit-def: $vgpr102
                                        ; implicit-def: $vgpr103
                                        ; implicit-def: $vgpr104
                                        ; implicit-def: $vgpr105
                                        ; implicit-def: $vgpr107
                                        ; implicit-def: $vgpr108
                                        ; implicit-def: $vgpr109
                                        ; implicit-def: $vgpr110
                                        ; implicit-def: $vgpr111
                                        ; implicit-def: $vgpr112
                                        ; implicit-def: $sgpr1
	s_cbranch_execnz .LBB29_79
	s_branch .LBB29_87
.LBB29_61:
	v_add_co_u32 v29, vcc_lo, v61, v66
	v_add_co_ci_u32_e32 v30, vcc_lo, 0, v62, vcc_lo
	flat_load_b64 v[29:30], v[29:30]
	s_or_b32 exec_lo, exec_lo, s16
                                        ; implicit-def: $vgpr31_vgpr32
	s_and_saveexec_b32 s16, s0
	s_cbranch_execz .LBB29_39
.LBB29_62:
	v_add_co_u32 v31, vcc_lo, v61, v66
	v_add_co_ci_u32_e32 v32, vcc_lo, 0, v62, vcc_lo
	flat_load_b64 v[31:32], v[31:32] offset:2048
	s_or_b32 exec_lo, exec_lo, s16
                                        ; implicit-def: $vgpr33_vgpr34
	s_and_saveexec_b32 s0, s1
	s_cbranch_execz .LBB29_40
.LBB29_63:
	v_lshlrev_b32_e32 v33, 3, v35
	s_delay_alu instid0(VALU_DEP_1)
	v_add_co_u32 v33, vcc_lo, v61, v33
	v_add_co_ci_u32_e32 v34, vcc_lo, 0, v62, vcc_lo
	flat_load_b64 v[33:34], v[33:34]
	s_or_b32 exec_lo, exec_lo, s0
                                        ; implicit-def: $vgpr35_vgpr36
	s_and_saveexec_b32 s0, s4
	s_cbranch_execz .LBB29_41
.LBB29_64:
	v_lshlrev_b32_e32 v35, 3, v37
	s_delay_alu instid0(VALU_DEP_1)
	v_add_co_u32 v35, vcc_lo, v61, v35
	v_add_co_ci_u32_e32 v36, vcc_lo, 0, v62, vcc_lo
	flat_load_b64 v[35:36], v[35:36]
	s_or_b32 exec_lo, exec_lo, s0
                                        ; implicit-def: $vgpr37_vgpr38
	s_and_saveexec_b32 s0, s5
	s_cbranch_execz .LBB29_42
.LBB29_65:
	v_lshlrev_b32_e32 v37, 3, v39
	s_delay_alu instid0(VALU_DEP_1)
	v_add_co_u32 v37, vcc_lo, v61, v37
	v_add_co_ci_u32_e32 v38, vcc_lo, 0, v62, vcc_lo
	flat_load_b64 v[37:38], v[37:38]
	s_or_b32 exec_lo, exec_lo, s0
                                        ; implicit-def: $vgpr39_vgpr40
	s_and_saveexec_b32 s0, s6
	s_cbranch_execz .LBB29_43
.LBB29_66:
	v_lshlrev_b32_e32 v39, 3, v41
	s_delay_alu instid0(VALU_DEP_1)
	v_add_co_u32 v39, vcc_lo, v61, v39
	v_add_co_ci_u32_e32 v40, vcc_lo, 0, v62, vcc_lo
	flat_load_b64 v[39:40], v[39:40]
	s_or_b32 exec_lo, exec_lo, s0
                                        ; implicit-def: $vgpr41_vgpr42
	s_and_saveexec_b32 s0, s7
	s_cbranch_execz .LBB29_44
.LBB29_67:
	v_lshlrev_b32_e32 v41, 3, v43
	s_delay_alu instid0(VALU_DEP_1)
	v_add_co_u32 v41, vcc_lo, v61, v41
	v_add_co_ci_u32_e32 v42, vcc_lo, 0, v62, vcc_lo
	flat_load_b64 v[41:42], v[41:42]
	s_or_b32 exec_lo, exec_lo, s0
                                        ; implicit-def: $vgpr43_vgpr44
	s_and_saveexec_b32 s0, s8
	s_cbranch_execz .LBB29_45
.LBB29_68:
	v_lshlrev_b32_e32 v43, 3, v45
	s_delay_alu instid0(VALU_DEP_1)
	v_add_co_u32 v43, vcc_lo, v61, v43
	v_add_co_ci_u32_e32 v44, vcc_lo, 0, v62, vcc_lo
	flat_load_b64 v[43:44], v[43:44]
	s_or_b32 exec_lo, exec_lo, s0
                                        ; implicit-def: $vgpr45_vgpr46
	s_and_saveexec_b32 s0, s9
	s_cbranch_execz .LBB29_46
.LBB29_69:
	v_lshlrev_b32_e32 v45, 3, v47
	s_delay_alu instid0(VALU_DEP_1)
	v_add_co_u32 v45, vcc_lo, v61, v45
	v_add_co_ci_u32_e32 v46, vcc_lo, 0, v62, vcc_lo
	flat_load_b64 v[45:46], v[45:46]
	s_or_b32 exec_lo, exec_lo, s0
                                        ; implicit-def: $vgpr47_vgpr48
	s_and_saveexec_b32 s0, s10
	s_cbranch_execz .LBB29_47
.LBB29_70:
	v_lshlrev_b32_e32 v47, 3, v49
	s_delay_alu instid0(VALU_DEP_1)
	v_add_co_u32 v47, vcc_lo, v61, v47
	v_add_co_ci_u32_e32 v48, vcc_lo, 0, v62, vcc_lo
	flat_load_b64 v[47:48], v[47:48]
	s_or_b32 exec_lo, exec_lo, s0
                                        ; implicit-def: $vgpr49_vgpr50
	s_and_saveexec_b32 s0, s11
	s_cbranch_execz .LBB29_48
.LBB29_71:
	v_lshlrev_b32_e32 v49, 3, v51
	s_delay_alu instid0(VALU_DEP_1)
	v_add_co_u32 v49, vcc_lo, v61, v49
	v_add_co_ci_u32_e32 v50, vcc_lo, 0, v62, vcc_lo
	flat_load_b64 v[49:50], v[49:50]
	s_or_b32 exec_lo, exec_lo, s0
                                        ; implicit-def: $vgpr51_vgpr52
	s_and_saveexec_b32 s0, s12
	s_cbranch_execz .LBB29_49
.LBB29_72:
	v_lshlrev_b32_e32 v51, 3, v53
	s_delay_alu instid0(VALU_DEP_1)
	v_add_co_u32 v51, vcc_lo, v61, v51
	v_add_co_ci_u32_e32 v52, vcc_lo, 0, v62, vcc_lo
	flat_load_b64 v[51:52], v[51:52]
	s_or_b32 exec_lo, exec_lo, s0
                                        ; implicit-def: $vgpr53_vgpr54
	s_and_saveexec_b32 s0, s13
	s_cbranch_execz .LBB29_50
.LBB29_73:
	v_lshlrev_b32_e32 v53, 3, v55
	s_delay_alu instid0(VALU_DEP_1)
	v_add_co_u32 v53, vcc_lo, v61, v53
	v_add_co_ci_u32_e32 v54, vcc_lo, 0, v62, vcc_lo
	flat_load_b64 v[53:54], v[53:54]
	s_or_b32 exec_lo, exec_lo, s0
                                        ; implicit-def: $vgpr55_vgpr56
	s_and_saveexec_b32 s0, s14
	s_cbranch_execz .LBB29_51
.LBB29_74:
	v_lshlrev_b32_e32 v55, 3, v59
	s_delay_alu instid0(VALU_DEP_1)
	v_add_co_u32 v55, vcc_lo, v61, v55
	v_add_co_ci_u32_e32 v56, vcc_lo, 0, v62, vcc_lo
	flat_load_b64 v[55:56], v[55:56]
	s_or_b32 exec_lo, exec_lo, s0
                                        ; implicit-def: $vgpr59_vgpr60
	s_and_saveexec_b32 s0, s15
	s_cbranch_execnz .LBB29_52
	s_branch .LBB29_53
.LBB29_75:
	s_mov_b32 s46, 0
                                        ; implicit-def: $sgpr15
                                        ; implicit-def: $vgpr106
                                        ; implicit-def: $vgpr99
                                        ; implicit-def: $vgpr100
                                        ; implicit-def: $vgpr101
                                        ; implicit-def: $vgpr102
                                        ; implicit-def: $vgpr103
                                        ; implicit-def: $vgpr104
                                        ; implicit-def: $vgpr105
                                        ; implicit-def: $vgpr107
                                        ; implicit-def: $vgpr108
                                        ; implicit-def: $vgpr109
                                        ; implicit-def: $vgpr110
                                        ; implicit-def: $vgpr111
                                        ; implicit-def: $vgpr112
	s_cbranch_execz .LBB29_59
; %bb.76:
	v_cmp_neq_f64_e32 vcc_lo, v[3:4], v[57:58]
	v_lshlrev_b32_e32 v61, 3, v0
                                        ; implicit-def: $sgpr15
	ds_store_b64 v61, v[57:58]
	s_waitcnt lgkmcnt(0)
	s_barrier
	buffer_gl0_inv
	v_cndmask_b32_e64 v106, 0, 1, vcc_lo
	v_cmp_neq_f64_e32 vcc_lo, v[1:2], v[3:4]
	v_cndmask_b32_e64 v99, 0, 1, vcc_lo
	v_cmp_neq_f64_e32 vcc_lo, v[7:8], v[1:2]
	;; [unrolled: 2-line block ×13, first 2 shown]
	v_cndmask_b32_e64 v112, 0, 1, vcc_lo
	s_and_saveexec_b32 s0, s3
	s_delay_alu instid0(SALU_CYCLE_1)
	s_xor_b32 s0, exec_lo, s0
	s_cbranch_execz .LBB29_78
; %bb.77:
	v_add_nc_u32_e32 v61, -8, v61
	s_or_b32 s46, s46, exec_lo
	ds_load_b64 v[61:62], v61
	s_waitcnt lgkmcnt(0)
	v_cmp_neq_f64_e32 vcc_lo, v[61:62], v[25:26]
	s_and_b32 s15, vcc_lo, exec_lo
.LBB29_78:
	s_or_b32 exec_lo, exec_lo, s0
	s_mov_b32 s1, 1
	s_branch .LBB29_87
.LBB29_79:
	s_mul_hi_u32 s0, s18, 0xfffff100
	s_mul_i32 s1, s19, 0xfffff100
	s_sub_i32 s0, s0, s18
	s_mul_i32 s4, s18, 0xfffff100
	s_add_i32 s0, s0, s1
	s_add_u32 s28, s4, s48
	s_addc_u32 s29, s0, s49
	s_and_b32 vcc_lo, exec_lo, s16
	s_cbranch_vccz .LBB29_84
; %bb.80:
	v_add_co_u32 v61, vcc_lo, -8, v64
	v_add_co_ci_u32_e32 v62, vcc_lo, -1, v63, vcc_lo
	v_cmp_neq_f64_e64 s7, v[3:4], v[57:58]
	v_cmp_neq_f64_e64 s8, v[1:2], v[3:4]
	;; [unrolled: 1-line block ×3, first 2 shown]
	flat_load_b64 v[63:64], v[61:62]
	v_mad_u32_u24 v61, v0, 15, 14
	v_mov_b32_e32 v62, 0
	v_cmp_neq_f64_e64 s10, v[5:6], v[7:8]
	v_cmp_neq_f64_e64 s12, v[11:12], v[5:6]
	;; [unrolled: 1-line block ×4, first 2 shown]
	v_cmp_gt_u64_e32 vcc_lo, s[28:29], v[61:62]
	v_mad_u32_u24 v61, v0, 15, 13
	v_cmp_neq_f64_e64 s16, v[13:14], v[15:16]
	v_cmp_neq_f64_e64 s17, v[19:20], v[13:14]
	;; [unrolled: 1-line block ×4, first 2 shown]
	v_cmp_gt_u64_e64 s0, s[28:29], v[61:62]
	v_mad_u32_u24 v61, v0, 15, 12
	v_cmp_neq_f64_e64 s20, v[21:22], v[23:24]
	v_cmp_neq_f64_e64 s21, v[27:28], v[21:22]
	;; [unrolled: 1-line block ×3, first 2 shown]
	v_lshlrev_b32_e32 v66, 3, v0
	v_cmp_gt_u64_e64 s1, s[28:29], v[61:62]
	v_mad_u32_u24 v61, v0, 15, 11
	v_mul_u32_u24_e32 v65, 15, v0
	s_mov_b32 s46, -1
	s_mov_b32 s47, 0
	ds_store_b64 v66, v[57:58]
	v_cmp_gt_u64_e64 s4, s[28:29], v[61:62]
	v_mad_u32_u24 v61, v0, 15, 10
	s_waitcnt vmcnt(0) lgkmcnt(0)
	s_barrier
	buffer_gl0_inv
	v_cmp_gt_u64_e64 s5, s[28:29], v[61:62]
	v_mad_u32_u24 v61, v0, 15, 9
	s_and_b32 s7, vcc_lo, s7
	s_and_b32 s8, s0, s8
	s_delay_alu instid0(VALU_DEP_1) | instskip(SKIP_4) | instid1(VALU_DEP_1)
	v_cmp_gt_u64_e64 s6, s[28:29], v[61:62]
	v_mad_u32_u24 v61, v0, 15, 8
	s_and_b32 s1, s1, s9
	s_and_b32 s4, s4, s10
	;; [unrolled: 1-line block ×3, first 2 shown]
	v_cmp_gt_u64_e64 s11, s[28:29], v[61:62]
	v_mad_u32_u24 v61, v0, 15, 7
	s_and_b32 s13, s6, s13
	s_delay_alu instid0(VALU_DEP_1) | instskip(SKIP_1) | instid1(VALU_DEP_4)
	v_cmp_gt_u64_e64 s15, s[28:29], v[61:62]
	v_mad_u32_u24 v61, v0, 15, 6
	s_and_b32 s11, s11, s14
	s_delay_alu instid0(VALU_DEP_1) | instskip(SKIP_1) | instid1(VALU_DEP_4)
	;; [unrolled: 4-line block ×6, first 2 shown]
	v_cmp_gt_u64_e32 vcc_lo, s[28:29], v[61:62]
	v_mad_u32_u24 v61, v0, 15, 1
	s_and_b32 s6, s26, s20
	s_delay_alu instid0(VALU_DEP_1) | instskip(SKIP_1) | instid1(VALU_DEP_1)
	v_cmp_gt_u64_e64 s0, s[28:29], v[61:62]
	s_and_b32 s9, vcc_lo, s21
	s_and_b32 s10, s0, s22
	s_and_saveexec_b32 s0, s3
	s_cbranch_execz .LBB29_82
; %bb.81:
	v_add_nc_u32_e32 v61, -8, v66
	ds_load_b64 v[63:64], v61
.LBB29_82:
	s_or_b32 exec_lo, exec_lo, s0
	s_waitcnt lgkmcnt(0)
	v_cmp_neq_f64_e32 vcc_lo, v[63:64], v[25:26]
	v_mov_b32_e32 v66, v62
	v_cndmask_b32_e64 v106, 0, 1, s7
	v_cndmask_b32_e64 v99, 0, 1, s8
	;; [unrolled: 1-line block ×4, first 2 shown]
	v_cmp_gt_u64_e64 s0, s[28:29], v[65:66]
	v_cndmask_b32_e64 v102, 0, 1, s12
	v_cndmask_b32_e64 v103, 0, 1, s13
	;; [unrolled: 1-line block ×10, first 2 shown]
	s_and_b32 s15, s0, vcc_lo
	s_and_b32 vcc_lo, exec_lo, s47
	s_cbranch_vccnz .LBB29_85
.LBB29_83:
                                        ; implicit-def: $sgpr1
	v_mov_b32_e32 v113, s1
	s_and_saveexec_b32 s0, s46
	s_cbranch_execnz .LBB29_88
	s_branch .LBB29_89
.LBB29_84:
                                        ; implicit-def: $sgpr15
                                        ; implicit-def: $vgpr106
                                        ; implicit-def: $vgpr99
                                        ; implicit-def: $vgpr100
                                        ; implicit-def: $vgpr101
                                        ; implicit-def: $vgpr102
                                        ; implicit-def: $vgpr103
                                        ; implicit-def: $vgpr104
                                        ; implicit-def: $vgpr105
                                        ; implicit-def: $vgpr107
                                        ; implicit-def: $vgpr108
                                        ; implicit-def: $vgpr109
                                        ; implicit-def: $vgpr110
                                        ; implicit-def: $vgpr111
                                        ; implicit-def: $vgpr112
	s_cbranch_execz .LBB29_83
.LBB29_85:
	v_mad_u32_u24 v61, v0, 15, 14
	v_dual_mov_b32 v62, 0 :: v_dual_lshlrev_b32 v63, 3, v0
	v_cmp_neq_f64_e64 s5, v[1:2], v[3:4]
	v_cmp_neq_f64_e64 s1, v[3:4], v[57:58]
	;; [unrolled: 1-line block ×3, first 2 shown]
	s_delay_alu instid0(VALU_DEP_4)
	v_cmp_gt_u64_e32 vcc_lo, s[28:29], v[61:62]
	v_mad_u32_u24 v61, v0, 15, 13
	v_cmp_neq_f64_e64 s8, v[5:6], v[7:8]
	v_cmp_neq_f64_e64 s9, v[11:12], v[5:6]
	;; [unrolled: 1-line block ×4, first 2 shown]
	v_cmp_gt_u64_e64 s0, s[28:29], v[61:62]
	v_mad_u32_u24 v61, v0, 15, 12
	v_cmp_neq_f64_e64 s14, v[13:14], v[15:16]
	v_cmp_neq_f64_e64 s15, v[19:20], v[13:14]
	;; [unrolled: 1-line block ×4, first 2 shown]
	v_cmp_gt_u64_e64 s4, s[28:29], v[61:62]
	v_mad_u32_u24 v61, v0, 15, 11
	v_cmp_neq_f64_e64 s19, v[21:22], v[23:24]
	v_cmp_neq_f64_e64 s21, v[27:28], v[21:22]
	;; [unrolled: 1-line block ×3, first 2 shown]
	ds_store_b64 v63, v[57:58]
	v_cmp_gt_u64_e64 s7, s[28:29], v[61:62]
	v_mad_u32_u24 v61, v0, 15, 10
	s_waitcnt lgkmcnt(0)
	s_barrier
	buffer_gl0_inv
	v_cmp_gt_u64_e64 s10, s[28:29], v[61:62]
	v_mad_u32_u24 v61, v0, 15, 9
	s_delay_alu instid0(VALU_DEP_1) | instskip(SKIP_2) | instid1(VALU_DEP_1)
	v_cmp_gt_u64_e64 s13, s[28:29], v[61:62]
	v_mad_u32_u24 v61, v0, 15, 8
	s_and_b32 s0, s0, s5
	v_cmp_gt_u64_e64 s16, s[28:29], v[61:62]
	v_mad_u32_u24 v61, v0, 15, 7
	s_and_b32 s1, vcc_lo, s1
	v_cndmask_b32_e64 v99, 0, 1, s0
	s_and_b32 s0, s4, s6
	v_cndmask_b32_e64 v106, 0, 1, s1
	v_cmp_gt_u64_e64 s20, s[28:29], v[61:62]
	v_mad_u32_u24 v61, v0, 15, 6
	v_cndmask_b32_e64 v100, 0, 1, s0
	s_and_b32 s0, s7, s8
	s_and_b32 s1, s10, s9
	v_cndmask_b32_e64 v101, 0, 1, s0
	v_cmp_gt_u64_e64 s23, s[28:29], v[61:62]
	v_mad_u32_u24 v61, v0, 15, 5
	v_cndmask_b32_e64 v102, 0, 1, s1
	s_and_b32 s1, s13, s11
	s_and_b32 s4, s16, s12
	v_cndmask_b32_e64 v103, 0, 1, s1
	v_cmp_gt_u64_e32 vcc_lo, s[28:29], v[61:62]
	v_mad_u32_u24 v61, v0, 15, 4
	v_cndmask_b32_e64 v104, 0, 1, s4
	s_and_b32 s4, s20, s14
	s_and_b32 s5, s23, s15
	v_cndmask_b32_e64 v105, 0, 1, s4
	v_cmp_gt_u64_e64 s0, s[28:29], v[61:62]
	v_mad_u32_u24 v61, v0, 15, 3
	v_cndmask_b32_e64 v107, 0, 1, s5
	s_and_b32 s5, vcc_lo, s17
                                        ; implicit-def: $sgpr15
	s_delay_alu instid0(SALU_CYCLE_1) | instskip(NEXT) | instid1(VALU_DEP_3)
	v_cndmask_b32_e64 v108, 0, 1, s5
	v_cmp_gt_u64_e64 s1, s[28:29], v[61:62]
	v_mad_u32_u24 v61, v0, 15, 2
	s_and_b32 s0, s0, s18
	s_delay_alu instid0(SALU_CYCLE_1) | instskip(NEXT) | instid1(VALU_DEP_2)
	v_cndmask_b32_e64 v109, 0, 1, s0
	v_cmp_gt_u64_e64 s4, s[28:29], v[61:62]
	v_mad_u32_u24 v61, v0, 15, 1
	s_and_b32 s0, s1, s19
	s_mov_b32 s1, 1
	v_cndmask_b32_e64 v110, 0, 1, s0
	s_delay_alu instid0(VALU_DEP_2) | instskip(SKIP_1) | instid1(SALU_CYCLE_1)
	v_cmp_gt_u64_e32 vcc_lo, s[28:29], v[61:62]
	s_and_b32 s0, s4, s21
	v_cndmask_b32_e64 v111, 0, 1, s0
	s_and_b32 s0, vcc_lo, s22
	s_delay_alu instid0(SALU_CYCLE_1)
	v_cndmask_b32_e64 v112, 0, 1, s0
	s_and_saveexec_b32 s4, s3
	s_cbranch_execz .LBB29_224
; %bb.86:
	v_add_nc_u32_e32 v61, -8, v63
	s_or_b32 s46, s46, exec_lo
	ds_load_b64 v[63:64], v61
	v_mul_u32_u24_e32 v61, 15, v0
	s_delay_alu instid0(VALU_DEP_1) | instskip(SKIP_2) | instid1(VALU_DEP_2)
	v_cmp_gt_u64_e64 s0, s[28:29], v[61:62]
	s_waitcnt lgkmcnt(0)
	v_cmp_neq_f64_e32 vcc_lo, v[63:64], v[25:26]
	s_and_b32 s0, s0, vcc_lo
	s_delay_alu instid0(SALU_CYCLE_1)
	s_and_b32 s15, s0, exec_lo
	s_or_b32 exec_lo, exec_lo, s4
.LBB29_87:
	v_mov_b32_e32 v113, s1
	s_and_saveexec_b32 s0, s46
.LBB29_88:
	v_cndmask_b32_e64 v113, 0, 1, s15
.LBB29_89:
	s_or_b32 exec_lo, exec_lo, s0
	v_add_f64 v[97:98], v[53:54], v[55:56]
	s_delay_alu instid0(VALU_DEP_2)
	v_add3_u32 v61, v112, v113, v111
	v_cmp_eq_u32_e64 s13, 0, v112
	v_cmp_eq_u32_e64 s12, 0, v111
	;; [unrolled: 1-line block ×4, first 2 shown]
	v_add3_u32 v116, v61, v110, v109
	v_cmp_eq_u32_e64 s9, 0, v108
	v_cmp_eq_u32_e64 s8, 0, v107
	;; [unrolled: 1-line block ×9, first 2 shown]
	v_cmp_eq_u32_e32 vcc_lo, 0, v106
	v_mbcnt_lo_u32_b32 v115, -1, 0
	s_cmp_eq_u64 s[42:43], 0
	s_cselect_b32 s15, -1, 0
	s_cmp_lg_u32 s45, 0
	s_cbranch_scc0 .LBB29_156
; %bb.90:
	v_cndmask_b32_e64 v62, v56, v98, s13
	v_cndmask_b32_e64 v61, v55, v97, s13
	v_add3_u32 v63, v116, v108, v107
	v_and_b32_e32 v65, 15, v115
	s_mov_b32 s14, exec_lo
	s_delay_alu instid0(VALU_DEP_3) | instskip(NEXT) | instid1(VALU_DEP_3)
	v_add_f64 v[61:62], v[49:50], v[61:62]
	v_add3_u32 v63, v63, v105, v104
	s_delay_alu instid0(VALU_DEP_1) | instskip(NEXT) | instid1(VALU_DEP_1)
	v_add3_u32 v63, v63, v103, v102
	v_add3_u32 v63, v63, v101, v100
	s_delay_alu instid0(VALU_DEP_1) | instskip(NEXT) | instid1(VALU_DEP_1)
	v_add3_u32 v67, v63, v99, v106
	v_mov_b32_dpp v66, v67 row_shr:1 row_mask:0xf bank_mask:0xf
	v_cndmask_b32_e64 v62, v50, v62, s12
	v_cndmask_b32_e64 v61, v49, v61, s12
	s_delay_alu instid0(VALU_DEP_1) | instskip(NEXT) | instid1(VALU_DEP_1)
	v_add_f64 v[61:62], v[51:52], v[61:62]
	v_cndmask_b32_e64 v62, v52, v62, s11
	s_delay_alu instid0(VALU_DEP_2) | instskip(NEXT) | instid1(VALU_DEP_1)
	v_cndmask_b32_e64 v61, v51, v61, s11
	v_add_f64 v[61:62], v[45:46], v[61:62]
	s_delay_alu instid0(VALU_DEP_1) | instskip(NEXT) | instid1(VALU_DEP_2)
	v_cndmask_b32_e64 v62, v46, v62, s10
	v_cndmask_b32_e64 v61, v45, v61, s10
	s_delay_alu instid0(VALU_DEP_1) | instskip(NEXT) | instid1(VALU_DEP_1)
	v_add_f64 v[61:62], v[47:48], v[61:62]
	v_cndmask_b32_e64 v62, v48, v62, s9
	s_delay_alu instid0(VALU_DEP_2) | instskip(NEXT) | instid1(VALU_DEP_1)
	v_cndmask_b32_e64 v61, v47, v61, s9
	v_add_f64 v[61:62], v[41:42], v[61:62]
	s_delay_alu instid0(VALU_DEP_1) | instskip(NEXT) | instid1(VALU_DEP_2)
	;; [unrolled: 9-line block ×5, first 2 shown]
	v_cndmask_b32_e64 v62, v30, v62, s1
	v_cndmask_b32_e64 v61, v29, v61, s1
	s_delay_alu instid0(VALU_DEP_1) | instskip(NEXT) | instid1(VALU_DEP_1)
	v_add_f64 v[61:62], v[31:32], v[61:62]
	v_cndmask_b32_e64 v62, v32, v62, s0
	s_delay_alu instid0(VALU_DEP_2) | instskip(NEXT) | instid1(VALU_DEP_1)
	v_cndmask_b32_e64 v61, v31, v61, s0
	v_add_f64 v[61:62], v[59:60], v[61:62]
	s_delay_alu instid0(VALU_DEP_1) | instskip(NEXT) | instid1(VALU_DEP_1)
	v_dual_cndmask_b32 v63, v59, v61 :: v_dual_cndmask_b32 v64, v60, v62
	v_mov_b32_dpp v61, v63 row_shr:1 row_mask:0xf bank_mask:0xf
	s_delay_alu instid0(VALU_DEP_2)
	v_mov_b32_dpp v62, v64 row_shr:1 row_mask:0xf bank_mask:0xf
	v_cmpx_ne_u32_e32 0, v65
; %bb.91:
	s_delay_alu instid0(VALU_DEP_2) | instskip(SKIP_1) | instid1(VALU_DEP_2)
	v_add_f64 v[61:62], v[63:64], v[61:62]
	v_cmp_eq_u32_e32 vcc_lo, 0, v67
	v_dual_cndmask_b32 v64, v64, v62 :: v_dual_add_nc_u32 v67, v66, v67
	s_delay_alu instid0(VALU_DEP_3)
	v_cndmask_b32_e32 v63, v63, v61, vcc_lo
; %bb.92:
	s_or_b32 exec_lo, exec_lo, s14
	s_delay_alu instid0(VALU_DEP_2) | instskip(NEXT) | instid1(VALU_DEP_2)
	v_mov_b32_dpp v66, v67 row_shr:2 row_mask:0xf bank_mask:0xf
	v_mov_b32_dpp v61, v63 row_shr:2 row_mask:0xf bank_mask:0xf
	v_mov_b32_dpp v62, v64 row_shr:2 row_mask:0xf bank_mask:0xf
	s_mov_b32 s14, exec_lo
	v_cmpx_lt_u32_e32 1, v65
; %bb.93:
	s_delay_alu instid0(VALU_DEP_2) | instskip(SKIP_1) | instid1(VALU_DEP_2)
	v_add_f64 v[61:62], v[63:64], v[61:62]
	v_cmp_eq_u32_e32 vcc_lo, 0, v67
	v_dual_cndmask_b32 v64, v64, v62 :: v_dual_add_nc_u32 v67, v66, v67
	s_delay_alu instid0(VALU_DEP_3)
	v_cndmask_b32_e32 v63, v63, v61, vcc_lo
; %bb.94:
	s_or_b32 exec_lo, exec_lo, s14
	s_delay_alu instid0(VALU_DEP_2) | instskip(NEXT) | instid1(VALU_DEP_2)
	v_mov_b32_dpp v66, v67 row_shr:4 row_mask:0xf bank_mask:0xf
	v_mov_b32_dpp v61, v63 row_shr:4 row_mask:0xf bank_mask:0xf
	v_mov_b32_dpp v62, v64 row_shr:4 row_mask:0xf bank_mask:0xf
	s_mov_b32 s14, exec_lo
	v_cmpx_lt_u32_e32 3, v65
	;; [unrolled: 15-line block ×3, first 2 shown]
; %bb.97:
	s_delay_alu instid0(VALU_DEP_2) | instskip(SKIP_1) | instid1(VALU_DEP_2)
	v_add_f64 v[61:62], v[63:64], v[61:62]
	v_cmp_eq_u32_e32 vcc_lo, 0, v67
	v_dual_cndmask_b32 v64, v64, v62 :: v_dual_add_nc_u32 v67, v66, v67
	s_delay_alu instid0(VALU_DEP_3)
	v_cndmask_b32_e32 v63, v63, v61, vcc_lo
; %bb.98:
	s_or_b32 exec_lo, exec_lo, s14
	ds_swizzle_b32 v65, v67 offset:swizzle(BROADCAST,32,15)
	ds_swizzle_b32 v61, v63 offset:swizzle(BROADCAST,32,15)
	;; [unrolled: 1-line block ×3, first 2 shown]
	v_and_b32_e32 v66, 16, v115
	s_mov_b32 s14, exec_lo
	s_delay_alu instid0(VALU_DEP_1)
	v_cmpx_ne_u32_e32 0, v66
	s_cbranch_execz .LBB29_100
; %bb.99:
	s_waitcnt lgkmcnt(0)
	v_add_f64 v[61:62], v[63:64], v[61:62]
	v_cmp_eq_u32_e32 vcc_lo, 0, v67
	s_delay_alu instid0(VALU_DEP_2) | instskip(NEXT) | instid1(VALU_DEP_3)
	v_dual_cndmask_b32 v64, v64, v62 :: v_dual_add_nc_u32 v67, v65, v67
	v_cndmask_b32_e32 v63, v63, v61, vcc_lo
.LBB29_100:
	s_or_b32 exec_lo, exec_lo, s14
	s_waitcnt lgkmcnt(0)
	v_lshrrev_b32_e32 v62, 5, v0
	v_or_b32_e32 v61, 31, v0
	s_mov_b32 s14, exec_lo
	s_delay_alu instid0(VALU_DEP_2) | instskip(NEXT) | instid1(VALU_DEP_2)
	v_lshlrev_b32_e32 v68, 4, v62
	v_cmpx_eq_u32_e64 v61, v0
	s_cbranch_execz .LBB29_102
; %bb.101:
	ds_store_b32 v68, v67 offset:4128
	ds_store_b64 v68, v[63:64] offset:4136
.LBB29_102:
	s_or_b32 exec_lo, exec_lo, s14
	s_delay_alu instid0(SALU_CYCLE_1)
	s_mov_b32 s14, exec_lo
	s_waitcnt lgkmcnt(0)
	s_barrier
	buffer_gl0_inv
	v_cmpx_gt_u32_e32 8, v0
	s_cbranch_execz .LBB29_110
; %bb.103:
	v_lshlrev_b32_e32 v69, 4, v0
	v_and_b32_e32 v71, 7, v115
	s_mov_b32 s16, exec_lo
	ds_load_b32 v70, v69 offset:4128
	ds_load_b64 v[61:62], v69 offset:4136
	s_waitcnt lgkmcnt(1)
	v_mov_b32_dpp v72, v70 row_shr:1 row_mask:0xf bank_mask:0xf
	s_waitcnt lgkmcnt(0)
	v_mov_b32_dpp v65, v61 row_shr:1 row_mask:0xf bank_mask:0xf
	v_mov_b32_dpp v66, v62 row_shr:1 row_mask:0xf bank_mask:0xf
	v_cmpx_ne_u32_e32 0, v71
; %bb.104:
	s_delay_alu instid0(VALU_DEP_2) | instskip(SKIP_1) | instid1(VALU_DEP_2)
	v_add_f64 v[65:66], v[61:62], v[65:66]
	v_cmp_eq_u32_e32 vcc_lo, 0, v70
	v_dual_cndmask_b32 v61, v61, v65 :: v_dual_add_nc_u32 v70, v72, v70
	s_delay_alu instid0(VALU_DEP_3)
	v_cndmask_b32_e32 v62, v62, v66, vcc_lo
; %bb.105:
	s_or_b32 exec_lo, exec_lo, s16
	s_delay_alu instid0(VALU_DEP_2) | instskip(NEXT) | instid1(VALU_DEP_3)
	v_mov_b32_dpp v72, v70 row_shr:2 row_mask:0xf bank_mask:0xf
	v_mov_b32_dpp v65, v61 row_shr:2 row_mask:0xf bank_mask:0xf
	s_delay_alu instid0(VALU_DEP_3)
	v_mov_b32_dpp v66, v62 row_shr:2 row_mask:0xf bank_mask:0xf
	s_mov_b32 s16, exec_lo
	v_cmpx_lt_u32_e32 1, v71
; %bb.106:
	s_delay_alu instid0(VALU_DEP_2) | instskip(SKIP_1) | instid1(VALU_DEP_2)
	v_add_f64 v[65:66], v[61:62], v[65:66]
	v_cmp_eq_u32_e32 vcc_lo, 0, v70
	v_dual_cndmask_b32 v61, v61, v65 :: v_dual_add_nc_u32 v70, v72, v70
	s_delay_alu instid0(VALU_DEP_3)
	v_cndmask_b32_e32 v62, v62, v66, vcc_lo
; %bb.107:
	s_or_b32 exec_lo, exec_lo, s16
	s_delay_alu instid0(VALU_DEP_2) | instskip(NEXT) | instid1(VALU_DEP_3)
	v_mov_b32_dpp v72, v70 row_shr:4 row_mask:0xf bank_mask:0xf
	v_mov_b32_dpp v65, v61 row_shr:4 row_mask:0xf bank_mask:0xf
	s_delay_alu instid0(VALU_DEP_3)
	v_mov_b32_dpp v66, v62 row_shr:4 row_mask:0xf bank_mask:0xf
	s_mov_b32 s16, exec_lo
	v_cmpx_lt_u32_e32 3, v71
; %bb.108:
	s_delay_alu instid0(VALU_DEP_2) | instskip(SKIP_1) | instid1(VALU_DEP_2)
	v_add_f64 v[65:66], v[61:62], v[65:66]
	v_cmp_eq_u32_e32 vcc_lo, 0, v70
	v_dual_cndmask_b32 v61, v61, v65 :: v_dual_add_nc_u32 v70, v72, v70
	s_delay_alu instid0(VALU_DEP_3)
	v_cndmask_b32_e32 v62, v62, v66, vcc_lo
; %bb.109:
	s_or_b32 exec_lo, exec_lo, s16
	ds_store_b32 v69, v70 offset:4128
	ds_store_b64 v69, v[61:62] offset:4136
.LBB29_110:
	s_or_b32 exec_lo, exec_lo, s14
	v_mov_b32_e32 v61, 0
	v_cmp_gt_u32_e32 vcc_lo, 32, v0
	v_dual_mov_b32 v62, 0 :: v_dual_mov_b32 v73, 0
	s_mov_b32 s16, exec_lo
	s_waitcnt lgkmcnt(0)
	s_barrier
	buffer_gl0_inv
	v_cmpx_lt_u32_e32 31, v0
	s_cbranch_execz .LBB29_112
; %bb.111:
	ds_load_b64 v[61:62], v68 offset:4120
	ds_load_b32 v73, v68 offset:4112
	v_cmp_eq_u32_e64 s14, 0, v67
	s_waitcnt lgkmcnt(1)
	v_add_f64 v[65:66], v[63:64], v[61:62]
	s_waitcnt lgkmcnt(0)
	v_add_nc_u32_e32 v67, v73, v67
	s_delay_alu instid0(VALU_DEP_2) | instskip(NEXT) | instid1(VALU_DEP_3)
	v_cndmask_b32_e64 v64, v64, v66, s14
	v_cndmask_b32_e64 v63, v63, v65, s14
.LBB29_112:
	s_or_b32 exec_lo, exec_lo, s16
	v_add_nc_u32_e32 v65, -1, v115
	s_delay_alu instid0(VALU_DEP_1) | instskip(NEXT) | instid1(VALU_DEP_1)
	v_cmp_gt_i32_e64 s14, 0, v65
	v_cndmask_b32_e64 v65, v65, v115, s14
	v_cmp_eq_u32_e64 s14, 0, v115
	s_delay_alu instid0(VALU_DEP_2)
	v_lshlrev_b32_e32 v65, 2, v65
	ds_bpermute_b32 v74, v65, v67
	ds_bpermute_b32 v75, v65, v63
	;; [unrolled: 1-line block ×3, first 2 shown]
	s_and_saveexec_b32 s16, vcc_lo
	s_cbranch_execz .LBB29_155
; %bb.113:
	v_mov_b32_e32 v67, 0
	ds_load_b32 v77, v67 offset:4240
	ds_load_b64 v[63:64], v67 offset:4248
	s_and_saveexec_b32 s17, s14
	s_cbranch_execz .LBB29_115
; %bb.114:
	s_add_i32 s18, s45, 32
	s_mov_b32 s19, 0
	v_dual_mov_b32 v65, s18 :: v_dual_mov_b32 v66, 1
	s_lshl_b64 s[20:21], s[18:19], 4
	s_delay_alu instid0(SALU_CYCLE_1)
	s_add_u32 s18, s36, s20
	s_addc_u32 s19, s37, s21
	s_waitcnt lgkmcnt(1)
	global_store_b32 v67, v77, s[18:19]
	s_waitcnt lgkmcnt(0)
	global_store_b64 v67, v[63:64], s[18:19] offset:8
	s_waitcnt_vscnt null, 0x0
	buffer_gl1_inv
	buffer_gl0_inv
	global_store_b8 v65, v66, s[40:41]
.LBB29_115:
	s_or_b32 exec_lo, exec_lo, s17
	v_xad_u32 v65, v115, -1, s45
	s_mov_b32 s18, 0
	s_mov_b32 s17, exec_lo
	s_delay_alu instid0(VALU_DEP_1)
	v_add_nc_u32_e32 v66, 32, v65
	global_load_u8 v78, v66, s[40:41] glc
	s_waitcnt vmcnt(0)
	v_cmpx_eq_u16_e32 0, v78
	s_cbranch_execz .LBB29_121
; %bb.116:
	v_add_co_u32 v68, s19, s40, v66
	s_delay_alu instid0(VALU_DEP_1)
	v_add_co_ci_u32_e64 v69, null, s41, 0, s19
	s_mov_b32 s19, 1
.LBB29_117:                             ; =>This Loop Header: Depth=1
                                        ;     Child Loop BB29_118 Depth 2
	s_delay_alu instid0(SALU_CYCLE_1)
	s_max_u32 s20, s19, 1
.LBB29_118:                             ;   Parent Loop BB29_117 Depth=1
                                        ; =>  This Inner Loop Header: Depth=2
	s_delay_alu instid0(SALU_CYCLE_1)
	s_add_i32 s20, s20, -1
	s_sleep 1
	s_cmp_eq_u32 s20, 0
	s_cbranch_scc0 .LBB29_118
; %bb.119:                              ;   in Loop: Header=BB29_117 Depth=1
	global_load_u8 v78, v[68:69], off glc
	s_cmp_lt_u32 s19, 32
	s_cselect_b32 s20, -1, 0
	s_delay_alu instid0(SALU_CYCLE_1) | instskip(SKIP_4) | instid1(SALU_CYCLE_1)
	s_cmp_lg_u32 s20, 0
	s_addc_u32 s19, s19, 0
	s_waitcnt vmcnt(0)
	v_cmp_ne_u16_e32 vcc_lo, 0, v78
	s_or_b32 s18, vcc_lo, s18
	s_and_not1_b32 exec_lo, exec_lo, s18
	s_cbranch_execnz .LBB29_117
; %bb.120:
	s_or_b32 exec_lo, exec_lo, s18
.LBB29_121:
	s_delay_alu instid0(SALU_CYCLE_1)
	s_or_b32 exec_lo, exec_lo, s17
	v_dual_mov_b32 v68, s37 :: v_dual_mov_b32 v69, s36
	v_cmp_eq_u16_e32 vcc_lo, 1, v78
	v_lshlrev_b64 v[66:67], 4, v[66:67]
	s_waitcnt lgkmcnt(0)
	s_waitcnt_vscnt null, 0x0
	buffer_gl1_inv
	buffer_gl0_inv
	v_lshlrev_b32_e64 v80, v115, -1
	s_mov_b32 s17, exec_lo
	v_cndmask_b32_e32 v69, s38, v69, vcc_lo
	v_cndmask_b32_e32 v68, s39, v68, vcc_lo
	s_delay_alu instid0(VALU_DEP_2) | instskip(NEXT) | instid1(VALU_DEP_2)
	v_add_co_u32 v66, vcc_lo, v69, v66
	v_add_co_ci_u32_e32 v67, vcc_lo, v68, v67, vcc_lo
	v_cmp_ne_u32_e32 vcc_lo, 31, v115
	s_clause 0x1
	global_load_b32 v71, v[66:67], off
	global_load_b64 v[69:70], v[66:67], off offset:8
	v_add_co_ci_u32_e32 v66, vcc_lo, 0, v115, vcc_lo
	v_cmp_eq_u16_e32 vcc_lo, 2, v78
	s_delay_alu instid0(VALU_DEP_2) | instskip(SKIP_1) | instid1(VALU_DEP_1)
	v_lshlrev_b32_e32 v79, 2, v66
	v_and_or_b32 v68, vcc_lo, v80, 0x80000000
	v_ctz_i32_b32_e32 v68, v68
	s_waitcnt vmcnt(1)
	ds_bpermute_b32 v72, v79, v71
	s_waitcnt vmcnt(0)
	ds_bpermute_b32 v66, v79, v69
	ds_bpermute_b32 v67, v79, v70
	v_cmpx_lt_u32_e64 v115, v68
	s_cbranch_execz .LBB29_123
; %bb.122:
	s_waitcnt lgkmcnt(0)
	v_add_f64 v[66:67], v[69:70], v[66:67]
	v_cmp_eq_u32_e32 vcc_lo, 0, v71
	v_add_nc_u32_e32 v71, v72, v71
	s_delay_alu instid0(VALU_DEP_3)
	v_dual_cndmask_b32 v70, v70, v67 :: v_dual_cndmask_b32 v69, v69, v66
.LBB29_123:
	s_or_b32 exec_lo, exec_lo, s17
	v_cmp_gt_u32_e32 vcc_lo, 30, v115
	v_add_nc_u32_e32 v82, 2, v115
	s_mov_b32 s17, exec_lo
	s_waitcnt lgkmcnt(1)
	v_cndmask_b32_e64 v66, 0, 1, vcc_lo
	s_delay_alu instid0(VALU_DEP_1) | instskip(NEXT) | instid1(VALU_DEP_1)
	v_lshlrev_b32_e32 v66, 1, v66
	v_add_lshl_u32 v81, v66, v115, 2
	ds_bpermute_b32 v72, v81, v71
	ds_bpermute_b32 v66, v81, v69
	s_waitcnt lgkmcnt(2)
	ds_bpermute_b32 v67, v81, v70
	v_cmpx_le_u32_e64 v82, v68
	s_cbranch_execz .LBB29_125
; %bb.124:
	s_waitcnt lgkmcnt(0)
	v_add_f64 v[66:67], v[69:70], v[66:67]
	v_cmp_eq_u32_e32 vcc_lo, 0, v71
	v_add_nc_u32_e32 v71, v72, v71
	s_delay_alu instid0(VALU_DEP_3)
	v_dual_cndmask_b32 v70, v70, v67 :: v_dual_cndmask_b32 v69, v69, v66
.LBB29_125:
	s_or_b32 exec_lo, exec_lo, s17
	v_cmp_gt_u32_e32 vcc_lo, 28, v115
	v_add_nc_u32_e32 v84, 4, v115
	s_mov_b32 s17, exec_lo
	s_waitcnt lgkmcnt(1)
	v_cndmask_b32_e64 v66, 0, 1, vcc_lo
	s_delay_alu instid0(VALU_DEP_1) | instskip(NEXT) | instid1(VALU_DEP_1)
	v_lshlrev_b32_e32 v66, 2, v66
	v_add_lshl_u32 v83, v66, v115, 2
	ds_bpermute_b32 v72, v83, v71
	ds_bpermute_b32 v66, v83, v69
	s_waitcnt lgkmcnt(2)
	ds_bpermute_b32 v67, v83, v70
	v_cmpx_le_u32_e64 v84, v68
	;; [unrolled: 23-line block ×4, first 2 shown]
	s_cbranch_execz .LBB29_131
; %bb.130:
	s_waitcnt lgkmcnt(0)
	v_add_f64 v[66:67], v[69:70], v[66:67]
	v_cmp_eq_u32_e32 vcc_lo, 0, v71
	v_add_nc_u32_e32 v71, v72, v71
	s_delay_alu instid0(VALU_DEP_3)
	v_dual_cndmask_b32 v70, v70, v67 :: v_dual_cndmask_b32 v69, v69, v66
.LBB29_131:
	s_or_b32 exec_lo, exec_lo, s17
	s_waitcnt lgkmcnt(1)
	v_mov_b32_e32 v66, 0
	s_branch .LBB29_133
.LBB29_132:                             ;   in Loop: Header=BB29_133 Depth=1
	s_or_b32 exec_lo, exec_lo, s17
	s_delay_alu instid0(VALU_DEP_1) | instskip(SKIP_4) | instid1(VALU_DEP_4)
	v_add_f64 v[69:70], v[67:68], v[69:70]
	v_cmp_eq_u32_e32 vcc_lo, 0, v87
	v_subrev_nc_u32_e32 v65, 32, v65
	s_waitcnt lgkmcnt(1)
	v_add_nc_u32_e32 v71, v90, v87
	v_dual_cndmask_b32 v70, v68, v70 :: v_dual_cndmask_b32 v69, v67, v69
.LBB29_133:                             ; =>This Loop Header: Depth=1
                                        ;     Child Loop BB29_136 Depth 2
                                        ;       Child Loop BB29_137 Depth 3
	s_waitcnt lgkmcnt(0)
	v_and_b32_e32 v67, 0xff, v78
	s_delay_alu instid0(VALU_DEP_3) | instskip(NEXT) | instid1(VALU_DEP_2)
	v_mov_b32_e32 v87, v71
	v_cmp_ne_u16_e32 vcc_lo, 2, v67
	v_cndmask_b32_e64 v67, 0, 1, vcc_lo
	;;#ASMSTART
	;;#ASMEND
	s_delay_alu instid0(VALU_DEP_1)
	v_cmp_ne_u32_e32 vcc_lo, 0, v67
	v_dual_mov_b32 v67, v69 :: v_dual_mov_b32 v68, v70
	s_cmp_lg_u32 vcc_lo, exec_lo
	s_cbranch_scc1 .LBB29_150
; %bb.134:                              ;   in Loop: Header=BB29_133 Depth=1
	global_load_u8 v78, v65, s[40:41] glc
	s_mov_b32 s17, exec_lo
	s_waitcnt vmcnt(0)
	v_cmpx_eq_u16_e32 0, v78
	s_cbranch_execz .LBB29_140
; %bb.135:                              ;   in Loop: Header=BB29_133 Depth=1
	v_add_co_u32 v69, s18, s40, v65
	s_delay_alu instid0(VALU_DEP_1)
	v_add_co_ci_u32_e64 v70, null, s41, 0, s18
	s_mov_b32 s19, 1
	s_mov_b32 s18, 0
.LBB29_136:                             ;   Parent Loop BB29_133 Depth=1
                                        ; =>  This Loop Header: Depth=2
                                        ;       Child Loop BB29_137 Depth 3
	s_max_u32 s20, s19, 1
.LBB29_137:                             ;   Parent Loop BB29_133 Depth=1
                                        ;     Parent Loop BB29_136 Depth=2
                                        ; =>    This Inner Loop Header: Depth=3
	s_delay_alu instid0(SALU_CYCLE_1)
	s_add_i32 s20, s20, -1
	s_sleep 1
	s_cmp_eq_u32 s20, 0
	s_cbranch_scc0 .LBB29_137
; %bb.138:                              ;   in Loop: Header=BB29_136 Depth=2
	global_load_u8 v78, v[69:70], off glc
	s_cmp_lt_u32 s19, 32
	s_cselect_b32 s20, -1, 0
	s_delay_alu instid0(SALU_CYCLE_1) | instskip(SKIP_4) | instid1(SALU_CYCLE_1)
	s_cmp_lg_u32 s20, 0
	s_addc_u32 s19, s19, 0
	s_waitcnt vmcnt(0)
	v_cmp_ne_u16_e32 vcc_lo, 0, v78
	s_or_b32 s18, vcc_lo, s18
	s_and_not1_b32 exec_lo, exec_lo, s18
	s_cbranch_execnz .LBB29_136
; %bb.139:                              ;   in Loop: Header=BB29_133 Depth=1
	s_or_b32 exec_lo, exec_lo, s18
.LBB29_140:                             ;   in Loop: Header=BB29_133 Depth=1
	s_delay_alu instid0(SALU_CYCLE_1)
	s_or_b32 exec_lo, exec_lo, s17
	v_dual_mov_b32 v71, s37 :: v_dual_mov_b32 v72, s36
	v_cmp_eq_u16_e32 vcc_lo, 1, v78
	v_lshlrev_b64 v[69:70], 4, v[65:66]
	buffer_gl1_inv
	buffer_gl0_inv
	s_mov_b32 s17, exec_lo
	v_cndmask_b32_e32 v72, s38, v72, vcc_lo
	v_cndmask_b32_e32 v71, s39, v71, vcc_lo
	s_delay_alu instid0(VALU_DEP_2) | instskip(NEXT) | instid1(VALU_DEP_2)
	v_add_co_u32 v69, vcc_lo, v72, v69
	v_add_co_ci_u32_e32 v70, vcc_lo, v71, v70, vcc_lo
	v_cmp_eq_u16_e32 vcc_lo, 2, v78
	s_clause 0x1
	global_load_b32 v90, v[69:70], off
	global_load_b64 v[69:70], v[69:70], off offset:8
	v_and_or_b32 v91, vcc_lo, v80, 0x80000000
	s_delay_alu instid0(VALU_DEP_1)
	v_ctz_i32_b32_e32 v91, v91
	s_waitcnt vmcnt(1)
	ds_bpermute_b32 v92, v79, v90
	s_waitcnt vmcnt(0)
	ds_bpermute_b32 v71, v79, v69
	ds_bpermute_b32 v72, v79, v70
	v_cmpx_lt_u32_e64 v115, v91
	s_cbranch_execz .LBB29_142
; %bb.141:                              ;   in Loop: Header=BB29_133 Depth=1
	s_waitcnt lgkmcnt(0)
	v_add_f64 v[71:72], v[69:70], v[71:72]
	v_cmp_eq_u32_e32 vcc_lo, 0, v90
	s_delay_alu instid0(VALU_DEP_2) | instskip(NEXT) | instid1(VALU_DEP_3)
	v_dual_cndmask_b32 v69, v69, v71 :: v_dual_add_nc_u32 v90, v92, v90
	v_cndmask_b32_e32 v70, v70, v72, vcc_lo
.LBB29_142:                             ;   in Loop: Header=BB29_133 Depth=1
	s_or_b32 exec_lo, exec_lo, s17
	s_waitcnt lgkmcnt(2)
	ds_bpermute_b32 v92, v81, v90
	s_waitcnt lgkmcnt(2)
	ds_bpermute_b32 v71, v81, v69
	s_waitcnt lgkmcnt(2)
	ds_bpermute_b32 v72, v81, v70
	s_mov_b32 s17, exec_lo
	v_cmpx_le_u32_e64 v82, v91
	s_cbranch_execz .LBB29_144
; %bb.143:                              ;   in Loop: Header=BB29_133 Depth=1
	s_waitcnt lgkmcnt(0)
	v_add_f64 v[71:72], v[69:70], v[71:72]
	v_cmp_eq_u32_e32 vcc_lo, 0, v90
	s_delay_alu instid0(VALU_DEP_2) | instskip(NEXT) | instid1(VALU_DEP_3)
	v_dual_cndmask_b32 v69, v69, v71 :: v_dual_add_nc_u32 v90, v92, v90
	v_cndmask_b32_e32 v70, v70, v72, vcc_lo
.LBB29_144:                             ;   in Loop: Header=BB29_133 Depth=1
	s_or_b32 exec_lo, exec_lo, s17
	s_waitcnt lgkmcnt(2)
	ds_bpermute_b32 v92, v83, v90
	s_waitcnt lgkmcnt(2)
	ds_bpermute_b32 v71, v83, v69
	s_waitcnt lgkmcnt(2)
	ds_bpermute_b32 v72, v83, v70
	s_mov_b32 s17, exec_lo
	v_cmpx_le_u32_e64 v84, v91
	;; [unrolled: 18-line block ×4, first 2 shown]
	s_cbranch_execz .LBB29_132
; %bb.149:                              ;   in Loop: Header=BB29_133 Depth=1
	s_waitcnt lgkmcnt(0)
	v_add_f64 v[71:72], v[69:70], v[71:72]
	v_cmp_eq_u32_e32 vcc_lo, 0, v90
	s_delay_alu instid0(VALU_DEP_2) | instskip(NEXT) | instid1(VALU_DEP_3)
	v_dual_cndmask_b32 v69, v69, v71 :: v_dual_add_nc_u32 v90, v92, v90
	v_cndmask_b32_e32 v70, v70, v72, vcc_lo
	s_branch .LBB29_132
.LBB29_150:                             ;   in Loop: Header=BB29_133 Depth=1
                                        ; implicit-def: $vgpr69_vgpr70
                                        ; implicit-def: $vgpr71
                                        ; implicit-def: $vgpr78
	s_cbranch_execz .LBB29_133
; %bb.151:
	s_and_saveexec_b32 s17, s14
	s_cbranch_execz .LBB29_153
; %bb.152:
	v_add_f64 v[65:66], v[63:64], v[67:68]
	v_cmp_eq_u32_e32 vcc_lo, 0, v77
	s_mov_b32 s19, 0
	s_add_i32 s18, s45, 32
	v_dual_mov_b32 v70, 0 :: v_dual_add_nc_u32 v69, v87, v77
	s_waitcnt lgkmcnt(0)
	v_dual_mov_b32 v71, 2 :: v_dual_mov_b32 v72, s18
	s_lshl_b64 s[20:21], s[18:19], 4
	s_delay_alu instid0(SALU_CYCLE_1) | instskip(SKIP_1) | instid1(VALU_DEP_4)
	s_add_u32 s18, s38, s20
	s_addc_u32 s19, s39, s21
	v_dual_cndmask_b32 v66, v64, v66 :: v_dual_cndmask_b32 v65, v63, v65
	s_clause 0x1
	global_store_b32 v70, v69, s[18:19]
	global_store_b64 v70, v[65:66], s[18:19] offset:8
	s_waitcnt_vscnt null, 0x0
	buffer_gl1_inv
	buffer_gl0_inv
	global_store_b8 v72, v71, s[40:41]
	ds_store_b32 v70, v77 offset:4096
	ds_store_b64 v70, v[63:64] offset:4104
	ds_store_b32 v70, v87 offset:4112
	ds_store_b64 v70, v[67:68] offset:4120
.LBB29_153:
	s_or_b32 exec_lo, exec_lo, s17
	s_delay_alu instid0(SALU_CYCLE_1)
	s_and_b32 exec_lo, exec_lo, s2
	s_cbranch_execz .LBB29_155
; %bb.154:
	v_mov_b32_e32 v63, 0
	ds_store_b32 v63, v87 offset:4240
	ds_store_b64 v63, v[67:68] offset:4248
.LBB29_155:
	s_or_b32 exec_lo, exec_lo, s16
	s_waitcnt lgkmcnt(2)
	v_cndmask_b32_e64 v119, v74, v73, s14
	s_waitcnt lgkmcnt(1)
	v_cndmask_b32_e64 v61, v75, v61, s14
	s_waitcnt lgkmcnt(0)
	s_waitcnt_vscnt null, 0x0
	s_barrier
	buffer_gl0_inv
	v_cmp_eq_u32_e32 vcc_lo, 0, v119
	v_mov_b32_e32 v114, 0
	v_cndmask_b32_e64 v62, v76, v62, s14
	ds_load_b64 v[63:64], v114 offset:4248
	s_waitcnt lgkmcnt(0)
	v_add_f64 v[65:66], v[61:62], v[63:64]
	s_delay_alu instid0(VALU_DEP_1)
	v_dual_cndmask_b32 v61, v61, v65 :: v_dual_cndmask_b32 v62, v62, v66
	v_cmp_eq_u32_e32 vcc_lo, 0, v113
	ds_load_b32 v66, v114 offset:4240
	s_waitcnt lgkmcnt(0)
	v_cndmask_b32_e64 v87, v61, v63, s2
	v_cndmask_b32_e64 v88, v62, v64, s2
	s_barrier
	buffer_gl0_inv
	ds_load_b64 v[63:64], v114 offset:4120
	ds_load_b64 v[117:118], v114 offset:4104
	ds_load_b32 v65, v114 offset:4112
	v_add_f64 v[61:62], v[53:54], v[87:88]
	s_delay_alu instid0(VALU_DEP_1) | instskip(NEXT) | instid1(VALU_DEP_1)
	v_dual_cndmask_b32 v90, v54, v62 :: v_dual_cndmask_b32 v89, v53, v61
	v_add_f64 v[61:62], v[55:56], v[89:90]
	s_delay_alu instid0(VALU_DEP_1) | instskip(NEXT) | instid1(VALU_DEP_2)
	v_cndmask_b32_e64 v94, v56, v62, s13
	v_cndmask_b32_e64 v93, v55, v61, s13
	s_delay_alu instid0(VALU_DEP_1) | instskip(NEXT) | instid1(VALU_DEP_1)
	v_add_f64 v[61:62], v[49:50], v[93:94]
	v_cndmask_b32_e64 v92, v50, v62, s12
	s_delay_alu instid0(VALU_DEP_2) | instskip(NEXT) | instid1(VALU_DEP_1)
	v_cndmask_b32_e64 v91, v49, v61, s12
	v_add_f64 v[61:62], v[51:52], v[91:92]
	s_delay_alu instid0(VALU_DEP_1) | instskip(NEXT) | instid1(VALU_DEP_2)
	v_cndmask_b32_e64 v76, v52, v62, s11
	v_cndmask_b32_e64 v75, v51, v61, s11
	s_delay_alu instid0(VALU_DEP_1) | instskip(NEXT) | instid1(VALU_DEP_1)
	v_add_f64 v[61:62], v[45:46], v[75:76]
	v_cndmask_b32_e64 v78, v46, v62, s10
	s_delay_alu instid0(VALU_DEP_2) | instskip(NEXT) | instid1(VALU_DEP_1)
	v_cndmask_b32_e64 v77, v45, v61, s10
	;; [unrolled: 9-line block ×5, first 2 shown]
	v_add_f64 v[61:62], v[35:36], v[71:72]
	s_delay_alu instid0(VALU_DEP_1) | instskip(NEXT) | instid1(VALU_DEP_2)
	v_cndmask_b32_e64 v74, v36, v62, s3
	v_cndmask_b32_e64 v73, v35, v61, s3
	s_delay_alu instid0(VALU_DEP_1) | instskip(NEXT) | instid1(VALU_DEP_1)
	v_add_f64 v[61:62], v[29:30], v[73:74]
	v_cndmask_b32_e64 v96, v30, v62, s1
	s_delay_alu instid0(VALU_DEP_2)
	v_cndmask_b32_e64 v95, v29, v61, s1
	ds_load_b32 v61, v114 offset:4096
	s_waitcnt lgkmcnt(2)
	v_add_f64 v[62:63], v[63:64], v[117:118]
	v_cndmask_b32_e64 v64, v119, 0, s2
	v_add_f64 v[85:86], v[31:32], v[95:96]
	s_waitcnt lgkmcnt(0)
	v_cmp_eq_u32_e32 vcc_lo, 0, v61
	s_delay_alu instid0(VALU_DEP_3) | instskip(SKIP_1) | instid1(VALU_DEP_4)
	v_add_nc_u32_e32 v114, v66, v64
	v_dual_cndmask_b32 v64, v118, v63 :: v_dual_cndmask_b32 v63, v117, v62
	v_cndmask_b32_e64 v86, v32, v86, s0
	v_cndmask_b32_e64 v85, v31, v85, s0
	s_branch .LBB29_184
.LBB29_156:
                                        ; implicit-def: $vgpr61
                                        ; implicit-def: $vgpr63_vgpr64
                                        ; implicit-def: $vgpr65
                                        ; implicit-def: $vgpr87_vgpr88
                                        ; implicit-def: $vgpr89_vgpr90
                                        ; implicit-def: $vgpr93_vgpr94
                                        ; implicit-def: $vgpr91_vgpr92
                                        ; implicit-def: $vgpr75_vgpr76
                                        ; implicit-def: $vgpr77_vgpr78
                                        ; implicit-def: $vgpr79_vgpr80
                                        ; implicit-def: $vgpr83_vgpr84
                                        ; implicit-def: $vgpr81_vgpr82
                                        ; implicit-def: $vgpr67_vgpr68
                                        ; implicit-def: $vgpr69_vgpr70
                                        ; implicit-def: $vgpr71_vgpr72
                                        ; implicit-def: $vgpr73_vgpr74
                                        ; implicit-def: $vgpr95_vgpr96
                                        ; implicit-def: $vgpr85_vgpr86
                                        ; implicit-def: $vgpr114
	s_cbranch_execz .LBB29_184
; %bb.157:
	s_and_b32 s0, s15, exec_lo
	v_dual_mov_b32 v66, v54 :: v_dual_mov_b32 v65, v53
	s_cselect_b32 s1, 0, s35
	s_cselect_b32 s0, 0, s34
	s_delay_alu instid0(SALU_CYCLE_1)
	s_cmp_eq_u64 s[0:1], 0
	s_cbranch_scc1 .LBB29_159
; %bb.158:
	v_mov_b32_e32 v61, 0
	global_load_b64 v[65:66], v61, s[0:1]
.LBB29_159:
	v_cmp_eq_u32_e32 vcc_lo, 0, v112
	v_cmp_eq_u32_e64 s0, 0, v111
	v_cmp_eq_u32_e64 s1, 0, v110
	;; [unrolled: 1-line block ×4, first 2 shown]
	v_dual_cndmask_b32 v62, v56, v98 :: v_dual_cndmask_b32 v61, v55, v97
	v_cmp_eq_u32_e64 s5, 0, v107
	v_cmp_eq_u32_e64 s6, 0, v105
	;; [unrolled: 1-line block ×4, first 2 shown]
	v_add_f64 v[61:62], v[49:50], v[61:62]
	v_cmp_eq_u32_e64 s11, 0, v102
	v_cmp_eq_u32_e64 s12, 0, v101
	v_cmp_eq_u32_e64 s9, 0, v100
	v_cmp_eq_u32_e64 s8, 0, v99
	v_add3_u32 v63, v116, v108, v107
	v_cmp_eq_u32_e64 s13, 0, v106
	s_mov_b32 s14, exec_lo
	s_delay_alu instid0(VALU_DEP_2) | instskip(NEXT) | instid1(VALU_DEP_1)
	v_add3_u32 v63, v63, v105, v104
	v_add3_u32 v63, v63, v103, v102
	s_delay_alu instid0(VALU_DEP_1) | instskip(NEXT) | instid1(VALU_DEP_1)
	v_add3_u32 v63, v63, v101, v100
	v_add3_u32 v67, v63, v99, v106
	v_and_b32_e32 v63, 15, v115
	s_delay_alu instid0(VALU_DEP_2) | instskip(SKIP_2) | instid1(VALU_DEP_1)
	v_mov_b32_dpp v64, v67 row_shr:1 row_mask:0xf bank_mask:0xf
	v_cndmask_b32_e64 v62, v50, v62, s0
	v_cndmask_b32_e64 v61, v49, v61, s0
	v_add_f64 v[61:62], v[51:52], v[61:62]
	s_delay_alu instid0(VALU_DEP_1) | instskip(NEXT) | instid1(VALU_DEP_2)
	v_cndmask_b32_e64 v62, v52, v62, s1
	v_cndmask_b32_e64 v61, v51, v61, s1
	s_delay_alu instid0(VALU_DEP_1) | instskip(NEXT) | instid1(VALU_DEP_1)
	v_add_f64 v[61:62], v[45:46], v[61:62]
	v_cndmask_b32_e64 v62, v46, v62, s3
	s_delay_alu instid0(VALU_DEP_2) | instskip(NEXT) | instid1(VALU_DEP_1)
	v_cndmask_b32_e64 v61, v45, v61, s3
	v_add_f64 v[61:62], v[47:48], v[61:62]
	s_delay_alu instid0(VALU_DEP_1) | instskip(NEXT) | instid1(VALU_DEP_2)
	v_cndmask_b32_e64 v62, v48, v62, s4
	v_cndmask_b32_e64 v61, v47, v61, s4
	s_delay_alu instid0(VALU_DEP_1) | instskip(NEXT) | instid1(VALU_DEP_1)
	v_add_f64 v[61:62], v[41:42], v[61:62]
	v_cndmask_b32_e64 v62, v42, v62, s5
	s_delay_alu instid0(VALU_DEP_2) | instskip(NEXT) | instid1(VALU_DEP_1)
	v_cndmask_b32_e64 v61, v41, v61, s5
	v_add_f64 v[61:62], v[43:44], v[61:62]
	s_delay_alu instid0(VALU_DEP_1) | instskip(NEXT) | instid1(VALU_DEP_2)
	v_cndmask_b32_e64 v62, v44, v62, s6
	v_cndmask_b32_e64 v61, v43, v61, s6
	s_delay_alu instid0(VALU_DEP_1) | instskip(NEXT) | instid1(VALU_DEP_1)
	v_add_f64 v[61:62], v[37:38], v[61:62]
	v_cndmask_b32_e64 v62, v38, v62, s7
	s_delay_alu instid0(VALU_DEP_2) | instskip(NEXT) | instid1(VALU_DEP_1)
	v_cndmask_b32_e64 v61, v37, v61, s7
	v_add_f64 v[61:62], v[39:40], v[61:62]
	s_delay_alu instid0(VALU_DEP_1) | instskip(NEXT) | instid1(VALU_DEP_2)
	v_cndmask_b32_e64 v62, v40, v62, s10
	v_cndmask_b32_e64 v61, v39, v61, s10
	s_delay_alu instid0(VALU_DEP_1) | instskip(NEXT) | instid1(VALU_DEP_1)
	v_add_f64 v[61:62], v[33:34], v[61:62]
	v_cndmask_b32_e64 v62, v34, v62, s11
	s_delay_alu instid0(VALU_DEP_2) | instskip(NEXT) | instid1(VALU_DEP_1)
	v_cndmask_b32_e64 v61, v33, v61, s11
	v_add_f64 v[61:62], v[35:36], v[61:62]
	s_delay_alu instid0(VALU_DEP_1) | instskip(NEXT) | instid1(VALU_DEP_2)
	v_cndmask_b32_e64 v62, v36, v62, s12
	v_cndmask_b32_e64 v61, v35, v61, s12
	s_delay_alu instid0(VALU_DEP_1) | instskip(NEXT) | instid1(VALU_DEP_1)
	v_add_f64 v[61:62], v[29:30], v[61:62]
	v_cndmask_b32_e64 v62, v30, v62, s9
	s_delay_alu instid0(VALU_DEP_2) | instskip(NEXT) | instid1(VALU_DEP_1)
	v_cndmask_b32_e64 v61, v29, v61, s9
	v_add_f64 v[61:62], v[31:32], v[61:62]
	s_delay_alu instid0(VALU_DEP_1) | instskip(NEXT) | instid1(VALU_DEP_2)
	v_cndmask_b32_e64 v62, v32, v62, s8
	v_cndmask_b32_e64 v61, v31, v61, s8
	s_delay_alu instid0(VALU_DEP_1) | instskip(NEXT) | instid1(VALU_DEP_1)
	v_add_f64 v[61:62], v[59:60], v[61:62]
	v_cndmask_b32_e64 v60, v60, v62, s13
	s_delay_alu instid0(VALU_DEP_2) | instskip(NEXT) | instid1(VALU_DEP_2)
	v_cndmask_b32_e64 v59, v59, v61, s13
	v_mov_b32_dpp v62, v60 row_shr:1 row_mask:0xf bank_mask:0xf
	s_delay_alu instid0(VALU_DEP_2)
	v_mov_b32_dpp v61, v59 row_shr:1 row_mask:0xf bank_mask:0xf
	v_cmpx_ne_u32_e32 0, v63
; %bb.160:
	s_delay_alu instid0(VALU_DEP_2) | instskip(SKIP_2) | instid1(VALU_DEP_2)
	v_add_f64 v[61:62], v[59:60], v[61:62]
	v_cmp_eq_u32_e64 s13, 0, v67
	v_add_nc_u32_e32 v67, v64, v67
	v_cndmask_b32_e64 v60, v60, v62, s13
	s_delay_alu instid0(VALU_DEP_4)
	v_cndmask_b32_e64 v59, v59, v61, s13
; %bb.161:
	s_or_b32 exec_lo, exec_lo, s14
	s_delay_alu instid0(VALU_DEP_3) | instskip(NEXT) | instid1(VALU_DEP_2)
	v_mov_b32_dpp v64, v67 row_shr:2 row_mask:0xf bank_mask:0xf
	v_mov_b32_dpp v61, v59 row_shr:2 row_mask:0xf bank_mask:0xf
	v_mov_b32_dpp v62, v60 row_shr:2 row_mask:0xf bank_mask:0xf
	s_mov_b32 s14, exec_lo
	v_cmpx_lt_u32_e32 1, v63
; %bb.162:
	s_delay_alu instid0(VALU_DEP_2) | instskip(SKIP_2) | instid1(VALU_DEP_2)
	v_add_f64 v[61:62], v[59:60], v[61:62]
	v_cmp_eq_u32_e64 s13, 0, v67
	v_add_nc_u32_e32 v67, v64, v67
	v_cndmask_b32_e64 v60, v60, v62, s13
	s_delay_alu instid0(VALU_DEP_4)
	v_cndmask_b32_e64 v59, v59, v61, s13
; %bb.163:
	s_or_b32 exec_lo, exec_lo, s14
	s_delay_alu instid0(VALU_DEP_3) | instskip(NEXT) | instid1(VALU_DEP_2)
	v_mov_b32_dpp v64, v67 row_shr:4 row_mask:0xf bank_mask:0xf
	v_mov_b32_dpp v61, v59 row_shr:4 row_mask:0xf bank_mask:0xf
	v_mov_b32_dpp v62, v60 row_shr:4 row_mask:0xf bank_mask:0xf
	s_mov_b32 s14, exec_lo
	v_cmpx_lt_u32_e32 3, v63
	;; [unrolled: 16-line block ×3, first 2 shown]
; %bb.166:
	s_delay_alu instid0(VALU_DEP_2) | instskip(SKIP_2) | instid1(VALU_DEP_2)
	v_add_f64 v[61:62], v[59:60], v[61:62]
	v_cmp_eq_u32_e64 s13, 0, v67
	v_add_nc_u32_e32 v67, v64, v67
	v_cndmask_b32_e64 v60, v60, v62, s13
	s_delay_alu instid0(VALU_DEP_4)
	v_cndmask_b32_e64 v59, v59, v61, s13
; %bb.167:
	s_or_b32 exec_lo, exec_lo, s14
	ds_swizzle_b32 v63, v67 offset:swizzle(BROADCAST,32,15)
	ds_swizzle_b32 v61, v59 offset:swizzle(BROADCAST,32,15)
	;; [unrolled: 1-line block ×3, first 2 shown]
	v_and_b32_e32 v64, 16, v115
	s_mov_b32 s14, exec_lo
	s_delay_alu instid0(VALU_DEP_1)
	v_cmpx_ne_u32_e32 0, v64
	s_cbranch_execz .LBB29_169
; %bb.168:
	s_waitcnt lgkmcnt(0)
	v_add_f64 v[61:62], v[59:60], v[61:62]
	v_cmp_eq_u32_e64 s13, 0, v67
	v_add_nc_u32_e32 v67, v63, v67
	s_delay_alu instid0(VALU_DEP_2) | instskip(NEXT) | instid1(VALU_DEP_4)
	v_cndmask_b32_e64 v60, v60, v62, s13
	v_cndmask_b32_e64 v59, v59, v61, s13
.LBB29_169:
	s_or_b32 exec_lo, exec_lo, s14
	s_waitcnt lgkmcnt(1)
	v_or_b32_e32 v61, 31, v0
	v_lshrrev_b32_e32 v68, 5, v0
	s_mov_b32 s14, exec_lo
	s_delay_alu instid0(VALU_DEP_2)
	v_cmpx_eq_u32_e64 v61, v0
	s_cbranch_execz .LBB29_171
; %bb.170:
	s_delay_alu instid0(VALU_DEP_2)
	v_lshlrev_b32_e32 v61, 4, v68
	ds_store_b32 v61, v67 offset:4128
	ds_store_b64 v61, v[59:60] offset:4136
.LBB29_171:
	s_or_b32 exec_lo, exec_lo, s14
	s_delay_alu instid0(SALU_CYCLE_1)
	s_mov_b32 s14, exec_lo
	s_waitcnt vmcnt(0) lgkmcnt(0)
	s_barrier
	buffer_gl0_inv
	v_cmpx_gt_u32_e32 8, v0
	s_cbranch_execz .LBB29_179
; %bb.172:
	v_lshlrev_b32_e32 v69, 4, v0
	v_and_b32_e32 v71, 7, v115
	s_mov_b32 s16, exec_lo
	ds_load_b32 v70, v69 offset:4128
	ds_load_b64 v[61:62], v69 offset:4136
	s_waitcnt lgkmcnt(1)
	v_mov_b32_dpp v72, v70 row_shr:1 row_mask:0xf bank_mask:0xf
	s_waitcnt lgkmcnt(0)
	v_mov_b32_dpp v63, v61 row_shr:1 row_mask:0xf bank_mask:0xf
	v_mov_b32_dpp v64, v62 row_shr:1 row_mask:0xf bank_mask:0xf
	v_cmpx_ne_u32_e32 0, v71
; %bb.173:
	s_delay_alu instid0(VALU_DEP_2) | instskip(SKIP_2) | instid1(VALU_DEP_2)
	v_add_f64 v[63:64], v[61:62], v[63:64]
	v_cmp_eq_u32_e64 s13, 0, v70
	v_add_nc_u32_e32 v70, v72, v70
	v_cndmask_b32_e64 v62, v62, v64, s13
	s_delay_alu instid0(VALU_DEP_4)
	v_cndmask_b32_e64 v61, v61, v63, s13
; %bb.174:
	s_or_b32 exec_lo, exec_lo, s16
	s_delay_alu instid0(VALU_DEP_3) | instskip(NEXT) | instid1(VALU_DEP_2)
	v_mov_b32_dpp v72, v70 row_shr:2 row_mask:0xf bank_mask:0xf
	v_mov_b32_dpp v63, v61 row_shr:2 row_mask:0xf bank_mask:0xf
	;; [unrolled: 1-line block ×3, first 2 shown]
	s_mov_b32 s16, exec_lo
	v_cmpx_lt_u32_e32 1, v71
; %bb.175:
	s_delay_alu instid0(VALU_DEP_2) | instskip(SKIP_2) | instid1(VALU_DEP_2)
	v_add_f64 v[63:64], v[61:62], v[63:64]
	v_cmp_eq_u32_e64 s13, 0, v70
	v_add_nc_u32_e32 v70, v72, v70
	v_cndmask_b32_e64 v62, v62, v64, s13
	s_delay_alu instid0(VALU_DEP_4)
	v_cndmask_b32_e64 v61, v61, v63, s13
; %bb.176:
	s_or_b32 exec_lo, exec_lo, s16
	s_delay_alu instid0(VALU_DEP_3) | instskip(NEXT) | instid1(VALU_DEP_2)
	v_mov_b32_dpp v72, v70 row_shr:4 row_mask:0xf bank_mask:0xf
	v_mov_b32_dpp v63, v61 row_shr:4 row_mask:0xf bank_mask:0xf
	;; [unrolled: 1-line block ×3, first 2 shown]
	s_mov_b32 s16, exec_lo
	v_cmpx_lt_u32_e32 3, v71
; %bb.177:
	s_delay_alu instid0(VALU_DEP_2) | instskip(SKIP_2) | instid1(VALU_DEP_2)
	v_add_f64 v[63:64], v[61:62], v[63:64]
	v_cmp_eq_u32_e64 s13, 0, v70
	v_add_nc_u32_e32 v70, v72, v70
	v_cndmask_b32_e64 v62, v62, v64, s13
	s_delay_alu instid0(VALU_DEP_4)
	v_cndmask_b32_e64 v61, v61, v63, s13
; %bb.178:
	s_or_b32 exec_lo, exec_lo, s16
	ds_store_b32 v69, v70 offset:4128
	ds_store_b64 v69, v[61:62] offset:4136
.LBB29_179:
	s_or_b32 exec_lo, exec_lo, s14
	v_dual_mov_b32 v63, 0 :: v_dual_mov_b32 v64, 0
	v_dual_mov_b32 v61, v65 :: v_dual_mov_b32 v62, v66
	s_mov_b32 s14, exec_lo
	s_waitcnt lgkmcnt(0)
	s_barrier
	buffer_gl0_inv
	v_cmpx_lt_u32_e32 31, v0
	s_cbranch_execz .LBB29_181
; %bb.180:
	v_lshlrev_b32_e32 v64, 4, v68
	ds_load_b64 v[61:62], v64 offset:4120
	ds_load_b32 v64, v64 offset:4112
	s_waitcnt lgkmcnt(1)
	v_add_f64 v[68:69], v[65:66], v[61:62]
	s_waitcnt lgkmcnt(0)
	v_cmp_eq_u32_e64 s13, 0, v64
	s_delay_alu instid0(VALU_DEP_1) | instskip(NEXT) | instid1(VALU_DEP_3)
	v_cndmask_b32_e64 v62, v62, v69, s13
	v_cndmask_b32_e64 v61, v61, v68, s13
.LBB29_181:
	s_or_b32 exec_lo, exec_lo, s14
	s_delay_alu instid0(VALU_DEP_1) | instskip(SKIP_1) | instid1(VALU_DEP_1)
	v_add_f64 v[68:69], v[59:60], v[61:62]
	v_add_nc_u32_e32 v70, -1, v115
	v_cmp_gt_i32_e64 s13, 0, v70
	s_delay_alu instid0(VALU_DEP_1) | instskip(SKIP_2) | instid1(VALU_DEP_3)
	v_cndmask_b32_e64 v70, v70, v115, s13
	v_cmp_eq_u32_e64 s13, 0, v67
	v_add_nc_u32_e32 v67, v64, v67
	v_lshlrev_b32_e32 v70, 2, v70
	ds_bpermute_b32 v67, v70, v67
	v_cndmask_b32_e64 v60, v60, v69, s13
	v_cndmask_b32_e64 v59, v59, v68, s13
	v_cmp_eq_u32_e64 s13, 0, v115
	ds_bpermute_b32 v60, v70, v60
	ds_bpermute_b32 v59, v70, v59
	s_waitcnt lgkmcnt(2)
	v_cndmask_b32_e64 v114, v67, v64, s13
	s_waitcnt lgkmcnt(1)
	v_cndmask_b32_e64 v88, v60, v62, s13
	s_waitcnt lgkmcnt(0)
	v_cndmask_b32_e64 v87, v59, v61, s13
	v_cmp_eq_u32_e64 s13, 0, v113
	ds_load_b32 v61, v63 offset:4240
	v_cndmask_b32_e64 v60, v88, v66, s2
	v_cndmask_b32_e64 v59, v87, v65, s2
	s_delay_alu instid0(VALU_DEP_1) | instskip(NEXT) | instid1(VALU_DEP_1)
	v_add_f64 v[59:60], v[53:54], v[59:60]
	v_cndmask_b32_e64 v90, v54, v60, s13
	s_delay_alu instid0(VALU_DEP_2) | instskip(NEXT) | instid1(VALU_DEP_1)
	v_cndmask_b32_e64 v89, v53, v59, s13
	v_add_f64 v[53:54], v[55:56], v[89:90]
	s_delay_alu instid0(VALU_DEP_1) | instskip(SKIP_2) | instid1(VALU_DEP_2)
	v_dual_cndmask_b32 v94, v56, v54 :: v_dual_cndmask_b32 v93, v55, v53
	s_waitcnt lgkmcnt(0)
	v_cmp_eq_u32_e32 vcc_lo, 0, v61
	v_add_f64 v[53:54], v[49:50], v[93:94]
	s_delay_alu instid0(VALU_DEP_1) | instskip(NEXT) | instid1(VALU_DEP_2)
	v_cndmask_b32_e64 v92, v50, v54, s0
	v_cndmask_b32_e64 v91, v49, v53, s0
	s_delay_alu instid0(VALU_DEP_1) | instskip(NEXT) | instid1(VALU_DEP_1)
	v_add_f64 v[49:50], v[51:52], v[91:92]
	v_cndmask_b32_e64 v76, v52, v50, s1
	s_delay_alu instid0(VALU_DEP_2) | instskip(NEXT) | instid1(VALU_DEP_1)
	v_cndmask_b32_e64 v75, v51, v49, s1
	v_add_f64 v[49:50], v[45:46], v[75:76]
	s_delay_alu instid0(VALU_DEP_1) | instskip(NEXT) | instid1(VALU_DEP_2)
	v_cndmask_b32_e64 v78, v46, v50, s3
	v_cndmask_b32_e64 v77, v45, v49, s3
	s_delay_alu instid0(VALU_DEP_1) | instskip(NEXT) | instid1(VALU_DEP_1)
	v_add_f64 v[45:46], v[47:48], v[77:78]
	v_cndmask_b32_e64 v80, v48, v46, s4
	s_delay_alu instid0(VALU_DEP_2) | instskip(NEXT) | instid1(VALU_DEP_1)
	v_cndmask_b32_e64 v79, v47, v45, s4
	;; [unrolled: 9-line block ×4, first 2 shown]
	v_add_f64 v[37:38], v[33:34], v[69:70]
	s_delay_alu instid0(VALU_DEP_1) | instskip(NEXT) | instid1(VALU_DEP_2)
	v_cndmask_b32_e64 v72, v34, v38, s11
	v_cndmask_b32_e64 v71, v33, v37, s11
	s_delay_alu instid0(VALU_DEP_1) | instskip(NEXT) | instid1(VALU_DEP_1)
	v_add_f64 v[33:34], v[35:36], v[71:72]
	v_cndmask_b32_e64 v74, v36, v34, s12
	s_delay_alu instid0(VALU_DEP_2) | instskip(SKIP_2) | instid1(VALU_DEP_1)
	v_cndmask_b32_e64 v73, v35, v33, s12
	ds_load_b64 v[35:36], v63 offset:4248
	v_add_f64 v[33:34], v[29:30], v[73:74]
	v_cndmask_b32_e64 v96, v30, v34, s9
	s_delay_alu instid0(VALU_DEP_2) | instskip(SKIP_2) | instid1(VALU_DEP_2)
	v_cndmask_b32_e64 v95, v29, v33, s9
	s_waitcnt lgkmcnt(0)
	v_add_f64 v[29:30], v[65:66], v[35:36]
	v_add_f64 v[33:34], v[31:32], v[95:96]
	s_delay_alu instid0(VALU_DEP_2) | instskip(NEXT) | instid1(VALU_DEP_2)
	v_dual_cndmask_b32 v64, v36, v30 :: v_dual_cndmask_b32 v63, v35, v29
	v_cndmask_b32_e64 v86, v32, v34, s8
	s_delay_alu instid0(VALU_DEP_3)
	v_cndmask_b32_e64 v85, v31, v33, s8
	s_and_saveexec_b32 s0, s2
	s_cbranch_execz .LBB29_183
; %bb.182:
	v_dual_mov_b32 v114, 0 :: v_dual_mov_b32 v29, 2
	v_dual_mov_b32 v88, v66 :: v_dual_mov_b32 v87, v65
	s_clause 0x1
	global_store_b32 v114, v61, s[38:39] offset:512
	global_store_b64 v114, v[63:64], s[38:39] offset:520
	s_waitcnt_vscnt null, 0x0
	buffer_gl1_inv
	buffer_gl0_inv
	global_store_b8 v114, v29, s[40:41] offset:32
.LBB29_183:
	s_or_b32 exec_lo, exec_lo, s0
	v_mov_b32_e32 v65, 0
.LBB29_184:
	v_mov_b32_e32 v29, 0
	s_and_b32 s0, s15, exec_lo
	v_mov_b32_e32 v30, 0
	s_cselect_b32 s1, 0, s51
	s_cselect_b32 s0, 0, s50
	s_waitcnt_vscnt null, 0x0
	s_cmp_eq_u64 s[0:1], 0
	s_barrier
	buffer_gl0_inv
	s_cbranch_scc1 .LBB29_186
; %bb.185:
	v_mov_b32_e32 v29, 0
	global_load_b64 v[29:30], v29, s[0:1]
.LBB29_186:
	v_cmp_eq_u32_e32 vcc_lo, 0, v113
	v_add_nc_u32_e32 v46, v114, v113
	v_cmp_ne_u32_e64 s13, 0, v113
	v_cmp_ne_u32_e64 s12, 0, v112
	;; [unrolled: 1-line block ×3, first 2 shown]
	v_cndmask_b32_e64 v31, 1, 2, vcc_lo
	v_cmp_eq_u32_e32 vcc_lo, 0, v112
	v_add_nc_u32_e32 v48, v46, v112
	v_cmp_ne_u32_e64 s9, 0, v110
	v_cmp_ne_u32_e64 s15, 0, v109
	;; [unrolled: 1-line block ×3, first 2 shown]
	v_cndmask_b32_e64 v32, 1, 2, vcc_lo
	v_cmp_eq_u32_e32 vcc_lo, 0, v111
	v_add_nc_u32_e32 v47, v48, v111
	v_cmp_ne_u32_e64 s11, 0, v107
	s_delay_alu instid0(VALU_DEP_4)
	v_dual_mov_b32 v66, 0 :: v_dual_and_b32 v31, v32, v31
	v_cndmask_b32_e64 v33, 1, 2, vcc_lo
	v_cmp_eq_u32_e32 vcc_lo, 0, v110
	v_add_nc_u32_e32 v45, v47, v110
	v_cmp_ne_u32_e64 s8, 0, v105
	v_cmp_ne_u32_e64 s7, 0, v104
	v_and_b32_e32 v33, v31, v33
	v_cndmask_b32_e64 v34, 1, 2, vcc_lo
	v_cmp_eq_u32_e32 vcc_lo, 0, v109
	v_add_nc_u32_e32 v44, v45, v109
	s_waitcnt vmcnt(0)
	v_lshlrev_b64 v[31:32], 3, v[29:30]
	v_cmp_ne_u32_e64 s6, 0, v103
	v_and_b32_e32 v33, v33, v34
	v_cndmask_b32_e64 v35, 1, 2, vcc_lo
	v_cmp_eq_u32_e32 vcc_lo, 0, v108
	v_add_nc_u32_e32 v43, v44, v108
	v_cmp_ne_u32_e64 s5, 0, v102
	v_cmp_ne_u32_e64 s4, 0, v101
	v_and_b32_e32 v33, v33, v35
	v_cndmask_b32_e64 v34, 1, 2, vcc_lo
	v_cmp_eq_u32_e32 vcc_lo, 0, v107
	v_add_nc_u32_e32 v42, v43, v107
	v_cmp_ne_u32_e64 s3, 0, v100
	;; [unrolled: 6-line block ×3, first 2 shown]
	s_mov_b32 s17, -1
	v_and_b32_e32 v33, v33, v35
	v_cndmask_b32_e64 v34, 1, 2, vcc_lo
	v_cmp_eq_u32_e32 vcc_lo, 0, v104
	v_add_nc_u32_e32 v40, v41, v104
	s_delay_alu instid0(VALU_DEP_3) | instskip(SKIP_2) | instid1(VALU_DEP_4)
	v_and_b32_e32 v33, v33, v34
	v_cndmask_b32_e64 v35, 1, 2, vcc_lo
	v_cmp_eq_u32_e32 vcc_lo, 0, v103
	v_add_nc_u32_e32 v39, v40, v103
	s_delay_alu instid0(VALU_DEP_3) | instskip(SKIP_2) | instid1(VALU_DEP_4)
	v_and_b32_e32 v33, v33, v35
	v_cndmask_b32_e64 v34, 1, 2, vcc_lo
	v_cmp_eq_u32_e32 vcc_lo, 0, v102
	v_add_nc_u32_e32 v38, v39, v102
	s_delay_alu instid0(VALU_DEP_3) | instskip(SKIP_3) | instid1(VALU_DEP_3)
	v_and_b32_e32 v37, v33, v34
	v_cndmask_b32_e64 v35, 1, 2, vcc_lo
	v_cmp_eq_u32_e32 vcc_lo, 0, v101
	v_lshlrev_b64 v[33:34], 3, v[65:66]
	v_and_b32_e32 v35, v37, v35
	v_cndmask_b32_e64 v36, 1, 2, vcc_lo
	v_cmp_eq_u32_e32 vcc_lo, 0, v100
	v_add_nc_u32_e32 v37, v38, v101
	s_delay_alu instid0(VALU_DEP_3) | instskip(SKIP_3) | instid1(VALU_DEP_3)
	v_and_b32_e32 v52, v35, v36
	v_cndmask_b32_e64 v51, 1, 2, vcc_lo
	v_add_co_u32 v49, vcc_lo, s30, v31
	v_add_co_ci_u32_e32 v50, vcc_lo, s31, v32, vcc_lo
	v_and_b32_e32 v51, v52, v51
	s_delay_alu instid0(VALU_DEP_3) | instskip(NEXT) | instid1(VALU_DEP_3)
	v_add_co_u32 v49, vcc_lo, v49, v33
	v_add_co_ci_u32_e32 v50, vcc_lo, v50, v34, vcc_lo
	v_cmp_eq_u32_e32 vcc_lo, 0, v99
	v_add_nc_u32_e32 v36, v37, v100
	v_cndmask_b32_e64 v52, 1, 2, vcc_lo
	v_cmp_eq_u32_e32 vcc_lo, 0, v106
	s_delay_alu instid0(VALU_DEP_3) | instskip(NEXT) | instid1(VALU_DEP_3)
	v_add_nc_u32_e32 v35, v36, v99
	v_and_b32_e32 v51, v51, v52
	v_cndmask_b32_e64 v52, 1, 2, vcc_lo
	v_cmp_gt_u32_e32 vcc_lo, 0x100, v61
	s_delay_alu instid0(VALU_DEP_2) | instskip(NEXT) | instid1(VALU_DEP_1)
	v_and_b32_e32 v51, v51, v52
	v_cmp_gt_i16_e64 s16, 2, v51
	s_cbranch_vccz .LBB29_193
; %bb.187:
	s_delay_alu instid0(VALU_DEP_1)
	s_and_saveexec_b32 s17, s16
	s_cbranch_execz .LBB29_192
; %bb.188:
	s_mov_b32 s18, 0
	s_mov_b32 s16, exec_lo
	v_cmpx_ne_u16_e32 1, v51
	s_xor_b32 s16, exec_lo, s16
	s_cbranch_execnz .LBB29_225
; %bb.189:
	s_and_not1_saveexec_b32 s16, s16
	s_cbranch_execnz .LBB29_241
.LBB29_190:
	s_or_b32 exec_lo, exec_lo, s16
	s_delay_alu instid0(SALU_CYCLE_1)
	s_and_b32 exec_lo, exec_lo, s18
	s_cbranch_execz .LBB29_192
.LBB29_191:
	v_sub_nc_u32_e32 v52, v35, v65
	v_mov_b32_e32 v53, 0
	s_delay_alu instid0(VALU_DEP_1) | instskip(NEXT) | instid1(VALU_DEP_1)
	v_lshlrev_b64 v[52:53], 3, v[52:53]
	v_add_co_u32 v52, vcc_lo, v49, v52
	s_delay_alu instid0(VALU_DEP_2)
	v_add_co_ci_u32_e32 v53, vcc_lo, v50, v53, vcc_lo
	global_store_b64 v[52:53], v[57:58], off
.LBB29_192:
	s_or_b32 exec_lo, exec_lo, s17
	s_mov_b32 s17, 0
.LBB29_193:
	s_delay_alu instid0(SALU_CYCLE_1)
	s_and_b32 vcc_lo, exec_lo, s17
	s_cbranch_vccz .LBB29_203
; %bb.194:
	s_mov_b32 s16, exec_lo
	v_cmpx_gt_i16_e32 2, v51
	s_cbranch_execz .LBB29_199
; %bb.195:
	s_mov_b32 s18, 0
	s_mov_b32 s17, exec_lo
	v_cmpx_ne_u16_e32 1, v51
	s_xor_b32 s17, exec_lo, s17
	s_cbranch_execnz .LBB29_242
; %bb.196:
	s_and_not1_saveexec_b32 s0, s17
	s_cbranch_execnz .LBB29_258
.LBB29_197:
	s_or_b32 exec_lo, exec_lo, s0
	s_delay_alu instid0(SALU_CYCLE_1)
	s_and_b32 exec_lo, exec_lo, s18
	s_cbranch_execz .LBB29_199
.LBB29_198:
	v_sub_nc_u32_e32 v1, v35, v65
	s_delay_alu instid0(VALU_DEP_1)
	v_lshlrev_b32_e32 v1, 3, v1
	ds_store_b64 v1, v[57:58]
.LBB29_199:
	s_or_b32 exec_lo, exec_lo, s16
	s_delay_alu instid0(SALU_CYCLE_1)
	s_mov_b32 s1, exec_lo
	s_waitcnt lgkmcnt(0)
	s_waitcnt_vscnt null, 0x0
	s_barrier
	buffer_gl0_inv
	v_cmpx_lt_u32_e64 v0, v61
	s_cbranch_execz .LBB29_202
; %bb.200:
	v_dual_mov_b32 v2, 0 :: v_dual_lshlrev_b32 v3, 3, v0
	v_mov_b32_e32 v1, v0
	s_mov_b32 s3, 0
	.p2align	6
.LBB29_201:                             ; =>This Inner Loop Header: Depth=1
	ds_load_b64 v[4:5], v3
	v_lshlrev_b64 v[6:7], 3, v[1:2]
	v_add_nc_u32_e32 v1, 0x100, v1
	v_add_nc_u32_e32 v3, 0x800, v3
	s_delay_alu instid0(VALU_DEP_2) | instskip(NEXT) | instid1(VALU_DEP_4)
	v_cmp_ge_u32_e32 vcc_lo, v1, v61
	v_add_co_u32 v6, s0, v49, v6
	s_delay_alu instid0(VALU_DEP_1)
	v_add_co_ci_u32_e64 v7, s0, v50, v7, s0
	s_or_b32 s3, vcc_lo, s3
	s_waitcnt lgkmcnt(0)
	global_store_b64 v[6:7], v[4:5], off
	s_and_not1_b32 exec_lo, exec_lo, s3
	s_cbranch_execnz .LBB29_201
.LBB29_202:
	s_or_b32 exec_lo, exec_lo, s1
.LBB29_203:
	s_cmpk_lg_i32 s33, 0xf00
	v_cndmask_b32_e64 v1, 0, 1, s44
	s_cselect_b32 s0, -1, 0
	v_mad_i32_i24 v4, v0, -15, s33
	s_and_b32 s0, s0, s27
	s_and_b32 s1, s2, s44
	v_cndmask_b32_e64 v3, 0, 1, s0
	s_mul_hi_u32 s0, s33, 0x88888889
	v_sub_nc_u32_e32 v2, v61, v1
	s_lshr_b32 s0, s0, 3
	v_cndmask_b32_e64 v5, v113, 0, s1
	v_cmp_eq_u32_e32 vcc_lo, s0, v0
	v_cmp_ne_u32_e64 s0, 0, v4
	s_mov_b32 s16, -1
	s_waitcnt_vscnt null, 0x0
	s_barrier
	s_and_b32 vcc_lo, vcc_lo, s27
	v_add_nc_u32_e32 v3, v2, v3
	v_cndmask_b32_e64 v2, 1, v5, s0
	v_cmp_ne_u32_e64 s0, 1, v4
	buffer_gl0_inv
	v_cndmask_b32_e32 v2, v5, v2, vcc_lo
	v_cndmask_b32_e64 v6, 1, v112, s0
	v_cmp_ne_u32_e64 s0, 14, v4
	s_delay_alu instid0(VALU_DEP_3) | instskip(NEXT) | instid1(VALU_DEP_3)
	v_cmp_ne_u32_e64 s14, 0, v2
	v_cndmask_b32_e32 v11, v112, v6, vcc_lo
	s_delay_alu instid0(VALU_DEP_3) | instskip(SKIP_1) | instid1(VALU_DEP_3)
	v_cndmask_b32_e64 v7, 1, v106, s0
	v_cmp_ne_u32_e64 s0, 2, v4
	v_cmp_ne_u32_e64 s13, 0, v11
	s_delay_alu instid0(VALU_DEP_3) | instskip(NEXT) | instid1(VALU_DEP_3)
	v_cndmask_b32_e32 v10, v106, v7, vcc_lo
	v_cndmask_b32_e64 v8, 1, v111, s0
	v_cmp_ne_u32_e64 s0, 3, v4
	s_delay_alu instid0(VALU_DEP_1) | instskip(SKIP_1) | instid1(VALU_DEP_2)
	v_cndmask_b32_e64 v9, 1, v110, s0
	v_cmp_ne_u32_e64 s0, 4, v4
	v_dual_cndmask_b32 v8, v111, v8 :: v_dual_cndmask_b32 v9, v110, v9
	s_delay_alu instid0(VALU_DEP_2) | instskip(SKIP_1) | instid1(VALU_DEP_3)
	v_cndmask_b32_e64 v5, 1, v109, s0
	v_cmp_ne_u32_e64 s0, 5, v4
	v_cmp_ne_u32_e64 s12, 0, v8
	s_delay_alu instid0(VALU_DEP_4) | instskip(NEXT) | instid1(VALU_DEP_4)
	v_cmp_ne_u32_e64 s11, 0, v9
	v_cndmask_b32_e32 v16, v109, v5, vcc_lo
	s_delay_alu instid0(VALU_DEP_4) | instskip(SKIP_1) | instid1(VALU_DEP_3)
	v_cndmask_b32_e64 v6, 1, v108, s0
	v_cmp_eq_u32_e64 s0, 0, v2
	v_cmp_ne_u32_e64 s10, 0, v16
	s_delay_alu instid0(VALU_DEP_2) | instskip(SKIP_1) | instid1(VALU_DEP_1)
	v_cndmask_b32_e64 v7, 1, 2, s0
	v_cmp_eq_u32_e64 s0, 0, v11
	v_cndmask_b32_e64 v12, 1, 2, s0
	v_cmp_ne_u32_e64 s0, 6, v4
	s_delay_alu instid0(VALU_DEP_2) | instskip(NEXT) | instid1(VALU_DEP_2)
	v_and_b32_e32 v7, v12, v7
	v_cndmask_b32_e64 v13, 1, v107, s0
	v_cmp_eq_u32_e64 s0, 0, v8
	s_delay_alu instid0(VALU_DEP_2) | instskip(NEXT) | instid1(VALU_DEP_2)
	v_cndmask_b32_e32 v13, v107, v13, vcc_lo
	v_cndmask_b32_e64 v12, 1, 2, s0
	v_cmp_ne_u32_e64 s0, 7, v4
	s_delay_alu instid0(VALU_DEP_3) | instskip(NEXT) | instid1(VALU_DEP_2)
	v_cmp_ne_u32_e64 s8, 0, v13
	v_cndmask_b32_e64 v14, 1, v105, s0
	v_cmp_ne_u32_e64 s0, 8, v4
	s_delay_alu instid0(VALU_DEP_2) | instskip(NEXT) | instid1(VALU_DEP_2)
	v_dual_cndmask_b32 v14, v105, v14 :: v_dual_and_b32 v7, v7, v12
	v_cndmask_b32_e64 v15, 1, v104, s0
	v_cmp_eq_u32_e64 s0, 0, v9
	s_delay_alu instid0(VALU_DEP_3) | instskip(NEXT) | instid1(VALU_DEP_2)
	v_cmp_ne_u32_e64 s7, 0, v14
	v_cndmask_b32_e64 v12, 1, 2, s0
	v_cmp_ne_u32_e64 s0, 9, v4
	s_delay_alu instid0(VALU_DEP_2) | instskip(NEXT) | instid1(VALU_DEP_2)
	v_dual_cndmask_b32 v17, v108, v6 :: v_dual_and_b32 v6, v7, v12
	v_cndmask_b32_e64 v5, 1, v103, s0
	v_cmp_eq_u32_e64 s0, 0, v16
	s_delay_alu instid0(VALU_DEP_3) | instskip(NEXT) | instid1(VALU_DEP_3)
	v_cmp_ne_u32_e64 s9, 0, v17
	v_cndmask_b32_e32 v21, v103, v5, vcc_lo
	s_delay_alu instid0(VALU_DEP_3) | instskip(SKIP_1) | instid1(VALU_DEP_3)
	v_cndmask_b32_e64 v7, 1, 2, s0
	v_cmp_ne_u32_e64 s0, 10, v4
	v_cmp_ne_u32_e64 s5, 0, v21
	s_delay_alu instid0(VALU_DEP_3) | instskip(NEXT) | instid1(VALU_DEP_3)
	v_and_b32_e32 v6, v6, v7
	v_cndmask_b32_e64 v12, 1, v102, s0
	v_cmp_ne_u32_e64 s0, 12, v4
	s_delay_alu instid0(VALU_DEP_2) | instskip(NEXT) | instid1(VALU_DEP_2)
	v_cndmask_b32_e32 v12, v102, v12, vcc_lo
	v_cndmask_b32_e64 v18, 1, v100, s0
	v_cmp_eq_u32_e64 s0, 0, v17
	s_delay_alu instid0(VALU_DEP_2) | instskip(NEXT) | instid1(VALU_DEP_2)
	v_cndmask_b32_e32 v18, v100, v18, vcc_lo
	v_cndmask_b32_e64 v7, 1, 2, s0
	v_cmp_ne_u32_e64 s0, 13, v4
	s_delay_alu instid0(VALU_DEP_3) | instskip(NEXT) | instid1(VALU_DEP_3)
	v_cmp_ne_u32_e64 s2, 0, v18
	v_and_b32_e32 v6, v6, v7
	s_delay_alu instid0(VALU_DEP_3) | instskip(SKIP_1) | instid1(VALU_DEP_2)
	v_cndmask_b32_e64 v19, 1, v99, s0
	v_cmp_eq_u32_e64 s0, 0, v13
	v_cndmask_b32_e32 v19, v99, v19, vcc_lo
	s_delay_alu instid0(VALU_DEP_2) | instskip(SKIP_1) | instid1(VALU_DEP_3)
	v_cndmask_b32_e64 v7, 1, 2, s0
	v_cmp_ne_u32_e64 s0, 11, v4
	v_cmp_ne_u32_e64 s1, 0, v19
	s_delay_alu instid0(VALU_DEP_3) | instskip(NEXT) | instid1(VALU_DEP_3)
	v_and_b32_e32 v6, v6, v7
	v_cndmask_b32_e64 v4, 1, v101, s0
	v_cmp_eq_u32_e64 s0, 0, v14
	s_delay_alu instid0(VALU_DEP_2) | instskip(NEXT) | instid1(VALU_DEP_2)
	v_dual_cndmask_b32 v15, v104, v15 :: v_dual_cndmask_b32 v20, v101, v4
	v_cndmask_b32_e64 v7, 1, 2, s0
	s_delay_alu instid0(VALU_DEP_2)
	v_cmp_eq_u32_e32 vcc_lo, 0, v15
	v_cmp_ne_u32_e64 s6, 0, v15
	v_cmp_ne_u32_e64 s0, 0, v10
	;; [unrolled: 1-line block ×3, first 2 shown]
	v_and_b32_e32 v4, v6, v7
	v_cndmask_b32_e64 v5, 1, 2, vcc_lo
	v_add_co_u32 v6, vcc_lo, s52, v31
	v_add_co_ci_u32_e32 v7, vcc_lo, s53, v32, vcc_lo
	v_cmp_eq_u32_e32 vcc_lo, 0, v21
	s_delay_alu instid0(VALU_DEP_4)
	v_and_b32_e32 v22, v4, v5
	v_cndmask_b32_e64 v23, 1, 2, vcc_lo
	v_add_co_u32 v4, vcc_lo, v6, v33
	v_add_co_ci_u32_e32 v5, vcc_lo, v7, v34, vcc_lo
	v_lshlrev_b32_e32 v6, 3, v1
	v_add_nc_u32_e32 v1, v65, v1
	v_cmp_eq_u32_e32 vcc_lo, 0, v12
	v_and_b32_e32 v7, v22, v23
	v_cmp_ne_u32_e64 s4, 0, v12
	v_cndmask_b32_e64 v22, 1, 2, vcc_lo
	v_add_co_u32 v6, vcc_lo, v6, v4
	v_add_co_ci_u32_e32 v23, vcc_lo, 0, v5, vcc_lo
	v_cmp_eq_u32_e32 vcc_lo, 0, v20
	s_delay_alu instid0(VALU_DEP_4) | instskip(SKIP_4) | instid1(VALU_DEP_4)
	v_and_b32_e32 v22, v7, v22
	v_cndmask_b32_e64 v24, 1, 2, vcc_lo
	v_add_co_u32 v6, vcc_lo, v6, -8
	v_add_co_ci_u32_e32 v7, vcc_lo, -1, v23, vcc_lo
	v_cmp_eq_u32_e32 vcc_lo, 0, v18
	v_and_b32_e32 v22, v22, v24
	v_cndmask_b32_e64 v23, 1, 2, vcc_lo
	v_cmp_eq_u32_e32 vcc_lo, 0, v19
	s_delay_alu instid0(VALU_DEP_2) | instskip(SKIP_2) | instid1(VALU_DEP_2)
	v_and_b32_e32 v2, v22, v23
	v_cndmask_b32_e64 v8, 1, 2, vcc_lo
	v_cmp_eq_u32_e32 vcc_lo, 0, v10
	v_and_b32_e32 v2, v2, v8
	v_cndmask_b32_e64 v8, 1, 2, vcc_lo
	v_cmp_gt_u32_e32 vcc_lo, 0x100, v3
	s_delay_alu instid0(VALU_DEP_2) | instskip(NEXT) | instid1(VALU_DEP_1)
	v_and_b32_e32 v2, v2, v8
	v_cmp_gt_i16_e64 s15, 2, v2
	s_cbranch_vccnz .LBB29_207
; %bb.204:
	s_and_b32 vcc_lo, exec_lo, s16
	s_cbranch_vccnz .LBB29_213
.LBB29_205:
	v_cmp_eq_u32_e32 vcc_lo, 0xff, v0
	s_and_b32 s0, vcc_lo, s27
	s_delay_alu instid0(SALU_CYCLE_1)
	s_and_saveexec_b32 s1, s0
	s_cbranch_execnz .LBB29_222
.LBB29_206:
	s_nop 0
	s_sendmsg sendmsg(MSG_DEALLOC_VGPRS)
	s_endpgm
.LBB29_207:
	s_delay_alu instid0(VALU_DEP_1)
	s_and_saveexec_b32 s16, s15
	s_cbranch_execz .LBB29_212
; %bb.208:
	s_mov_b32 s17, 0
	s_mov_b32 s15, exec_lo
	v_cmpx_ne_u16_e32 1, v2
	s_xor_b32 s15, exec_lo, s15
	s_cbranch_execnz .LBB29_259
; %bb.209:
	s_and_not1_saveexec_b32 s15, s15
	s_cbranch_execnz .LBB29_275
.LBB29_210:
	s_or_b32 exec_lo, exec_lo, s15
	s_delay_alu instid0(SALU_CYCLE_1)
	s_and_b32 exec_lo, exec_lo, s17
	s_cbranch_execz .LBB29_212
.LBB29_211:
	v_sub_nc_u32_e32 v8, v35, v1
	v_mov_b32_e32 v9, 0
	s_delay_alu instid0(VALU_DEP_1) | instskip(NEXT) | instid1(VALU_DEP_1)
	v_lshlrev_b64 v[8:9], 3, v[8:9]
	v_add_co_u32 v8, vcc_lo, v6, v8
	s_delay_alu instid0(VALU_DEP_2)
	v_add_co_ci_u32_e32 v9, vcc_lo, v7, v9, vcc_lo
	global_store_b64 v[8:9], v[85:86], off
.LBB29_212:
	s_or_b32 exec_lo, exec_lo, s16
	s_branch .LBB29_205
.LBB29_213:
	s_mov_b32 s15, exec_lo
	v_cmpx_gt_i16_e32 2, v2
	s_cbranch_execz .LBB29_218
; %bb.214:
	s_mov_b32 s17, 0
	s_mov_b32 s16, exec_lo
	v_cmpx_ne_u16_e32 1, v2
	s_xor_b32 s16, exec_lo, s16
	s_cbranch_execnz .LBB29_276
; %bb.215:
	s_and_not1_saveexec_b32 s0, s16
	s_cbranch_execnz .LBB29_292
.LBB29_216:
	s_or_b32 exec_lo, exec_lo, s0
	s_delay_alu instid0(SALU_CYCLE_1)
	s_and_b32 exec_lo, exec_lo, s17
	s_cbranch_execz .LBB29_218
.LBB29_217:
	v_sub_nc_u32_e32 v1, v35, v1
	s_delay_alu instid0(VALU_DEP_1)
	v_lshlrev_b32_e32 v1, 3, v1
	ds_store_b64 v1, v[85:86]
.LBB29_218:
	s_or_b32 exec_lo, exec_lo, s15
	s_delay_alu instid0(SALU_CYCLE_1)
	s_mov_b32 s1, exec_lo
	s_waitcnt lgkmcnt(0)
	s_waitcnt_vscnt null, 0x0
	s_barrier
	buffer_gl0_inv
	v_cmpx_lt_u32_e64 v0, v3
	s_cbranch_execz .LBB29_221
; %bb.219:
	v_dual_mov_b32 v1, v0 :: v_dual_lshlrev_b32 v8, 3, v0
	v_mov_b32_e32 v2, 0
	s_mov_b32 s2, 0
	.p2align	6
.LBB29_220:                             ; =>This Inner Loop Header: Depth=1
	ds_load_b64 v[9:10], v8
	v_lshlrev_b64 v[11:12], 3, v[1:2]
	v_add_nc_u32_e32 v1, 0x100, v1
	v_add_nc_u32_e32 v8, 0x800, v8
	s_delay_alu instid0(VALU_DEP_2) | instskip(NEXT) | instid1(VALU_DEP_4)
	v_cmp_ge_u32_e32 vcc_lo, v1, v3
	v_add_co_u32 v11, s0, v6, v11
	s_delay_alu instid0(VALU_DEP_1)
	v_add_co_ci_u32_e64 v12, s0, v7, v12, s0
	s_or_b32 s2, vcc_lo, s2
	s_waitcnt lgkmcnt(0)
	global_store_b64 v[11:12], v[9:10], off
	s_and_not1_b32 exec_lo, exec_lo, s2
	s_cbranch_execnz .LBB29_220
.LBB29_221:
	s_or_b32 exec_lo, exec_lo, s1
	v_cmp_eq_u32_e32 vcc_lo, 0xff, v0
	s_and_b32 s0, vcc_lo, s27
	s_delay_alu instid0(SALU_CYCLE_1)
	s_and_saveexec_b32 s1, s0
	s_cbranch_execz .LBB29_206
.LBB29_222:
	v_add_co_u32 v0, s0, v61, v65
	s_delay_alu instid0(VALU_DEP_1) | instskip(SKIP_1) | instid1(VALU_DEP_3)
	v_add_co_ci_u32_e64 v1, null, 0, 0, s0
	v_mov_b32_e32 v62, 0
	v_add_co_u32 v0, vcc_lo, v0, v29
	s_delay_alu instid0(VALU_DEP_3)
	v_add_co_ci_u32_e32 v1, vcc_lo, v1, v30, vcc_lo
	s_cmpk_lg_i32 s33, 0xf00
	global_store_b64 v62, v[0:1], s[54:55]
	s_cbranch_scc1 .LBB29_206
; %bb.223:
	v_lshlrev_b64 v[0:1], 3, v[61:62]
	s_delay_alu instid0(VALU_DEP_1) | instskip(NEXT) | instid1(VALU_DEP_2)
	v_add_co_u32 v0, vcc_lo, v4, v0
	v_add_co_ci_u32_e32 v1, vcc_lo, v5, v1, vcc_lo
	global_store_b64 v[0:1], v[63:64], off offset:-8
	s_nop 0
	s_sendmsg sendmsg(MSG_DEALLOC_VGPRS)
	s_endpgm
.LBB29_224:
	s_or_b32 exec_lo, exec_lo, s4
	v_mov_b32_e32 v113, s1
	s_and_saveexec_b32 s0, s46
	s_cbranch_execnz .LBB29_88
	s_branch .LBB29_89
.LBB29_225:
	s_and_saveexec_b32 s18, s13
	s_cbranch_execnz .LBB29_293
; %bb.226:
	s_or_b32 exec_lo, exec_lo, s18
	s_and_saveexec_b32 s18, s12
	s_cbranch_execnz .LBB29_294
.LBB29_227:
	s_or_b32 exec_lo, exec_lo, s18
	s_and_saveexec_b32 s18, s10
	s_cbranch_execnz .LBB29_295
.LBB29_228:
	s_or_b32 exec_lo, exec_lo, s18
	s_and_saveexec_b32 s18, s9
	s_cbranch_execnz .LBB29_296
.LBB29_229:
	s_or_b32 exec_lo, exec_lo, s18
	s_and_saveexec_b32 s18, s15
	s_cbranch_execnz .LBB29_297
.LBB29_230:
	s_or_b32 exec_lo, exec_lo, s18
	s_and_saveexec_b32 s18, s14
	s_cbranch_execnz .LBB29_298
.LBB29_231:
	s_or_b32 exec_lo, exec_lo, s18
	s_and_saveexec_b32 s18, s11
	s_cbranch_execnz .LBB29_299
.LBB29_232:
	s_or_b32 exec_lo, exec_lo, s18
	s_and_saveexec_b32 s18, s8
	s_cbranch_execnz .LBB29_300
.LBB29_233:
	s_or_b32 exec_lo, exec_lo, s18
	s_and_saveexec_b32 s18, s7
	s_cbranch_execnz .LBB29_301
.LBB29_234:
	s_or_b32 exec_lo, exec_lo, s18
	s_and_saveexec_b32 s18, s6
	s_cbranch_execnz .LBB29_302
.LBB29_235:
	s_or_b32 exec_lo, exec_lo, s18
	s_and_saveexec_b32 s18, s5
	s_cbranch_execnz .LBB29_303
.LBB29_236:
	s_or_b32 exec_lo, exec_lo, s18
	s_and_saveexec_b32 s18, s4
	s_cbranch_execnz .LBB29_304
.LBB29_237:
	s_or_b32 exec_lo, exec_lo, s18
	s_and_saveexec_b32 s18, s3
	s_cbranch_execnz .LBB29_305
.LBB29_238:
	s_or_b32 exec_lo, exec_lo, s18
	s_and_saveexec_b32 s18, s1
	s_cbranch_execz .LBB29_240
.LBB29_239:
	v_sub_nc_u32_e32 v52, v36, v65
	v_mov_b32_e32 v53, 0
	s_delay_alu instid0(VALU_DEP_1) | instskip(NEXT) | instid1(VALU_DEP_1)
	v_lshlrev_b64 v[52:53], 3, v[52:53]
	v_add_co_u32 v52, vcc_lo, v49, v52
	s_delay_alu instid0(VALU_DEP_2)
	v_add_co_ci_u32_e32 v53, vcc_lo, v50, v53, vcc_lo
	global_store_b64 v[52:53], v[3:4], off
.LBB29_240:
	s_or_b32 exec_lo, exec_lo, s18
	s_delay_alu instid0(SALU_CYCLE_1)
	s_and_b32 s18, s0, exec_lo
	s_and_not1_saveexec_b32 s16, s16
	s_cbranch_execz .LBB29_190
.LBB29_241:
	v_sub_nc_u32_e32 v52, v114, v65
	v_mov_b32_e32 v53, 0
	s_or_b32 s18, s18, exec_lo
	s_delay_alu instid0(VALU_DEP_1) | instskip(SKIP_1) | instid1(VALU_DEP_1)
	v_lshlrev_b64 v[54:55], 3, v[52:53]
	v_sub_nc_u32_e32 v52, v46, v65
	v_lshlrev_b64 v[59:60], 3, v[52:53]
	v_sub_nc_u32_e32 v52, v48, v65
	s_delay_alu instid0(VALU_DEP_4) | instskip(SKIP_1) | instid1(VALU_DEP_3)
	v_add_co_u32 v54, vcc_lo, v49, v54
	v_add_co_ci_u32_e32 v55, vcc_lo, v50, v55, vcc_lo
	v_lshlrev_b64 v[97:98], 3, v[52:53]
	v_sub_nc_u32_e32 v52, v47, v65
	v_add_co_u32 v59, vcc_lo, v49, v59
	v_add_co_ci_u32_e32 v60, vcc_lo, v50, v60, vcc_lo
	global_store_b64 v[54:55], v[25:26], off
	v_lshlrev_b64 v[54:55], 3, v[52:53]
	v_sub_nc_u32_e32 v52, v45, v65
	global_store_b64 v[59:60], v[27:28], off
	v_add_co_u32 v59, vcc_lo, v49, v97
	v_add_co_ci_u32_e32 v60, vcc_lo, v50, v98, vcc_lo
	v_lshlrev_b64 v[97:98], 3, v[52:53]
	v_sub_nc_u32_e32 v52, v44, v65
	v_add_co_u32 v54, vcc_lo, v49, v54
	v_add_co_ci_u32_e32 v55, vcc_lo, v50, v55, vcc_lo
	s_delay_alu instid0(VALU_DEP_3) | instskip(SKIP_3) | instid1(VALU_DEP_3)
	v_lshlrev_b64 v[115:116], 3, v[52:53]
	v_sub_nc_u32_e32 v52, v43, v65
	v_add_co_u32 v97, vcc_lo, v49, v97
	v_add_co_ci_u32_e32 v98, vcc_lo, v50, v98, vcc_lo
	v_lshlrev_b64 v[117:118], 3, v[52:53]
	v_sub_nc_u32_e32 v52, v42, v65
	v_add_co_u32 v115, vcc_lo, v49, v115
	v_add_co_ci_u32_e32 v116, vcc_lo, v50, v116, vcc_lo
	s_clause 0x3
	global_store_b64 v[59:60], v[21:22], off
	global_store_b64 v[54:55], v[23:24], off
	;; [unrolled: 1-line block ×4, first 2 shown]
	v_lshlrev_b64 v[54:55], 3, v[52:53]
	v_sub_nc_u32_e32 v52, v41, v65
	v_add_co_u32 v59, vcc_lo, v49, v117
	v_add_co_ci_u32_e32 v60, vcc_lo, v50, v118, vcc_lo
	s_delay_alu instid0(VALU_DEP_3) | instskip(SKIP_3) | instid1(VALU_DEP_3)
	v_lshlrev_b64 v[97:98], 3, v[52:53]
	v_sub_nc_u32_e32 v52, v40, v65
	v_add_co_u32 v54, vcc_lo, v49, v54
	v_add_co_ci_u32_e32 v55, vcc_lo, v50, v55, vcc_lo
	v_lshlrev_b64 v[115:116], 3, v[52:53]
	v_sub_nc_u32_e32 v52, v39, v65
	v_add_co_u32 v97, vcc_lo, v49, v97
	v_add_co_ci_u32_e32 v98, vcc_lo, v50, v98, vcc_lo
	s_delay_alu instid0(VALU_DEP_3)
	v_lshlrev_b64 v[117:118], 3, v[52:53]
	v_sub_nc_u32_e32 v52, v38, v65
	v_add_co_u32 v115, vcc_lo, v49, v115
	v_add_co_ci_u32_e32 v116, vcc_lo, v50, v116, vcc_lo
	s_clause 0x3
	global_store_b64 v[59:60], v[13:14], off
	global_store_b64 v[54:55], v[15:16], off
	;; [unrolled: 1-line block ×4, first 2 shown]
	v_lshlrev_b64 v[54:55], 3, v[52:53]
	v_sub_nc_u32_e32 v52, v37, v65
	v_add_co_u32 v59, vcc_lo, v49, v117
	v_add_co_ci_u32_e32 v60, vcc_lo, v50, v118, vcc_lo
	s_delay_alu instid0(VALU_DEP_3) | instskip(SKIP_3) | instid1(VALU_DEP_3)
	v_lshlrev_b64 v[97:98], 3, v[52:53]
	v_sub_nc_u32_e32 v52, v36, v65
	v_add_co_u32 v54, vcc_lo, v49, v54
	v_add_co_ci_u32_e32 v55, vcc_lo, v50, v55, vcc_lo
	v_lshlrev_b64 v[52:53], 3, v[52:53]
	v_add_co_u32 v97, vcc_lo, v49, v97
	v_add_co_ci_u32_e32 v98, vcc_lo, v50, v98, vcc_lo
	s_clause 0x2
	global_store_b64 v[59:60], v[5:6], off
	global_store_b64 v[54:55], v[7:8], off
	;; [unrolled: 1-line block ×3, first 2 shown]
	v_add_co_u32 v52, vcc_lo, v49, v52
	v_add_co_ci_u32_e32 v53, vcc_lo, v50, v53, vcc_lo
	global_store_b64 v[52:53], v[3:4], off
	s_or_b32 exec_lo, exec_lo, s16
	s_delay_alu instid0(SALU_CYCLE_1)
	s_and_b32 exec_lo, exec_lo, s18
	s_cbranch_execnz .LBB29_191
	s_branch .LBB29_192
.LBB29_242:
	s_and_saveexec_b32 s18, s13
	s_cbranch_execnz .LBB29_306
; %bb.243:
	s_or_b32 exec_lo, exec_lo, s18
	s_and_saveexec_b32 s13, s12
	s_cbranch_execnz .LBB29_307
.LBB29_244:
	s_or_b32 exec_lo, exec_lo, s13
	s_and_saveexec_b32 s12, s10
	s_cbranch_execnz .LBB29_308
.LBB29_245:
	s_or_b32 exec_lo, exec_lo, s12
	s_and_saveexec_b32 s10, s9
	s_cbranch_execnz .LBB29_309
.LBB29_246:
	s_or_b32 exec_lo, exec_lo, s10
	s_and_saveexec_b32 s9, s15
	s_cbranch_execnz .LBB29_310
.LBB29_247:
	s_or_b32 exec_lo, exec_lo, s9
	s_and_saveexec_b32 s9, s14
	s_cbranch_execnz .LBB29_311
.LBB29_248:
	s_or_b32 exec_lo, exec_lo, s9
	s_and_saveexec_b32 s9, s11
	s_cbranch_execnz .LBB29_312
.LBB29_249:
	s_or_b32 exec_lo, exec_lo, s9
	s_and_saveexec_b32 s9, s8
	s_cbranch_execnz .LBB29_313
.LBB29_250:
	s_or_b32 exec_lo, exec_lo, s9
	s_and_saveexec_b32 s8, s7
	s_cbranch_execnz .LBB29_314
.LBB29_251:
	s_or_b32 exec_lo, exec_lo, s8
	s_and_saveexec_b32 s7, s6
	s_cbranch_execnz .LBB29_315
.LBB29_252:
	s_or_b32 exec_lo, exec_lo, s7
	s_and_saveexec_b32 s6, s5
	s_cbranch_execnz .LBB29_316
.LBB29_253:
	s_or_b32 exec_lo, exec_lo, s6
	s_and_saveexec_b32 s5, s4
	s_cbranch_execnz .LBB29_317
.LBB29_254:
	s_or_b32 exec_lo, exec_lo, s5
	s_and_saveexec_b32 s4, s3
	s_cbranch_execnz .LBB29_318
.LBB29_255:
	s_or_b32 exec_lo, exec_lo, s4
	s_and_saveexec_b32 s3, s1
	s_cbranch_execz .LBB29_257
.LBB29_256:
	v_sub_nc_u32_e32 v1, v36, v65
	s_delay_alu instid0(VALU_DEP_1)
	v_lshlrev_b32_e32 v1, 3, v1
	ds_store_b64 v1, v[3:4]
.LBB29_257:
	s_or_b32 exec_lo, exec_lo, s3
	s_delay_alu instid0(SALU_CYCLE_1)
	s_and_b32 s18, s0, exec_lo
                                        ; implicit-def: $vgpr25_vgpr26
                                        ; implicit-def: $vgpr21_vgpr22
                                        ; implicit-def: $vgpr17_vgpr18
                                        ; implicit-def: $vgpr13_vgpr14
                                        ; implicit-def: $vgpr9_vgpr10
                                        ; implicit-def: $vgpr5_vgpr6
                                        ; implicit-def: $vgpr1_vgpr2
	s_and_not1_saveexec_b32 s0, s17
	s_cbranch_execz .LBB29_197
.LBB29_258:
	v_sub_nc_u32_e32 v51, v114, v65
	v_sub_nc_u32_e32 v52, v46, v65
	;; [unrolled: 1-line block ×4, first 2 shown]
	s_or_b32 s18, s18, exec_lo
	v_lshlrev_b32_e32 v51, 3, v51
	v_lshlrev_b32_e32 v52, 3, v52
	;; [unrolled: 1-line block ×4, first 2 shown]
	ds_store_b64 v51, v[25:26]
	ds_store_b64 v52, v[27:28]
	;; [unrolled: 1-line block ×3, first 2 shown]
	v_sub_nc_u32_e32 v21, v45, v65
	v_sub_nc_u32_e32 v22, v44, v65
	ds_store_b64 v54, v[23:24]
	v_sub_nc_u32_e32 v23, v43, v65
	v_sub_nc_u32_e32 v24, v42, v65
	v_lshlrev_b32_e32 v21, 3, v21
	v_sub_nc_u32_e32 v25, v41, v65
	v_lshlrev_b32_e32 v22, 3, v22
	v_lshlrev_b32_e32 v23, 3, v23
	;; [unrolled: 1-line block ×3, first 2 shown]
	ds_store_b64 v21, v[17:18]
	v_lshlrev_b32_e32 v17, 3, v25
	ds_store_b64 v22, v[19:20]
	ds_store_b64 v23, v[13:14]
	ds_store_b64 v24, v[15:16]
	v_sub_nc_u32_e32 v13, v40, v65
	v_sub_nc_u32_e32 v15, v36, v65
	;; [unrolled: 1-line block ×3, first 2 shown]
	ds_store_b64 v17, v[9:10]
	v_sub_nc_u32_e32 v9, v39, v65
	v_lshlrev_b32_e32 v13, 3, v13
	v_sub_nc_u32_e32 v10, v38, v65
	v_lshlrev_b32_e32 v14, 3, v14
	s_delay_alu instid0(VALU_DEP_4)
	v_lshlrev_b32_e32 v9, 3, v9
	ds_store_b64 v13, v[11:12]
	v_lshlrev_b32_e32 v11, 3, v15
	v_lshlrev_b32_e32 v10, 3, v10
	ds_store_b64 v9, v[5:6]
	ds_store_b64 v10, v[7:8]
	;; [unrolled: 1-line block ×4, first 2 shown]
	s_or_b32 exec_lo, exec_lo, s0
	s_delay_alu instid0(SALU_CYCLE_1)
	s_and_b32 exec_lo, exec_lo, s18
	s_cbranch_execnz .LBB29_198
	s_branch .LBB29_199
.LBB29_259:
	s_and_saveexec_b32 s17, s14
	s_cbranch_execnz .LBB29_319
; %bb.260:
	s_or_b32 exec_lo, exec_lo, s17
	s_and_saveexec_b32 s17, s13
	s_cbranch_execnz .LBB29_320
.LBB29_261:
	s_or_b32 exec_lo, exec_lo, s17
	s_and_saveexec_b32 s17, s12
	s_cbranch_execnz .LBB29_321
.LBB29_262:
	s_or_b32 exec_lo, exec_lo, s17
	s_and_saveexec_b32 s17, s11
	s_cbranch_execnz .LBB29_322
.LBB29_263:
	s_or_b32 exec_lo, exec_lo, s17
	s_and_saveexec_b32 s17, s10
	s_cbranch_execnz .LBB29_323
.LBB29_264:
	s_or_b32 exec_lo, exec_lo, s17
	s_and_saveexec_b32 s17, s9
	s_cbranch_execnz .LBB29_324
.LBB29_265:
	s_or_b32 exec_lo, exec_lo, s17
	s_and_saveexec_b32 s17, s8
	s_cbranch_execnz .LBB29_325
.LBB29_266:
	s_or_b32 exec_lo, exec_lo, s17
	s_and_saveexec_b32 s17, s7
	s_cbranch_execnz .LBB29_326
.LBB29_267:
	s_or_b32 exec_lo, exec_lo, s17
	s_and_saveexec_b32 s17, s6
	s_cbranch_execnz .LBB29_327
.LBB29_268:
	s_or_b32 exec_lo, exec_lo, s17
	s_and_saveexec_b32 s17, s5
	s_cbranch_execnz .LBB29_328
.LBB29_269:
	s_or_b32 exec_lo, exec_lo, s17
	s_and_saveexec_b32 s17, s4
	s_cbranch_execnz .LBB29_329
.LBB29_270:
	s_or_b32 exec_lo, exec_lo, s17
	s_and_saveexec_b32 s17, s3
	s_cbranch_execnz .LBB29_330
.LBB29_271:
	s_or_b32 exec_lo, exec_lo, s17
	s_and_saveexec_b32 s17, s2
	s_cbranch_execnz .LBB29_331
.LBB29_272:
	s_or_b32 exec_lo, exec_lo, s17
	s_and_saveexec_b32 s17, s1
	s_cbranch_execz .LBB29_274
.LBB29_273:
	v_sub_nc_u32_e32 v8, v36, v1
	v_mov_b32_e32 v9, 0
	s_delay_alu instid0(VALU_DEP_1) | instskip(NEXT) | instid1(VALU_DEP_1)
	v_lshlrev_b64 v[8:9], 3, v[8:9]
	v_add_co_u32 v8, vcc_lo, v6, v8
	s_delay_alu instid0(VALU_DEP_2)
	v_add_co_ci_u32_e32 v9, vcc_lo, v7, v9, vcc_lo
	global_store_b64 v[8:9], v[95:96], off
.LBB29_274:
	s_or_b32 exec_lo, exec_lo, s17
	s_delay_alu instid0(SALU_CYCLE_1)
	s_and_b32 s17, s0, exec_lo
	s_and_not1_saveexec_b32 s15, s15
	s_cbranch_execz .LBB29_210
.LBB29_275:
	v_sub_nc_u32_e32 v8, v114, v1
	v_mov_b32_e32 v9, 0
	s_or_b32 s17, s17, exec_lo
	s_delay_alu instid0(VALU_DEP_1) | instskip(SKIP_1) | instid1(VALU_DEP_1)
	v_lshlrev_b64 v[10:11], 3, v[8:9]
	v_sub_nc_u32_e32 v8, v46, v1
	v_lshlrev_b64 v[12:13], 3, v[8:9]
	v_sub_nc_u32_e32 v8, v48, v1
	s_delay_alu instid0(VALU_DEP_4) | instskip(SKIP_1) | instid1(VALU_DEP_3)
	v_add_co_u32 v10, vcc_lo, v6, v10
	v_add_co_ci_u32_e32 v11, vcc_lo, v7, v11, vcc_lo
	v_lshlrev_b64 v[14:15], 3, v[8:9]
	v_sub_nc_u32_e32 v8, v47, v1
	v_add_co_u32 v12, vcc_lo, v6, v12
	v_add_co_ci_u32_e32 v13, vcc_lo, v7, v13, vcc_lo
	global_store_b64 v[10:11], v[87:88], off
	v_lshlrev_b64 v[10:11], 3, v[8:9]
	v_sub_nc_u32_e32 v8, v45, v1
	global_store_b64 v[12:13], v[89:90], off
	v_add_co_u32 v12, vcc_lo, v6, v14
	v_add_co_ci_u32_e32 v13, vcc_lo, v7, v15, vcc_lo
	v_lshlrev_b64 v[14:15], 3, v[8:9]
	v_sub_nc_u32_e32 v8, v44, v1
	v_add_co_u32 v10, vcc_lo, v6, v10
	v_add_co_ci_u32_e32 v11, vcc_lo, v7, v11, vcc_lo
	s_delay_alu instid0(VALU_DEP_3) | instskip(SKIP_3) | instid1(VALU_DEP_3)
	v_lshlrev_b64 v[16:17], 3, v[8:9]
	v_sub_nc_u32_e32 v8, v43, v1
	v_add_co_u32 v14, vcc_lo, v6, v14
	v_add_co_ci_u32_e32 v15, vcc_lo, v7, v15, vcc_lo
	v_lshlrev_b64 v[18:19], 3, v[8:9]
	v_sub_nc_u32_e32 v8, v42, v1
	v_add_co_u32 v16, vcc_lo, v6, v16
	v_add_co_ci_u32_e32 v17, vcc_lo, v7, v17, vcc_lo
	s_clause 0x3
	global_store_b64 v[12:13], v[93:94], off
	global_store_b64 v[10:11], v[91:92], off
	;; [unrolled: 1-line block ×4, first 2 shown]
	v_lshlrev_b64 v[10:11], 3, v[8:9]
	v_sub_nc_u32_e32 v8, v41, v1
	v_add_co_u32 v12, vcc_lo, v6, v18
	v_add_co_ci_u32_e32 v13, vcc_lo, v7, v19, vcc_lo
	s_delay_alu instid0(VALU_DEP_3) | instskip(SKIP_3) | instid1(VALU_DEP_3)
	v_lshlrev_b64 v[14:15], 3, v[8:9]
	v_sub_nc_u32_e32 v8, v40, v1
	v_add_co_u32 v10, vcc_lo, v6, v10
	v_add_co_ci_u32_e32 v11, vcc_lo, v7, v11, vcc_lo
	v_lshlrev_b64 v[16:17], 3, v[8:9]
	v_sub_nc_u32_e32 v8, v39, v1
	v_add_co_u32 v14, vcc_lo, v6, v14
	v_add_co_ci_u32_e32 v15, vcc_lo, v7, v15, vcc_lo
	s_delay_alu instid0(VALU_DEP_3)
	v_lshlrev_b64 v[18:19], 3, v[8:9]
	v_sub_nc_u32_e32 v8, v38, v1
	v_add_co_u32 v16, vcc_lo, v6, v16
	v_add_co_ci_u32_e32 v17, vcc_lo, v7, v17, vcc_lo
	s_clause 0x3
	global_store_b64 v[12:13], v[79:80], off
	global_store_b64 v[10:11], v[83:84], off
	;; [unrolled: 1-line block ×4, first 2 shown]
	v_lshlrev_b64 v[10:11], 3, v[8:9]
	v_sub_nc_u32_e32 v8, v37, v1
	v_add_co_u32 v12, vcc_lo, v6, v18
	v_add_co_ci_u32_e32 v13, vcc_lo, v7, v19, vcc_lo
	s_delay_alu instid0(VALU_DEP_3) | instskip(SKIP_3) | instid1(VALU_DEP_3)
	v_lshlrev_b64 v[14:15], 3, v[8:9]
	v_sub_nc_u32_e32 v8, v36, v1
	v_add_co_u32 v10, vcc_lo, v6, v10
	v_add_co_ci_u32_e32 v11, vcc_lo, v7, v11, vcc_lo
	v_lshlrev_b64 v[8:9], 3, v[8:9]
	v_add_co_u32 v14, vcc_lo, v6, v14
	v_add_co_ci_u32_e32 v15, vcc_lo, v7, v15, vcc_lo
	s_clause 0x2
	global_store_b64 v[12:13], v[69:70], off
	global_store_b64 v[10:11], v[71:72], off
	;; [unrolled: 1-line block ×3, first 2 shown]
	v_add_co_u32 v8, vcc_lo, v6, v8
	v_add_co_ci_u32_e32 v9, vcc_lo, v7, v9, vcc_lo
	global_store_b64 v[8:9], v[95:96], off
	s_or_b32 exec_lo, exec_lo, s15
	s_delay_alu instid0(SALU_CYCLE_1)
	s_and_b32 exec_lo, exec_lo, s17
	s_cbranch_execnz .LBB29_211
	s_branch .LBB29_212
.LBB29_276:
	s_and_saveexec_b32 s17, s14
	s_cbranch_execnz .LBB29_332
; %bb.277:
	s_or_b32 exec_lo, exec_lo, s17
	s_and_saveexec_b32 s14, s13
	s_cbranch_execnz .LBB29_333
.LBB29_278:
	s_or_b32 exec_lo, exec_lo, s14
	s_and_saveexec_b32 s13, s12
	s_cbranch_execnz .LBB29_334
.LBB29_279:
	s_or_b32 exec_lo, exec_lo, s13
	s_and_saveexec_b32 s12, s11
	s_cbranch_execnz .LBB29_335
.LBB29_280:
	s_or_b32 exec_lo, exec_lo, s12
	s_and_saveexec_b32 s11, s10
	s_cbranch_execnz .LBB29_336
.LBB29_281:
	s_or_b32 exec_lo, exec_lo, s11
	s_and_saveexec_b32 s10, s9
	s_cbranch_execnz .LBB29_337
.LBB29_282:
	s_or_b32 exec_lo, exec_lo, s10
	s_and_saveexec_b32 s9, s8
	s_cbranch_execnz .LBB29_338
.LBB29_283:
	s_or_b32 exec_lo, exec_lo, s9
	s_and_saveexec_b32 s8, s7
	s_cbranch_execnz .LBB29_339
.LBB29_284:
	s_or_b32 exec_lo, exec_lo, s8
	s_and_saveexec_b32 s7, s6
	s_cbranch_execnz .LBB29_340
.LBB29_285:
	s_or_b32 exec_lo, exec_lo, s7
	s_and_saveexec_b32 s6, s5
	s_cbranch_execnz .LBB29_341
.LBB29_286:
	s_or_b32 exec_lo, exec_lo, s6
	s_and_saveexec_b32 s5, s4
	s_cbranch_execnz .LBB29_342
.LBB29_287:
	s_or_b32 exec_lo, exec_lo, s5
	s_and_saveexec_b32 s4, s3
	s_cbranch_execnz .LBB29_343
.LBB29_288:
	s_or_b32 exec_lo, exec_lo, s4
	s_and_saveexec_b32 s3, s2
	s_cbranch_execnz .LBB29_344
.LBB29_289:
	s_or_b32 exec_lo, exec_lo, s3
	s_and_saveexec_b32 s2, s1
	s_cbranch_execz .LBB29_291
.LBB29_290:
	v_sub_nc_u32_e32 v2, v36, v1
	s_delay_alu instid0(VALU_DEP_1)
	v_lshlrev_b32_e32 v2, 3, v2
	ds_store_b64 v2, v[95:96]
.LBB29_291:
	s_or_b32 exec_lo, exec_lo, s2
	s_delay_alu instid0(SALU_CYCLE_1)
	s_and_b32 s17, s0, exec_lo
                                        ; implicit-def: $vgpr87_vgpr88
                                        ; implicit-def: $vgpr89_vgpr90
                                        ; implicit-def: $vgpr93_vgpr94
                                        ; implicit-def: $vgpr91_vgpr92
                                        ; implicit-def: $vgpr75_vgpr76
                                        ; implicit-def: $vgpr77_vgpr78
                                        ; implicit-def: $vgpr79_vgpr80
                                        ; implicit-def: $vgpr83_vgpr84
                                        ; implicit-def: $vgpr81_vgpr82
                                        ; implicit-def: $vgpr67_vgpr68
                                        ; implicit-def: $vgpr69_vgpr70
                                        ; implicit-def: $vgpr71_vgpr72
                                        ; implicit-def: $vgpr73_vgpr74
                                        ; implicit-def: $vgpr95_vgpr96
                                        ; implicit-def: $vgpr114
                                        ; implicit-def: $vgpr46
                                        ; implicit-def: $vgpr48
                                        ; implicit-def: $vgpr47
                                        ; implicit-def: $vgpr45
                                        ; implicit-def: $vgpr44
                                        ; implicit-def: $vgpr43
                                        ; implicit-def: $vgpr42
                                        ; implicit-def: $vgpr41
                                        ; implicit-def: $vgpr40
                                        ; implicit-def: $vgpr39
                                        ; implicit-def: $vgpr38
                                        ; implicit-def: $vgpr37
                                        ; implicit-def: $vgpr36
	s_and_not1_saveexec_b32 s0, s16
	s_cbranch_execz .LBB29_216
.LBB29_292:
	v_sub_nc_u32_e32 v2, v114, v1
	v_sub_nc_u32_e32 v8, v46, v1
	;; [unrolled: 1-line block ×5, first 2 shown]
	v_lshlrev_b32_e32 v2, 3, v2
	v_lshlrev_b32_e32 v8, 3, v8
	;; [unrolled: 1-line block ×4, first 2 shown]
	s_or_b32 s17, s17, exec_lo
	ds_store_b64 v2, v[87:88]
	ds_store_b64 v8, v[89:90]
	;; [unrolled: 1-line block ×3, first 2 shown]
	v_sub_nc_u32_e32 v2, v45, v1
	v_sub_nc_u32_e32 v8, v44, v1
	;; [unrolled: 1-line block ×3, first 2 shown]
	ds_store_b64 v10, v[91:92]
	v_sub_nc_u32_e32 v10, v42, v1
	v_lshlrev_b32_e32 v2, 3, v2
	v_lshlrev_b32_e32 v8, 3, v8
	;; [unrolled: 1-line block ×3, first 2 shown]
	s_delay_alu instid0(VALU_DEP_4)
	v_lshlrev_b32_e32 v10, 3, v10
	ds_store_b64 v2, v[75:76]
	v_lshlrev_b32_e32 v2, 3, v11
	ds_store_b64 v8, v[77:78]
	ds_store_b64 v9, v[79:80]
	;; [unrolled: 1-line block ×3, first 2 shown]
	v_sub_nc_u32_e32 v8, v40, v1
	v_sub_nc_u32_e32 v11, v36, v1
	;; [unrolled: 1-line block ×3, first 2 shown]
	ds_store_b64 v2, v[81:82]
	v_sub_nc_u32_e32 v2, v39, v1
	v_lshlrev_b32_e32 v8, 3, v8
	v_sub_nc_u32_e32 v10, v37, v1
	v_lshlrev_b32_e32 v9, 3, v9
	s_delay_alu instid0(VALU_DEP_4)
	v_lshlrev_b32_e32 v2, 3, v2
	ds_store_b64 v8, v[67:68]
	v_lshlrev_b32_e32 v8, 3, v11
	v_lshlrev_b32_e32 v10, 3, v10
	ds_store_b64 v2, v[69:70]
	ds_store_b64 v9, v[71:72]
	;; [unrolled: 1-line block ×4, first 2 shown]
	s_or_b32 exec_lo, exec_lo, s0
	s_delay_alu instid0(SALU_CYCLE_1)
	s_and_b32 exec_lo, exec_lo, s17
	s_cbranch_execnz .LBB29_217
	s_branch .LBB29_218
.LBB29_293:
	v_sub_nc_u32_e32 v52, v114, v65
	v_mov_b32_e32 v53, 0
	s_delay_alu instid0(VALU_DEP_1) | instskip(NEXT) | instid1(VALU_DEP_1)
	v_lshlrev_b64 v[52:53], 3, v[52:53]
	v_add_co_u32 v52, vcc_lo, v49, v52
	s_delay_alu instid0(VALU_DEP_2)
	v_add_co_ci_u32_e32 v53, vcc_lo, v50, v53, vcc_lo
	global_store_b64 v[52:53], v[25:26], off
	s_or_b32 exec_lo, exec_lo, s18
	s_and_saveexec_b32 s18, s12
	s_cbranch_execz .LBB29_227
.LBB29_294:
	v_sub_nc_u32_e32 v52, v46, v65
	v_mov_b32_e32 v53, 0
	s_delay_alu instid0(VALU_DEP_1) | instskip(NEXT) | instid1(VALU_DEP_1)
	v_lshlrev_b64 v[52:53], 3, v[52:53]
	v_add_co_u32 v52, vcc_lo, v49, v52
	s_delay_alu instid0(VALU_DEP_2)
	v_add_co_ci_u32_e32 v53, vcc_lo, v50, v53, vcc_lo
	global_store_b64 v[52:53], v[27:28], off
	s_or_b32 exec_lo, exec_lo, s18
	s_and_saveexec_b32 s18, s10
	s_cbranch_execz .LBB29_228
.LBB29_295:
	v_sub_nc_u32_e32 v52, v48, v65
	v_mov_b32_e32 v53, 0
	s_delay_alu instid0(VALU_DEP_1) | instskip(NEXT) | instid1(VALU_DEP_1)
	v_lshlrev_b64 v[52:53], 3, v[52:53]
	v_add_co_u32 v52, vcc_lo, v49, v52
	s_delay_alu instid0(VALU_DEP_2)
	v_add_co_ci_u32_e32 v53, vcc_lo, v50, v53, vcc_lo
	global_store_b64 v[52:53], v[21:22], off
	s_or_b32 exec_lo, exec_lo, s18
	s_and_saveexec_b32 s18, s9
	s_cbranch_execz .LBB29_229
.LBB29_296:
	v_sub_nc_u32_e32 v52, v47, v65
	v_mov_b32_e32 v53, 0
	s_delay_alu instid0(VALU_DEP_1) | instskip(NEXT) | instid1(VALU_DEP_1)
	v_lshlrev_b64 v[52:53], 3, v[52:53]
	v_add_co_u32 v52, vcc_lo, v49, v52
	s_delay_alu instid0(VALU_DEP_2)
	v_add_co_ci_u32_e32 v53, vcc_lo, v50, v53, vcc_lo
	global_store_b64 v[52:53], v[23:24], off
	s_or_b32 exec_lo, exec_lo, s18
	s_and_saveexec_b32 s18, s15
	s_cbranch_execz .LBB29_230
.LBB29_297:
	v_sub_nc_u32_e32 v52, v45, v65
	v_mov_b32_e32 v53, 0
	s_delay_alu instid0(VALU_DEP_1) | instskip(NEXT) | instid1(VALU_DEP_1)
	v_lshlrev_b64 v[52:53], 3, v[52:53]
	v_add_co_u32 v52, vcc_lo, v49, v52
	s_delay_alu instid0(VALU_DEP_2)
	v_add_co_ci_u32_e32 v53, vcc_lo, v50, v53, vcc_lo
	global_store_b64 v[52:53], v[17:18], off
	s_or_b32 exec_lo, exec_lo, s18
	s_and_saveexec_b32 s18, s14
	s_cbranch_execz .LBB29_231
.LBB29_298:
	v_sub_nc_u32_e32 v52, v44, v65
	v_mov_b32_e32 v53, 0
	s_delay_alu instid0(VALU_DEP_1) | instskip(NEXT) | instid1(VALU_DEP_1)
	v_lshlrev_b64 v[52:53], 3, v[52:53]
	v_add_co_u32 v52, vcc_lo, v49, v52
	s_delay_alu instid0(VALU_DEP_2)
	v_add_co_ci_u32_e32 v53, vcc_lo, v50, v53, vcc_lo
	global_store_b64 v[52:53], v[19:20], off
	s_or_b32 exec_lo, exec_lo, s18
	s_and_saveexec_b32 s18, s11
	s_cbranch_execz .LBB29_232
.LBB29_299:
	v_sub_nc_u32_e32 v52, v43, v65
	v_mov_b32_e32 v53, 0
	s_delay_alu instid0(VALU_DEP_1) | instskip(NEXT) | instid1(VALU_DEP_1)
	v_lshlrev_b64 v[52:53], 3, v[52:53]
	v_add_co_u32 v52, vcc_lo, v49, v52
	s_delay_alu instid0(VALU_DEP_2)
	v_add_co_ci_u32_e32 v53, vcc_lo, v50, v53, vcc_lo
	global_store_b64 v[52:53], v[13:14], off
	s_or_b32 exec_lo, exec_lo, s18
	s_and_saveexec_b32 s18, s8
	s_cbranch_execz .LBB29_233
.LBB29_300:
	v_sub_nc_u32_e32 v52, v42, v65
	v_mov_b32_e32 v53, 0
	s_delay_alu instid0(VALU_DEP_1) | instskip(NEXT) | instid1(VALU_DEP_1)
	v_lshlrev_b64 v[52:53], 3, v[52:53]
	v_add_co_u32 v52, vcc_lo, v49, v52
	s_delay_alu instid0(VALU_DEP_2)
	v_add_co_ci_u32_e32 v53, vcc_lo, v50, v53, vcc_lo
	global_store_b64 v[52:53], v[15:16], off
	s_or_b32 exec_lo, exec_lo, s18
	s_and_saveexec_b32 s18, s7
	s_cbranch_execz .LBB29_234
.LBB29_301:
	v_sub_nc_u32_e32 v52, v41, v65
	v_mov_b32_e32 v53, 0
	s_delay_alu instid0(VALU_DEP_1) | instskip(NEXT) | instid1(VALU_DEP_1)
	v_lshlrev_b64 v[52:53], 3, v[52:53]
	v_add_co_u32 v52, vcc_lo, v49, v52
	s_delay_alu instid0(VALU_DEP_2)
	v_add_co_ci_u32_e32 v53, vcc_lo, v50, v53, vcc_lo
	global_store_b64 v[52:53], v[9:10], off
	s_or_b32 exec_lo, exec_lo, s18
	s_and_saveexec_b32 s18, s6
	s_cbranch_execz .LBB29_235
.LBB29_302:
	v_sub_nc_u32_e32 v52, v40, v65
	v_mov_b32_e32 v53, 0
	s_delay_alu instid0(VALU_DEP_1) | instskip(NEXT) | instid1(VALU_DEP_1)
	v_lshlrev_b64 v[52:53], 3, v[52:53]
	v_add_co_u32 v52, vcc_lo, v49, v52
	s_delay_alu instid0(VALU_DEP_2)
	v_add_co_ci_u32_e32 v53, vcc_lo, v50, v53, vcc_lo
	global_store_b64 v[52:53], v[11:12], off
	s_or_b32 exec_lo, exec_lo, s18
	s_and_saveexec_b32 s18, s5
	s_cbranch_execz .LBB29_236
.LBB29_303:
	v_sub_nc_u32_e32 v52, v39, v65
	v_mov_b32_e32 v53, 0
	s_delay_alu instid0(VALU_DEP_1) | instskip(NEXT) | instid1(VALU_DEP_1)
	v_lshlrev_b64 v[52:53], 3, v[52:53]
	v_add_co_u32 v52, vcc_lo, v49, v52
	s_delay_alu instid0(VALU_DEP_2)
	v_add_co_ci_u32_e32 v53, vcc_lo, v50, v53, vcc_lo
	global_store_b64 v[52:53], v[5:6], off
	s_or_b32 exec_lo, exec_lo, s18
	s_and_saveexec_b32 s18, s4
	s_cbranch_execz .LBB29_237
.LBB29_304:
	v_sub_nc_u32_e32 v52, v38, v65
	v_mov_b32_e32 v53, 0
	s_delay_alu instid0(VALU_DEP_1) | instskip(NEXT) | instid1(VALU_DEP_1)
	v_lshlrev_b64 v[52:53], 3, v[52:53]
	v_add_co_u32 v52, vcc_lo, v49, v52
	s_delay_alu instid0(VALU_DEP_2)
	v_add_co_ci_u32_e32 v53, vcc_lo, v50, v53, vcc_lo
	global_store_b64 v[52:53], v[7:8], off
	s_or_b32 exec_lo, exec_lo, s18
	s_and_saveexec_b32 s18, s3
	s_cbranch_execz .LBB29_238
.LBB29_305:
	v_sub_nc_u32_e32 v52, v37, v65
	v_mov_b32_e32 v53, 0
	s_delay_alu instid0(VALU_DEP_1) | instskip(NEXT) | instid1(VALU_DEP_1)
	v_lshlrev_b64 v[52:53], 3, v[52:53]
	v_add_co_u32 v52, vcc_lo, v49, v52
	s_delay_alu instid0(VALU_DEP_2)
	v_add_co_ci_u32_e32 v53, vcc_lo, v50, v53, vcc_lo
	global_store_b64 v[52:53], v[1:2], off
	s_or_b32 exec_lo, exec_lo, s18
	s_and_saveexec_b32 s18, s1
	s_cbranch_execnz .LBB29_239
	s_branch .LBB29_240
.LBB29_306:
	v_sub_nc_u32_e32 v51, v114, v65
	s_delay_alu instid0(VALU_DEP_1)
	v_lshlrev_b32_e32 v51, 3, v51
	ds_store_b64 v51, v[25:26]
	s_or_b32 exec_lo, exec_lo, s18
	s_and_saveexec_b32 s13, s12
	s_cbranch_execz .LBB29_244
.LBB29_307:
	v_sub_nc_u32_e32 v25, v46, v65
	s_delay_alu instid0(VALU_DEP_1)
	v_lshlrev_b32_e32 v25, 3, v25
	ds_store_b64 v25, v[27:28]
	s_or_b32 exec_lo, exec_lo, s13
	s_and_saveexec_b32 s12, s10
	s_cbranch_execz .LBB29_245
.LBB29_308:
	v_sub_nc_u32_e32 v25, v48, v65
	s_delay_alu instid0(VALU_DEP_1)
	v_lshlrev_b32_e32 v25, 3, v25
	ds_store_b64 v25, v[21:22]
	s_or_b32 exec_lo, exec_lo, s12
	s_and_saveexec_b32 s10, s9
	s_cbranch_execz .LBB29_246
.LBB29_309:
	v_sub_nc_u32_e32 v21, v47, v65
	s_delay_alu instid0(VALU_DEP_1)
	v_lshlrev_b32_e32 v21, 3, v21
	ds_store_b64 v21, v[23:24]
	s_or_b32 exec_lo, exec_lo, s10
	s_and_saveexec_b32 s9, s15
	s_cbranch_execz .LBB29_247
.LBB29_310:
	v_sub_nc_u32_e32 v21, v45, v65
	s_delay_alu instid0(VALU_DEP_1)
	v_lshlrev_b32_e32 v21, 3, v21
	ds_store_b64 v21, v[17:18]
	s_or_b32 exec_lo, exec_lo, s9
	s_and_saveexec_b32 s9, s14
	s_cbranch_execz .LBB29_248
.LBB29_311:
	v_sub_nc_u32_e32 v17, v44, v65
	s_delay_alu instid0(VALU_DEP_1)
	v_lshlrev_b32_e32 v17, 3, v17
	ds_store_b64 v17, v[19:20]
	s_or_b32 exec_lo, exec_lo, s9
	s_and_saveexec_b32 s9, s11
	s_cbranch_execz .LBB29_249
.LBB29_312:
	v_sub_nc_u32_e32 v17, v43, v65
	s_delay_alu instid0(VALU_DEP_1)
	v_lshlrev_b32_e32 v17, 3, v17
	ds_store_b64 v17, v[13:14]
	s_or_b32 exec_lo, exec_lo, s9
	s_and_saveexec_b32 s9, s8
	s_cbranch_execz .LBB29_250
.LBB29_313:
	v_sub_nc_u32_e32 v13, v42, v65
	s_delay_alu instid0(VALU_DEP_1)
	v_lshlrev_b32_e32 v13, 3, v13
	ds_store_b64 v13, v[15:16]
	s_or_b32 exec_lo, exec_lo, s9
	s_and_saveexec_b32 s8, s7
	s_cbranch_execz .LBB29_251
.LBB29_314:
	v_sub_nc_u32_e32 v13, v41, v65
	s_delay_alu instid0(VALU_DEP_1)
	v_lshlrev_b32_e32 v13, 3, v13
	ds_store_b64 v13, v[9:10]
	s_or_b32 exec_lo, exec_lo, s8
	s_and_saveexec_b32 s7, s6
	s_cbranch_execz .LBB29_252
.LBB29_315:
	v_sub_nc_u32_e32 v9, v40, v65
	s_delay_alu instid0(VALU_DEP_1)
	v_lshlrev_b32_e32 v9, 3, v9
	ds_store_b64 v9, v[11:12]
	s_or_b32 exec_lo, exec_lo, s7
	s_and_saveexec_b32 s6, s5
	s_cbranch_execz .LBB29_253
.LBB29_316:
	v_sub_nc_u32_e32 v9, v39, v65
	s_delay_alu instid0(VALU_DEP_1)
	v_lshlrev_b32_e32 v9, 3, v9
	ds_store_b64 v9, v[5:6]
	s_or_b32 exec_lo, exec_lo, s6
	s_and_saveexec_b32 s5, s4
	s_cbranch_execz .LBB29_254
.LBB29_317:
	v_sub_nc_u32_e32 v5, v38, v65
	s_delay_alu instid0(VALU_DEP_1)
	v_lshlrev_b32_e32 v5, 3, v5
	ds_store_b64 v5, v[7:8]
	s_or_b32 exec_lo, exec_lo, s5
	s_and_saveexec_b32 s4, s3
	s_cbranch_execz .LBB29_255
.LBB29_318:
	v_sub_nc_u32_e32 v5, v37, v65
	s_delay_alu instid0(VALU_DEP_1)
	v_lshlrev_b32_e32 v5, 3, v5
	ds_store_b64 v5, v[1:2]
	s_or_b32 exec_lo, exec_lo, s4
	s_and_saveexec_b32 s3, s1
	s_cbranch_execnz .LBB29_256
	s_branch .LBB29_257
.LBB29_319:
	v_sub_nc_u32_e32 v8, v114, v1
	v_mov_b32_e32 v9, 0
	s_delay_alu instid0(VALU_DEP_1) | instskip(NEXT) | instid1(VALU_DEP_1)
	v_lshlrev_b64 v[8:9], 3, v[8:9]
	v_add_co_u32 v8, vcc_lo, v6, v8
	s_delay_alu instid0(VALU_DEP_2)
	v_add_co_ci_u32_e32 v9, vcc_lo, v7, v9, vcc_lo
	global_store_b64 v[8:9], v[87:88], off
	s_or_b32 exec_lo, exec_lo, s17
	s_and_saveexec_b32 s17, s13
	s_cbranch_execz .LBB29_261
.LBB29_320:
	v_sub_nc_u32_e32 v8, v46, v1
	v_mov_b32_e32 v9, 0
	s_delay_alu instid0(VALU_DEP_1) | instskip(NEXT) | instid1(VALU_DEP_1)
	v_lshlrev_b64 v[8:9], 3, v[8:9]
	v_add_co_u32 v8, vcc_lo, v6, v8
	s_delay_alu instid0(VALU_DEP_2)
	v_add_co_ci_u32_e32 v9, vcc_lo, v7, v9, vcc_lo
	global_store_b64 v[8:9], v[89:90], off
	s_or_b32 exec_lo, exec_lo, s17
	s_and_saveexec_b32 s17, s12
	s_cbranch_execz .LBB29_262
.LBB29_321:
	v_sub_nc_u32_e32 v8, v48, v1
	v_mov_b32_e32 v9, 0
	s_delay_alu instid0(VALU_DEP_1) | instskip(NEXT) | instid1(VALU_DEP_1)
	v_lshlrev_b64 v[8:9], 3, v[8:9]
	v_add_co_u32 v8, vcc_lo, v6, v8
	s_delay_alu instid0(VALU_DEP_2)
	v_add_co_ci_u32_e32 v9, vcc_lo, v7, v9, vcc_lo
	global_store_b64 v[8:9], v[93:94], off
	s_or_b32 exec_lo, exec_lo, s17
	s_and_saveexec_b32 s17, s11
	s_cbranch_execz .LBB29_263
.LBB29_322:
	v_sub_nc_u32_e32 v8, v47, v1
	v_mov_b32_e32 v9, 0
	s_delay_alu instid0(VALU_DEP_1) | instskip(NEXT) | instid1(VALU_DEP_1)
	v_lshlrev_b64 v[8:9], 3, v[8:9]
	v_add_co_u32 v8, vcc_lo, v6, v8
	s_delay_alu instid0(VALU_DEP_2)
	v_add_co_ci_u32_e32 v9, vcc_lo, v7, v9, vcc_lo
	global_store_b64 v[8:9], v[91:92], off
	s_or_b32 exec_lo, exec_lo, s17
	s_and_saveexec_b32 s17, s10
	s_cbranch_execz .LBB29_264
.LBB29_323:
	v_sub_nc_u32_e32 v8, v45, v1
	v_mov_b32_e32 v9, 0
	s_delay_alu instid0(VALU_DEP_1) | instskip(NEXT) | instid1(VALU_DEP_1)
	v_lshlrev_b64 v[8:9], 3, v[8:9]
	v_add_co_u32 v8, vcc_lo, v6, v8
	s_delay_alu instid0(VALU_DEP_2)
	v_add_co_ci_u32_e32 v9, vcc_lo, v7, v9, vcc_lo
	global_store_b64 v[8:9], v[75:76], off
	s_or_b32 exec_lo, exec_lo, s17
	s_and_saveexec_b32 s17, s9
	s_cbranch_execz .LBB29_265
.LBB29_324:
	v_sub_nc_u32_e32 v8, v44, v1
	v_mov_b32_e32 v9, 0
	s_delay_alu instid0(VALU_DEP_1) | instskip(NEXT) | instid1(VALU_DEP_1)
	v_lshlrev_b64 v[8:9], 3, v[8:9]
	v_add_co_u32 v8, vcc_lo, v6, v8
	s_delay_alu instid0(VALU_DEP_2)
	v_add_co_ci_u32_e32 v9, vcc_lo, v7, v9, vcc_lo
	global_store_b64 v[8:9], v[77:78], off
	s_or_b32 exec_lo, exec_lo, s17
	s_and_saveexec_b32 s17, s8
	s_cbranch_execz .LBB29_266
.LBB29_325:
	v_sub_nc_u32_e32 v8, v43, v1
	v_mov_b32_e32 v9, 0
	s_delay_alu instid0(VALU_DEP_1) | instskip(NEXT) | instid1(VALU_DEP_1)
	v_lshlrev_b64 v[8:9], 3, v[8:9]
	v_add_co_u32 v8, vcc_lo, v6, v8
	s_delay_alu instid0(VALU_DEP_2)
	v_add_co_ci_u32_e32 v9, vcc_lo, v7, v9, vcc_lo
	global_store_b64 v[8:9], v[79:80], off
	s_or_b32 exec_lo, exec_lo, s17
	s_and_saveexec_b32 s17, s7
	s_cbranch_execz .LBB29_267
.LBB29_326:
	v_sub_nc_u32_e32 v8, v42, v1
	v_mov_b32_e32 v9, 0
	s_delay_alu instid0(VALU_DEP_1) | instskip(NEXT) | instid1(VALU_DEP_1)
	v_lshlrev_b64 v[8:9], 3, v[8:9]
	v_add_co_u32 v8, vcc_lo, v6, v8
	s_delay_alu instid0(VALU_DEP_2)
	v_add_co_ci_u32_e32 v9, vcc_lo, v7, v9, vcc_lo
	global_store_b64 v[8:9], v[83:84], off
	s_or_b32 exec_lo, exec_lo, s17
	s_and_saveexec_b32 s17, s6
	s_cbranch_execz .LBB29_268
.LBB29_327:
	v_sub_nc_u32_e32 v8, v41, v1
	v_mov_b32_e32 v9, 0
	s_delay_alu instid0(VALU_DEP_1) | instskip(NEXT) | instid1(VALU_DEP_1)
	v_lshlrev_b64 v[8:9], 3, v[8:9]
	v_add_co_u32 v8, vcc_lo, v6, v8
	s_delay_alu instid0(VALU_DEP_2)
	v_add_co_ci_u32_e32 v9, vcc_lo, v7, v9, vcc_lo
	global_store_b64 v[8:9], v[81:82], off
	s_or_b32 exec_lo, exec_lo, s17
	s_and_saveexec_b32 s17, s5
	s_cbranch_execz .LBB29_269
.LBB29_328:
	v_sub_nc_u32_e32 v8, v40, v1
	v_mov_b32_e32 v9, 0
	s_delay_alu instid0(VALU_DEP_1) | instskip(NEXT) | instid1(VALU_DEP_1)
	v_lshlrev_b64 v[8:9], 3, v[8:9]
	v_add_co_u32 v8, vcc_lo, v6, v8
	s_delay_alu instid0(VALU_DEP_2)
	v_add_co_ci_u32_e32 v9, vcc_lo, v7, v9, vcc_lo
	global_store_b64 v[8:9], v[67:68], off
	s_or_b32 exec_lo, exec_lo, s17
	s_and_saveexec_b32 s17, s4
	s_cbranch_execz .LBB29_270
.LBB29_329:
	v_sub_nc_u32_e32 v8, v39, v1
	v_mov_b32_e32 v9, 0
	s_delay_alu instid0(VALU_DEP_1) | instskip(NEXT) | instid1(VALU_DEP_1)
	v_lshlrev_b64 v[8:9], 3, v[8:9]
	v_add_co_u32 v8, vcc_lo, v6, v8
	s_delay_alu instid0(VALU_DEP_2)
	v_add_co_ci_u32_e32 v9, vcc_lo, v7, v9, vcc_lo
	global_store_b64 v[8:9], v[69:70], off
	s_or_b32 exec_lo, exec_lo, s17
	s_and_saveexec_b32 s17, s3
	s_cbranch_execz .LBB29_271
.LBB29_330:
	v_sub_nc_u32_e32 v8, v38, v1
	v_mov_b32_e32 v9, 0
	s_delay_alu instid0(VALU_DEP_1) | instskip(NEXT) | instid1(VALU_DEP_1)
	v_lshlrev_b64 v[8:9], 3, v[8:9]
	v_add_co_u32 v8, vcc_lo, v6, v8
	s_delay_alu instid0(VALU_DEP_2)
	v_add_co_ci_u32_e32 v9, vcc_lo, v7, v9, vcc_lo
	global_store_b64 v[8:9], v[71:72], off
	s_or_b32 exec_lo, exec_lo, s17
	s_and_saveexec_b32 s17, s2
	s_cbranch_execz .LBB29_272
.LBB29_331:
	v_sub_nc_u32_e32 v8, v37, v1
	v_mov_b32_e32 v9, 0
	s_delay_alu instid0(VALU_DEP_1) | instskip(NEXT) | instid1(VALU_DEP_1)
	v_lshlrev_b64 v[8:9], 3, v[8:9]
	v_add_co_u32 v8, vcc_lo, v6, v8
	s_delay_alu instid0(VALU_DEP_2)
	v_add_co_ci_u32_e32 v9, vcc_lo, v7, v9, vcc_lo
	global_store_b64 v[8:9], v[73:74], off
	s_or_b32 exec_lo, exec_lo, s17
	s_and_saveexec_b32 s17, s1
	s_cbranch_execnz .LBB29_273
	s_branch .LBB29_274
.LBB29_332:
	v_sub_nc_u32_e32 v2, v114, v1
	s_delay_alu instid0(VALU_DEP_1)
	v_lshlrev_b32_e32 v2, 3, v2
	ds_store_b64 v2, v[87:88]
	s_or_b32 exec_lo, exec_lo, s17
	s_and_saveexec_b32 s14, s13
	s_cbranch_execz .LBB29_278
.LBB29_333:
	v_sub_nc_u32_e32 v2, v46, v1
	s_delay_alu instid0(VALU_DEP_1)
	v_lshlrev_b32_e32 v2, 3, v2
	ds_store_b64 v2, v[89:90]
	s_or_b32 exec_lo, exec_lo, s14
	s_and_saveexec_b32 s13, s12
	s_cbranch_execz .LBB29_279
.LBB29_334:
	v_sub_nc_u32_e32 v2, v48, v1
	s_delay_alu instid0(VALU_DEP_1)
	v_lshlrev_b32_e32 v2, 3, v2
	ds_store_b64 v2, v[93:94]
	s_or_b32 exec_lo, exec_lo, s13
	s_and_saveexec_b32 s12, s11
	s_cbranch_execz .LBB29_280
.LBB29_335:
	v_sub_nc_u32_e32 v2, v47, v1
	s_delay_alu instid0(VALU_DEP_1)
	v_lshlrev_b32_e32 v2, 3, v2
	ds_store_b64 v2, v[91:92]
	s_or_b32 exec_lo, exec_lo, s12
	s_and_saveexec_b32 s11, s10
	s_cbranch_execz .LBB29_281
.LBB29_336:
	v_sub_nc_u32_e32 v2, v45, v1
	s_delay_alu instid0(VALU_DEP_1)
	v_lshlrev_b32_e32 v2, 3, v2
	ds_store_b64 v2, v[75:76]
	s_or_b32 exec_lo, exec_lo, s11
	s_and_saveexec_b32 s10, s9
	s_cbranch_execz .LBB29_282
.LBB29_337:
	v_sub_nc_u32_e32 v2, v44, v1
	s_delay_alu instid0(VALU_DEP_1)
	v_lshlrev_b32_e32 v2, 3, v2
	ds_store_b64 v2, v[77:78]
	s_or_b32 exec_lo, exec_lo, s10
	s_and_saveexec_b32 s9, s8
	s_cbranch_execz .LBB29_283
.LBB29_338:
	v_sub_nc_u32_e32 v2, v43, v1
	s_delay_alu instid0(VALU_DEP_1)
	v_lshlrev_b32_e32 v2, 3, v2
	ds_store_b64 v2, v[79:80]
	s_or_b32 exec_lo, exec_lo, s9
	s_and_saveexec_b32 s8, s7
	s_cbranch_execz .LBB29_284
.LBB29_339:
	v_sub_nc_u32_e32 v2, v42, v1
	s_delay_alu instid0(VALU_DEP_1)
	v_lshlrev_b32_e32 v2, 3, v2
	ds_store_b64 v2, v[83:84]
	s_or_b32 exec_lo, exec_lo, s8
	s_and_saveexec_b32 s7, s6
	s_cbranch_execz .LBB29_285
.LBB29_340:
	v_sub_nc_u32_e32 v2, v41, v1
	s_delay_alu instid0(VALU_DEP_1)
	v_lshlrev_b32_e32 v2, 3, v2
	ds_store_b64 v2, v[81:82]
	s_or_b32 exec_lo, exec_lo, s7
	s_and_saveexec_b32 s6, s5
	s_cbranch_execz .LBB29_286
.LBB29_341:
	v_sub_nc_u32_e32 v2, v40, v1
	s_delay_alu instid0(VALU_DEP_1)
	v_lshlrev_b32_e32 v2, 3, v2
	ds_store_b64 v2, v[67:68]
	s_or_b32 exec_lo, exec_lo, s6
	s_and_saveexec_b32 s5, s4
	s_cbranch_execz .LBB29_287
.LBB29_342:
	v_sub_nc_u32_e32 v2, v39, v1
	s_delay_alu instid0(VALU_DEP_1)
	v_lshlrev_b32_e32 v2, 3, v2
	ds_store_b64 v2, v[69:70]
	s_or_b32 exec_lo, exec_lo, s5
	s_and_saveexec_b32 s4, s3
	s_cbranch_execz .LBB29_288
.LBB29_343:
	v_sub_nc_u32_e32 v2, v38, v1
	s_delay_alu instid0(VALU_DEP_1)
	v_lshlrev_b32_e32 v2, 3, v2
	ds_store_b64 v2, v[71:72]
	s_or_b32 exec_lo, exec_lo, s4
	s_and_saveexec_b32 s3, s2
	s_cbranch_execz .LBB29_289
.LBB29_344:
	v_sub_nc_u32_e32 v2, v37, v1
	s_delay_alu instid0(VALU_DEP_1)
	v_lshlrev_b32_e32 v2, 3, v2
	ds_store_b64 v2, v[73:74]
	s_or_b32 exec_lo, exec_lo, s3
	s_and_saveexec_b32 s2, s1
	s_cbranch_execnz .LBB29_290
	s_branch .LBB29_291
	.section	.rodata,"a",@progbits
	.p2align	6, 0x0
	.amdhsa_kernel _ZN7rocprim17ROCPRIM_400000_NS6detail17trampoline_kernelINS0_14default_configENS1_29reduce_by_key_config_selectorIddN6thrust23THRUST_200600_302600_NS4plusIdEEEEZZNS1_33reduce_by_key_impl_wrapped_configILNS1_25lookback_scan_determinismE0ES3_S9_NS6_6detail15normal_iteratorINS6_10device_ptrIdEEEESG_SG_SG_PmS8_NS6_8equal_toIdEEEE10hipError_tPvRmT2_T3_mT4_T5_T6_T7_T8_P12ihipStream_tbENKUlT_T0_E_clISt17integral_constantIbLb1EES11_EEDaSW_SX_EUlSW_E_NS1_11comp_targetILNS1_3genE9ELNS1_11target_archE1100ELNS1_3gpuE3ELNS1_3repE0EEENS1_30default_config_static_selectorELNS0_4arch9wavefront6targetE0EEEvT1_
		.amdhsa_group_segment_fixed_size 30720
		.amdhsa_private_segment_fixed_size 0
		.amdhsa_kernarg_size 136
		.amdhsa_user_sgpr_count 15
		.amdhsa_user_sgpr_dispatch_ptr 0
		.amdhsa_user_sgpr_queue_ptr 0
		.amdhsa_user_sgpr_kernarg_segment_ptr 1
		.amdhsa_user_sgpr_dispatch_id 0
		.amdhsa_user_sgpr_private_segment_size 0
		.amdhsa_wavefront_size32 1
		.amdhsa_uses_dynamic_stack 0
		.amdhsa_enable_private_segment 0
		.amdhsa_system_sgpr_workgroup_id_x 1
		.amdhsa_system_sgpr_workgroup_id_y 0
		.amdhsa_system_sgpr_workgroup_id_z 0
		.amdhsa_system_sgpr_workgroup_info 0
		.amdhsa_system_vgpr_workitem_id 0
		.amdhsa_next_free_vgpr 120
		.amdhsa_next_free_sgpr 56
		.amdhsa_reserve_vcc 1
		.amdhsa_float_round_mode_32 0
		.amdhsa_float_round_mode_16_64 0
		.amdhsa_float_denorm_mode_32 3
		.amdhsa_float_denorm_mode_16_64 3
		.amdhsa_dx10_clamp 1
		.amdhsa_ieee_mode 1
		.amdhsa_fp16_overflow 0
		.amdhsa_workgroup_processor_mode 1
		.amdhsa_memory_ordered 1
		.amdhsa_forward_progress 0
		.amdhsa_shared_vgpr_count 0
		.amdhsa_exception_fp_ieee_invalid_op 0
		.amdhsa_exception_fp_denorm_src 0
		.amdhsa_exception_fp_ieee_div_zero 0
		.amdhsa_exception_fp_ieee_overflow 0
		.amdhsa_exception_fp_ieee_underflow 0
		.amdhsa_exception_fp_ieee_inexact 0
		.amdhsa_exception_int_div_zero 0
	.end_amdhsa_kernel
	.section	.text._ZN7rocprim17ROCPRIM_400000_NS6detail17trampoline_kernelINS0_14default_configENS1_29reduce_by_key_config_selectorIddN6thrust23THRUST_200600_302600_NS4plusIdEEEEZZNS1_33reduce_by_key_impl_wrapped_configILNS1_25lookback_scan_determinismE0ES3_S9_NS6_6detail15normal_iteratorINS6_10device_ptrIdEEEESG_SG_SG_PmS8_NS6_8equal_toIdEEEE10hipError_tPvRmT2_T3_mT4_T5_T6_T7_T8_P12ihipStream_tbENKUlT_T0_E_clISt17integral_constantIbLb1EES11_EEDaSW_SX_EUlSW_E_NS1_11comp_targetILNS1_3genE9ELNS1_11target_archE1100ELNS1_3gpuE3ELNS1_3repE0EEENS1_30default_config_static_selectorELNS0_4arch9wavefront6targetE0EEEvT1_,"axG",@progbits,_ZN7rocprim17ROCPRIM_400000_NS6detail17trampoline_kernelINS0_14default_configENS1_29reduce_by_key_config_selectorIddN6thrust23THRUST_200600_302600_NS4plusIdEEEEZZNS1_33reduce_by_key_impl_wrapped_configILNS1_25lookback_scan_determinismE0ES3_S9_NS6_6detail15normal_iteratorINS6_10device_ptrIdEEEESG_SG_SG_PmS8_NS6_8equal_toIdEEEE10hipError_tPvRmT2_T3_mT4_T5_T6_T7_T8_P12ihipStream_tbENKUlT_T0_E_clISt17integral_constantIbLb1EES11_EEDaSW_SX_EUlSW_E_NS1_11comp_targetILNS1_3genE9ELNS1_11target_archE1100ELNS1_3gpuE3ELNS1_3repE0EEENS1_30default_config_static_selectorELNS0_4arch9wavefront6targetE0EEEvT1_,comdat
.Lfunc_end29:
	.size	_ZN7rocprim17ROCPRIM_400000_NS6detail17trampoline_kernelINS0_14default_configENS1_29reduce_by_key_config_selectorIddN6thrust23THRUST_200600_302600_NS4plusIdEEEEZZNS1_33reduce_by_key_impl_wrapped_configILNS1_25lookback_scan_determinismE0ES3_S9_NS6_6detail15normal_iteratorINS6_10device_ptrIdEEEESG_SG_SG_PmS8_NS6_8equal_toIdEEEE10hipError_tPvRmT2_T3_mT4_T5_T6_T7_T8_P12ihipStream_tbENKUlT_T0_E_clISt17integral_constantIbLb1EES11_EEDaSW_SX_EUlSW_E_NS1_11comp_targetILNS1_3genE9ELNS1_11target_archE1100ELNS1_3gpuE3ELNS1_3repE0EEENS1_30default_config_static_selectorELNS0_4arch9wavefront6targetE0EEEvT1_, .Lfunc_end29-_ZN7rocprim17ROCPRIM_400000_NS6detail17trampoline_kernelINS0_14default_configENS1_29reduce_by_key_config_selectorIddN6thrust23THRUST_200600_302600_NS4plusIdEEEEZZNS1_33reduce_by_key_impl_wrapped_configILNS1_25lookback_scan_determinismE0ES3_S9_NS6_6detail15normal_iteratorINS6_10device_ptrIdEEEESG_SG_SG_PmS8_NS6_8equal_toIdEEEE10hipError_tPvRmT2_T3_mT4_T5_T6_T7_T8_P12ihipStream_tbENKUlT_T0_E_clISt17integral_constantIbLb1EES11_EEDaSW_SX_EUlSW_E_NS1_11comp_targetILNS1_3genE9ELNS1_11target_archE1100ELNS1_3gpuE3ELNS1_3repE0EEENS1_30default_config_static_selectorELNS0_4arch9wavefront6targetE0EEEvT1_
                                        ; -- End function
	.section	.AMDGPU.csdata,"",@progbits
; Kernel info:
; codeLenInByte = 18632
; NumSgprs: 58
; NumVgprs: 120
; ScratchSize: 0
; MemoryBound: 0
; FloatMode: 240
; IeeeMode: 1
; LDSByteSize: 30720 bytes/workgroup (compile time only)
; SGPRBlocks: 7
; VGPRBlocks: 14
; NumSGPRsForWavesPerEU: 58
; NumVGPRsForWavesPerEU: 120
; Occupancy: 8
; WaveLimiterHint : 1
; COMPUTE_PGM_RSRC2:SCRATCH_EN: 0
; COMPUTE_PGM_RSRC2:USER_SGPR: 15
; COMPUTE_PGM_RSRC2:TRAP_HANDLER: 0
; COMPUTE_PGM_RSRC2:TGID_X_EN: 1
; COMPUTE_PGM_RSRC2:TGID_Y_EN: 0
; COMPUTE_PGM_RSRC2:TGID_Z_EN: 0
; COMPUTE_PGM_RSRC2:TIDIG_COMP_CNT: 0
	.section	.text._ZN7rocprim17ROCPRIM_400000_NS6detail17trampoline_kernelINS0_14default_configENS1_29reduce_by_key_config_selectorIddN6thrust23THRUST_200600_302600_NS4plusIdEEEEZZNS1_33reduce_by_key_impl_wrapped_configILNS1_25lookback_scan_determinismE0ES3_S9_NS6_6detail15normal_iteratorINS6_10device_ptrIdEEEESG_SG_SG_PmS8_NS6_8equal_toIdEEEE10hipError_tPvRmT2_T3_mT4_T5_T6_T7_T8_P12ihipStream_tbENKUlT_T0_E_clISt17integral_constantIbLb1EES11_EEDaSW_SX_EUlSW_E_NS1_11comp_targetILNS1_3genE8ELNS1_11target_archE1030ELNS1_3gpuE2ELNS1_3repE0EEENS1_30default_config_static_selectorELNS0_4arch9wavefront6targetE0EEEvT1_,"axG",@progbits,_ZN7rocprim17ROCPRIM_400000_NS6detail17trampoline_kernelINS0_14default_configENS1_29reduce_by_key_config_selectorIddN6thrust23THRUST_200600_302600_NS4plusIdEEEEZZNS1_33reduce_by_key_impl_wrapped_configILNS1_25lookback_scan_determinismE0ES3_S9_NS6_6detail15normal_iteratorINS6_10device_ptrIdEEEESG_SG_SG_PmS8_NS6_8equal_toIdEEEE10hipError_tPvRmT2_T3_mT4_T5_T6_T7_T8_P12ihipStream_tbENKUlT_T0_E_clISt17integral_constantIbLb1EES11_EEDaSW_SX_EUlSW_E_NS1_11comp_targetILNS1_3genE8ELNS1_11target_archE1030ELNS1_3gpuE2ELNS1_3repE0EEENS1_30default_config_static_selectorELNS0_4arch9wavefront6targetE0EEEvT1_,comdat
	.protected	_ZN7rocprim17ROCPRIM_400000_NS6detail17trampoline_kernelINS0_14default_configENS1_29reduce_by_key_config_selectorIddN6thrust23THRUST_200600_302600_NS4plusIdEEEEZZNS1_33reduce_by_key_impl_wrapped_configILNS1_25lookback_scan_determinismE0ES3_S9_NS6_6detail15normal_iteratorINS6_10device_ptrIdEEEESG_SG_SG_PmS8_NS6_8equal_toIdEEEE10hipError_tPvRmT2_T3_mT4_T5_T6_T7_T8_P12ihipStream_tbENKUlT_T0_E_clISt17integral_constantIbLb1EES11_EEDaSW_SX_EUlSW_E_NS1_11comp_targetILNS1_3genE8ELNS1_11target_archE1030ELNS1_3gpuE2ELNS1_3repE0EEENS1_30default_config_static_selectorELNS0_4arch9wavefront6targetE0EEEvT1_ ; -- Begin function _ZN7rocprim17ROCPRIM_400000_NS6detail17trampoline_kernelINS0_14default_configENS1_29reduce_by_key_config_selectorIddN6thrust23THRUST_200600_302600_NS4plusIdEEEEZZNS1_33reduce_by_key_impl_wrapped_configILNS1_25lookback_scan_determinismE0ES3_S9_NS6_6detail15normal_iteratorINS6_10device_ptrIdEEEESG_SG_SG_PmS8_NS6_8equal_toIdEEEE10hipError_tPvRmT2_T3_mT4_T5_T6_T7_T8_P12ihipStream_tbENKUlT_T0_E_clISt17integral_constantIbLb1EES11_EEDaSW_SX_EUlSW_E_NS1_11comp_targetILNS1_3genE8ELNS1_11target_archE1030ELNS1_3gpuE2ELNS1_3repE0EEENS1_30default_config_static_selectorELNS0_4arch9wavefront6targetE0EEEvT1_
	.globl	_ZN7rocprim17ROCPRIM_400000_NS6detail17trampoline_kernelINS0_14default_configENS1_29reduce_by_key_config_selectorIddN6thrust23THRUST_200600_302600_NS4plusIdEEEEZZNS1_33reduce_by_key_impl_wrapped_configILNS1_25lookback_scan_determinismE0ES3_S9_NS6_6detail15normal_iteratorINS6_10device_ptrIdEEEESG_SG_SG_PmS8_NS6_8equal_toIdEEEE10hipError_tPvRmT2_T3_mT4_T5_T6_T7_T8_P12ihipStream_tbENKUlT_T0_E_clISt17integral_constantIbLb1EES11_EEDaSW_SX_EUlSW_E_NS1_11comp_targetILNS1_3genE8ELNS1_11target_archE1030ELNS1_3gpuE2ELNS1_3repE0EEENS1_30default_config_static_selectorELNS0_4arch9wavefront6targetE0EEEvT1_
	.p2align	8
	.type	_ZN7rocprim17ROCPRIM_400000_NS6detail17trampoline_kernelINS0_14default_configENS1_29reduce_by_key_config_selectorIddN6thrust23THRUST_200600_302600_NS4plusIdEEEEZZNS1_33reduce_by_key_impl_wrapped_configILNS1_25lookback_scan_determinismE0ES3_S9_NS6_6detail15normal_iteratorINS6_10device_ptrIdEEEESG_SG_SG_PmS8_NS6_8equal_toIdEEEE10hipError_tPvRmT2_T3_mT4_T5_T6_T7_T8_P12ihipStream_tbENKUlT_T0_E_clISt17integral_constantIbLb1EES11_EEDaSW_SX_EUlSW_E_NS1_11comp_targetILNS1_3genE8ELNS1_11target_archE1030ELNS1_3gpuE2ELNS1_3repE0EEENS1_30default_config_static_selectorELNS0_4arch9wavefront6targetE0EEEvT1_,@function
_ZN7rocprim17ROCPRIM_400000_NS6detail17trampoline_kernelINS0_14default_configENS1_29reduce_by_key_config_selectorIddN6thrust23THRUST_200600_302600_NS4plusIdEEEEZZNS1_33reduce_by_key_impl_wrapped_configILNS1_25lookback_scan_determinismE0ES3_S9_NS6_6detail15normal_iteratorINS6_10device_ptrIdEEEESG_SG_SG_PmS8_NS6_8equal_toIdEEEE10hipError_tPvRmT2_T3_mT4_T5_T6_T7_T8_P12ihipStream_tbENKUlT_T0_E_clISt17integral_constantIbLb1EES11_EEDaSW_SX_EUlSW_E_NS1_11comp_targetILNS1_3genE8ELNS1_11target_archE1030ELNS1_3gpuE2ELNS1_3repE0EEENS1_30default_config_static_selectorELNS0_4arch9wavefront6targetE0EEEvT1_: ; @_ZN7rocprim17ROCPRIM_400000_NS6detail17trampoline_kernelINS0_14default_configENS1_29reduce_by_key_config_selectorIddN6thrust23THRUST_200600_302600_NS4plusIdEEEEZZNS1_33reduce_by_key_impl_wrapped_configILNS1_25lookback_scan_determinismE0ES3_S9_NS6_6detail15normal_iteratorINS6_10device_ptrIdEEEESG_SG_SG_PmS8_NS6_8equal_toIdEEEE10hipError_tPvRmT2_T3_mT4_T5_T6_T7_T8_P12ihipStream_tbENKUlT_T0_E_clISt17integral_constantIbLb1EES11_EEDaSW_SX_EUlSW_E_NS1_11comp_targetILNS1_3genE8ELNS1_11target_archE1030ELNS1_3gpuE2ELNS1_3repE0EEENS1_30default_config_static_selectorELNS0_4arch9wavefront6targetE0EEEvT1_
; %bb.0:
	.section	.rodata,"a",@progbits
	.p2align	6, 0x0
	.amdhsa_kernel _ZN7rocprim17ROCPRIM_400000_NS6detail17trampoline_kernelINS0_14default_configENS1_29reduce_by_key_config_selectorIddN6thrust23THRUST_200600_302600_NS4plusIdEEEEZZNS1_33reduce_by_key_impl_wrapped_configILNS1_25lookback_scan_determinismE0ES3_S9_NS6_6detail15normal_iteratorINS6_10device_ptrIdEEEESG_SG_SG_PmS8_NS6_8equal_toIdEEEE10hipError_tPvRmT2_T3_mT4_T5_T6_T7_T8_P12ihipStream_tbENKUlT_T0_E_clISt17integral_constantIbLb1EES11_EEDaSW_SX_EUlSW_E_NS1_11comp_targetILNS1_3genE8ELNS1_11target_archE1030ELNS1_3gpuE2ELNS1_3repE0EEENS1_30default_config_static_selectorELNS0_4arch9wavefront6targetE0EEEvT1_
		.amdhsa_group_segment_fixed_size 0
		.amdhsa_private_segment_fixed_size 0
		.amdhsa_kernarg_size 136
		.amdhsa_user_sgpr_count 15
		.amdhsa_user_sgpr_dispatch_ptr 0
		.amdhsa_user_sgpr_queue_ptr 0
		.amdhsa_user_sgpr_kernarg_segment_ptr 1
		.amdhsa_user_sgpr_dispatch_id 0
		.amdhsa_user_sgpr_private_segment_size 0
		.amdhsa_wavefront_size32 1
		.amdhsa_uses_dynamic_stack 0
		.amdhsa_enable_private_segment 0
		.amdhsa_system_sgpr_workgroup_id_x 1
		.amdhsa_system_sgpr_workgroup_id_y 0
		.amdhsa_system_sgpr_workgroup_id_z 0
		.amdhsa_system_sgpr_workgroup_info 0
		.amdhsa_system_vgpr_workitem_id 0
		.amdhsa_next_free_vgpr 1
		.amdhsa_next_free_sgpr 1
		.amdhsa_reserve_vcc 0
		.amdhsa_float_round_mode_32 0
		.amdhsa_float_round_mode_16_64 0
		.amdhsa_float_denorm_mode_32 3
		.amdhsa_float_denorm_mode_16_64 3
		.amdhsa_dx10_clamp 1
		.amdhsa_ieee_mode 1
		.amdhsa_fp16_overflow 0
		.amdhsa_workgroup_processor_mode 1
		.amdhsa_memory_ordered 1
		.amdhsa_forward_progress 0
		.amdhsa_shared_vgpr_count 0
		.amdhsa_exception_fp_ieee_invalid_op 0
		.amdhsa_exception_fp_denorm_src 0
		.amdhsa_exception_fp_ieee_div_zero 0
		.amdhsa_exception_fp_ieee_overflow 0
		.amdhsa_exception_fp_ieee_underflow 0
		.amdhsa_exception_fp_ieee_inexact 0
		.amdhsa_exception_int_div_zero 0
	.end_amdhsa_kernel
	.section	.text._ZN7rocprim17ROCPRIM_400000_NS6detail17trampoline_kernelINS0_14default_configENS1_29reduce_by_key_config_selectorIddN6thrust23THRUST_200600_302600_NS4plusIdEEEEZZNS1_33reduce_by_key_impl_wrapped_configILNS1_25lookback_scan_determinismE0ES3_S9_NS6_6detail15normal_iteratorINS6_10device_ptrIdEEEESG_SG_SG_PmS8_NS6_8equal_toIdEEEE10hipError_tPvRmT2_T3_mT4_T5_T6_T7_T8_P12ihipStream_tbENKUlT_T0_E_clISt17integral_constantIbLb1EES11_EEDaSW_SX_EUlSW_E_NS1_11comp_targetILNS1_3genE8ELNS1_11target_archE1030ELNS1_3gpuE2ELNS1_3repE0EEENS1_30default_config_static_selectorELNS0_4arch9wavefront6targetE0EEEvT1_,"axG",@progbits,_ZN7rocprim17ROCPRIM_400000_NS6detail17trampoline_kernelINS0_14default_configENS1_29reduce_by_key_config_selectorIddN6thrust23THRUST_200600_302600_NS4plusIdEEEEZZNS1_33reduce_by_key_impl_wrapped_configILNS1_25lookback_scan_determinismE0ES3_S9_NS6_6detail15normal_iteratorINS6_10device_ptrIdEEEESG_SG_SG_PmS8_NS6_8equal_toIdEEEE10hipError_tPvRmT2_T3_mT4_T5_T6_T7_T8_P12ihipStream_tbENKUlT_T0_E_clISt17integral_constantIbLb1EES11_EEDaSW_SX_EUlSW_E_NS1_11comp_targetILNS1_3genE8ELNS1_11target_archE1030ELNS1_3gpuE2ELNS1_3repE0EEENS1_30default_config_static_selectorELNS0_4arch9wavefront6targetE0EEEvT1_,comdat
.Lfunc_end30:
	.size	_ZN7rocprim17ROCPRIM_400000_NS6detail17trampoline_kernelINS0_14default_configENS1_29reduce_by_key_config_selectorIddN6thrust23THRUST_200600_302600_NS4plusIdEEEEZZNS1_33reduce_by_key_impl_wrapped_configILNS1_25lookback_scan_determinismE0ES3_S9_NS6_6detail15normal_iteratorINS6_10device_ptrIdEEEESG_SG_SG_PmS8_NS6_8equal_toIdEEEE10hipError_tPvRmT2_T3_mT4_T5_T6_T7_T8_P12ihipStream_tbENKUlT_T0_E_clISt17integral_constantIbLb1EES11_EEDaSW_SX_EUlSW_E_NS1_11comp_targetILNS1_3genE8ELNS1_11target_archE1030ELNS1_3gpuE2ELNS1_3repE0EEENS1_30default_config_static_selectorELNS0_4arch9wavefront6targetE0EEEvT1_, .Lfunc_end30-_ZN7rocprim17ROCPRIM_400000_NS6detail17trampoline_kernelINS0_14default_configENS1_29reduce_by_key_config_selectorIddN6thrust23THRUST_200600_302600_NS4plusIdEEEEZZNS1_33reduce_by_key_impl_wrapped_configILNS1_25lookback_scan_determinismE0ES3_S9_NS6_6detail15normal_iteratorINS6_10device_ptrIdEEEESG_SG_SG_PmS8_NS6_8equal_toIdEEEE10hipError_tPvRmT2_T3_mT4_T5_T6_T7_T8_P12ihipStream_tbENKUlT_T0_E_clISt17integral_constantIbLb1EES11_EEDaSW_SX_EUlSW_E_NS1_11comp_targetILNS1_3genE8ELNS1_11target_archE1030ELNS1_3gpuE2ELNS1_3repE0EEENS1_30default_config_static_selectorELNS0_4arch9wavefront6targetE0EEEvT1_
                                        ; -- End function
	.section	.AMDGPU.csdata,"",@progbits
; Kernel info:
; codeLenInByte = 0
; NumSgprs: 0
; NumVgprs: 0
; ScratchSize: 0
; MemoryBound: 0
; FloatMode: 240
; IeeeMode: 1
; LDSByteSize: 0 bytes/workgroup (compile time only)
; SGPRBlocks: 0
; VGPRBlocks: 0
; NumSGPRsForWavesPerEU: 1
; NumVGPRsForWavesPerEU: 1
; Occupancy: 16
; WaveLimiterHint : 0
; COMPUTE_PGM_RSRC2:SCRATCH_EN: 0
; COMPUTE_PGM_RSRC2:USER_SGPR: 15
; COMPUTE_PGM_RSRC2:TRAP_HANDLER: 0
; COMPUTE_PGM_RSRC2:TGID_X_EN: 1
; COMPUTE_PGM_RSRC2:TGID_Y_EN: 0
; COMPUTE_PGM_RSRC2:TGID_Z_EN: 0
; COMPUTE_PGM_RSRC2:TIDIG_COMP_CNT: 0
	.section	.text._ZN7rocprim17ROCPRIM_400000_NS6detail25reduce_by_key_init_kernelINS1_19lookback_scan_stateINS0_5tupleIJjdEEELb1ELb0EEEdNS1_16block_id_wrapperIjLb0EEEEEvT_jbjPmPT0_T1_,"axG",@progbits,_ZN7rocprim17ROCPRIM_400000_NS6detail25reduce_by_key_init_kernelINS1_19lookback_scan_stateINS0_5tupleIJjdEEELb1ELb0EEEdNS1_16block_id_wrapperIjLb0EEEEEvT_jbjPmPT0_T1_,comdat
	.protected	_ZN7rocprim17ROCPRIM_400000_NS6detail25reduce_by_key_init_kernelINS1_19lookback_scan_stateINS0_5tupleIJjdEEELb1ELb0EEEdNS1_16block_id_wrapperIjLb0EEEEEvT_jbjPmPT0_T1_ ; -- Begin function _ZN7rocprim17ROCPRIM_400000_NS6detail25reduce_by_key_init_kernelINS1_19lookback_scan_stateINS0_5tupleIJjdEEELb1ELb0EEEdNS1_16block_id_wrapperIjLb0EEEEEvT_jbjPmPT0_T1_
	.globl	_ZN7rocprim17ROCPRIM_400000_NS6detail25reduce_by_key_init_kernelINS1_19lookback_scan_stateINS0_5tupleIJjdEEELb1ELb0EEEdNS1_16block_id_wrapperIjLb0EEEEEvT_jbjPmPT0_T1_
	.p2align	8
	.type	_ZN7rocprim17ROCPRIM_400000_NS6detail25reduce_by_key_init_kernelINS1_19lookback_scan_stateINS0_5tupleIJjdEEELb1ELb0EEEdNS1_16block_id_wrapperIjLb0EEEEEvT_jbjPmPT0_T1_,@function
_ZN7rocprim17ROCPRIM_400000_NS6detail25reduce_by_key_init_kernelINS1_19lookback_scan_stateINS0_5tupleIJjdEEELb1ELb0EEEdNS1_16block_id_wrapperIjLb0EEEEEvT_jbjPmPT0_T1_: ; @_ZN7rocprim17ROCPRIM_400000_NS6detail25reduce_by_key_init_kernelINS1_19lookback_scan_stateINS0_5tupleIJjdEEELb1ELb0EEEdNS1_16block_id_wrapperIjLb0EEEEEvT_jbjPmPT0_T1_
; %bb.0:
	s_clause 0x2
	s_load_b32 s2, s[0:1], 0x4c
	s_load_b256 s[4:11], s[0:1], 0x18
	s_load_b64 s[12:13], s[0:1], 0x10
	s_waitcnt lgkmcnt(0)
	s_and_b32 s2, s2, 0xffff
	s_delay_alu instid0(SALU_CYCLE_1) | instskip(SKIP_1) | instid1(SALU_CYCLE_1)
	v_mad_u64_u32 v[1:2], null, s15, s2, v[0:1]
	s_and_b32 s2, s5, 1
	s_cmp_eq_u32 s2, 0
	s_mov_b32 s2, -1
	s_cbranch_scc1 .LBB31_7
; %bb.1:
	s_and_not1_b32 vcc_lo, exec_lo, s2
	s_cbranch_vccz .LBB31_17
.LBB31_2:
	s_mov_b32 s0, exec_lo
	v_cmpx_gt_u32_e64 s4, v1
	s_cbranch_execz .LBB31_4
.LBB31_3:
	v_add_nc_u32_e32 v0, 32, v1
	v_mov_b32_e32 v2, 0
	global_store_b8 v0, v2, s[12:13]
.LBB31_4:
	s_or_b32 exec_lo, exec_lo, s0
	s_delay_alu instid0(SALU_CYCLE_1)
	s_mov_b32 s0, exec_lo
	v_cmpx_gt_u32_e32 32, v1
	s_cbranch_execz .LBB31_6
; %bb.5:
	v_mov_b32_e32 v0, 0xff
	global_store_b8 v1, v0, s[12:13]
.LBB31_6:
	s_nop 0
	s_sendmsg sendmsg(MSG_DEALLOC_VGPRS)
	s_endpgm
.LBB31_7:
	s_cmp_lt_u32 s6, s4
	s_mov_b32 s5, exec_lo
	s_cselect_b32 s2, s6, 0
	s_delay_alu instid0(SALU_CYCLE_1)
	v_cmpx_eq_u32_e64 s2, v1
	s_cbranch_execz .LBB31_16
; %bb.8:
	s_add_i32 s6, s6, 32
	s_load_b128 s[0:3], s[0:1], 0x0
	v_mov_b32_e32 v0, s6
	s_add_u32 s14, s12, s6
	s_addc_u32 s15, s13, 0
	s_mov_b32 s7, 0
	global_load_u8 v0, v0, s[12:13] glc
	s_waitcnt vmcnt(0)
	v_cmp_ne_u16_e32 vcc_lo, 0, v0
	v_readfirstlane_b32 s16, v0
	s_cbranch_vccz .LBB31_10
; %bb.9:
	s_delay_alu instid0(VALU_DEP_1)
	s_and_b32 s14, 0xffff, s16
	s_branch .LBB31_15
.LBB31_10:
	v_mov_b32_e32 v0, 0
	s_mov_b32 s16, 1
.LBB31_11:                              ; =>This Loop Header: Depth=1
                                        ;     Child Loop BB31_12 Depth 2
	s_delay_alu instid0(SALU_CYCLE_1)
	s_max_u32 s17, s16, 1
.LBB31_12:                              ;   Parent Loop BB31_11 Depth=1
                                        ; =>  This Inner Loop Header: Depth=2
	s_delay_alu instid0(SALU_CYCLE_1)
	s_add_i32 s17, s17, -1
	s_sleep 1
	s_cmp_eq_u32 s17, 0
	s_cbranch_scc0 .LBB31_12
; %bb.13:                               ;   in Loop: Header=BB31_11 Depth=1
	global_load_u8 v2, v0, s[14:15] glc
	s_cmp_lt_u32 s16, 32
	s_cselect_b32 s17, -1, 0
	s_delay_alu instid0(SALU_CYCLE_1)
	s_cmp_lg_u32 s17, 0
	s_addc_u32 s16, s16, 0
	s_waitcnt vmcnt(0)
	v_cmp_ne_u16_e32 vcc_lo, 0, v2
	v_readfirstlane_b32 s17, v2
	s_cbranch_vccz .LBB31_11
; %bb.14:
	s_delay_alu instid0(VALU_DEP_1)
	s_and_b32 s14, 0xffff, s17
.LBB31_15:
	s_delay_alu instid0(SALU_CYCLE_1)
	s_cmp_eq_u32 s14, 1
	v_mov_b32_e32 v0, 0
	s_waitcnt lgkmcnt(0)
	s_cselect_b32 s3, s1, s3
	s_cselect_b32 s2, s0, s2
	s_lshl_b64 s[0:1], s[6:7], 4
	buffer_gl1_inv
	buffer_gl0_inv
	s_add_u32 s0, s2, s0
	s_addc_u32 s1, s3, s1
	s_clause 0x2
	global_load_b64 v[2:3], v0, s[8:9]
	global_load_b32 v6, v0, s[0:1]
	global_load_b64 v[4:5], v0, s[0:1] offset:8
	s_waitcnt vmcnt(1)
	v_add_co_u32 v2, vcc_lo, v2, v6
	v_add_co_ci_u32_e32 v3, vcc_lo, 0, v3, vcc_lo
	global_store_b64 v0, v[2:3], s[8:9]
	s_waitcnt vmcnt(0)
	global_store_b64 v0, v[4:5], s[10:11]
.LBB31_16:
	s_or_b32 exec_lo, exec_lo, s5
	s_cbranch_execnz .LBB31_2
.LBB31_17:
	s_delay_alu instid0(VALU_DEP_1) | instskip(SKIP_2) | instid1(SALU_CYCLE_1)
	v_cmp_eq_u32_e32 vcc_lo, 0, v1
	s_cmp_lg_u64 s[8:9], 0
	s_cselect_b32 s0, -1, 0
	s_and_b32 s1, s0, vcc_lo
	s_delay_alu instid0(SALU_CYCLE_1)
	s_and_saveexec_b32 s0, s1
	s_cbranch_execz .LBB31_19
; %bb.18:
	v_mov_b32_e32 v2, 0
	s_delay_alu instid0(VALU_DEP_1)
	v_mov_b32_e32 v3, v2
	global_store_b64 v2, v[2:3], s[8:9]
.LBB31_19:
	s_or_b32 exec_lo, exec_lo, s0
	s_delay_alu instid0(SALU_CYCLE_1)
	s_mov_b32 s0, exec_lo
	v_cmpx_gt_u32_e64 s4, v1
	s_cbranch_execnz .LBB31_3
	s_branch .LBB31_4
	.section	.rodata,"a",@progbits
	.p2align	6, 0x0
	.amdhsa_kernel _ZN7rocprim17ROCPRIM_400000_NS6detail25reduce_by_key_init_kernelINS1_19lookback_scan_stateINS0_5tupleIJjdEEELb1ELb0EEEdNS1_16block_id_wrapperIjLb0EEEEEvT_jbjPmPT0_T1_
		.amdhsa_group_segment_fixed_size 0
		.amdhsa_private_segment_fixed_size 0
		.amdhsa_kernarg_size 320
		.amdhsa_user_sgpr_count 15
		.amdhsa_user_sgpr_dispatch_ptr 0
		.amdhsa_user_sgpr_queue_ptr 0
		.amdhsa_user_sgpr_kernarg_segment_ptr 1
		.amdhsa_user_sgpr_dispatch_id 0
		.amdhsa_user_sgpr_private_segment_size 0
		.amdhsa_wavefront_size32 1
		.amdhsa_uses_dynamic_stack 0
		.amdhsa_enable_private_segment 0
		.amdhsa_system_sgpr_workgroup_id_x 1
		.amdhsa_system_sgpr_workgroup_id_y 0
		.amdhsa_system_sgpr_workgroup_id_z 0
		.amdhsa_system_sgpr_workgroup_info 0
		.amdhsa_system_vgpr_workitem_id 0
		.amdhsa_next_free_vgpr 7
		.amdhsa_next_free_sgpr 18
		.amdhsa_reserve_vcc 1
		.amdhsa_float_round_mode_32 0
		.amdhsa_float_round_mode_16_64 0
		.amdhsa_float_denorm_mode_32 3
		.amdhsa_float_denorm_mode_16_64 3
		.amdhsa_dx10_clamp 1
		.amdhsa_ieee_mode 1
		.amdhsa_fp16_overflow 0
		.amdhsa_workgroup_processor_mode 1
		.amdhsa_memory_ordered 1
		.amdhsa_forward_progress 0
		.amdhsa_shared_vgpr_count 0
		.amdhsa_exception_fp_ieee_invalid_op 0
		.amdhsa_exception_fp_denorm_src 0
		.amdhsa_exception_fp_ieee_div_zero 0
		.amdhsa_exception_fp_ieee_overflow 0
		.amdhsa_exception_fp_ieee_underflow 0
		.amdhsa_exception_fp_ieee_inexact 0
		.amdhsa_exception_int_div_zero 0
	.end_amdhsa_kernel
	.section	.text._ZN7rocprim17ROCPRIM_400000_NS6detail25reduce_by_key_init_kernelINS1_19lookback_scan_stateINS0_5tupleIJjdEEELb1ELb0EEEdNS1_16block_id_wrapperIjLb0EEEEEvT_jbjPmPT0_T1_,"axG",@progbits,_ZN7rocprim17ROCPRIM_400000_NS6detail25reduce_by_key_init_kernelINS1_19lookback_scan_stateINS0_5tupleIJjdEEELb1ELb0EEEdNS1_16block_id_wrapperIjLb0EEEEEvT_jbjPmPT0_T1_,comdat
.Lfunc_end31:
	.size	_ZN7rocprim17ROCPRIM_400000_NS6detail25reduce_by_key_init_kernelINS1_19lookback_scan_stateINS0_5tupleIJjdEEELb1ELb0EEEdNS1_16block_id_wrapperIjLb0EEEEEvT_jbjPmPT0_T1_, .Lfunc_end31-_ZN7rocprim17ROCPRIM_400000_NS6detail25reduce_by_key_init_kernelINS1_19lookback_scan_stateINS0_5tupleIJjdEEELb1ELb0EEEdNS1_16block_id_wrapperIjLb0EEEEEvT_jbjPmPT0_T1_
                                        ; -- End function
	.section	.AMDGPU.csdata,"",@progbits
; Kernel info:
; codeLenInByte = 548
; NumSgprs: 20
; NumVgprs: 7
; ScratchSize: 0
; MemoryBound: 0
; FloatMode: 240
; IeeeMode: 1
; LDSByteSize: 0 bytes/workgroup (compile time only)
; SGPRBlocks: 2
; VGPRBlocks: 0
; NumSGPRsForWavesPerEU: 20
; NumVGPRsForWavesPerEU: 7
; Occupancy: 16
; WaveLimiterHint : 0
; COMPUTE_PGM_RSRC2:SCRATCH_EN: 0
; COMPUTE_PGM_RSRC2:USER_SGPR: 15
; COMPUTE_PGM_RSRC2:TRAP_HANDLER: 0
; COMPUTE_PGM_RSRC2:TGID_X_EN: 1
; COMPUTE_PGM_RSRC2:TGID_Y_EN: 0
; COMPUTE_PGM_RSRC2:TGID_Z_EN: 0
; COMPUTE_PGM_RSRC2:TIDIG_COMP_CNT: 0
	.section	.text._ZN7rocprim17ROCPRIM_400000_NS6detail17trampoline_kernelINS0_14default_configENS1_29reduce_by_key_config_selectorIddN6thrust23THRUST_200600_302600_NS4plusIdEEEEZZNS1_33reduce_by_key_impl_wrapped_configILNS1_25lookback_scan_determinismE0ES3_S9_NS6_6detail15normal_iteratorINS6_10device_ptrIdEEEESG_SG_SG_PmS8_NS6_8equal_toIdEEEE10hipError_tPvRmT2_T3_mT4_T5_T6_T7_T8_P12ihipStream_tbENKUlT_T0_E_clISt17integral_constantIbLb1EES10_IbLb0EEEEDaSW_SX_EUlSW_E_NS1_11comp_targetILNS1_3genE0ELNS1_11target_archE4294967295ELNS1_3gpuE0ELNS1_3repE0EEENS1_30default_config_static_selectorELNS0_4arch9wavefront6targetE0EEEvT1_,"axG",@progbits,_ZN7rocprim17ROCPRIM_400000_NS6detail17trampoline_kernelINS0_14default_configENS1_29reduce_by_key_config_selectorIddN6thrust23THRUST_200600_302600_NS4plusIdEEEEZZNS1_33reduce_by_key_impl_wrapped_configILNS1_25lookback_scan_determinismE0ES3_S9_NS6_6detail15normal_iteratorINS6_10device_ptrIdEEEESG_SG_SG_PmS8_NS6_8equal_toIdEEEE10hipError_tPvRmT2_T3_mT4_T5_T6_T7_T8_P12ihipStream_tbENKUlT_T0_E_clISt17integral_constantIbLb1EES10_IbLb0EEEEDaSW_SX_EUlSW_E_NS1_11comp_targetILNS1_3genE0ELNS1_11target_archE4294967295ELNS1_3gpuE0ELNS1_3repE0EEENS1_30default_config_static_selectorELNS0_4arch9wavefront6targetE0EEEvT1_,comdat
	.protected	_ZN7rocprim17ROCPRIM_400000_NS6detail17trampoline_kernelINS0_14default_configENS1_29reduce_by_key_config_selectorIddN6thrust23THRUST_200600_302600_NS4plusIdEEEEZZNS1_33reduce_by_key_impl_wrapped_configILNS1_25lookback_scan_determinismE0ES3_S9_NS6_6detail15normal_iteratorINS6_10device_ptrIdEEEESG_SG_SG_PmS8_NS6_8equal_toIdEEEE10hipError_tPvRmT2_T3_mT4_T5_T6_T7_T8_P12ihipStream_tbENKUlT_T0_E_clISt17integral_constantIbLb1EES10_IbLb0EEEEDaSW_SX_EUlSW_E_NS1_11comp_targetILNS1_3genE0ELNS1_11target_archE4294967295ELNS1_3gpuE0ELNS1_3repE0EEENS1_30default_config_static_selectorELNS0_4arch9wavefront6targetE0EEEvT1_ ; -- Begin function _ZN7rocprim17ROCPRIM_400000_NS6detail17trampoline_kernelINS0_14default_configENS1_29reduce_by_key_config_selectorIddN6thrust23THRUST_200600_302600_NS4plusIdEEEEZZNS1_33reduce_by_key_impl_wrapped_configILNS1_25lookback_scan_determinismE0ES3_S9_NS6_6detail15normal_iteratorINS6_10device_ptrIdEEEESG_SG_SG_PmS8_NS6_8equal_toIdEEEE10hipError_tPvRmT2_T3_mT4_T5_T6_T7_T8_P12ihipStream_tbENKUlT_T0_E_clISt17integral_constantIbLb1EES10_IbLb0EEEEDaSW_SX_EUlSW_E_NS1_11comp_targetILNS1_3genE0ELNS1_11target_archE4294967295ELNS1_3gpuE0ELNS1_3repE0EEENS1_30default_config_static_selectorELNS0_4arch9wavefront6targetE0EEEvT1_
	.globl	_ZN7rocprim17ROCPRIM_400000_NS6detail17trampoline_kernelINS0_14default_configENS1_29reduce_by_key_config_selectorIddN6thrust23THRUST_200600_302600_NS4plusIdEEEEZZNS1_33reduce_by_key_impl_wrapped_configILNS1_25lookback_scan_determinismE0ES3_S9_NS6_6detail15normal_iteratorINS6_10device_ptrIdEEEESG_SG_SG_PmS8_NS6_8equal_toIdEEEE10hipError_tPvRmT2_T3_mT4_T5_T6_T7_T8_P12ihipStream_tbENKUlT_T0_E_clISt17integral_constantIbLb1EES10_IbLb0EEEEDaSW_SX_EUlSW_E_NS1_11comp_targetILNS1_3genE0ELNS1_11target_archE4294967295ELNS1_3gpuE0ELNS1_3repE0EEENS1_30default_config_static_selectorELNS0_4arch9wavefront6targetE0EEEvT1_
	.p2align	8
	.type	_ZN7rocprim17ROCPRIM_400000_NS6detail17trampoline_kernelINS0_14default_configENS1_29reduce_by_key_config_selectorIddN6thrust23THRUST_200600_302600_NS4plusIdEEEEZZNS1_33reduce_by_key_impl_wrapped_configILNS1_25lookback_scan_determinismE0ES3_S9_NS6_6detail15normal_iteratorINS6_10device_ptrIdEEEESG_SG_SG_PmS8_NS6_8equal_toIdEEEE10hipError_tPvRmT2_T3_mT4_T5_T6_T7_T8_P12ihipStream_tbENKUlT_T0_E_clISt17integral_constantIbLb1EES10_IbLb0EEEEDaSW_SX_EUlSW_E_NS1_11comp_targetILNS1_3genE0ELNS1_11target_archE4294967295ELNS1_3gpuE0ELNS1_3repE0EEENS1_30default_config_static_selectorELNS0_4arch9wavefront6targetE0EEEvT1_,@function
_ZN7rocprim17ROCPRIM_400000_NS6detail17trampoline_kernelINS0_14default_configENS1_29reduce_by_key_config_selectorIddN6thrust23THRUST_200600_302600_NS4plusIdEEEEZZNS1_33reduce_by_key_impl_wrapped_configILNS1_25lookback_scan_determinismE0ES3_S9_NS6_6detail15normal_iteratorINS6_10device_ptrIdEEEESG_SG_SG_PmS8_NS6_8equal_toIdEEEE10hipError_tPvRmT2_T3_mT4_T5_T6_T7_T8_P12ihipStream_tbENKUlT_T0_E_clISt17integral_constantIbLb1EES10_IbLb0EEEEDaSW_SX_EUlSW_E_NS1_11comp_targetILNS1_3genE0ELNS1_11target_archE4294967295ELNS1_3gpuE0ELNS1_3repE0EEENS1_30default_config_static_selectorELNS0_4arch9wavefront6targetE0EEEvT1_: ; @_ZN7rocprim17ROCPRIM_400000_NS6detail17trampoline_kernelINS0_14default_configENS1_29reduce_by_key_config_selectorIddN6thrust23THRUST_200600_302600_NS4plusIdEEEEZZNS1_33reduce_by_key_impl_wrapped_configILNS1_25lookback_scan_determinismE0ES3_S9_NS6_6detail15normal_iteratorINS6_10device_ptrIdEEEESG_SG_SG_PmS8_NS6_8equal_toIdEEEE10hipError_tPvRmT2_T3_mT4_T5_T6_T7_T8_P12ihipStream_tbENKUlT_T0_E_clISt17integral_constantIbLb1EES10_IbLb0EEEEDaSW_SX_EUlSW_E_NS1_11comp_targetILNS1_3genE0ELNS1_11target_archE4294967295ELNS1_3gpuE0ELNS1_3repE0EEENS1_30default_config_static_selectorELNS0_4arch9wavefront6targetE0EEEvT1_
; %bb.0:
	.section	.rodata,"a",@progbits
	.p2align	6, 0x0
	.amdhsa_kernel _ZN7rocprim17ROCPRIM_400000_NS6detail17trampoline_kernelINS0_14default_configENS1_29reduce_by_key_config_selectorIddN6thrust23THRUST_200600_302600_NS4plusIdEEEEZZNS1_33reduce_by_key_impl_wrapped_configILNS1_25lookback_scan_determinismE0ES3_S9_NS6_6detail15normal_iteratorINS6_10device_ptrIdEEEESG_SG_SG_PmS8_NS6_8equal_toIdEEEE10hipError_tPvRmT2_T3_mT4_T5_T6_T7_T8_P12ihipStream_tbENKUlT_T0_E_clISt17integral_constantIbLb1EES10_IbLb0EEEEDaSW_SX_EUlSW_E_NS1_11comp_targetILNS1_3genE0ELNS1_11target_archE4294967295ELNS1_3gpuE0ELNS1_3repE0EEENS1_30default_config_static_selectorELNS0_4arch9wavefront6targetE0EEEvT1_
		.amdhsa_group_segment_fixed_size 0
		.amdhsa_private_segment_fixed_size 0
		.amdhsa_kernarg_size 136
		.amdhsa_user_sgpr_count 15
		.amdhsa_user_sgpr_dispatch_ptr 0
		.amdhsa_user_sgpr_queue_ptr 0
		.amdhsa_user_sgpr_kernarg_segment_ptr 1
		.amdhsa_user_sgpr_dispatch_id 0
		.amdhsa_user_sgpr_private_segment_size 0
		.amdhsa_wavefront_size32 1
		.amdhsa_uses_dynamic_stack 0
		.amdhsa_enable_private_segment 0
		.amdhsa_system_sgpr_workgroup_id_x 1
		.amdhsa_system_sgpr_workgroup_id_y 0
		.amdhsa_system_sgpr_workgroup_id_z 0
		.amdhsa_system_sgpr_workgroup_info 0
		.amdhsa_system_vgpr_workitem_id 0
		.amdhsa_next_free_vgpr 1
		.amdhsa_next_free_sgpr 1
		.amdhsa_reserve_vcc 0
		.amdhsa_float_round_mode_32 0
		.amdhsa_float_round_mode_16_64 0
		.amdhsa_float_denorm_mode_32 3
		.amdhsa_float_denorm_mode_16_64 3
		.amdhsa_dx10_clamp 1
		.amdhsa_ieee_mode 1
		.amdhsa_fp16_overflow 0
		.amdhsa_workgroup_processor_mode 1
		.amdhsa_memory_ordered 1
		.amdhsa_forward_progress 0
		.amdhsa_shared_vgpr_count 0
		.amdhsa_exception_fp_ieee_invalid_op 0
		.amdhsa_exception_fp_denorm_src 0
		.amdhsa_exception_fp_ieee_div_zero 0
		.amdhsa_exception_fp_ieee_overflow 0
		.amdhsa_exception_fp_ieee_underflow 0
		.amdhsa_exception_fp_ieee_inexact 0
		.amdhsa_exception_int_div_zero 0
	.end_amdhsa_kernel
	.section	.text._ZN7rocprim17ROCPRIM_400000_NS6detail17trampoline_kernelINS0_14default_configENS1_29reduce_by_key_config_selectorIddN6thrust23THRUST_200600_302600_NS4plusIdEEEEZZNS1_33reduce_by_key_impl_wrapped_configILNS1_25lookback_scan_determinismE0ES3_S9_NS6_6detail15normal_iteratorINS6_10device_ptrIdEEEESG_SG_SG_PmS8_NS6_8equal_toIdEEEE10hipError_tPvRmT2_T3_mT4_T5_T6_T7_T8_P12ihipStream_tbENKUlT_T0_E_clISt17integral_constantIbLb1EES10_IbLb0EEEEDaSW_SX_EUlSW_E_NS1_11comp_targetILNS1_3genE0ELNS1_11target_archE4294967295ELNS1_3gpuE0ELNS1_3repE0EEENS1_30default_config_static_selectorELNS0_4arch9wavefront6targetE0EEEvT1_,"axG",@progbits,_ZN7rocprim17ROCPRIM_400000_NS6detail17trampoline_kernelINS0_14default_configENS1_29reduce_by_key_config_selectorIddN6thrust23THRUST_200600_302600_NS4plusIdEEEEZZNS1_33reduce_by_key_impl_wrapped_configILNS1_25lookback_scan_determinismE0ES3_S9_NS6_6detail15normal_iteratorINS6_10device_ptrIdEEEESG_SG_SG_PmS8_NS6_8equal_toIdEEEE10hipError_tPvRmT2_T3_mT4_T5_T6_T7_T8_P12ihipStream_tbENKUlT_T0_E_clISt17integral_constantIbLb1EES10_IbLb0EEEEDaSW_SX_EUlSW_E_NS1_11comp_targetILNS1_3genE0ELNS1_11target_archE4294967295ELNS1_3gpuE0ELNS1_3repE0EEENS1_30default_config_static_selectorELNS0_4arch9wavefront6targetE0EEEvT1_,comdat
.Lfunc_end32:
	.size	_ZN7rocprim17ROCPRIM_400000_NS6detail17trampoline_kernelINS0_14default_configENS1_29reduce_by_key_config_selectorIddN6thrust23THRUST_200600_302600_NS4plusIdEEEEZZNS1_33reduce_by_key_impl_wrapped_configILNS1_25lookback_scan_determinismE0ES3_S9_NS6_6detail15normal_iteratorINS6_10device_ptrIdEEEESG_SG_SG_PmS8_NS6_8equal_toIdEEEE10hipError_tPvRmT2_T3_mT4_T5_T6_T7_T8_P12ihipStream_tbENKUlT_T0_E_clISt17integral_constantIbLb1EES10_IbLb0EEEEDaSW_SX_EUlSW_E_NS1_11comp_targetILNS1_3genE0ELNS1_11target_archE4294967295ELNS1_3gpuE0ELNS1_3repE0EEENS1_30default_config_static_selectorELNS0_4arch9wavefront6targetE0EEEvT1_, .Lfunc_end32-_ZN7rocprim17ROCPRIM_400000_NS6detail17trampoline_kernelINS0_14default_configENS1_29reduce_by_key_config_selectorIddN6thrust23THRUST_200600_302600_NS4plusIdEEEEZZNS1_33reduce_by_key_impl_wrapped_configILNS1_25lookback_scan_determinismE0ES3_S9_NS6_6detail15normal_iteratorINS6_10device_ptrIdEEEESG_SG_SG_PmS8_NS6_8equal_toIdEEEE10hipError_tPvRmT2_T3_mT4_T5_T6_T7_T8_P12ihipStream_tbENKUlT_T0_E_clISt17integral_constantIbLb1EES10_IbLb0EEEEDaSW_SX_EUlSW_E_NS1_11comp_targetILNS1_3genE0ELNS1_11target_archE4294967295ELNS1_3gpuE0ELNS1_3repE0EEENS1_30default_config_static_selectorELNS0_4arch9wavefront6targetE0EEEvT1_
                                        ; -- End function
	.section	.AMDGPU.csdata,"",@progbits
; Kernel info:
; codeLenInByte = 0
; NumSgprs: 0
; NumVgprs: 0
; ScratchSize: 0
; MemoryBound: 0
; FloatMode: 240
; IeeeMode: 1
; LDSByteSize: 0 bytes/workgroup (compile time only)
; SGPRBlocks: 0
; VGPRBlocks: 0
; NumSGPRsForWavesPerEU: 1
; NumVGPRsForWavesPerEU: 1
; Occupancy: 16
; WaveLimiterHint : 0
; COMPUTE_PGM_RSRC2:SCRATCH_EN: 0
; COMPUTE_PGM_RSRC2:USER_SGPR: 15
; COMPUTE_PGM_RSRC2:TRAP_HANDLER: 0
; COMPUTE_PGM_RSRC2:TGID_X_EN: 1
; COMPUTE_PGM_RSRC2:TGID_Y_EN: 0
; COMPUTE_PGM_RSRC2:TGID_Z_EN: 0
; COMPUTE_PGM_RSRC2:TIDIG_COMP_CNT: 0
	.section	.text._ZN7rocprim17ROCPRIM_400000_NS6detail17trampoline_kernelINS0_14default_configENS1_29reduce_by_key_config_selectorIddN6thrust23THRUST_200600_302600_NS4plusIdEEEEZZNS1_33reduce_by_key_impl_wrapped_configILNS1_25lookback_scan_determinismE0ES3_S9_NS6_6detail15normal_iteratorINS6_10device_ptrIdEEEESG_SG_SG_PmS8_NS6_8equal_toIdEEEE10hipError_tPvRmT2_T3_mT4_T5_T6_T7_T8_P12ihipStream_tbENKUlT_T0_E_clISt17integral_constantIbLb1EES10_IbLb0EEEEDaSW_SX_EUlSW_E_NS1_11comp_targetILNS1_3genE5ELNS1_11target_archE942ELNS1_3gpuE9ELNS1_3repE0EEENS1_30default_config_static_selectorELNS0_4arch9wavefront6targetE0EEEvT1_,"axG",@progbits,_ZN7rocprim17ROCPRIM_400000_NS6detail17trampoline_kernelINS0_14default_configENS1_29reduce_by_key_config_selectorIddN6thrust23THRUST_200600_302600_NS4plusIdEEEEZZNS1_33reduce_by_key_impl_wrapped_configILNS1_25lookback_scan_determinismE0ES3_S9_NS6_6detail15normal_iteratorINS6_10device_ptrIdEEEESG_SG_SG_PmS8_NS6_8equal_toIdEEEE10hipError_tPvRmT2_T3_mT4_T5_T6_T7_T8_P12ihipStream_tbENKUlT_T0_E_clISt17integral_constantIbLb1EES10_IbLb0EEEEDaSW_SX_EUlSW_E_NS1_11comp_targetILNS1_3genE5ELNS1_11target_archE942ELNS1_3gpuE9ELNS1_3repE0EEENS1_30default_config_static_selectorELNS0_4arch9wavefront6targetE0EEEvT1_,comdat
	.protected	_ZN7rocprim17ROCPRIM_400000_NS6detail17trampoline_kernelINS0_14default_configENS1_29reduce_by_key_config_selectorIddN6thrust23THRUST_200600_302600_NS4plusIdEEEEZZNS1_33reduce_by_key_impl_wrapped_configILNS1_25lookback_scan_determinismE0ES3_S9_NS6_6detail15normal_iteratorINS6_10device_ptrIdEEEESG_SG_SG_PmS8_NS6_8equal_toIdEEEE10hipError_tPvRmT2_T3_mT4_T5_T6_T7_T8_P12ihipStream_tbENKUlT_T0_E_clISt17integral_constantIbLb1EES10_IbLb0EEEEDaSW_SX_EUlSW_E_NS1_11comp_targetILNS1_3genE5ELNS1_11target_archE942ELNS1_3gpuE9ELNS1_3repE0EEENS1_30default_config_static_selectorELNS0_4arch9wavefront6targetE0EEEvT1_ ; -- Begin function _ZN7rocprim17ROCPRIM_400000_NS6detail17trampoline_kernelINS0_14default_configENS1_29reduce_by_key_config_selectorIddN6thrust23THRUST_200600_302600_NS4plusIdEEEEZZNS1_33reduce_by_key_impl_wrapped_configILNS1_25lookback_scan_determinismE0ES3_S9_NS6_6detail15normal_iteratorINS6_10device_ptrIdEEEESG_SG_SG_PmS8_NS6_8equal_toIdEEEE10hipError_tPvRmT2_T3_mT4_T5_T6_T7_T8_P12ihipStream_tbENKUlT_T0_E_clISt17integral_constantIbLb1EES10_IbLb0EEEEDaSW_SX_EUlSW_E_NS1_11comp_targetILNS1_3genE5ELNS1_11target_archE942ELNS1_3gpuE9ELNS1_3repE0EEENS1_30default_config_static_selectorELNS0_4arch9wavefront6targetE0EEEvT1_
	.globl	_ZN7rocprim17ROCPRIM_400000_NS6detail17trampoline_kernelINS0_14default_configENS1_29reduce_by_key_config_selectorIddN6thrust23THRUST_200600_302600_NS4plusIdEEEEZZNS1_33reduce_by_key_impl_wrapped_configILNS1_25lookback_scan_determinismE0ES3_S9_NS6_6detail15normal_iteratorINS6_10device_ptrIdEEEESG_SG_SG_PmS8_NS6_8equal_toIdEEEE10hipError_tPvRmT2_T3_mT4_T5_T6_T7_T8_P12ihipStream_tbENKUlT_T0_E_clISt17integral_constantIbLb1EES10_IbLb0EEEEDaSW_SX_EUlSW_E_NS1_11comp_targetILNS1_3genE5ELNS1_11target_archE942ELNS1_3gpuE9ELNS1_3repE0EEENS1_30default_config_static_selectorELNS0_4arch9wavefront6targetE0EEEvT1_
	.p2align	8
	.type	_ZN7rocprim17ROCPRIM_400000_NS6detail17trampoline_kernelINS0_14default_configENS1_29reduce_by_key_config_selectorIddN6thrust23THRUST_200600_302600_NS4plusIdEEEEZZNS1_33reduce_by_key_impl_wrapped_configILNS1_25lookback_scan_determinismE0ES3_S9_NS6_6detail15normal_iteratorINS6_10device_ptrIdEEEESG_SG_SG_PmS8_NS6_8equal_toIdEEEE10hipError_tPvRmT2_T3_mT4_T5_T6_T7_T8_P12ihipStream_tbENKUlT_T0_E_clISt17integral_constantIbLb1EES10_IbLb0EEEEDaSW_SX_EUlSW_E_NS1_11comp_targetILNS1_3genE5ELNS1_11target_archE942ELNS1_3gpuE9ELNS1_3repE0EEENS1_30default_config_static_selectorELNS0_4arch9wavefront6targetE0EEEvT1_,@function
_ZN7rocprim17ROCPRIM_400000_NS6detail17trampoline_kernelINS0_14default_configENS1_29reduce_by_key_config_selectorIddN6thrust23THRUST_200600_302600_NS4plusIdEEEEZZNS1_33reduce_by_key_impl_wrapped_configILNS1_25lookback_scan_determinismE0ES3_S9_NS6_6detail15normal_iteratorINS6_10device_ptrIdEEEESG_SG_SG_PmS8_NS6_8equal_toIdEEEE10hipError_tPvRmT2_T3_mT4_T5_T6_T7_T8_P12ihipStream_tbENKUlT_T0_E_clISt17integral_constantIbLb1EES10_IbLb0EEEEDaSW_SX_EUlSW_E_NS1_11comp_targetILNS1_3genE5ELNS1_11target_archE942ELNS1_3gpuE9ELNS1_3repE0EEENS1_30default_config_static_selectorELNS0_4arch9wavefront6targetE0EEEvT1_: ; @_ZN7rocprim17ROCPRIM_400000_NS6detail17trampoline_kernelINS0_14default_configENS1_29reduce_by_key_config_selectorIddN6thrust23THRUST_200600_302600_NS4plusIdEEEEZZNS1_33reduce_by_key_impl_wrapped_configILNS1_25lookback_scan_determinismE0ES3_S9_NS6_6detail15normal_iteratorINS6_10device_ptrIdEEEESG_SG_SG_PmS8_NS6_8equal_toIdEEEE10hipError_tPvRmT2_T3_mT4_T5_T6_T7_T8_P12ihipStream_tbENKUlT_T0_E_clISt17integral_constantIbLb1EES10_IbLb0EEEEDaSW_SX_EUlSW_E_NS1_11comp_targetILNS1_3genE5ELNS1_11target_archE942ELNS1_3gpuE9ELNS1_3repE0EEENS1_30default_config_static_selectorELNS0_4arch9wavefront6targetE0EEEvT1_
; %bb.0:
	.section	.rodata,"a",@progbits
	.p2align	6, 0x0
	.amdhsa_kernel _ZN7rocprim17ROCPRIM_400000_NS6detail17trampoline_kernelINS0_14default_configENS1_29reduce_by_key_config_selectorIddN6thrust23THRUST_200600_302600_NS4plusIdEEEEZZNS1_33reduce_by_key_impl_wrapped_configILNS1_25lookback_scan_determinismE0ES3_S9_NS6_6detail15normal_iteratorINS6_10device_ptrIdEEEESG_SG_SG_PmS8_NS6_8equal_toIdEEEE10hipError_tPvRmT2_T3_mT4_T5_T6_T7_T8_P12ihipStream_tbENKUlT_T0_E_clISt17integral_constantIbLb1EES10_IbLb0EEEEDaSW_SX_EUlSW_E_NS1_11comp_targetILNS1_3genE5ELNS1_11target_archE942ELNS1_3gpuE9ELNS1_3repE0EEENS1_30default_config_static_selectorELNS0_4arch9wavefront6targetE0EEEvT1_
		.amdhsa_group_segment_fixed_size 0
		.amdhsa_private_segment_fixed_size 0
		.amdhsa_kernarg_size 136
		.amdhsa_user_sgpr_count 15
		.amdhsa_user_sgpr_dispatch_ptr 0
		.amdhsa_user_sgpr_queue_ptr 0
		.amdhsa_user_sgpr_kernarg_segment_ptr 1
		.amdhsa_user_sgpr_dispatch_id 0
		.amdhsa_user_sgpr_private_segment_size 0
		.amdhsa_wavefront_size32 1
		.amdhsa_uses_dynamic_stack 0
		.amdhsa_enable_private_segment 0
		.amdhsa_system_sgpr_workgroup_id_x 1
		.amdhsa_system_sgpr_workgroup_id_y 0
		.amdhsa_system_sgpr_workgroup_id_z 0
		.amdhsa_system_sgpr_workgroup_info 0
		.amdhsa_system_vgpr_workitem_id 0
		.amdhsa_next_free_vgpr 1
		.amdhsa_next_free_sgpr 1
		.amdhsa_reserve_vcc 0
		.amdhsa_float_round_mode_32 0
		.amdhsa_float_round_mode_16_64 0
		.amdhsa_float_denorm_mode_32 3
		.amdhsa_float_denorm_mode_16_64 3
		.amdhsa_dx10_clamp 1
		.amdhsa_ieee_mode 1
		.amdhsa_fp16_overflow 0
		.amdhsa_workgroup_processor_mode 1
		.amdhsa_memory_ordered 1
		.amdhsa_forward_progress 0
		.amdhsa_shared_vgpr_count 0
		.amdhsa_exception_fp_ieee_invalid_op 0
		.amdhsa_exception_fp_denorm_src 0
		.amdhsa_exception_fp_ieee_div_zero 0
		.amdhsa_exception_fp_ieee_overflow 0
		.amdhsa_exception_fp_ieee_underflow 0
		.amdhsa_exception_fp_ieee_inexact 0
		.amdhsa_exception_int_div_zero 0
	.end_amdhsa_kernel
	.section	.text._ZN7rocprim17ROCPRIM_400000_NS6detail17trampoline_kernelINS0_14default_configENS1_29reduce_by_key_config_selectorIddN6thrust23THRUST_200600_302600_NS4plusIdEEEEZZNS1_33reduce_by_key_impl_wrapped_configILNS1_25lookback_scan_determinismE0ES3_S9_NS6_6detail15normal_iteratorINS6_10device_ptrIdEEEESG_SG_SG_PmS8_NS6_8equal_toIdEEEE10hipError_tPvRmT2_T3_mT4_T5_T6_T7_T8_P12ihipStream_tbENKUlT_T0_E_clISt17integral_constantIbLb1EES10_IbLb0EEEEDaSW_SX_EUlSW_E_NS1_11comp_targetILNS1_3genE5ELNS1_11target_archE942ELNS1_3gpuE9ELNS1_3repE0EEENS1_30default_config_static_selectorELNS0_4arch9wavefront6targetE0EEEvT1_,"axG",@progbits,_ZN7rocprim17ROCPRIM_400000_NS6detail17trampoline_kernelINS0_14default_configENS1_29reduce_by_key_config_selectorIddN6thrust23THRUST_200600_302600_NS4plusIdEEEEZZNS1_33reduce_by_key_impl_wrapped_configILNS1_25lookback_scan_determinismE0ES3_S9_NS6_6detail15normal_iteratorINS6_10device_ptrIdEEEESG_SG_SG_PmS8_NS6_8equal_toIdEEEE10hipError_tPvRmT2_T3_mT4_T5_T6_T7_T8_P12ihipStream_tbENKUlT_T0_E_clISt17integral_constantIbLb1EES10_IbLb0EEEEDaSW_SX_EUlSW_E_NS1_11comp_targetILNS1_3genE5ELNS1_11target_archE942ELNS1_3gpuE9ELNS1_3repE0EEENS1_30default_config_static_selectorELNS0_4arch9wavefront6targetE0EEEvT1_,comdat
.Lfunc_end33:
	.size	_ZN7rocprim17ROCPRIM_400000_NS6detail17trampoline_kernelINS0_14default_configENS1_29reduce_by_key_config_selectorIddN6thrust23THRUST_200600_302600_NS4plusIdEEEEZZNS1_33reduce_by_key_impl_wrapped_configILNS1_25lookback_scan_determinismE0ES3_S9_NS6_6detail15normal_iteratorINS6_10device_ptrIdEEEESG_SG_SG_PmS8_NS6_8equal_toIdEEEE10hipError_tPvRmT2_T3_mT4_T5_T6_T7_T8_P12ihipStream_tbENKUlT_T0_E_clISt17integral_constantIbLb1EES10_IbLb0EEEEDaSW_SX_EUlSW_E_NS1_11comp_targetILNS1_3genE5ELNS1_11target_archE942ELNS1_3gpuE9ELNS1_3repE0EEENS1_30default_config_static_selectorELNS0_4arch9wavefront6targetE0EEEvT1_, .Lfunc_end33-_ZN7rocprim17ROCPRIM_400000_NS6detail17trampoline_kernelINS0_14default_configENS1_29reduce_by_key_config_selectorIddN6thrust23THRUST_200600_302600_NS4plusIdEEEEZZNS1_33reduce_by_key_impl_wrapped_configILNS1_25lookback_scan_determinismE0ES3_S9_NS6_6detail15normal_iteratorINS6_10device_ptrIdEEEESG_SG_SG_PmS8_NS6_8equal_toIdEEEE10hipError_tPvRmT2_T3_mT4_T5_T6_T7_T8_P12ihipStream_tbENKUlT_T0_E_clISt17integral_constantIbLb1EES10_IbLb0EEEEDaSW_SX_EUlSW_E_NS1_11comp_targetILNS1_3genE5ELNS1_11target_archE942ELNS1_3gpuE9ELNS1_3repE0EEENS1_30default_config_static_selectorELNS0_4arch9wavefront6targetE0EEEvT1_
                                        ; -- End function
	.section	.AMDGPU.csdata,"",@progbits
; Kernel info:
; codeLenInByte = 0
; NumSgprs: 0
; NumVgprs: 0
; ScratchSize: 0
; MemoryBound: 0
; FloatMode: 240
; IeeeMode: 1
; LDSByteSize: 0 bytes/workgroup (compile time only)
; SGPRBlocks: 0
; VGPRBlocks: 0
; NumSGPRsForWavesPerEU: 1
; NumVGPRsForWavesPerEU: 1
; Occupancy: 16
; WaveLimiterHint : 0
; COMPUTE_PGM_RSRC2:SCRATCH_EN: 0
; COMPUTE_PGM_RSRC2:USER_SGPR: 15
; COMPUTE_PGM_RSRC2:TRAP_HANDLER: 0
; COMPUTE_PGM_RSRC2:TGID_X_EN: 1
; COMPUTE_PGM_RSRC2:TGID_Y_EN: 0
; COMPUTE_PGM_RSRC2:TGID_Z_EN: 0
; COMPUTE_PGM_RSRC2:TIDIG_COMP_CNT: 0
	.section	.text._ZN7rocprim17ROCPRIM_400000_NS6detail17trampoline_kernelINS0_14default_configENS1_29reduce_by_key_config_selectorIddN6thrust23THRUST_200600_302600_NS4plusIdEEEEZZNS1_33reduce_by_key_impl_wrapped_configILNS1_25lookback_scan_determinismE0ES3_S9_NS6_6detail15normal_iteratorINS6_10device_ptrIdEEEESG_SG_SG_PmS8_NS6_8equal_toIdEEEE10hipError_tPvRmT2_T3_mT4_T5_T6_T7_T8_P12ihipStream_tbENKUlT_T0_E_clISt17integral_constantIbLb1EES10_IbLb0EEEEDaSW_SX_EUlSW_E_NS1_11comp_targetILNS1_3genE4ELNS1_11target_archE910ELNS1_3gpuE8ELNS1_3repE0EEENS1_30default_config_static_selectorELNS0_4arch9wavefront6targetE0EEEvT1_,"axG",@progbits,_ZN7rocprim17ROCPRIM_400000_NS6detail17trampoline_kernelINS0_14default_configENS1_29reduce_by_key_config_selectorIddN6thrust23THRUST_200600_302600_NS4plusIdEEEEZZNS1_33reduce_by_key_impl_wrapped_configILNS1_25lookback_scan_determinismE0ES3_S9_NS6_6detail15normal_iteratorINS6_10device_ptrIdEEEESG_SG_SG_PmS8_NS6_8equal_toIdEEEE10hipError_tPvRmT2_T3_mT4_T5_T6_T7_T8_P12ihipStream_tbENKUlT_T0_E_clISt17integral_constantIbLb1EES10_IbLb0EEEEDaSW_SX_EUlSW_E_NS1_11comp_targetILNS1_3genE4ELNS1_11target_archE910ELNS1_3gpuE8ELNS1_3repE0EEENS1_30default_config_static_selectorELNS0_4arch9wavefront6targetE0EEEvT1_,comdat
	.protected	_ZN7rocprim17ROCPRIM_400000_NS6detail17trampoline_kernelINS0_14default_configENS1_29reduce_by_key_config_selectorIddN6thrust23THRUST_200600_302600_NS4plusIdEEEEZZNS1_33reduce_by_key_impl_wrapped_configILNS1_25lookback_scan_determinismE0ES3_S9_NS6_6detail15normal_iteratorINS6_10device_ptrIdEEEESG_SG_SG_PmS8_NS6_8equal_toIdEEEE10hipError_tPvRmT2_T3_mT4_T5_T6_T7_T8_P12ihipStream_tbENKUlT_T0_E_clISt17integral_constantIbLb1EES10_IbLb0EEEEDaSW_SX_EUlSW_E_NS1_11comp_targetILNS1_3genE4ELNS1_11target_archE910ELNS1_3gpuE8ELNS1_3repE0EEENS1_30default_config_static_selectorELNS0_4arch9wavefront6targetE0EEEvT1_ ; -- Begin function _ZN7rocprim17ROCPRIM_400000_NS6detail17trampoline_kernelINS0_14default_configENS1_29reduce_by_key_config_selectorIddN6thrust23THRUST_200600_302600_NS4plusIdEEEEZZNS1_33reduce_by_key_impl_wrapped_configILNS1_25lookback_scan_determinismE0ES3_S9_NS6_6detail15normal_iteratorINS6_10device_ptrIdEEEESG_SG_SG_PmS8_NS6_8equal_toIdEEEE10hipError_tPvRmT2_T3_mT4_T5_T6_T7_T8_P12ihipStream_tbENKUlT_T0_E_clISt17integral_constantIbLb1EES10_IbLb0EEEEDaSW_SX_EUlSW_E_NS1_11comp_targetILNS1_3genE4ELNS1_11target_archE910ELNS1_3gpuE8ELNS1_3repE0EEENS1_30default_config_static_selectorELNS0_4arch9wavefront6targetE0EEEvT1_
	.globl	_ZN7rocprim17ROCPRIM_400000_NS6detail17trampoline_kernelINS0_14default_configENS1_29reduce_by_key_config_selectorIddN6thrust23THRUST_200600_302600_NS4plusIdEEEEZZNS1_33reduce_by_key_impl_wrapped_configILNS1_25lookback_scan_determinismE0ES3_S9_NS6_6detail15normal_iteratorINS6_10device_ptrIdEEEESG_SG_SG_PmS8_NS6_8equal_toIdEEEE10hipError_tPvRmT2_T3_mT4_T5_T6_T7_T8_P12ihipStream_tbENKUlT_T0_E_clISt17integral_constantIbLb1EES10_IbLb0EEEEDaSW_SX_EUlSW_E_NS1_11comp_targetILNS1_3genE4ELNS1_11target_archE910ELNS1_3gpuE8ELNS1_3repE0EEENS1_30default_config_static_selectorELNS0_4arch9wavefront6targetE0EEEvT1_
	.p2align	8
	.type	_ZN7rocprim17ROCPRIM_400000_NS6detail17trampoline_kernelINS0_14default_configENS1_29reduce_by_key_config_selectorIddN6thrust23THRUST_200600_302600_NS4plusIdEEEEZZNS1_33reduce_by_key_impl_wrapped_configILNS1_25lookback_scan_determinismE0ES3_S9_NS6_6detail15normal_iteratorINS6_10device_ptrIdEEEESG_SG_SG_PmS8_NS6_8equal_toIdEEEE10hipError_tPvRmT2_T3_mT4_T5_T6_T7_T8_P12ihipStream_tbENKUlT_T0_E_clISt17integral_constantIbLb1EES10_IbLb0EEEEDaSW_SX_EUlSW_E_NS1_11comp_targetILNS1_3genE4ELNS1_11target_archE910ELNS1_3gpuE8ELNS1_3repE0EEENS1_30default_config_static_selectorELNS0_4arch9wavefront6targetE0EEEvT1_,@function
_ZN7rocprim17ROCPRIM_400000_NS6detail17trampoline_kernelINS0_14default_configENS1_29reduce_by_key_config_selectorIddN6thrust23THRUST_200600_302600_NS4plusIdEEEEZZNS1_33reduce_by_key_impl_wrapped_configILNS1_25lookback_scan_determinismE0ES3_S9_NS6_6detail15normal_iteratorINS6_10device_ptrIdEEEESG_SG_SG_PmS8_NS6_8equal_toIdEEEE10hipError_tPvRmT2_T3_mT4_T5_T6_T7_T8_P12ihipStream_tbENKUlT_T0_E_clISt17integral_constantIbLb1EES10_IbLb0EEEEDaSW_SX_EUlSW_E_NS1_11comp_targetILNS1_3genE4ELNS1_11target_archE910ELNS1_3gpuE8ELNS1_3repE0EEENS1_30default_config_static_selectorELNS0_4arch9wavefront6targetE0EEEvT1_: ; @_ZN7rocprim17ROCPRIM_400000_NS6detail17trampoline_kernelINS0_14default_configENS1_29reduce_by_key_config_selectorIddN6thrust23THRUST_200600_302600_NS4plusIdEEEEZZNS1_33reduce_by_key_impl_wrapped_configILNS1_25lookback_scan_determinismE0ES3_S9_NS6_6detail15normal_iteratorINS6_10device_ptrIdEEEESG_SG_SG_PmS8_NS6_8equal_toIdEEEE10hipError_tPvRmT2_T3_mT4_T5_T6_T7_T8_P12ihipStream_tbENKUlT_T0_E_clISt17integral_constantIbLb1EES10_IbLb0EEEEDaSW_SX_EUlSW_E_NS1_11comp_targetILNS1_3genE4ELNS1_11target_archE910ELNS1_3gpuE8ELNS1_3repE0EEENS1_30default_config_static_selectorELNS0_4arch9wavefront6targetE0EEEvT1_
; %bb.0:
	.section	.rodata,"a",@progbits
	.p2align	6, 0x0
	.amdhsa_kernel _ZN7rocprim17ROCPRIM_400000_NS6detail17trampoline_kernelINS0_14default_configENS1_29reduce_by_key_config_selectorIddN6thrust23THRUST_200600_302600_NS4plusIdEEEEZZNS1_33reduce_by_key_impl_wrapped_configILNS1_25lookback_scan_determinismE0ES3_S9_NS6_6detail15normal_iteratorINS6_10device_ptrIdEEEESG_SG_SG_PmS8_NS6_8equal_toIdEEEE10hipError_tPvRmT2_T3_mT4_T5_T6_T7_T8_P12ihipStream_tbENKUlT_T0_E_clISt17integral_constantIbLb1EES10_IbLb0EEEEDaSW_SX_EUlSW_E_NS1_11comp_targetILNS1_3genE4ELNS1_11target_archE910ELNS1_3gpuE8ELNS1_3repE0EEENS1_30default_config_static_selectorELNS0_4arch9wavefront6targetE0EEEvT1_
		.amdhsa_group_segment_fixed_size 0
		.amdhsa_private_segment_fixed_size 0
		.amdhsa_kernarg_size 136
		.amdhsa_user_sgpr_count 15
		.amdhsa_user_sgpr_dispatch_ptr 0
		.amdhsa_user_sgpr_queue_ptr 0
		.amdhsa_user_sgpr_kernarg_segment_ptr 1
		.amdhsa_user_sgpr_dispatch_id 0
		.amdhsa_user_sgpr_private_segment_size 0
		.amdhsa_wavefront_size32 1
		.amdhsa_uses_dynamic_stack 0
		.amdhsa_enable_private_segment 0
		.amdhsa_system_sgpr_workgroup_id_x 1
		.amdhsa_system_sgpr_workgroup_id_y 0
		.amdhsa_system_sgpr_workgroup_id_z 0
		.amdhsa_system_sgpr_workgroup_info 0
		.amdhsa_system_vgpr_workitem_id 0
		.amdhsa_next_free_vgpr 1
		.amdhsa_next_free_sgpr 1
		.amdhsa_reserve_vcc 0
		.amdhsa_float_round_mode_32 0
		.amdhsa_float_round_mode_16_64 0
		.amdhsa_float_denorm_mode_32 3
		.amdhsa_float_denorm_mode_16_64 3
		.amdhsa_dx10_clamp 1
		.amdhsa_ieee_mode 1
		.amdhsa_fp16_overflow 0
		.amdhsa_workgroup_processor_mode 1
		.amdhsa_memory_ordered 1
		.amdhsa_forward_progress 0
		.amdhsa_shared_vgpr_count 0
		.amdhsa_exception_fp_ieee_invalid_op 0
		.amdhsa_exception_fp_denorm_src 0
		.amdhsa_exception_fp_ieee_div_zero 0
		.amdhsa_exception_fp_ieee_overflow 0
		.amdhsa_exception_fp_ieee_underflow 0
		.amdhsa_exception_fp_ieee_inexact 0
		.amdhsa_exception_int_div_zero 0
	.end_amdhsa_kernel
	.section	.text._ZN7rocprim17ROCPRIM_400000_NS6detail17trampoline_kernelINS0_14default_configENS1_29reduce_by_key_config_selectorIddN6thrust23THRUST_200600_302600_NS4plusIdEEEEZZNS1_33reduce_by_key_impl_wrapped_configILNS1_25lookback_scan_determinismE0ES3_S9_NS6_6detail15normal_iteratorINS6_10device_ptrIdEEEESG_SG_SG_PmS8_NS6_8equal_toIdEEEE10hipError_tPvRmT2_T3_mT4_T5_T6_T7_T8_P12ihipStream_tbENKUlT_T0_E_clISt17integral_constantIbLb1EES10_IbLb0EEEEDaSW_SX_EUlSW_E_NS1_11comp_targetILNS1_3genE4ELNS1_11target_archE910ELNS1_3gpuE8ELNS1_3repE0EEENS1_30default_config_static_selectorELNS0_4arch9wavefront6targetE0EEEvT1_,"axG",@progbits,_ZN7rocprim17ROCPRIM_400000_NS6detail17trampoline_kernelINS0_14default_configENS1_29reduce_by_key_config_selectorIddN6thrust23THRUST_200600_302600_NS4plusIdEEEEZZNS1_33reduce_by_key_impl_wrapped_configILNS1_25lookback_scan_determinismE0ES3_S9_NS6_6detail15normal_iteratorINS6_10device_ptrIdEEEESG_SG_SG_PmS8_NS6_8equal_toIdEEEE10hipError_tPvRmT2_T3_mT4_T5_T6_T7_T8_P12ihipStream_tbENKUlT_T0_E_clISt17integral_constantIbLb1EES10_IbLb0EEEEDaSW_SX_EUlSW_E_NS1_11comp_targetILNS1_3genE4ELNS1_11target_archE910ELNS1_3gpuE8ELNS1_3repE0EEENS1_30default_config_static_selectorELNS0_4arch9wavefront6targetE0EEEvT1_,comdat
.Lfunc_end34:
	.size	_ZN7rocprim17ROCPRIM_400000_NS6detail17trampoline_kernelINS0_14default_configENS1_29reduce_by_key_config_selectorIddN6thrust23THRUST_200600_302600_NS4plusIdEEEEZZNS1_33reduce_by_key_impl_wrapped_configILNS1_25lookback_scan_determinismE0ES3_S9_NS6_6detail15normal_iteratorINS6_10device_ptrIdEEEESG_SG_SG_PmS8_NS6_8equal_toIdEEEE10hipError_tPvRmT2_T3_mT4_T5_T6_T7_T8_P12ihipStream_tbENKUlT_T0_E_clISt17integral_constantIbLb1EES10_IbLb0EEEEDaSW_SX_EUlSW_E_NS1_11comp_targetILNS1_3genE4ELNS1_11target_archE910ELNS1_3gpuE8ELNS1_3repE0EEENS1_30default_config_static_selectorELNS0_4arch9wavefront6targetE0EEEvT1_, .Lfunc_end34-_ZN7rocprim17ROCPRIM_400000_NS6detail17trampoline_kernelINS0_14default_configENS1_29reduce_by_key_config_selectorIddN6thrust23THRUST_200600_302600_NS4plusIdEEEEZZNS1_33reduce_by_key_impl_wrapped_configILNS1_25lookback_scan_determinismE0ES3_S9_NS6_6detail15normal_iteratorINS6_10device_ptrIdEEEESG_SG_SG_PmS8_NS6_8equal_toIdEEEE10hipError_tPvRmT2_T3_mT4_T5_T6_T7_T8_P12ihipStream_tbENKUlT_T0_E_clISt17integral_constantIbLb1EES10_IbLb0EEEEDaSW_SX_EUlSW_E_NS1_11comp_targetILNS1_3genE4ELNS1_11target_archE910ELNS1_3gpuE8ELNS1_3repE0EEENS1_30default_config_static_selectorELNS0_4arch9wavefront6targetE0EEEvT1_
                                        ; -- End function
	.section	.AMDGPU.csdata,"",@progbits
; Kernel info:
; codeLenInByte = 0
; NumSgprs: 0
; NumVgprs: 0
; ScratchSize: 0
; MemoryBound: 0
; FloatMode: 240
; IeeeMode: 1
; LDSByteSize: 0 bytes/workgroup (compile time only)
; SGPRBlocks: 0
; VGPRBlocks: 0
; NumSGPRsForWavesPerEU: 1
; NumVGPRsForWavesPerEU: 1
; Occupancy: 16
; WaveLimiterHint : 0
; COMPUTE_PGM_RSRC2:SCRATCH_EN: 0
; COMPUTE_PGM_RSRC2:USER_SGPR: 15
; COMPUTE_PGM_RSRC2:TRAP_HANDLER: 0
; COMPUTE_PGM_RSRC2:TGID_X_EN: 1
; COMPUTE_PGM_RSRC2:TGID_Y_EN: 0
; COMPUTE_PGM_RSRC2:TGID_Z_EN: 0
; COMPUTE_PGM_RSRC2:TIDIG_COMP_CNT: 0
	.section	.text._ZN7rocprim17ROCPRIM_400000_NS6detail17trampoline_kernelINS0_14default_configENS1_29reduce_by_key_config_selectorIddN6thrust23THRUST_200600_302600_NS4plusIdEEEEZZNS1_33reduce_by_key_impl_wrapped_configILNS1_25lookback_scan_determinismE0ES3_S9_NS6_6detail15normal_iteratorINS6_10device_ptrIdEEEESG_SG_SG_PmS8_NS6_8equal_toIdEEEE10hipError_tPvRmT2_T3_mT4_T5_T6_T7_T8_P12ihipStream_tbENKUlT_T0_E_clISt17integral_constantIbLb1EES10_IbLb0EEEEDaSW_SX_EUlSW_E_NS1_11comp_targetILNS1_3genE3ELNS1_11target_archE908ELNS1_3gpuE7ELNS1_3repE0EEENS1_30default_config_static_selectorELNS0_4arch9wavefront6targetE0EEEvT1_,"axG",@progbits,_ZN7rocprim17ROCPRIM_400000_NS6detail17trampoline_kernelINS0_14default_configENS1_29reduce_by_key_config_selectorIddN6thrust23THRUST_200600_302600_NS4plusIdEEEEZZNS1_33reduce_by_key_impl_wrapped_configILNS1_25lookback_scan_determinismE0ES3_S9_NS6_6detail15normal_iteratorINS6_10device_ptrIdEEEESG_SG_SG_PmS8_NS6_8equal_toIdEEEE10hipError_tPvRmT2_T3_mT4_T5_T6_T7_T8_P12ihipStream_tbENKUlT_T0_E_clISt17integral_constantIbLb1EES10_IbLb0EEEEDaSW_SX_EUlSW_E_NS1_11comp_targetILNS1_3genE3ELNS1_11target_archE908ELNS1_3gpuE7ELNS1_3repE0EEENS1_30default_config_static_selectorELNS0_4arch9wavefront6targetE0EEEvT1_,comdat
	.protected	_ZN7rocprim17ROCPRIM_400000_NS6detail17trampoline_kernelINS0_14default_configENS1_29reduce_by_key_config_selectorIddN6thrust23THRUST_200600_302600_NS4plusIdEEEEZZNS1_33reduce_by_key_impl_wrapped_configILNS1_25lookback_scan_determinismE0ES3_S9_NS6_6detail15normal_iteratorINS6_10device_ptrIdEEEESG_SG_SG_PmS8_NS6_8equal_toIdEEEE10hipError_tPvRmT2_T3_mT4_T5_T6_T7_T8_P12ihipStream_tbENKUlT_T0_E_clISt17integral_constantIbLb1EES10_IbLb0EEEEDaSW_SX_EUlSW_E_NS1_11comp_targetILNS1_3genE3ELNS1_11target_archE908ELNS1_3gpuE7ELNS1_3repE0EEENS1_30default_config_static_selectorELNS0_4arch9wavefront6targetE0EEEvT1_ ; -- Begin function _ZN7rocprim17ROCPRIM_400000_NS6detail17trampoline_kernelINS0_14default_configENS1_29reduce_by_key_config_selectorIddN6thrust23THRUST_200600_302600_NS4plusIdEEEEZZNS1_33reduce_by_key_impl_wrapped_configILNS1_25lookback_scan_determinismE0ES3_S9_NS6_6detail15normal_iteratorINS6_10device_ptrIdEEEESG_SG_SG_PmS8_NS6_8equal_toIdEEEE10hipError_tPvRmT2_T3_mT4_T5_T6_T7_T8_P12ihipStream_tbENKUlT_T0_E_clISt17integral_constantIbLb1EES10_IbLb0EEEEDaSW_SX_EUlSW_E_NS1_11comp_targetILNS1_3genE3ELNS1_11target_archE908ELNS1_3gpuE7ELNS1_3repE0EEENS1_30default_config_static_selectorELNS0_4arch9wavefront6targetE0EEEvT1_
	.globl	_ZN7rocprim17ROCPRIM_400000_NS6detail17trampoline_kernelINS0_14default_configENS1_29reduce_by_key_config_selectorIddN6thrust23THRUST_200600_302600_NS4plusIdEEEEZZNS1_33reduce_by_key_impl_wrapped_configILNS1_25lookback_scan_determinismE0ES3_S9_NS6_6detail15normal_iteratorINS6_10device_ptrIdEEEESG_SG_SG_PmS8_NS6_8equal_toIdEEEE10hipError_tPvRmT2_T3_mT4_T5_T6_T7_T8_P12ihipStream_tbENKUlT_T0_E_clISt17integral_constantIbLb1EES10_IbLb0EEEEDaSW_SX_EUlSW_E_NS1_11comp_targetILNS1_3genE3ELNS1_11target_archE908ELNS1_3gpuE7ELNS1_3repE0EEENS1_30default_config_static_selectorELNS0_4arch9wavefront6targetE0EEEvT1_
	.p2align	8
	.type	_ZN7rocprim17ROCPRIM_400000_NS6detail17trampoline_kernelINS0_14default_configENS1_29reduce_by_key_config_selectorIddN6thrust23THRUST_200600_302600_NS4plusIdEEEEZZNS1_33reduce_by_key_impl_wrapped_configILNS1_25lookback_scan_determinismE0ES3_S9_NS6_6detail15normal_iteratorINS6_10device_ptrIdEEEESG_SG_SG_PmS8_NS6_8equal_toIdEEEE10hipError_tPvRmT2_T3_mT4_T5_T6_T7_T8_P12ihipStream_tbENKUlT_T0_E_clISt17integral_constantIbLb1EES10_IbLb0EEEEDaSW_SX_EUlSW_E_NS1_11comp_targetILNS1_3genE3ELNS1_11target_archE908ELNS1_3gpuE7ELNS1_3repE0EEENS1_30default_config_static_selectorELNS0_4arch9wavefront6targetE0EEEvT1_,@function
_ZN7rocprim17ROCPRIM_400000_NS6detail17trampoline_kernelINS0_14default_configENS1_29reduce_by_key_config_selectorIddN6thrust23THRUST_200600_302600_NS4plusIdEEEEZZNS1_33reduce_by_key_impl_wrapped_configILNS1_25lookback_scan_determinismE0ES3_S9_NS6_6detail15normal_iteratorINS6_10device_ptrIdEEEESG_SG_SG_PmS8_NS6_8equal_toIdEEEE10hipError_tPvRmT2_T3_mT4_T5_T6_T7_T8_P12ihipStream_tbENKUlT_T0_E_clISt17integral_constantIbLb1EES10_IbLb0EEEEDaSW_SX_EUlSW_E_NS1_11comp_targetILNS1_3genE3ELNS1_11target_archE908ELNS1_3gpuE7ELNS1_3repE0EEENS1_30default_config_static_selectorELNS0_4arch9wavefront6targetE0EEEvT1_: ; @_ZN7rocprim17ROCPRIM_400000_NS6detail17trampoline_kernelINS0_14default_configENS1_29reduce_by_key_config_selectorIddN6thrust23THRUST_200600_302600_NS4plusIdEEEEZZNS1_33reduce_by_key_impl_wrapped_configILNS1_25lookback_scan_determinismE0ES3_S9_NS6_6detail15normal_iteratorINS6_10device_ptrIdEEEESG_SG_SG_PmS8_NS6_8equal_toIdEEEE10hipError_tPvRmT2_T3_mT4_T5_T6_T7_T8_P12ihipStream_tbENKUlT_T0_E_clISt17integral_constantIbLb1EES10_IbLb0EEEEDaSW_SX_EUlSW_E_NS1_11comp_targetILNS1_3genE3ELNS1_11target_archE908ELNS1_3gpuE7ELNS1_3repE0EEENS1_30default_config_static_selectorELNS0_4arch9wavefront6targetE0EEEvT1_
; %bb.0:
	.section	.rodata,"a",@progbits
	.p2align	6, 0x0
	.amdhsa_kernel _ZN7rocprim17ROCPRIM_400000_NS6detail17trampoline_kernelINS0_14default_configENS1_29reduce_by_key_config_selectorIddN6thrust23THRUST_200600_302600_NS4plusIdEEEEZZNS1_33reduce_by_key_impl_wrapped_configILNS1_25lookback_scan_determinismE0ES3_S9_NS6_6detail15normal_iteratorINS6_10device_ptrIdEEEESG_SG_SG_PmS8_NS6_8equal_toIdEEEE10hipError_tPvRmT2_T3_mT4_T5_T6_T7_T8_P12ihipStream_tbENKUlT_T0_E_clISt17integral_constantIbLb1EES10_IbLb0EEEEDaSW_SX_EUlSW_E_NS1_11comp_targetILNS1_3genE3ELNS1_11target_archE908ELNS1_3gpuE7ELNS1_3repE0EEENS1_30default_config_static_selectorELNS0_4arch9wavefront6targetE0EEEvT1_
		.amdhsa_group_segment_fixed_size 0
		.amdhsa_private_segment_fixed_size 0
		.amdhsa_kernarg_size 136
		.amdhsa_user_sgpr_count 15
		.amdhsa_user_sgpr_dispatch_ptr 0
		.amdhsa_user_sgpr_queue_ptr 0
		.amdhsa_user_sgpr_kernarg_segment_ptr 1
		.amdhsa_user_sgpr_dispatch_id 0
		.amdhsa_user_sgpr_private_segment_size 0
		.amdhsa_wavefront_size32 1
		.amdhsa_uses_dynamic_stack 0
		.amdhsa_enable_private_segment 0
		.amdhsa_system_sgpr_workgroup_id_x 1
		.amdhsa_system_sgpr_workgroup_id_y 0
		.amdhsa_system_sgpr_workgroup_id_z 0
		.amdhsa_system_sgpr_workgroup_info 0
		.amdhsa_system_vgpr_workitem_id 0
		.amdhsa_next_free_vgpr 1
		.amdhsa_next_free_sgpr 1
		.amdhsa_reserve_vcc 0
		.amdhsa_float_round_mode_32 0
		.amdhsa_float_round_mode_16_64 0
		.amdhsa_float_denorm_mode_32 3
		.amdhsa_float_denorm_mode_16_64 3
		.amdhsa_dx10_clamp 1
		.amdhsa_ieee_mode 1
		.amdhsa_fp16_overflow 0
		.amdhsa_workgroup_processor_mode 1
		.amdhsa_memory_ordered 1
		.amdhsa_forward_progress 0
		.amdhsa_shared_vgpr_count 0
		.amdhsa_exception_fp_ieee_invalid_op 0
		.amdhsa_exception_fp_denorm_src 0
		.amdhsa_exception_fp_ieee_div_zero 0
		.amdhsa_exception_fp_ieee_overflow 0
		.amdhsa_exception_fp_ieee_underflow 0
		.amdhsa_exception_fp_ieee_inexact 0
		.amdhsa_exception_int_div_zero 0
	.end_amdhsa_kernel
	.section	.text._ZN7rocprim17ROCPRIM_400000_NS6detail17trampoline_kernelINS0_14default_configENS1_29reduce_by_key_config_selectorIddN6thrust23THRUST_200600_302600_NS4plusIdEEEEZZNS1_33reduce_by_key_impl_wrapped_configILNS1_25lookback_scan_determinismE0ES3_S9_NS6_6detail15normal_iteratorINS6_10device_ptrIdEEEESG_SG_SG_PmS8_NS6_8equal_toIdEEEE10hipError_tPvRmT2_T3_mT4_T5_T6_T7_T8_P12ihipStream_tbENKUlT_T0_E_clISt17integral_constantIbLb1EES10_IbLb0EEEEDaSW_SX_EUlSW_E_NS1_11comp_targetILNS1_3genE3ELNS1_11target_archE908ELNS1_3gpuE7ELNS1_3repE0EEENS1_30default_config_static_selectorELNS0_4arch9wavefront6targetE0EEEvT1_,"axG",@progbits,_ZN7rocprim17ROCPRIM_400000_NS6detail17trampoline_kernelINS0_14default_configENS1_29reduce_by_key_config_selectorIddN6thrust23THRUST_200600_302600_NS4plusIdEEEEZZNS1_33reduce_by_key_impl_wrapped_configILNS1_25lookback_scan_determinismE0ES3_S9_NS6_6detail15normal_iteratorINS6_10device_ptrIdEEEESG_SG_SG_PmS8_NS6_8equal_toIdEEEE10hipError_tPvRmT2_T3_mT4_T5_T6_T7_T8_P12ihipStream_tbENKUlT_T0_E_clISt17integral_constantIbLb1EES10_IbLb0EEEEDaSW_SX_EUlSW_E_NS1_11comp_targetILNS1_3genE3ELNS1_11target_archE908ELNS1_3gpuE7ELNS1_3repE0EEENS1_30default_config_static_selectorELNS0_4arch9wavefront6targetE0EEEvT1_,comdat
.Lfunc_end35:
	.size	_ZN7rocprim17ROCPRIM_400000_NS6detail17trampoline_kernelINS0_14default_configENS1_29reduce_by_key_config_selectorIddN6thrust23THRUST_200600_302600_NS4plusIdEEEEZZNS1_33reduce_by_key_impl_wrapped_configILNS1_25lookback_scan_determinismE0ES3_S9_NS6_6detail15normal_iteratorINS6_10device_ptrIdEEEESG_SG_SG_PmS8_NS6_8equal_toIdEEEE10hipError_tPvRmT2_T3_mT4_T5_T6_T7_T8_P12ihipStream_tbENKUlT_T0_E_clISt17integral_constantIbLb1EES10_IbLb0EEEEDaSW_SX_EUlSW_E_NS1_11comp_targetILNS1_3genE3ELNS1_11target_archE908ELNS1_3gpuE7ELNS1_3repE0EEENS1_30default_config_static_selectorELNS0_4arch9wavefront6targetE0EEEvT1_, .Lfunc_end35-_ZN7rocprim17ROCPRIM_400000_NS6detail17trampoline_kernelINS0_14default_configENS1_29reduce_by_key_config_selectorIddN6thrust23THRUST_200600_302600_NS4plusIdEEEEZZNS1_33reduce_by_key_impl_wrapped_configILNS1_25lookback_scan_determinismE0ES3_S9_NS6_6detail15normal_iteratorINS6_10device_ptrIdEEEESG_SG_SG_PmS8_NS6_8equal_toIdEEEE10hipError_tPvRmT2_T3_mT4_T5_T6_T7_T8_P12ihipStream_tbENKUlT_T0_E_clISt17integral_constantIbLb1EES10_IbLb0EEEEDaSW_SX_EUlSW_E_NS1_11comp_targetILNS1_3genE3ELNS1_11target_archE908ELNS1_3gpuE7ELNS1_3repE0EEENS1_30default_config_static_selectorELNS0_4arch9wavefront6targetE0EEEvT1_
                                        ; -- End function
	.section	.AMDGPU.csdata,"",@progbits
; Kernel info:
; codeLenInByte = 0
; NumSgprs: 0
; NumVgprs: 0
; ScratchSize: 0
; MemoryBound: 0
; FloatMode: 240
; IeeeMode: 1
; LDSByteSize: 0 bytes/workgroup (compile time only)
; SGPRBlocks: 0
; VGPRBlocks: 0
; NumSGPRsForWavesPerEU: 1
; NumVGPRsForWavesPerEU: 1
; Occupancy: 16
; WaveLimiterHint : 0
; COMPUTE_PGM_RSRC2:SCRATCH_EN: 0
; COMPUTE_PGM_RSRC2:USER_SGPR: 15
; COMPUTE_PGM_RSRC2:TRAP_HANDLER: 0
; COMPUTE_PGM_RSRC2:TGID_X_EN: 1
; COMPUTE_PGM_RSRC2:TGID_Y_EN: 0
; COMPUTE_PGM_RSRC2:TGID_Z_EN: 0
; COMPUTE_PGM_RSRC2:TIDIG_COMP_CNT: 0
	.section	.text._ZN7rocprim17ROCPRIM_400000_NS6detail17trampoline_kernelINS0_14default_configENS1_29reduce_by_key_config_selectorIddN6thrust23THRUST_200600_302600_NS4plusIdEEEEZZNS1_33reduce_by_key_impl_wrapped_configILNS1_25lookback_scan_determinismE0ES3_S9_NS6_6detail15normal_iteratorINS6_10device_ptrIdEEEESG_SG_SG_PmS8_NS6_8equal_toIdEEEE10hipError_tPvRmT2_T3_mT4_T5_T6_T7_T8_P12ihipStream_tbENKUlT_T0_E_clISt17integral_constantIbLb1EES10_IbLb0EEEEDaSW_SX_EUlSW_E_NS1_11comp_targetILNS1_3genE2ELNS1_11target_archE906ELNS1_3gpuE6ELNS1_3repE0EEENS1_30default_config_static_selectorELNS0_4arch9wavefront6targetE0EEEvT1_,"axG",@progbits,_ZN7rocprim17ROCPRIM_400000_NS6detail17trampoline_kernelINS0_14default_configENS1_29reduce_by_key_config_selectorIddN6thrust23THRUST_200600_302600_NS4plusIdEEEEZZNS1_33reduce_by_key_impl_wrapped_configILNS1_25lookback_scan_determinismE0ES3_S9_NS6_6detail15normal_iteratorINS6_10device_ptrIdEEEESG_SG_SG_PmS8_NS6_8equal_toIdEEEE10hipError_tPvRmT2_T3_mT4_T5_T6_T7_T8_P12ihipStream_tbENKUlT_T0_E_clISt17integral_constantIbLb1EES10_IbLb0EEEEDaSW_SX_EUlSW_E_NS1_11comp_targetILNS1_3genE2ELNS1_11target_archE906ELNS1_3gpuE6ELNS1_3repE0EEENS1_30default_config_static_selectorELNS0_4arch9wavefront6targetE0EEEvT1_,comdat
	.protected	_ZN7rocprim17ROCPRIM_400000_NS6detail17trampoline_kernelINS0_14default_configENS1_29reduce_by_key_config_selectorIddN6thrust23THRUST_200600_302600_NS4plusIdEEEEZZNS1_33reduce_by_key_impl_wrapped_configILNS1_25lookback_scan_determinismE0ES3_S9_NS6_6detail15normal_iteratorINS6_10device_ptrIdEEEESG_SG_SG_PmS8_NS6_8equal_toIdEEEE10hipError_tPvRmT2_T3_mT4_T5_T6_T7_T8_P12ihipStream_tbENKUlT_T0_E_clISt17integral_constantIbLb1EES10_IbLb0EEEEDaSW_SX_EUlSW_E_NS1_11comp_targetILNS1_3genE2ELNS1_11target_archE906ELNS1_3gpuE6ELNS1_3repE0EEENS1_30default_config_static_selectorELNS0_4arch9wavefront6targetE0EEEvT1_ ; -- Begin function _ZN7rocprim17ROCPRIM_400000_NS6detail17trampoline_kernelINS0_14default_configENS1_29reduce_by_key_config_selectorIddN6thrust23THRUST_200600_302600_NS4plusIdEEEEZZNS1_33reduce_by_key_impl_wrapped_configILNS1_25lookback_scan_determinismE0ES3_S9_NS6_6detail15normal_iteratorINS6_10device_ptrIdEEEESG_SG_SG_PmS8_NS6_8equal_toIdEEEE10hipError_tPvRmT2_T3_mT4_T5_T6_T7_T8_P12ihipStream_tbENKUlT_T0_E_clISt17integral_constantIbLb1EES10_IbLb0EEEEDaSW_SX_EUlSW_E_NS1_11comp_targetILNS1_3genE2ELNS1_11target_archE906ELNS1_3gpuE6ELNS1_3repE0EEENS1_30default_config_static_selectorELNS0_4arch9wavefront6targetE0EEEvT1_
	.globl	_ZN7rocprim17ROCPRIM_400000_NS6detail17trampoline_kernelINS0_14default_configENS1_29reduce_by_key_config_selectorIddN6thrust23THRUST_200600_302600_NS4plusIdEEEEZZNS1_33reduce_by_key_impl_wrapped_configILNS1_25lookback_scan_determinismE0ES3_S9_NS6_6detail15normal_iteratorINS6_10device_ptrIdEEEESG_SG_SG_PmS8_NS6_8equal_toIdEEEE10hipError_tPvRmT2_T3_mT4_T5_T6_T7_T8_P12ihipStream_tbENKUlT_T0_E_clISt17integral_constantIbLb1EES10_IbLb0EEEEDaSW_SX_EUlSW_E_NS1_11comp_targetILNS1_3genE2ELNS1_11target_archE906ELNS1_3gpuE6ELNS1_3repE0EEENS1_30default_config_static_selectorELNS0_4arch9wavefront6targetE0EEEvT1_
	.p2align	8
	.type	_ZN7rocprim17ROCPRIM_400000_NS6detail17trampoline_kernelINS0_14default_configENS1_29reduce_by_key_config_selectorIddN6thrust23THRUST_200600_302600_NS4plusIdEEEEZZNS1_33reduce_by_key_impl_wrapped_configILNS1_25lookback_scan_determinismE0ES3_S9_NS6_6detail15normal_iteratorINS6_10device_ptrIdEEEESG_SG_SG_PmS8_NS6_8equal_toIdEEEE10hipError_tPvRmT2_T3_mT4_T5_T6_T7_T8_P12ihipStream_tbENKUlT_T0_E_clISt17integral_constantIbLb1EES10_IbLb0EEEEDaSW_SX_EUlSW_E_NS1_11comp_targetILNS1_3genE2ELNS1_11target_archE906ELNS1_3gpuE6ELNS1_3repE0EEENS1_30default_config_static_selectorELNS0_4arch9wavefront6targetE0EEEvT1_,@function
_ZN7rocprim17ROCPRIM_400000_NS6detail17trampoline_kernelINS0_14default_configENS1_29reduce_by_key_config_selectorIddN6thrust23THRUST_200600_302600_NS4plusIdEEEEZZNS1_33reduce_by_key_impl_wrapped_configILNS1_25lookback_scan_determinismE0ES3_S9_NS6_6detail15normal_iteratorINS6_10device_ptrIdEEEESG_SG_SG_PmS8_NS6_8equal_toIdEEEE10hipError_tPvRmT2_T3_mT4_T5_T6_T7_T8_P12ihipStream_tbENKUlT_T0_E_clISt17integral_constantIbLb1EES10_IbLb0EEEEDaSW_SX_EUlSW_E_NS1_11comp_targetILNS1_3genE2ELNS1_11target_archE906ELNS1_3gpuE6ELNS1_3repE0EEENS1_30default_config_static_selectorELNS0_4arch9wavefront6targetE0EEEvT1_: ; @_ZN7rocprim17ROCPRIM_400000_NS6detail17trampoline_kernelINS0_14default_configENS1_29reduce_by_key_config_selectorIddN6thrust23THRUST_200600_302600_NS4plusIdEEEEZZNS1_33reduce_by_key_impl_wrapped_configILNS1_25lookback_scan_determinismE0ES3_S9_NS6_6detail15normal_iteratorINS6_10device_ptrIdEEEESG_SG_SG_PmS8_NS6_8equal_toIdEEEE10hipError_tPvRmT2_T3_mT4_T5_T6_T7_T8_P12ihipStream_tbENKUlT_T0_E_clISt17integral_constantIbLb1EES10_IbLb0EEEEDaSW_SX_EUlSW_E_NS1_11comp_targetILNS1_3genE2ELNS1_11target_archE906ELNS1_3gpuE6ELNS1_3repE0EEENS1_30default_config_static_selectorELNS0_4arch9wavefront6targetE0EEEvT1_
; %bb.0:
	.section	.rodata,"a",@progbits
	.p2align	6, 0x0
	.amdhsa_kernel _ZN7rocprim17ROCPRIM_400000_NS6detail17trampoline_kernelINS0_14default_configENS1_29reduce_by_key_config_selectorIddN6thrust23THRUST_200600_302600_NS4plusIdEEEEZZNS1_33reduce_by_key_impl_wrapped_configILNS1_25lookback_scan_determinismE0ES3_S9_NS6_6detail15normal_iteratorINS6_10device_ptrIdEEEESG_SG_SG_PmS8_NS6_8equal_toIdEEEE10hipError_tPvRmT2_T3_mT4_T5_T6_T7_T8_P12ihipStream_tbENKUlT_T0_E_clISt17integral_constantIbLb1EES10_IbLb0EEEEDaSW_SX_EUlSW_E_NS1_11comp_targetILNS1_3genE2ELNS1_11target_archE906ELNS1_3gpuE6ELNS1_3repE0EEENS1_30default_config_static_selectorELNS0_4arch9wavefront6targetE0EEEvT1_
		.amdhsa_group_segment_fixed_size 0
		.amdhsa_private_segment_fixed_size 0
		.amdhsa_kernarg_size 136
		.amdhsa_user_sgpr_count 15
		.amdhsa_user_sgpr_dispatch_ptr 0
		.amdhsa_user_sgpr_queue_ptr 0
		.amdhsa_user_sgpr_kernarg_segment_ptr 1
		.amdhsa_user_sgpr_dispatch_id 0
		.amdhsa_user_sgpr_private_segment_size 0
		.amdhsa_wavefront_size32 1
		.amdhsa_uses_dynamic_stack 0
		.amdhsa_enable_private_segment 0
		.amdhsa_system_sgpr_workgroup_id_x 1
		.amdhsa_system_sgpr_workgroup_id_y 0
		.amdhsa_system_sgpr_workgroup_id_z 0
		.amdhsa_system_sgpr_workgroup_info 0
		.amdhsa_system_vgpr_workitem_id 0
		.amdhsa_next_free_vgpr 1
		.amdhsa_next_free_sgpr 1
		.amdhsa_reserve_vcc 0
		.amdhsa_float_round_mode_32 0
		.amdhsa_float_round_mode_16_64 0
		.amdhsa_float_denorm_mode_32 3
		.amdhsa_float_denorm_mode_16_64 3
		.amdhsa_dx10_clamp 1
		.amdhsa_ieee_mode 1
		.amdhsa_fp16_overflow 0
		.amdhsa_workgroup_processor_mode 1
		.amdhsa_memory_ordered 1
		.amdhsa_forward_progress 0
		.amdhsa_shared_vgpr_count 0
		.amdhsa_exception_fp_ieee_invalid_op 0
		.amdhsa_exception_fp_denorm_src 0
		.amdhsa_exception_fp_ieee_div_zero 0
		.amdhsa_exception_fp_ieee_overflow 0
		.amdhsa_exception_fp_ieee_underflow 0
		.amdhsa_exception_fp_ieee_inexact 0
		.amdhsa_exception_int_div_zero 0
	.end_amdhsa_kernel
	.section	.text._ZN7rocprim17ROCPRIM_400000_NS6detail17trampoline_kernelINS0_14default_configENS1_29reduce_by_key_config_selectorIddN6thrust23THRUST_200600_302600_NS4plusIdEEEEZZNS1_33reduce_by_key_impl_wrapped_configILNS1_25lookback_scan_determinismE0ES3_S9_NS6_6detail15normal_iteratorINS6_10device_ptrIdEEEESG_SG_SG_PmS8_NS6_8equal_toIdEEEE10hipError_tPvRmT2_T3_mT4_T5_T6_T7_T8_P12ihipStream_tbENKUlT_T0_E_clISt17integral_constantIbLb1EES10_IbLb0EEEEDaSW_SX_EUlSW_E_NS1_11comp_targetILNS1_3genE2ELNS1_11target_archE906ELNS1_3gpuE6ELNS1_3repE0EEENS1_30default_config_static_selectorELNS0_4arch9wavefront6targetE0EEEvT1_,"axG",@progbits,_ZN7rocprim17ROCPRIM_400000_NS6detail17trampoline_kernelINS0_14default_configENS1_29reduce_by_key_config_selectorIddN6thrust23THRUST_200600_302600_NS4plusIdEEEEZZNS1_33reduce_by_key_impl_wrapped_configILNS1_25lookback_scan_determinismE0ES3_S9_NS6_6detail15normal_iteratorINS6_10device_ptrIdEEEESG_SG_SG_PmS8_NS6_8equal_toIdEEEE10hipError_tPvRmT2_T3_mT4_T5_T6_T7_T8_P12ihipStream_tbENKUlT_T0_E_clISt17integral_constantIbLb1EES10_IbLb0EEEEDaSW_SX_EUlSW_E_NS1_11comp_targetILNS1_3genE2ELNS1_11target_archE906ELNS1_3gpuE6ELNS1_3repE0EEENS1_30default_config_static_selectorELNS0_4arch9wavefront6targetE0EEEvT1_,comdat
.Lfunc_end36:
	.size	_ZN7rocprim17ROCPRIM_400000_NS6detail17trampoline_kernelINS0_14default_configENS1_29reduce_by_key_config_selectorIddN6thrust23THRUST_200600_302600_NS4plusIdEEEEZZNS1_33reduce_by_key_impl_wrapped_configILNS1_25lookback_scan_determinismE0ES3_S9_NS6_6detail15normal_iteratorINS6_10device_ptrIdEEEESG_SG_SG_PmS8_NS6_8equal_toIdEEEE10hipError_tPvRmT2_T3_mT4_T5_T6_T7_T8_P12ihipStream_tbENKUlT_T0_E_clISt17integral_constantIbLb1EES10_IbLb0EEEEDaSW_SX_EUlSW_E_NS1_11comp_targetILNS1_3genE2ELNS1_11target_archE906ELNS1_3gpuE6ELNS1_3repE0EEENS1_30default_config_static_selectorELNS0_4arch9wavefront6targetE0EEEvT1_, .Lfunc_end36-_ZN7rocprim17ROCPRIM_400000_NS6detail17trampoline_kernelINS0_14default_configENS1_29reduce_by_key_config_selectorIddN6thrust23THRUST_200600_302600_NS4plusIdEEEEZZNS1_33reduce_by_key_impl_wrapped_configILNS1_25lookback_scan_determinismE0ES3_S9_NS6_6detail15normal_iteratorINS6_10device_ptrIdEEEESG_SG_SG_PmS8_NS6_8equal_toIdEEEE10hipError_tPvRmT2_T3_mT4_T5_T6_T7_T8_P12ihipStream_tbENKUlT_T0_E_clISt17integral_constantIbLb1EES10_IbLb0EEEEDaSW_SX_EUlSW_E_NS1_11comp_targetILNS1_3genE2ELNS1_11target_archE906ELNS1_3gpuE6ELNS1_3repE0EEENS1_30default_config_static_selectorELNS0_4arch9wavefront6targetE0EEEvT1_
                                        ; -- End function
	.section	.AMDGPU.csdata,"",@progbits
; Kernel info:
; codeLenInByte = 0
; NumSgprs: 0
; NumVgprs: 0
; ScratchSize: 0
; MemoryBound: 0
; FloatMode: 240
; IeeeMode: 1
; LDSByteSize: 0 bytes/workgroup (compile time only)
; SGPRBlocks: 0
; VGPRBlocks: 0
; NumSGPRsForWavesPerEU: 1
; NumVGPRsForWavesPerEU: 1
; Occupancy: 16
; WaveLimiterHint : 0
; COMPUTE_PGM_RSRC2:SCRATCH_EN: 0
; COMPUTE_PGM_RSRC2:USER_SGPR: 15
; COMPUTE_PGM_RSRC2:TRAP_HANDLER: 0
; COMPUTE_PGM_RSRC2:TGID_X_EN: 1
; COMPUTE_PGM_RSRC2:TGID_Y_EN: 0
; COMPUTE_PGM_RSRC2:TGID_Z_EN: 0
; COMPUTE_PGM_RSRC2:TIDIG_COMP_CNT: 0
	.section	.text._ZN7rocprim17ROCPRIM_400000_NS6detail17trampoline_kernelINS0_14default_configENS1_29reduce_by_key_config_selectorIddN6thrust23THRUST_200600_302600_NS4plusIdEEEEZZNS1_33reduce_by_key_impl_wrapped_configILNS1_25lookback_scan_determinismE0ES3_S9_NS6_6detail15normal_iteratorINS6_10device_ptrIdEEEESG_SG_SG_PmS8_NS6_8equal_toIdEEEE10hipError_tPvRmT2_T3_mT4_T5_T6_T7_T8_P12ihipStream_tbENKUlT_T0_E_clISt17integral_constantIbLb1EES10_IbLb0EEEEDaSW_SX_EUlSW_E_NS1_11comp_targetILNS1_3genE10ELNS1_11target_archE1201ELNS1_3gpuE5ELNS1_3repE0EEENS1_30default_config_static_selectorELNS0_4arch9wavefront6targetE0EEEvT1_,"axG",@progbits,_ZN7rocprim17ROCPRIM_400000_NS6detail17trampoline_kernelINS0_14default_configENS1_29reduce_by_key_config_selectorIddN6thrust23THRUST_200600_302600_NS4plusIdEEEEZZNS1_33reduce_by_key_impl_wrapped_configILNS1_25lookback_scan_determinismE0ES3_S9_NS6_6detail15normal_iteratorINS6_10device_ptrIdEEEESG_SG_SG_PmS8_NS6_8equal_toIdEEEE10hipError_tPvRmT2_T3_mT4_T5_T6_T7_T8_P12ihipStream_tbENKUlT_T0_E_clISt17integral_constantIbLb1EES10_IbLb0EEEEDaSW_SX_EUlSW_E_NS1_11comp_targetILNS1_3genE10ELNS1_11target_archE1201ELNS1_3gpuE5ELNS1_3repE0EEENS1_30default_config_static_selectorELNS0_4arch9wavefront6targetE0EEEvT1_,comdat
	.protected	_ZN7rocprim17ROCPRIM_400000_NS6detail17trampoline_kernelINS0_14default_configENS1_29reduce_by_key_config_selectorIddN6thrust23THRUST_200600_302600_NS4plusIdEEEEZZNS1_33reduce_by_key_impl_wrapped_configILNS1_25lookback_scan_determinismE0ES3_S9_NS6_6detail15normal_iteratorINS6_10device_ptrIdEEEESG_SG_SG_PmS8_NS6_8equal_toIdEEEE10hipError_tPvRmT2_T3_mT4_T5_T6_T7_T8_P12ihipStream_tbENKUlT_T0_E_clISt17integral_constantIbLb1EES10_IbLb0EEEEDaSW_SX_EUlSW_E_NS1_11comp_targetILNS1_3genE10ELNS1_11target_archE1201ELNS1_3gpuE5ELNS1_3repE0EEENS1_30default_config_static_selectorELNS0_4arch9wavefront6targetE0EEEvT1_ ; -- Begin function _ZN7rocprim17ROCPRIM_400000_NS6detail17trampoline_kernelINS0_14default_configENS1_29reduce_by_key_config_selectorIddN6thrust23THRUST_200600_302600_NS4plusIdEEEEZZNS1_33reduce_by_key_impl_wrapped_configILNS1_25lookback_scan_determinismE0ES3_S9_NS6_6detail15normal_iteratorINS6_10device_ptrIdEEEESG_SG_SG_PmS8_NS6_8equal_toIdEEEE10hipError_tPvRmT2_T3_mT4_T5_T6_T7_T8_P12ihipStream_tbENKUlT_T0_E_clISt17integral_constantIbLb1EES10_IbLb0EEEEDaSW_SX_EUlSW_E_NS1_11comp_targetILNS1_3genE10ELNS1_11target_archE1201ELNS1_3gpuE5ELNS1_3repE0EEENS1_30default_config_static_selectorELNS0_4arch9wavefront6targetE0EEEvT1_
	.globl	_ZN7rocprim17ROCPRIM_400000_NS6detail17trampoline_kernelINS0_14default_configENS1_29reduce_by_key_config_selectorIddN6thrust23THRUST_200600_302600_NS4plusIdEEEEZZNS1_33reduce_by_key_impl_wrapped_configILNS1_25lookback_scan_determinismE0ES3_S9_NS6_6detail15normal_iteratorINS6_10device_ptrIdEEEESG_SG_SG_PmS8_NS6_8equal_toIdEEEE10hipError_tPvRmT2_T3_mT4_T5_T6_T7_T8_P12ihipStream_tbENKUlT_T0_E_clISt17integral_constantIbLb1EES10_IbLb0EEEEDaSW_SX_EUlSW_E_NS1_11comp_targetILNS1_3genE10ELNS1_11target_archE1201ELNS1_3gpuE5ELNS1_3repE0EEENS1_30default_config_static_selectorELNS0_4arch9wavefront6targetE0EEEvT1_
	.p2align	8
	.type	_ZN7rocprim17ROCPRIM_400000_NS6detail17trampoline_kernelINS0_14default_configENS1_29reduce_by_key_config_selectorIddN6thrust23THRUST_200600_302600_NS4plusIdEEEEZZNS1_33reduce_by_key_impl_wrapped_configILNS1_25lookback_scan_determinismE0ES3_S9_NS6_6detail15normal_iteratorINS6_10device_ptrIdEEEESG_SG_SG_PmS8_NS6_8equal_toIdEEEE10hipError_tPvRmT2_T3_mT4_T5_T6_T7_T8_P12ihipStream_tbENKUlT_T0_E_clISt17integral_constantIbLb1EES10_IbLb0EEEEDaSW_SX_EUlSW_E_NS1_11comp_targetILNS1_3genE10ELNS1_11target_archE1201ELNS1_3gpuE5ELNS1_3repE0EEENS1_30default_config_static_selectorELNS0_4arch9wavefront6targetE0EEEvT1_,@function
_ZN7rocprim17ROCPRIM_400000_NS6detail17trampoline_kernelINS0_14default_configENS1_29reduce_by_key_config_selectorIddN6thrust23THRUST_200600_302600_NS4plusIdEEEEZZNS1_33reduce_by_key_impl_wrapped_configILNS1_25lookback_scan_determinismE0ES3_S9_NS6_6detail15normal_iteratorINS6_10device_ptrIdEEEESG_SG_SG_PmS8_NS6_8equal_toIdEEEE10hipError_tPvRmT2_T3_mT4_T5_T6_T7_T8_P12ihipStream_tbENKUlT_T0_E_clISt17integral_constantIbLb1EES10_IbLb0EEEEDaSW_SX_EUlSW_E_NS1_11comp_targetILNS1_3genE10ELNS1_11target_archE1201ELNS1_3gpuE5ELNS1_3repE0EEENS1_30default_config_static_selectorELNS0_4arch9wavefront6targetE0EEEvT1_: ; @_ZN7rocprim17ROCPRIM_400000_NS6detail17trampoline_kernelINS0_14default_configENS1_29reduce_by_key_config_selectorIddN6thrust23THRUST_200600_302600_NS4plusIdEEEEZZNS1_33reduce_by_key_impl_wrapped_configILNS1_25lookback_scan_determinismE0ES3_S9_NS6_6detail15normal_iteratorINS6_10device_ptrIdEEEESG_SG_SG_PmS8_NS6_8equal_toIdEEEE10hipError_tPvRmT2_T3_mT4_T5_T6_T7_T8_P12ihipStream_tbENKUlT_T0_E_clISt17integral_constantIbLb1EES10_IbLb0EEEEDaSW_SX_EUlSW_E_NS1_11comp_targetILNS1_3genE10ELNS1_11target_archE1201ELNS1_3gpuE5ELNS1_3repE0EEENS1_30default_config_static_selectorELNS0_4arch9wavefront6targetE0EEEvT1_
; %bb.0:
	.section	.rodata,"a",@progbits
	.p2align	6, 0x0
	.amdhsa_kernel _ZN7rocprim17ROCPRIM_400000_NS6detail17trampoline_kernelINS0_14default_configENS1_29reduce_by_key_config_selectorIddN6thrust23THRUST_200600_302600_NS4plusIdEEEEZZNS1_33reduce_by_key_impl_wrapped_configILNS1_25lookback_scan_determinismE0ES3_S9_NS6_6detail15normal_iteratorINS6_10device_ptrIdEEEESG_SG_SG_PmS8_NS6_8equal_toIdEEEE10hipError_tPvRmT2_T3_mT4_T5_T6_T7_T8_P12ihipStream_tbENKUlT_T0_E_clISt17integral_constantIbLb1EES10_IbLb0EEEEDaSW_SX_EUlSW_E_NS1_11comp_targetILNS1_3genE10ELNS1_11target_archE1201ELNS1_3gpuE5ELNS1_3repE0EEENS1_30default_config_static_selectorELNS0_4arch9wavefront6targetE0EEEvT1_
		.amdhsa_group_segment_fixed_size 0
		.amdhsa_private_segment_fixed_size 0
		.amdhsa_kernarg_size 136
		.amdhsa_user_sgpr_count 15
		.amdhsa_user_sgpr_dispatch_ptr 0
		.amdhsa_user_sgpr_queue_ptr 0
		.amdhsa_user_sgpr_kernarg_segment_ptr 1
		.amdhsa_user_sgpr_dispatch_id 0
		.amdhsa_user_sgpr_private_segment_size 0
		.amdhsa_wavefront_size32 1
		.amdhsa_uses_dynamic_stack 0
		.amdhsa_enable_private_segment 0
		.amdhsa_system_sgpr_workgroup_id_x 1
		.amdhsa_system_sgpr_workgroup_id_y 0
		.amdhsa_system_sgpr_workgroup_id_z 0
		.amdhsa_system_sgpr_workgroup_info 0
		.amdhsa_system_vgpr_workitem_id 0
		.amdhsa_next_free_vgpr 1
		.amdhsa_next_free_sgpr 1
		.amdhsa_reserve_vcc 0
		.amdhsa_float_round_mode_32 0
		.amdhsa_float_round_mode_16_64 0
		.amdhsa_float_denorm_mode_32 3
		.amdhsa_float_denorm_mode_16_64 3
		.amdhsa_dx10_clamp 1
		.amdhsa_ieee_mode 1
		.amdhsa_fp16_overflow 0
		.amdhsa_workgroup_processor_mode 1
		.amdhsa_memory_ordered 1
		.amdhsa_forward_progress 0
		.amdhsa_shared_vgpr_count 0
		.amdhsa_exception_fp_ieee_invalid_op 0
		.amdhsa_exception_fp_denorm_src 0
		.amdhsa_exception_fp_ieee_div_zero 0
		.amdhsa_exception_fp_ieee_overflow 0
		.amdhsa_exception_fp_ieee_underflow 0
		.amdhsa_exception_fp_ieee_inexact 0
		.amdhsa_exception_int_div_zero 0
	.end_amdhsa_kernel
	.section	.text._ZN7rocprim17ROCPRIM_400000_NS6detail17trampoline_kernelINS0_14default_configENS1_29reduce_by_key_config_selectorIddN6thrust23THRUST_200600_302600_NS4plusIdEEEEZZNS1_33reduce_by_key_impl_wrapped_configILNS1_25lookback_scan_determinismE0ES3_S9_NS6_6detail15normal_iteratorINS6_10device_ptrIdEEEESG_SG_SG_PmS8_NS6_8equal_toIdEEEE10hipError_tPvRmT2_T3_mT4_T5_T6_T7_T8_P12ihipStream_tbENKUlT_T0_E_clISt17integral_constantIbLb1EES10_IbLb0EEEEDaSW_SX_EUlSW_E_NS1_11comp_targetILNS1_3genE10ELNS1_11target_archE1201ELNS1_3gpuE5ELNS1_3repE0EEENS1_30default_config_static_selectorELNS0_4arch9wavefront6targetE0EEEvT1_,"axG",@progbits,_ZN7rocprim17ROCPRIM_400000_NS6detail17trampoline_kernelINS0_14default_configENS1_29reduce_by_key_config_selectorIddN6thrust23THRUST_200600_302600_NS4plusIdEEEEZZNS1_33reduce_by_key_impl_wrapped_configILNS1_25lookback_scan_determinismE0ES3_S9_NS6_6detail15normal_iteratorINS6_10device_ptrIdEEEESG_SG_SG_PmS8_NS6_8equal_toIdEEEE10hipError_tPvRmT2_T3_mT4_T5_T6_T7_T8_P12ihipStream_tbENKUlT_T0_E_clISt17integral_constantIbLb1EES10_IbLb0EEEEDaSW_SX_EUlSW_E_NS1_11comp_targetILNS1_3genE10ELNS1_11target_archE1201ELNS1_3gpuE5ELNS1_3repE0EEENS1_30default_config_static_selectorELNS0_4arch9wavefront6targetE0EEEvT1_,comdat
.Lfunc_end37:
	.size	_ZN7rocprim17ROCPRIM_400000_NS6detail17trampoline_kernelINS0_14default_configENS1_29reduce_by_key_config_selectorIddN6thrust23THRUST_200600_302600_NS4plusIdEEEEZZNS1_33reduce_by_key_impl_wrapped_configILNS1_25lookback_scan_determinismE0ES3_S9_NS6_6detail15normal_iteratorINS6_10device_ptrIdEEEESG_SG_SG_PmS8_NS6_8equal_toIdEEEE10hipError_tPvRmT2_T3_mT4_T5_T6_T7_T8_P12ihipStream_tbENKUlT_T0_E_clISt17integral_constantIbLb1EES10_IbLb0EEEEDaSW_SX_EUlSW_E_NS1_11comp_targetILNS1_3genE10ELNS1_11target_archE1201ELNS1_3gpuE5ELNS1_3repE0EEENS1_30default_config_static_selectorELNS0_4arch9wavefront6targetE0EEEvT1_, .Lfunc_end37-_ZN7rocprim17ROCPRIM_400000_NS6detail17trampoline_kernelINS0_14default_configENS1_29reduce_by_key_config_selectorIddN6thrust23THRUST_200600_302600_NS4plusIdEEEEZZNS1_33reduce_by_key_impl_wrapped_configILNS1_25lookback_scan_determinismE0ES3_S9_NS6_6detail15normal_iteratorINS6_10device_ptrIdEEEESG_SG_SG_PmS8_NS6_8equal_toIdEEEE10hipError_tPvRmT2_T3_mT4_T5_T6_T7_T8_P12ihipStream_tbENKUlT_T0_E_clISt17integral_constantIbLb1EES10_IbLb0EEEEDaSW_SX_EUlSW_E_NS1_11comp_targetILNS1_3genE10ELNS1_11target_archE1201ELNS1_3gpuE5ELNS1_3repE0EEENS1_30default_config_static_selectorELNS0_4arch9wavefront6targetE0EEEvT1_
                                        ; -- End function
	.section	.AMDGPU.csdata,"",@progbits
; Kernel info:
; codeLenInByte = 0
; NumSgprs: 0
; NumVgprs: 0
; ScratchSize: 0
; MemoryBound: 0
; FloatMode: 240
; IeeeMode: 1
; LDSByteSize: 0 bytes/workgroup (compile time only)
; SGPRBlocks: 0
; VGPRBlocks: 0
; NumSGPRsForWavesPerEU: 1
; NumVGPRsForWavesPerEU: 1
; Occupancy: 16
; WaveLimiterHint : 0
; COMPUTE_PGM_RSRC2:SCRATCH_EN: 0
; COMPUTE_PGM_RSRC2:USER_SGPR: 15
; COMPUTE_PGM_RSRC2:TRAP_HANDLER: 0
; COMPUTE_PGM_RSRC2:TGID_X_EN: 1
; COMPUTE_PGM_RSRC2:TGID_Y_EN: 0
; COMPUTE_PGM_RSRC2:TGID_Z_EN: 0
; COMPUTE_PGM_RSRC2:TIDIG_COMP_CNT: 0
	.section	.text._ZN7rocprim17ROCPRIM_400000_NS6detail17trampoline_kernelINS0_14default_configENS1_29reduce_by_key_config_selectorIddN6thrust23THRUST_200600_302600_NS4plusIdEEEEZZNS1_33reduce_by_key_impl_wrapped_configILNS1_25lookback_scan_determinismE0ES3_S9_NS6_6detail15normal_iteratorINS6_10device_ptrIdEEEESG_SG_SG_PmS8_NS6_8equal_toIdEEEE10hipError_tPvRmT2_T3_mT4_T5_T6_T7_T8_P12ihipStream_tbENKUlT_T0_E_clISt17integral_constantIbLb1EES10_IbLb0EEEEDaSW_SX_EUlSW_E_NS1_11comp_targetILNS1_3genE10ELNS1_11target_archE1200ELNS1_3gpuE4ELNS1_3repE0EEENS1_30default_config_static_selectorELNS0_4arch9wavefront6targetE0EEEvT1_,"axG",@progbits,_ZN7rocprim17ROCPRIM_400000_NS6detail17trampoline_kernelINS0_14default_configENS1_29reduce_by_key_config_selectorIddN6thrust23THRUST_200600_302600_NS4plusIdEEEEZZNS1_33reduce_by_key_impl_wrapped_configILNS1_25lookback_scan_determinismE0ES3_S9_NS6_6detail15normal_iteratorINS6_10device_ptrIdEEEESG_SG_SG_PmS8_NS6_8equal_toIdEEEE10hipError_tPvRmT2_T3_mT4_T5_T6_T7_T8_P12ihipStream_tbENKUlT_T0_E_clISt17integral_constantIbLb1EES10_IbLb0EEEEDaSW_SX_EUlSW_E_NS1_11comp_targetILNS1_3genE10ELNS1_11target_archE1200ELNS1_3gpuE4ELNS1_3repE0EEENS1_30default_config_static_selectorELNS0_4arch9wavefront6targetE0EEEvT1_,comdat
	.protected	_ZN7rocprim17ROCPRIM_400000_NS6detail17trampoline_kernelINS0_14default_configENS1_29reduce_by_key_config_selectorIddN6thrust23THRUST_200600_302600_NS4plusIdEEEEZZNS1_33reduce_by_key_impl_wrapped_configILNS1_25lookback_scan_determinismE0ES3_S9_NS6_6detail15normal_iteratorINS6_10device_ptrIdEEEESG_SG_SG_PmS8_NS6_8equal_toIdEEEE10hipError_tPvRmT2_T3_mT4_T5_T6_T7_T8_P12ihipStream_tbENKUlT_T0_E_clISt17integral_constantIbLb1EES10_IbLb0EEEEDaSW_SX_EUlSW_E_NS1_11comp_targetILNS1_3genE10ELNS1_11target_archE1200ELNS1_3gpuE4ELNS1_3repE0EEENS1_30default_config_static_selectorELNS0_4arch9wavefront6targetE0EEEvT1_ ; -- Begin function _ZN7rocprim17ROCPRIM_400000_NS6detail17trampoline_kernelINS0_14default_configENS1_29reduce_by_key_config_selectorIddN6thrust23THRUST_200600_302600_NS4plusIdEEEEZZNS1_33reduce_by_key_impl_wrapped_configILNS1_25lookback_scan_determinismE0ES3_S9_NS6_6detail15normal_iteratorINS6_10device_ptrIdEEEESG_SG_SG_PmS8_NS6_8equal_toIdEEEE10hipError_tPvRmT2_T3_mT4_T5_T6_T7_T8_P12ihipStream_tbENKUlT_T0_E_clISt17integral_constantIbLb1EES10_IbLb0EEEEDaSW_SX_EUlSW_E_NS1_11comp_targetILNS1_3genE10ELNS1_11target_archE1200ELNS1_3gpuE4ELNS1_3repE0EEENS1_30default_config_static_selectorELNS0_4arch9wavefront6targetE0EEEvT1_
	.globl	_ZN7rocprim17ROCPRIM_400000_NS6detail17trampoline_kernelINS0_14default_configENS1_29reduce_by_key_config_selectorIddN6thrust23THRUST_200600_302600_NS4plusIdEEEEZZNS1_33reduce_by_key_impl_wrapped_configILNS1_25lookback_scan_determinismE0ES3_S9_NS6_6detail15normal_iteratorINS6_10device_ptrIdEEEESG_SG_SG_PmS8_NS6_8equal_toIdEEEE10hipError_tPvRmT2_T3_mT4_T5_T6_T7_T8_P12ihipStream_tbENKUlT_T0_E_clISt17integral_constantIbLb1EES10_IbLb0EEEEDaSW_SX_EUlSW_E_NS1_11comp_targetILNS1_3genE10ELNS1_11target_archE1200ELNS1_3gpuE4ELNS1_3repE0EEENS1_30default_config_static_selectorELNS0_4arch9wavefront6targetE0EEEvT1_
	.p2align	8
	.type	_ZN7rocprim17ROCPRIM_400000_NS6detail17trampoline_kernelINS0_14default_configENS1_29reduce_by_key_config_selectorIddN6thrust23THRUST_200600_302600_NS4plusIdEEEEZZNS1_33reduce_by_key_impl_wrapped_configILNS1_25lookback_scan_determinismE0ES3_S9_NS6_6detail15normal_iteratorINS6_10device_ptrIdEEEESG_SG_SG_PmS8_NS6_8equal_toIdEEEE10hipError_tPvRmT2_T3_mT4_T5_T6_T7_T8_P12ihipStream_tbENKUlT_T0_E_clISt17integral_constantIbLb1EES10_IbLb0EEEEDaSW_SX_EUlSW_E_NS1_11comp_targetILNS1_3genE10ELNS1_11target_archE1200ELNS1_3gpuE4ELNS1_3repE0EEENS1_30default_config_static_selectorELNS0_4arch9wavefront6targetE0EEEvT1_,@function
_ZN7rocprim17ROCPRIM_400000_NS6detail17trampoline_kernelINS0_14default_configENS1_29reduce_by_key_config_selectorIddN6thrust23THRUST_200600_302600_NS4plusIdEEEEZZNS1_33reduce_by_key_impl_wrapped_configILNS1_25lookback_scan_determinismE0ES3_S9_NS6_6detail15normal_iteratorINS6_10device_ptrIdEEEESG_SG_SG_PmS8_NS6_8equal_toIdEEEE10hipError_tPvRmT2_T3_mT4_T5_T6_T7_T8_P12ihipStream_tbENKUlT_T0_E_clISt17integral_constantIbLb1EES10_IbLb0EEEEDaSW_SX_EUlSW_E_NS1_11comp_targetILNS1_3genE10ELNS1_11target_archE1200ELNS1_3gpuE4ELNS1_3repE0EEENS1_30default_config_static_selectorELNS0_4arch9wavefront6targetE0EEEvT1_: ; @_ZN7rocprim17ROCPRIM_400000_NS6detail17trampoline_kernelINS0_14default_configENS1_29reduce_by_key_config_selectorIddN6thrust23THRUST_200600_302600_NS4plusIdEEEEZZNS1_33reduce_by_key_impl_wrapped_configILNS1_25lookback_scan_determinismE0ES3_S9_NS6_6detail15normal_iteratorINS6_10device_ptrIdEEEESG_SG_SG_PmS8_NS6_8equal_toIdEEEE10hipError_tPvRmT2_T3_mT4_T5_T6_T7_T8_P12ihipStream_tbENKUlT_T0_E_clISt17integral_constantIbLb1EES10_IbLb0EEEEDaSW_SX_EUlSW_E_NS1_11comp_targetILNS1_3genE10ELNS1_11target_archE1200ELNS1_3gpuE4ELNS1_3repE0EEENS1_30default_config_static_selectorELNS0_4arch9wavefront6targetE0EEEvT1_
; %bb.0:
	.section	.rodata,"a",@progbits
	.p2align	6, 0x0
	.amdhsa_kernel _ZN7rocprim17ROCPRIM_400000_NS6detail17trampoline_kernelINS0_14default_configENS1_29reduce_by_key_config_selectorIddN6thrust23THRUST_200600_302600_NS4plusIdEEEEZZNS1_33reduce_by_key_impl_wrapped_configILNS1_25lookback_scan_determinismE0ES3_S9_NS6_6detail15normal_iteratorINS6_10device_ptrIdEEEESG_SG_SG_PmS8_NS6_8equal_toIdEEEE10hipError_tPvRmT2_T3_mT4_T5_T6_T7_T8_P12ihipStream_tbENKUlT_T0_E_clISt17integral_constantIbLb1EES10_IbLb0EEEEDaSW_SX_EUlSW_E_NS1_11comp_targetILNS1_3genE10ELNS1_11target_archE1200ELNS1_3gpuE4ELNS1_3repE0EEENS1_30default_config_static_selectorELNS0_4arch9wavefront6targetE0EEEvT1_
		.amdhsa_group_segment_fixed_size 0
		.amdhsa_private_segment_fixed_size 0
		.amdhsa_kernarg_size 136
		.amdhsa_user_sgpr_count 15
		.amdhsa_user_sgpr_dispatch_ptr 0
		.amdhsa_user_sgpr_queue_ptr 0
		.amdhsa_user_sgpr_kernarg_segment_ptr 1
		.amdhsa_user_sgpr_dispatch_id 0
		.amdhsa_user_sgpr_private_segment_size 0
		.amdhsa_wavefront_size32 1
		.amdhsa_uses_dynamic_stack 0
		.amdhsa_enable_private_segment 0
		.amdhsa_system_sgpr_workgroup_id_x 1
		.amdhsa_system_sgpr_workgroup_id_y 0
		.amdhsa_system_sgpr_workgroup_id_z 0
		.amdhsa_system_sgpr_workgroup_info 0
		.amdhsa_system_vgpr_workitem_id 0
		.amdhsa_next_free_vgpr 1
		.amdhsa_next_free_sgpr 1
		.amdhsa_reserve_vcc 0
		.amdhsa_float_round_mode_32 0
		.amdhsa_float_round_mode_16_64 0
		.amdhsa_float_denorm_mode_32 3
		.amdhsa_float_denorm_mode_16_64 3
		.amdhsa_dx10_clamp 1
		.amdhsa_ieee_mode 1
		.amdhsa_fp16_overflow 0
		.amdhsa_workgroup_processor_mode 1
		.amdhsa_memory_ordered 1
		.amdhsa_forward_progress 0
		.amdhsa_shared_vgpr_count 0
		.amdhsa_exception_fp_ieee_invalid_op 0
		.amdhsa_exception_fp_denorm_src 0
		.amdhsa_exception_fp_ieee_div_zero 0
		.amdhsa_exception_fp_ieee_overflow 0
		.amdhsa_exception_fp_ieee_underflow 0
		.amdhsa_exception_fp_ieee_inexact 0
		.amdhsa_exception_int_div_zero 0
	.end_amdhsa_kernel
	.section	.text._ZN7rocprim17ROCPRIM_400000_NS6detail17trampoline_kernelINS0_14default_configENS1_29reduce_by_key_config_selectorIddN6thrust23THRUST_200600_302600_NS4plusIdEEEEZZNS1_33reduce_by_key_impl_wrapped_configILNS1_25lookback_scan_determinismE0ES3_S9_NS6_6detail15normal_iteratorINS6_10device_ptrIdEEEESG_SG_SG_PmS8_NS6_8equal_toIdEEEE10hipError_tPvRmT2_T3_mT4_T5_T6_T7_T8_P12ihipStream_tbENKUlT_T0_E_clISt17integral_constantIbLb1EES10_IbLb0EEEEDaSW_SX_EUlSW_E_NS1_11comp_targetILNS1_3genE10ELNS1_11target_archE1200ELNS1_3gpuE4ELNS1_3repE0EEENS1_30default_config_static_selectorELNS0_4arch9wavefront6targetE0EEEvT1_,"axG",@progbits,_ZN7rocprim17ROCPRIM_400000_NS6detail17trampoline_kernelINS0_14default_configENS1_29reduce_by_key_config_selectorIddN6thrust23THRUST_200600_302600_NS4plusIdEEEEZZNS1_33reduce_by_key_impl_wrapped_configILNS1_25lookback_scan_determinismE0ES3_S9_NS6_6detail15normal_iteratorINS6_10device_ptrIdEEEESG_SG_SG_PmS8_NS6_8equal_toIdEEEE10hipError_tPvRmT2_T3_mT4_T5_T6_T7_T8_P12ihipStream_tbENKUlT_T0_E_clISt17integral_constantIbLb1EES10_IbLb0EEEEDaSW_SX_EUlSW_E_NS1_11comp_targetILNS1_3genE10ELNS1_11target_archE1200ELNS1_3gpuE4ELNS1_3repE0EEENS1_30default_config_static_selectorELNS0_4arch9wavefront6targetE0EEEvT1_,comdat
.Lfunc_end38:
	.size	_ZN7rocprim17ROCPRIM_400000_NS6detail17trampoline_kernelINS0_14default_configENS1_29reduce_by_key_config_selectorIddN6thrust23THRUST_200600_302600_NS4plusIdEEEEZZNS1_33reduce_by_key_impl_wrapped_configILNS1_25lookback_scan_determinismE0ES3_S9_NS6_6detail15normal_iteratorINS6_10device_ptrIdEEEESG_SG_SG_PmS8_NS6_8equal_toIdEEEE10hipError_tPvRmT2_T3_mT4_T5_T6_T7_T8_P12ihipStream_tbENKUlT_T0_E_clISt17integral_constantIbLb1EES10_IbLb0EEEEDaSW_SX_EUlSW_E_NS1_11comp_targetILNS1_3genE10ELNS1_11target_archE1200ELNS1_3gpuE4ELNS1_3repE0EEENS1_30default_config_static_selectorELNS0_4arch9wavefront6targetE0EEEvT1_, .Lfunc_end38-_ZN7rocprim17ROCPRIM_400000_NS6detail17trampoline_kernelINS0_14default_configENS1_29reduce_by_key_config_selectorIddN6thrust23THRUST_200600_302600_NS4plusIdEEEEZZNS1_33reduce_by_key_impl_wrapped_configILNS1_25lookback_scan_determinismE0ES3_S9_NS6_6detail15normal_iteratorINS6_10device_ptrIdEEEESG_SG_SG_PmS8_NS6_8equal_toIdEEEE10hipError_tPvRmT2_T3_mT4_T5_T6_T7_T8_P12ihipStream_tbENKUlT_T0_E_clISt17integral_constantIbLb1EES10_IbLb0EEEEDaSW_SX_EUlSW_E_NS1_11comp_targetILNS1_3genE10ELNS1_11target_archE1200ELNS1_3gpuE4ELNS1_3repE0EEENS1_30default_config_static_selectorELNS0_4arch9wavefront6targetE0EEEvT1_
                                        ; -- End function
	.section	.AMDGPU.csdata,"",@progbits
; Kernel info:
; codeLenInByte = 0
; NumSgprs: 0
; NumVgprs: 0
; ScratchSize: 0
; MemoryBound: 0
; FloatMode: 240
; IeeeMode: 1
; LDSByteSize: 0 bytes/workgroup (compile time only)
; SGPRBlocks: 0
; VGPRBlocks: 0
; NumSGPRsForWavesPerEU: 1
; NumVGPRsForWavesPerEU: 1
; Occupancy: 16
; WaveLimiterHint : 0
; COMPUTE_PGM_RSRC2:SCRATCH_EN: 0
; COMPUTE_PGM_RSRC2:USER_SGPR: 15
; COMPUTE_PGM_RSRC2:TRAP_HANDLER: 0
; COMPUTE_PGM_RSRC2:TGID_X_EN: 1
; COMPUTE_PGM_RSRC2:TGID_Y_EN: 0
; COMPUTE_PGM_RSRC2:TGID_Z_EN: 0
; COMPUTE_PGM_RSRC2:TIDIG_COMP_CNT: 0
	.section	.text._ZN7rocprim17ROCPRIM_400000_NS6detail17trampoline_kernelINS0_14default_configENS1_29reduce_by_key_config_selectorIddN6thrust23THRUST_200600_302600_NS4plusIdEEEEZZNS1_33reduce_by_key_impl_wrapped_configILNS1_25lookback_scan_determinismE0ES3_S9_NS6_6detail15normal_iteratorINS6_10device_ptrIdEEEESG_SG_SG_PmS8_NS6_8equal_toIdEEEE10hipError_tPvRmT2_T3_mT4_T5_T6_T7_T8_P12ihipStream_tbENKUlT_T0_E_clISt17integral_constantIbLb1EES10_IbLb0EEEEDaSW_SX_EUlSW_E_NS1_11comp_targetILNS1_3genE9ELNS1_11target_archE1100ELNS1_3gpuE3ELNS1_3repE0EEENS1_30default_config_static_selectorELNS0_4arch9wavefront6targetE0EEEvT1_,"axG",@progbits,_ZN7rocprim17ROCPRIM_400000_NS6detail17trampoline_kernelINS0_14default_configENS1_29reduce_by_key_config_selectorIddN6thrust23THRUST_200600_302600_NS4plusIdEEEEZZNS1_33reduce_by_key_impl_wrapped_configILNS1_25lookback_scan_determinismE0ES3_S9_NS6_6detail15normal_iteratorINS6_10device_ptrIdEEEESG_SG_SG_PmS8_NS6_8equal_toIdEEEE10hipError_tPvRmT2_T3_mT4_T5_T6_T7_T8_P12ihipStream_tbENKUlT_T0_E_clISt17integral_constantIbLb1EES10_IbLb0EEEEDaSW_SX_EUlSW_E_NS1_11comp_targetILNS1_3genE9ELNS1_11target_archE1100ELNS1_3gpuE3ELNS1_3repE0EEENS1_30default_config_static_selectorELNS0_4arch9wavefront6targetE0EEEvT1_,comdat
	.protected	_ZN7rocprim17ROCPRIM_400000_NS6detail17trampoline_kernelINS0_14default_configENS1_29reduce_by_key_config_selectorIddN6thrust23THRUST_200600_302600_NS4plusIdEEEEZZNS1_33reduce_by_key_impl_wrapped_configILNS1_25lookback_scan_determinismE0ES3_S9_NS6_6detail15normal_iteratorINS6_10device_ptrIdEEEESG_SG_SG_PmS8_NS6_8equal_toIdEEEE10hipError_tPvRmT2_T3_mT4_T5_T6_T7_T8_P12ihipStream_tbENKUlT_T0_E_clISt17integral_constantIbLb1EES10_IbLb0EEEEDaSW_SX_EUlSW_E_NS1_11comp_targetILNS1_3genE9ELNS1_11target_archE1100ELNS1_3gpuE3ELNS1_3repE0EEENS1_30default_config_static_selectorELNS0_4arch9wavefront6targetE0EEEvT1_ ; -- Begin function _ZN7rocprim17ROCPRIM_400000_NS6detail17trampoline_kernelINS0_14default_configENS1_29reduce_by_key_config_selectorIddN6thrust23THRUST_200600_302600_NS4plusIdEEEEZZNS1_33reduce_by_key_impl_wrapped_configILNS1_25lookback_scan_determinismE0ES3_S9_NS6_6detail15normal_iteratorINS6_10device_ptrIdEEEESG_SG_SG_PmS8_NS6_8equal_toIdEEEE10hipError_tPvRmT2_T3_mT4_T5_T6_T7_T8_P12ihipStream_tbENKUlT_T0_E_clISt17integral_constantIbLb1EES10_IbLb0EEEEDaSW_SX_EUlSW_E_NS1_11comp_targetILNS1_3genE9ELNS1_11target_archE1100ELNS1_3gpuE3ELNS1_3repE0EEENS1_30default_config_static_selectorELNS0_4arch9wavefront6targetE0EEEvT1_
	.globl	_ZN7rocprim17ROCPRIM_400000_NS6detail17trampoline_kernelINS0_14default_configENS1_29reduce_by_key_config_selectorIddN6thrust23THRUST_200600_302600_NS4plusIdEEEEZZNS1_33reduce_by_key_impl_wrapped_configILNS1_25lookback_scan_determinismE0ES3_S9_NS6_6detail15normal_iteratorINS6_10device_ptrIdEEEESG_SG_SG_PmS8_NS6_8equal_toIdEEEE10hipError_tPvRmT2_T3_mT4_T5_T6_T7_T8_P12ihipStream_tbENKUlT_T0_E_clISt17integral_constantIbLb1EES10_IbLb0EEEEDaSW_SX_EUlSW_E_NS1_11comp_targetILNS1_3genE9ELNS1_11target_archE1100ELNS1_3gpuE3ELNS1_3repE0EEENS1_30default_config_static_selectorELNS0_4arch9wavefront6targetE0EEEvT1_
	.p2align	8
	.type	_ZN7rocprim17ROCPRIM_400000_NS6detail17trampoline_kernelINS0_14default_configENS1_29reduce_by_key_config_selectorIddN6thrust23THRUST_200600_302600_NS4plusIdEEEEZZNS1_33reduce_by_key_impl_wrapped_configILNS1_25lookback_scan_determinismE0ES3_S9_NS6_6detail15normal_iteratorINS6_10device_ptrIdEEEESG_SG_SG_PmS8_NS6_8equal_toIdEEEE10hipError_tPvRmT2_T3_mT4_T5_T6_T7_T8_P12ihipStream_tbENKUlT_T0_E_clISt17integral_constantIbLb1EES10_IbLb0EEEEDaSW_SX_EUlSW_E_NS1_11comp_targetILNS1_3genE9ELNS1_11target_archE1100ELNS1_3gpuE3ELNS1_3repE0EEENS1_30default_config_static_selectorELNS0_4arch9wavefront6targetE0EEEvT1_,@function
_ZN7rocprim17ROCPRIM_400000_NS6detail17trampoline_kernelINS0_14default_configENS1_29reduce_by_key_config_selectorIddN6thrust23THRUST_200600_302600_NS4plusIdEEEEZZNS1_33reduce_by_key_impl_wrapped_configILNS1_25lookback_scan_determinismE0ES3_S9_NS6_6detail15normal_iteratorINS6_10device_ptrIdEEEESG_SG_SG_PmS8_NS6_8equal_toIdEEEE10hipError_tPvRmT2_T3_mT4_T5_T6_T7_T8_P12ihipStream_tbENKUlT_T0_E_clISt17integral_constantIbLb1EES10_IbLb0EEEEDaSW_SX_EUlSW_E_NS1_11comp_targetILNS1_3genE9ELNS1_11target_archE1100ELNS1_3gpuE3ELNS1_3repE0EEENS1_30default_config_static_selectorELNS0_4arch9wavefront6targetE0EEEvT1_: ; @_ZN7rocprim17ROCPRIM_400000_NS6detail17trampoline_kernelINS0_14default_configENS1_29reduce_by_key_config_selectorIddN6thrust23THRUST_200600_302600_NS4plusIdEEEEZZNS1_33reduce_by_key_impl_wrapped_configILNS1_25lookback_scan_determinismE0ES3_S9_NS6_6detail15normal_iteratorINS6_10device_ptrIdEEEESG_SG_SG_PmS8_NS6_8equal_toIdEEEE10hipError_tPvRmT2_T3_mT4_T5_T6_T7_T8_P12ihipStream_tbENKUlT_T0_E_clISt17integral_constantIbLb1EES10_IbLb0EEEEDaSW_SX_EUlSW_E_NS1_11comp_targetILNS1_3genE9ELNS1_11target_archE1100ELNS1_3gpuE3ELNS1_3repE0EEENS1_30default_config_static_selectorELNS0_4arch9wavefront6targetE0EEEvT1_
; %bb.0:
	s_clause 0x2
	s_load_b256 s[20:27], s[0:1], 0x0
	s_load_b512 s[36:51], s[0:1], 0x38
	s_load_b128 s[28:31], s[0:1], 0x20
	s_mov_b32 s3, 0
	s_mul_i32 s2, s15, 0xf00
	s_waitcnt lgkmcnt(0)
	s_lshl_b64 s[4:5], s[22:23], 3
	s_mul_i32 s6, s44, s43
	s_add_u32 s10, s20, s4
	s_mul_hi_u32 s7, s44, s42
	s_addc_u32 s11, s21, s5
	s_add_u32 s12, s24, s4
	s_mul_i32 s8, s45, s42
	s_addc_u32 s13, s25, s5
	s_add_i32 s6, s7, s6
	s_lshl_b64 s[4:5], s[2:3], 3
	s_add_i32 s6, s6, s8
	s_add_u32 s18, s10, s4
	s_addc_u32 s14, s11, s5
	s_mul_i32 s9, s44, s42
	s_add_u32 s20, s12, s4
	s_addc_u32 s21, s13, s5
	s_add_u32 s16, s9, s15
	s_addc_u32 s17, s6, 0
	s_add_u32 s4, s46, -1
	s_addc_u32 s5, s47, -1
	s_mul_i32 s33, s4, 0xfffff100
	s_cmp_eq_u64 s[16:17], s[4:5]
	s_cselect_b32 s25, -1, 0
	s_cmp_lg_u64 s[16:17], s[4:5]
	s_cselect_b32 s19, -1, 0
	s_and_b32 vcc_lo, exec_lo, s25
	s_cbranch_vccnz .LBB39_2
; %bb.1:
	v_lshlrev_b32_e32 v62, 3, v0
	s_delay_alu instid0(VALU_DEP_1) | instskip(NEXT) | instid1(VALU_DEP_1)
	v_add_co_u32 v1, s2, s18, v62
	v_add_co_ci_u32_e64 v2, null, s14, 0, s2
	v_add_co_u32 v31, s2, s20, v62
	s_delay_alu instid0(VALU_DEP_3) | instskip(NEXT) | instid1(VALU_DEP_3)
	v_add_co_u32 v3, vcc_lo, 0x1000, v1
	v_add_co_ci_u32_e32 v4, vcc_lo, 0, v2, vcc_lo
	v_add_co_u32 v5, vcc_lo, 0x2000, v1
	v_add_co_ci_u32_e32 v6, vcc_lo, 0, v2, vcc_lo
	;; [unrolled: 2-line block ×6, first 2 shown]
	s_clause 0x7
	flat_load_b64 v[9:10], v[1:2]
	flat_load_b64 v[11:12], v[1:2] offset:2048
	flat_load_b64 v[13:14], v[3:4]
	flat_load_b64 v[3:4], v[3:4] offset:2048
	;; [unrolled: 2-line block ×4, first 2 shown]
	v_add_co_u32 v1, vcc_lo, 0x7000, v1
	v_add_co_ci_u32_e32 v2, vcc_lo, 0, v2, vcc_lo
	s_clause 0x6
	flat_load_b64 v[25:26], v[19:20]
	flat_load_b64 v[19:20], v[19:20] offset:2048
	flat_load_b64 v[27:28], v[21:22]
	flat_load_b64 v[21:22], v[21:22] offset:2048
	;; [unrolled: 2-line block ×3, first 2 shown]
	flat_load_b64 v[1:2], v[1:2]
	v_add_co_ci_u32_e64 v32, null, s21, 0, s2
	v_add_co_u32 v33, vcc_lo, 0x1000, v31
	v_mad_u32_u24 v61, 0x70, v0, v62
	s_delay_alu instid0(VALU_DEP_3)
	v_add_co_ci_u32_e32 v34, vcc_lo, 0, v32, vcc_lo
	v_add_co_u32 v35, vcc_lo, 0x2000, v31
	v_add_co_ci_u32_e32 v36, vcc_lo, 0, v32, vcc_lo
	v_add_co_u32 v37, vcc_lo, 0x3000, v31
	;; [unrolled: 2-line block ×6, first 2 shown]
	v_add_co_ci_u32_e32 v46, vcc_lo, 0, v32, vcc_lo
	s_waitcnt vmcnt(13) lgkmcnt(13)
	ds_store_2addr_stride64_b64 v62, v[9:10], v[11:12] offset1:4
	s_waitcnt vmcnt(11) lgkmcnt(12)
	ds_store_2addr_stride64_b64 v62, v[13:14], v[3:4] offset0:8 offset1:12
	s_waitcnt vmcnt(9) lgkmcnt(11)
	ds_store_2addr_stride64_b64 v62, v[15:16], v[5:6] offset0:16 offset1:20
	;; [unrolled: 2-line block ×6, first 2 shown]
	s_waitcnt vmcnt(0) lgkmcnt(7)
	ds_store_b64 v62, v[1:2] offset:28672
	s_waitcnt lgkmcnt(0)
	s_barrier
	buffer_gl0_inv
	ds_load_2addr_b64 v[25:28], v61 offset1:1
	ds_load_2addr_b64 v[21:24], v61 offset0:2 offset1:3
	ds_load_2addr_b64 v[17:20], v61 offset0:4 offset1:5
	;; [unrolled: 1-line block ×6, first 2 shown]
	ds_load_b64 v[57:58], v61 offset:112
	s_waitcnt lgkmcnt(0)
	s_barrier
	buffer_gl0_inv
	s_clause 0xe
	flat_load_b64 v[29:30], v[31:32]
	flat_load_b64 v[31:32], v[31:32] offset:2048
	flat_load_b64 v[47:48], v[33:34]
	flat_load_b64 v[33:34], v[33:34] offset:2048
	;; [unrolled: 2-line block ×7, first 2 shown]
	flat_load_b64 v[45:46], v[45:46]
	s_waitcnt vmcnt(13) lgkmcnt(13)
	ds_store_2addr_stride64_b64 v62, v[29:30], v[31:32] offset1:4
	s_waitcnt vmcnt(11) lgkmcnt(12)
	ds_store_2addr_stride64_b64 v62, v[47:48], v[33:34] offset0:8 offset1:12
	s_waitcnt vmcnt(9) lgkmcnt(11)
	ds_store_2addr_stride64_b64 v62, v[49:50], v[35:36] offset0:16 offset1:20
	;; [unrolled: 2-line block ×6, first 2 shown]
	s_waitcnt vmcnt(0) lgkmcnt(7)
	ds_store_b64 v62, v[45:46] offset:28672
	s_waitcnt lgkmcnt(0)
	s_barrier
	s_load_b64 s[34:35], s[0:1], 0x78
	s_and_not1_b32 vcc_lo, exec_lo, s3
	s_add_i32 s33, s33, s48
	s_cbranch_vccz .LBB39_3
	s_branch .LBB39_50
.LBB39_2:
                                        ; implicit-def: $vgpr61
                                        ; implicit-def: $vgpr25_vgpr26
                                        ; implicit-def: $vgpr21_vgpr22
                                        ; implicit-def: $vgpr17_vgpr18
                                        ; implicit-def: $vgpr13_vgpr14
                                        ; implicit-def: $vgpr9_vgpr10
                                        ; implicit-def: $vgpr5_vgpr6
                                        ; implicit-def: $vgpr1_vgpr2
                                        ; implicit-def: $vgpr57_vgpr58
	s_load_b64 s[34:35], s[0:1], 0x78
	s_add_i32 s33, s33, s48
.LBB39_3:
	s_delay_alu instid0(SALU_CYCLE_1)
	v_cmp_gt_u32_e32 vcc_lo, s33, v0
                                        ; implicit-def: $vgpr1_vgpr2
	s_and_saveexec_b32 s0, vcc_lo
	s_cbranch_execz .LBB39_5
; %bb.4:
	v_lshlrev_b32_e32 v1, 3, v0
	s_delay_alu instid0(VALU_DEP_1) | instskip(NEXT) | instid1(VALU_DEP_1)
	v_add_co_u32 v1, s1, s18, v1
	v_add_co_ci_u32_e64 v2, null, s14, 0, s1
	flat_load_b64 v[1:2], v[1:2]
.LBB39_5:
	s_or_b32 exec_lo, exec_lo, s0
	v_or_b32_e32 v3, 0x100, v0
	s_delay_alu instid0(VALU_DEP_1) | instskip(NEXT) | instid1(VALU_DEP_1)
	v_cmp_gt_u32_e64 s0, s33, v3
                                        ; implicit-def: $vgpr3_vgpr4
	s_and_saveexec_b32 s1, s0
	s_cbranch_execz .LBB39_7
; %bb.6:
	v_lshlrev_b32_e32 v3, 3, v0
	s_delay_alu instid0(VALU_DEP_1) | instskip(NEXT) | instid1(VALU_DEP_1)
	v_add_co_u32 v3, s2, s18, v3
	v_add_co_ci_u32_e64 v4, null, s14, 0, s2
	flat_load_b64 v[3:4], v[3:4] offset:2048
.LBB39_7:
	s_or_b32 exec_lo, exec_lo, s1
	v_or_b32_e32 v35, 0x200, v0
                                        ; implicit-def: $vgpr5_vgpr6
	s_delay_alu instid0(VALU_DEP_1) | instskip(NEXT) | instid1(VALU_DEP_1)
	v_cmp_gt_u32_e64 s1, s33, v35
	s_and_saveexec_b32 s2, s1
	s_cbranch_execz .LBB39_9
; %bb.8:
	v_lshlrev_b32_e32 v5, 3, v35
	s_delay_alu instid0(VALU_DEP_1) | instskip(NEXT) | instid1(VALU_DEP_1)
	v_add_co_u32 v5, s3, s18, v5
	v_add_co_ci_u32_e64 v6, null, s14, 0, s3
	flat_load_b64 v[5:6], v[5:6]
.LBB39_9:
	s_or_b32 exec_lo, exec_lo, s2
	v_or_b32_e32 v37, 0x300, v0
                                        ; implicit-def: $vgpr7_vgpr8
	s_delay_alu instid0(VALU_DEP_1) | instskip(NEXT) | instid1(VALU_DEP_1)
	v_cmp_gt_u32_e64 s2, s33, v37
	s_and_saveexec_b32 s3, s2
	s_cbranch_execz .LBB39_11
; %bb.10:
	v_lshlrev_b32_e32 v7, 3, v37
	s_delay_alu instid0(VALU_DEP_1) | instskip(NEXT) | instid1(VALU_DEP_1)
	v_add_co_u32 v7, s4, s18, v7
	v_add_co_ci_u32_e64 v8, null, s14, 0, s4
	flat_load_b64 v[7:8], v[7:8]
.LBB39_11:
	s_or_b32 exec_lo, exec_lo, s3
	v_or_b32_e32 v39, 0x400, v0
                                        ; implicit-def: $vgpr9_vgpr10
	s_delay_alu instid0(VALU_DEP_1) | instskip(NEXT) | instid1(VALU_DEP_1)
	v_cmp_gt_u32_e64 s3, s33, v39
	s_and_saveexec_b32 s4, s3
	s_cbranch_execz .LBB39_13
; %bb.12:
	v_lshlrev_b32_e32 v9, 3, v39
	s_delay_alu instid0(VALU_DEP_1) | instskip(NEXT) | instid1(VALU_DEP_1)
	v_add_co_u32 v9, s5, s18, v9
	v_add_co_ci_u32_e64 v10, null, s14, 0, s5
	flat_load_b64 v[9:10], v[9:10]
.LBB39_13:
	s_or_b32 exec_lo, exec_lo, s4
	v_or_b32_e32 v41, 0x500, v0
                                        ; implicit-def: $vgpr11_vgpr12
	s_delay_alu instid0(VALU_DEP_1) | instskip(NEXT) | instid1(VALU_DEP_1)
	v_cmp_gt_u32_e64 s4, s33, v41
	s_and_saveexec_b32 s5, s4
	s_cbranch_execz .LBB39_15
; %bb.14:
	v_lshlrev_b32_e32 v11, 3, v41
	s_delay_alu instid0(VALU_DEP_1) | instskip(NEXT) | instid1(VALU_DEP_1)
	v_add_co_u32 v11, s6, s18, v11
	v_add_co_ci_u32_e64 v12, null, s14, 0, s6
	flat_load_b64 v[11:12], v[11:12]
.LBB39_15:
	s_or_b32 exec_lo, exec_lo, s5
	v_or_b32_e32 v43, 0x600, v0
                                        ; implicit-def: $vgpr13_vgpr14
	s_delay_alu instid0(VALU_DEP_1) | instskip(NEXT) | instid1(VALU_DEP_1)
	v_cmp_gt_u32_e64 s5, s33, v43
	s_and_saveexec_b32 s6, s5
	s_cbranch_execz .LBB39_17
; %bb.16:
	v_lshlrev_b32_e32 v13, 3, v43
	s_delay_alu instid0(VALU_DEP_1) | instskip(NEXT) | instid1(VALU_DEP_1)
	v_add_co_u32 v13, s7, s18, v13
	v_add_co_ci_u32_e64 v14, null, s14, 0, s7
	flat_load_b64 v[13:14], v[13:14]
.LBB39_17:
	s_or_b32 exec_lo, exec_lo, s6
	v_or_b32_e32 v45, 0x700, v0
                                        ; implicit-def: $vgpr15_vgpr16
	s_delay_alu instid0(VALU_DEP_1) | instskip(NEXT) | instid1(VALU_DEP_1)
	v_cmp_gt_u32_e64 s6, s33, v45
	s_and_saveexec_b32 s7, s6
	s_cbranch_execz .LBB39_19
; %bb.18:
	v_lshlrev_b32_e32 v15, 3, v45
	s_delay_alu instid0(VALU_DEP_1) | instskip(NEXT) | instid1(VALU_DEP_1)
	v_add_co_u32 v15, s8, s18, v15
	v_add_co_ci_u32_e64 v16, null, s14, 0, s8
	flat_load_b64 v[15:16], v[15:16]
.LBB39_19:
	s_or_b32 exec_lo, exec_lo, s7
	v_or_b32_e32 v47, 0x800, v0
                                        ; implicit-def: $vgpr17_vgpr18
	s_delay_alu instid0(VALU_DEP_1) | instskip(NEXT) | instid1(VALU_DEP_1)
	v_cmp_gt_u32_e64 s7, s33, v47
	s_and_saveexec_b32 s8, s7
	s_cbranch_execz .LBB39_21
; %bb.20:
	v_lshlrev_b32_e32 v17, 3, v47
	s_delay_alu instid0(VALU_DEP_1) | instskip(NEXT) | instid1(VALU_DEP_1)
	v_add_co_u32 v17, s9, s18, v17
	v_add_co_ci_u32_e64 v18, null, s14, 0, s9
	flat_load_b64 v[17:18], v[17:18]
.LBB39_21:
	s_or_b32 exec_lo, exec_lo, s8
	v_or_b32_e32 v49, 0x900, v0
                                        ; implicit-def: $vgpr19_vgpr20
	s_delay_alu instid0(VALU_DEP_1) | instskip(NEXT) | instid1(VALU_DEP_1)
	v_cmp_gt_u32_e64 s8, s33, v49
	s_and_saveexec_b32 s9, s8
	s_cbranch_execz .LBB39_23
; %bb.22:
	v_lshlrev_b32_e32 v19, 3, v49
	s_delay_alu instid0(VALU_DEP_1) | instskip(NEXT) | instid1(VALU_DEP_1)
	v_add_co_u32 v19, s10, s18, v19
	v_add_co_ci_u32_e64 v20, null, s14, 0, s10
	flat_load_b64 v[19:20], v[19:20]
.LBB39_23:
	s_or_b32 exec_lo, exec_lo, s9
	v_or_b32_e32 v51, 0xa00, v0
                                        ; implicit-def: $vgpr21_vgpr22
	s_delay_alu instid0(VALU_DEP_1) | instskip(NEXT) | instid1(VALU_DEP_1)
	v_cmp_gt_u32_e64 s9, s33, v51
	s_and_saveexec_b32 s10, s9
	s_cbranch_execz .LBB39_25
; %bb.24:
	v_lshlrev_b32_e32 v21, 3, v51
	s_delay_alu instid0(VALU_DEP_1) | instskip(NEXT) | instid1(VALU_DEP_1)
	v_add_co_u32 v21, s11, s18, v21
	v_add_co_ci_u32_e64 v22, null, s14, 0, s11
	flat_load_b64 v[21:22], v[21:22]
.LBB39_25:
	s_or_b32 exec_lo, exec_lo, s10
	v_or_b32_e32 v53, 0xb00, v0
                                        ; implicit-def: $vgpr23_vgpr24
	s_delay_alu instid0(VALU_DEP_1) | instskip(NEXT) | instid1(VALU_DEP_1)
	v_cmp_gt_u32_e64 s10, s33, v53
	s_and_saveexec_b32 s11, s10
	s_cbranch_execz .LBB39_27
; %bb.26:
	v_lshlrev_b32_e32 v23, 3, v53
	s_delay_alu instid0(VALU_DEP_1) | instskip(NEXT) | instid1(VALU_DEP_1)
	v_add_co_u32 v23, s12, s18, v23
	v_add_co_ci_u32_e64 v24, null, s14, 0, s12
	flat_load_b64 v[23:24], v[23:24]
.LBB39_27:
	s_or_b32 exec_lo, exec_lo, s11
	v_or_b32_e32 v55, 0xc00, v0
                                        ; implicit-def: $vgpr25_vgpr26
	s_delay_alu instid0(VALU_DEP_1) | instskip(NEXT) | instid1(VALU_DEP_1)
	v_cmp_gt_u32_e64 s11, s33, v55
	s_and_saveexec_b32 s12, s11
	s_cbranch_execz .LBB39_29
; %bb.28:
	v_lshlrev_b32_e32 v25, 3, v55
	s_delay_alu instid0(VALU_DEP_1) | instskip(NEXT) | instid1(VALU_DEP_1)
	v_add_co_u32 v25, s13, s18, v25
	v_add_co_ci_u32_e64 v26, null, s14, 0, s13
	flat_load_b64 v[25:26], v[25:26]
.LBB39_29:
	s_or_b32 exec_lo, exec_lo, s12
	v_or_b32_e32 v59, 0xd00, v0
                                        ; implicit-def: $vgpr27_vgpr28
	s_delay_alu instid0(VALU_DEP_1) | instskip(NEXT) | instid1(VALU_DEP_1)
	v_cmp_gt_u32_e64 s12, s33, v59
	s_and_saveexec_b32 s13, s12
	s_cbranch_execz .LBB39_31
; %bb.30:
	v_lshlrev_b32_e32 v27, 3, v59
	s_delay_alu instid0(VALU_DEP_1) | instskip(NEXT) | instid1(VALU_DEP_1)
	v_add_co_u32 v27, s22, s18, v27
	v_add_co_ci_u32_e64 v28, null, s14, 0, s22
	flat_load_b64 v[27:28], v[27:28]
.LBB39_31:
	s_or_b32 exec_lo, exec_lo, s13
	v_or_b32_e32 v63, 0xe00, v0
                                        ; implicit-def: $vgpr29_vgpr30
	s_delay_alu instid0(VALU_DEP_1) | instskip(NEXT) | instid1(VALU_DEP_1)
	v_cmp_gt_u32_e64 s13, s33, v63
	s_and_saveexec_b32 s22, s13
	s_cbranch_execz .LBB39_33
; %bb.32:
	v_lshlrev_b32_e32 v29, 3, v63
	s_delay_alu instid0(VALU_DEP_1) | instskip(NEXT) | instid1(VALU_DEP_1)
	v_add_co_u32 v29, s23, s18, v29
	v_add_co_ci_u32_e64 v30, null, s14, 0, s23
	flat_load_b64 v[29:30], v[29:30]
.LBB39_33:
	s_or_b32 exec_lo, exec_lo, s22
	v_lshlrev_b32_e32 v62, 3, v0
	s_waitcnt vmcnt(0) lgkmcnt(0)
	ds_store_2addr_stride64_b64 v62, v[1:2], v[3:4] offset1:4
	ds_store_2addr_stride64_b64 v62, v[5:6], v[7:8] offset0:8 offset1:12
	ds_store_2addr_stride64_b64 v62, v[9:10], v[11:12] offset0:16 offset1:20
	;; [unrolled: 1-line block ×6, first 2 shown]
	v_mad_u32_u24 v61, 0x70, v0, v62
	ds_store_b64 v62, v[29:30] offset:28672
	s_waitcnt lgkmcnt(0)
	s_barrier
	buffer_gl0_inv
	ds_load_2addr_b64 v[25:28], v61 offset1:1
	ds_load_2addr_b64 v[21:24], v61 offset0:2 offset1:3
	ds_load_2addr_b64 v[17:20], v61 offset0:4 offset1:5
	ds_load_2addr_b64 v[13:16], v61 offset0:6 offset1:7
	ds_load_2addr_b64 v[9:12], v61 offset0:8 offset1:9
	ds_load_2addr_b64 v[5:8], v61 offset0:10 offset1:11
	ds_load_2addr_b64 v[1:4], v61 offset0:12 offset1:13
	ds_load_b64 v[57:58], v61 offset:112
	s_waitcnt lgkmcnt(0)
	s_barrier
	buffer_gl0_inv
                                        ; implicit-def: $vgpr29_vgpr30
	s_and_saveexec_b32 s22, vcc_lo
	s_cbranch_execnz .LBB39_57
; %bb.34:
	s_or_b32 exec_lo, exec_lo, s22
                                        ; implicit-def: $vgpr31_vgpr32
	s_and_saveexec_b32 s22, s0
	s_cbranch_execnz .LBB39_58
.LBB39_35:
	s_or_b32 exec_lo, exec_lo, s22
                                        ; implicit-def: $vgpr33_vgpr34
	s_and_saveexec_b32 s0, s1
	s_cbranch_execnz .LBB39_59
.LBB39_36:
	s_or_b32 exec_lo, exec_lo, s0
                                        ; implicit-def: $vgpr35_vgpr36
	s_and_saveexec_b32 s0, s2
	s_cbranch_execnz .LBB39_60
.LBB39_37:
	s_or_b32 exec_lo, exec_lo, s0
                                        ; implicit-def: $vgpr37_vgpr38
	s_and_saveexec_b32 s0, s3
	s_cbranch_execnz .LBB39_61
.LBB39_38:
	s_or_b32 exec_lo, exec_lo, s0
                                        ; implicit-def: $vgpr39_vgpr40
	s_and_saveexec_b32 s0, s4
	s_cbranch_execnz .LBB39_62
.LBB39_39:
	s_or_b32 exec_lo, exec_lo, s0
                                        ; implicit-def: $vgpr41_vgpr42
	s_and_saveexec_b32 s0, s5
	s_cbranch_execnz .LBB39_63
.LBB39_40:
	s_or_b32 exec_lo, exec_lo, s0
                                        ; implicit-def: $vgpr43_vgpr44
	s_and_saveexec_b32 s0, s6
	s_cbranch_execnz .LBB39_64
.LBB39_41:
	s_or_b32 exec_lo, exec_lo, s0
                                        ; implicit-def: $vgpr45_vgpr46
	s_and_saveexec_b32 s0, s7
	s_cbranch_execnz .LBB39_65
.LBB39_42:
	s_or_b32 exec_lo, exec_lo, s0
                                        ; implicit-def: $vgpr47_vgpr48
	s_and_saveexec_b32 s0, s8
	s_cbranch_execnz .LBB39_66
.LBB39_43:
	s_or_b32 exec_lo, exec_lo, s0
                                        ; implicit-def: $vgpr49_vgpr50
	s_and_saveexec_b32 s0, s9
	s_cbranch_execnz .LBB39_67
.LBB39_44:
	s_or_b32 exec_lo, exec_lo, s0
                                        ; implicit-def: $vgpr51_vgpr52
	s_and_saveexec_b32 s0, s10
	s_cbranch_execnz .LBB39_68
.LBB39_45:
	s_or_b32 exec_lo, exec_lo, s0
                                        ; implicit-def: $vgpr53_vgpr54
	s_and_saveexec_b32 s0, s11
	s_cbranch_execnz .LBB39_69
.LBB39_46:
	s_or_b32 exec_lo, exec_lo, s0
                                        ; implicit-def: $vgpr55_vgpr56
	s_and_saveexec_b32 s0, s12
	s_cbranch_execnz .LBB39_70
.LBB39_47:
	s_or_b32 exec_lo, exec_lo, s0
                                        ; implicit-def: $vgpr59_vgpr60
	s_and_saveexec_b32 s0, s13
	s_cbranch_execz .LBB39_49
.LBB39_48:
	v_lshlrev_b32_e32 v59, 3, v63
	s_delay_alu instid0(VALU_DEP_1) | instskip(NEXT) | instid1(VALU_DEP_1)
	v_add_co_u32 v59, s1, s20, v59
	v_add_co_ci_u32_e64 v60, null, s21, 0, s1
	flat_load_b64 v[59:60], v[59:60]
.LBB39_49:
	s_or_b32 exec_lo, exec_lo, s0
	s_waitcnt vmcnt(0) lgkmcnt(0)
	ds_store_2addr_stride64_b64 v62, v[29:30], v[31:32] offset1:4
	ds_store_2addr_stride64_b64 v62, v[33:34], v[35:36] offset0:8 offset1:12
	ds_store_2addr_stride64_b64 v62, v[37:38], v[39:40] offset0:16 offset1:20
	;; [unrolled: 1-line block ×6, first 2 shown]
	ds_store_b64 v62, v[59:60] offset:28672
	s_waitcnt lgkmcnt(0)
	s_barrier
.LBB39_50:
	s_waitcnt lgkmcnt(0)
	buffer_gl0_inv
	ds_load_2addr_b64 v[53:56], v61 offset1:1
	ds_load_2addr_b64 v[49:52], v61 offset0:2 offset1:3
	ds_load_2addr_b64 v[45:48], v61 offset0:4 offset1:5
	;; [unrolled: 1-line block ×6, first 2 shown]
	ds_load_b64 v[59:60], v61 offset:112
	s_cmp_eq_u64 s[16:17], 0
	s_waitcnt lgkmcnt(0)
	s_cselect_b32 s46, -1, 0
	s_cmp_lg_u64 s[16:17], 0
	s_barrier
	s_cselect_b32 s20, -1, 0
	s_and_b32 vcc_lo, exec_lo, s19
	buffer_gl0_inv
	s_cbranch_vccz .LBB39_56
; %bb.51:
	s_and_b32 vcc_lo, exec_lo, s20
	s_cbranch_vccz .LBB39_71
; %bb.52:
	v_add_co_u32 v61, s0, -8, s18
	s_delay_alu instid0(VALU_DEP_1)
	v_add_co_ci_u32_e64 v62, null, -1, s14, s0
	v_cmp_neq_f64_e32 vcc_lo, v[3:4], v[57:58]
	v_cmp_neq_f64_e64 s0, v[1:2], v[3:4]
	v_cmp_neq_f64_e64 s1, v[7:8], v[1:2]
	flat_load_b64 v[61:62], v[61:62]
	v_cmp_neq_f64_e64 s2, v[5:6], v[7:8]
	v_cmp_neq_f64_e64 s3, v[11:12], v[5:6]
	;; [unrolled: 1-line block ×11, first 2 shown]
	v_lshlrev_b32_e32 v63, 3, v0
	s_mov_b32 s47, -1
	s_mov_b32 s19, 0
	s_mov_b32 s21, exec_lo
	ds_store_b64 v63, v[57:58]
	s_waitcnt vmcnt(0) lgkmcnt(0)
	s_barrier
	buffer_gl0_inv
	v_cmpx_ne_u32_e32 0, v0
	s_cbranch_execz .LBB39_54
; %bb.53:
	v_add_nc_u32_e32 v61, -8, v63
	ds_load_b64 v[61:62], v61
.LBB39_54:
	s_or_b32 exec_lo, exec_lo, s21
	s_waitcnt lgkmcnt(0)
	v_cmp_neq_f64_e64 s13, v[61:62], v[25:26]
	v_cndmask_b32_e64 v106, 0, 1, vcc_lo
	v_cndmask_b32_e64 v99, 0, 1, s0
	v_cndmask_b32_e64 v100, 0, 1, s1
	v_cndmask_b32_e64 v101, 0, 1, s2
	v_cndmask_b32_e64 v102, 0, 1, s3
	v_cndmask_b32_e64 v103, 0, 1, s4
	v_cndmask_b32_e64 v104, 0, 1, s5
	v_cndmask_b32_e64 v105, 0, 1, s6
	v_cndmask_b32_e64 v107, 0, 1, s7
	v_cndmask_b32_e64 v108, 0, 1, s8
	v_cndmask_b32_e64 v109, 0, 1, s9
	v_cndmask_b32_e64 v110, 0, 1, s10
	v_cndmask_b32_e64 v111, 0, 1, s11
	v_cndmask_b32_e64 v112, 0, 1, s12
	s_and_b32 vcc_lo, exec_lo, s19
	s_cbranch_vccnz .LBB39_72
.LBB39_55:
                                        ; implicit-def: $sgpr1
	s_branch .LBB39_83
.LBB39_56:
	s_mov_b32 s47, 0
                                        ; implicit-def: $sgpr13
                                        ; implicit-def: $vgpr106
                                        ; implicit-def: $vgpr99
                                        ; implicit-def: $vgpr100
                                        ; implicit-def: $vgpr101
                                        ; implicit-def: $vgpr102
                                        ; implicit-def: $vgpr103
                                        ; implicit-def: $vgpr104
                                        ; implicit-def: $vgpr105
                                        ; implicit-def: $vgpr107
                                        ; implicit-def: $vgpr108
                                        ; implicit-def: $vgpr109
                                        ; implicit-def: $vgpr110
                                        ; implicit-def: $vgpr111
                                        ; implicit-def: $vgpr112
                                        ; implicit-def: $sgpr1
	s_cbranch_execnz .LBB39_75
	s_branch .LBB39_83
.LBB39_57:
	v_add_co_u32 v29, s23, s20, v62
	s_delay_alu instid0(VALU_DEP_1)
	v_add_co_ci_u32_e64 v30, null, s21, 0, s23
	flat_load_b64 v[29:30], v[29:30]
	s_or_b32 exec_lo, exec_lo, s22
                                        ; implicit-def: $vgpr31_vgpr32
	s_and_saveexec_b32 s22, s0
	s_cbranch_execz .LBB39_35
.LBB39_58:
	v_add_co_u32 v31, s0, s20, v62
	s_delay_alu instid0(VALU_DEP_1)
	v_add_co_ci_u32_e64 v32, null, s21, 0, s0
	flat_load_b64 v[31:32], v[31:32] offset:2048
	s_or_b32 exec_lo, exec_lo, s22
                                        ; implicit-def: $vgpr33_vgpr34
	s_and_saveexec_b32 s0, s1
	s_cbranch_execz .LBB39_36
.LBB39_59:
	v_lshlrev_b32_e32 v33, 3, v35
	s_delay_alu instid0(VALU_DEP_1) | instskip(NEXT) | instid1(VALU_DEP_1)
	v_add_co_u32 v33, s1, s20, v33
	v_add_co_ci_u32_e64 v34, null, s21, 0, s1
	flat_load_b64 v[33:34], v[33:34]
	s_or_b32 exec_lo, exec_lo, s0
                                        ; implicit-def: $vgpr35_vgpr36
	s_and_saveexec_b32 s0, s2
	s_cbranch_execz .LBB39_37
.LBB39_60:
	v_lshlrev_b32_e32 v35, 3, v37
	s_delay_alu instid0(VALU_DEP_1) | instskip(NEXT) | instid1(VALU_DEP_1)
	v_add_co_u32 v35, s1, s20, v35
	v_add_co_ci_u32_e64 v36, null, s21, 0, s1
	flat_load_b64 v[35:36], v[35:36]
	s_or_b32 exec_lo, exec_lo, s0
                                        ; implicit-def: $vgpr37_vgpr38
	s_and_saveexec_b32 s0, s3
	s_cbranch_execz .LBB39_38
.LBB39_61:
	v_lshlrev_b32_e32 v37, 3, v39
	s_delay_alu instid0(VALU_DEP_1) | instskip(NEXT) | instid1(VALU_DEP_1)
	v_add_co_u32 v37, s1, s20, v37
	v_add_co_ci_u32_e64 v38, null, s21, 0, s1
	flat_load_b64 v[37:38], v[37:38]
	s_or_b32 exec_lo, exec_lo, s0
                                        ; implicit-def: $vgpr39_vgpr40
	s_and_saveexec_b32 s0, s4
	s_cbranch_execz .LBB39_39
.LBB39_62:
	v_lshlrev_b32_e32 v39, 3, v41
	s_delay_alu instid0(VALU_DEP_1) | instskip(NEXT) | instid1(VALU_DEP_1)
	v_add_co_u32 v39, s1, s20, v39
	v_add_co_ci_u32_e64 v40, null, s21, 0, s1
	flat_load_b64 v[39:40], v[39:40]
	s_or_b32 exec_lo, exec_lo, s0
                                        ; implicit-def: $vgpr41_vgpr42
	s_and_saveexec_b32 s0, s5
	s_cbranch_execz .LBB39_40
.LBB39_63:
	v_lshlrev_b32_e32 v41, 3, v43
	s_delay_alu instid0(VALU_DEP_1) | instskip(NEXT) | instid1(VALU_DEP_1)
	v_add_co_u32 v41, s1, s20, v41
	v_add_co_ci_u32_e64 v42, null, s21, 0, s1
	flat_load_b64 v[41:42], v[41:42]
	s_or_b32 exec_lo, exec_lo, s0
                                        ; implicit-def: $vgpr43_vgpr44
	s_and_saveexec_b32 s0, s6
	s_cbranch_execz .LBB39_41
.LBB39_64:
	v_lshlrev_b32_e32 v43, 3, v45
	s_delay_alu instid0(VALU_DEP_1) | instskip(NEXT) | instid1(VALU_DEP_1)
	v_add_co_u32 v43, s1, s20, v43
	v_add_co_ci_u32_e64 v44, null, s21, 0, s1
	flat_load_b64 v[43:44], v[43:44]
	s_or_b32 exec_lo, exec_lo, s0
                                        ; implicit-def: $vgpr45_vgpr46
	s_and_saveexec_b32 s0, s7
	s_cbranch_execz .LBB39_42
.LBB39_65:
	v_lshlrev_b32_e32 v45, 3, v47
	s_delay_alu instid0(VALU_DEP_1) | instskip(NEXT) | instid1(VALU_DEP_1)
	v_add_co_u32 v45, s1, s20, v45
	v_add_co_ci_u32_e64 v46, null, s21, 0, s1
	flat_load_b64 v[45:46], v[45:46]
	s_or_b32 exec_lo, exec_lo, s0
                                        ; implicit-def: $vgpr47_vgpr48
	s_and_saveexec_b32 s0, s8
	s_cbranch_execz .LBB39_43
.LBB39_66:
	v_lshlrev_b32_e32 v47, 3, v49
	s_delay_alu instid0(VALU_DEP_1) | instskip(NEXT) | instid1(VALU_DEP_1)
	v_add_co_u32 v47, s1, s20, v47
	v_add_co_ci_u32_e64 v48, null, s21, 0, s1
	flat_load_b64 v[47:48], v[47:48]
	s_or_b32 exec_lo, exec_lo, s0
                                        ; implicit-def: $vgpr49_vgpr50
	s_and_saveexec_b32 s0, s9
	s_cbranch_execz .LBB39_44
.LBB39_67:
	v_lshlrev_b32_e32 v49, 3, v51
	s_delay_alu instid0(VALU_DEP_1) | instskip(NEXT) | instid1(VALU_DEP_1)
	v_add_co_u32 v49, s1, s20, v49
	v_add_co_ci_u32_e64 v50, null, s21, 0, s1
	flat_load_b64 v[49:50], v[49:50]
	s_or_b32 exec_lo, exec_lo, s0
                                        ; implicit-def: $vgpr51_vgpr52
	s_and_saveexec_b32 s0, s10
	s_cbranch_execz .LBB39_45
.LBB39_68:
	v_lshlrev_b32_e32 v51, 3, v53
	s_delay_alu instid0(VALU_DEP_1) | instskip(NEXT) | instid1(VALU_DEP_1)
	v_add_co_u32 v51, s1, s20, v51
	v_add_co_ci_u32_e64 v52, null, s21, 0, s1
	flat_load_b64 v[51:52], v[51:52]
	s_or_b32 exec_lo, exec_lo, s0
                                        ; implicit-def: $vgpr53_vgpr54
	s_and_saveexec_b32 s0, s11
	s_cbranch_execz .LBB39_46
.LBB39_69:
	v_lshlrev_b32_e32 v53, 3, v55
	s_delay_alu instid0(VALU_DEP_1) | instskip(NEXT) | instid1(VALU_DEP_1)
	v_add_co_u32 v53, s1, s20, v53
	v_add_co_ci_u32_e64 v54, null, s21, 0, s1
	flat_load_b64 v[53:54], v[53:54]
	s_or_b32 exec_lo, exec_lo, s0
                                        ; implicit-def: $vgpr55_vgpr56
	s_and_saveexec_b32 s0, s12
	s_cbranch_execz .LBB39_47
.LBB39_70:
	v_lshlrev_b32_e32 v55, 3, v59
	s_delay_alu instid0(VALU_DEP_1) | instskip(NEXT) | instid1(VALU_DEP_1)
	v_add_co_u32 v55, s1, s20, v55
	v_add_co_ci_u32_e64 v56, null, s21, 0, s1
	flat_load_b64 v[55:56], v[55:56]
	s_or_b32 exec_lo, exec_lo, s0
                                        ; implicit-def: $vgpr59_vgpr60
	s_and_saveexec_b32 s0, s13
	s_cbranch_execnz .LBB39_48
	s_branch .LBB39_49
.LBB39_71:
	s_mov_b32 s47, 0
                                        ; implicit-def: $sgpr13
                                        ; implicit-def: $vgpr106
                                        ; implicit-def: $vgpr99
                                        ; implicit-def: $vgpr100
                                        ; implicit-def: $vgpr101
                                        ; implicit-def: $vgpr102
                                        ; implicit-def: $vgpr103
                                        ; implicit-def: $vgpr104
                                        ; implicit-def: $vgpr105
                                        ; implicit-def: $vgpr107
                                        ; implicit-def: $vgpr108
                                        ; implicit-def: $vgpr109
                                        ; implicit-def: $vgpr110
                                        ; implicit-def: $vgpr111
                                        ; implicit-def: $vgpr112
	s_cbranch_execz .LBB39_55
.LBB39_72:
	v_cmp_neq_f64_e32 vcc_lo, v[3:4], v[57:58]
	v_lshlrev_b32_e32 v61, 3, v0
	s_mov_b32 s0, exec_lo
                                        ; implicit-def: $sgpr13
	ds_store_b64 v61, v[57:58]
	s_waitcnt lgkmcnt(0)
	s_barrier
	buffer_gl0_inv
	v_cndmask_b32_e64 v106, 0, 1, vcc_lo
	v_cmp_neq_f64_e32 vcc_lo, v[1:2], v[3:4]
	v_cndmask_b32_e64 v99, 0, 1, vcc_lo
	v_cmp_neq_f64_e32 vcc_lo, v[7:8], v[1:2]
	;; [unrolled: 2-line block ×13, first 2 shown]
	v_cndmask_b32_e64 v112, 0, 1, vcc_lo
	v_cmpx_ne_u32_e32 0, v0
	s_xor_b32 s0, exec_lo, s0
	s_cbranch_execz .LBB39_74
; %bb.73:
	v_add_nc_u32_e32 v61, -8, v61
	s_or_b32 s47, s47, exec_lo
	ds_load_b64 v[61:62], v61
	s_waitcnt lgkmcnt(0)
	v_cmp_neq_f64_e32 vcc_lo, v[61:62], v[25:26]
	s_and_b32 s13, vcc_lo, exec_lo
.LBB39_74:
	s_or_b32 exec_lo, exec_lo, s0
	s_mov_b32 s1, 1
	s_branch .LBB39_83
.LBB39_75:
	s_mul_hi_u32 s0, s16, 0xfffff100
	s_mul_i32 s1, s17, 0xfffff100
	s_sub_i32 s0, s0, s16
	s_mul_i32 s2, s16, 0xfffff100
	s_add_i32 s0, s0, s1
	s_add_u32 s44, s2, s48
	s_addc_u32 s45, s0, s49
	s_and_b32 vcc_lo, exec_lo, s20
	s_cbranch_vccz .LBB39_80
; %bb.76:
	v_add_co_u32 v61, s0, -8, s18
	s_delay_alu instid0(VALU_DEP_1)
	v_add_co_ci_u32_e64 v62, null, -1, s14, s0
	v_cmp_neq_f64_e64 s5, v[3:4], v[57:58]
	v_cmp_neq_f64_e64 s6, v[1:2], v[3:4]
	;; [unrolled: 1-line block ×3, first 2 shown]
	flat_load_b64 v[63:64], v[61:62]
	v_mad_u32_u24 v61, v0, 15, 14
	v_mov_b32_e32 v62, 0
	v_cmp_neq_f64_e64 s8, v[5:6], v[7:8]
	v_cmp_neq_f64_e64 s10, v[11:12], v[5:6]
	v_cmp_neq_f64_e64 s11, v[9:10], v[11:12]
	v_cmp_neq_f64_e64 s12, v[15:16], v[9:10]
	v_cmp_gt_u64_e32 vcc_lo, s[44:45], v[61:62]
	v_mad_u32_u24 v61, v0, 15, 13
	v_cmp_neq_f64_e64 s14, v[13:14], v[15:16]
	v_cmp_neq_f64_e64 s16, v[19:20], v[13:14]
	;; [unrolled: 1-line block ×4, first 2 shown]
	v_cmp_gt_u64_e64 s0, s[44:45], v[61:62]
	v_mad_u32_u24 v61, v0, 15, 12
	v_cmp_neq_f64_e64 s19, v[21:22], v[23:24]
	v_cmp_neq_f64_e64 s20, v[27:28], v[21:22]
	;; [unrolled: 1-line block ×3, first 2 shown]
	v_lshlrev_b32_e32 v66, 3, v0
	v_cmp_gt_u64_e64 s1, s[44:45], v[61:62]
	v_mad_u32_u24 v61, v0, 15, 11
	v_mul_u32_u24_e32 v65, 15, v0
	s_mov_b32 s47, -1
	s_mov_b32 s48, 0
	ds_store_b64 v66, v[57:58]
	v_cmp_gt_u64_e64 s2, s[44:45], v[61:62]
	v_mad_u32_u24 v61, v0, 15, 10
	s_waitcnt vmcnt(0) lgkmcnt(0)
	s_barrier
	buffer_gl0_inv
	v_cmp_gt_u64_e64 s3, s[44:45], v[61:62]
	v_mad_u32_u24 v61, v0, 15, 9
	s_and_b32 s5, vcc_lo, s5
	s_and_b32 s6, s0, s6
	s_delay_alu instid0(VALU_DEP_1) | instskip(SKIP_4) | instid1(VALU_DEP_1)
	v_cmp_gt_u64_e64 s4, s[44:45], v[61:62]
	v_mad_u32_u24 v61, v0, 15, 8
	s_and_b32 s7, s1, s7
	s_and_b32 s2, s2, s8
	;; [unrolled: 1-line block ×3, first 2 shown]
	v_cmp_gt_u64_e64 s9, s[44:45], v[61:62]
	v_mad_u32_u24 v61, v0, 15, 7
	s_and_b32 s11, s4, s11
	s_delay_alu instid0(VALU_DEP_1) | instskip(SKIP_1) | instid1(VALU_DEP_4)
	v_cmp_gt_u64_e64 s13, s[44:45], v[61:62]
	v_mad_u32_u24 v61, v0, 15, 6
	s_and_b32 s12, s9, s12
	s_delay_alu instid0(VALU_DEP_1) | instskip(SKIP_1) | instid1(VALU_DEP_4)
	;; [unrolled: 4-line block ×5, first 2 shown]
	v_cmp_gt_u64_e32 vcc_lo, s[44:45], v[61:62]
	v_mad_u32_u24 v61, v0, 15, 2
	s_and_b32 s14, s24, s18
	s_delay_alu instid0(VALU_DEP_1) | instskip(SKIP_2) | instid1(VALU_DEP_1)
	v_cmp_gt_u64_e64 s0, s[44:45], v[61:62]
	v_mad_u32_u24 v61, v0, 15, 1
	s_and_b32 s9, vcc_lo, s19
	v_cmp_gt_u64_e64 s1, s[44:45], v[61:62]
	s_delay_alu instid0(VALU_DEP_3) | instskip(SKIP_1) | instid1(VALU_DEP_1)
	s_and_b32 s10, s0, s20
	s_mov_b32 s0, exec_lo
	s_and_b32 s1, s1, s21
	v_cmpx_ne_u32_e32 0, v0
	s_cbranch_execz .LBB39_78
; %bb.77:
	v_add_nc_u32_e32 v61, -8, v66
	ds_load_b64 v[63:64], v61
.LBB39_78:
	s_or_b32 exec_lo, exec_lo, s0
	s_waitcnt lgkmcnt(0)
	v_cmp_neq_f64_e32 vcc_lo, v[63:64], v[25:26]
	v_mov_b32_e32 v66, v62
	v_cndmask_b32_e64 v106, 0, 1, s5
	v_cndmask_b32_e64 v99, 0, 1, s6
	;; [unrolled: 1-line block ×4, first 2 shown]
	v_cmp_gt_u64_e64 s0, s[44:45], v[65:66]
	v_cndmask_b32_e64 v102, 0, 1, s3
	v_cndmask_b32_e64 v103, 0, 1, s11
	v_cndmask_b32_e64 v104, 0, 1, s12
	v_cndmask_b32_e64 v105, 0, 1, s4
	v_cndmask_b32_e64 v107, 0, 1, s8
	v_cndmask_b32_e64 v108, 0, 1, s13
	v_cndmask_b32_e64 v109, 0, 1, s14
	v_cndmask_b32_e64 v110, 0, 1, s9
	v_cndmask_b32_e64 v111, 0, 1, s10
	v_cndmask_b32_e64 v112, 0, 1, s1
	s_and_b32 s13, s0, vcc_lo
	s_and_b32 vcc_lo, exec_lo, s48
	s_cbranch_vccnz .LBB39_81
.LBB39_79:
                                        ; implicit-def: $sgpr1
	v_mov_b32_e32 v113, s1
	s_and_saveexec_b32 s0, s47
	s_cbranch_execnz .LBB39_84
	s_branch .LBB39_85
.LBB39_80:
                                        ; implicit-def: $sgpr13
                                        ; implicit-def: $vgpr106
                                        ; implicit-def: $vgpr99
                                        ; implicit-def: $vgpr100
                                        ; implicit-def: $vgpr101
                                        ; implicit-def: $vgpr102
                                        ; implicit-def: $vgpr103
                                        ; implicit-def: $vgpr104
                                        ; implicit-def: $vgpr105
                                        ; implicit-def: $vgpr107
                                        ; implicit-def: $vgpr108
                                        ; implicit-def: $vgpr109
                                        ; implicit-def: $vgpr110
                                        ; implicit-def: $vgpr111
                                        ; implicit-def: $vgpr112
	s_cbranch_execz .LBB39_79
.LBB39_81:
	v_mad_u32_u24 v61, v0, 15, 14
	v_dual_mov_b32 v62, 0 :: v_dual_lshlrev_b32 v63, 3, v0
	v_cmp_neq_f64_e64 s3, v[1:2], v[3:4]
	v_cmp_neq_f64_e64 s1, v[3:4], v[57:58]
	;; [unrolled: 1-line block ×3, first 2 shown]
	s_delay_alu instid0(VALU_DEP_4)
	v_cmp_gt_u64_e32 vcc_lo, s[44:45], v[61:62]
	v_mad_u32_u24 v61, v0, 15, 13
	v_cmp_neq_f64_e64 s6, v[5:6], v[7:8]
	v_cmp_neq_f64_e64 s7, v[11:12], v[5:6]
	v_cmp_neq_f64_e64 s9, v[9:10], v[11:12]
	v_cmp_neq_f64_e64 s10, v[15:16], v[9:10]
	v_cmp_gt_u64_e64 s0, s[44:45], v[61:62]
	v_mad_u32_u24 v61, v0, 15, 12
	v_cmp_neq_f64_e64 s12, v[13:14], v[15:16]
	v_cmp_neq_f64_e64 s13, v[19:20], v[13:14]
	;; [unrolled: 1-line block ×4, first 2 shown]
	v_cmp_gt_u64_e64 s2, s[44:45], v[61:62]
	v_mad_u32_u24 v61, v0, 15, 11
	v_cmp_neq_f64_e64 s18, v[21:22], v[23:24]
	v_cmp_neq_f64_e64 s20, v[27:28], v[21:22]
	;; [unrolled: 1-line block ×3, first 2 shown]
	ds_store_b64 v63, v[57:58]
	v_cmp_gt_u64_e64 s5, s[44:45], v[61:62]
	v_mad_u32_u24 v61, v0, 15, 10
	s_waitcnt lgkmcnt(0)
	s_barrier
	buffer_gl0_inv
	v_cmp_gt_u64_e64 s8, s[44:45], v[61:62]
	v_mad_u32_u24 v61, v0, 15, 9
	s_delay_alu instid0(VALU_DEP_1) | instskip(SKIP_2) | instid1(VALU_DEP_1)
	v_cmp_gt_u64_e64 s11, s[44:45], v[61:62]
	v_mad_u32_u24 v61, v0, 15, 8
	s_and_b32 s0, s0, s3
	v_cmp_gt_u64_e64 s14, s[44:45], v[61:62]
	v_mad_u32_u24 v61, v0, 15, 7
	s_and_b32 s1, vcc_lo, s1
	v_cndmask_b32_e64 v99, 0, 1, s0
	s_and_b32 s0, s2, s4
	v_cndmask_b32_e64 v106, 0, 1, s1
	v_cmp_gt_u64_e64 s19, s[44:45], v[61:62]
	v_mad_u32_u24 v61, v0, 15, 6
	v_cndmask_b32_e64 v100, 0, 1, s0
	s_and_b32 s0, s5, s6
	s_and_b32 s1, s8, s7
	v_cndmask_b32_e64 v101, 0, 1, s0
	v_cmp_gt_u64_e64 s22, s[44:45], v[61:62]
	v_mad_u32_u24 v61, v0, 15, 5
	v_cndmask_b32_e64 v102, 0, 1, s1
	s_and_b32 s1, s11, s9
	s_and_b32 s2, s14, s10
	v_cndmask_b32_e64 v103, 0, 1, s1
	v_cmp_gt_u64_e32 vcc_lo, s[44:45], v[61:62]
	v_mad_u32_u24 v61, v0, 15, 4
	v_cndmask_b32_e64 v104, 0, 1, s2
	s_and_b32 s2, s19, s12
	s_and_b32 s3, s22, s13
	v_cndmask_b32_e64 v105, 0, 1, s2
	v_cmp_gt_u64_e64 s0, s[44:45], v[61:62]
	v_mad_u32_u24 v61, v0, 15, 3
	v_cndmask_b32_e64 v107, 0, 1, s3
	s_and_b32 s3, vcc_lo, s16
                                        ; implicit-def: $sgpr13
	s_delay_alu instid0(SALU_CYCLE_1) | instskip(NEXT) | instid1(VALU_DEP_3)
	v_cndmask_b32_e64 v108, 0, 1, s3
	v_cmp_gt_u64_e64 s1, s[44:45], v[61:62]
	v_mad_u32_u24 v61, v0, 15, 2
	s_and_b32 s0, s0, s17
	s_delay_alu instid0(SALU_CYCLE_1) | instskip(NEXT) | instid1(VALU_DEP_2)
	v_cndmask_b32_e64 v109, 0, 1, s0
	v_cmp_gt_u64_e64 s2, s[44:45], v[61:62]
	v_mad_u32_u24 v61, v0, 15, 1
	s_and_b32 s0, s1, s18
	s_mov_b32 s1, 1
	v_cndmask_b32_e64 v110, 0, 1, s0
	s_delay_alu instid0(VALU_DEP_2) | instskip(SKIP_4) | instid1(SALU_CYCLE_1)
	v_cmp_gt_u64_e32 vcc_lo, s[44:45], v[61:62]
	s_and_b32 s0, s2, s20
	s_mov_b32 s2, exec_lo
	v_cndmask_b32_e64 v111, 0, 1, s0
	s_and_b32 s0, vcc_lo, s21
	v_cndmask_b32_e64 v112, 0, 1, s0
	v_cmpx_ne_u32_e32 0, v0
	s_cbranch_execz .LBB39_220
; %bb.82:
	v_add_nc_u32_e32 v61, -8, v63
	s_or_b32 s47, s47, exec_lo
	ds_load_b64 v[63:64], v61
	v_mul_u32_u24_e32 v61, 15, v0
	s_delay_alu instid0(VALU_DEP_1) | instskip(SKIP_2) | instid1(VALU_DEP_2)
	v_cmp_gt_u64_e64 s0, s[44:45], v[61:62]
	s_waitcnt lgkmcnt(0)
	v_cmp_neq_f64_e32 vcc_lo, v[63:64], v[25:26]
	s_and_b32 s0, s0, vcc_lo
	s_delay_alu instid0(SALU_CYCLE_1)
	s_and_b32 s13, s0, exec_lo
	s_or_b32 exec_lo, exec_lo, s2
.LBB39_83:
	v_mov_b32_e32 v113, s1
	s_and_saveexec_b32 s0, s47
.LBB39_84:
	v_cndmask_b32_e64 v113, 0, 1, s13
.LBB39_85:
	s_or_b32 exec_lo, exec_lo, s0
	v_add_f64 v[97:98], v[53:54], v[55:56]
	s_delay_alu instid0(VALU_DEP_2)
	v_add3_u32 v61, v112, v113, v111
	v_cmp_eq_u32_e64 s12, 0, v112
	v_cmp_eq_u32_e64 s11, 0, v111
	;; [unrolled: 1-line block ×4, first 2 shown]
	v_add3_u32 v116, v61, v110, v109
	v_cmp_eq_u32_e64 s8, 0, v108
	v_cmp_eq_u32_e64 s7, 0, v107
	;; [unrolled: 1-line block ×9, first 2 shown]
	v_cmp_eq_u32_e32 vcc_lo, 0, v106
	v_mbcnt_lo_u32_b32 v115, -1, 0
	s_cmp_eq_u64 s[42:43], 0
	s_cselect_b32 s14, -1, 0
	s_cmp_lg_u32 s15, 0
	s_cbranch_scc0 .LBB39_152
; %bb.86:
	v_cndmask_b32_e64 v62, v56, v98, s12
	v_cndmask_b32_e64 v61, v55, v97, s12
	v_add3_u32 v63, v116, v108, v107
	v_and_b32_e32 v65, 15, v115
	s_mov_b32 s13, exec_lo
	s_delay_alu instid0(VALU_DEP_3) | instskip(NEXT) | instid1(VALU_DEP_3)
	v_add_f64 v[61:62], v[49:50], v[61:62]
	v_add3_u32 v63, v63, v105, v104
	s_delay_alu instid0(VALU_DEP_1) | instskip(NEXT) | instid1(VALU_DEP_1)
	v_add3_u32 v63, v63, v103, v102
	v_add3_u32 v63, v63, v101, v100
	s_delay_alu instid0(VALU_DEP_1) | instskip(NEXT) | instid1(VALU_DEP_1)
	v_add3_u32 v67, v63, v99, v106
	v_mov_b32_dpp v66, v67 row_shr:1 row_mask:0xf bank_mask:0xf
	v_cndmask_b32_e64 v62, v50, v62, s11
	v_cndmask_b32_e64 v61, v49, v61, s11
	s_delay_alu instid0(VALU_DEP_1) | instskip(NEXT) | instid1(VALU_DEP_1)
	v_add_f64 v[61:62], v[51:52], v[61:62]
	v_cndmask_b32_e64 v62, v52, v62, s10
	s_delay_alu instid0(VALU_DEP_2) | instskip(NEXT) | instid1(VALU_DEP_1)
	v_cndmask_b32_e64 v61, v51, v61, s10
	v_add_f64 v[61:62], v[45:46], v[61:62]
	s_delay_alu instid0(VALU_DEP_1) | instskip(NEXT) | instid1(VALU_DEP_2)
	v_cndmask_b32_e64 v62, v46, v62, s9
	v_cndmask_b32_e64 v61, v45, v61, s9
	s_delay_alu instid0(VALU_DEP_1) | instskip(NEXT) | instid1(VALU_DEP_1)
	v_add_f64 v[61:62], v[47:48], v[61:62]
	v_cndmask_b32_e64 v62, v48, v62, s8
	s_delay_alu instid0(VALU_DEP_2) | instskip(NEXT) | instid1(VALU_DEP_1)
	v_cndmask_b32_e64 v61, v47, v61, s8
	v_add_f64 v[61:62], v[41:42], v[61:62]
	s_delay_alu instid0(VALU_DEP_1) | instskip(NEXT) | instid1(VALU_DEP_2)
	;; [unrolled: 9-line block ×5, first 2 shown]
	v_cndmask_b32_e64 v62, v30, v62, s1
	v_cndmask_b32_e64 v61, v29, v61, s1
	s_delay_alu instid0(VALU_DEP_1) | instskip(NEXT) | instid1(VALU_DEP_1)
	v_add_f64 v[61:62], v[31:32], v[61:62]
	v_cndmask_b32_e64 v62, v32, v62, s0
	s_delay_alu instid0(VALU_DEP_2) | instskip(NEXT) | instid1(VALU_DEP_1)
	v_cndmask_b32_e64 v61, v31, v61, s0
	v_add_f64 v[61:62], v[59:60], v[61:62]
	s_delay_alu instid0(VALU_DEP_1) | instskip(NEXT) | instid1(VALU_DEP_1)
	v_dual_cndmask_b32 v63, v59, v61 :: v_dual_cndmask_b32 v64, v60, v62
	v_mov_b32_dpp v61, v63 row_shr:1 row_mask:0xf bank_mask:0xf
	s_delay_alu instid0(VALU_DEP_2)
	v_mov_b32_dpp v62, v64 row_shr:1 row_mask:0xf bank_mask:0xf
	v_cmpx_ne_u32_e32 0, v65
; %bb.87:
	s_delay_alu instid0(VALU_DEP_2) | instskip(SKIP_1) | instid1(VALU_DEP_2)
	v_add_f64 v[61:62], v[63:64], v[61:62]
	v_cmp_eq_u32_e32 vcc_lo, 0, v67
	v_dual_cndmask_b32 v64, v64, v62 :: v_dual_add_nc_u32 v67, v66, v67
	s_delay_alu instid0(VALU_DEP_3)
	v_cndmask_b32_e32 v63, v63, v61, vcc_lo
; %bb.88:
	s_or_b32 exec_lo, exec_lo, s13
	s_delay_alu instid0(VALU_DEP_2) | instskip(NEXT) | instid1(VALU_DEP_2)
	v_mov_b32_dpp v66, v67 row_shr:2 row_mask:0xf bank_mask:0xf
	v_mov_b32_dpp v61, v63 row_shr:2 row_mask:0xf bank_mask:0xf
	v_mov_b32_dpp v62, v64 row_shr:2 row_mask:0xf bank_mask:0xf
	s_mov_b32 s13, exec_lo
	v_cmpx_lt_u32_e32 1, v65
; %bb.89:
	s_delay_alu instid0(VALU_DEP_2) | instskip(SKIP_1) | instid1(VALU_DEP_2)
	v_add_f64 v[61:62], v[63:64], v[61:62]
	v_cmp_eq_u32_e32 vcc_lo, 0, v67
	v_dual_cndmask_b32 v64, v64, v62 :: v_dual_add_nc_u32 v67, v66, v67
	s_delay_alu instid0(VALU_DEP_3)
	v_cndmask_b32_e32 v63, v63, v61, vcc_lo
; %bb.90:
	s_or_b32 exec_lo, exec_lo, s13
	s_delay_alu instid0(VALU_DEP_2) | instskip(NEXT) | instid1(VALU_DEP_2)
	v_mov_b32_dpp v66, v67 row_shr:4 row_mask:0xf bank_mask:0xf
	v_mov_b32_dpp v61, v63 row_shr:4 row_mask:0xf bank_mask:0xf
	v_mov_b32_dpp v62, v64 row_shr:4 row_mask:0xf bank_mask:0xf
	s_mov_b32 s13, exec_lo
	v_cmpx_lt_u32_e32 3, v65
	;; [unrolled: 15-line block ×3, first 2 shown]
; %bb.93:
	s_delay_alu instid0(VALU_DEP_2) | instskip(SKIP_1) | instid1(VALU_DEP_2)
	v_add_f64 v[61:62], v[63:64], v[61:62]
	v_cmp_eq_u32_e32 vcc_lo, 0, v67
	v_dual_cndmask_b32 v64, v64, v62 :: v_dual_add_nc_u32 v67, v66, v67
	s_delay_alu instid0(VALU_DEP_3)
	v_cndmask_b32_e32 v63, v63, v61, vcc_lo
; %bb.94:
	s_or_b32 exec_lo, exec_lo, s13
	ds_swizzle_b32 v65, v67 offset:swizzle(BROADCAST,32,15)
	ds_swizzle_b32 v61, v63 offset:swizzle(BROADCAST,32,15)
	;; [unrolled: 1-line block ×3, first 2 shown]
	v_and_b32_e32 v66, 16, v115
	s_mov_b32 s13, exec_lo
	s_delay_alu instid0(VALU_DEP_1)
	v_cmpx_ne_u32_e32 0, v66
	s_cbranch_execz .LBB39_96
; %bb.95:
	s_waitcnt lgkmcnt(0)
	v_add_f64 v[61:62], v[63:64], v[61:62]
	v_cmp_eq_u32_e32 vcc_lo, 0, v67
	s_delay_alu instid0(VALU_DEP_2) | instskip(NEXT) | instid1(VALU_DEP_3)
	v_dual_cndmask_b32 v64, v64, v62 :: v_dual_add_nc_u32 v67, v65, v67
	v_cndmask_b32_e32 v63, v63, v61, vcc_lo
.LBB39_96:
	s_or_b32 exec_lo, exec_lo, s13
	s_waitcnt lgkmcnt(0)
	v_lshrrev_b32_e32 v62, 5, v0
	v_or_b32_e32 v61, 31, v0
	s_mov_b32 s13, exec_lo
	s_delay_alu instid0(VALU_DEP_2) | instskip(NEXT) | instid1(VALU_DEP_2)
	v_lshlrev_b32_e32 v68, 4, v62
	v_cmpx_eq_u32_e64 v61, v0
	s_cbranch_execz .LBB39_98
; %bb.97:
	ds_store_b32 v68, v67 offset:4128
	ds_store_b64 v68, v[63:64] offset:4136
.LBB39_98:
	s_or_b32 exec_lo, exec_lo, s13
	s_delay_alu instid0(SALU_CYCLE_1)
	s_mov_b32 s13, exec_lo
	s_waitcnt lgkmcnt(0)
	s_barrier
	buffer_gl0_inv
	v_cmpx_gt_u32_e32 8, v0
	s_cbranch_execz .LBB39_106
; %bb.99:
	v_lshlrev_b32_e32 v69, 4, v0
	v_and_b32_e32 v71, 7, v115
	s_mov_b32 s16, exec_lo
	ds_load_b32 v70, v69 offset:4128
	ds_load_b64 v[61:62], v69 offset:4136
	s_waitcnt lgkmcnt(1)
	v_mov_b32_dpp v72, v70 row_shr:1 row_mask:0xf bank_mask:0xf
	s_waitcnt lgkmcnt(0)
	v_mov_b32_dpp v65, v61 row_shr:1 row_mask:0xf bank_mask:0xf
	v_mov_b32_dpp v66, v62 row_shr:1 row_mask:0xf bank_mask:0xf
	v_cmpx_ne_u32_e32 0, v71
; %bb.100:
	s_delay_alu instid0(VALU_DEP_2) | instskip(SKIP_1) | instid1(VALU_DEP_2)
	v_add_f64 v[65:66], v[61:62], v[65:66]
	v_cmp_eq_u32_e32 vcc_lo, 0, v70
	v_dual_cndmask_b32 v61, v61, v65 :: v_dual_add_nc_u32 v70, v72, v70
	s_delay_alu instid0(VALU_DEP_3)
	v_cndmask_b32_e32 v62, v62, v66, vcc_lo
; %bb.101:
	s_or_b32 exec_lo, exec_lo, s16
	s_delay_alu instid0(VALU_DEP_2) | instskip(NEXT) | instid1(VALU_DEP_3)
	v_mov_b32_dpp v72, v70 row_shr:2 row_mask:0xf bank_mask:0xf
	v_mov_b32_dpp v65, v61 row_shr:2 row_mask:0xf bank_mask:0xf
	s_delay_alu instid0(VALU_DEP_3)
	v_mov_b32_dpp v66, v62 row_shr:2 row_mask:0xf bank_mask:0xf
	s_mov_b32 s16, exec_lo
	v_cmpx_lt_u32_e32 1, v71
; %bb.102:
	s_delay_alu instid0(VALU_DEP_2) | instskip(SKIP_1) | instid1(VALU_DEP_2)
	v_add_f64 v[65:66], v[61:62], v[65:66]
	v_cmp_eq_u32_e32 vcc_lo, 0, v70
	v_dual_cndmask_b32 v61, v61, v65 :: v_dual_add_nc_u32 v70, v72, v70
	s_delay_alu instid0(VALU_DEP_3)
	v_cndmask_b32_e32 v62, v62, v66, vcc_lo
; %bb.103:
	s_or_b32 exec_lo, exec_lo, s16
	s_delay_alu instid0(VALU_DEP_2) | instskip(NEXT) | instid1(VALU_DEP_3)
	v_mov_b32_dpp v72, v70 row_shr:4 row_mask:0xf bank_mask:0xf
	v_mov_b32_dpp v65, v61 row_shr:4 row_mask:0xf bank_mask:0xf
	s_delay_alu instid0(VALU_DEP_3)
	v_mov_b32_dpp v66, v62 row_shr:4 row_mask:0xf bank_mask:0xf
	s_mov_b32 s16, exec_lo
	v_cmpx_lt_u32_e32 3, v71
; %bb.104:
	s_delay_alu instid0(VALU_DEP_2) | instskip(SKIP_1) | instid1(VALU_DEP_2)
	v_add_f64 v[65:66], v[61:62], v[65:66]
	v_cmp_eq_u32_e32 vcc_lo, 0, v70
	v_dual_cndmask_b32 v61, v61, v65 :: v_dual_add_nc_u32 v70, v72, v70
	s_delay_alu instid0(VALU_DEP_3)
	v_cndmask_b32_e32 v62, v62, v66, vcc_lo
; %bb.105:
	s_or_b32 exec_lo, exec_lo, s16
	ds_store_b32 v69, v70 offset:4128
	ds_store_b64 v69, v[61:62] offset:4136
.LBB39_106:
	s_or_b32 exec_lo, exec_lo, s13
	v_mov_b32_e32 v61, 0
	v_cmp_gt_u32_e32 vcc_lo, 32, v0
	v_dual_mov_b32 v62, 0 :: v_dual_mov_b32 v73, 0
	s_mov_b32 s16, exec_lo
	s_waitcnt lgkmcnt(0)
	s_barrier
	buffer_gl0_inv
	v_cmpx_lt_u32_e32 31, v0
	s_cbranch_execz .LBB39_108
; %bb.107:
	ds_load_b64 v[61:62], v68 offset:4120
	ds_load_b32 v73, v68 offset:4112
	v_cmp_eq_u32_e64 s13, 0, v67
	s_waitcnt lgkmcnt(1)
	v_add_f64 v[65:66], v[63:64], v[61:62]
	s_waitcnt lgkmcnt(0)
	v_add_nc_u32_e32 v67, v73, v67
	s_delay_alu instid0(VALU_DEP_2) | instskip(NEXT) | instid1(VALU_DEP_3)
	v_cndmask_b32_e64 v64, v64, v66, s13
	v_cndmask_b32_e64 v63, v63, v65, s13
.LBB39_108:
	s_or_b32 exec_lo, exec_lo, s16
	v_add_nc_u32_e32 v65, -1, v115
	s_delay_alu instid0(VALU_DEP_1) | instskip(NEXT) | instid1(VALU_DEP_1)
	v_cmp_gt_i32_e64 s13, 0, v65
	v_cndmask_b32_e64 v65, v65, v115, s13
	v_cmp_eq_u32_e64 s13, 0, v115
	s_delay_alu instid0(VALU_DEP_2)
	v_lshlrev_b32_e32 v65, 2, v65
	ds_bpermute_b32 v74, v65, v67
	ds_bpermute_b32 v75, v65, v63
	;; [unrolled: 1-line block ×3, first 2 shown]
	s_and_saveexec_b32 s16, vcc_lo
	s_cbranch_execz .LBB39_151
; %bb.109:
	v_mov_b32_e32 v67, 0
	ds_load_b32 v77, v67 offset:4240
	ds_load_b64 v[63:64], v67 offset:4248
	s_and_saveexec_b32 s17, s13
	s_cbranch_execz .LBB39_111
; %bb.110:
	s_add_i32 s18, s15, 32
	s_mov_b32 s19, 0
	v_dual_mov_b32 v65, s18 :: v_dual_mov_b32 v66, 1
	s_lshl_b64 s[20:21], s[18:19], 4
	s_delay_alu instid0(SALU_CYCLE_1)
	s_add_u32 s18, s36, s20
	s_addc_u32 s19, s37, s21
	s_waitcnt lgkmcnt(1)
	global_store_b32 v67, v77, s[18:19]
	s_waitcnt lgkmcnt(0)
	global_store_b64 v67, v[63:64], s[18:19] offset:8
	s_waitcnt_vscnt null, 0x0
	buffer_gl1_inv
	buffer_gl0_inv
	global_store_b8 v65, v66, s[40:41]
.LBB39_111:
	s_or_b32 exec_lo, exec_lo, s17
	v_xad_u32 v65, v115, -1, s15
	s_mov_b32 s18, 0
	s_mov_b32 s17, exec_lo
	s_delay_alu instid0(VALU_DEP_1)
	v_add_nc_u32_e32 v66, 32, v65
	global_load_u8 v78, v66, s[40:41] glc
	s_waitcnt vmcnt(0)
	v_cmpx_eq_u16_e32 0, v78
	s_cbranch_execz .LBB39_117
; %bb.112:
	v_add_co_u32 v68, s19, s40, v66
	s_delay_alu instid0(VALU_DEP_1)
	v_add_co_ci_u32_e64 v69, null, s41, 0, s19
	s_mov_b32 s19, 1
.LBB39_113:                             ; =>This Loop Header: Depth=1
                                        ;     Child Loop BB39_114 Depth 2
	s_delay_alu instid0(SALU_CYCLE_1)
	s_max_u32 s20, s19, 1
.LBB39_114:                             ;   Parent Loop BB39_113 Depth=1
                                        ; =>  This Inner Loop Header: Depth=2
	s_delay_alu instid0(SALU_CYCLE_1)
	s_add_i32 s20, s20, -1
	s_sleep 1
	s_cmp_eq_u32 s20, 0
	s_cbranch_scc0 .LBB39_114
; %bb.115:                              ;   in Loop: Header=BB39_113 Depth=1
	global_load_u8 v78, v[68:69], off glc
	s_cmp_lt_u32 s19, 32
	s_cselect_b32 s20, -1, 0
	s_delay_alu instid0(SALU_CYCLE_1) | instskip(SKIP_4) | instid1(SALU_CYCLE_1)
	s_cmp_lg_u32 s20, 0
	s_addc_u32 s19, s19, 0
	s_waitcnt vmcnt(0)
	v_cmp_ne_u16_e32 vcc_lo, 0, v78
	s_or_b32 s18, vcc_lo, s18
	s_and_not1_b32 exec_lo, exec_lo, s18
	s_cbranch_execnz .LBB39_113
; %bb.116:
	s_or_b32 exec_lo, exec_lo, s18
.LBB39_117:
	s_delay_alu instid0(SALU_CYCLE_1)
	s_or_b32 exec_lo, exec_lo, s17
	v_dual_mov_b32 v68, s37 :: v_dual_mov_b32 v69, s36
	v_cmp_eq_u16_e32 vcc_lo, 1, v78
	v_lshlrev_b64 v[66:67], 4, v[66:67]
	s_waitcnt lgkmcnt(0)
	s_waitcnt_vscnt null, 0x0
	buffer_gl1_inv
	buffer_gl0_inv
	v_lshlrev_b32_e64 v80, v115, -1
	s_mov_b32 s17, exec_lo
	v_cndmask_b32_e32 v69, s38, v69, vcc_lo
	v_cndmask_b32_e32 v68, s39, v68, vcc_lo
	s_delay_alu instid0(VALU_DEP_2) | instskip(NEXT) | instid1(VALU_DEP_2)
	v_add_co_u32 v66, vcc_lo, v69, v66
	v_add_co_ci_u32_e32 v67, vcc_lo, v68, v67, vcc_lo
	v_cmp_ne_u32_e32 vcc_lo, 31, v115
	s_clause 0x1
	global_load_b32 v71, v[66:67], off
	global_load_b64 v[69:70], v[66:67], off offset:8
	v_add_co_ci_u32_e32 v66, vcc_lo, 0, v115, vcc_lo
	v_cmp_eq_u16_e32 vcc_lo, 2, v78
	s_delay_alu instid0(VALU_DEP_2) | instskip(SKIP_1) | instid1(VALU_DEP_1)
	v_lshlrev_b32_e32 v79, 2, v66
	v_and_or_b32 v68, vcc_lo, v80, 0x80000000
	v_ctz_i32_b32_e32 v68, v68
	s_waitcnt vmcnt(1)
	ds_bpermute_b32 v72, v79, v71
	s_waitcnt vmcnt(0)
	ds_bpermute_b32 v66, v79, v69
	ds_bpermute_b32 v67, v79, v70
	v_cmpx_lt_u32_e64 v115, v68
	s_cbranch_execz .LBB39_119
; %bb.118:
	s_waitcnt lgkmcnt(0)
	v_add_f64 v[66:67], v[69:70], v[66:67]
	v_cmp_eq_u32_e32 vcc_lo, 0, v71
	v_add_nc_u32_e32 v71, v72, v71
	s_delay_alu instid0(VALU_DEP_3)
	v_dual_cndmask_b32 v70, v70, v67 :: v_dual_cndmask_b32 v69, v69, v66
.LBB39_119:
	s_or_b32 exec_lo, exec_lo, s17
	v_cmp_gt_u32_e32 vcc_lo, 30, v115
	v_add_nc_u32_e32 v82, 2, v115
	s_mov_b32 s17, exec_lo
	s_waitcnt lgkmcnt(1)
	v_cndmask_b32_e64 v66, 0, 1, vcc_lo
	s_delay_alu instid0(VALU_DEP_1) | instskip(NEXT) | instid1(VALU_DEP_1)
	v_lshlrev_b32_e32 v66, 1, v66
	v_add_lshl_u32 v81, v66, v115, 2
	ds_bpermute_b32 v72, v81, v71
	ds_bpermute_b32 v66, v81, v69
	s_waitcnt lgkmcnt(2)
	ds_bpermute_b32 v67, v81, v70
	v_cmpx_le_u32_e64 v82, v68
	s_cbranch_execz .LBB39_121
; %bb.120:
	s_waitcnt lgkmcnt(0)
	v_add_f64 v[66:67], v[69:70], v[66:67]
	v_cmp_eq_u32_e32 vcc_lo, 0, v71
	v_add_nc_u32_e32 v71, v72, v71
	s_delay_alu instid0(VALU_DEP_3)
	v_dual_cndmask_b32 v70, v70, v67 :: v_dual_cndmask_b32 v69, v69, v66
.LBB39_121:
	s_or_b32 exec_lo, exec_lo, s17
	v_cmp_gt_u32_e32 vcc_lo, 28, v115
	v_add_nc_u32_e32 v84, 4, v115
	s_mov_b32 s17, exec_lo
	s_waitcnt lgkmcnt(1)
	v_cndmask_b32_e64 v66, 0, 1, vcc_lo
	s_delay_alu instid0(VALU_DEP_1) | instskip(NEXT) | instid1(VALU_DEP_1)
	v_lshlrev_b32_e32 v66, 2, v66
	v_add_lshl_u32 v83, v66, v115, 2
	ds_bpermute_b32 v72, v83, v71
	ds_bpermute_b32 v66, v83, v69
	s_waitcnt lgkmcnt(2)
	ds_bpermute_b32 v67, v83, v70
	v_cmpx_le_u32_e64 v84, v68
	;; [unrolled: 23-line block ×4, first 2 shown]
	s_cbranch_execz .LBB39_127
; %bb.126:
	s_waitcnt lgkmcnt(0)
	v_add_f64 v[66:67], v[69:70], v[66:67]
	v_cmp_eq_u32_e32 vcc_lo, 0, v71
	v_add_nc_u32_e32 v71, v72, v71
	s_delay_alu instid0(VALU_DEP_3)
	v_dual_cndmask_b32 v70, v70, v67 :: v_dual_cndmask_b32 v69, v69, v66
.LBB39_127:
	s_or_b32 exec_lo, exec_lo, s17
	s_waitcnt lgkmcnt(1)
	v_mov_b32_e32 v66, 0
	s_branch .LBB39_129
.LBB39_128:                             ;   in Loop: Header=BB39_129 Depth=1
	s_or_b32 exec_lo, exec_lo, s17
	s_delay_alu instid0(VALU_DEP_1) | instskip(SKIP_4) | instid1(VALU_DEP_4)
	v_add_f64 v[69:70], v[67:68], v[69:70]
	v_cmp_eq_u32_e32 vcc_lo, 0, v87
	v_subrev_nc_u32_e32 v65, 32, v65
	s_waitcnt lgkmcnt(1)
	v_add_nc_u32_e32 v71, v90, v87
	v_dual_cndmask_b32 v70, v68, v70 :: v_dual_cndmask_b32 v69, v67, v69
.LBB39_129:                             ; =>This Loop Header: Depth=1
                                        ;     Child Loop BB39_132 Depth 2
                                        ;       Child Loop BB39_133 Depth 3
	s_waitcnt lgkmcnt(0)
	v_and_b32_e32 v67, 0xff, v78
	s_delay_alu instid0(VALU_DEP_3) | instskip(NEXT) | instid1(VALU_DEP_2)
	v_mov_b32_e32 v87, v71
	v_cmp_ne_u16_e32 vcc_lo, 2, v67
	v_cndmask_b32_e64 v67, 0, 1, vcc_lo
	;;#ASMSTART
	;;#ASMEND
	s_delay_alu instid0(VALU_DEP_1)
	v_cmp_ne_u32_e32 vcc_lo, 0, v67
	v_dual_mov_b32 v67, v69 :: v_dual_mov_b32 v68, v70
	s_cmp_lg_u32 vcc_lo, exec_lo
	s_cbranch_scc1 .LBB39_146
; %bb.130:                              ;   in Loop: Header=BB39_129 Depth=1
	global_load_u8 v78, v65, s[40:41] glc
	s_mov_b32 s17, exec_lo
	s_waitcnt vmcnt(0)
	v_cmpx_eq_u16_e32 0, v78
	s_cbranch_execz .LBB39_136
; %bb.131:                              ;   in Loop: Header=BB39_129 Depth=1
	v_add_co_u32 v69, s18, s40, v65
	s_delay_alu instid0(VALU_DEP_1)
	v_add_co_ci_u32_e64 v70, null, s41, 0, s18
	s_mov_b32 s19, 1
	s_mov_b32 s18, 0
.LBB39_132:                             ;   Parent Loop BB39_129 Depth=1
                                        ; =>  This Loop Header: Depth=2
                                        ;       Child Loop BB39_133 Depth 3
	s_max_u32 s20, s19, 1
.LBB39_133:                             ;   Parent Loop BB39_129 Depth=1
                                        ;     Parent Loop BB39_132 Depth=2
                                        ; =>    This Inner Loop Header: Depth=3
	s_delay_alu instid0(SALU_CYCLE_1)
	s_add_i32 s20, s20, -1
	s_sleep 1
	s_cmp_eq_u32 s20, 0
	s_cbranch_scc0 .LBB39_133
; %bb.134:                              ;   in Loop: Header=BB39_132 Depth=2
	global_load_u8 v78, v[69:70], off glc
	s_cmp_lt_u32 s19, 32
	s_cselect_b32 s20, -1, 0
	s_delay_alu instid0(SALU_CYCLE_1) | instskip(SKIP_4) | instid1(SALU_CYCLE_1)
	s_cmp_lg_u32 s20, 0
	s_addc_u32 s19, s19, 0
	s_waitcnt vmcnt(0)
	v_cmp_ne_u16_e32 vcc_lo, 0, v78
	s_or_b32 s18, vcc_lo, s18
	s_and_not1_b32 exec_lo, exec_lo, s18
	s_cbranch_execnz .LBB39_132
; %bb.135:                              ;   in Loop: Header=BB39_129 Depth=1
	s_or_b32 exec_lo, exec_lo, s18
.LBB39_136:                             ;   in Loop: Header=BB39_129 Depth=1
	s_delay_alu instid0(SALU_CYCLE_1)
	s_or_b32 exec_lo, exec_lo, s17
	v_dual_mov_b32 v71, s37 :: v_dual_mov_b32 v72, s36
	v_cmp_eq_u16_e32 vcc_lo, 1, v78
	v_lshlrev_b64 v[69:70], 4, v[65:66]
	buffer_gl1_inv
	buffer_gl0_inv
	s_mov_b32 s17, exec_lo
	v_cndmask_b32_e32 v72, s38, v72, vcc_lo
	v_cndmask_b32_e32 v71, s39, v71, vcc_lo
	s_delay_alu instid0(VALU_DEP_2) | instskip(NEXT) | instid1(VALU_DEP_2)
	v_add_co_u32 v69, vcc_lo, v72, v69
	v_add_co_ci_u32_e32 v70, vcc_lo, v71, v70, vcc_lo
	v_cmp_eq_u16_e32 vcc_lo, 2, v78
	s_clause 0x1
	global_load_b32 v90, v[69:70], off
	global_load_b64 v[69:70], v[69:70], off offset:8
	v_and_or_b32 v91, vcc_lo, v80, 0x80000000
	s_delay_alu instid0(VALU_DEP_1)
	v_ctz_i32_b32_e32 v91, v91
	s_waitcnt vmcnt(1)
	ds_bpermute_b32 v92, v79, v90
	s_waitcnt vmcnt(0)
	ds_bpermute_b32 v71, v79, v69
	ds_bpermute_b32 v72, v79, v70
	v_cmpx_lt_u32_e64 v115, v91
	s_cbranch_execz .LBB39_138
; %bb.137:                              ;   in Loop: Header=BB39_129 Depth=1
	s_waitcnt lgkmcnt(0)
	v_add_f64 v[71:72], v[69:70], v[71:72]
	v_cmp_eq_u32_e32 vcc_lo, 0, v90
	s_delay_alu instid0(VALU_DEP_2) | instskip(NEXT) | instid1(VALU_DEP_3)
	v_dual_cndmask_b32 v69, v69, v71 :: v_dual_add_nc_u32 v90, v92, v90
	v_cndmask_b32_e32 v70, v70, v72, vcc_lo
.LBB39_138:                             ;   in Loop: Header=BB39_129 Depth=1
	s_or_b32 exec_lo, exec_lo, s17
	s_waitcnt lgkmcnt(2)
	ds_bpermute_b32 v92, v81, v90
	s_waitcnt lgkmcnt(2)
	ds_bpermute_b32 v71, v81, v69
	s_waitcnt lgkmcnt(2)
	ds_bpermute_b32 v72, v81, v70
	s_mov_b32 s17, exec_lo
	v_cmpx_le_u32_e64 v82, v91
	s_cbranch_execz .LBB39_140
; %bb.139:                              ;   in Loop: Header=BB39_129 Depth=1
	s_waitcnt lgkmcnt(0)
	v_add_f64 v[71:72], v[69:70], v[71:72]
	v_cmp_eq_u32_e32 vcc_lo, 0, v90
	s_delay_alu instid0(VALU_DEP_2) | instskip(NEXT) | instid1(VALU_DEP_3)
	v_dual_cndmask_b32 v69, v69, v71 :: v_dual_add_nc_u32 v90, v92, v90
	v_cndmask_b32_e32 v70, v70, v72, vcc_lo
.LBB39_140:                             ;   in Loop: Header=BB39_129 Depth=1
	s_or_b32 exec_lo, exec_lo, s17
	s_waitcnt lgkmcnt(2)
	ds_bpermute_b32 v92, v83, v90
	s_waitcnt lgkmcnt(2)
	ds_bpermute_b32 v71, v83, v69
	s_waitcnt lgkmcnt(2)
	ds_bpermute_b32 v72, v83, v70
	s_mov_b32 s17, exec_lo
	v_cmpx_le_u32_e64 v84, v91
	;; [unrolled: 18-line block ×4, first 2 shown]
	s_cbranch_execz .LBB39_128
; %bb.145:                              ;   in Loop: Header=BB39_129 Depth=1
	s_waitcnt lgkmcnt(0)
	v_add_f64 v[71:72], v[69:70], v[71:72]
	v_cmp_eq_u32_e32 vcc_lo, 0, v90
	s_delay_alu instid0(VALU_DEP_2) | instskip(NEXT) | instid1(VALU_DEP_3)
	v_dual_cndmask_b32 v69, v69, v71 :: v_dual_add_nc_u32 v90, v92, v90
	v_cndmask_b32_e32 v70, v70, v72, vcc_lo
	s_branch .LBB39_128
.LBB39_146:                             ;   in Loop: Header=BB39_129 Depth=1
                                        ; implicit-def: $vgpr69_vgpr70
                                        ; implicit-def: $vgpr71
                                        ; implicit-def: $vgpr78
	s_cbranch_execz .LBB39_129
; %bb.147:
	s_and_saveexec_b32 s17, s13
	s_cbranch_execz .LBB39_149
; %bb.148:
	v_add_f64 v[65:66], v[63:64], v[67:68]
	v_cmp_eq_u32_e32 vcc_lo, 0, v77
	s_mov_b32 s19, 0
	s_add_i32 s18, s15, 32
	v_dual_mov_b32 v70, 0 :: v_dual_add_nc_u32 v69, v87, v77
	s_waitcnt lgkmcnt(0)
	v_dual_mov_b32 v71, 2 :: v_dual_mov_b32 v72, s18
	s_lshl_b64 s[20:21], s[18:19], 4
	s_delay_alu instid0(SALU_CYCLE_1) | instskip(SKIP_1) | instid1(VALU_DEP_4)
	s_add_u32 s18, s38, s20
	s_addc_u32 s19, s39, s21
	v_dual_cndmask_b32 v66, v64, v66 :: v_dual_cndmask_b32 v65, v63, v65
	s_clause 0x1
	global_store_b32 v70, v69, s[18:19]
	global_store_b64 v70, v[65:66], s[18:19] offset:8
	s_waitcnt_vscnt null, 0x0
	buffer_gl1_inv
	buffer_gl0_inv
	global_store_b8 v72, v71, s[40:41]
	ds_store_b32 v70, v77 offset:4096
	ds_store_b64 v70, v[63:64] offset:4104
	ds_store_b32 v70, v87 offset:4112
	ds_store_b64 v70, v[67:68] offset:4120
.LBB39_149:
	s_or_b32 exec_lo, exec_lo, s17
	v_cmp_eq_u32_e32 vcc_lo, 0, v0
	s_and_b32 exec_lo, exec_lo, vcc_lo
	s_cbranch_execz .LBB39_151
; %bb.150:
	v_mov_b32_e32 v63, 0
	ds_store_b32 v63, v87 offset:4240
	ds_store_b64 v63, v[67:68] offset:4248
.LBB39_151:
	s_or_b32 exec_lo, exec_lo, s16
	s_waitcnt lgkmcnt(2)
	v_cndmask_b32_e64 v67, v74, v73, s13
	s_waitcnt lgkmcnt(1)
	v_cndmask_b32_e64 v61, v75, v61, s13
	s_waitcnt lgkmcnt(0)
	s_waitcnt_vscnt null, 0x0
	s_barrier
	buffer_gl0_inv
	v_cmp_eq_u32_e32 vcc_lo, 0, v67
	v_mov_b32_e32 v114, 0
	v_cndmask_b32_e64 v62, v76, v62, s13
	ds_load_b64 v[63:64], v114 offset:4248
	ds_load_b32 v119, v114 offset:4240
	s_waitcnt lgkmcnt(0)
	s_barrier
	buffer_gl0_inv
	v_add_f64 v[65:66], v[61:62], v[63:64]
	s_delay_alu instid0(VALU_DEP_1) | instskip(SKIP_1) | instid1(VALU_DEP_2)
	v_dual_cndmask_b32 v61, v61, v65 :: v_dual_cndmask_b32 v62, v62, v66
	v_cmp_eq_u32_e32 vcc_lo, 0, v0
	v_dual_cndmask_b32 v87, v61, v63 :: v_dual_cndmask_b32 v88, v62, v64
	v_cndmask_b32_e64 v66, v67, 0, vcc_lo
	v_cmp_eq_u32_e32 vcc_lo, 0, v113
	ds_load_b64 v[63:64], v114 offset:4120
	ds_load_b64 v[117:118], v114 offset:4104
	ds_load_b32 v65, v114 offset:4112
	v_add_f64 v[61:62], v[53:54], v[87:88]
	s_delay_alu instid0(VALU_DEP_1) | instskip(NEXT) | instid1(VALU_DEP_1)
	v_dual_cndmask_b32 v90, v54, v62 :: v_dual_cndmask_b32 v89, v53, v61
	v_add_f64 v[61:62], v[55:56], v[89:90]
	s_delay_alu instid0(VALU_DEP_1) | instskip(NEXT) | instid1(VALU_DEP_2)
	v_cndmask_b32_e64 v94, v56, v62, s12
	v_cndmask_b32_e64 v93, v55, v61, s12
	s_delay_alu instid0(VALU_DEP_1) | instskip(NEXT) | instid1(VALU_DEP_1)
	v_add_f64 v[61:62], v[49:50], v[93:94]
	v_cndmask_b32_e64 v92, v50, v62, s11
	s_delay_alu instid0(VALU_DEP_2) | instskip(NEXT) | instid1(VALU_DEP_1)
	v_cndmask_b32_e64 v91, v49, v61, s11
	v_add_f64 v[61:62], v[51:52], v[91:92]
	s_delay_alu instid0(VALU_DEP_1) | instskip(NEXT) | instid1(VALU_DEP_2)
	v_cndmask_b32_e64 v76, v52, v62, s10
	v_cndmask_b32_e64 v75, v51, v61, s10
	s_delay_alu instid0(VALU_DEP_1) | instskip(NEXT) | instid1(VALU_DEP_1)
	v_add_f64 v[61:62], v[45:46], v[75:76]
	v_cndmask_b32_e64 v78, v46, v62, s9
	s_delay_alu instid0(VALU_DEP_2) | instskip(NEXT) | instid1(VALU_DEP_1)
	v_cndmask_b32_e64 v77, v45, v61, s9
	v_add_f64 v[61:62], v[47:48], v[77:78]
	s_delay_alu instid0(VALU_DEP_1) | instskip(NEXT) | instid1(VALU_DEP_2)
	v_cndmask_b32_e64 v80, v48, v62, s8
	v_cndmask_b32_e64 v79, v47, v61, s8
	s_delay_alu instid0(VALU_DEP_1) | instskip(NEXT) | instid1(VALU_DEP_1)
	v_add_f64 v[61:62], v[41:42], v[79:80]
	v_cndmask_b32_e64 v84, v42, v62, s7
	s_delay_alu instid0(VALU_DEP_2) | instskip(NEXT) | instid1(VALU_DEP_1)
	v_cndmask_b32_e64 v83, v41, v61, s7
	v_add_f64 v[61:62], v[43:44], v[83:84]
	s_delay_alu instid0(VALU_DEP_1) | instskip(NEXT) | instid1(VALU_DEP_2)
	v_cndmask_b32_e64 v82, v44, v62, s6
	v_cndmask_b32_e64 v81, v43, v61, s6
	s_delay_alu instid0(VALU_DEP_1) | instskip(NEXT) | instid1(VALU_DEP_1)
	v_add_f64 v[61:62], v[37:38], v[81:82]
	v_cndmask_b32_e64 v68, v38, v62, s5
	s_delay_alu instid0(VALU_DEP_2) | instskip(NEXT) | instid1(VALU_DEP_1)
	v_cndmask_b32_e64 v67, v37, v61, s5
	v_add_f64 v[61:62], v[39:40], v[67:68]
	s_delay_alu instid0(VALU_DEP_1) | instskip(NEXT) | instid1(VALU_DEP_2)
	v_cndmask_b32_e64 v70, v40, v62, s4
	v_cndmask_b32_e64 v69, v39, v61, s4
	s_delay_alu instid0(VALU_DEP_1) | instskip(NEXT) | instid1(VALU_DEP_1)
	v_add_f64 v[61:62], v[33:34], v[69:70]
	v_cndmask_b32_e64 v72, v34, v62, s3
	s_delay_alu instid0(VALU_DEP_2) | instskip(NEXT) | instid1(VALU_DEP_1)
	v_cndmask_b32_e64 v71, v33, v61, s3
	v_add_f64 v[61:62], v[35:36], v[71:72]
	s_delay_alu instid0(VALU_DEP_1) | instskip(NEXT) | instid1(VALU_DEP_2)
	v_cndmask_b32_e64 v74, v36, v62, s2
	v_cndmask_b32_e64 v73, v35, v61, s2
	s_delay_alu instid0(VALU_DEP_1) | instskip(NEXT) | instid1(VALU_DEP_1)
	v_add_f64 v[61:62], v[29:30], v[73:74]
	v_cndmask_b32_e64 v96, v30, v62, s1
	s_delay_alu instid0(VALU_DEP_2)
	v_cndmask_b32_e64 v95, v29, v61, s1
	ds_load_b32 v61, v114 offset:4096
	s_waitcnt lgkmcnt(2)
	v_add_f64 v[62:63], v[63:64], v[117:118]
	v_add_nc_u32_e32 v114, v119, v66
	v_add_f64 v[85:86], v[31:32], v[95:96]
	s_waitcnt lgkmcnt(0)
	v_cmp_eq_u32_e32 vcc_lo, 0, v61
	s_delay_alu instid0(VALU_DEP_4) | instskip(NEXT) | instid1(VALU_DEP_3)
	v_dual_cndmask_b32 v64, v118, v63 :: v_dual_cndmask_b32 v63, v117, v62
	v_cndmask_b32_e64 v86, v32, v86, s0
	s_delay_alu instid0(VALU_DEP_4)
	v_cndmask_b32_e64 v85, v31, v85, s0
	s_branch .LBB39_180
.LBB39_152:
                                        ; implicit-def: $vgpr61
                                        ; implicit-def: $vgpr63_vgpr64
                                        ; implicit-def: $vgpr65
                                        ; implicit-def: $vgpr87_vgpr88
                                        ; implicit-def: $vgpr89_vgpr90
                                        ; implicit-def: $vgpr93_vgpr94
                                        ; implicit-def: $vgpr91_vgpr92
                                        ; implicit-def: $vgpr75_vgpr76
                                        ; implicit-def: $vgpr77_vgpr78
                                        ; implicit-def: $vgpr79_vgpr80
                                        ; implicit-def: $vgpr83_vgpr84
                                        ; implicit-def: $vgpr81_vgpr82
                                        ; implicit-def: $vgpr67_vgpr68
                                        ; implicit-def: $vgpr69_vgpr70
                                        ; implicit-def: $vgpr71_vgpr72
                                        ; implicit-def: $vgpr73_vgpr74
                                        ; implicit-def: $vgpr95_vgpr96
                                        ; implicit-def: $vgpr85_vgpr86
                                        ; implicit-def: $vgpr114
	s_cbranch_execz .LBB39_180
; %bb.153:
	s_and_b32 s0, s14, exec_lo
	v_dual_mov_b32 v66, v54 :: v_dual_mov_b32 v65, v53
	s_cselect_b32 s1, 0, s35
	s_cselect_b32 s0, 0, s34
	s_delay_alu instid0(SALU_CYCLE_1)
	s_cmp_eq_u64 s[0:1], 0
	s_cbranch_scc1 .LBB39_155
; %bb.154:
	v_mov_b32_e32 v61, 0
	global_load_b64 v[65:66], v61, s[0:1]
.LBB39_155:
	v_cmp_eq_u32_e32 vcc_lo, 0, v112
	v_cmp_eq_u32_e64 s0, 0, v111
	v_cmp_eq_u32_e64 s1, 0, v110
	;; [unrolled: 1-line block ×4, first 2 shown]
	v_dual_cndmask_b32 v62, v56, v98 :: v_dual_cndmask_b32 v61, v55, v97
	v_cmp_eq_u32_e64 s4, 0, v107
	v_cmp_eq_u32_e64 s5, 0, v105
	;; [unrolled: 1-line block ×4, first 2 shown]
	v_add_f64 v[61:62], v[49:50], v[61:62]
	v_cmp_eq_u32_e64 s10, 0, v102
	v_cmp_eq_u32_e64 s11, 0, v101
	;; [unrolled: 1-line block ×4, first 2 shown]
	v_add3_u32 v63, v116, v108, v107
	v_cmp_eq_u32_e64 s12, 0, v106
	s_mov_b32 s13, exec_lo
	s_delay_alu instid0(VALU_DEP_2) | instskip(NEXT) | instid1(VALU_DEP_1)
	v_add3_u32 v63, v63, v105, v104
	v_add3_u32 v63, v63, v103, v102
	s_delay_alu instid0(VALU_DEP_1) | instskip(NEXT) | instid1(VALU_DEP_1)
	v_add3_u32 v63, v63, v101, v100
	v_add3_u32 v67, v63, v99, v106
	v_and_b32_e32 v63, 15, v115
	s_delay_alu instid0(VALU_DEP_2) | instskip(SKIP_2) | instid1(VALU_DEP_1)
	v_mov_b32_dpp v64, v67 row_shr:1 row_mask:0xf bank_mask:0xf
	v_cndmask_b32_e64 v62, v50, v62, s0
	v_cndmask_b32_e64 v61, v49, v61, s0
	v_add_f64 v[61:62], v[51:52], v[61:62]
	s_delay_alu instid0(VALU_DEP_1) | instskip(NEXT) | instid1(VALU_DEP_2)
	v_cndmask_b32_e64 v62, v52, v62, s1
	v_cndmask_b32_e64 v61, v51, v61, s1
	s_delay_alu instid0(VALU_DEP_1) | instskip(NEXT) | instid1(VALU_DEP_1)
	v_add_f64 v[61:62], v[45:46], v[61:62]
	v_cndmask_b32_e64 v62, v46, v62, s2
	s_delay_alu instid0(VALU_DEP_2) | instskip(NEXT) | instid1(VALU_DEP_1)
	v_cndmask_b32_e64 v61, v45, v61, s2
	v_add_f64 v[61:62], v[47:48], v[61:62]
	s_delay_alu instid0(VALU_DEP_1) | instskip(NEXT) | instid1(VALU_DEP_2)
	v_cndmask_b32_e64 v62, v48, v62, s3
	v_cndmask_b32_e64 v61, v47, v61, s3
	s_delay_alu instid0(VALU_DEP_1) | instskip(NEXT) | instid1(VALU_DEP_1)
	v_add_f64 v[61:62], v[41:42], v[61:62]
	v_cndmask_b32_e64 v62, v42, v62, s4
	s_delay_alu instid0(VALU_DEP_2) | instskip(NEXT) | instid1(VALU_DEP_1)
	v_cndmask_b32_e64 v61, v41, v61, s4
	v_add_f64 v[61:62], v[43:44], v[61:62]
	s_delay_alu instid0(VALU_DEP_1) | instskip(NEXT) | instid1(VALU_DEP_2)
	v_cndmask_b32_e64 v62, v44, v62, s5
	v_cndmask_b32_e64 v61, v43, v61, s5
	s_delay_alu instid0(VALU_DEP_1) | instskip(NEXT) | instid1(VALU_DEP_1)
	v_add_f64 v[61:62], v[37:38], v[61:62]
	v_cndmask_b32_e64 v62, v38, v62, s6
	s_delay_alu instid0(VALU_DEP_2) | instskip(NEXT) | instid1(VALU_DEP_1)
	v_cndmask_b32_e64 v61, v37, v61, s6
	v_add_f64 v[61:62], v[39:40], v[61:62]
	s_delay_alu instid0(VALU_DEP_1) | instskip(NEXT) | instid1(VALU_DEP_2)
	v_cndmask_b32_e64 v62, v40, v62, s9
	v_cndmask_b32_e64 v61, v39, v61, s9
	s_delay_alu instid0(VALU_DEP_1) | instskip(NEXT) | instid1(VALU_DEP_1)
	v_add_f64 v[61:62], v[33:34], v[61:62]
	v_cndmask_b32_e64 v62, v34, v62, s10
	s_delay_alu instid0(VALU_DEP_2) | instskip(NEXT) | instid1(VALU_DEP_1)
	v_cndmask_b32_e64 v61, v33, v61, s10
	v_add_f64 v[61:62], v[35:36], v[61:62]
	s_delay_alu instid0(VALU_DEP_1) | instskip(NEXT) | instid1(VALU_DEP_2)
	v_cndmask_b32_e64 v62, v36, v62, s11
	v_cndmask_b32_e64 v61, v35, v61, s11
	s_delay_alu instid0(VALU_DEP_1) | instskip(NEXT) | instid1(VALU_DEP_1)
	v_add_f64 v[61:62], v[29:30], v[61:62]
	v_cndmask_b32_e64 v62, v30, v62, s8
	s_delay_alu instid0(VALU_DEP_2) | instskip(NEXT) | instid1(VALU_DEP_1)
	v_cndmask_b32_e64 v61, v29, v61, s8
	v_add_f64 v[61:62], v[31:32], v[61:62]
	s_delay_alu instid0(VALU_DEP_1) | instskip(NEXT) | instid1(VALU_DEP_2)
	v_cndmask_b32_e64 v62, v32, v62, s7
	v_cndmask_b32_e64 v61, v31, v61, s7
	s_delay_alu instid0(VALU_DEP_1) | instskip(NEXT) | instid1(VALU_DEP_1)
	v_add_f64 v[61:62], v[59:60], v[61:62]
	v_cndmask_b32_e64 v60, v60, v62, s12
	s_delay_alu instid0(VALU_DEP_2) | instskip(NEXT) | instid1(VALU_DEP_2)
	v_cndmask_b32_e64 v59, v59, v61, s12
	v_mov_b32_dpp v62, v60 row_shr:1 row_mask:0xf bank_mask:0xf
	s_delay_alu instid0(VALU_DEP_2)
	v_mov_b32_dpp v61, v59 row_shr:1 row_mask:0xf bank_mask:0xf
	v_cmpx_ne_u32_e32 0, v63
; %bb.156:
	s_delay_alu instid0(VALU_DEP_2) | instskip(SKIP_2) | instid1(VALU_DEP_2)
	v_add_f64 v[61:62], v[59:60], v[61:62]
	v_cmp_eq_u32_e64 s12, 0, v67
	v_add_nc_u32_e32 v67, v64, v67
	v_cndmask_b32_e64 v60, v60, v62, s12
	s_delay_alu instid0(VALU_DEP_4)
	v_cndmask_b32_e64 v59, v59, v61, s12
; %bb.157:
	s_or_b32 exec_lo, exec_lo, s13
	s_delay_alu instid0(VALU_DEP_3) | instskip(NEXT) | instid1(VALU_DEP_2)
	v_mov_b32_dpp v64, v67 row_shr:2 row_mask:0xf bank_mask:0xf
	v_mov_b32_dpp v61, v59 row_shr:2 row_mask:0xf bank_mask:0xf
	v_mov_b32_dpp v62, v60 row_shr:2 row_mask:0xf bank_mask:0xf
	s_mov_b32 s13, exec_lo
	v_cmpx_lt_u32_e32 1, v63
; %bb.158:
	s_delay_alu instid0(VALU_DEP_2) | instskip(SKIP_2) | instid1(VALU_DEP_2)
	v_add_f64 v[61:62], v[59:60], v[61:62]
	v_cmp_eq_u32_e64 s12, 0, v67
	v_add_nc_u32_e32 v67, v64, v67
	v_cndmask_b32_e64 v60, v60, v62, s12
	s_delay_alu instid0(VALU_DEP_4)
	v_cndmask_b32_e64 v59, v59, v61, s12
; %bb.159:
	s_or_b32 exec_lo, exec_lo, s13
	s_delay_alu instid0(VALU_DEP_3) | instskip(NEXT) | instid1(VALU_DEP_2)
	v_mov_b32_dpp v64, v67 row_shr:4 row_mask:0xf bank_mask:0xf
	v_mov_b32_dpp v61, v59 row_shr:4 row_mask:0xf bank_mask:0xf
	v_mov_b32_dpp v62, v60 row_shr:4 row_mask:0xf bank_mask:0xf
	s_mov_b32 s13, exec_lo
	v_cmpx_lt_u32_e32 3, v63
	;; [unrolled: 16-line block ×3, first 2 shown]
; %bb.162:
	s_delay_alu instid0(VALU_DEP_2) | instskip(SKIP_2) | instid1(VALU_DEP_2)
	v_add_f64 v[61:62], v[59:60], v[61:62]
	v_cmp_eq_u32_e64 s12, 0, v67
	v_add_nc_u32_e32 v67, v64, v67
	v_cndmask_b32_e64 v60, v60, v62, s12
	s_delay_alu instid0(VALU_DEP_4)
	v_cndmask_b32_e64 v59, v59, v61, s12
; %bb.163:
	s_or_b32 exec_lo, exec_lo, s13
	ds_swizzle_b32 v63, v67 offset:swizzle(BROADCAST,32,15)
	ds_swizzle_b32 v61, v59 offset:swizzle(BROADCAST,32,15)
	;; [unrolled: 1-line block ×3, first 2 shown]
	v_and_b32_e32 v64, 16, v115
	s_mov_b32 s13, exec_lo
	s_delay_alu instid0(VALU_DEP_1)
	v_cmpx_ne_u32_e32 0, v64
	s_cbranch_execz .LBB39_165
; %bb.164:
	s_waitcnt lgkmcnt(0)
	v_add_f64 v[61:62], v[59:60], v[61:62]
	v_cmp_eq_u32_e64 s12, 0, v67
	v_add_nc_u32_e32 v67, v63, v67
	s_delay_alu instid0(VALU_DEP_2) | instskip(NEXT) | instid1(VALU_DEP_4)
	v_cndmask_b32_e64 v60, v60, v62, s12
	v_cndmask_b32_e64 v59, v59, v61, s12
.LBB39_165:
	s_or_b32 exec_lo, exec_lo, s13
	s_waitcnt lgkmcnt(1)
	v_or_b32_e32 v61, 31, v0
	v_lshrrev_b32_e32 v68, 5, v0
	s_mov_b32 s13, exec_lo
	s_delay_alu instid0(VALU_DEP_2)
	v_cmpx_eq_u32_e64 v61, v0
	s_cbranch_execz .LBB39_167
; %bb.166:
	s_delay_alu instid0(VALU_DEP_2)
	v_lshlrev_b32_e32 v61, 4, v68
	ds_store_b32 v61, v67 offset:4128
	ds_store_b64 v61, v[59:60] offset:4136
.LBB39_167:
	s_or_b32 exec_lo, exec_lo, s13
	s_delay_alu instid0(SALU_CYCLE_1)
	s_mov_b32 s13, exec_lo
	s_waitcnt vmcnt(0) lgkmcnt(0)
	s_barrier
	buffer_gl0_inv
	v_cmpx_gt_u32_e32 8, v0
	s_cbranch_execz .LBB39_175
; %bb.168:
	v_lshlrev_b32_e32 v69, 4, v0
	v_and_b32_e32 v71, 7, v115
	s_mov_b32 s15, exec_lo
	ds_load_b32 v70, v69 offset:4128
	ds_load_b64 v[61:62], v69 offset:4136
	s_waitcnt lgkmcnt(1)
	v_mov_b32_dpp v72, v70 row_shr:1 row_mask:0xf bank_mask:0xf
	s_waitcnt lgkmcnt(0)
	v_mov_b32_dpp v63, v61 row_shr:1 row_mask:0xf bank_mask:0xf
	v_mov_b32_dpp v64, v62 row_shr:1 row_mask:0xf bank_mask:0xf
	v_cmpx_ne_u32_e32 0, v71
; %bb.169:
	s_delay_alu instid0(VALU_DEP_2) | instskip(SKIP_2) | instid1(VALU_DEP_2)
	v_add_f64 v[63:64], v[61:62], v[63:64]
	v_cmp_eq_u32_e64 s12, 0, v70
	v_add_nc_u32_e32 v70, v72, v70
	v_cndmask_b32_e64 v62, v62, v64, s12
	s_delay_alu instid0(VALU_DEP_4)
	v_cndmask_b32_e64 v61, v61, v63, s12
; %bb.170:
	s_or_b32 exec_lo, exec_lo, s15
	s_delay_alu instid0(VALU_DEP_3) | instskip(NEXT) | instid1(VALU_DEP_2)
	v_mov_b32_dpp v72, v70 row_shr:2 row_mask:0xf bank_mask:0xf
	v_mov_b32_dpp v63, v61 row_shr:2 row_mask:0xf bank_mask:0xf
	;; [unrolled: 1-line block ×3, first 2 shown]
	s_mov_b32 s15, exec_lo
	v_cmpx_lt_u32_e32 1, v71
; %bb.171:
	s_delay_alu instid0(VALU_DEP_2) | instskip(SKIP_2) | instid1(VALU_DEP_2)
	v_add_f64 v[63:64], v[61:62], v[63:64]
	v_cmp_eq_u32_e64 s12, 0, v70
	v_add_nc_u32_e32 v70, v72, v70
	v_cndmask_b32_e64 v62, v62, v64, s12
	s_delay_alu instid0(VALU_DEP_4)
	v_cndmask_b32_e64 v61, v61, v63, s12
; %bb.172:
	s_or_b32 exec_lo, exec_lo, s15
	s_delay_alu instid0(VALU_DEP_3) | instskip(NEXT) | instid1(VALU_DEP_2)
	v_mov_b32_dpp v72, v70 row_shr:4 row_mask:0xf bank_mask:0xf
	v_mov_b32_dpp v63, v61 row_shr:4 row_mask:0xf bank_mask:0xf
	;; [unrolled: 1-line block ×3, first 2 shown]
	s_mov_b32 s15, exec_lo
	v_cmpx_lt_u32_e32 3, v71
; %bb.173:
	s_delay_alu instid0(VALU_DEP_2) | instskip(SKIP_2) | instid1(VALU_DEP_2)
	v_add_f64 v[63:64], v[61:62], v[63:64]
	v_cmp_eq_u32_e64 s12, 0, v70
	v_add_nc_u32_e32 v70, v72, v70
	v_cndmask_b32_e64 v62, v62, v64, s12
	s_delay_alu instid0(VALU_DEP_4)
	v_cndmask_b32_e64 v61, v61, v63, s12
; %bb.174:
	s_or_b32 exec_lo, exec_lo, s15
	ds_store_b32 v69, v70 offset:4128
	ds_store_b64 v69, v[61:62] offset:4136
.LBB39_175:
	s_or_b32 exec_lo, exec_lo, s13
	v_dual_mov_b32 v63, 0 :: v_dual_mov_b32 v64, 0
	v_dual_mov_b32 v61, v65 :: v_dual_mov_b32 v62, v66
	s_mov_b32 s13, exec_lo
	s_waitcnt lgkmcnt(0)
	s_barrier
	buffer_gl0_inv
	v_cmpx_lt_u32_e32 31, v0
	s_cbranch_execz .LBB39_177
; %bb.176:
	v_lshlrev_b32_e32 v64, 4, v68
	ds_load_b64 v[61:62], v64 offset:4120
	ds_load_b32 v64, v64 offset:4112
	s_waitcnt lgkmcnt(1)
	v_add_f64 v[68:69], v[65:66], v[61:62]
	s_waitcnt lgkmcnt(0)
	v_cmp_eq_u32_e64 s12, 0, v64
	s_delay_alu instid0(VALU_DEP_1) | instskip(NEXT) | instid1(VALU_DEP_3)
	v_cndmask_b32_e64 v62, v62, v69, s12
	v_cndmask_b32_e64 v61, v61, v68, s12
.LBB39_177:
	s_or_b32 exec_lo, exec_lo, s13
	s_delay_alu instid0(VALU_DEP_1) | instskip(SKIP_2) | instid1(VALU_DEP_2)
	v_add_f64 v[68:69], v[59:60], v[61:62]
	v_add_nc_u32_e32 v70, -1, v115
	v_cmp_eq_u32_e64 s13, 0, v113
	v_cmp_gt_i32_e64 s12, 0, v70
	s_delay_alu instid0(VALU_DEP_1) | instskip(SKIP_2) | instid1(VALU_DEP_3)
	v_cndmask_b32_e64 v70, v70, v115, s12
	v_cmp_eq_u32_e64 s12, 0, v67
	v_add_nc_u32_e32 v67, v64, v67
	v_lshlrev_b32_e32 v70, 2, v70
	ds_bpermute_b32 v67, v70, v67
	v_cndmask_b32_e64 v60, v60, v69, s12
	v_cndmask_b32_e64 v59, v59, v68, s12
	v_cmp_eq_u32_e64 s12, 0, v115
	ds_bpermute_b32 v60, v70, v60
	ds_bpermute_b32 v59, v70, v59
	s_waitcnt lgkmcnt(2)
	v_cndmask_b32_e64 v114, v67, v64, s12
	s_waitcnt lgkmcnt(1)
	v_cndmask_b32_e64 v88, v60, v62, s12
	;; [unrolled: 2-line block ×3, first 2 shown]
	v_cmp_eq_u32_e64 s12, 0, v0
	ds_load_b32 v61, v63 offset:4240
	v_cndmask_b32_e64 v60, v88, v66, s12
	v_cndmask_b32_e64 v59, v87, v65, s12
	s_delay_alu instid0(VALU_DEP_1) | instskip(NEXT) | instid1(VALU_DEP_1)
	v_add_f64 v[59:60], v[53:54], v[59:60]
	v_cndmask_b32_e64 v90, v54, v60, s13
	s_delay_alu instid0(VALU_DEP_2) | instskip(NEXT) | instid1(VALU_DEP_1)
	v_cndmask_b32_e64 v89, v53, v59, s13
	v_add_f64 v[53:54], v[55:56], v[89:90]
	s_delay_alu instid0(VALU_DEP_1) | instskip(SKIP_2) | instid1(VALU_DEP_2)
	v_dual_cndmask_b32 v94, v56, v54 :: v_dual_cndmask_b32 v93, v55, v53
	s_waitcnt lgkmcnt(0)
	v_cmp_eq_u32_e32 vcc_lo, 0, v61
	v_add_f64 v[53:54], v[49:50], v[93:94]
	s_delay_alu instid0(VALU_DEP_1) | instskip(NEXT) | instid1(VALU_DEP_2)
	v_cndmask_b32_e64 v92, v50, v54, s0
	v_cndmask_b32_e64 v91, v49, v53, s0
	s_delay_alu instid0(VALU_DEP_1) | instskip(NEXT) | instid1(VALU_DEP_1)
	v_add_f64 v[49:50], v[51:52], v[91:92]
	v_cndmask_b32_e64 v76, v52, v50, s1
	s_delay_alu instid0(VALU_DEP_2) | instskip(NEXT) | instid1(VALU_DEP_1)
	v_cndmask_b32_e64 v75, v51, v49, s1
	v_add_f64 v[49:50], v[45:46], v[75:76]
	s_delay_alu instid0(VALU_DEP_1) | instskip(NEXT) | instid1(VALU_DEP_2)
	v_cndmask_b32_e64 v78, v46, v50, s2
	v_cndmask_b32_e64 v77, v45, v49, s2
	s_delay_alu instid0(VALU_DEP_1) | instskip(NEXT) | instid1(VALU_DEP_1)
	v_add_f64 v[45:46], v[47:48], v[77:78]
	v_cndmask_b32_e64 v80, v48, v46, s3
	s_delay_alu instid0(VALU_DEP_2) | instskip(NEXT) | instid1(VALU_DEP_1)
	v_cndmask_b32_e64 v79, v47, v45, s3
	;; [unrolled: 9-line block ×4, first 2 shown]
	v_add_f64 v[37:38], v[33:34], v[69:70]
	s_delay_alu instid0(VALU_DEP_1) | instskip(NEXT) | instid1(VALU_DEP_2)
	v_cndmask_b32_e64 v72, v34, v38, s10
	v_cndmask_b32_e64 v71, v33, v37, s10
	s_delay_alu instid0(VALU_DEP_1) | instskip(NEXT) | instid1(VALU_DEP_1)
	v_add_f64 v[33:34], v[35:36], v[71:72]
	v_cndmask_b32_e64 v74, v36, v34, s11
	s_delay_alu instid0(VALU_DEP_2) | instskip(SKIP_2) | instid1(VALU_DEP_1)
	v_cndmask_b32_e64 v73, v35, v33, s11
	ds_load_b64 v[35:36], v63 offset:4248
	v_add_f64 v[33:34], v[29:30], v[73:74]
	v_cndmask_b32_e64 v96, v30, v34, s8
	s_delay_alu instid0(VALU_DEP_2) | instskip(SKIP_2) | instid1(VALU_DEP_2)
	v_cndmask_b32_e64 v95, v29, v33, s8
	s_waitcnt lgkmcnt(0)
	v_add_f64 v[29:30], v[65:66], v[35:36]
	v_add_f64 v[33:34], v[31:32], v[95:96]
	s_delay_alu instid0(VALU_DEP_2) | instskip(NEXT) | instid1(VALU_DEP_2)
	v_dual_cndmask_b32 v64, v36, v30 :: v_dual_cndmask_b32 v63, v35, v29
	v_cndmask_b32_e64 v86, v32, v34, s7
	s_delay_alu instid0(VALU_DEP_3)
	v_cndmask_b32_e64 v85, v31, v33, s7
	s_and_saveexec_b32 s0, s12
	s_cbranch_execz .LBB39_179
; %bb.178:
	v_dual_mov_b32 v114, 0 :: v_dual_mov_b32 v29, 2
	v_dual_mov_b32 v88, v66 :: v_dual_mov_b32 v87, v65
	s_clause 0x1
	global_store_b32 v114, v61, s[38:39] offset:512
	global_store_b64 v114, v[63:64], s[38:39] offset:520
	s_waitcnt_vscnt null, 0x0
	buffer_gl1_inv
	buffer_gl0_inv
	global_store_b8 v114, v29, s[40:41] offset:32
.LBB39_179:
	s_or_b32 exec_lo, exec_lo, s0
	v_mov_b32_e32 v65, 0
.LBB39_180:
	v_mov_b32_e32 v29, 0
	s_and_b32 s0, s14, exec_lo
	v_mov_b32_e32 v30, 0
	s_cselect_b32 s1, 0, s51
	s_cselect_b32 s0, 0, s50
	s_waitcnt_vscnt null, 0x0
	s_cmp_eq_u64 s[0:1], 0
	s_barrier
	buffer_gl0_inv
	s_cbranch_scc1 .LBB39_182
; %bb.181:
	v_mov_b32_e32 v29, 0
	global_load_b64 v[29:30], v29, s[0:1]
.LBB39_182:
	v_cmp_eq_u32_e32 vcc_lo, 0, v113
	v_add_nc_u32_e32 v46, v114, v113
	v_cmp_ne_u32_e64 s12, 0, v113
	v_cmp_ne_u32_e64 s11, 0, v112
	;; [unrolled: 1-line block ×3, first 2 shown]
	v_cndmask_b32_e64 v31, 1, 2, vcc_lo
	v_cmp_eq_u32_e32 vcc_lo, 0, v112
	v_add_nc_u32_e32 v48, v46, v112
	v_cmp_ne_u32_e64 s8, 0, v110
	v_cmp_ne_u32_e64 s14, 0, v109
	;; [unrolled: 1-line block ×3, first 2 shown]
	v_cndmask_b32_e64 v32, 1, 2, vcc_lo
	v_cmp_eq_u32_e32 vcc_lo, 0, v111
	v_add_nc_u32_e32 v47, v48, v111
	v_cmp_ne_u32_e64 s10, 0, v107
	s_delay_alu instid0(VALU_DEP_4)
	v_dual_mov_b32 v66, 0 :: v_dual_and_b32 v31, v32, v31
	v_cndmask_b32_e64 v33, 1, 2, vcc_lo
	v_cmp_eq_u32_e32 vcc_lo, 0, v110
	v_add_nc_u32_e32 v45, v47, v110
	v_cmp_ne_u32_e64 s7, 0, v105
	v_cmp_ne_u32_e64 s6, 0, v104
	v_and_b32_e32 v33, v31, v33
	v_cndmask_b32_e64 v34, 1, 2, vcc_lo
	v_cmp_eq_u32_e32 vcc_lo, 0, v109
	v_add_nc_u32_e32 v44, v45, v109
	s_waitcnt vmcnt(0)
	v_lshlrev_b64 v[31:32], 3, v[29:30]
	v_cmp_ne_u32_e64 s5, 0, v103
	v_and_b32_e32 v33, v33, v34
	v_cndmask_b32_e64 v35, 1, 2, vcc_lo
	v_cmp_eq_u32_e32 vcc_lo, 0, v108
	v_add_nc_u32_e32 v43, v44, v108
	v_cmp_ne_u32_e64 s4, 0, v102
	v_cmp_ne_u32_e64 s3, 0, v101
	v_and_b32_e32 v33, v33, v35
	v_cndmask_b32_e64 v34, 1, 2, vcc_lo
	v_cmp_eq_u32_e32 vcc_lo, 0, v107
	v_add_nc_u32_e32 v42, v43, v107
	v_cmp_ne_u32_e64 s2, 0, v100
	;; [unrolled: 6-line block ×3, first 2 shown]
	s_mov_b32 s16, -1
	v_and_b32_e32 v33, v33, v35
	v_cndmask_b32_e64 v34, 1, 2, vcc_lo
	v_cmp_eq_u32_e32 vcc_lo, 0, v104
	v_add_nc_u32_e32 v40, v41, v104
	s_delay_alu instid0(VALU_DEP_3) | instskip(SKIP_2) | instid1(VALU_DEP_4)
	v_and_b32_e32 v33, v33, v34
	v_cndmask_b32_e64 v35, 1, 2, vcc_lo
	v_cmp_eq_u32_e32 vcc_lo, 0, v103
	v_add_nc_u32_e32 v39, v40, v103
	s_delay_alu instid0(VALU_DEP_3) | instskip(SKIP_2) | instid1(VALU_DEP_4)
	v_and_b32_e32 v33, v33, v35
	v_cndmask_b32_e64 v34, 1, 2, vcc_lo
	v_cmp_eq_u32_e32 vcc_lo, 0, v102
	v_add_nc_u32_e32 v38, v39, v102
	s_delay_alu instid0(VALU_DEP_3) | instskip(SKIP_3) | instid1(VALU_DEP_3)
	v_and_b32_e32 v37, v33, v34
	v_cndmask_b32_e64 v35, 1, 2, vcc_lo
	v_cmp_eq_u32_e32 vcc_lo, 0, v101
	v_lshlrev_b64 v[33:34], 3, v[65:66]
	v_and_b32_e32 v35, v37, v35
	v_cndmask_b32_e64 v36, 1, 2, vcc_lo
	v_cmp_eq_u32_e32 vcc_lo, 0, v100
	v_add_nc_u32_e32 v37, v38, v101
	s_delay_alu instid0(VALU_DEP_3) | instskip(SKIP_3) | instid1(VALU_DEP_3)
	v_and_b32_e32 v52, v35, v36
	v_cndmask_b32_e64 v51, 1, 2, vcc_lo
	v_add_co_u32 v49, vcc_lo, s26, v31
	v_add_co_ci_u32_e32 v50, vcc_lo, s27, v32, vcc_lo
	v_and_b32_e32 v51, v52, v51
	s_delay_alu instid0(VALU_DEP_3) | instskip(NEXT) | instid1(VALU_DEP_3)
	v_add_co_u32 v49, vcc_lo, v49, v33
	v_add_co_ci_u32_e32 v50, vcc_lo, v50, v34, vcc_lo
	v_cmp_eq_u32_e32 vcc_lo, 0, v99
	v_add_nc_u32_e32 v36, v37, v100
	v_cndmask_b32_e64 v52, 1, 2, vcc_lo
	v_cmp_eq_u32_e32 vcc_lo, 0, v106
	s_delay_alu instid0(VALU_DEP_3) | instskip(NEXT) | instid1(VALU_DEP_3)
	v_add_nc_u32_e32 v35, v36, v99
	v_and_b32_e32 v51, v51, v52
	v_cndmask_b32_e64 v52, 1, 2, vcc_lo
	v_cmp_gt_u32_e32 vcc_lo, 0x100, v61
	s_delay_alu instid0(VALU_DEP_2) | instskip(NEXT) | instid1(VALU_DEP_1)
	v_and_b32_e32 v51, v51, v52
	v_cmp_gt_i16_e64 s15, 2, v51
	s_cbranch_vccz .LBB39_189
; %bb.183:
	s_delay_alu instid0(VALU_DEP_1)
	s_and_saveexec_b32 s16, s15
	s_cbranch_execz .LBB39_188
; %bb.184:
	s_mov_b32 s17, 0
	s_mov_b32 s15, exec_lo
	v_cmpx_ne_u16_e32 1, v51
	s_xor_b32 s15, exec_lo, s15
	s_cbranch_execnz .LBB39_221
; %bb.185:
	s_and_not1_saveexec_b32 s15, s15
	s_cbranch_execnz .LBB39_237
.LBB39_186:
	s_or_b32 exec_lo, exec_lo, s15
	s_delay_alu instid0(SALU_CYCLE_1)
	s_and_b32 exec_lo, exec_lo, s17
	s_cbranch_execz .LBB39_188
.LBB39_187:
	v_sub_nc_u32_e32 v52, v35, v65
	v_mov_b32_e32 v53, 0
	s_delay_alu instid0(VALU_DEP_1) | instskip(NEXT) | instid1(VALU_DEP_1)
	v_lshlrev_b64 v[52:53], 3, v[52:53]
	v_add_co_u32 v52, vcc_lo, v49, v52
	s_delay_alu instid0(VALU_DEP_2)
	v_add_co_ci_u32_e32 v53, vcc_lo, v50, v53, vcc_lo
	global_store_b64 v[52:53], v[57:58], off
.LBB39_188:
	s_or_b32 exec_lo, exec_lo, s16
	s_mov_b32 s16, 0
.LBB39_189:
	s_delay_alu instid0(SALU_CYCLE_1)
	s_and_b32 vcc_lo, exec_lo, s16
	s_cbranch_vccz .LBB39_199
; %bb.190:
	s_mov_b32 s15, exec_lo
	v_cmpx_gt_i16_e32 2, v51
	s_cbranch_execz .LBB39_195
; %bb.191:
	s_mov_b32 s17, 0
	s_mov_b32 s16, exec_lo
	v_cmpx_ne_u16_e32 1, v51
	s_xor_b32 s16, exec_lo, s16
	s_cbranch_execnz .LBB39_238
; %bb.192:
	s_and_not1_saveexec_b32 s0, s16
	s_cbranch_execnz .LBB39_254
.LBB39_193:
	s_or_b32 exec_lo, exec_lo, s0
	s_delay_alu instid0(SALU_CYCLE_1)
	s_and_b32 exec_lo, exec_lo, s17
	s_cbranch_execz .LBB39_195
.LBB39_194:
	v_sub_nc_u32_e32 v1, v35, v65
	s_delay_alu instid0(VALU_DEP_1)
	v_lshlrev_b32_e32 v1, 3, v1
	ds_store_b64 v1, v[57:58]
.LBB39_195:
	s_or_b32 exec_lo, exec_lo, s15
	s_delay_alu instid0(SALU_CYCLE_1)
	s_mov_b32 s1, exec_lo
	s_waitcnt lgkmcnt(0)
	s_waitcnt_vscnt null, 0x0
	s_barrier
	buffer_gl0_inv
	v_cmpx_lt_u32_e64 v0, v61
	s_cbranch_execz .LBB39_198
; %bb.196:
	v_dual_mov_b32 v2, 0 :: v_dual_lshlrev_b32 v3, 3, v0
	v_mov_b32_e32 v1, v0
	s_mov_b32 s2, 0
	.p2align	6
.LBB39_197:                             ; =>This Inner Loop Header: Depth=1
	ds_load_b64 v[4:5], v3
	v_lshlrev_b64 v[6:7], 3, v[1:2]
	v_add_nc_u32_e32 v1, 0x100, v1
	v_add_nc_u32_e32 v3, 0x800, v3
	s_delay_alu instid0(VALU_DEP_2) | instskip(NEXT) | instid1(VALU_DEP_4)
	v_cmp_ge_u32_e32 vcc_lo, v1, v61
	v_add_co_u32 v6, s0, v49, v6
	s_delay_alu instid0(VALU_DEP_1)
	v_add_co_ci_u32_e64 v7, s0, v50, v7, s0
	s_or_b32 s2, vcc_lo, s2
	s_waitcnt lgkmcnt(0)
	global_store_b64 v[6:7], v[4:5], off
	s_and_not1_b32 exec_lo, exec_lo, s2
	s_cbranch_execnz .LBB39_197
.LBB39_198:
	s_or_b32 exec_lo, exec_lo, s1
.LBB39_199:
	s_cmpk_lg_i32 s33, 0xf00
	v_cmp_eq_u32_e32 vcc_lo, 0, v0
	s_cselect_b32 s0, -1, 0
	v_cndmask_b32_e64 v1, 0, 1, s46
	s_and_b32 s0, s25, s0
	v_mad_i32_i24 v4, v0, -15, s33
	v_cndmask_b32_e64 v3, 0, 1, s0
	s_mul_hi_u32 s0, s33, 0x88888889
	s_and_b32 s1, vcc_lo, s46
	s_lshr_b32 s0, s0, 3
	v_sub_nc_u32_e32 v2, v61, v1
	v_cndmask_b32_e64 v5, v113, 0, s1
	v_cmp_eq_u32_e32 vcc_lo, s0, v0
	v_cmp_ne_u32_e64 s0, 0, v4
	s_mov_b32 s16, -1
	s_waitcnt_vscnt null, 0x0
	s_barrier
	s_and_b32 vcc_lo, s25, vcc_lo
	v_add_nc_u32_e32 v3, v2, v3
	v_cndmask_b32_e64 v2, 1, v5, s0
	v_cmp_ne_u32_e64 s0, 1, v4
	buffer_gl0_inv
	v_cndmask_b32_e32 v2, v5, v2, vcc_lo
	v_cndmask_b32_e64 v6, 1, v112, s0
	v_cmp_ne_u32_e64 s0, 14, v4
	s_delay_alu instid0(VALU_DEP_3) | instskip(NEXT) | instid1(VALU_DEP_3)
	v_cmp_ne_u32_e64 s14, 0, v2
	v_cndmask_b32_e32 v11, v112, v6, vcc_lo
	s_delay_alu instid0(VALU_DEP_3) | instskip(SKIP_1) | instid1(VALU_DEP_3)
	v_cndmask_b32_e64 v7, 1, v106, s0
	v_cmp_ne_u32_e64 s0, 2, v4
	v_cmp_ne_u32_e64 s13, 0, v11
	s_delay_alu instid0(VALU_DEP_3) | instskip(NEXT) | instid1(VALU_DEP_3)
	v_cndmask_b32_e32 v10, v106, v7, vcc_lo
	v_cndmask_b32_e64 v8, 1, v111, s0
	v_cmp_ne_u32_e64 s0, 3, v4
	s_delay_alu instid0(VALU_DEP_1) | instskip(SKIP_1) | instid1(VALU_DEP_2)
	v_cndmask_b32_e64 v9, 1, v110, s0
	v_cmp_ne_u32_e64 s0, 4, v4
	v_dual_cndmask_b32 v8, v111, v8 :: v_dual_cndmask_b32 v9, v110, v9
	s_delay_alu instid0(VALU_DEP_2) | instskip(SKIP_1) | instid1(VALU_DEP_3)
	v_cndmask_b32_e64 v5, 1, v109, s0
	v_cmp_ne_u32_e64 s0, 5, v4
	v_cmp_ne_u32_e64 s12, 0, v8
	s_delay_alu instid0(VALU_DEP_4) | instskip(NEXT) | instid1(VALU_DEP_4)
	v_cmp_ne_u32_e64 s11, 0, v9
	v_cndmask_b32_e32 v16, v109, v5, vcc_lo
	s_delay_alu instid0(VALU_DEP_4) | instskip(SKIP_1) | instid1(VALU_DEP_3)
	v_cndmask_b32_e64 v6, 1, v108, s0
	v_cmp_eq_u32_e64 s0, 0, v2
	v_cmp_ne_u32_e64 s10, 0, v16
	s_delay_alu instid0(VALU_DEP_2) | instskip(SKIP_1) | instid1(VALU_DEP_1)
	v_cndmask_b32_e64 v7, 1, 2, s0
	v_cmp_eq_u32_e64 s0, 0, v11
	v_cndmask_b32_e64 v12, 1, 2, s0
	v_cmp_ne_u32_e64 s0, 6, v4
	s_delay_alu instid0(VALU_DEP_2) | instskip(NEXT) | instid1(VALU_DEP_2)
	v_and_b32_e32 v7, v12, v7
	v_cndmask_b32_e64 v13, 1, v107, s0
	v_cmp_eq_u32_e64 s0, 0, v8
	s_delay_alu instid0(VALU_DEP_2) | instskip(NEXT) | instid1(VALU_DEP_2)
	v_cndmask_b32_e32 v13, v107, v13, vcc_lo
	v_cndmask_b32_e64 v12, 1, 2, s0
	v_cmp_ne_u32_e64 s0, 7, v4
	s_delay_alu instid0(VALU_DEP_3) | instskip(NEXT) | instid1(VALU_DEP_2)
	v_cmp_ne_u32_e64 s8, 0, v13
	v_cndmask_b32_e64 v14, 1, v105, s0
	v_cmp_ne_u32_e64 s0, 8, v4
	s_delay_alu instid0(VALU_DEP_2) | instskip(NEXT) | instid1(VALU_DEP_2)
	v_dual_cndmask_b32 v14, v105, v14 :: v_dual_and_b32 v7, v7, v12
	v_cndmask_b32_e64 v15, 1, v104, s0
	v_cmp_eq_u32_e64 s0, 0, v9
	s_delay_alu instid0(VALU_DEP_3) | instskip(NEXT) | instid1(VALU_DEP_2)
	v_cmp_ne_u32_e64 s7, 0, v14
	v_cndmask_b32_e64 v12, 1, 2, s0
	v_cmp_ne_u32_e64 s0, 9, v4
	s_delay_alu instid0(VALU_DEP_2) | instskip(NEXT) | instid1(VALU_DEP_2)
	v_dual_cndmask_b32 v17, v108, v6 :: v_dual_and_b32 v6, v7, v12
	v_cndmask_b32_e64 v5, 1, v103, s0
	v_cmp_eq_u32_e64 s0, 0, v16
	s_delay_alu instid0(VALU_DEP_3) | instskip(NEXT) | instid1(VALU_DEP_3)
	v_cmp_ne_u32_e64 s9, 0, v17
	v_cndmask_b32_e32 v21, v103, v5, vcc_lo
	s_delay_alu instid0(VALU_DEP_3) | instskip(SKIP_1) | instid1(VALU_DEP_3)
	v_cndmask_b32_e64 v7, 1, 2, s0
	v_cmp_ne_u32_e64 s0, 10, v4
	v_cmp_ne_u32_e64 s5, 0, v21
	s_delay_alu instid0(VALU_DEP_3) | instskip(NEXT) | instid1(VALU_DEP_3)
	v_and_b32_e32 v6, v6, v7
	v_cndmask_b32_e64 v12, 1, v102, s0
	v_cmp_ne_u32_e64 s0, 12, v4
	s_delay_alu instid0(VALU_DEP_2) | instskip(NEXT) | instid1(VALU_DEP_2)
	v_cndmask_b32_e32 v12, v102, v12, vcc_lo
	v_cndmask_b32_e64 v18, 1, v100, s0
	v_cmp_eq_u32_e64 s0, 0, v17
	s_delay_alu instid0(VALU_DEP_2) | instskip(NEXT) | instid1(VALU_DEP_2)
	v_cndmask_b32_e32 v18, v100, v18, vcc_lo
	v_cndmask_b32_e64 v7, 1, 2, s0
	v_cmp_ne_u32_e64 s0, 13, v4
	s_delay_alu instid0(VALU_DEP_3) | instskip(NEXT) | instid1(VALU_DEP_3)
	v_cmp_ne_u32_e64 s2, 0, v18
	v_and_b32_e32 v6, v6, v7
	s_delay_alu instid0(VALU_DEP_3) | instskip(SKIP_1) | instid1(VALU_DEP_2)
	v_cndmask_b32_e64 v19, 1, v99, s0
	v_cmp_eq_u32_e64 s0, 0, v13
	v_cndmask_b32_e32 v19, v99, v19, vcc_lo
	s_delay_alu instid0(VALU_DEP_2) | instskip(SKIP_1) | instid1(VALU_DEP_3)
	v_cndmask_b32_e64 v7, 1, 2, s0
	v_cmp_ne_u32_e64 s0, 11, v4
	v_cmp_ne_u32_e64 s1, 0, v19
	s_delay_alu instid0(VALU_DEP_3) | instskip(NEXT) | instid1(VALU_DEP_3)
	v_and_b32_e32 v6, v6, v7
	v_cndmask_b32_e64 v4, 1, v101, s0
	v_cmp_eq_u32_e64 s0, 0, v14
	s_delay_alu instid0(VALU_DEP_2) | instskip(NEXT) | instid1(VALU_DEP_2)
	v_dual_cndmask_b32 v15, v104, v15 :: v_dual_cndmask_b32 v20, v101, v4
	v_cndmask_b32_e64 v7, 1, 2, s0
	s_delay_alu instid0(VALU_DEP_2)
	v_cmp_eq_u32_e32 vcc_lo, 0, v15
	v_cmp_ne_u32_e64 s6, 0, v15
	v_cmp_ne_u32_e64 s0, 0, v10
	;; [unrolled: 1-line block ×3, first 2 shown]
	v_and_b32_e32 v4, v6, v7
	v_cndmask_b32_e64 v5, 1, 2, vcc_lo
	v_add_co_u32 v6, vcc_lo, s28, v31
	v_add_co_ci_u32_e32 v7, vcc_lo, s29, v32, vcc_lo
	v_cmp_eq_u32_e32 vcc_lo, 0, v21
	s_delay_alu instid0(VALU_DEP_4)
	v_and_b32_e32 v22, v4, v5
	v_cndmask_b32_e64 v23, 1, 2, vcc_lo
	v_add_co_u32 v4, vcc_lo, v6, v33
	v_add_co_ci_u32_e32 v5, vcc_lo, v7, v34, vcc_lo
	v_lshlrev_b32_e32 v6, 3, v1
	v_add_nc_u32_e32 v1, v65, v1
	v_cmp_eq_u32_e32 vcc_lo, 0, v12
	v_and_b32_e32 v7, v22, v23
	v_cmp_ne_u32_e64 s4, 0, v12
	v_cndmask_b32_e64 v22, 1, 2, vcc_lo
	v_add_co_u32 v6, vcc_lo, v6, v4
	v_add_co_ci_u32_e32 v23, vcc_lo, 0, v5, vcc_lo
	v_cmp_eq_u32_e32 vcc_lo, 0, v20
	s_delay_alu instid0(VALU_DEP_4) | instskip(SKIP_4) | instid1(VALU_DEP_4)
	v_and_b32_e32 v22, v7, v22
	v_cndmask_b32_e64 v24, 1, 2, vcc_lo
	v_add_co_u32 v6, vcc_lo, v6, -8
	v_add_co_ci_u32_e32 v7, vcc_lo, -1, v23, vcc_lo
	v_cmp_eq_u32_e32 vcc_lo, 0, v18
	v_and_b32_e32 v22, v22, v24
	v_cndmask_b32_e64 v23, 1, 2, vcc_lo
	v_cmp_eq_u32_e32 vcc_lo, 0, v19
	s_delay_alu instid0(VALU_DEP_2) | instskip(SKIP_2) | instid1(VALU_DEP_2)
	v_and_b32_e32 v2, v22, v23
	v_cndmask_b32_e64 v8, 1, 2, vcc_lo
	v_cmp_eq_u32_e32 vcc_lo, 0, v10
	v_and_b32_e32 v2, v2, v8
	v_cndmask_b32_e64 v8, 1, 2, vcc_lo
	v_cmp_gt_u32_e32 vcc_lo, 0x100, v3
	s_delay_alu instid0(VALU_DEP_2) | instskip(NEXT) | instid1(VALU_DEP_1)
	v_and_b32_e32 v2, v2, v8
	v_cmp_gt_i16_e64 s15, 2, v2
	s_cbranch_vccnz .LBB39_203
; %bb.200:
	s_and_b32 vcc_lo, exec_lo, s16
	s_cbranch_vccnz .LBB39_209
.LBB39_201:
	v_cmp_eq_u32_e32 vcc_lo, 0xff, v0
	s_and_b32 s0, vcc_lo, s25
	s_delay_alu instid0(SALU_CYCLE_1)
	s_and_saveexec_b32 s1, s0
	s_cbranch_execnz .LBB39_218
.LBB39_202:
	s_nop 0
	s_sendmsg sendmsg(MSG_DEALLOC_VGPRS)
	s_endpgm
.LBB39_203:
	s_delay_alu instid0(VALU_DEP_1)
	s_and_saveexec_b32 s16, s15
	s_cbranch_execz .LBB39_208
; %bb.204:
	s_mov_b32 s17, 0
	s_mov_b32 s15, exec_lo
	v_cmpx_ne_u16_e32 1, v2
	s_xor_b32 s15, exec_lo, s15
	s_cbranch_execnz .LBB39_255
; %bb.205:
	s_and_not1_saveexec_b32 s15, s15
	s_cbranch_execnz .LBB39_271
.LBB39_206:
	s_or_b32 exec_lo, exec_lo, s15
	s_delay_alu instid0(SALU_CYCLE_1)
	s_and_b32 exec_lo, exec_lo, s17
	s_cbranch_execz .LBB39_208
.LBB39_207:
	v_sub_nc_u32_e32 v8, v35, v1
	v_mov_b32_e32 v9, 0
	s_delay_alu instid0(VALU_DEP_1) | instskip(NEXT) | instid1(VALU_DEP_1)
	v_lshlrev_b64 v[8:9], 3, v[8:9]
	v_add_co_u32 v8, vcc_lo, v6, v8
	s_delay_alu instid0(VALU_DEP_2)
	v_add_co_ci_u32_e32 v9, vcc_lo, v7, v9, vcc_lo
	global_store_b64 v[8:9], v[85:86], off
.LBB39_208:
	s_or_b32 exec_lo, exec_lo, s16
	s_branch .LBB39_201
.LBB39_209:
	s_mov_b32 s15, exec_lo
	v_cmpx_gt_i16_e32 2, v2
	s_cbranch_execz .LBB39_214
; %bb.210:
	s_mov_b32 s17, 0
	s_mov_b32 s16, exec_lo
	v_cmpx_ne_u16_e32 1, v2
	s_xor_b32 s16, exec_lo, s16
	s_cbranch_execnz .LBB39_272
; %bb.211:
	s_and_not1_saveexec_b32 s0, s16
	s_cbranch_execnz .LBB39_288
.LBB39_212:
	s_or_b32 exec_lo, exec_lo, s0
	s_delay_alu instid0(SALU_CYCLE_1)
	s_and_b32 exec_lo, exec_lo, s17
	s_cbranch_execz .LBB39_214
.LBB39_213:
	v_sub_nc_u32_e32 v1, v35, v1
	s_delay_alu instid0(VALU_DEP_1)
	v_lshlrev_b32_e32 v1, 3, v1
	ds_store_b64 v1, v[85:86]
.LBB39_214:
	s_or_b32 exec_lo, exec_lo, s15
	s_delay_alu instid0(SALU_CYCLE_1)
	s_mov_b32 s1, exec_lo
	s_waitcnt lgkmcnt(0)
	s_waitcnt_vscnt null, 0x0
	s_barrier
	buffer_gl0_inv
	v_cmpx_lt_u32_e64 v0, v3
	s_cbranch_execz .LBB39_217
; %bb.215:
	v_dual_mov_b32 v1, v0 :: v_dual_lshlrev_b32 v8, 3, v0
	v_mov_b32_e32 v2, 0
	s_mov_b32 s2, 0
	.p2align	6
.LBB39_216:                             ; =>This Inner Loop Header: Depth=1
	ds_load_b64 v[9:10], v8
	v_lshlrev_b64 v[11:12], 3, v[1:2]
	v_add_nc_u32_e32 v1, 0x100, v1
	v_add_nc_u32_e32 v8, 0x800, v8
	s_delay_alu instid0(VALU_DEP_2) | instskip(NEXT) | instid1(VALU_DEP_4)
	v_cmp_ge_u32_e32 vcc_lo, v1, v3
	v_add_co_u32 v11, s0, v6, v11
	s_delay_alu instid0(VALU_DEP_1)
	v_add_co_ci_u32_e64 v12, s0, v7, v12, s0
	s_or_b32 s2, vcc_lo, s2
	s_waitcnt lgkmcnt(0)
	global_store_b64 v[11:12], v[9:10], off
	s_and_not1_b32 exec_lo, exec_lo, s2
	s_cbranch_execnz .LBB39_216
.LBB39_217:
	s_or_b32 exec_lo, exec_lo, s1
	v_cmp_eq_u32_e32 vcc_lo, 0xff, v0
	s_and_b32 s0, vcc_lo, s25
	s_delay_alu instid0(SALU_CYCLE_1)
	s_and_saveexec_b32 s1, s0
	s_cbranch_execz .LBB39_202
.LBB39_218:
	v_add_co_u32 v0, s0, v61, v65
	s_delay_alu instid0(VALU_DEP_1) | instskip(SKIP_1) | instid1(VALU_DEP_3)
	v_add_co_ci_u32_e64 v1, null, 0, 0, s0
	v_mov_b32_e32 v62, 0
	v_add_co_u32 v0, vcc_lo, v0, v29
	s_delay_alu instid0(VALU_DEP_3)
	v_add_co_ci_u32_e32 v1, vcc_lo, v1, v30, vcc_lo
	s_cmpk_lg_i32 s33, 0xf00
	global_store_b64 v62, v[0:1], s[30:31]
	s_cbranch_scc1 .LBB39_202
; %bb.219:
	v_lshlrev_b64 v[0:1], 3, v[61:62]
	s_delay_alu instid0(VALU_DEP_1) | instskip(NEXT) | instid1(VALU_DEP_2)
	v_add_co_u32 v0, vcc_lo, v4, v0
	v_add_co_ci_u32_e32 v1, vcc_lo, v5, v1, vcc_lo
	global_store_b64 v[0:1], v[63:64], off offset:-8
	s_nop 0
	s_sendmsg sendmsg(MSG_DEALLOC_VGPRS)
	s_endpgm
.LBB39_220:
	s_or_b32 exec_lo, exec_lo, s2
	v_mov_b32_e32 v113, s1
	s_and_saveexec_b32 s0, s47
	s_cbranch_execnz .LBB39_84
	s_branch .LBB39_85
.LBB39_221:
	s_and_saveexec_b32 s17, s12
	s_cbranch_execnz .LBB39_289
; %bb.222:
	s_or_b32 exec_lo, exec_lo, s17
	s_and_saveexec_b32 s17, s11
	s_cbranch_execnz .LBB39_290
.LBB39_223:
	s_or_b32 exec_lo, exec_lo, s17
	s_and_saveexec_b32 s17, s9
	s_cbranch_execnz .LBB39_291
.LBB39_224:
	s_or_b32 exec_lo, exec_lo, s17
	s_and_saveexec_b32 s17, s8
	s_cbranch_execnz .LBB39_292
.LBB39_225:
	s_or_b32 exec_lo, exec_lo, s17
	s_and_saveexec_b32 s17, s14
	s_cbranch_execnz .LBB39_293
.LBB39_226:
	s_or_b32 exec_lo, exec_lo, s17
	s_and_saveexec_b32 s17, s13
	s_cbranch_execnz .LBB39_294
.LBB39_227:
	s_or_b32 exec_lo, exec_lo, s17
	s_and_saveexec_b32 s17, s10
	s_cbranch_execnz .LBB39_295
.LBB39_228:
	s_or_b32 exec_lo, exec_lo, s17
	s_and_saveexec_b32 s17, s7
	s_cbranch_execnz .LBB39_296
.LBB39_229:
	s_or_b32 exec_lo, exec_lo, s17
	s_and_saveexec_b32 s17, s6
	s_cbranch_execnz .LBB39_297
.LBB39_230:
	s_or_b32 exec_lo, exec_lo, s17
	s_and_saveexec_b32 s17, s5
	s_cbranch_execnz .LBB39_298
.LBB39_231:
	s_or_b32 exec_lo, exec_lo, s17
	s_and_saveexec_b32 s17, s4
	s_cbranch_execnz .LBB39_299
.LBB39_232:
	s_or_b32 exec_lo, exec_lo, s17
	s_and_saveexec_b32 s17, s3
	s_cbranch_execnz .LBB39_300
.LBB39_233:
	s_or_b32 exec_lo, exec_lo, s17
	s_and_saveexec_b32 s17, s2
	s_cbranch_execnz .LBB39_301
.LBB39_234:
	s_or_b32 exec_lo, exec_lo, s17
	s_and_saveexec_b32 s17, s1
	s_cbranch_execz .LBB39_236
.LBB39_235:
	v_sub_nc_u32_e32 v52, v36, v65
	v_mov_b32_e32 v53, 0
	s_delay_alu instid0(VALU_DEP_1) | instskip(NEXT) | instid1(VALU_DEP_1)
	v_lshlrev_b64 v[52:53], 3, v[52:53]
	v_add_co_u32 v52, vcc_lo, v49, v52
	s_delay_alu instid0(VALU_DEP_2)
	v_add_co_ci_u32_e32 v53, vcc_lo, v50, v53, vcc_lo
	global_store_b64 v[52:53], v[3:4], off
.LBB39_236:
	s_or_b32 exec_lo, exec_lo, s17
	s_delay_alu instid0(SALU_CYCLE_1)
	s_and_b32 s17, s0, exec_lo
	s_and_not1_saveexec_b32 s15, s15
	s_cbranch_execz .LBB39_186
.LBB39_237:
	v_sub_nc_u32_e32 v52, v114, v65
	v_mov_b32_e32 v53, 0
	s_or_b32 s17, s17, exec_lo
	s_delay_alu instid0(VALU_DEP_1) | instskip(SKIP_1) | instid1(VALU_DEP_1)
	v_lshlrev_b64 v[54:55], 3, v[52:53]
	v_sub_nc_u32_e32 v52, v46, v65
	v_lshlrev_b64 v[59:60], 3, v[52:53]
	v_sub_nc_u32_e32 v52, v48, v65
	s_delay_alu instid0(VALU_DEP_4) | instskip(SKIP_1) | instid1(VALU_DEP_3)
	v_add_co_u32 v54, vcc_lo, v49, v54
	v_add_co_ci_u32_e32 v55, vcc_lo, v50, v55, vcc_lo
	v_lshlrev_b64 v[97:98], 3, v[52:53]
	v_sub_nc_u32_e32 v52, v47, v65
	v_add_co_u32 v59, vcc_lo, v49, v59
	v_add_co_ci_u32_e32 v60, vcc_lo, v50, v60, vcc_lo
	global_store_b64 v[54:55], v[25:26], off
	v_lshlrev_b64 v[54:55], 3, v[52:53]
	v_sub_nc_u32_e32 v52, v45, v65
	global_store_b64 v[59:60], v[27:28], off
	v_add_co_u32 v59, vcc_lo, v49, v97
	v_add_co_ci_u32_e32 v60, vcc_lo, v50, v98, vcc_lo
	v_lshlrev_b64 v[97:98], 3, v[52:53]
	v_sub_nc_u32_e32 v52, v44, v65
	v_add_co_u32 v54, vcc_lo, v49, v54
	v_add_co_ci_u32_e32 v55, vcc_lo, v50, v55, vcc_lo
	s_delay_alu instid0(VALU_DEP_3) | instskip(SKIP_3) | instid1(VALU_DEP_3)
	v_lshlrev_b64 v[115:116], 3, v[52:53]
	v_sub_nc_u32_e32 v52, v43, v65
	v_add_co_u32 v97, vcc_lo, v49, v97
	v_add_co_ci_u32_e32 v98, vcc_lo, v50, v98, vcc_lo
	v_lshlrev_b64 v[117:118], 3, v[52:53]
	v_sub_nc_u32_e32 v52, v42, v65
	v_add_co_u32 v115, vcc_lo, v49, v115
	v_add_co_ci_u32_e32 v116, vcc_lo, v50, v116, vcc_lo
	s_clause 0x3
	global_store_b64 v[59:60], v[21:22], off
	global_store_b64 v[54:55], v[23:24], off
	;; [unrolled: 1-line block ×4, first 2 shown]
	v_lshlrev_b64 v[54:55], 3, v[52:53]
	v_sub_nc_u32_e32 v52, v41, v65
	v_add_co_u32 v59, vcc_lo, v49, v117
	v_add_co_ci_u32_e32 v60, vcc_lo, v50, v118, vcc_lo
	s_delay_alu instid0(VALU_DEP_3) | instskip(SKIP_3) | instid1(VALU_DEP_3)
	v_lshlrev_b64 v[97:98], 3, v[52:53]
	v_sub_nc_u32_e32 v52, v40, v65
	v_add_co_u32 v54, vcc_lo, v49, v54
	v_add_co_ci_u32_e32 v55, vcc_lo, v50, v55, vcc_lo
	v_lshlrev_b64 v[115:116], 3, v[52:53]
	v_sub_nc_u32_e32 v52, v39, v65
	v_add_co_u32 v97, vcc_lo, v49, v97
	v_add_co_ci_u32_e32 v98, vcc_lo, v50, v98, vcc_lo
	s_delay_alu instid0(VALU_DEP_3)
	v_lshlrev_b64 v[117:118], 3, v[52:53]
	v_sub_nc_u32_e32 v52, v38, v65
	v_add_co_u32 v115, vcc_lo, v49, v115
	v_add_co_ci_u32_e32 v116, vcc_lo, v50, v116, vcc_lo
	s_clause 0x3
	global_store_b64 v[59:60], v[13:14], off
	global_store_b64 v[54:55], v[15:16], off
	;; [unrolled: 1-line block ×4, first 2 shown]
	v_lshlrev_b64 v[54:55], 3, v[52:53]
	v_sub_nc_u32_e32 v52, v37, v65
	v_add_co_u32 v59, vcc_lo, v49, v117
	v_add_co_ci_u32_e32 v60, vcc_lo, v50, v118, vcc_lo
	s_delay_alu instid0(VALU_DEP_3) | instskip(SKIP_3) | instid1(VALU_DEP_3)
	v_lshlrev_b64 v[97:98], 3, v[52:53]
	v_sub_nc_u32_e32 v52, v36, v65
	v_add_co_u32 v54, vcc_lo, v49, v54
	v_add_co_ci_u32_e32 v55, vcc_lo, v50, v55, vcc_lo
	v_lshlrev_b64 v[52:53], 3, v[52:53]
	v_add_co_u32 v97, vcc_lo, v49, v97
	v_add_co_ci_u32_e32 v98, vcc_lo, v50, v98, vcc_lo
	s_clause 0x2
	global_store_b64 v[59:60], v[5:6], off
	global_store_b64 v[54:55], v[7:8], off
	;; [unrolled: 1-line block ×3, first 2 shown]
	v_add_co_u32 v52, vcc_lo, v49, v52
	v_add_co_ci_u32_e32 v53, vcc_lo, v50, v53, vcc_lo
	global_store_b64 v[52:53], v[3:4], off
	s_or_b32 exec_lo, exec_lo, s15
	s_delay_alu instid0(SALU_CYCLE_1)
	s_and_b32 exec_lo, exec_lo, s17
	s_cbranch_execnz .LBB39_187
	s_branch .LBB39_188
.LBB39_238:
	s_and_saveexec_b32 s17, s12
	s_cbranch_execnz .LBB39_302
; %bb.239:
	s_or_b32 exec_lo, exec_lo, s17
	s_and_saveexec_b32 s12, s11
	s_cbranch_execnz .LBB39_303
.LBB39_240:
	s_or_b32 exec_lo, exec_lo, s12
	s_and_saveexec_b32 s11, s9
	s_cbranch_execnz .LBB39_304
.LBB39_241:
	s_or_b32 exec_lo, exec_lo, s11
	s_and_saveexec_b32 s9, s8
	s_cbranch_execnz .LBB39_305
.LBB39_242:
	s_or_b32 exec_lo, exec_lo, s9
	s_and_saveexec_b32 s8, s14
	s_cbranch_execnz .LBB39_306
.LBB39_243:
	s_or_b32 exec_lo, exec_lo, s8
	s_and_saveexec_b32 s8, s13
	s_cbranch_execnz .LBB39_307
.LBB39_244:
	s_or_b32 exec_lo, exec_lo, s8
	s_and_saveexec_b32 s8, s10
	s_cbranch_execnz .LBB39_308
.LBB39_245:
	s_or_b32 exec_lo, exec_lo, s8
	s_and_saveexec_b32 s8, s7
	s_cbranch_execnz .LBB39_309
.LBB39_246:
	s_or_b32 exec_lo, exec_lo, s8
	s_and_saveexec_b32 s7, s6
	s_cbranch_execnz .LBB39_310
.LBB39_247:
	s_or_b32 exec_lo, exec_lo, s7
	s_and_saveexec_b32 s6, s5
	s_cbranch_execnz .LBB39_311
.LBB39_248:
	s_or_b32 exec_lo, exec_lo, s6
	s_and_saveexec_b32 s5, s4
	s_cbranch_execnz .LBB39_312
.LBB39_249:
	s_or_b32 exec_lo, exec_lo, s5
	s_and_saveexec_b32 s4, s3
	s_cbranch_execnz .LBB39_313
.LBB39_250:
	s_or_b32 exec_lo, exec_lo, s4
	s_and_saveexec_b32 s3, s2
	s_cbranch_execnz .LBB39_314
.LBB39_251:
	s_or_b32 exec_lo, exec_lo, s3
	s_and_saveexec_b32 s2, s1
	s_cbranch_execz .LBB39_253
.LBB39_252:
	v_sub_nc_u32_e32 v1, v36, v65
	s_delay_alu instid0(VALU_DEP_1)
	v_lshlrev_b32_e32 v1, 3, v1
	ds_store_b64 v1, v[3:4]
.LBB39_253:
	s_or_b32 exec_lo, exec_lo, s2
	s_delay_alu instid0(SALU_CYCLE_1)
	s_and_b32 s17, s0, exec_lo
                                        ; implicit-def: $vgpr25_vgpr26
                                        ; implicit-def: $vgpr21_vgpr22
                                        ; implicit-def: $vgpr17_vgpr18
                                        ; implicit-def: $vgpr13_vgpr14
                                        ; implicit-def: $vgpr9_vgpr10
                                        ; implicit-def: $vgpr5_vgpr6
                                        ; implicit-def: $vgpr1_vgpr2
	s_and_not1_saveexec_b32 s0, s16
	s_cbranch_execz .LBB39_193
.LBB39_254:
	v_sub_nc_u32_e32 v51, v114, v65
	v_sub_nc_u32_e32 v52, v46, v65
	;; [unrolled: 1-line block ×4, first 2 shown]
	s_or_b32 s17, s17, exec_lo
	v_lshlrev_b32_e32 v51, 3, v51
	v_lshlrev_b32_e32 v52, 3, v52
	;; [unrolled: 1-line block ×4, first 2 shown]
	ds_store_b64 v51, v[25:26]
	ds_store_b64 v52, v[27:28]
	ds_store_b64 v53, v[21:22]
	v_sub_nc_u32_e32 v21, v45, v65
	v_sub_nc_u32_e32 v22, v44, v65
	ds_store_b64 v54, v[23:24]
	v_sub_nc_u32_e32 v23, v43, v65
	v_sub_nc_u32_e32 v24, v42, v65
	v_lshlrev_b32_e32 v21, 3, v21
	v_sub_nc_u32_e32 v25, v41, v65
	v_lshlrev_b32_e32 v22, 3, v22
	v_lshlrev_b32_e32 v23, 3, v23
	;; [unrolled: 1-line block ×3, first 2 shown]
	ds_store_b64 v21, v[17:18]
	v_lshlrev_b32_e32 v17, 3, v25
	ds_store_b64 v22, v[19:20]
	ds_store_b64 v23, v[13:14]
	;; [unrolled: 1-line block ×3, first 2 shown]
	v_sub_nc_u32_e32 v13, v40, v65
	v_sub_nc_u32_e32 v15, v36, v65
	;; [unrolled: 1-line block ×3, first 2 shown]
	ds_store_b64 v17, v[9:10]
	v_sub_nc_u32_e32 v9, v39, v65
	v_lshlrev_b32_e32 v13, 3, v13
	v_sub_nc_u32_e32 v10, v38, v65
	v_lshlrev_b32_e32 v14, 3, v14
	s_delay_alu instid0(VALU_DEP_4)
	v_lshlrev_b32_e32 v9, 3, v9
	ds_store_b64 v13, v[11:12]
	v_lshlrev_b32_e32 v11, 3, v15
	v_lshlrev_b32_e32 v10, 3, v10
	ds_store_b64 v9, v[5:6]
	ds_store_b64 v10, v[7:8]
	ds_store_b64 v14, v[1:2]
	ds_store_b64 v11, v[3:4]
	s_or_b32 exec_lo, exec_lo, s0
	s_delay_alu instid0(SALU_CYCLE_1)
	s_and_b32 exec_lo, exec_lo, s17
	s_cbranch_execnz .LBB39_194
	s_branch .LBB39_195
.LBB39_255:
	s_and_saveexec_b32 s17, s14
	s_cbranch_execnz .LBB39_315
; %bb.256:
	s_or_b32 exec_lo, exec_lo, s17
	s_and_saveexec_b32 s17, s13
	s_cbranch_execnz .LBB39_316
.LBB39_257:
	s_or_b32 exec_lo, exec_lo, s17
	s_and_saveexec_b32 s17, s12
	s_cbranch_execnz .LBB39_317
.LBB39_258:
	s_or_b32 exec_lo, exec_lo, s17
	s_and_saveexec_b32 s17, s11
	s_cbranch_execnz .LBB39_318
.LBB39_259:
	s_or_b32 exec_lo, exec_lo, s17
	s_and_saveexec_b32 s17, s10
	s_cbranch_execnz .LBB39_319
.LBB39_260:
	s_or_b32 exec_lo, exec_lo, s17
	s_and_saveexec_b32 s17, s9
	s_cbranch_execnz .LBB39_320
.LBB39_261:
	s_or_b32 exec_lo, exec_lo, s17
	s_and_saveexec_b32 s17, s8
	s_cbranch_execnz .LBB39_321
.LBB39_262:
	s_or_b32 exec_lo, exec_lo, s17
	s_and_saveexec_b32 s17, s7
	s_cbranch_execnz .LBB39_322
.LBB39_263:
	s_or_b32 exec_lo, exec_lo, s17
	s_and_saveexec_b32 s17, s6
	s_cbranch_execnz .LBB39_323
.LBB39_264:
	s_or_b32 exec_lo, exec_lo, s17
	s_and_saveexec_b32 s17, s5
	s_cbranch_execnz .LBB39_324
.LBB39_265:
	s_or_b32 exec_lo, exec_lo, s17
	s_and_saveexec_b32 s17, s4
	s_cbranch_execnz .LBB39_325
.LBB39_266:
	s_or_b32 exec_lo, exec_lo, s17
	s_and_saveexec_b32 s17, s3
	s_cbranch_execnz .LBB39_326
.LBB39_267:
	s_or_b32 exec_lo, exec_lo, s17
	s_and_saveexec_b32 s17, s2
	s_cbranch_execnz .LBB39_327
.LBB39_268:
	s_or_b32 exec_lo, exec_lo, s17
	s_and_saveexec_b32 s17, s1
	s_cbranch_execz .LBB39_270
.LBB39_269:
	v_sub_nc_u32_e32 v8, v36, v1
	v_mov_b32_e32 v9, 0
	s_delay_alu instid0(VALU_DEP_1) | instskip(NEXT) | instid1(VALU_DEP_1)
	v_lshlrev_b64 v[8:9], 3, v[8:9]
	v_add_co_u32 v8, vcc_lo, v6, v8
	s_delay_alu instid0(VALU_DEP_2)
	v_add_co_ci_u32_e32 v9, vcc_lo, v7, v9, vcc_lo
	global_store_b64 v[8:9], v[95:96], off
.LBB39_270:
	s_or_b32 exec_lo, exec_lo, s17
	s_delay_alu instid0(SALU_CYCLE_1)
	s_and_b32 s17, s0, exec_lo
	s_and_not1_saveexec_b32 s15, s15
	s_cbranch_execz .LBB39_206
.LBB39_271:
	v_sub_nc_u32_e32 v8, v114, v1
	v_mov_b32_e32 v9, 0
	s_or_b32 s17, s17, exec_lo
	s_delay_alu instid0(VALU_DEP_1) | instskip(SKIP_1) | instid1(VALU_DEP_1)
	v_lshlrev_b64 v[10:11], 3, v[8:9]
	v_sub_nc_u32_e32 v8, v46, v1
	v_lshlrev_b64 v[12:13], 3, v[8:9]
	v_sub_nc_u32_e32 v8, v48, v1
	s_delay_alu instid0(VALU_DEP_4) | instskip(SKIP_1) | instid1(VALU_DEP_3)
	v_add_co_u32 v10, vcc_lo, v6, v10
	v_add_co_ci_u32_e32 v11, vcc_lo, v7, v11, vcc_lo
	v_lshlrev_b64 v[14:15], 3, v[8:9]
	v_sub_nc_u32_e32 v8, v47, v1
	v_add_co_u32 v12, vcc_lo, v6, v12
	v_add_co_ci_u32_e32 v13, vcc_lo, v7, v13, vcc_lo
	global_store_b64 v[10:11], v[87:88], off
	v_lshlrev_b64 v[10:11], 3, v[8:9]
	v_sub_nc_u32_e32 v8, v45, v1
	global_store_b64 v[12:13], v[89:90], off
	v_add_co_u32 v12, vcc_lo, v6, v14
	v_add_co_ci_u32_e32 v13, vcc_lo, v7, v15, vcc_lo
	v_lshlrev_b64 v[14:15], 3, v[8:9]
	v_sub_nc_u32_e32 v8, v44, v1
	v_add_co_u32 v10, vcc_lo, v6, v10
	v_add_co_ci_u32_e32 v11, vcc_lo, v7, v11, vcc_lo
	s_delay_alu instid0(VALU_DEP_3) | instskip(SKIP_3) | instid1(VALU_DEP_3)
	v_lshlrev_b64 v[16:17], 3, v[8:9]
	v_sub_nc_u32_e32 v8, v43, v1
	v_add_co_u32 v14, vcc_lo, v6, v14
	v_add_co_ci_u32_e32 v15, vcc_lo, v7, v15, vcc_lo
	v_lshlrev_b64 v[18:19], 3, v[8:9]
	v_sub_nc_u32_e32 v8, v42, v1
	v_add_co_u32 v16, vcc_lo, v6, v16
	v_add_co_ci_u32_e32 v17, vcc_lo, v7, v17, vcc_lo
	s_clause 0x3
	global_store_b64 v[12:13], v[93:94], off
	global_store_b64 v[10:11], v[91:92], off
	;; [unrolled: 1-line block ×4, first 2 shown]
	v_lshlrev_b64 v[10:11], 3, v[8:9]
	v_sub_nc_u32_e32 v8, v41, v1
	v_add_co_u32 v12, vcc_lo, v6, v18
	v_add_co_ci_u32_e32 v13, vcc_lo, v7, v19, vcc_lo
	s_delay_alu instid0(VALU_DEP_3) | instskip(SKIP_3) | instid1(VALU_DEP_3)
	v_lshlrev_b64 v[14:15], 3, v[8:9]
	v_sub_nc_u32_e32 v8, v40, v1
	v_add_co_u32 v10, vcc_lo, v6, v10
	v_add_co_ci_u32_e32 v11, vcc_lo, v7, v11, vcc_lo
	v_lshlrev_b64 v[16:17], 3, v[8:9]
	v_sub_nc_u32_e32 v8, v39, v1
	v_add_co_u32 v14, vcc_lo, v6, v14
	v_add_co_ci_u32_e32 v15, vcc_lo, v7, v15, vcc_lo
	s_delay_alu instid0(VALU_DEP_3)
	v_lshlrev_b64 v[18:19], 3, v[8:9]
	v_sub_nc_u32_e32 v8, v38, v1
	v_add_co_u32 v16, vcc_lo, v6, v16
	v_add_co_ci_u32_e32 v17, vcc_lo, v7, v17, vcc_lo
	s_clause 0x3
	global_store_b64 v[12:13], v[79:80], off
	global_store_b64 v[10:11], v[83:84], off
	;; [unrolled: 1-line block ×4, first 2 shown]
	v_lshlrev_b64 v[10:11], 3, v[8:9]
	v_sub_nc_u32_e32 v8, v37, v1
	v_add_co_u32 v12, vcc_lo, v6, v18
	v_add_co_ci_u32_e32 v13, vcc_lo, v7, v19, vcc_lo
	s_delay_alu instid0(VALU_DEP_3) | instskip(SKIP_3) | instid1(VALU_DEP_3)
	v_lshlrev_b64 v[14:15], 3, v[8:9]
	v_sub_nc_u32_e32 v8, v36, v1
	v_add_co_u32 v10, vcc_lo, v6, v10
	v_add_co_ci_u32_e32 v11, vcc_lo, v7, v11, vcc_lo
	v_lshlrev_b64 v[8:9], 3, v[8:9]
	v_add_co_u32 v14, vcc_lo, v6, v14
	v_add_co_ci_u32_e32 v15, vcc_lo, v7, v15, vcc_lo
	s_clause 0x2
	global_store_b64 v[12:13], v[69:70], off
	global_store_b64 v[10:11], v[71:72], off
	;; [unrolled: 1-line block ×3, first 2 shown]
	v_add_co_u32 v8, vcc_lo, v6, v8
	v_add_co_ci_u32_e32 v9, vcc_lo, v7, v9, vcc_lo
	global_store_b64 v[8:9], v[95:96], off
	s_or_b32 exec_lo, exec_lo, s15
	s_delay_alu instid0(SALU_CYCLE_1)
	s_and_b32 exec_lo, exec_lo, s17
	s_cbranch_execnz .LBB39_207
	s_branch .LBB39_208
.LBB39_272:
	s_and_saveexec_b32 s17, s14
	s_cbranch_execnz .LBB39_328
; %bb.273:
	s_or_b32 exec_lo, exec_lo, s17
	s_and_saveexec_b32 s14, s13
	s_cbranch_execnz .LBB39_329
.LBB39_274:
	s_or_b32 exec_lo, exec_lo, s14
	s_and_saveexec_b32 s13, s12
	s_cbranch_execnz .LBB39_330
.LBB39_275:
	s_or_b32 exec_lo, exec_lo, s13
	s_and_saveexec_b32 s12, s11
	s_cbranch_execnz .LBB39_331
.LBB39_276:
	s_or_b32 exec_lo, exec_lo, s12
	s_and_saveexec_b32 s11, s10
	s_cbranch_execnz .LBB39_332
.LBB39_277:
	s_or_b32 exec_lo, exec_lo, s11
	s_and_saveexec_b32 s10, s9
	s_cbranch_execnz .LBB39_333
.LBB39_278:
	s_or_b32 exec_lo, exec_lo, s10
	s_and_saveexec_b32 s9, s8
	s_cbranch_execnz .LBB39_334
.LBB39_279:
	s_or_b32 exec_lo, exec_lo, s9
	s_and_saveexec_b32 s8, s7
	s_cbranch_execnz .LBB39_335
.LBB39_280:
	s_or_b32 exec_lo, exec_lo, s8
	s_and_saveexec_b32 s7, s6
	s_cbranch_execnz .LBB39_336
.LBB39_281:
	s_or_b32 exec_lo, exec_lo, s7
	s_and_saveexec_b32 s6, s5
	s_cbranch_execnz .LBB39_337
.LBB39_282:
	s_or_b32 exec_lo, exec_lo, s6
	s_and_saveexec_b32 s5, s4
	s_cbranch_execnz .LBB39_338
.LBB39_283:
	s_or_b32 exec_lo, exec_lo, s5
	s_and_saveexec_b32 s4, s3
	s_cbranch_execnz .LBB39_339
.LBB39_284:
	s_or_b32 exec_lo, exec_lo, s4
	s_and_saveexec_b32 s3, s2
	s_cbranch_execnz .LBB39_340
.LBB39_285:
	s_or_b32 exec_lo, exec_lo, s3
	s_and_saveexec_b32 s2, s1
	s_cbranch_execz .LBB39_287
.LBB39_286:
	v_sub_nc_u32_e32 v2, v36, v1
	s_delay_alu instid0(VALU_DEP_1)
	v_lshlrev_b32_e32 v2, 3, v2
	ds_store_b64 v2, v[95:96]
.LBB39_287:
	s_or_b32 exec_lo, exec_lo, s2
	s_delay_alu instid0(SALU_CYCLE_1)
	s_and_b32 s17, s0, exec_lo
                                        ; implicit-def: $vgpr87_vgpr88
                                        ; implicit-def: $vgpr89_vgpr90
                                        ; implicit-def: $vgpr93_vgpr94
                                        ; implicit-def: $vgpr91_vgpr92
                                        ; implicit-def: $vgpr75_vgpr76
                                        ; implicit-def: $vgpr77_vgpr78
                                        ; implicit-def: $vgpr79_vgpr80
                                        ; implicit-def: $vgpr83_vgpr84
                                        ; implicit-def: $vgpr81_vgpr82
                                        ; implicit-def: $vgpr67_vgpr68
                                        ; implicit-def: $vgpr69_vgpr70
                                        ; implicit-def: $vgpr71_vgpr72
                                        ; implicit-def: $vgpr73_vgpr74
                                        ; implicit-def: $vgpr95_vgpr96
                                        ; implicit-def: $vgpr114
                                        ; implicit-def: $vgpr46
                                        ; implicit-def: $vgpr48
                                        ; implicit-def: $vgpr47
                                        ; implicit-def: $vgpr45
                                        ; implicit-def: $vgpr44
                                        ; implicit-def: $vgpr43
                                        ; implicit-def: $vgpr42
                                        ; implicit-def: $vgpr41
                                        ; implicit-def: $vgpr40
                                        ; implicit-def: $vgpr39
                                        ; implicit-def: $vgpr38
                                        ; implicit-def: $vgpr37
                                        ; implicit-def: $vgpr36
	s_and_not1_saveexec_b32 s0, s16
	s_cbranch_execz .LBB39_212
.LBB39_288:
	v_sub_nc_u32_e32 v2, v114, v1
	v_sub_nc_u32_e32 v8, v46, v1
	;; [unrolled: 1-line block ×5, first 2 shown]
	v_lshlrev_b32_e32 v2, 3, v2
	v_lshlrev_b32_e32 v8, 3, v8
	;; [unrolled: 1-line block ×4, first 2 shown]
	s_or_b32 s17, s17, exec_lo
	ds_store_b64 v2, v[87:88]
	ds_store_b64 v8, v[89:90]
	;; [unrolled: 1-line block ×3, first 2 shown]
	v_sub_nc_u32_e32 v2, v45, v1
	v_sub_nc_u32_e32 v8, v44, v1
	;; [unrolled: 1-line block ×3, first 2 shown]
	ds_store_b64 v10, v[91:92]
	v_sub_nc_u32_e32 v10, v42, v1
	v_lshlrev_b32_e32 v2, 3, v2
	v_lshlrev_b32_e32 v8, 3, v8
	;; [unrolled: 1-line block ×3, first 2 shown]
	s_delay_alu instid0(VALU_DEP_4)
	v_lshlrev_b32_e32 v10, 3, v10
	ds_store_b64 v2, v[75:76]
	v_lshlrev_b32_e32 v2, 3, v11
	ds_store_b64 v8, v[77:78]
	ds_store_b64 v9, v[79:80]
	;; [unrolled: 1-line block ×3, first 2 shown]
	v_sub_nc_u32_e32 v8, v40, v1
	v_sub_nc_u32_e32 v11, v36, v1
	;; [unrolled: 1-line block ×3, first 2 shown]
	ds_store_b64 v2, v[81:82]
	v_sub_nc_u32_e32 v2, v39, v1
	v_lshlrev_b32_e32 v8, 3, v8
	v_sub_nc_u32_e32 v10, v37, v1
	v_lshlrev_b32_e32 v9, 3, v9
	s_delay_alu instid0(VALU_DEP_4)
	v_lshlrev_b32_e32 v2, 3, v2
	ds_store_b64 v8, v[67:68]
	v_lshlrev_b32_e32 v8, 3, v11
	v_lshlrev_b32_e32 v10, 3, v10
	ds_store_b64 v2, v[69:70]
	ds_store_b64 v9, v[71:72]
	;; [unrolled: 1-line block ×4, first 2 shown]
	s_or_b32 exec_lo, exec_lo, s0
	s_delay_alu instid0(SALU_CYCLE_1)
	s_and_b32 exec_lo, exec_lo, s17
	s_cbranch_execnz .LBB39_213
	s_branch .LBB39_214
.LBB39_289:
	v_sub_nc_u32_e32 v52, v114, v65
	v_mov_b32_e32 v53, 0
	s_delay_alu instid0(VALU_DEP_1) | instskip(NEXT) | instid1(VALU_DEP_1)
	v_lshlrev_b64 v[52:53], 3, v[52:53]
	v_add_co_u32 v52, vcc_lo, v49, v52
	s_delay_alu instid0(VALU_DEP_2)
	v_add_co_ci_u32_e32 v53, vcc_lo, v50, v53, vcc_lo
	global_store_b64 v[52:53], v[25:26], off
	s_or_b32 exec_lo, exec_lo, s17
	s_and_saveexec_b32 s17, s11
	s_cbranch_execz .LBB39_223
.LBB39_290:
	v_sub_nc_u32_e32 v52, v46, v65
	v_mov_b32_e32 v53, 0
	s_delay_alu instid0(VALU_DEP_1) | instskip(NEXT) | instid1(VALU_DEP_1)
	v_lshlrev_b64 v[52:53], 3, v[52:53]
	v_add_co_u32 v52, vcc_lo, v49, v52
	s_delay_alu instid0(VALU_DEP_2)
	v_add_co_ci_u32_e32 v53, vcc_lo, v50, v53, vcc_lo
	global_store_b64 v[52:53], v[27:28], off
	s_or_b32 exec_lo, exec_lo, s17
	s_and_saveexec_b32 s17, s9
	s_cbranch_execz .LBB39_224
.LBB39_291:
	v_sub_nc_u32_e32 v52, v48, v65
	v_mov_b32_e32 v53, 0
	s_delay_alu instid0(VALU_DEP_1) | instskip(NEXT) | instid1(VALU_DEP_1)
	v_lshlrev_b64 v[52:53], 3, v[52:53]
	v_add_co_u32 v52, vcc_lo, v49, v52
	s_delay_alu instid0(VALU_DEP_2)
	v_add_co_ci_u32_e32 v53, vcc_lo, v50, v53, vcc_lo
	global_store_b64 v[52:53], v[21:22], off
	s_or_b32 exec_lo, exec_lo, s17
	s_and_saveexec_b32 s17, s8
	s_cbranch_execz .LBB39_225
.LBB39_292:
	v_sub_nc_u32_e32 v52, v47, v65
	v_mov_b32_e32 v53, 0
	s_delay_alu instid0(VALU_DEP_1) | instskip(NEXT) | instid1(VALU_DEP_1)
	v_lshlrev_b64 v[52:53], 3, v[52:53]
	v_add_co_u32 v52, vcc_lo, v49, v52
	s_delay_alu instid0(VALU_DEP_2)
	v_add_co_ci_u32_e32 v53, vcc_lo, v50, v53, vcc_lo
	global_store_b64 v[52:53], v[23:24], off
	s_or_b32 exec_lo, exec_lo, s17
	s_and_saveexec_b32 s17, s14
	s_cbranch_execz .LBB39_226
.LBB39_293:
	v_sub_nc_u32_e32 v52, v45, v65
	v_mov_b32_e32 v53, 0
	s_delay_alu instid0(VALU_DEP_1) | instskip(NEXT) | instid1(VALU_DEP_1)
	v_lshlrev_b64 v[52:53], 3, v[52:53]
	v_add_co_u32 v52, vcc_lo, v49, v52
	s_delay_alu instid0(VALU_DEP_2)
	v_add_co_ci_u32_e32 v53, vcc_lo, v50, v53, vcc_lo
	global_store_b64 v[52:53], v[17:18], off
	s_or_b32 exec_lo, exec_lo, s17
	s_and_saveexec_b32 s17, s13
	s_cbranch_execz .LBB39_227
.LBB39_294:
	v_sub_nc_u32_e32 v52, v44, v65
	v_mov_b32_e32 v53, 0
	s_delay_alu instid0(VALU_DEP_1) | instskip(NEXT) | instid1(VALU_DEP_1)
	v_lshlrev_b64 v[52:53], 3, v[52:53]
	v_add_co_u32 v52, vcc_lo, v49, v52
	s_delay_alu instid0(VALU_DEP_2)
	v_add_co_ci_u32_e32 v53, vcc_lo, v50, v53, vcc_lo
	global_store_b64 v[52:53], v[19:20], off
	s_or_b32 exec_lo, exec_lo, s17
	s_and_saveexec_b32 s17, s10
	s_cbranch_execz .LBB39_228
.LBB39_295:
	v_sub_nc_u32_e32 v52, v43, v65
	v_mov_b32_e32 v53, 0
	s_delay_alu instid0(VALU_DEP_1) | instskip(NEXT) | instid1(VALU_DEP_1)
	v_lshlrev_b64 v[52:53], 3, v[52:53]
	v_add_co_u32 v52, vcc_lo, v49, v52
	s_delay_alu instid0(VALU_DEP_2)
	v_add_co_ci_u32_e32 v53, vcc_lo, v50, v53, vcc_lo
	global_store_b64 v[52:53], v[13:14], off
	s_or_b32 exec_lo, exec_lo, s17
	s_and_saveexec_b32 s17, s7
	s_cbranch_execz .LBB39_229
.LBB39_296:
	v_sub_nc_u32_e32 v52, v42, v65
	v_mov_b32_e32 v53, 0
	s_delay_alu instid0(VALU_DEP_1) | instskip(NEXT) | instid1(VALU_DEP_1)
	v_lshlrev_b64 v[52:53], 3, v[52:53]
	v_add_co_u32 v52, vcc_lo, v49, v52
	s_delay_alu instid0(VALU_DEP_2)
	v_add_co_ci_u32_e32 v53, vcc_lo, v50, v53, vcc_lo
	global_store_b64 v[52:53], v[15:16], off
	s_or_b32 exec_lo, exec_lo, s17
	s_and_saveexec_b32 s17, s6
	s_cbranch_execz .LBB39_230
.LBB39_297:
	v_sub_nc_u32_e32 v52, v41, v65
	v_mov_b32_e32 v53, 0
	s_delay_alu instid0(VALU_DEP_1) | instskip(NEXT) | instid1(VALU_DEP_1)
	v_lshlrev_b64 v[52:53], 3, v[52:53]
	v_add_co_u32 v52, vcc_lo, v49, v52
	s_delay_alu instid0(VALU_DEP_2)
	v_add_co_ci_u32_e32 v53, vcc_lo, v50, v53, vcc_lo
	global_store_b64 v[52:53], v[9:10], off
	s_or_b32 exec_lo, exec_lo, s17
	s_and_saveexec_b32 s17, s5
	s_cbranch_execz .LBB39_231
.LBB39_298:
	v_sub_nc_u32_e32 v52, v40, v65
	v_mov_b32_e32 v53, 0
	s_delay_alu instid0(VALU_DEP_1) | instskip(NEXT) | instid1(VALU_DEP_1)
	v_lshlrev_b64 v[52:53], 3, v[52:53]
	v_add_co_u32 v52, vcc_lo, v49, v52
	s_delay_alu instid0(VALU_DEP_2)
	v_add_co_ci_u32_e32 v53, vcc_lo, v50, v53, vcc_lo
	global_store_b64 v[52:53], v[11:12], off
	s_or_b32 exec_lo, exec_lo, s17
	s_and_saveexec_b32 s17, s4
	s_cbranch_execz .LBB39_232
.LBB39_299:
	v_sub_nc_u32_e32 v52, v39, v65
	v_mov_b32_e32 v53, 0
	s_delay_alu instid0(VALU_DEP_1) | instskip(NEXT) | instid1(VALU_DEP_1)
	v_lshlrev_b64 v[52:53], 3, v[52:53]
	v_add_co_u32 v52, vcc_lo, v49, v52
	s_delay_alu instid0(VALU_DEP_2)
	v_add_co_ci_u32_e32 v53, vcc_lo, v50, v53, vcc_lo
	global_store_b64 v[52:53], v[5:6], off
	s_or_b32 exec_lo, exec_lo, s17
	s_and_saveexec_b32 s17, s3
	s_cbranch_execz .LBB39_233
.LBB39_300:
	v_sub_nc_u32_e32 v52, v38, v65
	v_mov_b32_e32 v53, 0
	s_delay_alu instid0(VALU_DEP_1) | instskip(NEXT) | instid1(VALU_DEP_1)
	v_lshlrev_b64 v[52:53], 3, v[52:53]
	v_add_co_u32 v52, vcc_lo, v49, v52
	s_delay_alu instid0(VALU_DEP_2)
	v_add_co_ci_u32_e32 v53, vcc_lo, v50, v53, vcc_lo
	global_store_b64 v[52:53], v[7:8], off
	s_or_b32 exec_lo, exec_lo, s17
	s_and_saveexec_b32 s17, s2
	s_cbranch_execz .LBB39_234
.LBB39_301:
	v_sub_nc_u32_e32 v52, v37, v65
	v_mov_b32_e32 v53, 0
	s_delay_alu instid0(VALU_DEP_1) | instskip(NEXT) | instid1(VALU_DEP_1)
	v_lshlrev_b64 v[52:53], 3, v[52:53]
	v_add_co_u32 v52, vcc_lo, v49, v52
	s_delay_alu instid0(VALU_DEP_2)
	v_add_co_ci_u32_e32 v53, vcc_lo, v50, v53, vcc_lo
	global_store_b64 v[52:53], v[1:2], off
	s_or_b32 exec_lo, exec_lo, s17
	s_and_saveexec_b32 s17, s1
	s_cbranch_execnz .LBB39_235
	s_branch .LBB39_236
.LBB39_302:
	v_sub_nc_u32_e32 v51, v114, v65
	s_delay_alu instid0(VALU_DEP_1)
	v_lshlrev_b32_e32 v51, 3, v51
	ds_store_b64 v51, v[25:26]
	s_or_b32 exec_lo, exec_lo, s17
	s_and_saveexec_b32 s12, s11
	s_cbranch_execz .LBB39_240
.LBB39_303:
	v_sub_nc_u32_e32 v25, v46, v65
	s_delay_alu instid0(VALU_DEP_1)
	v_lshlrev_b32_e32 v25, 3, v25
	ds_store_b64 v25, v[27:28]
	s_or_b32 exec_lo, exec_lo, s12
	s_and_saveexec_b32 s11, s9
	s_cbranch_execz .LBB39_241
.LBB39_304:
	v_sub_nc_u32_e32 v25, v48, v65
	s_delay_alu instid0(VALU_DEP_1)
	v_lshlrev_b32_e32 v25, 3, v25
	ds_store_b64 v25, v[21:22]
	s_or_b32 exec_lo, exec_lo, s11
	s_and_saveexec_b32 s9, s8
	s_cbranch_execz .LBB39_242
.LBB39_305:
	v_sub_nc_u32_e32 v21, v47, v65
	s_delay_alu instid0(VALU_DEP_1)
	v_lshlrev_b32_e32 v21, 3, v21
	ds_store_b64 v21, v[23:24]
	s_or_b32 exec_lo, exec_lo, s9
	s_and_saveexec_b32 s8, s14
	s_cbranch_execz .LBB39_243
.LBB39_306:
	v_sub_nc_u32_e32 v21, v45, v65
	s_delay_alu instid0(VALU_DEP_1)
	v_lshlrev_b32_e32 v21, 3, v21
	ds_store_b64 v21, v[17:18]
	s_or_b32 exec_lo, exec_lo, s8
	s_and_saveexec_b32 s8, s13
	s_cbranch_execz .LBB39_244
.LBB39_307:
	v_sub_nc_u32_e32 v17, v44, v65
	s_delay_alu instid0(VALU_DEP_1)
	v_lshlrev_b32_e32 v17, 3, v17
	ds_store_b64 v17, v[19:20]
	s_or_b32 exec_lo, exec_lo, s8
	s_and_saveexec_b32 s8, s10
	s_cbranch_execz .LBB39_245
.LBB39_308:
	v_sub_nc_u32_e32 v17, v43, v65
	s_delay_alu instid0(VALU_DEP_1)
	v_lshlrev_b32_e32 v17, 3, v17
	ds_store_b64 v17, v[13:14]
	s_or_b32 exec_lo, exec_lo, s8
	s_and_saveexec_b32 s8, s7
	s_cbranch_execz .LBB39_246
.LBB39_309:
	v_sub_nc_u32_e32 v13, v42, v65
	s_delay_alu instid0(VALU_DEP_1)
	v_lshlrev_b32_e32 v13, 3, v13
	ds_store_b64 v13, v[15:16]
	s_or_b32 exec_lo, exec_lo, s8
	s_and_saveexec_b32 s7, s6
	s_cbranch_execz .LBB39_247
.LBB39_310:
	v_sub_nc_u32_e32 v13, v41, v65
	s_delay_alu instid0(VALU_DEP_1)
	v_lshlrev_b32_e32 v13, 3, v13
	ds_store_b64 v13, v[9:10]
	s_or_b32 exec_lo, exec_lo, s7
	s_and_saveexec_b32 s6, s5
	s_cbranch_execz .LBB39_248
.LBB39_311:
	v_sub_nc_u32_e32 v9, v40, v65
	s_delay_alu instid0(VALU_DEP_1)
	v_lshlrev_b32_e32 v9, 3, v9
	ds_store_b64 v9, v[11:12]
	s_or_b32 exec_lo, exec_lo, s6
	s_and_saveexec_b32 s5, s4
	s_cbranch_execz .LBB39_249
.LBB39_312:
	v_sub_nc_u32_e32 v9, v39, v65
	s_delay_alu instid0(VALU_DEP_1)
	v_lshlrev_b32_e32 v9, 3, v9
	ds_store_b64 v9, v[5:6]
	s_or_b32 exec_lo, exec_lo, s5
	s_and_saveexec_b32 s4, s3
	s_cbranch_execz .LBB39_250
.LBB39_313:
	v_sub_nc_u32_e32 v5, v38, v65
	s_delay_alu instid0(VALU_DEP_1)
	v_lshlrev_b32_e32 v5, 3, v5
	ds_store_b64 v5, v[7:8]
	s_or_b32 exec_lo, exec_lo, s4
	s_and_saveexec_b32 s3, s2
	s_cbranch_execz .LBB39_251
.LBB39_314:
	v_sub_nc_u32_e32 v5, v37, v65
	s_delay_alu instid0(VALU_DEP_1)
	v_lshlrev_b32_e32 v5, 3, v5
	ds_store_b64 v5, v[1:2]
	s_or_b32 exec_lo, exec_lo, s3
	s_and_saveexec_b32 s2, s1
	s_cbranch_execnz .LBB39_252
	s_branch .LBB39_253
.LBB39_315:
	v_sub_nc_u32_e32 v8, v114, v1
	v_mov_b32_e32 v9, 0
	s_delay_alu instid0(VALU_DEP_1) | instskip(NEXT) | instid1(VALU_DEP_1)
	v_lshlrev_b64 v[8:9], 3, v[8:9]
	v_add_co_u32 v8, vcc_lo, v6, v8
	s_delay_alu instid0(VALU_DEP_2)
	v_add_co_ci_u32_e32 v9, vcc_lo, v7, v9, vcc_lo
	global_store_b64 v[8:9], v[87:88], off
	s_or_b32 exec_lo, exec_lo, s17
	s_and_saveexec_b32 s17, s13
	s_cbranch_execz .LBB39_257
.LBB39_316:
	v_sub_nc_u32_e32 v8, v46, v1
	v_mov_b32_e32 v9, 0
	s_delay_alu instid0(VALU_DEP_1) | instskip(NEXT) | instid1(VALU_DEP_1)
	v_lshlrev_b64 v[8:9], 3, v[8:9]
	v_add_co_u32 v8, vcc_lo, v6, v8
	s_delay_alu instid0(VALU_DEP_2)
	v_add_co_ci_u32_e32 v9, vcc_lo, v7, v9, vcc_lo
	global_store_b64 v[8:9], v[89:90], off
	s_or_b32 exec_lo, exec_lo, s17
	s_and_saveexec_b32 s17, s12
	s_cbranch_execz .LBB39_258
.LBB39_317:
	v_sub_nc_u32_e32 v8, v48, v1
	v_mov_b32_e32 v9, 0
	s_delay_alu instid0(VALU_DEP_1) | instskip(NEXT) | instid1(VALU_DEP_1)
	v_lshlrev_b64 v[8:9], 3, v[8:9]
	v_add_co_u32 v8, vcc_lo, v6, v8
	s_delay_alu instid0(VALU_DEP_2)
	v_add_co_ci_u32_e32 v9, vcc_lo, v7, v9, vcc_lo
	global_store_b64 v[8:9], v[93:94], off
	s_or_b32 exec_lo, exec_lo, s17
	s_and_saveexec_b32 s17, s11
	s_cbranch_execz .LBB39_259
.LBB39_318:
	v_sub_nc_u32_e32 v8, v47, v1
	v_mov_b32_e32 v9, 0
	s_delay_alu instid0(VALU_DEP_1) | instskip(NEXT) | instid1(VALU_DEP_1)
	v_lshlrev_b64 v[8:9], 3, v[8:9]
	v_add_co_u32 v8, vcc_lo, v6, v8
	s_delay_alu instid0(VALU_DEP_2)
	v_add_co_ci_u32_e32 v9, vcc_lo, v7, v9, vcc_lo
	global_store_b64 v[8:9], v[91:92], off
	s_or_b32 exec_lo, exec_lo, s17
	s_and_saveexec_b32 s17, s10
	s_cbranch_execz .LBB39_260
.LBB39_319:
	v_sub_nc_u32_e32 v8, v45, v1
	v_mov_b32_e32 v9, 0
	s_delay_alu instid0(VALU_DEP_1) | instskip(NEXT) | instid1(VALU_DEP_1)
	v_lshlrev_b64 v[8:9], 3, v[8:9]
	v_add_co_u32 v8, vcc_lo, v6, v8
	s_delay_alu instid0(VALU_DEP_2)
	v_add_co_ci_u32_e32 v9, vcc_lo, v7, v9, vcc_lo
	global_store_b64 v[8:9], v[75:76], off
	s_or_b32 exec_lo, exec_lo, s17
	s_and_saveexec_b32 s17, s9
	s_cbranch_execz .LBB39_261
.LBB39_320:
	v_sub_nc_u32_e32 v8, v44, v1
	v_mov_b32_e32 v9, 0
	s_delay_alu instid0(VALU_DEP_1) | instskip(NEXT) | instid1(VALU_DEP_1)
	v_lshlrev_b64 v[8:9], 3, v[8:9]
	v_add_co_u32 v8, vcc_lo, v6, v8
	s_delay_alu instid0(VALU_DEP_2)
	v_add_co_ci_u32_e32 v9, vcc_lo, v7, v9, vcc_lo
	global_store_b64 v[8:9], v[77:78], off
	s_or_b32 exec_lo, exec_lo, s17
	s_and_saveexec_b32 s17, s8
	s_cbranch_execz .LBB39_262
.LBB39_321:
	v_sub_nc_u32_e32 v8, v43, v1
	v_mov_b32_e32 v9, 0
	s_delay_alu instid0(VALU_DEP_1) | instskip(NEXT) | instid1(VALU_DEP_1)
	v_lshlrev_b64 v[8:9], 3, v[8:9]
	v_add_co_u32 v8, vcc_lo, v6, v8
	s_delay_alu instid0(VALU_DEP_2)
	v_add_co_ci_u32_e32 v9, vcc_lo, v7, v9, vcc_lo
	global_store_b64 v[8:9], v[79:80], off
	s_or_b32 exec_lo, exec_lo, s17
	s_and_saveexec_b32 s17, s7
	s_cbranch_execz .LBB39_263
.LBB39_322:
	v_sub_nc_u32_e32 v8, v42, v1
	v_mov_b32_e32 v9, 0
	s_delay_alu instid0(VALU_DEP_1) | instskip(NEXT) | instid1(VALU_DEP_1)
	v_lshlrev_b64 v[8:9], 3, v[8:9]
	v_add_co_u32 v8, vcc_lo, v6, v8
	s_delay_alu instid0(VALU_DEP_2)
	v_add_co_ci_u32_e32 v9, vcc_lo, v7, v9, vcc_lo
	global_store_b64 v[8:9], v[83:84], off
	s_or_b32 exec_lo, exec_lo, s17
	s_and_saveexec_b32 s17, s6
	s_cbranch_execz .LBB39_264
.LBB39_323:
	v_sub_nc_u32_e32 v8, v41, v1
	v_mov_b32_e32 v9, 0
	s_delay_alu instid0(VALU_DEP_1) | instskip(NEXT) | instid1(VALU_DEP_1)
	v_lshlrev_b64 v[8:9], 3, v[8:9]
	v_add_co_u32 v8, vcc_lo, v6, v8
	s_delay_alu instid0(VALU_DEP_2)
	v_add_co_ci_u32_e32 v9, vcc_lo, v7, v9, vcc_lo
	global_store_b64 v[8:9], v[81:82], off
	s_or_b32 exec_lo, exec_lo, s17
	s_and_saveexec_b32 s17, s5
	s_cbranch_execz .LBB39_265
.LBB39_324:
	v_sub_nc_u32_e32 v8, v40, v1
	v_mov_b32_e32 v9, 0
	s_delay_alu instid0(VALU_DEP_1) | instskip(NEXT) | instid1(VALU_DEP_1)
	v_lshlrev_b64 v[8:9], 3, v[8:9]
	v_add_co_u32 v8, vcc_lo, v6, v8
	s_delay_alu instid0(VALU_DEP_2)
	v_add_co_ci_u32_e32 v9, vcc_lo, v7, v9, vcc_lo
	global_store_b64 v[8:9], v[67:68], off
	s_or_b32 exec_lo, exec_lo, s17
	s_and_saveexec_b32 s17, s4
	s_cbranch_execz .LBB39_266
.LBB39_325:
	v_sub_nc_u32_e32 v8, v39, v1
	v_mov_b32_e32 v9, 0
	s_delay_alu instid0(VALU_DEP_1) | instskip(NEXT) | instid1(VALU_DEP_1)
	v_lshlrev_b64 v[8:9], 3, v[8:9]
	v_add_co_u32 v8, vcc_lo, v6, v8
	s_delay_alu instid0(VALU_DEP_2)
	v_add_co_ci_u32_e32 v9, vcc_lo, v7, v9, vcc_lo
	global_store_b64 v[8:9], v[69:70], off
	s_or_b32 exec_lo, exec_lo, s17
	s_and_saveexec_b32 s17, s3
	s_cbranch_execz .LBB39_267
.LBB39_326:
	v_sub_nc_u32_e32 v8, v38, v1
	v_mov_b32_e32 v9, 0
	s_delay_alu instid0(VALU_DEP_1) | instskip(NEXT) | instid1(VALU_DEP_1)
	v_lshlrev_b64 v[8:9], 3, v[8:9]
	v_add_co_u32 v8, vcc_lo, v6, v8
	s_delay_alu instid0(VALU_DEP_2)
	v_add_co_ci_u32_e32 v9, vcc_lo, v7, v9, vcc_lo
	global_store_b64 v[8:9], v[71:72], off
	s_or_b32 exec_lo, exec_lo, s17
	s_and_saveexec_b32 s17, s2
	s_cbranch_execz .LBB39_268
.LBB39_327:
	v_sub_nc_u32_e32 v8, v37, v1
	v_mov_b32_e32 v9, 0
	s_delay_alu instid0(VALU_DEP_1) | instskip(NEXT) | instid1(VALU_DEP_1)
	v_lshlrev_b64 v[8:9], 3, v[8:9]
	v_add_co_u32 v8, vcc_lo, v6, v8
	s_delay_alu instid0(VALU_DEP_2)
	v_add_co_ci_u32_e32 v9, vcc_lo, v7, v9, vcc_lo
	global_store_b64 v[8:9], v[73:74], off
	s_or_b32 exec_lo, exec_lo, s17
	s_and_saveexec_b32 s17, s1
	s_cbranch_execnz .LBB39_269
	s_branch .LBB39_270
.LBB39_328:
	v_sub_nc_u32_e32 v2, v114, v1
	s_delay_alu instid0(VALU_DEP_1)
	v_lshlrev_b32_e32 v2, 3, v2
	ds_store_b64 v2, v[87:88]
	s_or_b32 exec_lo, exec_lo, s17
	s_and_saveexec_b32 s14, s13
	s_cbranch_execz .LBB39_274
.LBB39_329:
	v_sub_nc_u32_e32 v2, v46, v1
	s_delay_alu instid0(VALU_DEP_1)
	v_lshlrev_b32_e32 v2, 3, v2
	ds_store_b64 v2, v[89:90]
	s_or_b32 exec_lo, exec_lo, s14
	s_and_saveexec_b32 s13, s12
	s_cbranch_execz .LBB39_275
.LBB39_330:
	v_sub_nc_u32_e32 v2, v48, v1
	s_delay_alu instid0(VALU_DEP_1)
	v_lshlrev_b32_e32 v2, 3, v2
	ds_store_b64 v2, v[93:94]
	s_or_b32 exec_lo, exec_lo, s13
	s_and_saveexec_b32 s12, s11
	s_cbranch_execz .LBB39_276
.LBB39_331:
	v_sub_nc_u32_e32 v2, v47, v1
	s_delay_alu instid0(VALU_DEP_1)
	v_lshlrev_b32_e32 v2, 3, v2
	ds_store_b64 v2, v[91:92]
	s_or_b32 exec_lo, exec_lo, s12
	s_and_saveexec_b32 s11, s10
	s_cbranch_execz .LBB39_277
.LBB39_332:
	v_sub_nc_u32_e32 v2, v45, v1
	s_delay_alu instid0(VALU_DEP_1)
	v_lshlrev_b32_e32 v2, 3, v2
	ds_store_b64 v2, v[75:76]
	s_or_b32 exec_lo, exec_lo, s11
	s_and_saveexec_b32 s10, s9
	s_cbranch_execz .LBB39_278
.LBB39_333:
	v_sub_nc_u32_e32 v2, v44, v1
	s_delay_alu instid0(VALU_DEP_1)
	v_lshlrev_b32_e32 v2, 3, v2
	ds_store_b64 v2, v[77:78]
	s_or_b32 exec_lo, exec_lo, s10
	s_and_saveexec_b32 s9, s8
	s_cbranch_execz .LBB39_279
.LBB39_334:
	v_sub_nc_u32_e32 v2, v43, v1
	s_delay_alu instid0(VALU_DEP_1)
	v_lshlrev_b32_e32 v2, 3, v2
	ds_store_b64 v2, v[79:80]
	s_or_b32 exec_lo, exec_lo, s9
	s_and_saveexec_b32 s8, s7
	s_cbranch_execz .LBB39_280
.LBB39_335:
	v_sub_nc_u32_e32 v2, v42, v1
	s_delay_alu instid0(VALU_DEP_1)
	v_lshlrev_b32_e32 v2, 3, v2
	ds_store_b64 v2, v[83:84]
	s_or_b32 exec_lo, exec_lo, s8
	s_and_saveexec_b32 s7, s6
	s_cbranch_execz .LBB39_281
.LBB39_336:
	v_sub_nc_u32_e32 v2, v41, v1
	s_delay_alu instid0(VALU_DEP_1)
	v_lshlrev_b32_e32 v2, 3, v2
	ds_store_b64 v2, v[81:82]
	s_or_b32 exec_lo, exec_lo, s7
	s_and_saveexec_b32 s6, s5
	s_cbranch_execz .LBB39_282
.LBB39_337:
	v_sub_nc_u32_e32 v2, v40, v1
	s_delay_alu instid0(VALU_DEP_1)
	v_lshlrev_b32_e32 v2, 3, v2
	ds_store_b64 v2, v[67:68]
	s_or_b32 exec_lo, exec_lo, s6
	s_and_saveexec_b32 s5, s4
	s_cbranch_execz .LBB39_283
.LBB39_338:
	v_sub_nc_u32_e32 v2, v39, v1
	s_delay_alu instid0(VALU_DEP_1)
	v_lshlrev_b32_e32 v2, 3, v2
	ds_store_b64 v2, v[69:70]
	s_or_b32 exec_lo, exec_lo, s5
	s_and_saveexec_b32 s4, s3
	s_cbranch_execz .LBB39_284
.LBB39_339:
	v_sub_nc_u32_e32 v2, v38, v1
	s_delay_alu instid0(VALU_DEP_1)
	v_lshlrev_b32_e32 v2, 3, v2
	ds_store_b64 v2, v[71:72]
	s_or_b32 exec_lo, exec_lo, s4
	s_and_saveexec_b32 s3, s2
	s_cbranch_execz .LBB39_285
.LBB39_340:
	v_sub_nc_u32_e32 v2, v37, v1
	s_delay_alu instid0(VALU_DEP_1)
	v_lshlrev_b32_e32 v2, 3, v2
	ds_store_b64 v2, v[73:74]
	s_or_b32 exec_lo, exec_lo, s3
	s_and_saveexec_b32 s2, s1
	s_cbranch_execnz .LBB39_286
	s_branch .LBB39_287
	.section	.rodata,"a",@progbits
	.p2align	6, 0x0
	.amdhsa_kernel _ZN7rocprim17ROCPRIM_400000_NS6detail17trampoline_kernelINS0_14default_configENS1_29reduce_by_key_config_selectorIddN6thrust23THRUST_200600_302600_NS4plusIdEEEEZZNS1_33reduce_by_key_impl_wrapped_configILNS1_25lookback_scan_determinismE0ES3_S9_NS6_6detail15normal_iteratorINS6_10device_ptrIdEEEESG_SG_SG_PmS8_NS6_8equal_toIdEEEE10hipError_tPvRmT2_T3_mT4_T5_T6_T7_T8_P12ihipStream_tbENKUlT_T0_E_clISt17integral_constantIbLb1EES10_IbLb0EEEEDaSW_SX_EUlSW_E_NS1_11comp_targetILNS1_3genE9ELNS1_11target_archE1100ELNS1_3gpuE3ELNS1_3repE0EEENS1_30default_config_static_selectorELNS0_4arch9wavefront6targetE0EEEvT1_
		.amdhsa_group_segment_fixed_size 30720
		.amdhsa_private_segment_fixed_size 0
		.amdhsa_kernarg_size 136
		.amdhsa_user_sgpr_count 15
		.amdhsa_user_sgpr_dispatch_ptr 0
		.amdhsa_user_sgpr_queue_ptr 0
		.amdhsa_user_sgpr_kernarg_segment_ptr 1
		.amdhsa_user_sgpr_dispatch_id 0
		.amdhsa_user_sgpr_private_segment_size 0
		.amdhsa_wavefront_size32 1
		.amdhsa_uses_dynamic_stack 0
		.amdhsa_enable_private_segment 0
		.amdhsa_system_sgpr_workgroup_id_x 1
		.amdhsa_system_sgpr_workgroup_id_y 0
		.amdhsa_system_sgpr_workgroup_id_z 0
		.amdhsa_system_sgpr_workgroup_info 0
		.amdhsa_system_vgpr_workitem_id 0
		.amdhsa_next_free_vgpr 120
		.amdhsa_next_free_sgpr 52
		.amdhsa_reserve_vcc 1
		.amdhsa_float_round_mode_32 0
		.amdhsa_float_round_mode_16_64 0
		.amdhsa_float_denorm_mode_32 3
		.amdhsa_float_denorm_mode_16_64 3
		.amdhsa_dx10_clamp 1
		.amdhsa_ieee_mode 1
		.amdhsa_fp16_overflow 0
		.amdhsa_workgroup_processor_mode 1
		.amdhsa_memory_ordered 1
		.amdhsa_forward_progress 0
		.amdhsa_shared_vgpr_count 0
		.amdhsa_exception_fp_ieee_invalid_op 0
		.amdhsa_exception_fp_denorm_src 0
		.amdhsa_exception_fp_ieee_div_zero 0
		.amdhsa_exception_fp_ieee_overflow 0
		.amdhsa_exception_fp_ieee_underflow 0
		.amdhsa_exception_fp_ieee_inexact 0
		.amdhsa_exception_int_div_zero 0
	.end_amdhsa_kernel
	.section	.text._ZN7rocprim17ROCPRIM_400000_NS6detail17trampoline_kernelINS0_14default_configENS1_29reduce_by_key_config_selectorIddN6thrust23THRUST_200600_302600_NS4plusIdEEEEZZNS1_33reduce_by_key_impl_wrapped_configILNS1_25lookback_scan_determinismE0ES3_S9_NS6_6detail15normal_iteratorINS6_10device_ptrIdEEEESG_SG_SG_PmS8_NS6_8equal_toIdEEEE10hipError_tPvRmT2_T3_mT4_T5_T6_T7_T8_P12ihipStream_tbENKUlT_T0_E_clISt17integral_constantIbLb1EES10_IbLb0EEEEDaSW_SX_EUlSW_E_NS1_11comp_targetILNS1_3genE9ELNS1_11target_archE1100ELNS1_3gpuE3ELNS1_3repE0EEENS1_30default_config_static_selectorELNS0_4arch9wavefront6targetE0EEEvT1_,"axG",@progbits,_ZN7rocprim17ROCPRIM_400000_NS6detail17trampoline_kernelINS0_14default_configENS1_29reduce_by_key_config_selectorIddN6thrust23THRUST_200600_302600_NS4plusIdEEEEZZNS1_33reduce_by_key_impl_wrapped_configILNS1_25lookback_scan_determinismE0ES3_S9_NS6_6detail15normal_iteratorINS6_10device_ptrIdEEEESG_SG_SG_PmS8_NS6_8equal_toIdEEEE10hipError_tPvRmT2_T3_mT4_T5_T6_T7_T8_P12ihipStream_tbENKUlT_T0_E_clISt17integral_constantIbLb1EES10_IbLb0EEEEDaSW_SX_EUlSW_E_NS1_11comp_targetILNS1_3genE9ELNS1_11target_archE1100ELNS1_3gpuE3ELNS1_3repE0EEENS1_30default_config_static_selectorELNS0_4arch9wavefront6targetE0EEEvT1_,comdat
.Lfunc_end39:
	.size	_ZN7rocprim17ROCPRIM_400000_NS6detail17trampoline_kernelINS0_14default_configENS1_29reduce_by_key_config_selectorIddN6thrust23THRUST_200600_302600_NS4plusIdEEEEZZNS1_33reduce_by_key_impl_wrapped_configILNS1_25lookback_scan_determinismE0ES3_S9_NS6_6detail15normal_iteratorINS6_10device_ptrIdEEEESG_SG_SG_PmS8_NS6_8equal_toIdEEEE10hipError_tPvRmT2_T3_mT4_T5_T6_T7_T8_P12ihipStream_tbENKUlT_T0_E_clISt17integral_constantIbLb1EES10_IbLb0EEEEDaSW_SX_EUlSW_E_NS1_11comp_targetILNS1_3genE9ELNS1_11target_archE1100ELNS1_3gpuE3ELNS1_3repE0EEENS1_30default_config_static_selectorELNS0_4arch9wavefront6targetE0EEEvT1_, .Lfunc_end39-_ZN7rocprim17ROCPRIM_400000_NS6detail17trampoline_kernelINS0_14default_configENS1_29reduce_by_key_config_selectorIddN6thrust23THRUST_200600_302600_NS4plusIdEEEEZZNS1_33reduce_by_key_impl_wrapped_configILNS1_25lookback_scan_determinismE0ES3_S9_NS6_6detail15normal_iteratorINS6_10device_ptrIdEEEESG_SG_SG_PmS8_NS6_8equal_toIdEEEE10hipError_tPvRmT2_T3_mT4_T5_T6_T7_T8_P12ihipStream_tbENKUlT_T0_E_clISt17integral_constantIbLb1EES10_IbLb0EEEEDaSW_SX_EUlSW_E_NS1_11comp_targetILNS1_3genE9ELNS1_11target_archE1100ELNS1_3gpuE3ELNS1_3repE0EEENS1_30default_config_static_selectorELNS0_4arch9wavefront6targetE0EEEvT1_
                                        ; -- End function
	.section	.AMDGPU.csdata,"",@progbits
; Kernel info:
; codeLenInByte = 18572
; NumSgprs: 54
; NumVgprs: 120
; ScratchSize: 0
; MemoryBound: 0
; FloatMode: 240
; IeeeMode: 1
; LDSByteSize: 30720 bytes/workgroup (compile time only)
; SGPRBlocks: 6
; VGPRBlocks: 14
; NumSGPRsForWavesPerEU: 54
; NumVGPRsForWavesPerEU: 120
; Occupancy: 8
; WaveLimiterHint : 1
; COMPUTE_PGM_RSRC2:SCRATCH_EN: 0
; COMPUTE_PGM_RSRC2:USER_SGPR: 15
; COMPUTE_PGM_RSRC2:TRAP_HANDLER: 0
; COMPUTE_PGM_RSRC2:TGID_X_EN: 1
; COMPUTE_PGM_RSRC2:TGID_Y_EN: 0
; COMPUTE_PGM_RSRC2:TGID_Z_EN: 0
; COMPUTE_PGM_RSRC2:TIDIG_COMP_CNT: 0
	.section	.text._ZN7rocprim17ROCPRIM_400000_NS6detail17trampoline_kernelINS0_14default_configENS1_29reduce_by_key_config_selectorIddN6thrust23THRUST_200600_302600_NS4plusIdEEEEZZNS1_33reduce_by_key_impl_wrapped_configILNS1_25lookback_scan_determinismE0ES3_S9_NS6_6detail15normal_iteratorINS6_10device_ptrIdEEEESG_SG_SG_PmS8_NS6_8equal_toIdEEEE10hipError_tPvRmT2_T3_mT4_T5_T6_T7_T8_P12ihipStream_tbENKUlT_T0_E_clISt17integral_constantIbLb1EES10_IbLb0EEEEDaSW_SX_EUlSW_E_NS1_11comp_targetILNS1_3genE8ELNS1_11target_archE1030ELNS1_3gpuE2ELNS1_3repE0EEENS1_30default_config_static_selectorELNS0_4arch9wavefront6targetE0EEEvT1_,"axG",@progbits,_ZN7rocprim17ROCPRIM_400000_NS6detail17trampoline_kernelINS0_14default_configENS1_29reduce_by_key_config_selectorIddN6thrust23THRUST_200600_302600_NS4plusIdEEEEZZNS1_33reduce_by_key_impl_wrapped_configILNS1_25lookback_scan_determinismE0ES3_S9_NS6_6detail15normal_iteratorINS6_10device_ptrIdEEEESG_SG_SG_PmS8_NS6_8equal_toIdEEEE10hipError_tPvRmT2_T3_mT4_T5_T6_T7_T8_P12ihipStream_tbENKUlT_T0_E_clISt17integral_constantIbLb1EES10_IbLb0EEEEDaSW_SX_EUlSW_E_NS1_11comp_targetILNS1_3genE8ELNS1_11target_archE1030ELNS1_3gpuE2ELNS1_3repE0EEENS1_30default_config_static_selectorELNS0_4arch9wavefront6targetE0EEEvT1_,comdat
	.protected	_ZN7rocprim17ROCPRIM_400000_NS6detail17trampoline_kernelINS0_14default_configENS1_29reduce_by_key_config_selectorIddN6thrust23THRUST_200600_302600_NS4plusIdEEEEZZNS1_33reduce_by_key_impl_wrapped_configILNS1_25lookback_scan_determinismE0ES3_S9_NS6_6detail15normal_iteratorINS6_10device_ptrIdEEEESG_SG_SG_PmS8_NS6_8equal_toIdEEEE10hipError_tPvRmT2_T3_mT4_T5_T6_T7_T8_P12ihipStream_tbENKUlT_T0_E_clISt17integral_constantIbLb1EES10_IbLb0EEEEDaSW_SX_EUlSW_E_NS1_11comp_targetILNS1_3genE8ELNS1_11target_archE1030ELNS1_3gpuE2ELNS1_3repE0EEENS1_30default_config_static_selectorELNS0_4arch9wavefront6targetE0EEEvT1_ ; -- Begin function _ZN7rocprim17ROCPRIM_400000_NS6detail17trampoline_kernelINS0_14default_configENS1_29reduce_by_key_config_selectorIddN6thrust23THRUST_200600_302600_NS4plusIdEEEEZZNS1_33reduce_by_key_impl_wrapped_configILNS1_25lookback_scan_determinismE0ES3_S9_NS6_6detail15normal_iteratorINS6_10device_ptrIdEEEESG_SG_SG_PmS8_NS6_8equal_toIdEEEE10hipError_tPvRmT2_T3_mT4_T5_T6_T7_T8_P12ihipStream_tbENKUlT_T0_E_clISt17integral_constantIbLb1EES10_IbLb0EEEEDaSW_SX_EUlSW_E_NS1_11comp_targetILNS1_3genE8ELNS1_11target_archE1030ELNS1_3gpuE2ELNS1_3repE0EEENS1_30default_config_static_selectorELNS0_4arch9wavefront6targetE0EEEvT1_
	.globl	_ZN7rocprim17ROCPRIM_400000_NS6detail17trampoline_kernelINS0_14default_configENS1_29reduce_by_key_config_selectorIddN6thrust23THRUST_200600_302600_NS4plusIdEEEEZZNS1_33reduce_by_key_impl_wrapped_configILNS1_25lookback_scan_determinismE0ES3_S9_NS6_6detail15normal_iteratorINS6_10device_ptrIdEEEESG_SG_SG_PmS8_NS6_8equal_toIdEEEE10hipError_tPvRmT2_T3_mT4_T5_T6_T7_T8_P12ihipStream_tbENKUlT_T0_E_clISt17integral_constantIbLb1EES10_IbLb0EEEEDaSW_SX_EUlSW_E_NS1_11comp_targetILNS1_3genE8ELNS1_11target_archE1030ELNS1_3gpuE2ELNS1_3repE0EEENS1_30default_config_static_selectorELNS0_4arch9wavefront6targetE0EEEvT1_
	.p2align	8
	.type	_ZN7rocprim17ROCPRIM_400000_NS6detail17trampoline_kernelINS0_14default_configENS1_29reduce_by_key_config_selectorIddN6thrust23THRUST_200600_302600_NS4plusIdEEEEZZNS1_33reduce_by_key_impl_wrapped_configILNS1_25lookback_scan_determinismE0ES3_S9_NS6_6detail15normal_iteratorINS6_10device_ptrIdEEEESG_SG_SG_PmS8_NS6_8equal_toIdEEEE10hipError_tPvRmT2_T3_mT4_T5_T6_T7_T8_P12ihipStream_tbENKUlT_T0_E_clISt17integral_constantIbLb1EES10_IbLb0EEEEDaSW_SX_EUlSW_E_NS1_11comp_targetILNS1_3genE8ELNS1_11target_archE1030ELNS1_3gpuE2ELNS1_3repE0EEENS1_30default_config_static_selectorELNS0_4arch9wavefront6targetE0EEEvT1_,@function
_ZN7rocprim17ROCPRIM_400000_NS6detail17trampoline_kernelINS0_14default_configENS1_29reduce_by_key_config_selectorIddN6thrust23THRUST_200600_302600_NS4plusIdEEEEZZNS1_33reduce_by_key_impl_wrapped_configILNS1_25lookback_scan_determinismE0ES3_S9_NS6_6detail15normal_iteratorINS6_10device_ptrIdEEEESG_SG_SG_PmS8_NS6_8equal_toIdEEEE10hipError_tPvRmT2_T3_mT4_T5_T6_T7_T8_P12ihipStream_tbENKUlT_T0_E_clISt17integral_constantIbLb1EES10_IbLb0EEEEDaSW_SX_EUlSW_E_NS1_11comp_targetILNS1_3genE8ELNS1_11target_archE1030ELNS1_3gpuE2ELNS1_3repE0EEENS1_30default_config_static_selectorELNS0_4arch9wavefront6targetE0EEEvT1_: ; @_ZN7rocprim17ROCPRIM_400000_NS6detail17trampoline_kernelINS0_14default_configENS1_29reduce_by_key_config_selectorIddN6thrust23THRUST_200600_302600_NS4plusIdEEEEZZNS1_33reduce_by_key_impl_wrapped_configILNS1_25lookback_scan_determinismE0ES3_S9_NS6_6detail15normal_iteratorINS6_10device_ptrIdEEEESG_SG_SG_PmS8_NS6_8equal_toIdEEEE10hipError_tPvRmT2_T3_mT4_T5_T6_T7_T8_P12ihipStream_tbENKUlT_T0_E_clISt17integral_constantIbLb1EES10_IbLb0EEEEDaSW_SX_EUlSW_E_NS1_11comp_targetILNS1_3genE8ELNS1_11target_archE1030ELNS1_3gpuE2ELNS1_3repE0EEENS1_30default_config_static_selectorELNS0_4arch9wavefront6targetE0EEEvT1_
; %bb.0:
	.section	.rodata,"a",@progbits
	.p2align	6, 0x0
	.amdhsa_kernel _ZN7rocprim17ROCPRIM_400000_NS6detail17trampoline_kernelINS0_14default_configENS1_29reduce_by_key_config_selectorIddN6thrust23THRUST_200600_302600_NS4plusIdEEEEZZNS1_33reduce_by_key_impl_wrapped_configILNS1_25lookback_scan_determinismE0ES3_S9_NS6_6detail15normal_iteratorINS6_10device_ptrIdEEEESG_SG_SG_PmS8_NS6_8equal_toIdEEEE10hipError_tPvRmT2_T3_mT4_T5_T6_T7_T8_P12ihipStream_tbENKUlT_T0_E_clISt17integral_constantIbLb1EES10_IbLb0EEEEDaSW_SX_EUlSW_E_NS1_11comp_targetILNS1_3genE8ELNS1_11target_archE1030ELNS1_3gpuE2ELNS1_3repE0EEENS1_30default_config_static_selectorELNS0_4arch9wavefront6targetE0EEEvT1_
		.amdhsa_group_segment_fixed_size 0
		.amdhsa_private_segment_fixed_size 0
		.amdhsa_kernarg_size 136
		.amdhsa_user_sgpr_count 15
		.amdhsa_user_sgpr_dispatch_ptr 0
		.amdhsa_user_sgpr_queue_ptr 0
		.amdhsa_user_sgpr_kernarg_segment_ptr 1
		.amdhsa_user_sgpr_dispatch_id 0
		.amdhsa_user_sgpr_private_segment_size 0
		.amdhsa_wavefront_size32 1
		.amdhsa_uses_dynamic_stack 0
		.amdhsa_enable_private_segment 0
		.amdhsa_system_sgpr_workgroup_id_x 1
		.amdhsa_system_sgpr_workgroup_id_y 0
		.amdhsa_system_sgpr_workgroup_id_z 0
		.amdhsa_system_sgpr_workgroup_info 0
		.amdhsa_system_vgpr_workitem_id 0
		.amdhsa_next_free_vgpr 1
		.amdhsa_next_free_sgpr 1
		.amdhsa_reserve_vcc 0
		.amdhsa_float_round_mode_32 0
		.amdhsa_float_round_mode_16_64 0
		.amdhsa_float_denorm_mode_32 3
		.amdhsa_float_denorm_mode_16_64 3
		.amdhsa_dx10_clamp 1
		.amdhsa_ieee_mode 1
		.amdhsa_fp16_overflow 0
		.amdhsa_workgroup_processor_mode 1
		.amdhsa_memory_ordered 1
		.amdhsa_forward_progress 0
		.amdhsa_shared_vgpr_count 0
		.amdhsa_exception_fp_ieee_invalid_op 0
		.amdhsa_exception_fp_denorm_src 0
		.amdhsa_exception_fp_ieee_div_zero 0
		.amdhsa_exception_fp_ieee_overflow 0
		.amdhsa_exception_fp_ieee_underflow 0
		.amdhsa_exception_fp_ieee_inexact 0
		.amdhsa_exception_int_div_zero 0
	.end_amdhsa_kernel
	.section	.text._ZN7rocprim17ROCPRIM_400000_NS6detail17trampoline_kernelINS0_14default_configENS1_29reduce_by_key_config_selectorIddN6thrust23THRUST_200600_302600_NS4plusIdEEEEZZNS1_33reduce_by_key_impl_wrapped_configILNS1_25lookback_scan_determinismE0ES3_S9_NS6_6detail15normal_iteratorINS6_10device_ptrIdEEEESG_SG_SG_PmS8_NS6_8equal_toIdEEEE10hipError_tPvRmT2_T3_mT4_T5_T6_T7_T8_P12ihipStream_tbENKUlT_T0_E_clISt17integral_constantIbLb1EES10_IbLb0EEEEDaSW_SX_EUlSW_E_NS1_11comp_targetILNS1_3genE8ELNS1_11target_archE1030ELNS1_3gpuE2ELNS1_3repE0EEENS1_30default_config_static_selectorELNS0_4arch9wavefront6targetE0EEEvT1_,"axG",@progbits,_ZN7rocprim17ROCPRIM_400000_NS6detail17trampoline_kernelINS0_14default_configENS1_29reduce_by_key_config_selectorIddN6thrust23THRUST_200600_302600_NS4plusIdEEEEZZNS1_33reduce_by_key_impl_wrapped_configILNS1_25lookback_scan_determinismE0ES3_S9_NS6_6detail15normal_iteratorINS6_10device_ptrIdEEEESG_SG_SG_PmS8_NS6_8equal_toIdEEEE10hipError_tPvRmT2_T3_mT4_T5_T6_T7_T8_P12ihipStream_tbENKUlT_T0_E_clISt17integral_constantIbLb1EES10_IbLb0EEEEDaSW_SX_EUlSW_E_NS1_11comp_targetILNS1_3genE8ELNS1_11target_archE1030ELNS1_3gpuE2ELNS1_3repE0EEENS1_30default_config_static_selectorELNS0_4arch9wavefront6targetE0EEEvT1_,comdat
.Lfunc_end40:
	.size	_ZN7rocprim17ROCPRIM_400000_NS6detail17trampoline_kernelINS0_14default_configENS1_29reduce_by_key_config_selectorIddN6thrust23THRUST_200600_302600_NS4plusIdEEEEZZNS1_33reduce_by_key_impl_wrapped_configILNS1_25lookback_scan_determinismE0ES3_S9_NS6_6detail15normal_iteratorINS6_10device_ptrIdEEEESG_SG_SG_PmS8_NS6_8equal_toIdEEEE10hipError_tPvRmT2_T3_mT4_T5_T6_T7_T8_P12ihipStream_tbENKUlT_T0_E_clISt17integral_constantIbLb1EES10_IbLb0EEEEDaSW_SX_EUlSW_E_NS1_11comp_targetILNS1_3genE8ELNS1_11target_archE1030ELNS1_3gpuE2ELNS1_3repE0EEENS1_30default_config_static_selectorELNS0_4arch9wavefront6targetE0EEEvT1_, .Lfunc_end40-_ZN7rocprim17ROCPRIM_400000_NS6detail17trampoline_kernelINS0_14default_configENS1_29reduce_by_key_config_selectorIddN6thrust23THRUST_200600_302600_NS4plusIdEEEEZZNS1_33reduce_by_key_impl_wrapped_configILNS1_25lookback_scan_determinismE0ES3_S9_NS6_6detail15normal_iteratorINS6_10device_ptrIdEEEESG_SG_SG_PmS8_NS6_8equal_toIdEEEE10hipError_tPvRmT2_T3_mT4_T5_T6_T7_T8_P12ihipStream_tbENKUlT_T0_E_clISt17integral_constantIbLb1EES10_IbLb0EEEEDaSW_SX_EUlSW_E_NS1_11comp_targetILNS1_3genE8ELNS1_11target_archE1030ELNS1_3gpuE2ELNS1_3repE0EEENS1_30default_config_static_selectorELNS0_4arch9wavefront6targetE0EEEvT1_
                                        ; -- End function
	.section	.AMDGPU.csdata,"",@progbits
; Kernel info:
; codeLenInByte = 0
; NumSgprs: 0
; NumVgprs: 0
; ScratchSize: 0
; MemoryBound: 0
; FloatMode: 240
; IeeeMode: 1
; LDSByteSize: 0 bytes/workgroup (compile time only)
; SGPRBlocks: 0
; VGPRBlocks: 0
; NumSGPRsForWavesPerEU: 1
; NumVGPRsForWavesPerEU: 1
; Occupancy: 16
; WaveLimiterHint : 0
; COMPUTE_PGM_RSRC2:SCRATCH_EN: 0
; COMPUTE_PGM_RSRC2:USER_SGPR: 15
; COMPUTE_PGM_RSRC2:TRAP_HANDLER: 0
; COMPUTE_PGM_RSRC2:TGID_X_EN: 1
; COMPUTE_PGM_RSRC2:TGID_Y_EN: 0
; COMPUTE_PGM_RSRC2:TGID_Z_EN: 0
; COMPUTE_PGM_RSRC2:TIDIG_COMP_CNT: 0
	.section	.text._ZN7rocprim17ROCPRIM_400000_NS6detail25reduce_by_key_init_kernelINS1_19lookback_scan_stateINS0_5tupleIJjdEEELb0ELb0EEEdNS1_16block_id_wrapperIjLb1EEEEEvT_jbjPmPT0_T1_,"axG",@progbits,_ZN7rocprim17ROCPRIM_400000_NS6detail25reduce_by_key_init_kernelINS1_19lookback_scan_stateINS0_5tupleIJjdEEELb0ELb0EEEdNS1_16block_id_wrapperIjLb1EEEEEvT_jbjPmPT0_T1_,comdat
	.protected	_ZN7rocprim17ROCPRIM_400000_NS6detail25reduce_by_key_init_kernelINS1_19lookback_scan_stateINS0_5tupleIJjdEEELb0ELb0EEEdNS1_16block_id_wrapperIjLb1EEEEEvT_jbjPmPT0_T1_ ; -- Begin function _ZN7rocprim17ROCPRIM_400000_NS6detail25reduce_by_key_init_kernelINS1_19lookback_scan_stateINS0_5tupleIJjdEEELb0ELb0EEEdNS1_16block_id_wrapperIjLb1EEEEEvT_jbjPmPT0_T1_
	.globl	_ZN7rocprim17ROCPRIM_400000_NS6detail25reduce_by_key_init_kernelINS1_19lookback_scan_stateINS0_5tupleIJjdEEELb0ELb0EEEdNS1_16block_id_wrapperIjLb1EEEEEvT_jbjPmPT0_T1_
	.p2align	8
	.type	_ZN7rocprim17ROCPRIM_400000_NS6detail25reduce_by_key_init_kernelINS1_19lookback_scan_stateINS0_5tupleIJjdEEELb0ELb0EEEdNS1_16block_id_wrapperIjLb1EEEEEvT_jbjPmPT0_T1_,@function
_ZN7rocprim17ROCPRIM_400000_NS6detail25reduce_by_key_init_kernelINS1_19lookback_scan_stateINS0_5tupleIJjdEEELb0ELb0EEEdNS1_16block_id_wrapperIjLb1EEEEEvT_jbjPmPT0_T1_: ; @_ZN7rocprim17ROCPRIM_400000_NS6detail25reduce_by_key_init_kernelINS1_19lookback_scan_stateINS0_5tupleIJjdEEELb0ELb0EEEdNS1_16block_id_wrapperIjLb1EEEEEvT_jbjPmPT0_T1_
; %bb.0:
	s_clause 0x3
	s_load_b32 s2, s[0:1], 0x4c
	s_load_b256 s[4:11], s[0:1], 0x18
	s_load_b64 s[16:17], s[0:1], 0x38
	s_load_b64 s[12:13], s[0:1], 0x10
	s_waitcnt lgkmcnt(0)
	s_and_b32 s2, s2, 0xffff
	s_delay_alu instid0(SALU_CYCLE_1) | instskip(SKIP_1) | instid1(SALU_CYCLE_1)
	v_mad_u64_u32 v[1:2], null, s15, s2, v[0:1]
	s_and_b32 s2, s5, 1
	s_cmp_eq_u32 s2, 0
	s_mov_b32 s2, -1
	s_cbranch_scc0 .LBB41_7
; %bb.1:
	s_cmp_lt_u32 s6, s4
	s_mov_b32 s5, exec_lo
	s_cselect_b32 s2, s6, 0
	s_delay_alu instid0(SALU_CYCLE_1)
	v_cmpx_eq_u32_e64 s2, v1
	s_cbranch_execz .LBB41_6
; %bb.2:
	s_add_i32 s6, s6, 32
	s_load_b128 s[0:3], s[0:1], 0x0
	v_mov_b32_e32 v0, s6
	s_add_u32 s14, s12, s6
	s_addc_u32 s15, s13, 0
	s_mov_b32 s7, 0
	global_load_u8 v0, v0, s[12:13] glc
	s_waitcnt vmcnt(0)
	v_cmp_ne_u16_e32 vcc_lo, 0, v0
	v_readfirstlane_b32 s18, v0
	s_cbranch_vccnz .LBB41_5
; %bb.3:
	v_mov_b32_e32 v0, 0
.LBB41_4:                               ; =>This Inner Loop Header: Depth=1
	global_load_u8 v2, v0, s[14:15] glc
	s_waitcnt vmcnt(0)
	v_cmp_eq_u16_e32 vcc_lo, 0, v2
	v_readfirstlane_b32 s18, v2
	s_cbranch_vccnz .LBB41_4
.LBB41_5:
	s_delay_alu instid0(VALU_DEP_1)
	s_and_b32 s14, 0xffff, s18
	v_mov_b32_e32 v0, 0
	s_cmp_eq_u32 s14, 1
	s_waitcnt lgkmcnt(0)
	buffer_gl1_inv
	buffer_gl0_inv
	s_cselect_b32 s3, s1, s3
	s_cselect_b32 s2, s0, s2
	s_lshl_b64 s[0:1], s[6:7], 4
	s_delay_alu instid0(SALU_CYCLE_1)
	s_add_u32 s0, s2, s0
	s_addc_u32 s1, s3, s1
	s_clause 0x2
	global_load_b64 v[2:3], v0, s[8:9]
	global_load_b32 v6, v0, s[0:1]
	global_load_b64 v[4:5], v0, s[0:1] offset:8
	s_waitcnt vmcnt(1)
	v_add_co_u32 v2, vcc_lo, v2, v6
	v_add_co_ci_u32_e32 v3, vcc_lo, 0, v3, vcc_lo
	global_store_b64 v0, v[2:3], s[8:9]
	s_waitcnt vmcnt(0)
	global_store_b64 v0, v[4:5], s[10:11]
.LBB41_6:
	s_or_b32 exec_lo, exec_lo, s5
	s_mov_b32 s2, 0
.LBB41_7:
	s_delay_alu instid0(VALU_DEP_1)
	v_cmp_eq_u32_e64 s0, 0, v1
	s_and_not1_b32 vcc_lo, exec_lo, s2
	s_cbranch_vccnz .LBB41_11
; %bb.8:
	s_cmp_lg_u64 s[8:9], 0
	s_cselect_b32 s1, -1, 0
	s_delay_alu instid0(SALU_CYCLE_1) | instskip(NEXT) | instid1(SALU_CYCLE_1)
	s_and_b32 s1, s1, s0
	s_and_saveexec_b32 s0, s1
	s_cbranch_execz .LBB41_10
; %bb.9:
	v_mov_b32_e32 v2, 0
	s_delay_alu instid0(VALU_DEP_1)
	v_mov_b32_e32 v3, v2
	global_store_b64 v2, v[2:3], s[8:9]
.LBB41_10:
	s_or_b32 exec_lo, exec_lo, s0
.LBB41_11:
	s_delay_alu instid0(SALU_CYCLE_1)
	s_mov_b32 s0, exec_lo
	v_cmpx_eq_u32_e32 0, v1
	s_cbranch_execz .LBB41_13
; %bb.12:
	v_mov_b32_e32 v0, 0
	global_store_b32 v0, v0, s[16:17]
.LBB41_13:
	s_or_b32 exec_lo, exec_lo, s0
	s_delay_alu instid0(SALU_CYCLE_1)
	s_mov_b32 s0, exec_lo
	v_cmpx_gt_u32_e64 s4, v1
	s_cbranch_execz .LBB41_15
; %bb.14:
	v_add_nc_u32_e32 v0, 32, v1
	v_mov_b32_e32 v2, 0
	global_store_b8 v0, v2, s[12:13]
.LBB41_15:
	s_or_b32 exec_lo, exec_lo, s0
	s_delay_alu instid0(SALU_CYCLE_1)
	s_mov_b32 s0, exec_lo
	v_cmpx_gt_u32_e32 32, v1
	s_cbranch_execz .LBB41_17
; %bb.16:
	v_mov_b32_e32 v0, 0xff
	global_store_b8 v1, v0, s[12:13]
.LBB41_17:
	s_nop 0
	s_sendmsg sendmsg(MSG_DEALLOC_VGPRS)
	s_endpgm
	.section	.rodata,"a",@progbits
	.p2align	6, 0x0
	.amdhsa_kernel _ZN7rocprim17ROCPRIM_400000_NS6detail25reduce_by_key_init_kernelINS1_19lookback_scan_stateINS0_5tupleIJjdEEELb0ELb0EEEdNS1_16block_id_wrapperIjLb1EEEEEvT_jbjPmPT0_T1_
		.amdhsa_group_segment_fixed_size 0
		.amdhsa_private_segment_fixed_size 0
		.amdhsa_kernarg_size 320
		.amdhsa_user_sgpr_count 15
		.amdhsa_user_sgpr_dispatch_ptr 0
		.amdhsa_user_sgpr_queue_ptr 0
		.amdhsa_user_sgpr_kernarg_segment_ptr 1
		.amdhsa_user_sgpr_dispatch_id 0
		.amdhsa_user_sgpr_private_segment_size 0
		.amdhsa_wavefront_size32 1
		.amdhsa_uses_dynamic_stack 0
		.amdhsa_enable_private_segment 0
		.amdhsa_system_sgpr_workgroup_id_x 1
		.amdhsa_system_sgpr_workgroup_id_y 0
		.amdhsa_system_sgpr_workgroup_id_z 0
		.amdhsa_system_sgpr_workgroup_info 0
		.amdhsa_system_vgpr_workitem_id 0
		.amdhsa_next_free_vgpr 7
		.amdhsa_next_free_sgpr 19
		.amdhsa_reserve_vcc 1
		.amdhsa_float_round_mode_32 0
		.amdhsa_float_round_mode_16_64 0
		.amdhsa_float_denorm_mode_32 3
		.amdhsa_float_denorm_mode_16_64 3
		.amdhsa_dx10_clamp 1
		.amdhsa_ieee_mode 1
		.amdhsa_fp16_overflow 0
		.amdhsa_workgroup_processor_mode 1
		.amdhsa_memory_ordered 1
		.amdhsa_forward_progress 0
		.amdhsa_shared_vgpr_count 0
		.amdhsa_exception_fp_ieee_invalid_op 0
		.amdhsa_exception_fp_denorm_src 0
		.amdhsa_exception_fp_ieee_div_zero 0
		.amdhsa_exception_fp_ieee_overflow 0
		.amdhsa_exception_fp_ieee_underflow 0
		.amdhsa_exception_fp_ieee_inexact 0
		.amdhsa_exception_int_div_zero 0
	.end_amdhsa_kernel
	.section	.text._ZN7rocprim17ROCPRIM_400000_NS6detail25reduce_by_key_init_kernelINS1_19lookback_scan_stateINS0_5tupleIJjdEEELb0ELb0EEEdNS1_16block_id_wrapperIjLb1EEEEEvT_jbjPmPT0_T1_,"axG",@progbits,_ZN7rocprim17ROCPRIM_400000_NS6detail25reduce_by_key_init_kernelINS1_19lookback_scan_stateINS0_5tupleIJjdEEELb0ELb0EEEdNS1_16block_id_wrapperIjLb1EEEEEvT_jbjPmPT0_T1_,comdat
.Lfunc_end41:
	.size	_ZN7rocprim17ROCPRIM_400000_NS6detail25reduce_by_key_init_kernelINS1_19lookback_scan_stateINS0_5tupleIJjdEEELb0ELb0EEEdNS1_16block_id_wrapperIjLb1EEEEEvT_jbjPmPT0_T1_, .Lfunc_end41-_ZN7rocprim17ROCPRIM_400000_NS6detail25reduce_by_key_init_kernelINS1_19lookback_scan_stateINS0_5tupleIJjdEEELb0ELb0EEEdNS1_16block_id_wrapperIjLb1EEEEEvT_jbjPmPT0_T1_
                                        ; -- End function
	.section	.AMDGPU.csdata,"",@progbits
; Kernel info:
; codeLenInByte = 504
; NumSgprs: 21
; NumVgprs: 7
; ScratchSize: 0
; MemoryBound: 0
; FloatMode: 240
; IeeeMode: 1
; LDSByteSize: 0 bytes/workgroup (compile time only)
; SGPRBlocks: 2
; VGPRBlocks: 0
; NumSGPRsForWavesPerEU: 21
; NumVGPRsForWavesPerEU: 7
; Occupancy: 16
; WaveLimiterHint : 0
; COMPUTE_PGM_RSRC2:SCRATCH_EN: 0
; COMPUTE_PGM_RSRC2:USER_SGPR: 15
; COMPUTE_PGM_RSRC2:TRAP_HANDLER: 0
; COMPUTE_PGM_RSRC2:TGID_X_EN: 1
; COMPUTE_PGM_RSRC2:TGID_Y_EN: 0
; COMPUTE_PGM_RSRC2:TGID_Z_EN: 0
; COMPUTE_PGM_RSRC2:TIDIG_COMP_CNT: 0
	.section	.text._ZN7rocprim17ROCPRIM_400000_NS6detail17trampoline_kernelINS0_14default_configENS1_29reduce_by_key_config_selectorIddN6thrust23THRUST_200600_302600_NS4plusIdEEEEZZNS1_33reduce_by_key_impl_wrapped_configILNS1_25lookback_scan_determinismE0ES3_S9_NS6_6detail15normal_iteratorINS6_10device_ptrIdEEEESG_SG_SG_PmS8_NS6_8equal_toIdEEEE10hipError_tPvRmT2_T3_mT4_T5_T6_T7_T8_P12ihipStream_tbENKUlT_T0_E_clISt17integral_constantIbLb0EES10_IbLb1EEEEDaSW_SX_EUlSW_E_NS1_11comp_targetILNS1_3genE0ELNS1_11target_archE4294967295ELNS1_3gpuE0ELNS1_3repE0EEENS1_30default_config_static_selectorELNS0_4arch9wavefront6targetE0EEEvT1_,"axG",@progbits,_ZN7rocprim17ROCPRIM_400000_NS6detail17trampoline_kernelINS0_14default_configENS1_29reduce_by_key_config_selectorIddN6thrust23THRUST_200600_302600_NS4plusIdEEEEZZNS1_33reduce_by_key_impl_wrapped_configILNS1_25lookback_scan_determinismE0ES3_S9_NS6_6detail15normal_iteratorINS6_10device_ptrIdEEEESG_SG_SG_PmS8_NS6_8equal_toIdEEEE10hipError_tPvRmT2_T3_mT4_T5_T6_T7_T8_P12ihipStream_tbENKUlT_T0_E_clISt17integral_constantIbLb0EES10_IbLb1EEEEDaSW_SX_EUlSW_E_NS1_11comp_targetILNS1_3genE0ELNS1_11target_archE4294967295ELNS1_3gpuE0ELNS1_3repE0EEENS1_30default_config_static_selectorELNS0_4arch9wavefront6targetE0EEEvT1_,comdat
	.protected	_ZN7rocprim17ROCPRIM_400000_NS6detail17trampoline_kernelINS0_14default_configENS1_29reduce_by_key_config_selectorIddN6thrust23THRUST_200600_302600_NS4plusIdEEEEZZNS1_33reduce_by_key_impl_wrapped_configILNS1_25lookback_scan_determinismE0ES3_S9_NS6_6detail15normal_iteratorINS6_10device_ptrIdEEEESG_SG_SG_PmS8_NS6_8equal_toIdEEEE10hipError_tPvRmT2_T3_mT4_T5_T6_T7_T8_P12ihipStream_tbENKUlT_T0_E_clISt17integral_constantIbLb0EES10_IbLb1EEEEDaSW_SX_EUlSW_E_NS1_11comp_targetILNS1_3genE0ELNS1_11target_archE4294967295ELNS1_3gpuE0ELNS1_3repE0EEENS1_30default_config_static_selectorELNS0_4arch9wavefront6targetE0EEEvT1_ ; -- Begin function _ZN7rocprim17ROCPRIM_400000_NS6detail17trampoline_kernelINS0_14default_configENS1_29reduce_by_key_config_selectorIddN6thrust23THRUST_200600_302600_NS4plusIdEEEEZZNS1_33reduce_by_key_impl_wrapped_configILNS1_25lookback_scan_determinismE0ES3_S9_NS6_6detail15normal_iteratorINS6_10device_ptrIdEEEESG_SG_SG_PmS8_NS6_8equal_toIdEEEE10hipError_tPvRmT2_T3_mT4_T5_T6_T7_T8_P12ihipStream_tbENKUlT_T0_E_clISt17integral_constantIbLb0EES10_IbLb1EEEEDaSW_SX_EUlSW_E_NS1_11comp_targetILNS1_3genE0ELNS1_11target_archE4294967295ELNS1_3gpuE0ELNS1_3repE0EEENS1_30default_config_static_selectorELNS0_4arch9wavefront6targetE0EEEvT1_
	.globl	_ZN7rocprim17ROCPRIM_400000_NS6detail17trampoline_kernelINS0_14default_configENS1_29reduce_by_key_config_selectorIddN6thrust23THRUST_200600_302600_NS4plusIdEEEEZZNS1_33reduce_by_key_impl_wrapped_configILNS1_25lookback_scan_determinismE0ES3_S9_NS6_6detail15normal_iteratorINS6_10device_ptrIdEEEESG_SG_SG_PmS8_NS6_8equal_toIdEEEE10hipError_tPvRmT2_T3_mT4_T5_T6_T7_T8_P12ihipStream_tbENKUlT_T0_E_clISt17integral_constantIbLb0EES10_IbLb1EEEEDaSW_SX_EUlSW_E_NS1_11comp_targetILNS1_3genE0ELNS1_11target_archE4294967295ELNS1_3gpuE0ELNS1_3repE0EEENS1_30default_config_static_selectorELNS0_4arch9wavefront6targetE0EEEvT1_
	.p2align	8
	.type	_ZN7rocprim17ROCPRIM_400000_NS6detail17trampoline_kernelINS0_14default_configENS1_29reduce_by_key_config_selectorIddN6thrust23THRUST_200600_302600_NS4plusIdEEEEZZNS1_33reduce_by_key_impl_wrapped_configILNS1_25lookback_scan_determinismE0ES3_S9_NS6_6detail15normal_iteratorINS6_10device_ptrIdEEEESG_SG_SG_PmS8_NS6_8equal_toIdEEEE10hipError_tPvRmT2_T3_mT4_T5_T6_T7_T8_P12ihipStream_tbENKUlT_T0_E_clISt17integral_constantIbLb0EES10_IbLb1EEEEDaSW_SX_EUlSW_E_NS1_11comp_targetILNS1_3genE0ELNS1_11target_archE4294967295ELNS1_3gpuE0ELNS1_3repE0EEENS1_30default_config_static_selectorELNS0_4arch9wavefront6targetE0EEEvT1_,@function
_ZN7rocprim17ROCPRIM_400000_NS6detail17trampoline_kernelINS0_14default_configENS1_29reduce_by_key_config_selectorIddN6thrust23THRUST_200600_302600_NS4plusIdEEEEZZNS1_33reduce_by_key_impl_wrapped_configILNS1_25lookback_scan_determinismE0ES3_S9_NS6_6detail15normal_iteratorINS6_10device_ptrIdEEEESG_SG_SG_PmS8_NS6_8equal_toIdEEEE10hipError_tPvRmT2_T3_mT4_T5_T6_T7_T8_P12ihipStream_tbENKUlT_T0_E_clISt17integral_constantIbLb0EES10_IbLb1EEEEDaSW_SX_EUlSW_E_NS1_11comp_targetILNS1_3genE0ELNS1_11target_archE4294967295ELNS1_3gpuE0ELNS1_3repE0EEENS1_30default_config_static_selectorELNS0_4arch9wavefront6targetE0EEEvT1_: ; @_ZN7rocprim17ROCPRIM_400000_NS6detail17trampoline_kernelINS0_14default_configENS1_29reduce_by_key_config_selectorIddN6thrust23THRUST_200600_302600_NS4plusIdEEEEZZNS1_33reduce_by_key_impl_wrapped_configILNS1_25lookback_scan_determinismE0ES3_S9_NS6_6detail15normal_iteratorINS6_10device_ptrIdEEEESG_SG_SG_PmS8_NS6_8equal_toIdEEEE10hipError_tPvRmT2_T3_mT4_T5_T6_T7_T8_P12ihipStream_tbENKUlT_T0_E_clISt17integral_constantIbLb0EES10_IbLb1EEEEDaSW_SX_EUlSW_E_NS1_11comp_targetILNS1_3genE0ELNS1_11target_archE4294967295ELNS1_3gpuE0ELNS1_3repE0EEENS1_30default_config_static_selectorELNS0_4arch9wavefront6targetE0EEEvT1_
; %bb.0:
	.section	.rodata,"a",@progbits
	.p2align	6, 0x0
	.amdhsa_kernel _ZN7rocprim17ROCPRIM_400000_NS6detail17trampoline_kernelINS0_14default_configENS1_29reduce_by_key_config_selectorIddN6thrust23THRUST_200600_302600_NS4plusIdEEEEZZNS1_33reduce_by_key_impl_wrapped_configILNS1_25lookback_scan_determinismE0ES3_S9_NS6_6detail15normal_iteratorINS6_10device_ptrIdEEEESG_SG_SG_PmS8_NS6_8equal_toIdEEEE10hipError_tPvRmT2_T3_mT4_T5_T6_T7_T8_P12ihipStream_tbENKUlT_T0_E_clISt17integral_constantIbLb0EES10_IbLb1EEEEDaSW_SX_EUlSW_E_NS1_11comp_targetILNS1_3genE0ELNS1_11target_archE4294967295ELNS1_3gpuE0ELNS1_3repE0EEENS1_30default_config_static_selectorELNS0_4arch9wavefront6targetE0EEEvT1_
		.amdhsa_group_segment_fixed_size 0
		.amdhsa_private_segment_fixed_size 0
		.amdhsa_kernarg_size 136
		.amdhsa_user_sgpr_count 15
		.amdhsa_user_sgpr_dispatch_ptr 0
		.amdhsa_user_sgpr_queue_ptr 0
		.amdhsa_user_sgpr_kernarg_segment_ptr 1
		.amdhsa_user_sgpr_dispatch_id 0
		.amdhsa_user_sgpr_private_segment_size 0
		.amdhsa_wavefront_size32 1
		.amdhsa_uses_dynamic_stack 0
		.amdhsa_enable_private_segment 0
		.amdhsa_system_sgpr_workgroup_id_x 1
		.amdhsa_system_sgpr_workgroup_id_y 0
		.amdhsa_system_sgpr_workgroup_id_z 0
		.amdhsa_system_sgpr_workgroup_info 0
		.amdhsa_system_vgpr_workitem_id 0
		.amdhsa_next_free_vgpr 1
		.amdhsa_next_free_sgpr 1
		.amdhsa_reserve_vcc 0
		.amdhsa_float_round_mode_32 0
		.amdhsa_float_round_mode_16_64 0
		.amdhsa_float_denorm_mode_32 3
		.amdhsa_float_denorm_mode_16_64 3
		.amdhsa_dx10_clamp 1
		.amdhsa_ieee_mode 1
		.amdhsa_fp16_overflow 0
		.amdhsa_workgroup_processor_mode 1
		.amdhsa_memory_ordered 1
		.amdhsa_forward_progress 0
		.amdhsa_shared_vgpr_count 0
		.amdhsa_exception_fp_ieee_invalid_op 0
		.amdhsa_exception_fp_denorm_src 0
		.amdhsa_exception_fp_ieee_div_zero 0
		.amdhsa_exception_fp_ieee_overflow 0
		.amdhsa_exception_fp_ieee_underflow 0
		.amdhsa_exception_fp_ieee_inexact 0
		.amdhsa_exception_int_div_zero 0
	.end_amdhsa_kernel
	.section	.text._ZN7rocprim17ROCPRIM_400000_NS6detail17trampoline_kernelINS0_14default_configENS1_29reduce_by_key_config_selectorIddN6thrust23THRUST_200600_302600_NS4plusIdEEEEZZNS1_33reduce_by_key_impl_wrapped_configILNS1_25lookback_scan_determinismE0ES3_S9_NS6_6detail15normal_iteratorINS6_10device_ptrIdEEEESG_SG_SG_PmS8_NS6_8equal_toIdEEEE10hipError_tPvRmT2_T3_mT4_T5_T6_T7_T8_P12ihipStream_tbENKUlT_T0_E_clISt17integral_constantIbLb0EES10_IbLb1EEEEDaSW_SX_EUlSW_E_NS1_11comp_targetILNS1_3genE0ELNS1_11target_archE4294967295ELNS1_3gpuE0ELNS1_3repE0EEENS1_30default_config_static_selectorELNS0_4arch9wavefront6targetE0EEEvT1_,"axG",@progbits,_ZN7rocprim17ROCPRIM_400000_NS6detail17trampoline_kernelINS0_14default_configENS1_29reduce_by_key_config_selectorIddN6thrust23THRUST_200600_302600_NS4plusIdEEEEZZNS1_33reduce_by_key_impl_wrapped_configILNS1_25lookback_scan_determinismE0ES3_S9_NS6_6detail15normal_iteratorINS6_10device_ptrIdEEEESG_SG_SG_PmS8_NS6_8equal_toIdEEEE10hipError_tPvRmT2_T3_mT4_T5_T6_T7_T8_P12ihipStream_tbENKUlT_T0_E_clISt17integral_constantIbLb0EES10_IbLb1EEEEDaSW_SX_EUlSW_E_NS1_11comp_targetILNS1_3genE0ELNS1_11target_archE4294967295ELNS1_3gpuE0ELNS1_3repE0EEENS1_30default_config_static_selectorELNS0_4arch9wavefront6targetE0EEEvT1_,comdat
.Lfunc_end42:
	.size	_ZN7rocprim17ROCPRIM_400000_NS6detail17trampoline_kernelINS0_14default_configENS1_29reduce_by_key_config_selectorIddN6thrust23THRUST_200600_302600_NS4plusIdEEEEZZNS1_33reduce_by_key_impl_wrapped_configILNS1_25lookback_scan_determinismE0ES3_S9_NS6_6detail15normal_iteratorINS6_10device_ptrIdEEEESG_SG_SG_PmS8_NS6_8equal_toIdEEEE10hipError_tPvRmT2_T3_mT4_T5_T6_T7_T8_P12ihipStream_tbENKUlT_T0_E_clISt17integral_constantIbLb0EES10_IbLb1EEEEDaSW_SX_EUlSW_E_NS1_11comp_targetILNS1_3genE0ELNS1_11target_archE4294967295ELNS1_3gpuE0ELNS1_3repE0EEENS1_30default_config_static_selectorELNS0_4arch9wavefront6targetE0EEEvT1_, .Lfunc_end42-_ZN7rocprim17ROCPRIM_400000_NS6detail17trampoline_kernelINS0_14default_configENS1_29reduce_by_key_config_selectorIddN6thrust23THRUST_200600_302600_NS4plusIdEEEEZZNS1_33reduce_by_key_impl_wrapped_configILNS1_25lookback_scan_determinismE0ES3_S9_NS6_6detail15normal_iteratorINS6_10device_ptrIdEEEESG_SG_SG_PmS8_NS6_8equal_toIdEEEE10hipError_tPvRmT2_T3_mT4_T5_T6_T7_T8_P12ihipStream_tbENKUlT_T0_E_clISt17integral_constantIbLb0EES10_IbLb1EEEEDaSW_SX_EUlSW_E_NS1_11comp_targetILNS1_3genE0ELNS1_11target_archE4294967295ELNS1_3gpuE0ELNS1_3repE0EEENS1_30default_config_static_selectorELNS0_4arch9wavefront6targetE0EEEvT1_
                                        ; -- End function
	.section	.AMDGPU.csdata,"",@progbits
; Kernel info:
; codeLenInByte = 0
; NumSgprs: 0
; NumVgprs: 0
; ScratchSize: 0
; MemoryBound: 0
; FloatMode: 240
; IeeeMode: 1
; LDSByteSize: 0 bytes/workgroup (compile time only)
; SGPRBlocks: 0
; VGPRBlocks: 0
; NumSGPRsForWavesPerEU: 1
; NumVGPRsForWavesPerEU: 1
; Occupancy: 16
; WaveLimiterHint : 0
; COMPUTE_PGM_RSRC2:SCRATCH_EN: 0
; COMPUTE_PGM_RSRC2:USER_SGPR: 15
; COMPUTE_PGM_RSRC2:TRAP_HANDLER: 0
; COMPUTE_PGM_RSRC2:TGID_X_EN: 1
; COMPUTE_PGM_RSRC2:TGID_Y_EN: 0
; COMPUTE_PGM_RSRC2:TGID_Z_EN: 0
; COMPUTE_PGM_RSRC2:TIDIG_COMP_CNT: 0
	.section	.text._ZN7rocprim17ROCPRIM_400000_NS6detail17trampoline_kernelINS0_14default_configENS1_29reduce_by_key_config_selectorIddN6thrust23THRUST_200600_302600_NS4plusIdEEEEZZNS1_33reduce_by_key_impl_wrapped_configILNS1_25lookback_scan_determinismE0ES3_S9_NS6_6detail15normal_iteratorINS6_10device_ptrIdEEEESG_SG_SG_PmS8_NS6_8equal_toIdEEEE10hipError_tPvRmT2_T3_mT4_T5_T6_T7_T8_P12ihipStream_tbENKUlT_T0_E_clISt17integral_constantIbLb0EES10_IbLb1EEEEDaSW_SX_EUlSW_E_NS1_11comp_targetILNS1_3genE5ELNS1_11target_archE942ELNS1_3gpuE9ELNS1_3repE0EEENS1_30default_config_static_selectorELNS0_4arch9wavefront6targetE0EEEvT1_,"axG",@progbits,_ZN7rocprim17ROCPRIM_400000_NS6detail17trampoline_kernelINS0_14default_configENS1_29reduce_by_key_config_selectorIddN6thrust23THRUST_200600_302600_NS4plusIdEEEEZZNS1_33reduce_by_key_impl_wrapped_configILNS1_25lookback_scan_determinismE0ES3_S9_NS6_6detail15normal_iteratorINS6_10device_ptrIdEEEESG_SG_SG_PmS8_NS6_8equal_toIdEEEE10hipError_tPvRmT2_T3_mT4_T5_T6_T7_T8_P12ihipStream_tbENKUlT_T0_E_clISt17integral_constantIbLb0EES10_IbLb1EEEEDaSW_SX_EUlSW_E_NS1_11comp_targetILNS1_3genE5ELNS1_11target_archE942ELNS1_3gpuE9ELNS1_3repE0EEENS1_30default_config_static_selectorELNS0_4arch9wavefront6targetE0EEEvT1_,comdat
	.protected	_ZN7rocprim17ROCPRIM_400000_NS6detail17trampoline_kernelINS0_14default_configENS1_29reduce_by_key_config_selectorIddN6thrust23THRUST_200600_302600_NS4plusIdEEEEZZNS1_33reduce_by_key_impl_wrapped_configILNS1_25lookback_scan_determinismE0ES3_S9_NS6_6detail15normal_iteratorINS6_10device_ptrIdEEEESG_SG_SG_PmS8_NS6_8equal_toIdEEEE10hipError_tPvRmT2_T3_mT4_T5_T6_T7_T8_P12ihipStream_tbENKUlT_T0_E_clISt17integral_constantIbLb0EES10_IbLb1EEEEDaSW_SX_EUlSW_E_NS1_11comp_targetILNS1_3genE5ELNS1_11target_archE942ELNS1_3gpuE9ELNS1_3repE0EEENS1_30default_config_static_selectorELNS0_4arch9wavefront6targetE0EEEvT1_ ; -- Begin function _ZN7rocprim17ROCPRIM_400000_NS6detail17trampoline_kernelINS0_14default_configENS1_29reduce_by_key_config_selectorIddN6thrust23THRUST_200600_302600_NS4plusIdEEEEZZNS1_33reduce_by_key_impl_wrapped_configILNS1_25lookback_scan_determinismE0ES3_S9_NS6_6detail15normal_iteratorINS6_10device_ptrIdEEEESG_SG_SG_PmS8_NS6_8equal_toIdEEEE10hipError_tPvRmT2_T3_mT4_T5_T6_T7_T8_P12ihipStream_tbENKUlT_T0_E_clISt17integral_constantIbLb0EES10_IbLb1EEEEDaSW_SX_EUlSW_E_NS1_11comp_targetILNS1_3genE5ELNS1_11target_archE942ELNS1_3gpuE9ELNS1_3repE0EEENS1_30default_config_static_selectorELNS0_4arch9wavefront6targetE0EEEvT1_
	.globl	_ZN7rocprim17ROCPRIM_400000_NS6detail17trampoline_kernelINS0_14default_configENS1_29reduce_by_key_config_selectorIddN6thrust23THRUST_200600_302600_NS4plusIdEEEEZZNS1_33reduce_by_key_impl_wrapped_configILNS1_25lookback_scan_determinismE0ES3_S9_NS6_6detail15normal_iteratorINS6_10device_ptrIdEEEESG_SG_SG_PmS8_NS6_8equal_toIdEEEE10hipError_tPvRmT2_T3_mT4_T5_T6_T7_T8_P12ihipStream_tbENKUlT_T0_E_clISt17integral_constantIbLb0EES10_IbLb1EEEEDaSW_SX_EUlSW_E_NS1_11comp_targetILNS1_3genE5ELNS1_11target_archE942ELNS1_3gpuE9ELNS1_3repE0EEENS1_30default_config_static_selectorELNS0_4arch9wavefront6targetE0EEEvT1_
	.p2align	8
	.type	_ZN7rocprim17ROCPRIM_400000_NS6detail17trampoline_kernelINS0_14default_configENS1_29reduce_by_key_config_selectorIddN6thrust23THRUST_200600_302600_NS4plusIdEEEEZZNS1_33reduce_by_key_impl_wrapped_configILNS1_25lookback_scan_determinismE0ES3_S9_NS6_6detail15normal_iteratorINS6_10device_ptrIdEEEESG_SG_SG_PmS8_NS6_8equal_toIdEEEE10hipError_tPvRmT2_T3_mT4_T5_T6_T7_T8_P12ihipStream_tbENKUlT_T0_E_clISt17integral_constantIbLb0EES10_IbLb1EEEEDaSW_SX_EUlSW_E_NS1_11comp_targetILNS1_3genE5ELNS1_11target_archE942ELNS1_3gpuE9ELNS1_3repE0EEENS1_30default_config_static_selectorELNS0_4arch9wavefront6targetE0EEEvT1_,@function
_ZN7rocprim17ROCPRIM_400000_NS6detail17trampoline_kernelINS0_14default_configENS1_29reduce_by_key_config_selectorIddN6thrust23THRUST_200600_302600_NS4plusIdEEEEZZNS1_33reduce_by_key_impl_wrapped_configILNS1_25lookback_scan_determinismE0ES3_S9_NS6_6detail15normal_iteratorINS6_10device_ptrIdEEEESG_SG_SG_PmS8_NS6_8equal_toIdEEEE10hipError_tPvRmT2_T3_mT4_T5_T6_T7_T8_P12ihipStream_tbENKUlT_T0_E_clISt17integral_constantIbLb0EES10_IbLb1EEEEDaSW_SX_EUlSW_E_NS1_11comp_targetILNS1_3genE5ELNS1_11target_archE942ELNS1_3gpuE9ELNS1_3repE0EEENS1_30default_config_static_selectorELNS0_4arch9wavefront6targetE0EEEvT1_: ; @_ZN7rocprim17ROCPRIM_400000_NS6detail17trampoline_kernelINS0_14default_configENS1_29reduce_by_key_config_selectorIddN6thrust23THRUST_200600_302600_NS4plusIdEEEEZZNS1_33reduce_by_key_impl_wrapped_configILNS1_25lookback_scan_determinismE0ES3_S9_NS6_6detail15normal_iteratorINS6_10device_ptrIdEEEESG_SG_SG_PmS8_NS6_8equal_toIdEEEE10hipError_tPvRmT2_T3_mT4_T5_T6_T7_T8_P12ihipStream_tbENKUlT_T0_E_clISt17integral_constantIbLb0EES10_IbLb1EEEEDaSW_SX_EUlSW_E_NS1_11comp_targetILNS1_3genE5ELNS1_11target_archE942ELNS1_3gpuE9ELNS1_3repE0EEENS1_30default_config_static_selectorELNS0_4arch9wavefront6targetE0EEEvT1_
; %bb.0:
	.section	.rodata,"a",@progbits
	.p2align	6, 0x0
	.amdhsa_kernel _ZN7rocprim17ROCPRIM_400000_NS6detail17trampoline_kernelINS0_14default_configENS1_29reduce_by_key_config_selectorIddN6thrust23THRUST_200600_302600_NS4plusIdEEEEZZNS1_33reduce_by_key_impl_wrapped_configILNS1_25lookback_scan_determinismE0ES3_S9_NS6_6detail15normal_iteratorINS6_10device_ptrIdEEEESG_SG_SG_PmS8_NS6_8equal_toIdEEEE10hipError_tPvRmT2_T3_mT4_T5_T6_T7_T8_P12ihipStream_tbENKUlT_T0_E_clISt17integral_constantIbLb0EES10_IbLb1EEEEDaSW_SX_EUlSW_E_NS1_11comp_targetILNS1_3genE5ELNS1_11target_archE942ELNS1_3gpuE9ELNS1_3repE0EEENS1_30default_config_static_selectorELNS0_4arch9wavefront6targetE0EEEvT1_
		.amdhsa_group_segment_fixed_size 0
		.amdhsa_private_segment_fixed_size 0
		.amdhsa_kernarg_size 136
		.amdhsa_user_sgpr_count 15
		.amdhsa_user_sgpr_dispatch_ptr 0
		.amdhsa_user_sgpr_queue_ptr 0
		.amdhsa_user_sgpr_kernarg_segment_ptr 1
		.amdhsa_user_sgpr_dispatch_id 0
		.amdhsa_user_sgpr_private_segment_size 0
		.amdhsa_wavefront_size32 1
		.amdhsa_uses_dynamic_stack 0
		.amdhsa_enable_private_segment 0
		.amdhsa_system_sgpr_workgroup_id_x 1
		.amdhsa_system_sgpr_workgroup_id_y 0
		.amdhsa_system_sgpr_workgroup_id_z 0
		.amdhsa_system_sgpr_workgroup_info 0
		.amdhsa_system_vgpr_workitem_id 0
		.amdhsa_next_free_vgpr 1
		.amdhsa_next_free_sgpr 1
		.amdhsa_reserve_vcc 0
		.amdhsa_float_round_mode_32 0
		.amdhsa_float_round_mode_16_64 0
		.amdhsa_float_denorm_mode_32 3
		.amdhsa_float_denorm_mode_16_64 3
		.amdhsa_dx10_clamp 1
		.amdhsa_ieee_mode 1
		.amdhsa_fp16_overflow 0
		.amdhsa_workgroup_processor_mode 1
		.amdhsa_memory_ordered 1
		.amdhsa_forward_progress 0
		.amdhsa_shared_vgpr_count 0
		.amdhsa_exception_fp_ieee_invalid_op 0
		.amdhsa_exception_fp_denorm_src 0
		.amdhsa_exception_fp_ieee_div_zero 0
		.amdhsa_exception_fp_ieee_overflow 0
		.amdhsa_exception_fp_ieee_underflow 0
		.amdhsa_exception_fp_ieee_inexact 0
		.amdhsa_exception_int_div_zero 0
	.end_amdhsa_kernel
	.section	.text._ZN7rocprim17ROCPRIM_400000_NS6detail17trampoline_kernelINS0_14default_configENS1_29reduce_by_key_config_selectorIddN6thrust23THRUST_200600_302600_NS4plusIdEEEEZZNS1_33reduce_by_key_impl_wrapped_configILNS1_25lookback_scan_determinismE0ES3_S9_NS6_6detail15normal_iteratorINS6_10device_ptrIdEEEESG_SG_SG_PmS8_NS6_8equal_toIdEEEE10hipError_tPvRmT2_T3_mT4_T5_T6_T7_T8_P12ihipStream_tbENKUlT_T0_E_clISt17integral_constantIbLb0EES10_IbLb1EEEEDaSW_SX_EUlSW_E_NS1_11comp_targetILNS1_3genE5ELNS1_11target_archE942ELNS1_3gpuE9ELNS1_3repE0EEENS1_30default_config_static_selectorELNS0_4arch9wavefront6targetE0EEEvT1_,"axG",@progbits,_ZN7rocprim17ROCPRIM_400000_NS6detail17trampoline_kernelINS0_14default_configENS1_29reduce_by_key_config_selectorIddN6thrust23THRUST_200600_302600_NS4plusIdEEEEZZNS1_33reduce_by_key_impl_wrapped_configILNS1_25lookback_scan_determinismE0ES3_S9_NS6_6detail15normal_iteratorINS6_10device_ptrIdEEEESG_SG_SG_PmS8_NS6_8equal_toIdEEEE10hipError_tPvRmT2_T3_mT4_T5_T6_T7_T8_P12ihipStream_tbENKUlT_T0_E_clISt17integral_constantIbLb0EES10_IbLb1EEEEDaSW_SX_EUlSW_E_NS1_11comp_targetILNS1_3genE5ELNS1_11target_archE942ELNS1_3gpuE9ELNS1_3repE0EEENS1_30default_config_static_selectorELNS0_4arch9wavefront6targetE0EEEvT1_,comdat
.Lfunc_end43:
	.size	_ZN7rocprim17ROCPRIM_400000_NS6detail17trampoline_kernelINS0_14default_configENS1_29reduce_by_key_config_selectorIddN6thrust23THRUST_200600_302600_NS4plusIdEEEEZZNS1_33reduce_by_key_impl_wrapped_configILNS1_25lookback_scan_determinismE0ES3_S9_NS6_6detail15normal_iteratorINS6_10device_ptrIdEEEESG_SG_SG_PmS8_NS6_8equal_toIdEEEE10hipError_tPvRmT2_T3_mT4_T5_T6_T7_T8_P12ihipStream_tbENKUlT_T0_E_clISt17integral_constantIbLb0EES10_IbLb1EEEEDaSW_SX_EUlSW_E_NS1_11comp_targetILNS1_3genE5ELNS1_11target_archE942ELNS1_3gpuE9ELNS1_3repE0EEENS1_30default_config_static_selectorELNS0_4arch9wavefront6targetE0EEEvT1_, .Lfunc_end43-_ZN7rocprim17ROCPRIM_400000_NS6detail17trampoline_kernelINS0_14default_configENS1_29reduce_by_key_config_selectorIddN6thrust23THRUST_200600_302600_NS4plusIdEEEEZZNS1_33reduce_by_key_impl_wrapped_configILNS1_25lookback_scan_determinismE0ES3_S9_NS6_6detail15normal_iteratorINS6_10device_ptrIdEEEESG_SG_SG_PmS8_NS6_8equal_toIdEEEE10hipError_tPvRmT2_T3_mT4_T5_T6_T7_T8_P12ihipStream_tbENKUlT_T0_E_clISt17integral_constantIbLb0EES10_IbLb1EEEEDaSW_SX_EUlSW_E_NS1_11comp_targetILNS1_3genE5ELNS1_11target_archE942ELNS1_3gpuE9ELNS1_3repE0EEENS1_30default_config_static_selectorELNS0_4arch9wavefront6targetE0EEEvT1_
                                        ; -- End function
	.section	.AMDGPU.csdata,"",@progbits
; Kernel info:
; codeLenInByte = 0
; NumSgprs: 0
; NumVgprs: 0
; ScratchSize: 0
; MemoryBound: 0
; FloatMode: 240
; IeeeMode: 1
; LDSByteSize: 0 bytes/workgroup (compile time only)
; SGPRBlocks: 0
; VGPRBlocks: 0
; NumSGPRsForWavesPerEU: 1
; NumVGPRsForWavesPerEU: 1
; Occupancy: 16
; WaveLimiterHint : 0
; COMPUTE_PGM_RSRC2:SCRATCH_EN: 0
; COMPUTE_PGM_RSRC2:USER_SGPR: 15
; COMPUTE_PGM_RSRC2:TRAP_HANDLER: 0
; COMPUTE_PGM_RSRC2:TGID_X_EN: 1
; COMPUTE_PGM_RSRC2:TGID_Y_EN: 0
; COMPUTE_PGM_RSRC2:TGID_Z_EN: 0
; COMPUTE_PGM_RSRC2:TIDIG_COMP_CNT: 0
	.section	.text._ZN7rocprim17ROCPRIM_400000_NS6detail17trampoline_kernelINS0_14default_configENS1_29reduce_by_key_config_selectorIddN6thrust23THRUST_200600_302600_NS4plusIdEEEEZZNS1_33reduce_by_key_impl_wrapped_configILNS1_25lookback_scan_determinismE0ES3_S9_NS6_6detail15normal_iteratorINS6_10device_ptrIdEEEESG_SG_SG_PmS8_NS6_8equal_toIdEEEE10hipError_tPvRmT2_T3_mT4_T5_T6_T7_T8_P12ihipStream_tbENKUlT_T0_E_clISt17integral_constantIbLb0EES10_IbLb1EEEEDaSW_SX_EUlSW_E_NS1_11comp_targetILNS1_3genE4ELNS1_11target_archE910ELNS1_3gpuE8ELNS1_3repE0EEENS1_30default_config_static_selectorELNS0_4arch9wavefront6targetE0EEEvT1_,"axG",@progbits,_ZN7rocprim17ROCPRIM_400000_NS6detail17trampoline_kernelINS0_14default_configENS1_29reduce_by_key_config_selectorIddN6thrust23THRUST_200600_302600_NS4plusIdEEEEZZNS1_33reduce_by_key_impl_wrapped_configILNS1_25lookback_scan_determinismE0ES3_S9_NS6_6detail15normal_iteratorINS6_10device_ptrIdEEEESG_SG_SG_PmS8_NS6_8equal_toIdEEEE10hipError_tPvRmT2_T3_mT4_T5_T6_T7_T8_P12ihipStream_tbENKUlT_T0_E_clISt17integral_constantIbLb0EES10_IbLb1EEEEDaSW_SX_EUlSW_E_NS1_11comp_targetILNS1_3genE4ELNS1_11target_archE910ELNS1_3gpuE8ELNS1_3repE0EEENS1_30default_config_static_selectorELNS0_4arch9wavefront6targetE0EEEvT1_,comdat
	.protected	_ZN7rocprim17ROCPRIM_400000_NS6detail17trampoline_kernelINS0_14default_configENS1_29reduce_by_key_config_selectorIddN6thrust23THRUST_200600_302600_NS4plusIdEEEEZZNS1_33reduce_by_key_impl_wrapped_configILNS1_25lookback_scan_determinismE0ES3_S9_NS6_6detail15normal_iteratorINS6_10device_ptrIdEEEESG_SG_SG_PmS8_NS6_8equal_toIdEEEE10hipError_tPvRmT2_T3_mT4_T5_T6_T7_T8_P12ihipStream_tbENKUlT_T0_E_clISt17integral_constantIbLb0EES10_IbLb1EEEEDaSW_SX_EUlSW_E_NS1_11comp_targetILNS1_3genE4ELNS1_11target_archE910ELNS1_3gpuE8ELNS1_3repE0EEENS1_30default_config_static_selectorELNS0_4arch9wavefront6targetE0EEEvT1_ ; -- Begin function _ZN7rocprim17ROCPRIM_400000_NS6detail17trampoline_kernelINS0_14default_configENS1_29reduce_by_key_config_selectorIddN6thrust23THRUST_200600_302600_NS4plusIdEEEEZZNS1_33reduce_by_key_impl_wrapped_configILNS1_25lookback_scan_determinismE0ES3_S9_NS6_6detail15normal_iteratorINS6_10device_ptrIdEEEESG_SG_SG_PmS8_NS6_8equal_toIdEEEE10hipError_tPvRmT2_T3_mT4_T5_T6_T7_T8_P12ihipStream_tbENKUlT_T0_E_clISt17integral_constantIbLb0EES10_IbLb1EEEEDaSW_SX_EUlSW_E_NS1_11comp_targetILNS1_3genE4ELNS1_11target_archE910ELNS1_3gpuE8ELNS1_3repE0EEENS1_30default_config_static_selectorELNS0_4arch9wavefront6targetE0EEEvT1_
	.globl	_ZN7rocprim17ROCPRIM_400000_NS6detail17trampoline_kernelINS0_14default_configENS1_29reduce_by_key_config_selectorIddN6thrust23THRUST_200600_302600_NS4plusIdEEEEZZNS1_33reduce_by_key_impl_wrapped_configILNS1_25lookback_scan_determinismE0ES3_S9_NS6_6detail15normal_iteratorINS6_10device_ptrIdEEEESG_SG_SG_PmS8_NS6_8equal_toIdEEEE10hipError_tPvRmT2_T3_mT4_T5_T6_T7_T8_P12ihipStream_tbENKUlT_T0_E_clISt17integral_constantIbLb0EES10_IbLb1EEEEDaSW_SX_EUlSW_E_NS1_11comp_targetILNS1_3genE4ELNS1_11target_archE910ELNS1_3gpuE8ELNS1_3repE0EEENS1_30default_config_static_selectorELNS0_4arch9wavefront6targetE0EEEvT1_
	.p2align	8
	.type	_ZN7rocprim17ROCPRIM_400000_NS6detail17trampoline_kernelINS0_14default_configENS1_29reduce_by_key_config_selectorIddN6thrust23THRUST_200600_302600_NS4plusIdEEEEZZNS1_33reduce_by_key_impl_wrapped_configILNS1_25lookback_scan_determinismE0ES3_S9_NS6_6detail15normal_iteratorINS6_10device_ptrIdEEEESG_SG_SG_PmS8_NS6_8equal_toIdEEEE10hipError_tPvRmT2_T3_mT4_T5_T6_T7_T8_P12ihipStream_tbENKUlT_T0_E_clISt17integral_constantIbLb0EES10_IbLb1EEEEDaSW_SX_EUlSW_E_NS1_11comp_targetILNS1_3genE4ELNS1_11target_archE910ELNS1_3gpuE8ELNS1_3repE0EEENS1_30default_config_static_selectorELNS0_4arch9wavefront6targetE0EEEvT1_,@function
_ZN7rocprim17ROCPRIM_400000_NS6detail17trampoline_kernelINS0_14default_configENS1_29reduce_by_key_config_selectorIddN6thrust23THRUST_200600_302600_NS4plusIdEEEEZZNS1_33reduce_by_key_impl_wrapped_configILNS1_25lookback_scan_determinismE0ES3_S9_NS6_6detail15normal_iteratorINS6_10device_ptrIdEEEESG_SG_SG_PmS8_NS6_8equal_toIdEEEE10hipError_tPvRmT2_T3_mT4_T5_T6_T7_T8_P12ihipStream_tbENKUlT_T0_E_clISt17integral_constantIbLb0EES10_IbLb1EEEEDaSW_SX_EUlSW_E_NS1_11comp_targetILNS1_3genE4ELNS1_11target_archE910ELNS1_3gpuE8ELNS1_3repE0EEENS1_30default_config_static_selectorELNS0_4arch9wavefront6targetE0EEEvT1_: ; @_ZN7rocprim17ROCPRIM_400000_NS6detail17trampoline_kernelINS0_14default_configENS1_29reduce_by_key_config_selectorIddN6thrust23THRUST_200600_302600_NS4plusIdEEEEZZNS1_33reduce_by_key_impl_wrapped_configILNS1_25lookback_scan_determinismE0ES3_S9_NS6_6detail15normal_iteratorINS6_10device_ptrIdEEEESG_SG_SG_PmS8_NS6_8equal_toIdEEEE10hipError_tPvRmT2_T3_mT4_T5_T6_T7_T8_P12ihipStream_tbENKUlT_T0_E_clISt17integral_constantIbLb0EES10_IbLb1EEEEDaSW_SX_EUlSW_E_NS1_11comp_targetILNS1_3genE4ELNS1_11target_archE910ELNS1_3gpuE8ELNS1_3repE0EEENS1_30default_config_static_selectorELNS0_4arch9wavefront6targetE0EEEvT1_
; %bb.0:
	.section	.rodata,"a",@progbits
	.p2align	6, 0x0
	.amdhsa_kernel _ZN7rocprim17ROCPRIM_400000_NS6detail17trampoline_kernelINS0_14default_configENS1_29reduce_by_key_config_selectorIddN6thrust23THRUST_200600_302600_NS4plusIdEEEEZZNS1_33reduce_by_key_impl_wrapped_configILNS1_25lookback_scan_determinismE0ES3_S9_NS6_6detail15normal_iteratorINS6_10device_ptrIdEEEESG_SG_SG_PmS8_NS6_8equal_toIdEEEE10hipError_tPvRmT2_T3_mT4_T5_T6_T7_T8_P12ihipStream_tbENKUlT_T0_E_clISt17integral_constantIbLb0EES10_IbLb1EEEEDaSW_SX_EUlSW_E_NS1_11comp_targetILNS1_3genE4ELNS1_11target_archE910ELNS1_3gpuE8ELNS1_3repE0EEENS1_30default_config_static_selectorELNS0_4arch9wavefront6targetE0EEEvT1_
		.amdhsa_group_segment_fixed_size 0
		.amdhsa_private_segment_fixed_size 0
		.amdhsa_kernarg_size 136
		.amdhsa_user_sgpr_count 15
		.amdhsa_user_sgpr_dispatch_ptr 0
		.amdhsa_user_sgpr_queue_ptr 0
		.amdhsa_user_sgpr_kernarg_segment_ptr 1
		.amdhsa_user_sgpr_dispatch_id 0
		.amdhsa_user_sgpr_private_segment_size 0
		.amdhsa_wavefront_size32 1
		.amdhsa_uses_dynamic_stack 0
		.amdhsa_enable_private_segment 0
		.amdhsa_system_sgpr_workgroup_id_x 1
		.amdhsa_system_sgpr_workgroup_id_y 0
		.amdhsa_system_sgpr_workgroup_id_z 0
		.amdhsa_system_sgpr_workgroup_info 0
		.amdhsa_system_vgpr_workitem_id 0
		.amdhsa_next_free_vgpr 1
		.amdhsa_next_free_sgpr 1
		.amdhsa_reserve_vcc 0
		.amdhsa_float_round_mode_32 0
		.amdhsa_float_round_mode_16_64 0
		.amdhsa_float_denorm_mode_32 3
		.amdhsa_float_denorm_mode_16_64 3
		.amdhsa_dx10_clamp 1
		.amdhsa_ieee_mode 1
		.amdhsa_fp16_overflow 0
		.amdhsa_workgroup_processor_mode 1
		.amdhsa_memory_ordered 1
		.amdhsa_forward_progress 0
		.amdhsa_shared_vgpr_count 0
		.amdhsa_exception_fp_ieee_invalid_op 0
		.amdhsa_exception_fp_denorm_src 0
		.amdhsa_exception_fp_ieee_div_zero 0
		.amdhsa_exception_fp_ieee_overflow 0
		.amdhsa_exception_fp_ieee_underflow 0
		.amdhsa_exception_fp_ieee_inexact 0
		.amdhsa_exception_int_div_zero 0
	.end_amdhsa_kernel
	.section	.text._ZN7rocprim17ROCPRIM_400000_NS6detail17trampoline_kernelINS0_14default_configENS1_29reduce_by_key_config_selectorIddN6thrust23THRUST_200600_302600_NS4plusIdEEEEZZNS1_33reduce_by_key_impl_wrapped_configILNS1_25lookback_scan_determinismE0ES3_S9_NS6_6detail15normal_iteratorINS6_10device_ptrIdEEEESG_SG_SG_PmS8_NS6_8equal_toIdEEEE10hipError_tPvRmT2_T3_mT4_T5_T6_T7_T8_P12ihipStream_tbENKUlT_T0_E_clISt17integral_constantIbLb0EES10_IbLb1EEEEDaSW_SX_EUlSW_E_NS1_11comp_targetILNS1_3genE4ELNS1_11target_archE910ELNS1_3gpuE8ELNS1_3repE0EEENS1_30default_config_static_selectorELNS0_4arch9wavefront6targetE0EEEvT1_,"axG",@progbits,_ZN7rocprim17ROCPRIM_400000_NS6detail17trampoline_kernelINS0_14default_configENS1_29reduce_by_key_config_selectorIddN6thrust23THRUST_200600_302600_NS4plusIdEEEEZZNS1_33reduce_by_key_impl_wrapped_configILNS1_25lookback_scan_determinismE0ES3_S9_NS6_6detail15normal_iteratorINS6_10device_ptrIdEEEESG_SG_SG_PmS8_NS6_8equal_toIdEEEE10hipError_tPvRmT2_T3_mT4_T5_T6_T7_T8_P12ihipStream_tbENKUlT_T0_E_clISt17integral_constantIbLb0EES10_IbLb1EEEEDaSW_SX_EUlSW_E_NS1_11comp_targetILNS1_3genE4ELNS1_11target_archE910ELNS1_3gpuE8ELNS1_3repE0EEENS1_30default_config_static_selectorELNS0_4arch9wavefront6targetE0EEEvT1_,comdat
.Lfunc_end44:
	.size	_ZN7rocprim17ROCPRIM_400000_NS6detail17trampoline_kernelINS0_14default_configENS1_29reduce_by_key_config_selectorIddN6thrust23THRUST_200600_302600_NS4plusIdEEEEZZNS1_33reduce_by_key_impl_wrapped_configILNS1_25lookback_scan_determinismE0ES3_S9_NS6_6detail15normal_iteratorINS6_10device_ptrIdEEEESG_SG_SG_PmS8_NS6_8equal_toIdEEEE10hipError_tPvRmT2_T3_mT4_T5_T6_T7_T8_P12ihipStream_tbENKUlT_T0_E_clISt17integral_constantIbLb0EES10_IbLb1EEEEDaSW_SX_EUlSW_E_NS1_11comp_targetILNS1_3genE4ELNS1_11target_archE910ELNS1_3gpuE8ELNS1_3repE0EEENS1_30default_config_static_selectorELNS0_4arch9wavefront6targetE0EEEvT1_, .Lfunc_end44-_ZN7rocprim17ROCPRIM_400000_NS6detail17trampoline_kernelINS0_14default_configENS1_29reduce_by_key_config_selectorIddN6thrust23THRUST_200600_302600_NS4plusIdEEEEZZNS1_33reduce_by_key_impl_wrapped_configILNS1_25lookback_scan_determinismE0ES3_S9_NS6_6detail15normal_iteratorINS6_10device_ptrIdEEEESG_SG_SG_PmS8_NS6_8equal_toIdEEEE10hipError_tPvRmT2_T3_mT4_T5_T6_T7_T8_P12ihipStream_tbENKUlT_T0_E_clISt17integral_constantIbLb0EES10_IbLb1EEEEDaSW_SX_EUlSW_E_NS1_11comp_targetILNS1_3genE4ELNS1_11target_archE910ELNS1_3gpuE8ELNS1_3repE0EEENS1_30default_config_static_selectorELNS0_4arch9wavefront6targetE0EEEvT1_
                                        ; -- End function
	.section	.AMDGPU.csdata,"",@progbits
; Kernel info:
; codeLenInByte = 0
; NumSgprs: 0
; NumVgprs: 0
; ScratchSize: 0
; MemoryBound: 0
; FloatMode: 240
; IeeeMode: 1
; LDSByteSize: 0 bytes/workgroup (compile time only)
; SGPRBlocks: 0
; VGPRBlocks: 0
; NumSGPRsForWavesPerEU: 1
; NumVGPRsForWavesPerEU: 1
; Occupancy: 16
; WaveLimiterHint : 0
; COMPUTE_PGM_RSRC2:SCRATCH_EN: 0
; COMPUTE_PGM_RSRC2:USER_SGPR: 15
; COMPUTE_PGM_RSRC2:TRAP_HANDLER: 0
; COMPUTE_PGM_RSRC2:TGID_X_EN: 1
; COMPUTE_PGM_RSRC2:TGID_Y_EN: 0
; COMPUTE_PGM_RSRC2:TGID_Z_EN: 0
; COMPUTE_PGM_RSRC2:TIDIG_COMP_CNT: 0
	.section	.text._ZN7rocprim17ROCPRIM_400000_NS6detail17trampoline_kernelINS0_14default_configENS1_29reduce_by_key_config_selectorIddN6thrust23THRUST_200600_302600_NS4plusIdEEEEZZNS1_33reduce_by_key_impl_wrapped_configILNS1_25lookback_scan_determinismE0ES3_S9_NS6_6detail15normal_iteratorINS6_10device_ptrIdEEEESG_SG_SG_PmS8_NS6_8equal_toIdEEEE10hipError_tPvRmT2_T3_mT4_T5_T6_T7_T8_P12ihipStream_tbENKUlT_T0_E_clISt17integral_constantIbLb0EES10_IbLb1EEEEDaSW_SX_EUlSW_E_NS1_11comp_targetILNS1_3genE3ELNS1_11target_archE908ELNS1_3gpuE7ELNS1_3repE0EEENS1_30default_config_static_selectorELNS0_4arch9wavefront6targetE0EEEvT1_,"axG",@progbits,_ZN7rocprim17ROCPRIM_400000_NS6detail17trampoline_kernelINS0_14default_configENS1_29reduce_by_key_config_selectorIddN6thrust23THRUST_200600_302600_NS4plusIdEEEEZZNS1_33reduce_by_key_impl_wrapped_configILNS1_25lookback_scan_determinismE0ES3_S9_NS6_6detail15normal_iteratorINS6_10device_ptrIdEEEESG_SG_SG_PmS8_NS6_8equal_toIdEEEE10hipError_tPvRmT2_T3_mT4_T5_T6_T7_T8_P12ihipStream_tbENKUlT_T0_E_clISt17integral_constantIbLb0EES10_IbLb1EEEEDaSW_SX_EUlSW_E_NS1_11comp_targetILNS1_3genE3ELNS1_11target_archE908ELNS1_3gpuE7ELNS1_3repE0EEENS1_30default_config_static_selectorELNS0_4arch9wavefront6targetE0EEEvT1_,comdat
	.protected	_ZN7rocprim17ROCPRIM_400000_NS6detail17trampoline_kernelINS0_14default_configENS1_29reduce_by_key_config_selectorIddN6thrust23THRUST_200600_302600_NS4plusIdEEEEZZNS1_33reduce_by_key_impl_wrapped_configILNS1_25lookback_scan_determinismE0ES3_S9_NS6_6detail15normal_iteratorINS6_10device_ptrIdEEEESG_SG_SG_PmS8_NS6_8equal_toIdEEEE10hipError_tPvRmT2_T3_mT4_T5_T6_T7_T8_P12ihipStream_tbENKUlT_T0_E_clISt17integral_constantIbLb0EES10_IbLb1EEEEDaSW_SX_EUlSW_E_NS1_11comp_targetILNS1_3genE3ELNS1_11target_archE908ELNS1_3gpuE7ELNS1_3repE0EEENS1_30default_config_static_selectorELNS0_4arch9wavefront6targetE0EEEvT1_ ; -- Begin function _ZN7rocprim17ROCPRIM_400000_NS6detail17trampoline_kernelINS0_14default_configENS1_29reduce_by_key_config_selectorIddN6thrust23THRUST_200600_302600_NS4plusIdEEEEZZNS1_33reduce_by_key_impl_wrapped_configILNS1_25lookback_scan_determinismE0ES3_S9_NS6_6detail15normal_iteratorINS6_10device_ptrIdEEEESG_SG_SG_PmS8_NS6_8equal_toIdEEEE10hipError_tPvRmT2_T3_mT4_T5_T6_T7_T8_P12ihipStream_tbENKUlT_T0_E_clISt17integral_constantIbLb0EES10_IbLb1EEEEDaSW_SX_EUlSW_E_NS1_11comp_targetILNS1_3genE3ELNS1_11target_archE908ELNS1_3gpuE7ELNS1_3repE0EEENS1_30default_config_static_selectorELNS0_4arch9wavefront6targetE0EEEvT1_
	.globl	_ZN7rocprim17ROCPRIM_400000_NS6detail17trampoline_kernelINS0_14default_configENS1_29reduce_by_key_config_selectorIddN6thrust23THRUST_200600_302600_NS4plusIdEEEEZZNS1_33reduce_by_key_impl_wrapped_configILNS1_25lookback_scan_determinismE0ES3_S9_NS6_6detail15normal_iteratorINS6_10device_ptrIdEEEESG_SG_SG_PmS8_NS6_8equal_toIdEEEE10hipError_tPvRmT2_T3_mT4_T5_T6_T7_T8_P12ihipStream_tbENKUlT_T0_E_clISt17integral_constantIbLb0EES10_IbLb1EEEEDaSW_SX_EUlSW_E_NS1_11comp_targetILNS1_3genE3ELNS1_11target_archE908ELNS1_3gpuE7ELNS1_3repE0EEENS1_30default_config_static_selectorELNS0_4arch9wavefront6targetE0EEEvT1_
	.p2align	8
	.type	_ZN7rocprim17ROCPRIM_400000_NS6detail17trampoline_kernelINS0_14default_configENS1_29reduce_by_key_config_selectorIddN6thrust23THRUST_200600_302600_NS4plusIdEEEEZZNS1_33reduce_by_key_impl_wrapped_configILNS1_25lookback_scan_determinismE0ES3_S9_NS6_6detail15normal_iteratorINS6_10device_ptrIdEEEESG_SG_SG_PmS8_NS6_8equal_toIdEEEE10hipError_tPvRmT2_T3_mT4_T5_T6_T7_T8_P12ihipStream_tbENKUlT_T0_E_clISt17integral_constantIbLb0EES10_IbLb1EEEEDaSW_SX_EUlSW_E_NS1_11comp_targetILNS1_3genE3ELNS1_11target_archE908ELNS1_3gpuE7ELNS1_3repE0EEENS1_30default_config_static_selectorELNS0_4arch9wavefront6targetE0EEEvT1_,@function
_ZN7rocprim17ROCPRIM_400000_NS6detail17trampoline_kernelINS0_14default_configENS1_29reduce_by_key_config_selectorIddN6thrust23THRUST_200600_302600_NS4plusIdEEEEZZNS1_33reduce_by_key_impl_wrapped_configILNS1_25lookback_scan_determinismE0ES3_S9_NS6_6detail15normal_iteratorINS6_10device_ptrIdEEEESG_SG_SG_PmS8_NS6_8equal_toIdEEEE10hipError_tPvRmT2_T3_mT4_T5_T6_T7_T8_P12ihipStream_tbENKUlT_T0_E_clISt17integral_constantIbLb0EES10_IbLb1EEEEDaSW_SX_EUlSW_E_NS1_11comp_targetILNS1_3genE3ELNS1_11target_archE908ELNS1_3gpuE7ELNS1_3repE0EEENS1_30default_config_static_selectorELNS0_4arch9wavefront6targetE0EEEvT1_: ; @_ZN7rocprim17ROCPRIM_400000_NS6detail17trampoline_kernelINS0_14default_configENS1_29reduce_by_key_config_selectorIddN6thrust23THRUST_200600_302600_NS4plusIdEEEEZZNS1_33reduce_by_key_impl_wrapped_configILNS1_25lookback_scan_determinismE0ES3_S9_NS6_6detail15normal_iteratorINS6_10device_ptrIdEEEESG_SG_SG_PmS8_NS6_8equal_toIdEEEE10hipError_tPvRmT2_T3_mT4_T5_T6_T7_T8_P12ihipStream_tbENKUlT_T0_E_clISt17integral_constantIbLb0EES10_IbLb1EEEEDaSW_SX_EUlSW_E_NS1_11comp_targetILNS1_3genE3ELNS1_11target_archE908ELNS1_3gpuE7ELNS1_3repE0EEENS1_30default_config_static_selectorELNS0_4arch9wavefront6targetE0EEEvT1_
; %bb.0:
	.section	.rodata,"a",@progbits
	.p2align	6, 0x0
	.amdhsa_kernel _ZN7rocprim17ROCPRIM_400000_NS6detail17trampoline_kernelINS0_14default_configENS1_29reduce_by_key_config_selectorIddN6thrust23THRUST_200600_302600_NS4plusIdEEEEZZNS1_33reduce_by_key_impl_wrapped_configILNS1_25lookback_scan_determinismE0ES3_S9_NS6_6detail15normal_iteratorINS6_10device_ptrIdEEEESG_SG_SG_PmS8_NS6_8equal_toIdEEEE10hipError_tPvRmT2_T3_mT4_T5_T6_T7_T8_P12ihipStream_tbENKUlT_T0_E_clISt17integral_constantIbLb0EES10_IbLb1EEEEDaSW_SX_EUlSW_E_NS1_11comp_targetILNS1_3genE3ELNS1_11target_archE908ELNS1_3gpuE7ELNS1_3repE0EEENS1_30default_config_static_selectorELNS0_4arch9wavefront6targetE0EEEvT1_
		.amdhsa_group_segment_fixed_size 0
		.amdhsa_private_segment_fixed_size 0
		.amdhsa_kernarg_size 136
		.amdhsa_user_sgpr_count 15
		.amdhsa_user_sgpr_dispatch_ptr 0
		.amdhsa_user_sgpr_queue_ptr 0
		.amdhsa_user_sgpr_kernarg_segment_ptr 1
		.amdhsa_user_sgpr_dispatch_id 0
		.amdhsa_user_sgpr_private_segment_size 0
		.amdhsa_wavefront_size32 1
		.amdhsa_uses_dynamic_stack 0
		.amdhsa_enable_private_segment 0
		.amdhsa_system_sgpr_workgroup_id_x 1
		.amdhsa_system_sgpr_workgroup_id_y 0
		.amdhsa_system_sgpr_workgroup_id_z 0
		.amdhsa_system_sgpr_workgroup_info 0
		.amdhsa_system_vgpr_workitem_id 0
		.amdhsa_next_free_vgpr 1
		.amdhsa_next_free_sgpr 1
		.amdhsa_reserve_vcc 0
		.amdhsa_float_round_mode_32 0
		.amdhsa_float_round_mode_16_64 0
		.amdhsa_float_denorm_mode_32 3
		.amdhsa_float_denorm_mode_16_64 3
		.amdhsa_dx10_clamp 1
		.amdhsa_ieee_mode 1
		.amdhsa_fp16_overflow 0
		.amdhsa_workgroup_processor_mode 1
		.amdhsa_memory_ordered 1
		.amdhsa_forward_progress 0
		.amdhsa_shared_vgpr_count 0
		.amdhsa_exception_fp_ieee_invalid_op 0
		.amdhsa_exception_fp_denorm_src 0
		.amdhsa_exception_fp_ieee_div_zero 0
		.amdhsa_exception_fp_ieee_overflow 0
		.amdhsa_exception_fp_ieee_underflow 0
		.amdhsa_exception_fp_ieee_inexact 0
		.amdhsa_exception_int_div_zero 0
	.end_amdhsa_kernel
	.section	.text._ZN7rocprim17ROCPRIM_400000_NS6detail17trampoline_kernelINS0_14default_configENS1_29reduce_by_key_config_selectorIddN6thrust23THRUST_200600_302600_NS4plusIdEEEEZZNS1_33reduce_by_key_impl_wrapped_configILNS1_25lookback_scan_determinismE0ES3_S9_NS6_6detail15normal_iteratorINS6_10device_ptrIdEEEESG_SG_SG_PmS8_NS6_8equal_toIdEEEE10hipError_tPvRmT2_T3_mT4_T5_T6_T7_T8_P12ihipStream_tbENKUlT_T0_E_clISt17integral_constantIbLb0EES10_IbLb1EEEEDaSW_SX_EUlSW_E_NS1_11comp_targetILNS1_3genE3ELNS1_11target_archE908ELNS1_3gpuE7ELNS1_3repE0EEENS1_30default_config_static_selectorELNS0_4arch9wavefront6targetE0EEEvT1_,"axG",@progbits,_ZN7rocprim17ROCPRIM_400000_NS6detail17trampoline_kernelINS0_14default_configENS1_29reduce_by_key_config_selectorIddN6thrust23THRUST_200600_302600_NS4plusIdEEEEZZNS1_33reduce_by_key_impl_wrapped_configILNS1_25lookback_scan_determinismE0ES3_S9_NS6_6detail15normal_iteratorINS6_10device_ptrIdEEEESG_SG_SG_PmS8_NS6_8equal_toIdEEEE10hipError_tPvRmT2_T3_mT4_T5_T6_T7_T8_P12ihipStream_tbENKUlT_T0_E_clISt17integral_constantIbLb0EES10_IbLb1EEEEDaSW_SX_EUlSW_E_NS1_11comp_targetILNS1_3genE3ELNS1_11target_archE908ELNS1_3gpuE7ELNS1_3repE0EEENS1_30default_config_static_selectorELNS0_4arch9wavefront6targetE0EEEvT1_,comdat
.Lfunc_end45:
	.size	_ZN7rocprim17ROCPRIM_400000_NS6detail17trampoline_kernelINS0_14default_configENS1_29reduce_by_key_config_selectorIddN6thrust23THRUST_200600_302600_NS4plusIdEEEEZZNS1_33reduce_by_key_impl_wrapped_configILNS1_25lookback_scan_determinismE0ES3_S9_NS6_6detail15normal_iteratorINS6_10device_ptrIdEEEESG_SG_SG_PmS8_NS6_8equal_toIdEEEE10hipError_tPvRmT2_T3_mT4_T5_T6_T7_T8_P12ihipStream_tbENKUlT_T0_E_clISt17integral_constantIbLb0EES10_IbLb1EEEEDaSW_SX_EUlSW_E_NS1_11comp_targetILNS1_3genE3ELNS1_11target_archE908ELNS1_3gpuE7ELNS1_3repE0EEENS1_30default_config_static_selectorELNS0_4arch9wavefront6targetE0EEEvT1_, .Lfunc_end45-_ZN7rocprim17ROCPRIM_400000_NS6detail17trampoline_kernelINS0_14default_configENS1_29reduce_by_key_config_selectorIddN6thrust23THRUST_200600_302600_NS4plusIdEEEEZZNS1_33reduce_by_key_impl_wrapped_configILNS1_25lookback_scan_determinismE0ES3_S9_NS6_6detail15normal_iteratorINS6_10device_ptrIdEEEESG_SG_SG_PmS8_NS6_8equal_toIdEEEE10hipError_tPvRmT2_T3_mT4_T5_T6_T7_T8_P12ihipStream_tbENKUlT_T0_E_clISt17integral_constantIbLb0EES10_IbLb1EEEEDaSW_SX_EUlSW_E_NS1_11comp_targetILNS1_3genE3ELNS1_11target_archE908ELNS1_3gpuE7ELNS1_3repE0EEENS1_30default_config_static_selectorELNS0_4arch9wavefront6targetE0EEEvT1_
                                        ; -- End function
	.section	.AMDGPU.csdata,"",@progbits
; Kernel info:
; codeLenInByte = 0
; NumSgprs: 0
; NumVgprs: 0
; ScratchSize: 0
; MemoryBound: 0
; FloatMode: 240
; IeeeMode: 1
; LDSByteSize: 0 bytes/workgroup (compile time only)
; SGPRBlocks: 0
; VGPRBlocks: 0
; NumSGPRsForWavesPerEU: 1
; NumVGPRsForWavesPerEU: 1
; Occupancy: 16
; WaveLimiterHint : 0
; COMPUTE_PGM_RSRC2:SCRATCH_EN: 0
; COMPUTE_PGM_RSRC2:USER_SGPR: 15
; COMPUTE_PGM_RSRC2:TRAP_HANDLER: 0
; COMPUTE_PGM_RSRC2:TGID_X_EN: 1
; COMPUTE_PGM_RSRC2:TGID_Y_EN: 0
; COMPUTE_PGM_RSRC2:TGID_Z_EN: 0
; COMPUTE_PGM_RSRC2:TIDIG_COMP_CNT: 0
	.section	.text._ZN7rocprim17ROCPRIM_400000_NS6detail17trampoline_kernelINS0_14default_configENS1_29reduce_by_key_config_selectorIddN6thrust23THRUST_200600_302600_NS4plusIdEEEEZZNS1_33reduce_by_key_impl_wrapped_configILNS1_25lookback_scan_determinismE0ES3_S9_NS6_6detail15normal_iteratorINS6_10device_ptrIdEEEESG_SG_SG_PmS8_NS6_8equal_toIdEEEE10hipError_tPvRmT2_T3_mT4_T5_T6_T7_T8_P12ihipStream_tbENKUlT_T0_E_clISt17integral_constantIbLb0EES10_IbLb1EEEEDaSW_SX_EUlSW_E_NS1_11comp_targetILNS1_3genE2ELNS1_11target_archE906ELNS1_3gpuE6ELNS1_3repE0EEENS1_30default_config_static_selectorELNS0_4arch9wavefront6targetE0EEEvT1_,"axG",@progbits,_ZN7rocprim17ROCPRIM_400000_NS6detail17trampoline_kernelINS0_14default_configENS1_29reduce_by_key_config_selectorIddN6thrust23THRUST_200600_302600_NS4plusIdEEEEZZNS1_33reduce_by_key_impl_wrapped_configILNS1_25lookback_scan_determinismE0ES3_S9_NS6_6detail15normal_iteratorINS6_10device_ptrIdEEEESG_SG_SG_PmS8_NS6_8equal_toIdEEEE10hipError_tPvRmT2_T3_mT4_T5_T6_T7_T8_P12ihipStream_tbENKUlT_T0_E_clISt17integral_constantIbLb0EES10_IbLb1EEEEDaSW_SX_EUlSW_E_NS1_11comp_targetILNS1_3genE2ELNS1_11target_archE906ELNS1_3gpuE6ELNS1_3repE0EEENS1_30default_config_static_selectorELNS0_4arch9wavefront6targetE0EEEvT1_,comdat
	.protected	_ZN7rocprim17ROCPRIM_400000_NS6detail17trampoline_kernelINS0_14default_configENS1_29reduce_by_key_config_selectorIddN6thrust23THRUST_200600_302600_NS4plusIdEEEEZZNS1_33reduce_by_key_impl_wrapped_configILNS1_25lookback_scan_determinismE0ES3_S9_NS6_6detail15normal_iteratorINS6_10device_ptrIdEEEESG_SG_SG_PmS8_NS6_8equal_toIdEEEE10hipError_tPvRmT2_T3_mT4_T5_T6_T7_T8_P12ihipStream_tbENKUlT_T0_E_clISt17integral_constantIbLb0EES10_IbLb1EEEEDaSW_SX_EUlSW_E_NS1_11comp_targetILNS1_3genE2ELNS1_11target_archE906ELNS1_3gpuE6ELNS1_3repE0EEENS1_30default_config_static_selectorELNS0_4arch9wavefront6targetE0EEEvT1_ ; -- Begin function _ZN7rocprim17ROCPRIM_400000_NS6detail17trampoline_kernelINS0_14default_configENS1_29reduce_by_key_config_selectorIddN6thrust23THRUST_200600_302600_NS4plusIdEEEEZZNS1_33reduce_by_key_impl_wrapped_configILNS1_25lookback_scan_determinismE0ES3_S9_NS6_6detail15normal_iteratorINS6_10device_ptrIdEEEESG_SG_SG_PmS8_NS6_8equal_toIdEEEE10hipError_tPvRmT2_T3_mT4_T5_T6_T7_T8_P12ihipStream_tbENKUlT_T0_E_clISt17integral_constantIbLb0EES10_IbLb1EEEEDaSW_SX_EUlSW_E_NS1_11comp_targetILNS1_3genE2ELNS1_11target_archE906ELNS1_3gpuE6ELNS1_3repE0EEENS1_30default_config_static_selectorELNS0_4arch9wavefront6targetE0EEEvT1_
	.globl	_ZN7rocprim17ROCPRIM_400000_NS6detail17trampoline_kernelINS0_14default_configENS1_29reduce_by_key_config_selectorIddN6thrust23THRUST_200600_302600_NS4plusIdEEEEZZNS1_33reduce_by_key_impl_wrapped_configILNS1_25lookback_scan_determinismE0ES3_S9_NS6_6detail15normal_iteratorINS6_10device_ptrIdEEEESG_SG_SG_PmS8_NS6_8equal_toIdEEEE10hipError_tPvRmT2_T3_mT4_T5_T6_T7_T8_P12ihipStream_tbENKUlT_T0_E_clISt17integral_constantIbLb0EES10_IbLb1EEEEDaSW_SX_EUlSW_E_NS1_11comp_targetILNS1_3genE2ELNS1_11target_archE906ELNS1_3gpuE6ELNS1_3repE0EEENS1_30default_config_static_selectorELNS0_4arch9wavefront6targetE0EEEvT1_
	.p2align	8
	.type	_ZN7rocprim17ROCPRIM_400000_NS6detail17trampoline_kernelINS0_14default_configENS1_29reduce_by_key_config_selectorIddN6thrust23THRUST_200600_302600_NS4plusIdEEEEZZNS1_33reduce_by_key_impl_wrapped_configILNS1_25lookback_scan_determinismE0ES3_S9_NS6_6detail15normal_iteratorINS6_10device_ptrIdEEEESG_SG_SG_PmS8_NS6_8equal_toIdEEEE10hipError_tPvRmT2_T3_mT4_T5_T6_T7_T8_P12ihipStream_tbENKUlT_T0_E_clISt17integral_constantIbLb0EES10_IbLb1EEEEDaSW_SX_EUlSW_E_NS1_11comp_targetILNS1_3genE2ELNS1_11target_archE906ELNS1_3gpuE6ELNS1_3repE0EEENS1_30default_config_static_selectorELNS0_4arch9wavefront6targetE0EEEvT1_,@function
_ZN7rocprim17ROCPRIM_400000_NS6detail17trampoline_kernelINS0_14default_configENS1_29reduce_by_key_config_selectorIddN6thrust23THRUST_200600_302600_NS4plusIdEEEEZZNS1_33reduce_by_key_impl_wrapped_configILNS1_25lookback_scan_determinismE0ES3_S9_NS6_6detail15normal_iteratorINS6_10device_ptrIdEEEESG_SG_SG_PmS8_NS6_8equal_toIdEEEE10hipError_tPvRmT2_T3_mT4_T5_T6_T7_T8_P12ihipStream_tbENKUlT_T0_E_clISt17integral_constantIbLb0EES10_IbLb1EEEEDaSW_SX_EUlSW_E_NS1_11comp_targetILNS1_3genE2ELNS1_11target_archE906ELNS1_3gpuE6ELNS1_3repE0EEENS1_30default_config_static_selectorELNS0_4arch9wavefront6targetE0EEEvT1_: ; @_ZN7rocprim17ROCPRIM_400000_NS6detail17trampoline_kernelINS0_14default_configENS1_29reduce_by_key_config_selectorIddN6thrust23THRUST_200600_302600_NS4plusIdEEEEZZNS1_33reduce_by_key_impl_wrapped_configILNS1_25lookback_scan_determinismE0ES3_S9_NS6_6detail15normal_iteratorINS6_10device_ptrIdEEEESG_SG_SG_PmS8_NS6_8equal_toIdEEEE10hipError_tPvRmT2_T3_mT4_T5_T6_T7_T8_P12ihipStream_tbENKUlT_T0_E_clISt17integral_constantIbLb0EES10_IbLb1EEEEDaSW_SX_EUlSW_E_NS1_11comp_targetILNS1_3genE2ELNS1_11target_archE906ELNS1_3gpuE6ELNS1_3repE0EEENS1_30default_config_static_selectorELNS0_4arch9wavefront6targetE0EEEvT1_
; %bb.0:
	.section	.rodata,"a",@progbits
	.p2align	6, 0x0
	.amdhsa_kernel _ZN7rocprim17ROCPRIM_400000_NS6detail17trampoline_kernelINS0_14default_configENS1_29reduce_by_key_config_selectorIddN6thrust23THRUST_200600_302600_NS4plusIdEEEEZZNS1_33reduce_by_key_impl_wrapped_configILNS1_25lookback_scan_determinismE0ES3_S9_NS6_6detail15normal_iteratorINS6_10device_ptrIdEEEESG_SG_SG_PmS8_NS6_8equal_toIdEEEE10hipError_tPvRmT2_T3_mT4_T5_T6_T7_T8_P12ihipStream_tbENKUlT_T0_E_clISt17integral_constantIbLb0EES10_IbLb1EEEEDaSW_SX_EUlSW_E_NS1_11comp_targetILNS1_3genE2ELNS1_11target_archE906ELNS1_3gpuE6ELNS1_3repE0EEENS1_30default_config_static_selectorELNS0_4arch9wavefront6targetE0EEEvT1_
		.amdhsa_group_segment_fixed_size 0
		.amdhsa_private_segment_fixed_size 0
		.amdhsa_kernarg_size 136
		.amdhsa_user_sgpr_count 15
		.amdhsa_user_sgpr_dispatch_ptr 0
		.amdhsa_user_sgpr_queue_ptr 0
		.amdhsa_user_sgpr_kernarg_segment_ptr 1
		.amdhsa_user_sgpr_dispatch_id 0
		.amdhsa_user_sgpr_private_segment_size 0
		.amdhsa_wavefront_size32 1
		.amdhsa_uses_dynamic_stack 0
		.amdhsa_enable_private_segment 0
		.amdhsa_system_sgpr_workgroup_id_x 1
		.amdhsa_system_sgpr_workgroup_id_y 0
		.amdhsa_system_sgpr_workgroup_id_z 0
		.amdhsa_system_sgpr_workgroup_info 0
		.amdhsa_system_vgpr_workitem_id 0
		.amdhsa_next_free_vgpr 1
		.amdhsa_next_free_sgpr 1
		.amdhsa_reserve_vcc 0
		.amdhsa_float_round_mode_32 0
		.amdhsa_float_round_mode_16_64 0
		.amdhsa_float_denorm_mode_32 3
		.amdhsa_float_denorm_mode_16_64 3
		.amdhsa_dx10_clamp 1
		.amdhsa_ieee_mode 1
		.amdhsa_fp16_overflow 0
		.amdhsa_workgroup_processor_mode 1
		.amdhsa_memory_ordered 1
		.amdhsa_forward_progress 0
		.amdhsa_shared_vgpr_count 0
		.amdhsa_exception_fp_ieee_invalid_op 0
		.amdhsa_exception_fp_denorm_src 0
		.amdhsa_exception_fp_ieee_div_zero 0
		.amdhsa_exception_fp_ieee_overflow 0
		.amdhsa_exception_fp_ieee_underflow 0
		.amdhsa_exception_fp_ieee_inexact 0
		.amdhsa_exception_int_div_zero 0
	.end_amdhsa_kernel
	.section	.text._ZN7rocprim17ROCPRIM_400000_NS6detail17trampoline_kernelINS0_14default_configENS1_29reduce_by_key_config_selectorIddN6thrust23THRUST_200600_302600_NS4plusIdEEEEZZNS1_33reduce_by_key_impl_wrapped_configILNS1_25lookback_scan_determinismE0ES3_S9_NS6_6detail15normal_iteratorINS6_10device_ptrIdEEEESG_SG_SG_PmS8_NS6_8equal_toIdEEEE10hipError_tPvRmT2_T3_mT4_T5_T6_T7_T8_P12ihipStream_tbENKUlT_T0_E_clISt17integral_constantIbLb0EES10_IbLb1EEEEDaSW_SX_EUlSW_E_NS1_11comp_targetILNS1_3genE2ELNS1_11target_archE906ELNS1_3gpuE6ELNS1_3repE0EEENS1_30default_config_static_selectorELNS0_4arch9wavefront6targetE0EEEvT1_,"axG",@progbits,_ZN7rocprim17ROCPRIM_400000_NS6detail17trampoline_kernelINS0_14default_configENS1_29reduce_by_key_config_selectorIddN6thrust23THRUST_200600_302600_NS4plusIdEEEEZZNS1_33reduce_by_key_impl_wrapped_configILNS1_25lookback_scan_determinismE0ES3_S9_NS6_6detail15normal_iteratorINS6_10device_ptrIdEEEESG_SG_SG_PmS8_NS6_8equal_toIdEEEE10hipError_tPvRmT2_T3_mT4_T5_T6_T7_T8_P12ihipStream_tbENKUlT_T0_E_clISt17integral_constantIbLb0EES10_IbLb1EEEEDaSW_SX_EUlSW_E_NS1_11comp_targetILNS1_3genE2ELNS1_11target_archE906ELNS1_3gpuE6ELNS1_3repE0EEENS1_30default_config_static_selectorELNS0_4arch9wavefront6targetE0EEEvT1_,comdat
.Lfunc_end46:
	.size	_ZN7rocprim17ROCPRIM_400000_NS6detail17trampoline_kernelINS0_14default_configENS1_29reduce_by_key_config_selectorIddN6thrust23THRUST_200600_302600_NS4plusIdEEEEZZNS1_33reduce_by_key_impl_wrapped_configILNS1_25lookback_scan_determinismE0ES3_S9_NS6_6detail15normal_iteratorINS6_10device_ptrIdEEEESG_SG_SG_PmS8_NS6_8equal_toIdEEEE10hipError_tPvRmT2_T3_mT4_T5_T6_T7_T8_P12ihipStream_tbENKUlT_T0_E_clISt17integral_constantIbLb0EES10_IbLb1EEEEDaSW_SX_EUlSW_E_NS1_11comp_targetILNS1_3genE2ELNS1_11target_archE906ELNS1_3gpuE6ELNS1_3repE0EEENS1_30default_config_static_selectorELNS0_4arch9wavefront6targetE0EEEvT1_, .Lfunc_end46-_ZN7rocprim17ROCPRIM_400000_NS6detail17trampoline_kernelINS0_14default_configENS1_29reduce_by_key_config_selectorIddN6thrust23THRUST_200600_302600_NS4plusIdEEEEZZNS1_33reduce_by_key_impl_wrapped_configILNS1_25lookback_scan_determinismE0ES3_S9_NS6_6detail15normal_iteratorINS6_10device_ptrIdEEEESG_SG_SG_PmS8_NS6_8equal_toIdEEEE10hipError_tPvRmT2_T3_mT4_T5_T6_T7_T8_P12ihipStream_tbENKUlT_T0_E_clISt17integral_constantIbLb0EES10_IbLb1EEEEDaSW_SX_EUlSW_E_NS1_11comp_targetILNS1_3genE2ELNS1_11target_archE906ELNS1_3gpuE6ELNS1_3repE0EEENS1_30default_config_static_selectorELNS0_4arch9wavefront6targetE0EEEvT1_
                                        ; -- End function
	.section	.AMDGPU.csdata,"",@progbits
; Kernel info:
; codeLenInByte = 0
; NumSgprs: 0
; NumVgprs: 0
; ScratchSize: 0
; MemoryBound: 0
; FloatMode: 240
; IeeeMode: 1
; LDSByteSize: 0 bytes/workgroup (compile time only)
; SGPRBlocks: 0
; VGPRBlocks: 0
; NumSGPRsForWavesPerEU: 1
; NumVGPRsForWavesPerEU: 1
; Occupancy: 16
; WaveLimiterHint : 0
; COMPUTE_PGM_RSRC2:SCRATCH_EN: 0
; COMPUTE_PGM_RSRC2:USER_SGPR: 15
; COMPUTE_PGM_RSRC2:TRAP_HANDLER: 0
; COMPUTE_PGM_RSRC2:TGID_X_EN: 1
; COMPUTE_PGM_RSRC2:TGID_Y_EN: 0
; COMPUTE_PGM_RSRC2:TGID_Z_EN: 0
; COMPUTE_PGM_RSRC2:TIDIG_COMP_CNT: 0
	.section	.text._ZN7rocprim17ROCPRIM_400000_NS6detail17trampoline_kernelINS0_14default_configENS1_29reduce_by_key_config_selectorIddN6thrust23THRUST_200600_302600_NS4plusIdEEEEZZNS1_33reduce_by_key_impl_wrapped_configILNS1_25lookback_scan_determinismE0ES3_S9_NS6_6detail15normal_iteratorINS6_10device_ptrIdEEEESG_SG_SG_PmS8_NS6_8equal_toIdEEEE10hipError_tPvRmT2_T3_mT4_T5_T6_T7_T8_P12ihipStream_tbENKUlT_T0_E_clISt17integral_constantIbLb0EES10_IbLb1EEEEDaSW_SX_EUlSW_E_NS1_11comp_targetILNS1_3genE10ELNS1_11target_archE1201ELNS1_3gpuE5ELNS1_3repE0EEENS1_30default_config_static_selectorELNS0_4arch9wavefront6targetE0EEEvT1_,"axG",@progbits,_ZN7rocprim17ROCPRIM_400000_NS6detail17trampoline_kernelINS0_14default_configENS1_29reduce_by_key_config_selectorIddN6thrust23THRUST_200600_302600_NS4plusIdEEEEZZNS1_33reduce_by_key_impl_wrapped_configILNS1_25lookback_scan_determinismE0ES3_S9_NS6_6detail15normal_iteratorINS6_10device_ptrIdEEEESG_SG_SG_PmS8_NS6_8equal_toIdEEEE10hipError_tPvRmT2_T3_mT4_T5_T6_T7_T8_P12ihipStream_tbENKUlT_T0_E_clISt17integral_constantIbLb0EES10_IbLb1EEEEDaSW_SX_EUlSW_E_NS1_11comp_targetILNS1_3genE10ELNS1_11target_archE1201ELNS1_3gpuE5ELNS1_3repE0EEENS1_30default_config_static_selectorELNS0_4arch9wavefront6targetE0EEEvT1_,comdat
	.protected	_ZN7rocprim17ROCPRIM_400000_NS6detail17trampoline_kernelINS0_14default_configENS1_29reduce_by_key_config_selectorIddN6thrust23THRUST_200600_302600_NS4plusIdEEEEZZNS1_33reduce_by_key_impl_wrapped_configILNS1_25lookback_scan_determinismE0ES3_S9_NS6_6detail15normal_iteratorINS6_10device_ptrIdEEEESG_SG_SG_PmS8_NS6_8equal_toIdEEEE10hipError_tPvRmT2_T3_mT4_T5_T6_T7_T8_P12ihipStream_tbENKUlT_T0_E_clISt17integral_constantIbLb0EES10_IbLb1EEEEDaSW_SX_EUlSW_E_NS1_11comp_targetILNS1_3genE10ELNS1_11target_archE1201ELNS1_3gpuE5ELNS1_3repE0EEENS1_30default_config_static_selectorELNS0_4arch9wavefront6targetE0EEEvT1_ ; -- Begin function _ZN7rocprim17ROCPRIM_400000_NS6detail17trampoline_kernelINS0_14default_configENS1_29reduce_by_key_config_selectorIddN6thrust23THRUST_200600_302600_NS4plusIdEEEEZZNS1_33reduce_by_key_impl_wrapped_configILNS1_25lookback_scan_determinismE0ES3_S9_NS6_6detail15normal_iteratorINS6_10device_ptrIdEEEESG_SG_SG_PmS8_NS6_8equal_toIdEEEE10hipError_tPvRmT2_T3_mT4_T5_T6_T7_T8_P12ihipStream_tbENKUlT_T0_E_clISt17integral_constantIbLb0EES10_IbLb1EEEEDaSW_SX_EUlSW_E_NS1_11comp_targetILNS1_3genE10ELNS1_11target_archE1201ELNS1_3gpuE5ELNS1_3repE0EEENS1_30default_config_static_selectorELNS0_4arch9wavefront6targetE0EEEvT1_
	.globl	_ZN7rocprim17ROCPRIM_400000_NS6detail17trampoline_kernelINS0_14default_configENS1_29reduce_by_key_config_selectorIddN6thrust23THRUST_200600_302600_NS4plusIdEEEEZZNS1_33reduce_by_key_impl_wrapped_configILNS1_25lookback_scan_determinismE0ES3_S9_NS6_6detail15normal_iteratorINS6_10device_ptrIdEEEESG_SG_SG_PmS8_NS6_8equal_toIdEEEE10hipError_tPvRmT2_T3_mT4_T5_T6_T7_T8_P12ihipStream_tbENKUlT_T0_E_clISt17integral_constantIbLb0EES10_IbLb1EEEEDaSW_SX_EUlSW_E_NS1_11comp_targetILNS1_3genE10ELNS1_11target_archE1201ELNS1_3gpuE5ELNS1_3repE0EEENS1_30default_config_static_selectorELNS0_4arch9wavefront6targetE0EEEvT1_
	.p2align	8
	.type	_ZN7rocprim17ROCPRIM_400000_NS6detail17trampoline_kernelINS0_14default_configENS1_29reduce_by_key_config_selectorIddN6thrust23THRUST_200600_302600_NS4plusIdEEEEZZNS1_33reduce_by_key_impl_wrapped_configILNS1_25lookback_scan_determinismE0ES3_S9_NS6_6detail15normal_iteratorINS6_10device_ptrIdEEEESG_SG_SG_PmS8_NS6_8equal_toIdEEEE10hipError_tPvRmT2_T3_mT4_T5_T6_T7_T8_P12ihipStream_tbENKUlT_T0_E_clISt17integral_constantIbLb0EES10_IbLb1EEEEDaSW_SX_EUlSW_E_NS1_11comp_targetILNS1_3genE10ELNS1_11target_archE1201ELNS1_3gpuE5ELNS1_3repE0EEENS1_30default_config_static_selectorELNS0_4arch9wavefront6targetE0EEEvT1_,@function
_ZN7rocprim17ROCPRIM_400000_NS6detail17trampoline_kernelINS0_14default_configENS1_29reduce_by_key_config_selectorIddN6thrust23THRUST_200600_302600_NS4plusIdEEEEZZNS1_33reduce_by_key_impl_wrapped_configILNS1_25lookback_scan_determinismE0ES3_S9_NS6_6detail15normal_iteratorINS6_10device_ptrIdEEEESG_SG_SG_PmS8_NS6_8equal_toIdEEEE10hipError_tPvRmT2_T3_mT4_T5_T6_T7_T8_P12ihipStream_tbENKUlT_T0_E_clISt17integral_constantIbLb0EES10_IbLb1EEEEDaSW_SX_EUlSW_E_NS1_11comp_targetILNS1_3genE10ELNS1_11target_archE1201ELNS1_3gpuE5ELNS1_3repE0EEENS1_30default_config_static_selectorELNS0_4arch9wavefront6targetE0EEEvT1_: ; @_ZN7rocprim17ROCPRIM_400000_NS6detail17trampoline_kernelINS0_14default_configENS1_29reduce_by_key_config_selectorIddN6thrust23THRUST_200600_302600_NS4plusIdEEEEZZNS1_33reduce_by_key_impl_wrapped_configILNS1_25lookback_scan_determinismE0ES3_S9_NS6_6detail15normal_iteratorINS6_10device_ptrIdEEEESG_SG_SG_PmS8_NS6_8equal_toIdEEEE10hipError_tPvRmT2_T3_mT4_T5_T6_T7_T8_P12ihipStream_tbENKUlT_T0_E_clISt17integral_constantIbLb0EES10_IbLb1EEEEDaSW_SX_EUlSW_E_NS1_11comp_targetILNS1_3genE10ELNS1_11target_archE1201ELNS1_3gpuE5ELNS1_3repE0EEENS1_30default_config_static_selectorELNS0_4arch9wavefront6targetE0EEEvT1_
; %bb.0:
	.section	.rodata,"a",@progbits
	.p2align	6, 0x0
	.amdhsa_kernel _ZN7rocprim17ROCPRIM_400000_NS6detail17trampoline_kernelINS0_14default_configENS1_29reduce_by_key_config_selectorIddN6thrust23THRUST_200600_302600_NS4plusIdEEEEZZNS1_33reduce_by_key_impl_wrapped_configILNS1_25lookback_scan_determinismE0ES3_S9_NS6_6detail15normal_iteratorINS6_10device_ptrIdEEEESG_SG_SG_PmS8_NS6_8equal_toIdEEEE10hipError_tPvRmT2_T3_mT4_T5_T6_T7_T8_P12ihipStream_tbENKUlT_T0_E_clISt17integral_constantIbLb0EES10_IbLb1EEEEDaSW_SX_EUlSW_E_NS1_11comp_targetILNS1_3genE10ELNS1_11target_archE1201ELNS1_3gpuE5ELNS1_3repE0EEENS1_30default_config_static_selectorELNS0_4arch9wavefront6targetE0EEEvT1_
		.amdhsa_group_segment_fixed_size 0
		.amdhsa_private_segment_fixed_size 0
		.amdhsa_kernarg_size 136
		.amdhsa_user_sgpr_count 15
		.amdhsa_user_sgpr_dispatch_ptr 0
		.amdhsa_user_sgpr_queue_ptr 0
		.amdhsa_user_sgpr_kernarg_segment_ptr 1
		.amdhsa_user_sgpr_dispatch_id 0
		.amdhsa_user_sgpr_private_segment_size 0
		.amdhsa_wavefront_size32 1
		.amdhsa_uses_dynamic_stack 0
		.amdhsa_enable_private_segment 0
		.amdhsa_system_sgpr_workgroup_id_x 1
		.amdhsa_system_sgpr_workgroup_id_y 0
		.amdhsa_system_sgpr_workgroup_id_z 0
		.amdhsa_system_sgpr_workgroup_info 0
		.amdhsa_system_vgpr_workitem_id 0
		.amdhsa_next_free_vgpr 1
		.amdhsa_next_free_sgpr 1
		.amdhsa_reserve_vcc 0
		.amdhsa_float_round_mode_32 0
		.amdhsa_float_round_mode_16_64 0
		.amdhsa_float_denorm_mode_32 3
		.amdhsa_float_denorm_mode_16_64 3
		.amdhsa_dx10_clamp 1
		.amdhsa_ieee_mode 1
		.amdhsa_fp16_overflow 0
		.amdhsa_workgroup_processor_mode 1
		.amdhsa_memory_ordered 1
		.amdhsa_forward_progress 0
		.amdhsa_shared_vgpr_count 0
		.amdhsa_exception_fp_ieee_invalid_op 0
		.amdhsa_exception_fp_denorm_src 0
		.amdhsa_exception_fp_ieee_div_zero 0
		.amdhsa_exception_fp_ieee_overflow 0
		.amdhsa_exception_fp_ieee_underflow 0
		.amdhsa_exception_fp_ieee_inexact 0
		.amdhsa_exception_int_div_zero 0
	.end_amdhsa_kernel
	.section	.text._ZN7rocprim17ROCPRIM_400000_NS6detail17trampoline_kernelINS0_14default_configENS1_29reduce_by_key_config_selectorIddN6thrust23THRUST_200600_302600_NS4plusIdEEEEZZNS1_33reduce_by_key_impl_wrapped_configILNS1_25lookback_scan_determinismE0ES3_S9_NS6_6detail15normal_iteratorINS6_10device_ptrIdEEEESG_SG_SG_PmS8_NS6_8equal_toIdEEEE10hipError_tPvRmT2_T3_mT4_T5_T6_T7_T8_P12ihipStream_tbENKUlT_T0_E_clISt17integral_constantIbLb0EES10_IbLb1EEEEDaSW_SX_EUlSW_E_NS1_11comp_targetILNS1_3genE10ELNS1_11target_archE1201ELNS1_3gpuE5ELNS1_3repE0EEENS1_30default_config_static_selectorELNS0_4arch9wavefront6targetE0EEEvT1_,"axG",@progbits,_ZN7rocprim17ROCPRIM_400000_NS6detail17trampoline_kernelINS0_14default_configENS1_29reduce_by_key_config_selectorIddN6thrust23THRUST_200600_302600_NS4plusIdEEEEZZNS1_33reduce_by_key_impl_wrapped_configILNS1_25lookback_scan_determinismE0ES3_S9_NS6_6detail15normal_iteratorINS6_10device_ptrIdEEEESG_SG_SG_PmS8_NS6_8equal_toIdEEEE10hipError_tPvRmT2_T3_mT4_T5_T6_T7_T8_P12ihipStream_tbENKUlT_T0_E_clISt17integral_constantIbLb0EES10_IbLb1EEEEDaSW_SX_EUlSW_E_NS1_11comp_targetILNS1_3genE10ELNS1_11target_archE1201ELNS1_3gpuE5ELNS1_3repE0EEENS1_30default_config_static_selectorELNS0_4arch9wavefront6targetE0EEEvT1_,comdat
.Lfunc_end47:
	.size	_ZN7rocprim17ROCPRIM_400000_NS6detail17trampoline_kernelINS0_14default_configENS1_29reduce_by_key_config_selectorIddN6thrust23THRUST_200600_302600_NS4plusIdEEEEZZNS1_33reduce_by_key_impl_wrapped_configILNS1_25lookback_scan_determinismE0ES3_S9_NS6_6detail15normal_iteratorINS6_10device_ptrIdEEEESG_SG_SG_PmS8_NS6_8equal_toIdEEEE10hipError_tPvRmT2_T3_mT4_T5_T6_T7_T8_P12ihipStream_tbENKUlT_T0_E_clISt17integral_constantIbLb0EES10_IbLb1EEEEDaSW_SX_EUlSW_E_NS1_11comp_targetILNS1_3genE10ELNS1_11target_archE1201ELNS1_3gpuE5ELNS1_3repE0EEENS1_30default_config_static_selectorELNS0_4arch9wavefront6targetE0EEEvT1_, .Lfunc_end47-_ZN7rocprim17ROCPRIM_400000_NS6detail17trampoline_kernelINS0_14default_configENS1_29reduce_by_key_config_selectorIddN6thrust23THRUST_200600_302600_NS4plusIdEEEEZZNS1_33reduce_by_key_impl_wrapped_configILNS1_25lookback_scan_determinismE0ES3_S9_NS6_6detail15normal_iteratorINS6_10device_ptrIdEEEESG_SG_SG_PmS8_NS6_8equal_toIdEEEE10hipError_tPvRmT2_T3_mT4_T5_T6_T7_T8_P12ihipStream_tbENKUlT_T0_E_clISt17integral_constantIbLb0EES10_IbLb1EEEEDaSW_SX_EUlSW_E_NS1_11comp_targetILNS1_3genE10ELNS1_11target_archE1201ELNS1_3gpuE5ELNS1_3repE0EEENS1_30default_config_static_selectorELNS0_4arch9wavefront6targetE0EEEvT1_
                                        ; -- End function
	.section	.AMDGPU.csdata,"",@progbits
; Kernel info:
; codeLenInByte = 0
; NumSgprs: 0
; NumVgprs: 0
; ScratchSize: 0
; MemoryBound: 0
; FloatMode: 240
; IeeeMode: 1
; LDSByteSize: 0 bytes/workgroup (compile time only)
; SGPRBlocks: 0
; VGPRBlocks: 0
; NumSGPRsForWavesPerEU: 1
; NumVGPRsForWavesPerEU: 1
; Occupancy: 16
; WaveLimiterHint : 0
; COMPUTE_PGM_RSRC2:SCRATCH_EN: 0
; COMPUTE_PGM_RSRC2:USER_SGPR: 15
; COMPUTE_PGM_RSRC2:TRAP_HANDLER: 0
; COMPUTE_PGM_RSRC2:TGID_X_EN: 1
; COMPUTE_PGM_RSRC2:TGID_Y_EN: 0
; COMPUTE_PGM_RSRC2:TGID_Z_EN: 0
; COMPUTE_PGM_RSRC2:TIDIG_COMP_CNT: 0
	.section	.text._ZN7rocprim17ROCPRIM_400000_NS6detail17trampoline_kernelINS0_14default_configENS1_29reduce_by_key_config_selectorIddN6thrust23THRUST_200600_302600_NS4plusIdEEEEZZNS1_33reduce_by_key_impl_wrapped_configILNS1_25lookback_scan_determinismE0ES3_S9_NS6_6detail15normal_iteratorINS6_10device_ptrIdEEEESG_SG_SG_PmS8_NS6_8equal_toIdEEEE10hipError_tPvRmT2_T3_mT4_T5_T6_T7_T8_P12ihipStream_tbENKUlT_T0_E_clISt17integral_constantIbLb0EES10_IbLb1EEEEDaSW_SX_EUlSW_E_NS1_11comp_targetILNS1_3genE10ELNS1_11target_archE1200ELNS1_3gpuE4ELNS1_3repE0EEENS1_30default_config_static_selectorELNS0_4arch9wavefront6targetE0EEEvT1_,"axG",@progbits,_ZN7rocprim17ROCPRIM_400000_NS6detail17trampoline_kernelINS0_14default_configENS1_29reduce_by_key_config_selectorIddN6thrust23THRUST_200600_302600_NS4plusIdEEEEZZNS1_33reduce_by_key_impl_wrapped_configILNS1_25lookback_scan_determinismE0ES3_S9_NS6_6detail15normal_iteratorINS6_10device_ptrIdEEEESG_SG_SG_PmS8_NS6_8equal_toIdEEEE10hipError_tPvRmT2_T3_mT4_T5_T6_T7_T8_P12ihipStream_tbENKUlT_T0_E_clISt17integral_constantIbLb0EES10_IbLb1EEEEDaSW_SX_EUlSW_E_NS1_11comp_targetILNS1_3genE10ELNS1_11target_archE1200ELNS1_3gpuE4ELNS1_3repE0EEENS1_30default_config_static_selectorELNS0_4arch9wavefront6targetE0EEEvT1_,comdat
	.protected	_ZN7rocprim17ROCPRIM_400000_NS6detail17trampoline_kernelINS0_14default_configENS1_29reduce_by_key_config_selectorIddN6thrust23THRUST_200600_302600_NS4plusIdEEEEZZNS1_33reduce_by_key_impl_wrapped_configILNS1_25lookback_scan_determinismE0ES3_S9_NS6_6detail15normal_iteratorINS6_10device_ptrIdEEEESG_SG_SG_PmS8_NS6_8equal_toIdEEEE10hipError_tPvRmT2_T3_mT4_T5_T6_T7_T8_P12ihipStream_tbENKUlT_T0_E_clISt17integral_constantIbLb0EES10_IbLb1EEEEDaSW_SX_EUlSW_E_NS1_11comp_targetILNS1_3genE10ELNS1_11target_archE1200ELNS1_3gpuE4ELNS1_3repE0EEENS1_30default_config_static_selectorELNS0_4arch9wavefront6targetE0EEEvT1_ ; -- Begin function _ZN7rocprim17ROCPRIM_400000_NS6detail17trampoline_kernelINS0_14default_configENS1_29reduce_by_key_config_selectorIddN6thrust23THRUST_200600_302600_NS4plusIdEEEEZZNS1_33reduce_by_key_impl_wrapped_configILNS1_25lookback_scan_determinismE0ES3_S9_NS6_6detail15normal_iteratorINS6_10device_ptrIdEEEESG_SG_SG_PmS8_NS6_8equal_toIdEEEE10hipError_tPvRmT2_T3_mT4_T5_T6_T7_T8_P12ihipStream_tbENKUlT_T0_E_clISt17integral_constantIbLb0EES10_IbLb1EEEEDaSW_SX_EUlSW_E_NS1_11comp_targetILNS1_3genE10ELNS1_11target_archE1200ELNS1_3gpuE4ELNS1_3repE0EEENS1_30default_config_static_selectorELNS0_4arch9wavefront6targetE0EEEvT1_
	.globl	_ZN7rocprim17ROCPRIM_400000_NS6detail17trampoline_kernelINS0_14default_configENS1_29reduce_by_key_config_selectorIddN6thrust23THRUST_200600_302600_NS4plusIdEEEEZZNS1_33reduce_by_key_impl_wrapped_configILNS1_25lookback_scan_determinismE0ES3_S9_NS6_6detail15normal_iteratorINS6_10device_ptrIdEEEESG_SG_SG_PmS8_NS6_8equal_toIdEEEE10hipError_tPvRmT2_T3_mT4_T5_T6_T7_T8_P12ihipStream_tbENKUlT_T0_E_clISt17integral_constantIbLb0EES10_IbLb1EEEEDaSW_SX_EUlSW_E_NS1_11comp_targetILNS1_3genE10ELNS1_11target_archE1200ELNS1_3gpuE4ELNS1_3repE0EEENS1_30default_config_static_selectorELNS0_4arch9wavefront6targetE0EEEvT1_
	.p2align	8
	.type	_ZN7rocprim17ROCPRIM_400000_NS6detail17trampoline_kernelINS0_14default_configENS1_29reduce_by_key_config_selectorIddN6thrust23THRUST_200600_302600_NS4plusIdEEEEZZNS1_33reduce_by_key_impl_wrapped_configILNS1_25lookback_scan_determinismE0ES3_S9_NS6_6detail15normal_iteratorINS6_10device_ptrIdEEEESG_SG_SG_PmS8_NS6_8equal_toIdEEEE10hipError_tPvRmT2_T3_mT4_T5_T6_T7_T8_P12ihipStream_tbENKUlT_T0_E_clISt17integral_constantIbLb0EES10_IbLb1EEEEDaSW_SX_EUlSW_E_NS1_11comp_targetILNS1_3genE10ELNS1_11target_archE1200ELNS1_3gpuE4ELNS1_3repE0EEENS1_30default_config_static_selectorELNS0_4arch9wavefront6targetE0EEEvT1_,@function
_ZN7rocprim17ROCPRIM_400000_NS6detail17trampoline_kernelINS0_14default_configENS1_29reduce_by_key_config_selectorIddN6thrust23THRUST_200600_302600_NS4plusIdEEEEZZNS1_33reduce_by_key_impl_wrapped_configILNS1_25lookback_scan_determinismE0ES3_S9_NS6_6detail15normal_iteratorINS6_10device_ptrIdEEEESG_SG_SG_PmS8_NS6_8equal_toIdEEEE10hipError_tPvRmT2_T3_mT4_T5_T6_T7_T8_P12ihipStream_tbENKUlT_T0_E_clISt17integral_constantIbLb0EES10_IbLb1EEEEDaSW_SX_EUlSW_E_NS1_11comp_targetILNS1_3genE10ELNS1_11target_archE1200ELNS1_3gpuE4ELNS1_3repE0EEENS1_30default_config_static_selectorELNS0_4arch9wavefront6targetE0EEEvT1_: ; @_ZN7rocprim17ROCPRIM_400000_NS6detail17trampoline_kernelINS0_14default_configENS1_29reduce_by_key_config_selectorIddN6thrust23THRUST_200600_302600_NS4plusIdEEEEZZNS1_33reduce_by_key_impl_wrapped_configILNS1_25lookback_scan_determinismE0ES3_S9_NS6_6detail15normal_iteratorINS6_10device_ptrIdEEEESG_SG_SG_PmS8_NS6_8equal_toIdEEEE10hipError_tPvRmT2_T3_mT4_T5_T6_T7_T8_P12ihipStream_tbENKUlT_T0_E_clISt17integral_constantIbLb0EES10_IbLb1EEEEDaSW_SX_EUlSW_E_NS1_11comp_targetILNS1_3genE10ELNS1_11target_archE1200ELNS1_3gpuE4ELNS1_3repE0EEENS1_30default_config_static_selectorELNS0_4arch9wavefront6targetE0EEEvT1_
; %bb.0:
	.section	.rodata,"a",@progbits
	.p2align	6, 0x0
	.amdhsa_kernel _ZN7rocprim17ROCPRIM_400000_NS6detail17trampoline_kernelINS0_14default_configENS1_29reduce_by_key_config_selectorIddN6thrust23THRUST_200600_302600_NS4plusIdEEEEZZNS1_33reduce_by_key_impl_wrapped_configILNS1_25lookback_scan_determinismE0ES3_S9_NS6_6detail15normal_iteratorINS6_10device_ptrIdEEEESG_SG_SG_PmS8_NS6_8equal_toIdEEEE10hipError_tPvRmT2_T3_mT4_T5_T6_T7_T8_P12ihipStream_tbENKUlT_T0_E_clISt17integral_constantIbLb0EES10_IbLb1EEEEDaSW_SX_EUlSW_E_NS1_11comp_targetILNS1_3genE10ELNS1_11target_archE1200ELNS1_3gpuE4ELNS1_3repE0EEENS1_30default_config_static_selectorELNS0_4arch9wavefront6targetE0EEEvT1_
		.amdhsa_group_segment_fixed_size 0
		.amdhsa_private_segment_fixed_size 0
		.amdhsa_kernarg_size 136
		.amdhsa_user_sgpr_count 15
		.amdhsa_user_sgpr_dispatch_ptr 0
		.amdhsa_user_sgpr_queue_ptr 0
		.amdhsa_user_sgpr_kernarg_segment_ptr 1
		.amdhsa_user_sgpr_dispatch_id 0
		.amdhsa_user_sgpr_private_segment_size 0
		.amdhsa_wavefront_size32 1
		.amdhsa_uses_dynamic_stack 0
		.amdhsa_enable_private_segment 0
		.amdhsa_system_sgpr_workgroup_id_x 1
		.amdhsa_system_sgpr_workgroup_id_y 0
		.amdhsa_system_sgpr_workgroup_id_z 0
		.amdhsa_system_sgpr_workgroup_info 0
		.amdhsa_system_vgpr_workitem_id 0
		.amdhsa_next_free_vgpr 1
		.amdhsa_next_free_sgpr 1
		.amdhsa_reserve_vcc 0
		.amdhsa_float_round_mode_32 0
		.amdhsa_float_round_mode_16_64 0
		.amdhsa_float_denorm_mode_32 3
		.amdhsa_float_denorm_mode_16_64 3
		.amdhsa_dx10_clamp 1
		.amdhsa_ieee_mode 1
		.amdhsa_fp16_overflow 0
		.amdhsa_workgroup_processor_mode 1
		.amdhsa_memory_ordered 1
		.amdhsa_forward_progress 0
		.amdhsa_shared_vgpr_count 0
		.amdhsa_exception_fp_ieee_invalid_op 0
		.amdhsa_exception_fp_denorm_src 0
		.amdhsa_exception_fp_ieee_div_zero 0
		.amdhsa_exception_fp_ieee_overflow 0
		.amdhsa_exception_fp_ieee_underflow 0
		.amdhsa_exception_fp_ieee_inexact 0
		.amdhsa_exception_int_div_zero 0
	.end_amdhsa_kernel
	.section	.text._ZN7rocprim17ROCPRIM_400000_NS6detail17trampoline_kernelINS0_14default_configENS1_29reduce_by_key_config_selectorIddN6thrust23THRUST_200600_302600_NS4plusIdEEEEZZNS1_33reduce_by_key_impl_wrapped_configILNS1_25lookback_scan_determinismE0ES3_S9_NS6_6detail15normal_iteratorINS6_10device_ptrIdEEEESG_SG_SG_PmS8_NS6_8equal_toIdEEEE10hipError_tPvRmT2_T3_mT4_T5_T6_T7_T8_P12ihipStream_tbENKUlT_T0_E_clISt17integral_constantIbLb0EES10_IbLb1EEEEDaSW_SX_EUlSW_E_NS1_11comp_targetILNS1_3genE10ELNS1_11target_archE1200ELNS1_3gpuE4ELNS1_3repE0EEENS1_30default_config_static_selectorELNS0_4arch9wavefront6targetE0EEEvT1_,"axG",@progbits,_ZN7rocprim17ROCPRIM_400000_NS6detail17trampoline_kernelINS0_14default_configENS1_29reduce_by_key_config_selectorIddN6thrust23THRUST_200600_302600_NS4plusIdEEEEZZNS1_33reduce_by_key_impl_wrapped_configILNS1_25lookback_scan_determinismE0ES3_S9_NS6_6detail15normal_iteratorINS6_10device_ptrIdEEEESG_SG_SG_PmS8_NS6_8equal_toIdEEEE10hipError_tPvRmT2_T3_mT4_T5_T6_T7_T8_P12ihipStream_tbENKUlT_T0_E_clISt17integral_constantIbLb0EES10_IbLb1EEEEDaSW_SX_EUlSW_E_NS1_11comp_targetILNS1_3genE10ELNS1_11target_archE1200ELNS1_3gpuE4ELNS1_3repE0EEENS1_30default_config_static_selectorELNS0_4arch9wavefront6targetE0EEEvT1_,comdat
.Lfunc_end48:
	.size	_ZN7rocprim17ROCPRIM_400000_NS6detail17trampoline_kernelINS0_14default_configENS1_29reduce_by_key_config_selectorIddN6thrust23THRUST_200600_302600_NS4plusIdEEEEZZNS1_33reduce_by_key_impl_wrapped_configILNS1_25lookback_scan_determinismE0ES3_S9_NS6_6detail15normal_iteratorINS6_10device_ptrIdEEEESG_SG_SG_PmS8_NS6_8equal_toIdEEEE10hipError_tPvRmT2_T3_mT4_T5_T6_T7_T8_P12ihipStream_tbENKUlT_T0_E_clISt17integral_constantIbLb0EES10_IbLb1EEEEDaSW_SX_EUlSW_E_NS1_11comp_targetILNS1_3genE10ELNS1_11target_archE1200ELNS1_3gpuE4ELNS1_3repE0EEENS1_30default_config_static_selectorELNS0_4arch9wavefront6targetE0EEEvT1_, .Lfunc_end48-_ZN7rocprim17ROCPRIM_400000_NS6detail17trampoline_kernelINS0_14default_configENS1_29reduce_by_key_config_selectorIddN6thrust23THRUST_200600_302600_NS4plusIdEEEEZZNS1_33reduce_by_key_impl_wrapped_configILNS1_25lookback_scan_determinismE0ES3_S9_NS6_6detail15normal_iteratorINS6_10device_ptrIdEEEESG_SG_SG_PmS8_NS6_8equal_toIdEEEE10hipError_tPvRmT2_T3_mT4_T5_T6_T7_T8_P12ihipStream_tbENKUlT_T0_E_clISt17integral_constantIbLb0EES10_IbLb1EEEEDaSW_SX_EUlSW_E_NS1_11comp_targetILNS1_3genE10ELNS1_11target_archE1200ELNS1_3gpuE4ELNS1_3repE0EEENS1_30default_config_static_selectorELNS0_4arch9wavefront6targetE0EEEvT1_
                                        ; -- End function
	.section	.AMDGPU.csdata,"",@progbits
; Kernel info:
; codeLenInByte = 0
; NumSgprs: 0
; NumVgprs: 0
; ScratchSize: 0
; MemoryBound: 0
; FloatMode: 240
; IeeeMode: 1
; LDSByteSize: 0 bytes/workgroup (compile time only)
; SGPRBlocks: 0
; VGPRBlocks: 0
; NumSGPRsForWavesPerEU: 1
; NumVGPRsForWavesPerEU: 1
; Occupancy: 16
; WaveLimiterHint : 0
; COMPUTE_PGM_RSRC2:SCRATCH_EN: 0
; COMPUTE_PGM_RSRC2:USER_SGPR: 15
; COMPUTE_PGM_RSRC2:TRAP_HANDLER: 0
; COMPUTE_PGM_RSRC2:TGID_X_EN: 1
; COMPUTE_PGM_RSRC2:TGID_Y_EN: 0
; COMPUTE_PGM_RSRC2:TGID_Z_EN: 0
; COMPUTE_PGM_RSRC2:TIDIG_COMP_CNT: 0
	.section	.text._ZN7rocprim17ROCPRIM_400000_NS6detail17trampoline_kernelINS0_14default_configENS1_29reduce_by_key_config_selectorIddN6thrust23THRUST_200600_302600_NS4plusIdEEEEZZNS1_33reduce_by_key_impl_wrapped_configILNS1_25lookback_scan_determinismE0ES3_S9_NS6_6detail15normal_iteratorINS6_10device_ptrIdEEEESG_SG_SG_PmS8_NS6_8equal_toIdEEEE10hipError_tPvRmT2_T3_mT4_T5_T6_T7_T8_P12ihipStream_tbENKUlT_T0_E_clISt17integral_constantIbLb0EES10_IbLb1EEEEDaSW_SX_EUlSW_E_NS1_11comp_targetILNS1_3genE9ELNS1_11target_archE1100ELNS1_3gpuE3ELNS1_3repE0EEENS1_30default_config_static_selectorELNS0_4arch9wavefront6targetE0EEEvT1_,"axG",@progbits,_ZN7rocprim17ROCPRIM_400000_NS6detail17trampoline_kernelINS0_14default_configENS1_29reduce_by_key_config_selectorIddN6thrust23THRUST_200600_302600_NS4plusIdEEEEZZNS1_33reduce_by_key_impl_wrapped_configILNS1_25lookback_scan_determinismE0ES3_S9_NS6_6detail15normal_iteratorINS6_10device_ptrIdEEEESG_SG_SG_PmS8_NS6_8equal_toIdEEEE10hipError_tPvRmT2_T3_mT4_T5_T6_T7_T8_P12ihipStream_tbENKUlT_T0_E_clISt17integral_constantIbLb0EES10_IbLb1EEEEDaSW_SX_EUlSW_E_NS1_11comp_targetILNS1_3genE9ELNS1_11target_archE1100ELNS1_3gpuE3ELNS1_3repE0EEENS1_30default_config_static_selectorELNS0_4arch9wavefront6targetE0EEEvT1_,comdat
	.protected	_ZN7rocprim17ROCPRIM_400000_NS6detail17trampoline_kernelINS0_14default_configENS1_29reduce_by_key_config_selectorIddN6thrust23THRUST_200600_302600_NS4plusIdEEEEZZNS1_33reduce_by_key_impl_wrapped_configILNS1_25lookback_scan_determinismE0ES3_S9_NS6_6detail15normal_iteratorINS6_10device_ptrIdEEEESG_SG_SG_PmS8_NS6_8equal_toIdEEEE10hipError_tPvRmT2_T3_mT4_T5_T6_T7_T8_P12ihipStream_tbENKUlT_T0_E_clISt17integral_constantIbLb0EES10_IbLb1EEEEDaSW_SX_EUlSW_E_NS1_11comp_targetILNS1_3genE9ELNS1_11target_archE1100ELNS1_3gpuE3ELNS1_3repE0EEENS1_30default_config_static_selectorELNS0_4arch9wavefront6targetE0EEEvT1_ ; -- Begin function _ZN7rocprim17ROCPRIM_400000_NS6detail17trampoline_kernelINS0_14default_configENS1_29reduce_by_key_config_selectorIddN6thrust23THRUST_200600_302600_NS4plusIdEEEEZZNS1_33reduce_by_key_impl_wrapped_configILNS1_25lookback_scan_determinismE0ES3_S9_NS6_6detail15normal_iteratorINS6_10device_ptrIdEEEESG_SG_SG_PmS8_NS6_8equal_toIdEEEE10hipError_tPvRmT2_T3_mT4_T5_T6_T7_T8_P12ihipStream_tbENKUlT_T0_E_clISt17integral_constantIbLb0EES10_IbLb1EEEEDaSW_SX_EUlSW_E_NS1_11comp_targetILNS1_3genE9ELNS1_11target_archE1100ELNS1_3gpuE3ELNS1_3repE0EEENS1_30default_config_static_selectorELNS0_4arch9wavefront6targetE0EEEvT1_
	.globl	_ZN7rocprim17ROCPRIM_400000_NS6detail17trampoline_kernelINS0_14default_configENS1_29reduce_by_key_config_selectorIddN6thrust23THRUST_200600_302600_NS4plusIdEEEEZZNS1_33reduce_by_key_impl_wrapped_configILNS1_25lookback_scan_determinismE0ES3_S9_NS6_6detail15normal_iteratorINS6_10device_ptrIdEEEESG_SG_SG_PmS8_NS6_8equal_toIdEEEE10hipError_tPvRmT2_T3_mT4_T5_T6_T7_T8_P12ihipStream_tbENKUlT_T0_E_clISt17integral_constantIbLb0EES10_IbLb1EEEEDaSW_SX_EUlSW_E_NS1_11comp_targetILNS1_3genE9ELNS1_11target_archE1100ELNS1_3gpuE3ELNS1_3repE0EEENS1_30default_config_static_selectorELNS0_4arch9wavefront6targetE0EEEvT1_
	.p2align	8
	.type	_ZN7rocprim17ROCPRIM_400000_NS6detail17trampoline_kernelINS0_14default_configENS1_29reduce_by_key_config_selectorIddN6thrust23THRUST_200600_302600_NS4plusIdEEEEZZNS1_33reduce_by_key_impl_wrapped_configILNS1_25lookback_scan_determinismE0ES3_S9_NS6_6detail15normal_iteratorINS6_10device_ptrIdEEEESG_SG_SG_PmS8_NS6_8equal_toIdEEEE10hipError_tPvRmT2_T3_mT4_T5_T6_T7_T8_P12ihipStream_tbENKUlT_T0_E_clISt17integral_constantIbLb0EES10_IbLb1EEEEDaSW_SX_EUlSW_E_NS1_11comp_targetILNS1_3genE9ELNS1_11target_archE1100ELNS1_3gpuE3ELNS1_3repE0EEENS1_30default_config_static_selectorELNS0_4arch9wavefront6targetE0EEEvT1_,@function
_ZN7rocprim17ROCPRIM_400000_NS6detail17trampoline_kernelINS0_14default_configENS1_29reduce_by_key_config_selectorIddN6thrust23THRUST_200600_302600_NS4plusIdEEEEZZNS1_33reduce_by_key_impl_wrapped_configILNS1_25lookback_scan_determinismE0ES3_S9_NS6_6detail15normal_iteratorINS6_10device_ptrIdEEEESG_SG_SG_PmS8_NS6_8equal_toIdEEEE10hipError_tPvRmT2_T3_mT4_T5_T6_T7_T8_P12ihipStream_tbENKUlT_T0_E_clISt17integral_constantIbLb0EES10_IbLb1EEEEDaSW_SX_EUlSW_E_NS1_11comp_targetILNS1_3genE9ELNS1_11target_archE1100ELNS1_3gpuE3ELNS1_3repE0EEENS1_30default_config_static_selectorELNS0_4arch9wavefront6targetE0EEEvT1_: ; @_ZN7rocprim17ROCPRIM_400000_NS6detail17trampoline_kernelINS0_14default_configENS1_29reduce_by_key_config_selectorIddN6thrust23THRUST_200600_302600_NS4plusIdEEEEZZNS1_33reduce_by_key_impl_wrapped_configILNS1_25lookback_scan_determinismE0ES3_S9_NS6_6detail15normal_iteratorINS6_10device_ptrIdEEEESG_SG_SG_PmS8_NS6_8equal_toIdEEEE10hipError_tPvRmT2_T3_mT4_T5_T6_T7_T8_P12ihipStream_tbENKUlT_T0_E_clISt17integral_constantIbLb0EES10_IbLb1EEEEDaSW_SX_EUlSW_E_NS1_11comp_targetILNS1_3genE9ELNS1_11target_archE1100ELNS1_3gpuE3ELNS1_3repE0EEENS1_30default_config_static_selectorELNS0_4arch9wavefront6targetE0EEEvT1_
; %bb.0:
	s_clause 0x2
	s_load_b256 s[16:23], s[0:1], 0x0
	s_load_b128 s[24:27], s[0:1], 0x20
	s_load_b64 s[28:29], s[0:1], 0x78
	v_cmp_ne_u32_e64 s3, 0, v0
	v_cmp_eq_u32_e64 s2, 0, v0
	s_delay_alu instid0(VALU_DEP_1)
	s_and_saveexec_b32 s4, s2
	s_cbranch_execz .LBB49_4
; %bb.1:
	s_mov_b32 s6, exec_lo
	s_mov_b32 s5, exec_lo
	v_mbcnt_lo_u32_b32 v1, s6, 0
                                        ; implicit-def: $vgpr2
	s_delay_alu instid0(VALU_DEP_1)
	v_cmpx_eq_u32_e32 0, v1
	s_cbranch_execz .LBB49_3
; %bb.2:
	s_load_b64 s[8:9], s[0:1], 0x80
	s_bcnt1_i32_b32 s6, s6
	s_delay_alu instid0(SALU_CYCLE_1)
	v_dual_mov_b32 v2, 0 :: v_dual_mov_b32 v3, s6
	s_waitcnt lgkmcnt(0)
	global_atomic_add_u32 v2, v2, v3, s[8:9] glc
.LBB49_3:
	s_or_b32 exec_lo, exec_lo, s5
	s_waitcnt vmcnt(0)
	v_readfirstlane_b32 s5, v2
	s_delay_alu instid0(VALU_DEP_1)
	v_dual_mov_b32 v2, 0 :: v_dual_add_nc_u32 v1, s5, v1
	ds_store_b32 v2, v1
.LBB49_4:
	s_or_b32 exec_lo, exec_lo, s4
	v_mov_b32_e32 v2, 0
	s_load_b512 s[36:51], s[0:1], 0x38
	s_waitcnt lgkmcnt(0)
	s_barrier
	buffer_gl0_inv
	ds_load_b32 v1, v2
	s_lshl_b64 s[4:5], s[18:19], 3
	s_mov_b32 s0, 0
	s_add_u32 s9, s16, s4
	s_addc_u32 s10, s17, s5
	s_add_u32 s11, s20, s4
	s_addc_u32 s12, s21, s5
	s_waitcnt lgkmcnt(0)
	s_barrier
	buffer_gl0_inv
	s_mul_i32 s1, s44, s43
	s_mul_hi_u32 s6, s44, s42
	s_mul_i32 s8, s44, s42
	s_mul_i32 s7, s45, s42
	v_readfirstlane_b32 s44, v1
	v_mul_lo_u32 v1, 0xf00, v1
	s_add_i32 s1, s6, s1
	s_delay_alu instid0(SALU_CYCLE_1) | instskip(NEXT) | instid1(VALU_DEP_2)
	s_add_i32 s1, s1, s7
	s_add_u32 s18, s8, s44
	s_addc_u32 s19, s1, 0
	s_add_u32 s4, s46, -1
	s_addc_u32 s5, s47, -1
	s_delay_alu instid0(VALU_DEP_1) | instskip(SKIP_4) | instid1(VALU_DEP_1)
	v_lshlrev_b64 v[1:2], 3, v[1:2]
	s_cmp_eq_u64 s[18:19], s[4:5]
	s_mul_i32 s34, s4, 0xfffff100
	s_cselect_b32 s33, -1, 0
	s_cmp_lg_u64 s[18:19], s[4:5]
	v_add_co_u32 v66, vcc_lo, s9, v1
	v_add_co_ci_u32_e32 v64, vcc_lo, s10, v2, vcc_lo
	v_add_co_u32 v61, vcc_lo, s11, v1
	v_add_co_ci_u32_e32 v62, vcc_lo, s12, v2, vcc_lo
	s_cselect_b32 s17, -1, 0
	s_and_b32 vcc_lo, exec_lo, s33
	s_cbranch_vccnz .LBB49_6
; %bb.5:
	v_lshlrev_b32_e32 v65, 3, v0
	s_delay_alu instid0(VALU_DEP_1) | instskip(SKIP_2) | instid1(VALU_DEP_3)
	v_add_co_u32 v1, vcc_lo, v66, v65
	v_add_co_ci_u32_e32 v2, vcc_lo, 0, v64, vcc_lo
	v_mad_u32_u24 v63, 0x70, v0, v65
	v_add_co_u32 v3, vcc_lo, 0x1000, v1
	s_delay_alu instid0(VALU_DEP_3)
	v_add_co_ci_u32_e32 v4, vcc_lo, 0, v2, vcc_lo
	v_add_co_u32 v5, vcc_lo, 0x2000, v1
	v_add_co_ci_u32_e32 v6, vcc_lo, 0, v2, vcc_lo
	v_add_co_u32 v7, vcc_lo, 0x3000, v1
	;; [unrolled: 2-line block ×5, first 2 shown]
	v_add_co_ci_u32_e32 v24, vcc_lo, 0, v2, vcc_lo
	s_clause 0x7
	flat_load_b64 v[9:10], v[1:2]
	flat_load_b64 v[11:12], v[1:2] offset:2048
	flat_load_b64 v[13:14], v[3:4]
	flat_load_b64 v[3:4], v[3:4] offset:2048
	flat_load_b64 v[15:16], v[5:6]
	flat_load_b64 v[5:6], v[5:6] offset:2048
	flat_load_b64 v[17:18], v[7:8]
	flat_load_b64 v[7:8], v[7:8] offset:2048
	v_add_co_u32 v1, vcc_lo, 0x7000, v1
	v_add_co_ci_u32_e32 v2, vcc_lo, 0, v2, vcc_lo
	s_clause 0x6
	flat_load_b64 v[25:26], v[19:20]
	flat_load_b64 v[19:20], v[19:20] offset:2048
	flat_load_b64 v[27:28], v[21:22]
	flat_load_b64 v[21:22], v[21:22] offset:2048
	;; [unrolled: 2-line block ×3, first 2 shown]
	flat_load_b64 v[1:2], v[1:2]
	v_add_co_u32 v31, vcc_lo, v61, v65
	v_add_co_ci_u32_e32 v32, vcc_lo, 0, v62, vcc_lo
	s_waitcnt vmcnt(13) lgkmcnt(13)
	ds_store_2addr_stride64_b64 v65, v[9:10], v[11:12] offset1:4
	s_waitcnt vmcnt(11) lgkmcnt(12)
	ds_store_2addr_stride64_b64 v65, v[13:14], v[3:4] offset0:8 offset1:12
	s_waitcnt vmcnt(9) lgkmcnt(11)
	ds_store_2addr_stride64_b64 v65, v[15:16], v[5:6] offset0:16 offset1:20
	;; [unrolled: 2-line block ×6, first 2 shown]
	s_waitcnt vmcnt(0) lgkmcnt(7)
	ds_store_b64 v65, v[1:2] offset:28672
	v_add_co_u32 v33, vcc_lo, 0x1000, v31
	v_add_co_ci_u32_e32 v34, vcc_lo, 0, v32, vcc_lo
	v_add_co_u32 v35, vcc_lo, 0x2000, v31
	v_add_co_ci_u32_e32 v36, vcc_lo, 0, v32, vcc_lo
	;; [unrolled: 2-line block ×7, first 2 shown]
	s_waitcnt lgkmcnt(0)
	s_barrier
	buffer_gl0_inv
	ds_load_2addr_b64 v[25:28], v63 offset1:1
	ds_load_2addr_b64 v[21:24], v63 offset0:2 offset1:3
	ds_load_2addr_b64 v[17:20], v63 offset0:4 offset1:5
	;; [unrolled: 1-line block ×6, first 2 shown]
	ds_load_b64 v[57:58], v63 offset:112
	s_waitcnt lgkmcnt(0)
	s_barrier
	buffer_gl0_inv
	s_clause 0xe
	flat_load_b64 v[29:30], v[31:32]
	flat_load_b64 v[31:32], v[31:32] offset:2048
	flat_load_b64 v[47:48], v[33:34]
	flat_load_b64 v[33:34], v[33:34] offset:2048
	;; [unrolled: 2-line block ×7, first 2 shown]
	flat_load_b64 v[45:46], v[45:46]
	s_waitcnt vmcnt(13) lgkmcnt(13)
	ds_store_2addr_stride64_b64 v65, v[29:30], v[31:32] offset1:4
	s_waitcnt vmcnt(11) lgkmcnt(12)
	ds_store_2addr_stride64_b64 v65, v[47:48], v[33:34] offset0:8 offset1:12
	s_waitcnt vmcnt(9) lgkmcnt(11)
	ds_store_2addr_stride64_b64 v65, v[49:50], v[35:36] offset0:16 offset1:20
	;; [unrolled: 2-line block ×6, first 2 shown]
	s_waitcnt vmcnt(0) lgkmcnt(7)
	ds_store_b64 v65, v[45:46] offset:28672
	s_waitcnt lgkmcnt(0)
	s_barrier
	s_and_not1_b32 vcc_lo, exec_lo, s0
	s_add_i32 s34, s34, s48
	s_cbranch_vccz .LBB49_7
	s_branch .LBB49_54
.LBB49_6:
                                        ; implicit-def: $vgpr63
                                        ; implicit-def: $vgpr25_vgpr26
                                        ; implicit-def: $vgpr21_vgpr22
                                        ; implicit-def: $vgpr17_vgpr18
                                        ; implicit-def: $vgpr13_vgpr14
                                        ; implicit-def: $vgpr9_vgpr10
                                        ; implicit-def: $vgpr5_vgpr6
                                        ; implicit-def: $vgpr1_vgpr2
                                        ; implicit-def: $vgpr57_vgpr58
	s_add_i32 s34, s34, s48
.LBB49_7:
	s_delay_alu instid0(SALU_CYCLE_1)
	v_cmp_gt_u32_e32 vcc_lo, s34, v0
                                        ; implicit-def: $vgpr1_vgpr2
	s_and_saveexec_b32 s1, vcc_lo
	s_cbranch_execz .LBB49_9
; %bb.8:
	v_lshlrev_b32_e32 v1, 3, v0
	s_delay_alu instid0(VALU_DEP_1) | instskip(NEXT) | instid1(VALU_DEP_1)
	v_add_co_u32 v1, s0, v66, v1
	v_add_co_ci_u32_e64 v2, s0, 0, v64, s0
	flat_load_b64 v[1:2], v[1:2]
.LBB49_9:
	s_or_b32 exec_lo, exec_lo, s1
	v_or_b32_e32 v3, 0x100, v0
	s_delay_alu instid0(VALU_DEP_1) | instskip(NEXT) | instid1(VALU_DEP_1)
	v_cmp_gt_u32_e64 s0, s34, v3
                                        ; implicit-def: $vgpr3_vgpr4
	s_and_saveexec_b32 s4, s0
	s_cbranch_execz .LBB49_11
; %bb.10:
	v_lshlrev_b32_e32 v3, 3, v0
	s_delay_alu instid0(VALU_DEP_1) | instskip(NEXT) | instid1(VALU_DEP_1)
	v_add_co_u32 v3, s1, v66, v3
	v_add_co_ci_u32_e64 v4, s1, 0, v64, s1
	flat_load_b64 v[3:4], v[3:4] offset:2048
.LBB49_11:
	s_or_b32 exec_lo, exec_lo, s4
	v_or_b32_e32 v5, 0x200, v0
	s_delay_alu instid0(VALU_DEP_1) | instskip(SKIP_1) | instid1(VALU_DEP_2)
	v_cmp_gt_u32_e64 s1, s34, v5
	v_lshlrev_b32_e32 v35, 3, v5
                                        ; implicit-def: $vgpr5_vgpr6
	s_and_saveexec_b32 s5, s1
	s_cbranch_execz .LBB49_13
; %bb.12:
	s_delay_alu instid0(VALU_DEP_1) | instskip(NEXT) | instid1(VALU_DEP_1)
	v_add_co_u32 v5, s4, v66, v35
	v_add_co_ci_u32_e64 v6, s4, 0, v64, s4
	flat_load_b64 v[5:6], v[5:6]
.LBB49_13:
	s_or_b32 exec_lo, exec_lo, s5
	v_or_b32_e32 v7, 0x300, v0
	s_delay_alu instid0(VALU_DEP_1) | instskip(SKIP_1) | instid1(VALU_DEP_2)
	v_cmp_gt_u32_e64 s4, s34, v7
	v_lshlrev_b32_e32 v37, 3, v7
                                        ; implicit-def: $vgpr7_vgpr8
	s_and_saveexec_b32 s6, s4
	s_cbranch_execz .LBB49_15
; %bb.14:
	s_delay_alu instid0(VALU_DEP_1) | instskip(NEXT) | instid1(VALU_DEP_1)
	v_add_co_u32 v7, s5, v66, v37
	v_add_co_ci_u32_e64 v8, s5, 0, v64, s5
	flat_load_b64 v[7:8], v[7:8]
.LBB49_15:
	s_or_b32 exec_lo, exec_lo, s6
	v_or_b32_e32 v9, 0x400, v0
	s_delay_alu instid0(VALU_DEP_1) | instskip(SKIP_1) | instid1(VALU_DEP_2)
	v_cmp_gt_u32_e64 s5, s34, v9
	v_lshlrev_b32_e32 v39, 3, v9
                                        ; implicit-def: $vgpr9_vgpr10
	s_and_saveexec_b32 s7, s5
	s_cbranch_execz .LBB49_17
; %bb.16:
	s_delay_alu instid0(VALU_DEP_1) | instskip(NEXT) | instid1(VALU_DEP_1)
	v_add_co_u32 v9, s6, v66, v39
	v_add_co_ci_u32_e64 v10, s6, 0, v64, s6
	flat_load_b64 v[9:10], v[9:10]
.LBB49_17:
	s_or_b32 exec_lo, exec_lo, s7
	v_or_b32_e32 v11, 0x500, v0
	s_delay_alu instid0(VALU_DEP_1) | instskip(SKIP_1) | instid1(VALU_DEP_2)
	v_cmp_gt_u32_e64 s6, s34, v11
	v_lshlrev_b32_e32 v41, 3, v11
                                        ; implicit-def: $vgpr11_vgpr12
	s_and_saveexec_b32 s8, s6
	s_cbranch_execz .LBB49_19
; %bb.18:
	s_delay_alu instid0(VALU_DEP_1) | instskip(NEXT) | instid1(VALU_DEP_1)
	v_add_co_u32 v11, s7, v66, v41
	v_add_co_ci_u32_e64 v12, s7, 0, v64, s7
	flat_load_b64 v[11:12], v[11:12]
.LBB49_19:
	s_or_b32 exec_lo, exec_lo, s8
	v_or_b32_e32 v13, 0x600, v0
	s_delay_alu instid0(VALU_DEP_1) | instskip(SKIP_1) | instid1(VALU_DEP_2)
	v_cmp_gt_u32_e64 s7, s34, v13
	v_lshlrev_b32_e32 v43, 3, v13
                                        ; implicit-def: $vgpr13_vgpr14
	s_and_saveexec_b32 s9, s7
	s_cbranch_execz .LBB49_21
; %bb.20:
	s_delay_alu instid0(VALU_DEP_1) | instskip(NEXT) | instid1(VALU_DEP_1)
	v_add_co_u32 v13, s8, v66, v43
	v_add_co_ci_u32_e64 v14, s8, 0, v64, s8
	flat_load_b64 v[13:14], v[13:14]
.LBB49_21:
	s_or_b32 exec_lo, exec_lo, s9
	v_or_b32_e32 v15, 0x700, v0
	s_delay_alu instid0(VALU_DEP_1) | instskip(SKIP_1) | instid1(VALU_DEP_2)
	v_cmp_gt_u32_e64 s8, s34, v15
	v_lshlrev_b32_e32 v45, 3, v15
                                        ; implicit-def: $vgpr15_vgpr16
	s_and_saveexec_b32 s10, s8
	s_cbranch_execz .LBB49_23
; %bb.22:
	s_delay_alu instid0(VALU_DEP_1) | instskip(NEXT) | instid1(VALU_DEP_1)
	v_add_co_u32 v15, s9, v66, v45
	v_add_co_ci_u32_e64 v16, s9, 0, v64, s9
	flat_load_b64 v[15:16], v[15:16]
.LBB49_23:
	s_or_b32 exec_lo, exec_lo, s10
	v_or_b32_e32 v17, 0x800, v0
	s_delay_alu instid0(VALU_DEP_1) | instskip(SKIP_1) | instid1(VALU_DEP_2)
	v_cmp_gt_u32_e64 s9, s34, v17
	v_lshlrev_b32_e32 v47, 3, v17
                                        ; implicit-def: $vgpr17_vgpr18
	s_and_saveexec_b32 s11, s9
	s_cbranch_execz .LBB49_25
; %bb.24:
	s_delay_alu instid0(VALU_DEP_1) | instskip(NEXT) | instid1(VALU_DEP_1)
	v_add_co_u32 v17, s10, v66, v47
	v_add_co_ci_u32_e64 v18, s10, 0, v64, s10
	flat_load_b64 v[17:18], v[17:18]
.LBB49_25:
	s_or_b32 exec_lo, exec_lo, s11
	v_or_b32_e32 v19, 0x900, v0
	s_delay_alu instid0(VALU_DEP_1) | instskip(SKIP_1) | instid1(VALU_DEP_2)
	v_cmp_gt_u32_e64 s10, s34, v19
	v_lshlrev_b32_e32 v49, 3, v19
                                        ; implicit-def: $vgpr19_vgpr20
	s_and_saveexec_b32 s12, s10
	s_cbranch_execz .LBB49_27
; %bb.26:
	s_delay_alu instid0(VALU_DEP_1) | instskip(NEXT) | instid1(VALU_DEP_1)
	v_add_co_u32 v19, s11, v66, v49
	v_add_co_ci_u32_e64 v20, s11, 0, v64, s11
	flat_load_b64 v[19:20], v[19:20]
.LBB49_27:
	s_or_b32 exec_lo, exec_lo, s12
	v_or_b32_e32 v21, 0xa00, v0
	s_delay_alu instid0(VALU_DEP_1) | instskip(SKIP_1) | instid1(VALU_DEP_2)
	v_cmp_gt_u32_e64 s11, s34, v21
	v_lshlrev_b32_e32 v51, 3, v21
                                        ; implicit-def: $vgpr21_vgpr22
	s_and_saveexec_b32 s13, s11
	s_cbranch_execz .LBB49_29
; %bb.28:
	s_delay_alu instid0(VALU_DEP_1) | instskip(NEXT) | instid1(VALU_DEP_1)
	v_add_co_u32 v21, s12, v66, v51
	v_add_co_ci_u32_e64 v22, s12, 0, v64, s12
	flat_load_b64 v[21:22], v[21:22]
.LBB49_29:
	s_or_b32 exec_lo, exec_lo, s13
	v_or_b32_e32 v23, 0xb00, v0
	s_delay_alu instid0(VALU_DEP_1) | instskip(SKIP_1) | instid1(VALU_DEP_2)
	v_cmp_gt_u32_e64 s12, s34, v23
	v_lshlrev_b32_e32 v53, 3, v23
                                        ; implicit-def: $vgpr23_vgpr24
	s_and_saveexec_b32 s14, s12
	s_cbranch_execz .LBB49_31
; %bb.30:
	s_delay_alu instid0(VALU_DEP_1) | instskip(NEXT) | instid1(VALU_DEP_1)
	v_add_co_u32 v23, s13, v66, v53
	v_add_co_ci_u32_e64 v24, s13, 0, v64, s13
	flat_load_b64 v[23:24], v[23:24]
.LBB49_31:
	s_or_b32 exec_lo, exec_lo, s14
	v_or_b32_e32 v25, 0xc00, v0
	s_delay_alu instid0(VALU_DEP_1) | instskip(SKIP_1) | instid1(VALU_DEP_2)
	v_cmp_gt_u32_e64 s13, s34, v25
	v_lshlrev_b32_e32 v55, 3, v25
                                        ; implicit-def: $vgpr25_vgpr26
	s_and_saveexec_b32 s15, s13
	s_cbranch_execz .LBB49_33
; %bb.32:
	s_delay_alu instid0(VALU_DEP_1) | instskip(NEXT) | instid1(VALU_DEP_1)
	v_add_co_u32 v25, s14, v66, v55
	v_add_co_ci_u32_e64 v26, s14, 0, v64, s14
	flat_load_b64 v[25:26], v[25:26]
.LBB49_33:
	s_or_b32 exec_lo, exec_lo, s15
	v_or_b32_e32 v27, 0xd00, v0
	s_delay_alu instid0(VALU_DEP_1) | instskip(SKIP_1) | instid1(VALU_DEP_2)
	v_cmp_gt_u32_e64 s14, s34, v27
	v_lshlrev_b32_e32 v59, 3, v27
                                        ; implicit-def: $vgpr27_vgpr28
	s_and_saveexec_b32 s16, s14
	s_cbranch_execz .LBB49_35
; %bb.34:
	s_delay_alu instid0(VALU_DEP_1) | instskip(NEXT) | instid1(VALU_DEP_1)
	v_add_co_u32 v27, s15, v66, v59
	v_add_co_ci_u32_e64 v28, s15, 0, v64, s15
	flat_load_b64 v[27:28], v[27:28]
.LBB49_35:
	s_or_b32 exec_lo, exec_lo, s16
	v_or_b32_e32 v29, 0xe00, v0
	s_delay_alu instid0(VALU_DEP_1) | instskip(SKIP_1) | instid1(VALU_DEP_2)
	v_cmp_gt_u32_e64 s15, s34, v29
	v_lshlrev_b32_e32 v67, 3, v29
                                        ; implicit-def: $vgpr29_vgpr30
	s_and_saveexec_b32 s20, s15
	s_cbranch_execz .LBB49_37
; %bb.36:
	s_delay_alu instid0(VALU_DEP_1) | instskip(NEXT) | instid1(VALU_DEP_1)
	v_add_co_u32 v29, s16, v66, v67
	v_add_co_ci_u32_e64 v30, s16, 0, v64, s16
	flat_load_b64 v[29:30], v[29:30]
.LBB49_37:
	s_or_b32 exec_lo, exec_lo, s20
	v_lshlrev_b32_e32 v65, 3, v0
	s_waitcnt vmcnt(0) lgkmcnt(0)
	ds_store_2addr_stride64_b64 v65, v[1:2], v[3:4] offset1:4
	ds_store_2addr_stride64_b64 v65, v[5:6], v[7:8] offset0:8 offset1:12
	ds_store_2addr_stride64_b64 v65, v[9:10], v[11:12] offset0:16 offset1:20
	;; [unrolled: 1-line block ×6, first 2 shown]
	v_mad_u32_u24 v63, 0x70, v0, v65
	ds_store_b64 v65, v[29:30] offset:28672
	s_waitcnt lgkmcnt(0)
	s_barrier
	buffer_gl0_inv
	ds_load_2addr_b64 v[25:28], v63 offset1:1
	ds_load_2addr_b64 v[21:24], v63 offset0:2 offset1:3
	ds_load_2addr_b64 v[17:20], v63 offset0:4 offset1:5
	ds_load_2addr_b64 v[13:16], v63 offset0:6 offset1:7
	ds_load_2addr_b64 v[9:12], v63 offset0:8 offset1:9
	ds_load_2addr_b64 v[5:8], v63 offset0:10 offset1:11
	ds_load_2addr_b64 v[1:4], v63 offset0:12 offset1:13
	ds_load_b64 v[57:58], v63 offset:112
	s_waitcnt lgkmcnt(0)
	s_barrier
	buffer_gl0_inv
                                        ; implicit-def: $vgpr29_vgpr30
	s_and_saveexec_b32 s16, vcc_lo
	s_cbranch_execnz .LBB49_61
; %bb.38:
	s_or_b32 exec_lo, exec_lo, s16
                                        ; implicit-def: $vgpr31_vgpr32
	s_and_saveexec_b32 s16, s0
	s_cbranch_execnz .LBB49_62
.LBB49_39:
	s_or_b32 exec_lo, exec_lo, s16
                                        ; implicit-def: $vgpr33_vgpr34
	s_and_saveexec_b32 s0, s1
	s_cbranch_execnz .LBB49_63
.LBB49_40:
	s_or_b32 exec_lo, exec_lo, s0
                                        ; implicit-def: $vgpr35_vgpr36
	s_and_saveexec_b32 s0, s4
	s_cbranch_execnz .LBB49_64
.LBB49_41:
	s_or_b32 exec_lo, exec_lo, s0
                                        ; implicit-def: $vgpr37_vgpr38
	s_and_saveexec_b32 s0, s5
	s_cbranch_execnz .LBB49_65
.LBB49_42:
	s_or_b32 exec_lo, exec_lo, s0
                                        ; implicit-def: $vgpr39_vgpr40
	s_and_saveexec_b32 s0, s6
	s_cbranch_execnz .LBB49_66
.LBB49_43:
	s_or_b32 exec_lo, exec_lo, s0
                                        ; implicit-def: $vgpr41_vgpr42
	s_and_saveexec_b32 s0, s7
	s_cbranch_execnz .LBB49_67
.LBB49_44:
	s_or_b32 exec_lo, exec_lo, s0
                                        ; implicit-def: $vgpr43_vgpr44
	s_and_saveexec_b32 s0, s8
	s_cbranch_execnz .LBB49_68
.LBB49_45:
	s_or_b32 exec_lo, exec_lo, s0
                                        ; implicit-def: $vgpr45_vgpr46
	s_and_saveexec_b32 s0, s9
	s_cbranch_execnz .LBB49_69
.LBB49_46:
	s_or_b32 exec_lo, exec_lo, s0
                                        ; implicit-def: $vgpr47_vgpr48
	s_and_saveexec_b32 s0, s10
	s_cbranch_execnz .LBB49_70
.LBB49_47:
	s_or_b32 exec_lo, exec_lo, s0
                                        ; implicit-def: $vgpr49_vgpr50
	s_and_saveexec_b32 s0, s11
	s_cbranch_execnz .LBB49_71
.LBB49_48:
	s_or_b32 exec_lo, exec_lo, s0
                                        ; implicit-def: $vgpr51_vgpr52
	s_and_saveexec_b32 s0, s12
	s_cbranch_execnz .LBB49_72
.LBB49_49:
	s_or_b32 exec_lo, exec_lo, s0
                                        ; implicit-def: $vgpr53_vgpr54
	s_and_saveexec_b32 s0, s13
	s_cbranch_execnz .LBB49_73
.LBB49_50:
	s_or_b32 exec_lo, exec_lo, s0
                                        ; implicit-def: $vgpr55_vgpr56
	s_and_saveexec_b32 s0, s14
	s_cbranch_execnz .LBB49_74
.LBB49_51:
	s_or_b32 exec_lo, exec_lo, s0
                                        ; implicit-def: $vgpr59_vgpr60
	s_and_saveexec_b32 s0, s15
	s_cbranch_execz .LBB49_53
.LBB49_52:
	v_add_co_u32 v59, vcc_lo, v61, v67
	v_add_co_ci_u32_e32 v60, vcc_lo, 0, v62, vcc_lo
	flat_load_b64 v[59:60], v[59:60]
.LBB49_53:
	s_or_b32 exec_lo, exec_lo, s0
	s_waitcnt vmcnt(0) lgkmcnt(0)
	ds_store_2addr_stride64_b64 v65, v[29:30], v[31:32] offset1:4
	ds_store_2addr_stride64_b64 v65, v[33:34], v[35:36] offset0:8 offset1:12
	ds_store_2addr_stride64_b64 v65, v[37:38], v[39:40] offset0:16 offset1:20
	;; [unrolled: 1-line block ×6, first 2 shown]
	ds_store_b64 v65, v[59:60] offset:28672
	s_waitcnt lgkmcnt(0)
	s_barrier
.LBB49_54:
	buffer_gl0_inv
	ds_load_2addr_b64 v[53:56], v63 offset1:1
	ds_load_2addr_b64 v[49:52], v63 offset0:2 offset1:3
	ds_load_2addr_b64 v[45:48], v63 offset0:4 offset1:5
	;; [unrolled: 1-line block ×6, first 2 shown]
	ds_load_b64 v[59:60], v63 offset:112
	s_cmp_eq_u64 s[18:19], 0
	s_waitcnt lgkmcnt(0)
	s_cselect_b32 s35, -1, 0
	s_cmp_lg_u64 s[18:19], 0
	s_barrier
	s_cselect_b32 s16, -1, 0
	s_and_b32 vcc_lo, exec_lo, s17
	buffer_gl0_inv
	s_cbranch_vccz .LBB49_60
; %bb.55:
	s_and_b32 vcc_lo, exec_lo, s16
	s_cbranch_vccz .LBB49_75
; %bb.56:
	v_add_co_u32 v61, vcc_lo, -8, v66
	v_add_co_ci_u32_e32 v62, vcc_lo, -1, v64, vcc_lo
	v_cmp_neq_f64_e32 vcc_lo, v[3:4], v[57:58]
	v_cmp_neq_f64_e64 s0, v[1:2], v[3:4]
	v_cmp_neq_f64_e64 s1, v[7:8], v[1:2]
	flat_load_b64 v[61:62], v[61:62]
	v_cmp_neq_f64_e64 s4, v[5:6], v[7:8]
	v_cmp_neq_f64_e64 s5, v[11:12], v[5:6]
	;; [unrolled: 1-line block ×11, first 2 shown]
	v_lshlrev_b32_e32 v63, 3, v0
	s_mov_b32 s45, -1
	ds_store_b64 v63, v[57:58]
	s_waitcnt vmcnt(0) lgkmcnt(0)
	s_barrier
	buffer_gl0_inv
	s_and_saveexec_b32 s15, s3
	s_cbranch_execz .LBB49_58
; %bb.57:
	v_add_nc_u32_e32 v61, -8, v63
	ds_load_b64 v[61:62], v61
.LBB49_58:
	s_or_b32 exec_lo, exec_lo, s15
	s_waitcnt lgkmcnt(0)
	v_cmp_neq_f64_e64 s15, v[61:62], v[25:26]
	v_cndmask_b32_e64 v106, 0, 1, vcc_lo
	v_cndmask_b32_e64 v99, 0, 1, s0
	v_cndmask_b32_e64 v100, 0, 1, s1
	;; [unrolled: 1-line block ×13, first 2 shown]
.LBB49_59:
                                        ; implicit-def: $sgpr1
	s_branch .LBB49_87
.LBB49_60:
	s_mov_b32 s45, 0
                                        ; implicit-def: $sgpr15
                                        ; implicit-def: $vgpr106
                                        ; implicit-def: $vgpr99
                                        ; implicit-def: $vgpr100
                                        ; implicit-def: $vgpr101
                                        ; implicit-def: $vgpr102
                                        ; implicit-def: $vgpr103
                                        ; implicit-def: $vgpr104
                                        ; implicit-def: $vgpr105
                                        ; implicit-def: $vgpr107
                                        ; implicit-def: $vgpr108
                                        ; implicit-def: $vgpr109
                                        ; implicit-def: $vgpr110
                                        ; implicit-def: $vgpr111
                                        ; implicit-def: $vgpr112
                                        ; implicit-def: $sgpr1
	s_cbranch_execnz .LBB49_79
	s_branch .LBB49_87
.LBB49_61:
	v_add_co_u32 v29, vcc_lo, v61, v65
	v_add_co_ci_u32_e32 v30, vcc_lo, 0, v62, vcc_lo
	flat_load_b64 v[29:30], v[29:30]
	s_or_b32 exec_lo, exec_lo, s16
                                        ; implicit-def: $vgpr31_vgpr32
	s_and_saveexec_b32 s16, s0
	s_cbranch_execz .LBB49_39
.LBB49_62:
	v_add_co_u32 v31, vcc_lo, v61, v65
	v_add_co_ci_u32_e32 v32, vcc_lo, 0, v62, vcc_lo
	flat_load_b64 v[31:32], v[31:32] offset:2048
	s_or_b32 exec_lo, exec_lo, s16
                                        ; implicit-def: $vgpr33_vgpr34
	s_and_saveexec_b32 s0, s1
	s_cbranch_execz .LBB49_40
.LBB49_63:
	v_add_co_u32 v33, vcc_lo, v61, v35
	v_add_co_ci_u32_e32 v34, vcc_lo, 0, v62, vcc_lo
	flat_load_b64 v[33:34], v[33:34]
	s_or_b32 exec_lo, exec_lo, s0
                                        ; implicit-def: $vgpr35_vgpr36
	s_and_saveexec_b32 s0, s4
	s_cbranch_execz .LBB49_41
.LBB49_64:
	v_add_co_u32 v35, vcc_lo, v61, v37
	v_add_co_ci_u32_e32 v36, vcc_lo, 0, v62, vcc_lo
	flat_load_b64 v[35:36], v[35:36]
	s_or_b32 exec_lo, exec_lo, s0
                                        ; implicit-def: $vgpr37_vgpr38
	s_and_saveexec_b32 s0, s5
	s_cbranch_execz .LBB49_42
.LBB49_65:
	v_add_co_u32 v37, vcc_lo, v61, v39
	v_add_co_ci_u32_e32 v38, vcc_lo, 0, v62, vcc_lo
	flat_load_b64 v[37:38], v[37:38]
	s_or_b32 exec_lo, exec_lo, s0
                                        ; implicit-def: $vgpr39_vgpr40
	s_and_saveexec_b32 s0, s6
	s_cbranch_execz .LBB49_43
.LBB49_66:
	v_add_co_u32 v39, vcc_lo, v61, v41
	v_add_co_ci_u32_e32 v40, vcc_lo, 0, v62, vcc_lo
	flat_load_b64 v[39:40], v[39:40]
	s_or_b32 exec_lo, exec_lo, s0
                                        ; implicit-def: $vgpr41_vgpr42
	s_and_saveexec_b32 s0, s7
	s_cbranch_execz .LBB49_44
.LBB49_67:
	v_add_co_u32 v41, vcc_lo, v61, v43
	v_add_co_ci_u32_e32 v42, vcc_lo, 0, v62, vcc_lo
	flat_load_b64 v[41:42], v[41:42]
	s_or_b32 exec_lo, exec_lo, s0
                                        ; implicit-def: $vgpr43_vgpr44
	s_and_saveexec_b32 s0, s8
	s_cbranch_execz .LBB49_45
.LBB49_68:
	v_add_co_u32 v43, vcc_lo, v61, v45
	v_add_co_ci_u32_e32 v44, vcc_lo, 0, v62, vcc_lo
	flat_load_b64 v[43:44], v[43:44]
	s_or_b32 exec_lo, exec_lo, s0
                                        ; implicit-def: $vgpr45_vgpr46
	s_and_saveexec_b32 s0, s9
	s_cbranch_execz .LBB49_46
.LBB49_69:
	v_add_co_u32 v45, vcc_lo, v61, v47
	v_add_co_ci_u32_e32 v46, vcc_lo, 0, v62, vcc_lo
	flat_load_b64 v[45:46], v[45:46]
	s_or_b32 exec_lo, exec_lo, s0
                                        ; implicit-def: $vgpr47_vgpr48
	s_and_saveexec_b32 s0, s10
	s_cbranch_execz .LBB49_47
.LBB49_70:
	v_add_co_u32 v47, vcc_lo, v61, v49
	v_add_co_ci_u32_e32 v48, vcc_lo, 0, v62, vcc_lo
	flat_load_b64 v[47:48], v[47:48]
	s_or_b32 exec_lo, exec_lo, s0
                                        ; implicit-def: $vgpr49_vgpr50
	s_and_saveexec_b32 s0, s11
	s_cbranch_execz .LBB49_48
.LBB49_71:
	v_add_co_u32 v49, vcc_lo, v61, v51
	v_add_co_ci_u32_e32 v50, vcc_lo, 0, v62, vcc_lo
	flat_load_b64 v[49:50], v[49:50]
	s_or_b32 exec_lo, exec_lo, s0
                                        ; implicit-def: $vgpr51_vgpr52
	s_and_saveexec_b32 s0, s12
	s_cbranch_execz .LBB49_49
.LBB49_72:
	v_add_co_u32 v51, vcc_lo, v61, v53
	v_add_co_ci_u32_e32 v52, vcc_lo, 0, v62, vcc_lo
	flat_load_b64 v[51:52], v[51:52]
	s_or_b32 exec_lo, exec_lo, s0
                                        ; implicit-def: $vgpr53_vgpr54
	s_and_saveexec_b32 s0, s13
	s_cbranch_execz .LBB49_50
.LBB49_73:
	v_add_co_u32 v53, vcc_lo, v61, v55
	v_add_co_ci_u32_e32 v54, vcc_lo, 0, v62, vcc_lo
	flat_load_b64 v[53:54], v[53:54]
	s_or_b32 exec_lo, exec_lo, s0
                                        ; implicit-def: $vgpr55_vgpr56
	s_and_saveexec_b32 s0, s14
	s_cbranch_execz .LBB49_51
.LBB49_74:
	v_add_co_u32 v55, vcc_lo, v61, v59
	v_add_co_ci_u32_e32 v56, vcc_lo, 0, v62, vcc_lo
	flat_load_b64 v[55:56], v[55:56]
	s_or_b32 exec_lo, exec_lo, s0
                                        ; implicit-def: $vgpr59_vgpr60
	s_and_saveexec_b32 s0, s15
	s_cbranch_execnz .LBB49_52
	s_branch .LBB49_53
.LBB49_75:
	s_mov_b32 s45, 0
                                        ; implicit-def: $sgpr15
                                        ; implicit-def: $vgpr106
                                        ; implicit-def: $vgpr99
                                        ; implicit-def: $vgpr100
                                        ; implicit-def: $vgpr101
                                        ; implicit-def: $vgpr102
                                        ; implicit-def: $vgpr103
                                        ; implicit-def: $vgpr104
                                        ; implicit-def: $vgpr105
                                        ; implicit-def: $vgpr107
                                        ; implicit-def: $vgpr108
                                        ; implicit-def: $vgpr109
                                        ; implicit-def: $vgpr110
                                        ; implicit-def: $vgpr111
                                        ; implicit-def: $vgpr112
	s_cbranch_execz .LBB49_59
; %bb.76:
	v_cmp_neq_f64_e32 vcc_lo, v[3:4], v[57:58]
	v_lshlrev_b32_e32 v61, 3, v0
                                        ; implicit-def: $sgpr15
	ds_store_b64 v61, v[57:58]
	s_waitcnt lgkmcnt(0)
	s_barrier
	buffer_gl0_inv
	v_cndmask_b32_e64 v106, 0, 1, vcc_lo
	v_cmp_neq_f64_e32 vcc_lo, v[1:2], v[3:4]
	v_cndmask_b32_e64 v99, 0, 1, vcc_lo
	v_cmp_neq_f64_e32 vcc_lo, v[7:8], v[1:2]
	;; [unrolled: 2-line block ×13, first 2 shown]
	v_cndmask_b32_e64 v112, 0, 1, vcc_lo
	s_and_saveexec_b32 s0, s3
	s_delay_alu instid0(SALU_CYCLE_1)
	s_xor_b32 s0, exec_lo, s0
	s_cbranch_execz .LBB49_78
; %bb.77:
	v_add_nc_u32_e32 v61, -8, v61
	s_or_b32 s45, s45, exec_lo
	ds_load_b64 v[61:62], v61
	s_waitcnt lgkmcnt(0)
	v_cmp_neq_f64_e32 vcc_lo, v[61:62], v[25:26]
	s_and_b32 s15, vcc_lo, exec_lo
.LBB49_78:
	s_or_b32 exec_lo, exec_lo, s0
	s_mov_b32 s1, 1
	s_branch .LBB49_87
.LBB49_79:
	v_cmp_neq_f64_e64 s14, v[3:4], v[57:58]
	v_cmp_neq_f64_e64 s15, v[1:2], v[3:4]
	;; [unrolled: 1-line block ×14, first 2 shown]
	s_mul_hi_u32 s17, s18, 0xfffff100
	s_mulk_i32 s19, 0xf100
	s_sub_i32 s17, s17, s18
	s_mulk_i32 s18, 0xf100
	v_mad_u32_u24 v61, v0, 15, 14
	v_mad_u32_u24 v87, v0, 15, 13
	;; [unrolled: 1-line block ×14, first 2 shown]
	s_add_i32 s17, s17, s19
	s_add_u32 s30, s18, s48
	s_addc_u32 s31, s17, s49
	s_and_b32 vcc_lo, exec_lo, s16
	s_cbranch_vccz .LBB49_84
; %bb.80:
	v_add_co_u32 v88, vcc_lo, -8, v66
	v_add_co_ci_u32_e32 v89, vcc_lo, -1, v64, vcc_lo
	v_dual_mov_b32 v62, 0 :: v_dual_lshlrev_b32 v91, 3, v0
	s_mov_b32 s45, -1
	flat_load_b64 v[89:90], v[88:89]
	s_mov_b32 s17, 0
	v_cmp_gt_u64_e32 vcc_lo, s[30:31], v[61:62]
	v_mov_b32_e32 v88, v62
	v_mov_b32_e32 v86, v62
	;; [unrolled: 1-line block ×5, first 2 shown]
	v_cmp_gt_u64_e64 s16, s[30:31], v[87:88]
	s_and_b32 s18, vcc_lo, s14
	v_cmp_gt_u64_e32 vcc_lo, s[30:31], v[85:86]
	v_mov_b32_e32 v78, v62
	v_mov_b32_e32 v76, v62
	v_cmp_gt_u64_e64 s14, s[30:31], v[83:84]
	s_and_b32 s19, s16, s15
	v_mov_b32_e32 v74, v62
	s_and_b32 s20, vcc_lo, s13
	v_cmp_gt_u64_e32 vcc_lo, s[30:31], v[81:82]
	v_cmp_gt_u64_e64 s13, s[30:31], v[79:80]
	v_cmp_gt_u64_e64 s15, s[30:31], v[77:78]
	;; [unrolled: 1-line block ×3, first 2 shown]
	v_mov_b32_e32 v72, v62
	v_mov_b32_e32 v70, v62
	;; [unrolled: 1-line block ×5, first 2 shown]
	s_and_b32 s14, s14, s12
	s_and_b32 s21, vcc_lo, s8
	s_and_b32 s46, s13, s9
	s_and_b32 s15, s15, s10
	;; [unrolled: 1-line block ×3, first 2 shown]
	v_cmp_gt_u64_e32 vcc_lo, s[30:31], v[73:74]
	v_cmp_gt_u64_e64 s8, s[30:31], v[71:72]
	v_cmp_gt_u64_e64 s9, s[30:31], v[69:70]
	;; [unrolled: 1-line block ×5, first 2 shown]
	v_mul_u32_u24_e32 v88, 15, v0
	s_and_b32 s0, vcc_lo, s0
	s_and_b32 s8, s8, s1
	s_and_b32 s9, s9, s4
	;; [unrolled: 1-line block ×5, first 2 shown]
	ds_store_b64 v91, v[57:58]
	s_waitcnt vmcnt(0) lgkmcnt(0)
	s_barrier
	buffer_gl0_inv
	s_and_saveexec_b32 s6, s3
	s_cbranch_execz .LBB49_82
; %bb.81:
	v_add_nc_u32_e32 v64, -8, v91
	ds_load_b64 v[89:90], v64
.LBB49_82:
	s_or_b32 exec_lo, exec_lo, s6
	s_waitcnt lgkmcnt(0)
	v_cmp_neq_f64_e32 vcc_lo, v[89:90], v[25:26]
	v_mov_b32_e32 v89, v62
	v_cndmask_b32_e64 v107, 0, 1, s0
	v_cndmask_b32_e64 v106, 0, 1, s18
	;; [unrolled: 1-line block ×4, first 2 shown]
	v_cmp_gt_u64_e64 s0, s[30:31], v[88:89]
	v_cndmask_b32_e64 v101, 0, 1, s14
	v_cndmask_b32_e64 v102, 0, 1, s21
	v_cndmask_b32_e64 v103, 0, 1, s46
	v_cndmask_b32_e64 v104, 0, 1, s15
	v_cndmask_b32_e64 v105, 0, 1, s13
	v_cndmask_b32_e64 v108, 0, 1, s8
	v_cndmask_b32_e64 v109, 0, 1, s9
	v_cndmask_b32_e64 v110, 0, 1, s1
	v_cndmask_b32_e64 v111, 0, 1, s4
	v_cndmask_b32_e64 v112, 0, 1, s5
	s_and_b32 s15, s0, vcc_lo
	s_and_b32 vcc_lo, exec_lo, s17
	s_cbranch_vccnz .LBB49_85
.LBB49_83:
                                        ; implicit-def: $sgpr1
	v_mov_b32_e32 v113, s1
	s_and_saveexec_b32 s0, s45
	s_cbranch_execnz .LBB49_88
	s_branch .LBB49_89
.LBB49_84:
                                        ; implicit-def: $sgpr15
                                        ; implicit-def: $vgpr106
                                        ; implicit-def: $vgpr99
                                        ; implicit-def: $vgpr100
                                        ; implicit-def: $vgpr101
                                        ; implicit-def: $vgpr102
                                        ; implicit-def: $vgpr103
                                        ; implicit-def: $vgpr104
                                        ; implicit-def: $vgpr105
                                        ; implicit-def: $vgpr107
                                        ; implicit-def: $vgpr108
                                        ; implicit-def: $vgpr109
                                        ; implicit-def: $vgpr110
                                        ; implicit-def: $vgpr111
                                        ; implicit-def: $vgpr112
	s_cbranch_execz .LBB49_83
.LBB49_85:
	v_cmp_neq_f64_e64 s0, v[1:2], v[3:4]
	v_cmp_neq_f64_e64 s1, v[7:8], v[1:2]
	;; [unrolled: 1-line block ×6, first 2 shown]
	v_cmp_neq_f64_e32 vcc_lo, v[3:4], v[57:58]
	v_cmp_neq_f64_e64 s8, v[13:14], v[15:16]
	v_cmp_neq_f64_e64 s9, v[19:20], v[13:14]
	v_dual_mov_b32 v62, 0 :: v_dual_lshlrev_b32 v89, 3, v0
	v_cmp_neq_f64_e64 s10, v[17:18], v[19:20]
	v_cmp_neq_f64_e64 s11, v[23:24], v[17:18]
	;; [unrolled: 1-line block ×4, first 2 shown]
	v_mov_b32_e32 v88, v62
	v_mov_b32_e32 v86, v62
	;; [unrolled: 1-line block ×3, first 2 shown]
	v_cmp_neq_f64_e64 s14, v[25:26], v[27:28]
	v_mov_b32_e32 v82, v62
	v_cmp_gt_u64_e64 s16, s[30:31], v[87:88]
	v_cmp_gt_u64_e64 s17, s[30:31], v[85:86]
	v_mov_b32_e32 v80, v62
	v_cmp_gt_u64_e64 s18, s[30:31], v[83:84]
	v_mov_b32_e32 v78, v62
	v_cmp_gt_u64_e64 s19, s[30:31], v[81:82]
	v_cmp_gt_u64_e64 s15, s[30:31], v[61:62]
	;; [unrolled: 1-line block ×3, first 2 shown]
	v_mov_b32_e32 v76, v62
	v_cmp_gt_u64_e64 s21, s[30:31], v[77:78]
	v_mov_b32_e32 v74, v62
	v_mov_b32_e32 v72, v62
	;; [unrolled: 1-line block ×6, first 2 shown]
	ds_store_b64 v89, v[57:58]
	s_waitcnt lgkmcnt(0)
	s_and_b32 s0, s16, s0
	s_barrier
	v_cndmask_b32_e64 v99, 0, 1, s0
	s_and_b32 s0, s17, s1
	buffer_gl0_inv
	v_cndmask_b32_e64 v100, 0, 1, s0
	s_and_b32 s0, s18, s4
	s_and_b32 s15, s15, vcc_lo
	v_cndmask_b32_e64 v101, 0, 1, s0
	s_and_b32 s0, s19, s5
	v_cmp_gt_u64_e32 vcc_lo, s[30:31], v[75:76]
	v_cndmask_b32_e64 v102, 0, 1, s0
	s_and_b32 s0, s20, s6
	v_cndmask_b32_e64 v106, 0, 1, s15
	v_cndmask_b32_e64 v103, 0, 1, s0
	s_and_b32 s0, s21, s7
	s_and_b32 s1, vcc_lo, s8
	v_cndmask_b32_e64 v104, 0, 1, s0
	v_cmp_gt_u64_e64 s0, s[30:31], v[73:74]
	v_cmp_gt_u64_e32 vcc_lo, s[30:31], v[71:72]
	v_cndmask_b32_e64 v105, 0, 1, s1
	v_cmp_gt_u64_e64 s1, s[30:31], v[67:68]
                                        ; implicit-def: $sgpr15
	s_delay_alu instid0(VALU_DEP_4)
	s_and_b32 s0, s0, s9
	s_and_b32 s4, vcc_lo, s10
	v_cndmask_b32_e64 v107, 0, 1, s0
	v_cmp_gt_u64_e64 s0, s[30:31], v[69:70]
	v_cmp_gt_u64_e32 vcc_lo, s[30:31], v[65:66]
	v_cndmask_b32_e64 v108, 0, 1, s4
	v_cmp_gt_u64_e64 s4, s[30:31], v[63:64]
	s_delay_alu instid0(VALU_DEP_4) | instskip(NEXT) | instid1(SALU_CYCLE_1)
	s_and_b32 s0, s0, s11
	v_cndmask_b32_e64 v109, 0, 1, s0
	s_and_b32 s0, s1, s12
	s_mov_b32 s1, 1
	v_cndmask_b32_e64 v110, 0, 1, s0
	s_and_b32 s0, vcc_lo, s13
	s_delay_alu instid0(SALU_CYCLE_1) | instskip(SKIP_1) | instid1(SALU_CYCLE_1)
	v_cndmask_b32_e64 v111, 0, 1, s0
	s_and_b32 s0, s4, s14
	v_cndmask_b32_e64 v112, 0, 1, s0
	s_and_saveexec_b32 s4, s3
	s_cbranch_execz .LBB49_220
; %bb.86:
	v_add_nc_u32_e32 v61, -8, v89
	s_or_b32 s45, s45, exec_lo
	ds_load_b64 v[63:64], v61
	v_mul_u32_u24_e32 v61, 15, v0
	s_delay_alu instid0(VALU_DEP_1) | instskip(SKIP_2) | instid1(VALU_DEP_2)
	v_cmp_gt_u64_e64 s0, s[30:31], v[61:62]
	s_waitcnt lgkmcnt(0)
	v_cmp_neq_f64_e32 vcc_lo, v[63:64], v[25:26]
	s_and_b32 s0, s0, vcc_lo
	s_delay_alu instid0(SALU_CYCLE_1)
	s_and_b32 s15, s0, exec_lo
	s_or_b32 exec_lo, exec_lo, s4
.LBB49_87:
	v_mov_b32_e32 v113, s1
	s_and_saveexec_b32 s0, s45
.LBB49_88:
	v_cndmask_b32_e64 v113, 0, 1, s15
.LBB49_89:
	s_or_b32 exec_lo, exec_lo, s0
	v_add_f64 v[97:98], v[53:54], v[55:56]
	s_delay_alu instid0(VALU_DEP_2)
	v_add3_u32 v61, v112, v113, v111
	v_cmp_eq_u32_e64 s13, 0, v112
	v_cmp_eq_u32_e64 s12, 0, v111
	;; [unrolled: 1-line block ×4, first 2 shown]
	v_add3_u32 v116, v61, v110, v109
	v_cmp_eq_u32_e64 s9, 0, v108
	v_cmp_eq_u32_e64 s8, 0, v107
	;; [unrolled: 1-line block ×9, first 2 shown]
	v_cmp_eq_u32_e32 vcc_lo, 0, v106
	v_mbcnt_lo_u32_b32 v115, -1, 0
	s_cmp_eq_u64 s[42:43], 0
	s_cselect_b32 s15, -1, 0
	s_cmp_lg_u32 s44, 0
	s_cbranch_scc0 .LBB49_152
; %bb.90:
	v_cndmask_b32_e64 v62, v56, v98, s13
	v_cndmask_b32_e64 v61, v55, v97, s13
	v_add3_u32 v63, v116, v108, v107
	v_and_b32_e32 v65, 15, v115
	s_mov_b32 s14, exec_lo
	s_delay_alu instid0(VALU_DEP_3) | instskip(NEXT) | instid1(VALU_DEP_3)
	v_add_f64 v[61:62], v[49:50], v[61:62]
	v_add3_u32 v63, v63, v105, v104
	s_delay_alu instid0(VALU_DEP_1) | instskip(NEXT) | instid1(VALU_DEP_1)
	v_add3_u32 v63, v63, v103, v102
	v_add3_u32 v63, v63, v101, v100
	s_delay_alu instid0(VALU_DEP_1) | instskip(NEXT) | instid1(VALU_DEP_1)
	v_add3_u32 v67, v63, v99, v106
	v_mov_b32_dpp v66, v67 row_shr:1 row_mask:0xf bank_mask:0xf
	v_cndmask_b32_e64 v62, v50, v62, s12
	v_cndmask_b32_e64 v61, v49, v61, s12
	s_delay_alu instid0(VALU_DEP_1) | instskip(NEXT) | instid1(VALU_DEP_1)
	v_add_f64 v[61:62], v[51:52], v[61:62]
	v_cndmask_b32_e64 v62, v52, v62, s11
	s_delay_alu instid0(VALU_DEP_2) | instskip(NEXT) | instid1(VALU_DEP_1)
	v_cndmask_b32_e64 v61, v51, v61, s11
	v_add_f64 v[61:62], v[45:46], v[61:62]
	s_delay_alu instid0(VALU_DEP_1) | instskip(NEXT) | instid1(VALU_DEP_2)
	v_cndmask_b32_e64 v62, v46, v62, s10
	v_cndmask_b32_e64 v61, v45, v61, s10
	s_delay_alu instid0(VALU_DEP_1) | instskip(NEXT) | instid1(VALU_DEP_1)
	v_add_f64 v[61:62], v[47:48], v[61:62]
	v_cndmask_b32_e64 v62, v48, v62, s9
	s_delay_alu instid0(VALU_DEP_2) | instskip(NEXT) | instid1(VALU_DEP_1)
	v_cndmask_b32_e64 v61, v47, v61, s9
	v_add_f64 v[61:62], v[41:42], v[61:62]
	s_delay_alu instid0(VALU_DEP_1) | instskip(NEXT) | instid1(VALU_DEP_2)
	v_cndmask_b32_e64 v62, v42, v62, s8
	v_cndmask_b32_e64 v61, v41, v61, s8
	s_delay_alu instid0(VALU_DEP_1) | instskip(NEXT) | instid1(VALU_DEP_1)
	v_add_f64 v[61:62], v[43:44], v[61:62]
	v_cndmask_b32_e64 v62, v44, v62, s7
	s_delay_alu instid0(VALU_DEP_2) | instskip(NEXT) | instid1(VALU_DEP_1)
	v_cndmask_b32_e64 v61, v43, v61, s7
	v_add_f64 v[61:62], v[37:38], v[61:62]
	s_delay_alu instid0(VALU_DEP_1) | instskip(NEXT) | instid1(VALU_DEP_2)
	v_cndmask_b32_e64 v62, v38, v62, s6
	v_cndmask_b32_e64 v61, v37, v61, s6
	s_delay_alu instid0(VALU_DEP_1) | instskip(NEXT) | instid1(VALU_DEP_1)
	v_add_f64 v[61:62], v[39:40], v[61:62]
	v_cndmask_b32_e64 v62, v40, v62, s5
	s_delay_alu instid0(VALU_DEP_2) | instskip(NEXT) | instid1(VALU_DEP_1)
	v_cndmask_b32_e64 v61, v39, v61, s5
	v_add_f64 v[61:62], v[33:34], v[61:62]
	s_delay_alu instid0(VALU_DEP_1) | instskip(NEXT) | instid1(VALU_DEP_2)
	v_cndmask_b32_e64 v62, v34, v62, s4
	v_cndmask_b32_e64 v61, v33, v61, s4
	s_delay_alu instid0(VALU_DEP_1) | instskip(NEXT) | instid1(VALU_DEP_1)
	v_add_f64 v[61:62], v[35:36], v[61:62]
	v_cndmask_b32_e64 v62, v36, v62, s3
	s_delay_alu instid0(VALU_DEP_2) | instskip(NEXT) | instid1(VALU_DEP_1)
	v_cndmask_b32_e64 v61, v35, v61, s3
	v_add_f64 v[61:62], v[29:30], v[61:62]
	s_delay_alu instid0(VALU_DEP_1) | instskip(NEXT) | instid1(VALU_DEP_2)
	v_cndmask_b32_e64 v62, v30, v62, s1
	v_cndmask_b32_e64 v61, v29, v61, s1
	s_delay_alu instid0(VALU_DEP_1) | instskip(NEXT) | instid1(VALU_DEP_1)
	v_add_f64 v[61:62], v[31:32], v[61:62]
	v_cndmask_b32_e64 v62, v32, v62, s0
	s_delay_alu instid0(VALU_DEP_2) | instskip(NEXT) | instid1(VALU_DEP_1)
	v_cndmask_b32_e64 v61, v31, v61, s0
	v_add_f64 v[61:62], v[59:60], v[61:62]
	s_delay_alu instid0(VALU_DEP_1) | instskip(NEXT) | instid1(VALU_DEP_1)
	v_dual_cndmask_b32 v63, v59, v61 :: v_dual_cndmask_b32 v64, v60, v62
	v_mov_b32_dpp v61, v63 row_shr:1 row_mask:0xf bank_mask:0xf
	s_delay_alu instid0(VALU_DEP_2)
	v_mov_b32_dpp v62, v64 row_shr:1 row_mask:0xf bank_mask:0xf
	v_cmpx_ne_u32_e32 0, v65
; %bb.91:
	s_delay_alu instid0(VALU_DEP_2) | instskip(SKIP_1) | instid1(VALU_DEP_2)
	v_add_f64 v[61:62], v[63:64], v[61:62]
	v_cmp_eq_u32_e32 vcc_lo, 0, v67
	v_dual_cndmask_b32 v64, v64, v62 :: v_dual_add_nc_u32 v67, v66, v67
	s_delay_alu instid0(VALU_DEP_3)
	v_cndmask_b32_e32 v63, v63, v61, vcc_lo
; %bb.92:
	s_or_b32 exec_lo, exec_lo, s14
	s_delay_alu instid0(VALU_DEP_2) | instskip(NEXT) | instid1(VALU_DEP_2)
	v_mov_b32_dpp v66, v67 row_shr:2 row_mask:0xf bank_mask:0xf
	v_mov_b32_dpp v61, v63 row_shr:2 row_mask:0xf bank_mask:0xf
	v_mov_b32_dpp v62, v64 row_shr:2 row_mask:0xf bank_mask:0xf
	s_mov_b32 s14, exec_lo
	v_cmpx_lt_u32_e32 1, v65
; %bb.93:
	s_delay_alu instid0(VALU_DEP_2) | instskip(SKIP_1) | instid1(VALU_DEP_2)
	v_add_f64 v[61:62], v[63:64], v[61:62]
	v_cmp_eq_u32_e32 vcc_lo, 0, v67
	v_dual_cndmask_b32 v64, v64, v62 :: v_dual_add_nc_u32 v67, v66, v67
	s_delay_alu instid0(VALU_DEP_3)
	v_cndmask_b32_e32 v63, v63, v61, vcc_lo
; %bb.94:
	s_or_b32 exec_lo, exec_lo, s14
	s_delay_alu instid0(VALU_DEP_2) | instskip(NEXT) | instid1(VALU_DEP_2)
	v_mov_b32_dpp v66, v67 row_shr:4 row_mask:0xf bank_mask:0xf
	v_mov_b32_dpp v61, v63 row_shr:4 row_mask:0xf bank_mask:0xf
	v_mov_b32_dpp v62, v64 row_shr:4 row_mask:0xf bank_mask:0xf
	s_mov_b32 s14, exec_lo
	v_cmpx_lt_u32_e32 3, v65
; %bb.95:
	s_delay_alu instid0(VALU_DEP_2) | instskip(SKIP_1) | instid1(VALU_DEP_2)
	v_add_f64 v[61:62], v[63:64], v[61:62]
	v_cmp_eq_u32_e32 vcc_lo, 0, v67
	v_dual_cndmask_b32 v64, v64, v62 :: v_dual_add_nc_u32 v67, v66, v67
	s_delay_alu instid0(VALU_DEP_3)
	v_cndmask_b32_e32 v63, v63, v61, vcc_lo
; %bb.96:
	s_or_b32 exec_lo, exec_lo, s14
	s_delay_alu instid0(VALU_DEP_2) | instskip(NEXT) | instid1(VALU_DEP_2)
	v_mov_b32_dpp v66, v67 row_shr:8 row_mask:0xf bank_mask:0xf
	v_mov_b32_dpp v61, v63 row_shr:8 row_mask:0xf bank_mask:0xf
	v_mov_b32_dpp v62, v64 row_shr:8 row_mask:0xf bank_mask:0xf
	s_mov_b32 s14, exec_lo
	v_cmpx_lt_u32_e32 7, v65
; %bb.97:
	s_delay_alu instid0(VALU_DEP_2) | instskip(SKIP_1) | instid1(VALU_DEP_2)
	v_add_f64 v[61:62], v[63:64], v[61:62]
	v_cmp_eq_u32_e32 vcc_lo, 0, v67
	v_dual_cndmask_b32 v64, v64, v62 :: v_dual_add_nc_u32 v67, v66, v67
	s_delay_alu instid0(VALU_DEP_3)
	v_cndmask_b32_e32 v63, v63, v61, vcc_lo
; %bb.98:
	s_or_b32 exec_lo, exec_lo, s14
	ds_swizzle_b32 v65, v67 offset:swizzle(BROADCAST,32,15)
	ds_swizzle_b32 v61, v63 offset:swizzle(BROADCAST,32,15)
	ds_swizzle_b32 v62, v64 offset:swizzle(BROADCAST,32,15)
	v_and_b32_e32 v66, 16, v115
	s_mov_b32 s14, exec_lo
	s_delay_alu instid0(VALU_DEP_1)
	v_cmpx_ne_u32_e32 0, v66
	s_cbranch_execz .LBB49_100
; %bb.99:
	s_waitcnt lgkmcnt(0)
	v_add_f64 v[61:62], v[63:64], v[61:62]
	v_cmp_eq_u32_e32 vcc_lo, 0, v67
	s_delay_alu instid0(VALU_DEP_2) | instskip(NEXT) | instid1(VALU_DEP_3)
	v_dual_cndmask_b32 v64, v64, v62 :: v_dual_add_nc_u32 v67, v65, v67
	v_cndmask_b32_e32 v63, v63, v61, vcc_lo
.LBB49_100:
	s_or_b32 exec_lo, exec_lo, s14
	s_waitcnt lgkmcnt(0)
	v_lshrrev_b32_e32 v62, 5, v0
	v_or_b32_e32 v61, 31, v0
	s_mov_b32 s14, exec_lo
	s_delay_alu instid0(VALU_DEP_2) | instskip(NEXT) | instid1(VALU_DEP_2)
	v_lshlrev_b32_e32 v68, 4, v62
	v_cmpx_eq_u32_e64 v61, v0
	s_cbranch_execz .LBB49_102
; %bb.101:
	ds_store_b32 v68, v67 offset:4128
	ds_store_b64 v68, v[63:64] offset:4136
.LBB49_102:
	s_or_b32 exec_lo, exec_lo, s14
	s_delay_alu instid0(SALU_CYCLE_1)
	s_mov_b32 s14, exec_lo
	s_waitcnt lgkmcnt(0)
	s_barrier
	buffer_gl0_inv
	v_cmpx_gt_u32_e32 8, v0
	s_cbranch_execz .LBB49_110
; %bb.103:
	v_lshlrev_b32_e32 v69, 4, v0
	v_and_b32_e32 v71, 7, v115
	s_mov_b32 s16, exec_lo
	ds_load_b32 v70, v69 offset:4128
	ds_load_b64 v[61:62], v69 offset:4136
	s_waitcnt lgkmcnt(1)
	v_mov_b32_dpp v72, v70 row_shr:1 row_mask:0xf bank_mask:0xf
	s_waitcnt lgkmcnt(0)
	v_mov_b32_dpp v65, v61 row_shr:1 row_mask:0xf bank_mask:0xf
	v_mov_b32_dpp v66, v62 row_shr:1 row_mask:0xf bank_mask:0xf
	v_cmpx_ne_u32_e32 0, v71
; %bb.104:
	s_delay_alu instid0(VALU_DEP_2) | instskip(SKIP_1) | instid1(VALU_DEP_2)
	v_add_f64 v[65:66], v[61:62], v[65:66]
	v_cmp_eq_u32_e32 vcc_lo, 0, v70
	v_dual_cndmask_b32 v61, v61, v65 :: v_dual_add_nc_u32 v70, v72, v70
	s_delay_alu instid0(VALU_DEP_3)
	v_cndmask_b32_e32 v62, v62, v66, vcc_lo
; %bb.105:
	s_or_b32 exec_lo, exec_lo, s16
	s_delay_alu instid0(VALU_DEP_2) | instskip(NEXT) | instid1(VALU_DEP_3)
	v_mov_b32_dpp v72, v70 row_shr:2 row_mask:0xf bank_mask:0xf
	v_mov_b32_dpp v65, v61 row_shr:2 row_mask:0xf bank_mask:0xf
	s_delay_alu instid0(VALU_DEP_3)
	v_mov_b32_dpp v66, v62 row_shr:2 row_mask:0xf bank_mask:0xf
	s_mov_b32 s16, exec_lo
	v_cmpx_lt_u32_e32 1, v71
; %bb.106:
	s_delay_alu instid0(VALU_DEP_2) | instskip(SKIP_1) | instid1(VALU_DEP_2)
	v_add_f64 v[65:66], v[61:62], v[65:66]
	v_cmp_eq_u32_e32 vcc_lo, 0, v70
	v_dual_cndmask_b32 v61, v61, v65 :: v_dual_add_nc_u32 v70, v72, v70
	s_delay_alu instid0(VALU_DEP_3)
	v_cndmask_b32_e32 v62, v62, v66, vcc_lo
; %bb.107:
	s_or_b32 exec_lo, exec_lo, s16
	s_delay_alu instid0(VALU_DEP_2) | instskip(NEXT) | instid1(VALU_DEP_3)
	v_mov_b32_dpp v72, v70 row_shr:4 row_mask:0xf bank_mask:0xf
	v_mov_b32_dpp v65, v61 row_shr:4 row_mask:0xf bank_mask:0xf
	s_delay_alu instid0(VALU_DEP_3)
	v_mov_b32_dpp v66, v62 row_shr:4 row_mask:0xf bank_mask:0xf
	s_mov_b32 s16, exec_lo
	v_cmpx_lt_u32_e32 3, v71
; %bb.108:
	s_delay_alu instid0(VALU_DEP_2) | instskip(SKIP_1) | instid1(VALU_DEP_2)
	v_add_f64 v[65:66], v[61:62], v[65:66]
	v_cmp_eq_u32_e32 vcc_lo, 0, v70
	v_dual_cndmask_b32 v61, v61, v65 :: v_dual_add_nc_u32 v70, v72, v70
	s_delay_alu instid0(VALU_DEP_3)
	v_cndmask_b32_e32 v62, v62, v66, vcc_lo
; %bb.109:
	s_or_b32 exec_lo, exec_lo, s16
	ds_store_b32 v69, v70 offset:4128
	ds_store_b64 v69, v[61:62] offset:4136
.LBB49_110:
	s_or_b32 exec_lo, exec_lo, s14
	v_mov_b32_e32 v61, 0
	v_cmp_gt_u32_e32 vcc_lo, 32, v0
	v_dual_mov_b32 v62, 0 :: v_dual_mov_b32 v73, 0
	s_mov_b32 s16, exec_lo
	s_waitcnt lgkmcnt(0)
	s_barrier
	buffer_gl0_inv
	v_cmpx_lt_u32_e32 31, v0
	s_cbranch_execz .LBB49_112
; %bb.111:
	ds_load_b64 v[61:62], v68 offset:4120
	ds_load_b32 v73, v68 offset:4112
	v_cmp_eq_u32_e64 s14, 0, v67
	s_waitcnt lgkmcnt(1)
	v_add_f64 v[65:66], v[63:64], v[61:62]
	s_waitcnt lgkmcnt(0)
	v_add_nc_u32_e32 v67, v73, v67
	s_delay_alu instid0(VALU_DEP_2) | instskip(NEXT) | instid1(VALU_DEP_3)
	v_cndmask_b32_e64 v64, v64, v66, s14
	v_cndmask_b32_e64 v63, v63, v65, s14
.LBB49_112:
	s_or_b32 exec_lo, exec_lo, s16
	v_add_nc_u32_e32 v65, -1, v115
	s_delay_alu instid0(VALU_DEP_1) | instskip(NEXT) | instid1(VALU_DEP_1)
	v_cmp_gt_i32_e64 s14, 0, v65
	v_cndmask_b32_e64 v65, v65, v115, s14
	v_cmp_eq_u32_e64 s14, 0, v115
	s_delay_alu instid0(VALU_DEP_2)
	v_lshlrev_b32_e32 v65, 2, v65
	ds_bpermute_b32 v74, v65, v67
	ds_bpermute_b32 v75, v65, v63
	;; [unrolled: 1-line block ×3, first 2 shown]
	s_and_saveexec_b32 s16, vcc_lo
	s_cbranch_execz .LBB49_151
; %bb.113:
	v_mov_b32_e32 v67, 0
	ds_load_b32 v77, v67 offset:4240
	ds_load_b64 v[63:64], v67 offset:4248
	s_and_saveexec_b32 s17, s14
	s_cbranch_execz .LBB49_115
; %bb.114:
	s_add_i32 s18, s44, 32
	s_mov_b32 s19, 0
	v_dual_mov_b32 v65, s18 :: v_dual_mov_b32 v66, 1
	s_lshl_b64 s[20:21], s[18:19], 4
	s_delay_alu instid0(SALU_CYCLE_1)
	s_add_u32 s18, s36, s20
	s_addc_u32 s19, s37, s21
	s_waitcnt lgkmcnt(1)
	global_store_b32 v67, v77, s[18:19]
	s_waitcnt lgkmcnt(0)
	global_store_b64 v67, v[63:64], s[18:19] offset:8
	s_waitcnt_vscnt null, 0x0
	buffer_gl1_inv
	buffer_gl0_inv
	global_store_b8 v65, v66, s[40:41]
.LBB49_115:
	s_or_b32 exec_lo, exec_lo, s17
	v_xad_u32 v65, v115, -1, s44
	s_mov_b32 s18, 0
	s_mov_b32 s17, exec_lo
	s_delay_alu instid0(VALU_DEP_1)
	v_add_nc_u32_e32 v66, 32, v65
	global_load_u8 v78, v66, s[40:41] glc
	s_waitcnt vmcnt(0)
	v_cmpx_eq_u16_e32 0, v78
	s_cbranch_execz .LBB49_119
; %bb.116:
	v_add_co_u32 v68, s19, s40, v66
	s_delay_alu instid0(VALU_DEP_1)
	v_add_co_ci_u32_e64 v69, null, s41, 0, s19
.LBB49_117:                             ; =>This Inner Loop Header: Depth=1
	global_load_u8 v78, v[68:69], off glc
	s_waitcnt vmcnt(0)
	v_cmp_ne_u16_e32 vcc_lo, 0, v78
	s_or_b32 s18, vcc_lo, s18
	s_delay_alu instid0(SALU_CYCLE_1)
	s_and_not1_b32 exec_lo, exec_lo, s18
	s_cbranch_execnz .LBB49_117
; %bb.118:
	s_or_b32 exec_lo, exec_lo, s18
.LBB49_119:
	s_delay_alu instid0(SALU_CYCLE_1)
	s_or_b32 exec_lo, exec_lo, s17
	v_dual_mov_b32 v68, s37 :: v_dual_mov_b32 v69, s36
	v_cmp_eq_u16_e32 vcc_lo, 1, v78
	v_lshlrev_b64 v[66:67], 4, v[66:67]
	s_waitcnt lgkmcnt(0)
	s_waitcnt_vscnt null, 0x0
	buffer_gl1_inv
	buffer_gl0_inv
	v_lshlrev_b32_e64 v80, v115, -1
	s_mov_b32 s17, exec_lo
	v_cndmask_b32_e32 v69, s38, v69, vcc_lo
	v_cndmask_b32_e32 v68, s39, v68, vcc_lo
	s_delay_alu instid0(VALU_DEP_2) | instskip(NEXT) | instid1(VALU_DEP_2)
	v_add_co_u32 v66, vcc_lo, v69, v66
	v_add_co_ci_u32_e32 v67, vcc_lo, v68, v67, vcc_lo
	v_cmp_ne_u32_e32 vcc_lo, 31, v115
	s_clause 0x1
	global_load_b32 v71, v[66:67], off
	global_load_b64 v[69:70], v[66:67], off offset:8
	v_add_co_ci_u32_e32 v66, vcc_lo, 0, v115, vcc_lo
	v_cmp_eq_u16_e32 vcc_lo, 2, v78
	s_delay_alu instid0(VALU_DEP_2) | instskip(SKIP_1) | instid1(VALU_DEP_1)
	v_lshlrev_b32_e32 v79, 2, v66
	v_and_or_b32 v68, vcc_lo, v80, 0x80000000
	v_ctz_i32_b32_e32 v68, v68
	s_waitcnt vmcnt(1)
	ds_bpermute_b32 v72, v79, v71
	s_waitcnt vmcnt(0)
	ds_bpermute_b32 v66, v79, v69
	ds_bpermute_b32 v67, v79, v70
	v_cmpx_lt_u32_e64 v115, v68
	s_cbranch_execz .LBB49_121
; %bb.120:
	s_waitcnt lgkmcnt(0)
	v_add_f64 v[66:67], v[69:70], v[66:67]
	v_cmp_eq_u32_e32 vcc_lo, 0, v71
	v_add_nc_u32_e32 v71, v72, v71
	s_delay_alu instid0(VALU_DEP_3)
	v_dual_cndmask_b32 v70, v70, v67 :: v_dual_cndmask_b32 v69, v69, v66
.LBB49_121:
	s_or_b32 exec_lo, exec_lo, s17
	v_cmp_gt_u32_e32 vcc_lo, 30, v115
	v_add_nc_u32_e32 v82, 2, v115
	s_mov_b32 s17, exec_lo
	s_waitcnt lgkmcnt(1)
	v_cndmask_b32_e64 v66, 0, 1, vcc_lo
	s_delay_alu instid0(VALU_DEP_1) | instskip(NEXT) | instid1(VALU_DEP_1)
	v_lshlrev_b32_e32 v66, 1, v66
	v_add_lshl_u32 v81, v66, v115, 2
	ds_bpermute_b32 v72, v81, v71
	ds_bpermute_b32 v66, v81, v69
	s_waitcnt lgkmcnt(2)
	ds_bpermute_b32 v67, v81, v70
	v_cmpx_le_u32_e64 v82, v68
	s_cbranch_execz .LBB49_123
; %bb.122:
	s_waitcnt lgkmcnt(0)
	v_add_f64 v[66:67], v[69:70], v[66:67]
	v_cmp_eq_u32_e32 vcc_lo, 0, v71
	v_add_nc_u32_e32 v71, v72, v71
	s_delay_alu instid0(VALU_DEP_3)
	v_dual_cndmask_b32 v70, v70, v67 :: v_dual_cndmask_b32 v69, v69, v66
.LBB49_123:
	s_or_b32 exec_lo, exec_lo, s17
	v_cmp_gt_u32_e32 vcc_lo, 28, v115
	v_add_nc_u32_e32 v84, 4, v115
	s_mov_b32 s17, exec_lo
	s_waitcnt lgkmcnt(1)
	v_cndmask_b32_e64 v66, 0, 1, vcc_lo
	s_delay_alu instid0(VALU_DEP_1) | instskip(NEXT) | instid1(VALU_DEP_1)
	v_lshlrev_b32_e32 v66, 2, v66
	v_add_lshl_u32 v83, v66, v115, 2
	ds_bpermute_b32 v72, v83, v71
	ds_bpermute_b32 v66, v83, v69
	s_waitcnt lgkmcnt(2)
	ds_bpermute_b32 v67, v83, v70
	v_cmpx_le_u32_e64 v84, v68
	;; [unrolled: 23-line block ×4, first 2 shown]
	s_cbranch_execz .LBB49_129
; %bb.128:
	s_waitcnt lgkmcnt(0)
	v_add_f64 v[66:67], v[69:70], v[66:67]
	v_cmp_eq_u32_e32 vcc_lo, 0, v71
	v_add_nc_u32_e32 v71, v72, v71
	s_delay_alu instid0(VALU_DEP_3)
	v_dual_cndmask_b32 v70, v70, v67 :: v_dual_cndmask_b32 v69, v69, v66
.LBB49_129:
	s_or_b32 exec_lo, exec_lo, s17
	s_waitcnt lgkmcnt(1)
	v_mov_b32_e32 v66, 0
	s_branch .LBB49_131
.LBB49_130:                             ;   in Loop: Header=BB49_131 Depth=1
	s_or_b32 exec_lo, exec_lo, s17
	s_delay_alu instid0(VALU_DEP_1) | instskip(SKIP_4) | instid1(VALU_DEP_4)
	v_add_f64 v[69:70], v[67:68], v[69:70]
	v_cmp_eq_u32_e32 vcc_lo, 0, v87
	v_subrev_nc_u32_e32 v65, 32, v65
	s_waitcnt lgkmcnt(1)
	v_add_nc_u32_e32 v71, v90, v87
	v_dual_cndmask_b32 v70, v68, v70 :: v_dual_cndmask_b32 v69, v67, v69
.LBB49_131:                             ; =>This Loop Header: Depth=1
                                        ;     Child Loop BB49_134 Depth 2
	s_waitcnt lgkmcnt(0)
	v_and_b32_e32 v67, 0xff, v78
	s_delay_alu instid0(VALU_DEP_3) | instskip(NEXT) | instid1(VALU_DEP_2)
	v_mov_b32_e32 v87, v71
	v_cmp_ne_u16_e32 vcc_lo, 2, v67
	v_cndmask_b32_e64 v67, 0, 1, vcc_lo
	;;#ASMSTART
	;;#ASMEND
	s_delay_alu instid0(VALU_DEP_1)
	v_cmp_ne_u32_e32 vcc_lo, 0, v67
	v_dual_mov_b32 v67, v69 :: v_dual_mov_b32 v68, v70
	s_cmp_lg_u32 vcc_lo, exec_lo
	s_cbranch_scc1 .LBB49_146
; %bb.132:                              ;   in Loop: Header=BB49_131 Depth=1
	global_load_u8 v78, v65, s[40:41] glc
	s_mov_b32 s17, exec_lo
	s_waitcnt vmcnt(0)
	v_cmpx_eq_u16_e32 0, v78
	s_cbranch_execz .LBB49_136
; %bb.133:                              ;   in Loop: Header=BB49_131 Depth=1
	v_add_co_u32 v69, s18, s40, v65
	s_delay_alu instid0(VALU_DEP_1)
	v_add_co_ci_u32_e64 v70, null, s41, 0, s18
	s_mov_b32 s18, 0
.LBB49_134:                             ;   Parent Loop BB49_131 Depth=1
                                        ; =>  This Inner Loop Header: Depth=2
	global_load_u8 v78, v[69:70], off glc
	s_waitcnt vmcnt(0)
	v_cmp_ne_u16_e32 vcc_lo, 0, v78
	s_or_b32 s18, vcc_lo, s18
	s_delay_alu instid0(SALU_CYCLE_1)
	s_and_not1_b32 exec_lo, exec_lo, s18
	s_cbranch_execnz .LBB49_134
; %bb.135:                              ;   in Loop: Header=BB49_131 Depth=1
	s_or_b32 exec_lo, exec_lo, s18
.LBB49_136:                             ;   in Loop: Header=BB49_131 Depth=1
	s_delay_alu instid0(SALU_CYCLE_1)
	s_or_b32 exec_lo, exec_lo, s17
	v_dual_mov_b32 v71, s37 :: v_dual_mov_b32 v72, s36
	v_cmp_eq_u16_e32 vcc_lo, 1, v78
	v_lshlrev_b64 v[69:70], 4, v[65:66]
	buffer_gl1_inv
	buffer_gl0_inv
	s_mov_b32 s17, exec_lo
	v_cndmask_b32_e32 v72, s38, v72, vcc_lo
	v_cndmask_b32_e32 v71, s39, v71, vcc_lo
	s_delay_alu instid0(VALU_DEP_2) | instskip(NEXT) | instid1(VALU_DEP_2)
	v_add_co_u32 v69, vcc_lo, v72, v69
	v_add_co_ci_u32_e32 v70, vcc_lo, v71, v70, vcc_lo
	v_cmp_eq_u16_e32 vcc_lo, 2, v78
	s_clause 0x1
	global_load_b32 v90, v[69:70], off
	global_load_b64 v[69:70], v[69:70], off offset:8
	v_and_or_b32 v91, vcc_lo, v80, 0x80000000
	s_delay_alu instid0(VALU_DEP_1)
	v_ctz_i32_b32_e32 v91, v91
	s_waitcnt vmcnt(1)
	ds_bpermute_b32 v92, v79, v90
	s_waitcnt vmcnt(0)
	ds_bpermute_b32 v71, v79, v69
	ds_bpermute_b32 v72, v79, v70
	v_cmpx_lt_u32_e64 v115, v91
	s_cbranch_execz .LBB49_138
; %bb.137:                              ;   in Loop: Header=BB49_131 Depth=1
	s_waitcnt lgkmcnt(0)
	v_add_f64 v[71:72], v[69:70], v[71:72]
	v_cmp_eq_u32_e32 vcc_lo, 0, v90
	s_delay_alu instid0(VALU_DEP_2) | instskip(NEXT) | instid1(VALU_DEP_3)
	v_dual_cndmask_b32 v69, v69, v71 :: v_dual_add_nc_u32 v90, v92, v90
	v_cndmask_b32_e32 v70, v70, v72, vcc_lo
.LBB49_138:                             ;   in Loop: Header=BB49_131 Depth=1
	s_or_b32 exec_lo, exec_lo, s17
	s_waitcnt lgkmcnt(2)
	ds_bpermute_b32 v92, v81, v90
	s_waitcnt lgkmcnt(2)
	ds_bpermute_b32 v71, v81, v69
	s_waitcnt lgkmcnt(2)
	ds_bpermute_b32 v72, v81, v70
	s_mov_b32 s17, exec_lo
	v_cmpx_le_u32_e64 v82, v91
	s_cbranch_execz .LBB49_140
; %bb.139:                              ;   in Loop: Header=BB49_131 Depth=1
	s_waitcnt lgkmcnt(0)
	v_add_f64 v[71:72], v[69:70], v[71:72]
	v_cmp_eq_u32_e32 vcc_lo, 0, v90
	s_delay_alu instid0(VALU_DEP_2) | instskip(NEXT) | instid1(VALU_DEP_3)
	v_dual_cndmask_b32 v69, v69, v71 :: v_dual_add_nc_u32 v90, v92, v90
	v_cndmask_b32_e32 v70, v70, v72, vcc_lo
.LBB49_140:                             ;   in Loop: Header=BB49_131 Depth=1
	s_or_b32 exec_lo, exec_lo, s17
	s_waitcnt lgkmcnt(2)
	ds_bpermute_b32 v92, v83, v90
	s_waitcnt lgkmcnt(2)
	ds_bpermute_b32 v71, v83, v69
	s_waitcnt lgkmcnt(2)
	ds_bpermute_b32 v72, v83, v70
	s_mov_b32 s17, exec_lo
	v_cmpx_le_u32_e64 v84, v91
	;; [unrolled: 18-line block ×4, first 2 shown]
	s_cbranch_execz .LBB49_130
; %bb.145:                              ;   in Loop: Header=BB49_131 Depth=1
	s_waitcnt lgkmcnt(0)
	v_add_f64 v[71:72], v[69:70], v[71:72]
	v_cmp_eq_u32_e32 vcc_lo, 0, v90
	s_delay_alu instid0(VALU_DEP_2) | instskip(NEXT) | instid1(VALU_DEP_3)
	v_dual_cndmask_b32 v69, v69, v71 :: v_dual_add_nc_u32 v90, v92, v90
	v_cndmask_b32_e32 v70, v70, v72, vcc_lo
	s_branch .LBB49_130
.LBB49_146:                             ;   in Loop: Header=BB49_131 Depth=1
                                        ; implicit-def: $vgpr69_vgpr70
                                        ; implicit-def: $vgpr71
                                        ; implicit-def: $vgpr78
	s_cbranch_execz .LBB49_131
; %bb.147:
	s_and_saveexec_b32 s17, s14
	s_cbranch_execz .LBB49_149
; %bb.148:
	v_add_f64 v[65:66], v[63:64], v[67:68]
	v_cmp_eq_u32_e32 vcc_lo, 0, v77
	s_mov_b32 s19, 0
	s_add_i32 s18, s44, 32
	v_dual_mov_b32 v70, 0 :: v_dual_add_nc_u32 v69, v87, v77
	s_waitcnt lgkmcnt(0)
	v_dual_mov_b32 v71, 2 :: v_dual_mov_b32 v72, s18
	s_lshl_b64 s[20:21], s[18:19], 4
	s_delay_alu instid0(SALU_CYCLE_1) | instskip(SKIP_1) | instid1(VALU_DEP_4)
	s_add_u32 s18, s38, s20
	s_addc_u32 s19, s39, s21
	v_dual_cndmask_b32 v66, v64, v66 :: v_dual_cndmask_b32 v65, v63, v65
	s_clause 0x1
	global_store_b32 v70, v69, s[18:19]
	global_store_b64 v70, v[65:66], s[18:19] offset:8
	s_waitcnt_vscnt null, 0x0
	buffer_gl1_inv
	buffer_gl0_inv
	global_store_b8 v72, v71, s[40:41]
	ds_store_b32 v70, v77 offset:4096
	ds_store_b64 v70, v[63:64] offset:4104
	ds_store_b32 v70, v87 offset:4112
	ds_store_b64 v70, v[67:68] offset:4120
.LBB49_149:
	s_or_b32 exec_lo, exec_lo, s17
	s_delay_alu instid0(SALU_CYCLE_1)
	s_and_b32 exec_lo, exec_lo, s2
	s_cbranch_execz .LBB49_151
; %bb.150:
	v_mov_b32_e32 v63, 0
	ds_store_b32 v63, v87 offset:4240
	ds_store_b64 v63, v[67:68] offset:4248
.LBB49_151:
	s_or_b32 exec_lo, exec_lo, s16
	s_waitcnt lgkmcnt(2)
	v_cndmask_b32_e64 v119, v74, v73, s14
	s_waitcnt lgkmcnt(1)
	v_cndmask_b32_e64 v61, v75, v61, s14
	s_waitcnt lgkmcnt(0)
	s_waitcnt_vscnt null, 0x0
	s_barrier
	buffer_gl0_inv
	v_cmp_eq_u32_e32 vcc_lo, 0, v119
	v_mov_b32_e32 v114, 0
	v_cndmask_b32_e64 v62, v76, v62, s14
	ds_load_b64 v[63:64], v114 offset:4248
	s_waitcnt lgkmcnt(0)
	v_add_f64 v[65:66], v[61:62], v[63:64]
	s_delay_alu instid0(VALU_DEP_1)
	v_dual_cndmask_b32 v61, v61, v65 :: v_dual_cndmask_b32 v62, v62, v66
	v_cmp_eq_u32_e32 vcc_lo, 0, v113
	ds_load_b32 v66, v114 offset:4240
	s_waitcnt lgkmcnt(0)
	v_cndmask_b32_e64 v87, v61, v63, s2
	v_cndmask_b32_e64 v88, v62, v64, s2
	s_barrier
	buffer_gl0_inv
	ds_load_b64 v[63:64], v114 offset:4120
	ds_load_b64 v[117:118], v114 offset:4104
	ds_load_b32 v65, v114 offset:4112
	v_add_f64 v[61:62], v[53:54], v[87:88]
	s_delay_alu instid0(VALU_DEP_1) | instskip(NEXT) | instid1(VALU_DEP_1)
	v_dual_cndmask_b32 v90, v54, v62 :: v_dual_cndmask_b32 v89, v53, v61
	v_add_f64 v[61:62], v[55:56], v[89:90]
	s_delay_alu instid0(VALU_DEP_1) | instskip(NEXT) | instid1(VALU_DEP_2)
	v_cndmask_b32_e64 v94, v56, v62, s13
	v_cndmask_b32_e64 v93, v55, v61, s13
	s_delay_alu instid0(VALU_DEP_1) | instskip(NEXT) | instid1(VALU_DEP_1)
	v_add_f64 v[61:62], v[49:50], v[93:94]
	v_cndmask_b32_e64 v92, v50, v62, s12
	s_delay_alu instid0(VALU_DEP_2) | instskip(NEXT) | instid1(VALU_DEP_1)
	v_cndmask_b32_e64 v91, v49, v61, s12
	v_add_f64 v[61:62], v[51:52], v[91:92]
	s_delay_alu instid0(VALU_DEP_1) | instskip(NEXT) | instid1(VALU_DEP_2)
	v_cndmask_b32_e64 v76, v52, v62, s11
	v_cndmask_b32_e64 v75, v51, v61, s11
	s_delay_alu instid0(VALU_DEP_1) | instskip(NEXT) | instid1(VALU_DEP_1)
	v_add_f64 v[61:62], v[45:46], v[75:76]
	v_cndmask_b32_e64 v78, v46, v62, s10
	s_delay_alu instid0(VALU_DEP_2) | instskip(NEXT) | instid1(VALU_DEP_1)
	v_cndmask_b32_e64 v77, v45, v61, s10
	;; [unrolled: 9-line block ×5, first 2 shown]
	v_add_f64 v[61:62], v[35:36], v[71:72]
	s_delay_alu instid0(VALU_DEP_1) | instskip(NEXT) | instid1(VALU_DEP_2)
	v_cndmask_b32_e64 v74, v36, v62, s3
	v_cndmask_b32_e64 v73, v35, v61, s3
	s_delay_alu instid0(VALU_DEP_1) | instskip(NEXT) | instid1(VALU_DEP_1)
	v_add_f64 v[61:62], v[29:30], v[73:74]
	v_cndmask_b32_e64 v96, v30, v62, s1
	s_delay_alu instid0(VALU_DEP_2)
	v_cndmask_b32_e64 v95, v29, v61, s1
	ds_load_b32 v61, v114 offset:4096
	s_waitcnt lgkmcnt(2)
	v_add_f64 v[62:63], v[63:64], v[117:118]
	v_cndmask_b32_e64 v64, v119, 0, s2
	v_add_f64 v[85:86], v[31:32], v[95:96]
	s_waitcnt lgkmcnt(0)
	v_cmp_eq_u32_e32 vcc_lo, 0, v61
	s_delay_alu instid0(VALU_DEP_3) | instskip(SKIP_1) | instid1(VALU_DEP_4)
	v_add_nc_u32_e32 v114, v66, v64
	v_dual_cndmask_b32 v64, v118, v63 :: v_dual_cndmask_b32 v63, v117, v62
	v_cndmask_b32_e64 v86, v32, v86, s0
	v_cndmask_b32_e64 v85, v31, v85, s0
	s_branch .LBB49_180
.LBB49_152:
                                        ; implicit-def: $vgpr61
                                        ; implicit-def: $vgpr63_vgpr64
                                        ; implicit-def: $vgpr65
                                        ; implicit-def: $vgpr87_vgpr88
                                        ; implicit-def: $vgpr89_vgpr90
                                        ; implicit-def: $vgpr93_vgpr94
                                        ; implicit-def: $vgpr91_vgpr92
                                        ; implicit-def: $vgpr75_vgpr76
                                        ; implicit-def: $vgpr77_vgpr78
                                        ; implicit-def: $vgpr79_vgpr80
                                        ; implicit-def: $vgpr83_vgpr84
                                        ; implicit-def: $vgpr81_vgpr82
                                        ; implicit-def: $vgpr67_vgpr68
                                        ; implicit-def: $vgpr69_vgpr70
                                        ; implicit-def: $vgpr71_vgpr72
                                        ; implicit-def: $vgpr73_vgpr74
                                        ; implicit-def: $vgpr95_vgpr96
                                        ; implicit-def: $vgpr85_vgpr86
                                        ; implicit-def: $vgpr114
	s_cbranch_execz .LBB49_180
; %bb.153:
	s_and_b32 s0, s15, exec_lo
	v_dual_mov_b32 v66, v54 :: v_dual_mov_b32 v65, v53
	s_cselect_b32 s1, 0, s29
	s_cselect_b32 s0, 0, s28
	s_delay_alu instid0(SALU_CYCLE_1)
	s_cmp_eq_u64 s[0:1], 0
	s_cbranch_scc1 .LBB49_155
; %bb.154:
	v_mov_b32_e32 v61, 0
	global_load_b64 v[65:66], v61, s[0:1]
.LBB49_155:
	v_cmp_eq_u32_e32 vcc_lo, 0, v112
	v_cmp_eq_u32_e64 s0, 0, v111
	v_cmp_eq_u32_e64 s1, 0, v110
	;; [unrolled: 1-line block ×4, first 2 shown]
	v_dual_cndmask_b32 v62, v56, v98 :: v_dual_cndmask_b32 v61, v55, v97
	v_cmp_eq_u32_e64 s5, 0, v107
	v_cmp_eq_u32_e64 s6, 0, v105
	;; [unrolled: 1-line block ×4, first 2 shown]
	v_add_f64 v[61:62], v[49:50], v[61:62]
	v_cmp_eq_u32_e64 s11, 0, v102
	v_cmp_eq_u32_e64 s12, 0, v101
	;; [unrolled: 1-line block ×4, first 2 shown]
	v_add3_u32 v63, v116, v108, v107
	v_cmp_eq_u32_e64 s13, 0, v106
	s_mov_b32 s14, exec_lo
	s_delay_alu instid0(VALU_DEP_2) | instskip(NEXT) | instid1(VALU_DEP_1)
	v_add3_u32 v63, v63, v105, v104
	v_add3_u32 v63, v63, v103, v102
	s_delay_alu instid0(VALU_DEP_1) | instskip(NEXT) | instid1(VALU_DEP_1)
	v_add3_u32 v63, v63, v101, v100
	v_add3_u32 v67, v63, v99, v106
	v_and_b32_e32 v63, 15, v115
	s_delay_alu instid0(VALU_DEP_2) | instskip(SKIP_2) | instid1(VALU_DEP_1)
	v_mov_b32_dpp v64, v67 row_shr:1 row_mask:0xf bank_mask:0xf
	v_cndmask_b32_e64 v62, v50, v62, s0
	v_cndmask_b32_e64 v61, v49, v61, s0
	v_add_f64 v[61:62], v[51:52], v[61:62]
	s_delay_alu instid0(VALU_DEP_1) | instskip(NEXT) | instid1(VALU_DEP_2)
	v_cndmask_b32_e64 v62, v52, v62, s1
	v_cndmask_b32_e64 v61, v51, v61, s1
	s_delay_alu instid0(VALU_DEP_1) | instskip(NEXT) | instid1(VALU_DEP_1)
	v_add_f64 v[61:62], v[45:46], v[61:62]
	v_cndmask_b32_e64 v62, v46, v62, s3
	s_delay_alu instid0(VALU_DEP_2) | instskip(NEXT) | instid1(VALU_DEP_1)
	v_cndmask_b32_e64 v61, v45, v61, s3
	v_add_f64 v[61:62], v[47:48], v[61:62]
	s_delay_alu instid0(VALU_DEP_1) | instskip(NEXT) | instid1(VALU_DEP_2)
	v_cndmask_b32_e64 v62, v48, v62, s4
	v_cndmask_b32_e64 v61, v47, v61, s4
	s_delay_alu instid0(VALU_DEP_1) | instskip(NEXT) | instid1(VALU_DEP_1)
	v_add_f64 v[61:62], v[41:42], v[61:62]
	v_cndmask_b32_e64 v62, v42, v62, s5
	s_delay_alu instid0(VALU_DEP_2) | instskip(NEXT) | instid1(VALU_DEP_1)
	;; [unrolled: 9-line block ×5, first 2 shown]
	v_cndmask_b32_e64 v61, v29, v61, s9
	v_add_f64 v[61:62], v[31:32], v[61:62]
	s_delay_alu instid0(VALU_DEP_1) | instskip(NEXT) | instid1(VALU_DEP_2)
	v_cndmask_b32_e64 v62, v32, v62, s8
	v_cndmask_b32_e64 v61, v31, v61, s8
	s_delay_alu instid0(VALU_DEP_1) | instskip(NEXT) | instid1(VALU_DEP_1)
	v_add_f64 v[61:62], v[59:60], v[61:62]
	v_cndmask_b32_e64 v60, v60, v62, s13
	s_delay_alu instid0(VALU_DEP_2) | instskip(NEXT) | instid1(VALU_DEP_2)
	v_cndmask_b32_e64 v59, v59, v61, s13
	v_mov_b32_dpp v62, v60 row_shr:1 row_mask:0xf bank_mask:0xf
	s_delay_alu instid0(VALU_DEP_2)
	v_mov_b32_dpp v61, v59 row_shr:1 row_mask:0xf bank_mask:0xf
	v_cmpx_ne_u32_e32 0, v63
; %bb.156:
	s_delay_alu instid0(VALU_DEP_2) | instskip(SKIP_2) | instid1(VALU_DEP_2)
	v_add_f64 v[61:62], v[59:60], v[61:62]
	v_cmp_eq_u32_e64 s13, 0, v67
	v_add_nc_u32_e32 v67, v64, v67
	v_cndmask_b32_e64 v60, v60, v62, s13
	s_delay_alu instid0(VALU_DEP_4)
	v_cndmask_b32_e64 v59, v59, v61, s13
; %bb.157:
	s_or_b32 exec_lo, exec_lo, s14
	s_delay_alu instid0(VALU_DEP_3) | instskip(NEXT) | instid1(VALU_DEP_2)
	v_mov_b32_dpp v64, v67 row_shr:2 row_mask:0xf bank_mask:0xf
	v_mov_b32_dpp v61, v59 row_shr:2 row_mask:0xf bank_mask:0xf
	v_mov_b32_dpp v62, v60 row_shr:2 row_mask:0xf bank_mask:0xf
	s_mov_b32 s14, exec_lo
	v_cmpx_lt_u32_e32 1, v63
; %bb.158:
	s_delay_alu instid0(VALU_DEP_2) | instskip(SKIP_2) | instid1(VALU_DEP_2)
	v_add_f64 v[61:62], v[59:60], v[61:62]
	v_cmp_eq_u32_e64 s13, 0, v67
	v_add_nc_u32_e32 v67, v64, v67
	v_cndmask_b32_e64 v60, v60, v62, s13
	s_delay_alu instid0(VALU_DEP_4)
	v_cndmask_b32_e64 v59, v59, v61, s13
; %bb.159:
	s_or_b32 exec_lo, exec_lo, s14
	s_delay_alu instid0(VALU_DEP_3) | instskip(NEXT) | instid1(VALU_DEP_2)
	v_mov_b32_dpp v64, v67 row_shr:4 row_mask:0xf bank_mask:0xf
	v_mov_b32_dpp v61, v59 row_shr:4 row_mask:0xf bank_mask:0xf
	v_mov_b32_dpp v62, v60 row_shr:4 row_mask:0xf bank_mask:0xf
	s_mov_b32 s14, exec_lo
	v_cmpx_lt_u32_e32 3, v63
	;; [unrolled: 16-line block ×3, first 2 shown]
; %bb.162:
	s_delay_alu instid0(VALU_DEP_2) | instskip(SKIP_2) | instid1(VALU_DEP_2)
	v_add_f64 v[61:62], v[59:60], v[61:62]
	v_cmp_eq_u32_e64 s13, 0, v67
	v_add_nc_u32_e32 v67, v64, v67
	v_cndmask_b32_e64 v60, v60, v62, s13
	s_delay_alu instid0(VALU_DEP_4)
	v_cndmask_b32_e64 v59, v59, v61, s13
; %bb.163:
	s_or_b32 exec_lo, exec_lo, s14
	ds_swizzle_b32 v63, v67 offset:swizzle(BROADCAST,32,15)
	ds_swizzle_b32 v61, v59 offset:swizzle(BROADCAST,32,15)
	;; [unrolled: 1-line block ×3, first 2 shown]
	v_and_b32_e32 v64, 16, v115
	s_mov_b32 s14, exec_lo
	s_delay_alu instid0(VALU_DEP_1)
	v_cmpx_ne_u32_e32 0, v64
	s_cbranch_execz .LBB49_165
; %bb.164:
	s_waitcnt lgkmcnt(0)
	v_add_f64 v[61:62], v[59:60], v[61:62]
	v_cmp_eq_u32_e64 s13, 0, v67
	v_add_nc_u32_e32 v67, v63, v67
	s_delay_alu instid0(VALU_DEP_2) | instskip(NEXT) | instid1(VALU_DEP_4)
	v_cndmask_b32_e64 v60, v60, v62, s13
	v_cndmask_b32_e64 v59, v59, v61, s13
.LBB49_165:
	s_or_b32 exec_lo, exec_lo, s14
	s_waitcnt lgkmcnt(0)
	v_lshrrev_b32_e32 v62, 5, v0
	v_or_b32_e32 v61, 31, v0
	s_mov_b32 s14, exec_lo
	s_delay_alu instid0(VALU_DEP_2) | instskip(NEXT) | instid1(VALU_DEP_2)
	v_lshlrev_b32_e32 v68, 4, v62
	v_cmpx_eq_u32_e64 v61, v0
	s_cbranch_execz .LBB49_167
; %bb.166:
	ds_store_b32 v68, v67 offset:4128
	ds_store_b64 v68, v[59:60] offset:4136
.LBB49_167:
	s_or_b32 exec_lo, exec_lo, s14
	s_delay_alu instid0(SALU_CYCLE_1)
	s_mov_b32 s14, exec_lo
	s_waitcnt vmcnt(0) lgkmcnt(0)
	s_barrier
	buffer_gl0_inv
	v_cmpx_gt_u32_e32 8, v0
	s_cbranch_execz .LBB49_175
; %bb.168:
	v_lshlrev_b32_e32 v69, 4, v0
	v_and_b32_e32 v71, 7, v115
	s_mov_b32 s16, exec_lo
	ds_load_b32 v70, v69 offset:4128
	ds_load_b64 v[61:62], v69 offset:4136
	s_waitcnt lgkmcnt(1)
	v_mov_b32_dpp v72, v70 row_shr:1 row_mask:0xf bank_mask:0xf
	s_waitcnt lgkmcnt(0)
	v_mov_b32_dpp v63, v61 row_shr:1 row_mask:0xf bank_mask:0xf
	v_mov_b32_dpp v64, v62 row_shr:1 row_mask:0xf bank_mask:0xf
	v_cmpx_ne_u32_e32 0, v71
; %bb.169:
	s_delay_alu instid0(VALU_DEP_2) | instskip(SKIP_2) | instid1(VALU_DEP_2)
	v_add_f64 v[63:64], v[61:62], v[63:64]
	v_cmp_eq_u32_e64 s13, 0, v70
	v_add_nc_u32_e32 v70, v72, v70
	v_cndmask_b32_e64 v62, v62, v64, s13
	s_delay_alu instid0(VALU_DEP_4)
	v_cndmask_b32_e64 v61, v61, v63, s13
; %bb.170:
	s_or_b32 exec_lo, exec_lo, s16
	s_delay_alu instid0(VALU_DEP_3) | instskip(NEXT) | instid1(VALU_DEP_2)
	v_mov_b32_dpp v72, v70 row_shr:2 row_mask:0xf bank_mask:0xf
	v_mov_b32_dpp v63, v61 row_shr:2 row_mask:0xf bank_mask:0xf
	;; [unrolled: 1-line block ×3, first 2 shown]
	s_mov_b32 s16, exec_lo
	v_cmpx_lt_u32_e32 1, v71
; %bb.171:
	s_delay_alu instid0(VALU_DEP_2) | instskip(SKIP_2) | instid1(VALU_DEP_2)
	v_add_f64 v[63:64], v[61:62], v[63:64]
	v_cmp_eq_u32_e64 s13, 0, v70
	v_add_nc_u32_e32 v70, v72, v70
	v_cndmask_b32_e64 v62, v62, v64, s13
	s_delay_alu instid0(VALU_DEP_4)
	v_cndmask_b32_e64 v61, v61, v63, s13
; %bb.172:
	s_or_b32 exec_lo, exec_lo, s16
	s_delay_alu instid0(VALU_DEP_3) | instskip(NEXT) | instid1(VALU_DEP_2)
	v_mov_b32_dpp v72, v70 row_shr:4 row_mask:0xf bank_mask:0xf
	v_mov_b32_dpp v63, v61 row_shr:4 row_mask:0xf bank_mask:0xf
	;; [unrolled: 1-line block ×3, first 2 shown]
	s_mov_b32 s16, exec_lo
	v_cmpx_lt_u32_e32 3, v71
; %bb.173:
	s_delay_alu instid0(VALU_DEP_2) | instskip(SKIP_2) | instid1(VALU_DEP_2)
	v_add_f64 v[63:64], v[61:62], v[63:64]
	v_cmp_eq_u32_e64 s13, 0, v70
	v_add_nc_u32_e32 v70, v72, v70
	v_cndmask_b32_e64 v62, v62, v64, s13
	s_delay_alu instid0(VALU_DEP_4)
	v_cndmask_b32_e64 v61, v61, v63, s13
; %bb.174:
	s_or_b32 exec_lo, exec_lo, s16
	ds_store_b32 v69, v70 offset:4128
	ds_store_b64 v69, v[61:62] offset:4136
.LBB49_175:
	s_or_b32 exec_lo, exec_lo, s14
	v_dual_mov_b32 v63, 0 :: v_dual_mov_b32 v64, 0
	v_dual_mov_b32 v61, v65 :: v_dual_mov_b32 v62, v66
	s_mov_b32 s14, exec_lo
	s_waitcnt lgkmcnt(0)
	s_barrier
	buffer_gl0_inv
	v_cmpx_lt_u32_e32 31, v0
	s_cbranch_execz .LBB49_177
; %bb.176:
	ds_load_b64 v[61:62], v68 offset:4120
	ds_load_b32 v64, v68 offset:4112
	s_waitcnt lgkmcnt(1)
	v_add_f64 v[69:70], v[65:66], v[61:62]
	s_waitcnt lgkmcnt(0)
	v_cmp_eq_u32_e64 s13, 0, v64
	s_delay_alu instid0(VALU_DEP_1) | instskip(NEXT) | instid1(VALU_DEP_3)
	v_cndmask_b32_e64 v62, v62, v70, s13
	v_cndmask_b32_e64 v61, v61, v69, s13
.LBB49_177:
	s_or_b32 exec_lo, exec_lo, s14
	s_delay_alu instid0(VALU_DEP_1) | instskip(SKIP_1) | instid1(VALU_DEP_1)
	v_add_f64 v[68:69], v[59:60], v[61:62]
	v_add_nc_u32_e32 v70, -1, v115
	v_cmp_gt_i32_e64 s13, 0, v70
	s_delay_alu instid0(VALU_DEP_1) | instskip(SKIP_2) | instid1(VALU_DEP_3)
	v_cndmask_b32_e64 v70, v70, v115, s13
	v_cmp_eq_u32_e64 s13, 0, v67
	v_add_nc_u32_e32 v67, v64, v67
	v_lshlrev_b32_e32 v70, 2, v70
	ds_bpermute_b32 v67, v70, v67
	v_cndmask_b32_e64 v60, v60, v69, s13
	v_cndmask_b32_e64 v59, v59, v68, s13
	v_cmp_eq_u32_e64 s13, 0, v115
	ds_bpermute_b32 v60, v70, v60
	ds_bpermute_b32 v59, v70, v59
	s_waitcnt lgkmcnt(2)
	v_cndmask_b32_e64 v114, v67, v64, s13
	s_waitcnt lgkmcnt(1)
	v_cndmask_b32_e64 v88, v60, v62, s13
	;; [unrolled: 2-line block ×3, first 2 shown]
	v_cmp_eq_u32_e64 s13, 0, v113
	ds_load_b32 v61, v63 offset:4240
	v_cndmask_b32_e64 v60, v88, v66, s2
	v_cndmask_b32_e64 v59, v87, v65, s2
	s_delay_alu instid0(VALU_DEP_1) | instskip(NEXT) | instid1(VALU_DEP_1)
	v_add_f64 v[59:60], v[53:54], v[59:60]
	v_cndmask_b32_e64 v90, v54, v60, s13
	s_delay_alu instid0(VALU_DEP_2) | instskip(NEXT) | instid1(VALU_DEP_1)
	v_cndmask_b32_e64 v89, v53, v59, s13
	v_add_f64 v[53:54], v[55:56], v[89:90]
	s_delay_alu instid0(VALU_DEP_1) | instskip(SKIP_2) | instid1(VALU_DEP_2)
	v_dual_cndmask_b32 v94, v56, v54 :: v_dual_cndmask_b32 v93, v55, v53
	s_waitcnt lgkmcnt(0)
	v_cmp_eq_u32_e32 vcc_lo, 0, v61
	v_add_f64 v[53:54], v[49:50], v[93:94]
	s_delay_alu instid0(VALU_DEP_1) | instskip(NEXT) | instid1(VALU_DEP_2)
	v_cndmask_b32_e64 v92, v50, v54, s0
	v_cndmask_b32_e64 v91, v49, v53, s0
	s_delay_alu instid0(VALU_DEP_1) | instskip(NEXT) | instid1(VALU_DEP_1)
	v_add_f64 v[49:50], v[51:52], v[91:92]
	v_cndmask_b32_e64 v76, v52, v50, s1
	s_delay_alu instid0(VALU_DEP_2) | instskip(NEXT) | instid1(VALU_DEP_1)
	v_cndmask_b32_e64 v75, v51, v49, s1
	v_add_f64 v[49:50], v[45:46], v[75:76]
	s_delay_alu instid0(VALU_DEP_1) | instskip(NEXT) | instid1(VALU_DEP_2)
	v_cndmask_b32_e64 v78, v46, v50, s3
	v_cndmask_b32_e64 v77, v45, v49, s3
	s_delay_alu instid0(VALU_DEP_1) | instskip(NEXT) | instid1(VALU_DEP_1)
	v_add_f64 v[45:46], v[47:48], v[77:78]
	v_cndmask_b32_e64 v80, v48, v46, s4
	s_delay_alu instid0(VALU_DEP_2) | instskip(NEXT) | instid1(VALU_DEP_1)
	v_cndmask_b32_e64 v79, v47, v45, s4
	;; [unrolled: 9-line block ×4, first 2 shown]
	v_add_f64 v[37:38], v[33:34], v[69:70]
	s_delay_alu instid0(VALU_DEP_1) | instskip(NEXT) | instid1(VALU_DEP_2)
	v_cndmask_b32_e64 v72, v34, v38, s11
	v_cndmask_b32_e64 v71, v33, v37, s11
	s_delay_alu instid0(VALU_DEP_1) | instskip(NEXT) | instid1(VALU_DEP_1)
	v_add_f64 v[33:34], v[35:36], v[71:72]
	v_cndmask_b32_e64 v74, v36, v34, s12
	s_delay_alu instid0(VALU_DEP_2) | instskip(SKIP_2) | instid1(VALU_DEP_1)
	v_cndmask_b32_e64 v73, v35, v33, s12
	ds_load_b64 v[35:36], v63 offset:4248
	v_add_f64 v[33:34], v[29:30], v[73:74]
	v_cndmask_b32_e64 v96, v30, v34, s9
	s_delay_alu instid0(VALU_DEP_2) | instskip(SKIP_2) | instid1(VALU_DEP_2)
	v_cndmask_b32_e64 v95, v29, v33, s9
	s_waitcnt lgkmcnt(0)
	v_add_f64 v[29:30], v[65:66], v[35:36]
	v_add_f64 v[33:34], v[31:32], v[95:96]
	s_delay_alu instid0(VALU_DEP_2) | instskip(NEXT) | instid1(VALU_DEP_2)
	v_dual_cndmask_b32 v64, v36, v30 :: v_dual_cndmask_b32 v63, v35, v29
	v_cndmask_b32_e64 v86, v32, v34, s8
	s_delay_alu instid0(VALU_DEP_3)
	v_cndmask_b32_e64 v85, v31, v33, s8
	s_and_saveexec_b32 s0, s2
	s_cbranch_execz .LBB49_179
; %bb.178:
	v_dual_mov_b32 v114, 0 :: v_dual_mov_b32 v29, 2
	v_dual_mov_b32 v88, v66 :: v_dual_mov_b32 v87, v65
	s_clause 0x1
	global_store_b32 v114, v61, s[38:39] offset:512
	global_store_b64 v114, v[63:64], s[38:39] offset:520
	s_waitcnt_vscnt null, 0x0
	buffer_gl1_inv
	buffer_gl0_inv
	global_store_b8 v114, v29, s[40:41] offset:32
.LBB49_179:
	s_or_b32 exec_lo, exec_lo, s0
	v_mov_b32_e32 v65, 0
.LBB49_180:
	v_mov_b32_e32 v29, 0
	s_and_b32 s0, s15, exec_lo
	v_mov_b32_e32 v30, 0
	s_cselect_b32 s1, 0, s51
	s_cselect_b32 s0, 0, s50
	s_waitcnt_vscnt null, 0x0
	s_cmp_eq_u64 s[0:1], 0
	s_barrier
	buffer_gl0_inv
	s_cbranch_scc1 .LBB49_182
; %bb.181:
	v_mov_b32_e32 v29, 0
	global_load_b64 v[29:30], v29, s[0:1]
.LBB49_182:
	v_cmp_eq_u32_e32 vcc_lo, 0, v113
	v_add_nc_u32_e32 v46, v114, v113
	v_cmp_ne_u32_e64 s13, 0, v113
	v_cmp_ne_u32_e64 s12, 0, v112
	;; [unrolled: 1-line block ×3, first 2 shown]
	v_cndmask_b32_e64 v31, 1, 2, vcc_lo
	v_cmp_eq_u32_e32 vcc_lo, 0, v112
	v_add_nc_u32_e32 v48, v46, v112
	v_cmp_ne_u32_e64 s9, 0, v110
	v_cmp_ne_u32_e64 s15, 0, v109
	;; [unrolled: 1-line block ×3, first 2 shown]
	v_cndmask_b32_e64 v32, 1, 2, vcc_lo
	v_cmp_eq_u32_e32 vcc_lo, 0, v111
	v_add_nc_u32_e32 v47, v48, v111
	v_cmp_ne_u32_e64 s11, 0, v107
	s_delay_alu instid0(VALU_DEP_4)
	v_dual_mov_b32 v66, 0 :: v_dual_and_b32 v31, v32, v31
	v_cndmask_b32_e64 v33, 1, 2, vcc_lo
	v_cmp_eq_u32_e32 vcc_lo, 0, v110
	v_add_nc_u32_e32 v45, v47, v110
	v_cmp_ne_u32_e64 s8, 0, v105
	v_cmp_ne_u32_e64 s7, 0, v104
	v_and_b32_e32 v33, v31, v33
	v_cndmask_b32_e64 v34, 1, 2, vcc_lo
	v_cmp_eq_u32_e32 vcc_lo, 0, v109
	v_add_nc_u32_e32 v44, v45, v109
	s_waitcnt vmcnt(0)
	v_lshlrev_b64 v[31:32], 3, v[29:30]
	v_cmp_ne_u32_e64 s6, 0, v103
	v_and_b32_e32 v33, v33, v34
	v_cndmask_b32_e64 v35, 1, 2, vcc_lo
	v_cmp_eq_u32_e32 vcc_lo, 0, v108
	v_add_nc_u32_e32 v43, v44, v108
	v_cmp_ne_u32_e64 s5, 0, v102
	v_cmp_ne_u32_e64 s4, 0, v101
	v_and_b32_e32 v33, v33, v35
	v_cndmask_b32_e64 v34, 1, 2, vcc_lo
	v_cmp_eq_u32_e32 vcc_lo, 0, v107
	v_add_nc_u32_e32 v42, v43, v107
	v_cmp_ne_u32_e64 s3, 0, v100
	;; [unrolled: 6-line block ×3, first 2 shown]
	s_mov_b32 s17, -1
	v_and_b32_e32 v33, v33, v35
	v_cndmask_b32_e64 v34, 1, 2, vcc_lo
	v_cmp_eq_u32_e32 vcc_lo, 0, v104
	v_add_nc_u32_e32 v40, v41, v104
	s_delay_alu instid0(VALU_DEP_3) | instskip(SKIP_2) | instid1(VALU_DEP_4)
	v_and_b32_e32 v33, v33, v34
	v_cndmask_b32_e64 v35, 1, 2, vcc_lo
	v_cmp_eq_u32_e32 vcc_lo, 0, v103
	v_add_nc_u32_e32 v39, v40, v103
	s_delay_alu instid0(VALU_DEP_3) | instskip(SKIP_2) | instid1(VALU_DEP_4)
	v_and_b32_e32 v33, v33, v35
	v_cndmask_b32_e64 v34, 1, 2, vcc_lo
	v_cmp_eq_u32_e32 vcc_lo, 0, v102
	v_add_nc_u32_e32 v38, v39, v102
	s_delay_alu instid0(VALU_DEP_3) | instskip(SKIP_3) | instid1(VALU_DEP_3)
	v_and_b32_e32 v37, v33, v34
	v_cndmask_b32_e64 v35, 1, 2, vcc_lo
	v_cmp_eq_u32_e32 vcc_lo, 0, v101
	v_lshlrev_b64 v[33:34], 3, v[65:66]
	v_and_b32_e32 v35, v37, v35
	v_cndmask_b32_e64 v36, 1, 2, vcc_lo
	v_cmp_eq_u32_e32 vcc_lo, 0, v100
	v_add_nc_u32_e32 v37, v38, v101
	s_delay_alu instid0(VALU_DEP_3) | instskip(SKIP_3) | instid1(VALU_DEP_3)
	v_and_b32_e32 v52, v35, v36
	v_cndmask_b32_e64 v51, 1, 2, vcc_lo
	v_add_co_u32 v49, vcc_lo, s22, v31
	v_add_co_ci_u32_e32 v50, vcc_lo, s23, v32, vcc_lo
	v_and_b32_e32 v51, v52, v51
	s_delay_alu instid0(VALU_DEP_3) | instskip(NEXT) | instid1(VALU_DEP_3)
	v_add_co_u32 v49, vcc_lo, v49, v33
	v_add_co_ci_u32_e32 v50, vcc_lo, v50, v34, vcc_lo
	v_cmp_eq_u32_e32 vcc_lo, 0, v99
	v_add_nc_u32_e32 v36, v37, v100
	v_cndmask_b32_e64 v52, 1, 2, vcc_lo
	v_cmp_eq_u32_e32 vcc_lo, 0, v106
	s_delay_alu instid0(VALU_DEP_3) | instskip(NEXT) | instid1(VALU_DEP_3)
	v_add_nc_u32_e32 v35, v36, v99
	v_and_b32_e32 v51, v51, v52
	v_cndmask_b32_e64 v52, 1, 2, vcc_lo
	v_cmp_gt_u32_e32 vcc_lo, 0x100, v61
	s_delay_alu instid0(VALU_DEP_2) | instskip(NEXT) | instid1(VALU_DEP_1)
	v_and_b32_e32 v51, v51, v52
	v_cmp_gt_i16_e64 s16, 2, v51
	s_cbranch_vccz .LBB49_189
; %bb.183:
	s_delay_alu instid0(VALU_DEP_1)
	s_and_saveexec_b32 s17, s16
	s_cbranch_execz .LBB49_188
; %bb.184:
	s_mov_b32 s18, 0
	s_mov_b32 s16, exec_lo
	v_cmpx_ne_u16_e32 1, v51
	s_xor_b32 s16, exec_lo, s16
	s_cbranch_execnz .LBB49_221
; %bb.185:
	s_and_not1_saveexec_b32 s16, s16
	s_cbranch_execnz .LBB49_237
.LBB49_186:
	s_or_b32 exec_lo, exec_lo, s16
	s_delay_alu instid0(SALU_CYCLE_1)
	s_and_b32 exec_lo, exec_lo, s18
	s_cbranch_execz .LBB49_188
.LBB49_187:
	v_sub_nc_u32_e32 v52, v35, v65
	v_mov_b32_e32 v53, 0
	s_delay_alu instid0(VALU_DEP_1) | instskip(NEXT) | instid1(VALU_DEP_1)
	v_lshlrev_b64 v[52:53], 3, v[52:53]
	v_add_co_u32 v52, vcc_lo, v49, v52
	s_delay_alu instid0(VALU_DEP_2)
	v_add_co_ci_u32_e32 v53, vcc_lo, v50, v53, vcc_lo
	global_store_b64 v[52:53], v[57:58], off
.LBB49_188:
	s_or_b32 exec_lo, exec_lo, s17
	s_mov_b32 s17, 0
.LBB49_189:
	s_delay_alu instid0(SALU_CYCLE_1)
	s_and_b32 vcc_lo, exec_lo, s17
	s_cbranch_vccz .LBB49_199
; %bb.190:
	s_mov_b32 s16, exec_lo
	v_cmpx_gt_i16_e32 2, v51
	s_cbranch_execz .LBB49_195
; %bb.191:
	s_mov_b32 s18, 0
	s_mov_b32 s17, exec_lo
	v_cmpx_ne_u16_e32 1, v51
	s_xor_b32 s17, exec_lo, s17
	s_cbranch_execnz .LBB49_238
; %bb.192:
	s_and_not1_saveexec_b32 s0, s17
	s_cbranch_execnz .LBB49_254
.LBB49_193:
	s_or_b32 exec_lo, exec_lo, s0
	s_delay_alu instid0(SALU_CYCLE_1)
	s_and_b32 exec_lo, exec_lo, s18
	s_cbranch_execz .LBB49_195
.LBB49_194:
	v_sub_nc_u32_e32 v1, v35, v65
	s_delay_alu instid0(VALU_DEP_1)
	v_lshlrev_b32_e32 v1, 3, v1
	ds_store_b64 v1, v[57:58]
.LBB49_195:
	s_or_b32 exec_lo, exec_lo, s16
	s_delay_alu instid0(SALU_CYCLE_1)
	s_mov_b32 s1, exec_lo
	s_waitcnt lgkmcnt(0)
	s_waitcnt_vscnt null, 0x0
	s_barrier
	buffer_gl0_inv
	v_cmpx_lt_u32_e64 v0, v61
	s_cbranch_execz .LBB49_198
; %bb.196:
	v_dual_mov_b32 v2, 0 :: v_dual_lshlrev_b32 v3, 3, v0
	v_mov_b32_e32 v1, v0
	s_mov_b32 s3, 0
	.p2align	6
.LBB49_197:                             ; =>This Inner Loop Header: Depth=1
	ds_load_b64 v[4:5], v3
	v_lshlrev_b64 v[6:7], 3, v[1:2]
	v_add_nc_u32_e32 v1, 0x100, v1
	v_add_nc_u32_e32 v3, 0x800, v3
	s_delay_alu instid0(VALU_DEP_2) | instskip(NEXT) | instid1(VALU_DEP_4)
	v_cmp_ge_u32_e32 vcc_lo, v1, v61
	v_add_co_u32 v6, s0, v49, v6
	s_delay_alu instid0(VALU_DEP_1)
	v_add_co_ci_u32_e64 v7, s0, v50, v7, s0
	s_or_b32 s3, vcc_lo, s3
	s_waitcnt lgkmcnt(0)
	global_store_b64 v[6:7], v[4:5], off
	s_and_not1_b32 exec_lo, exec_lo, s3
	s_cbranch_execnz .LBB49_197
.LBB49_198:
	s_or_b32 exec_lo, exec_lo, s1
.LBB49_199:
	s_cmpk_lg_i32 s34, 0xf00
	v_cndmask_b32_e64 v1, 0, 1, s35
	s_cselect_b32 s0, -1, 0
	v_mad_i32_i24 v4, v0, -15, s34
	s_and_b32 s0, s0, s33
	s_and_b32 s1, s2, s35
	v_cndmask_b32_e64 v3, 0, 1, s0
	s_mul_hi_u32 s0, s34, 0x88888889
	v_sub_nc_u32_e32 v2, v61, v1
	s_lshr_b32 s0, s0, 3
	v_cndmask_b32_e64 v5, v113, 0, s1
	v_cmp_eq_u32_e32 vcc_lo, s0, v0
	v_cmp_ne_u32_e64 s0, 0, v4
	s_mov_b32 s16, -1
	s_waitcnt_vscnt null, 0x0
	s_barrier
	s_and_b32 vcc_lo, vcc_lo, s33
	v_add_nc_u32_e32 v3, v2, v3
	v_cndmask_b32_e64 v2, 1, v5, s0
	v_cmp_ne_u32_e64 s0, 1, v4
	buffer_gl0_inv
	v_cndmask_b32_e32 v2, v5, v2, vcc_lo
	v_cndmask_b32_e64 v6, 1, v112, s0
	v_cmp_ne_u32_e64 s0, 14, v4
	s_delay_alu instid0(VALU_DEP_3) | instskip(NEXT) | instid1(VALU_DEP_3)
	v_cmp_ne_u32_e64 s14, 0, v2
	v_cndmask_b32_e32 v11, v112, v6, vcc_lo
	s_delay_alu instid0(VALU_DEP_3) | instskip(SKIP_1) | instid1(VALU_DEP_3)
	v_cndmask_b32_e64 v7, 1, v106, s0
	v_cmp_ne_u32_e64 s0, 2, v4
	v_cmp_ne_u32_e64 s13, 0, v11
	s_delay_alu instid0(VALU_DEP_3) | instskip(NEXT) | instid1(VALU_DEP_3)
	v_cndmask_b32_e32 v10, v106, v7, vcc_lo
	v_cndmask_b32_e64 v8, 1, v111, s0
	v_cmp_ne_u32_e64 s0, 3, v4
	s_delay_alu instid0(VALU_DEP_1) | instskip(SKIP_1) | instid1(VALU_DEP_2)
	v_cndmask_b32_e64 v9, 1, v110, s0
	v_cmp_ne_u32_e64 s0, 4, v4
	v_dual_cndmask_b32 v8, v111, v8 :: v_dual_cndmask_b32 v9, v110, v9
	s_delay_alu instid0(VALU_DEP_2) | instskip(SKIP_1) | instid1(VALU_DEP_3)
	v_cndmask_b32_e64 v5, 1, v109, s0
	v_cmp_ne_u32_e64 s0, 5, v4
	v_cmp_ne_u32_e64 s12, 0, v8
	s_delay_alu instid0(VALU_DEP_4) | instskip(NEXT) | instid1(VALU_DEP_4)
	v_cmp_ne_u32_e64 s11, 0, v9
	v_cndmask_b32_e32 v16, v109, v5, vcc_lo
	s_delay_alu instid0(VALU_DEP_4) | instskip(SKIP_1) | instid1(VALU_DEP_3)
	v_cndmask_b32_e64 v6, 1, v108, s0
	v_cmp_eq_u32_e64 s0, 0, v2
	v_cmp_ne_u32_e64 s10, 0, v16
	s_delay_alu instid0(VALU_DEP_2) | instskip(SKIP_1) | instid1(VALU_DEP_1)
	v_cndmask_b32_e64 v7, 1, 2, s0
	v_cmp_eq_u32_e64 s0, 0, v11
	v_cndmask_b32_e64 v12, 1, 2, s0
	v_cmp_ne_u32_e64 s0, 6, v4
	s_delay_alu instid0(VALU_DEP_2) | instskip(NEXT) | instid1(VALU_DEP_2)
	v_and_b32_e32 v7, v12, v7
	v_cndmask_b32_e64 v13, 1, v107, s0
	v_cmp_eq_u32_e64 s0, 0, v8
	s_delay_alu instid0(VALU_DEP_2) | instskip(NEXT) | instid1(VALU_DEP_2)
	v_cndmask_b32_e32 v13, v107, v13, vcc_lo
	v_cndmask_b32_e64 v12, 1, 2, s0
	v_cmp_ne_u32_e64 s0, 7, v4
	s_delay_alu instid0(VALU_DEP_3) | instskip(NEXT) | instid1(VALU_DEP_2)
	v_cmp_ne_u32_e64 s8, 0, v13
	v_cndmask_b32_e64 v14, 1, v105, s0
	v_cmp_ne_u32_e64 s0, 8, v4
	s_delay_alu instid0(VALU_DEP_2) | instskip(NEXT) | instid1(VALU_DEP_2)
	v_dual_cndmask_b32 v14, v105, v14 :: v_dual_and_b32 v7, v7, v12
	v_cndmask_b32_e64 v15, 1, v104, s0
	v_cmp_eq_u32_e64 s0, 0, v9
	s_delay_alu instid0(VALU_DEP_3) | instskip(NEXT) | instid1(VALU_DEP_2)
	v_cmp_ne_u32_e64 s7, 0, v14
	v_cndmask_b32_e64 v12, 1, 2, s0
	v_cmp_ne_u32_e64 s0, 9, v4
	s_delay_alu instid0(VALU_DEP_2) | instskip(NEXT) | instid1(VALU_DEP_2)
	v_dual_cndmask_b32 v17, v108, v6 :: v_dual_and_b32 v6, v7, v12
	v_cndmask_b32_e64 v5, 1, v103, s0
	v_cmp_eq_u32_e64 s0, 0, v16
	s_delay_alu instid0(VALU_DEP_3) | instskip(NEXT) | instid1(VALU_DEP_3)
	v_cmp_ne_u32_e64 s9, 0, v17
	v_cndmask_b32_e32 v21, v103, v5, vcc_lo
	s_delay_alu instid0(VALU_DEP_3) | instskip(SKIP_1) | instid1(VALU_DEP_3)
	v_cndmask_b32_e64 v7, 1, 2, s0
	v_cmp_ne_u32_e64 s0, 10, v4
	v_cmp_ne_u32_e64 s5, 0, v21
	s_delay_alu instid0(VALU_DEP_3) | instskip(NEXT) | instid1(VALU_DEP_3)
	v_and_b32_e32 v6, v6, v7
	v_cndmask_b32_e64 v12, 1, v102, s0
	v_cmp_ne_u32_e64 s0, 12, v4
	s_delay_alu instid0(VALU_DEP_2) | instskip(NEXT) | instid1(VALU_DEP_2)
	v_cndmask_b32_e32 v12, v102, v12, vcc_lo
	v_cndmask_b32_e64 v18, 1, v100, s0
	v_cmp_eq_u32_e64 s0, 0, v17
	s_delay_alu instid0(VALU_DEP_2) | instskip(NEXT) | instid1(VALU_DEP_2)
	v_cndmask_b32_e32 v18, v100, v18, vcc_lo
	v_cndmask_b32_e64 v7, 1, 2, s0
	v_cmp_ne_u32_e64 s0, 13, v4
	s_delay_alu instid0(VALU_DEP_3) | instskip(NEXT) | instid1(VALU_DEP_3)
	v_cmp_ne_u32_e64 s2, 0, v18
	v_and_b32_e32 v6, v6, v7
	s_delay_alu instid0(VALU_DEP_3) | instskip(SKIP_1) | instid1(VALU_DEP_2)
	v_cndmask_b32_e64 v19, 1, v99, s0
	v_cmp_eq_u32_e64 s0, 0, v13
	v_cndmask_b32_e32 v19, v99, v19, vcc_lo
	s_delay_alu instid0(VALU_DEP_2) | instskip(SKIP_1) | instid1(VALU_DEP_3)
	v_cndmask_b32_e64 v7, 1, 2, s0
	v_cmp_ne_u32_e64 s0, 11, v4
	v_cmp_ne_u32_e64 s1, 0, v19
	s_delay_alu instid0(VALU_DEP_3) | instskip(NEXT) | instid1(VALU_DEP_3)
	v_and_b32_e32 v6, v6, v7
	v_cndmask_b32_e64 v4, 1, v101, s0
	v_cmp_eq_u32_e64 s0, 0, v14
	s_delay_alu instid0(VALU_DEP_2) | instskip(NEXT) | instid1(VALU_DEP_2)
	v_dual_cndmask_b32 v15, v104, v15 :: v_dual_cndmask_b32 v20, v101, v4
	v_cndmask_b32_e64 v7, 1, 2, s0
	s_delay_alu instid0(VALU_DEP_2)
	v_cmp_eq_u32_e32 vcc_lo, 0, v15
	v_cmp_ne_u32_e64 s6, 0, v15
	v_cmp_ne_u32_e64 s0, 0, v10
	;; [unrolled: 1-line block ×3, first 2 shown]
	v_and_b32_e32 v4, v6, v7
	v_cndmask_b32_e64 v5, 1, 2, vcc_lo
	v_add_co_u32 v6, vcc_lo, s24, v31
	v_add_co_ci_u32_e32 v7, vcc_lo, s25, v32, vcc_lo
	v_cmp_eq_u32_e32 vcc_lo, 0, v21
	s_delay_alu instid0(VALU_DEP_4)
	v_and_b32_e32 v22, v4, v5
	v_cndmask_b32_e64 v23, 1, 2, vcc_lo
	v_add_co_u32 v4, vcc_lo, v6, v33
	v_add_co_ci_u32_e32 v5, vcc_lo, v7, v34, vcc_lo
	v_lshlrev_b32_e32 v6, 3, v1
	v_add_nc_u32_e32 v1, v65, v1
	v_cmp_eq_u32_e32 vcc_lo, 0, v12
	v_and_b32_e32 v7, v22, v23
	v_cmp_ne_u32_e64 s4, 0, v12
	v_cndmask_b32_e64 v22, 1, 2, vcc_lo
	v_add_co_u32 v6, vcc_lo, v6, v4
	v_add_co_ci_u32_e32 v23, vcc_lo, 0, v5, vcc_lo
	v_cmp_eq_u32_e32 vcc_lo, 0, v20
	s_delay_alu instid0(VALU_DEP_4) | instskip(SKIP_4) | instid1(VALU_DEP_4)
	v_and_b32_e32 v22, v7, v22
	v_cndmask_b32_e64 v24, 1, 2, vcc_lo
	v_add_co_u32 v6, vcc_lo, v6, -8
	v_add_co_ci_u32_e32 v7, vcc_lo, -1, v23, vcc_lo
	v_cmp_eq_u32_e32 vcc_lo, 0, v18
	v_and_b32_e32 v22, v22, v24
	v_cndmask_b32_e64 v23, 1, 2, vcc_lo
	v_cmp_eq_u32_e32 vcc_lo, 0, v19
	s_delay_alu instid0(VALU_DEP_2) | instskip(SKIP_2) | instid1(VALU_DEP_2)
	v_and_b32_e32 v2, v22, v23
	v_cndmask_b32_e64 v8, 1, 2, vcc_lo
	v_cmp_eq_u32_e32 vcc_lo, 0, v10
	v_and_b32_e32 v2, v2, v8
	v_cndmask_b32_e64 v8, 1, 2, vcc_lo
	v_cmp_gt_u32_e32 vcc_lo, 0x100, v3
	s_delay_alu instid0(VALU_DEP_2) | instskip(NEXT) | instid1(VALU_DEP_1)
	v_and_b32_e32 v2, v2, v8
	v_cmp_gt_i16_e64 s15, 2, v2
	s_cbranch_vccnz .LBB49_203
; %bb.200:
	s_and_b32 vcc_lo, exec_lo, s16
	s_cbranch_vccnz .LBB49_209
.LBB49_201:
	v_cmp_eq_u32_e32 vcc_lo, 0xff, v0
	s_and_b32 s0, vcc_lo, s33
	s_delay_alu instid0(SALU_CYCLE_1)
	s_and_saveexec_b32 s1, s0
	s_cbranch_execnz .LBB49_218
.LBB49_202:
	s_nop 0
	s_sendmsg sendmsg(MSG_DEALLOC_VGPRS)
	s_endpgm
.LBB49_203:
	s_delay_alu instid0(VALU_DEP_1)
	s_and_saveexec_b32 s16, s15
	s_cbranch_execz .LBB49_208
; %bb.204:
	s_mov_b32 s17, 0
	s_mov_b32 s15, exec_lo
	v_cmpx_ne_u16_e32 1, v2
	s_xor_b32 s15, exec_lo, s15
	s_cbranch_execnz .LBB49_255
; %bb.205:
	s_and_not1_saveexec_b32 s15, s15
	s_cbranch_execnz .LBB49_271
.LBB49_206:
	s_or_b32 exec_lo, exec_lo, s15
	s_delay_alu instid0(SALU_CYCLE_1)
	s_and_b32 exec_lo, exec_lo, s17
	s_cbranch_execz .LBB49_208
.LBB49_207:
	v_sub_nc_u32_e32 v8, v35, v1
	v_mov_b32_e32 v9, 0
	s_delay_alu instid0(VALU_DEP_1) | instskip(NEXT) | instid1(VALU_DEP_1)
	v_lshlrev_b64 v[8:9], 3, v[8:9]
	v_add_co_u32 v8, vcc_lo, v6, v8
	s_delay_alu instid0(VALU_DEP_2)
	v_add_co_ci_u32_e32 v9, vcc_lo, v7, v9, vcc_lo
	global_store_b64 v[8:9], v[85:86], off
.LBB49_208:
	s_or_b32 exec_lo, exec_lo, s16
	s_branch .LBB49_201
.LBB49_209:
	s_mov_b32 s15, exec_lo
	v_cmpx_gt_i16_e32 2, v2
	s_cbranch_execz .LBB49_214
; %bb.210:
	s_mov_b32 s17, 0
	s_mov_b32 s16, exec_lo
	v_cmpx_ne_u16_e32 1, v2
	s_xor_b32 s16, exec_lo, s16
	s_cbranch_execnz .LBB49_272
; %bb.211:
	s_and_not1_saveexec_b32 s0, s16
	s_cbranch_execnz .LBB49_288
.LBB49_212:
	s_or_b32 exec_lo, exec_lo, s0
	s_delay_alu instid0(SALU_CYCLE_1)
	s_and_b32 exec_lo, exec_lo, s17
	s_cbranch_execz .LBB49_214
.LBB49_213:
	v_sub_nc_u32_e32 v1, v35, v1
	s_delay_alu instid0(VALU_DEP_1)
	v_lshlrev_b32_e32 v1, 3, v1
	ds_store_b64 v1, v[85:86]
.LBB49_214:
	s_or_b32 exec_lo, exec_lo, s15
	s_delay_alu instid0(SALU_CYCLE_1)
	s_mov_b32 s1, exec_lo
	s_waitcnt lgkmcnt(0)
	s_waitcnt_vscnt null, 0x0
	s_barrier
	buffer_gl0_inv
	v_cmpx_lt_u32_e64 v0, v3
	s_cbranch_execz .LBB49_217
; %bb.215:
	v_dual_mov_b32 v1, v0 :: v_dual_lshlrev_b32 v8, 3, v0
	v_mov_b32_e32 v2, 0
	s_mov_b32 s2, 0
	.p2align	6
.LBB49_216:                             ; =>This Inner Loop Header: Depth=1
	ds_load_b64 v[9:10], v8
	v_lshlrev_b64 v[11:12], 3, v[1:2]
	v_add_nc_u32_e32 v1, 0x100, v1
	v_add_nc_u32_e32 v8, 0x800, v8
	s_delay_alu instid0(VALU_DEP_2) | instskip(NEXT) | instid1(VALU_DEP_4)
	v_cmp_ge_u32_e32 vcc_lo, v1, v3
	v_add_co_u32 v11, s0, v6, v11
	s_delay_alu instid0(VALU_DEP_1)
	v_add_co_ci_u32_e64 v12, s0, v7, v12, s0
	s_or_b32 s2, vcc_lo, s2
	s_waitcnt lgkmcnt(0)
	global_store_b64 v[11:12], v[9:10], off
	s_and_not1_b32 exec_lo, exec_lo, s2
	s_cbranch_execnz .LBB49_216
.LBB49_217:
	s_or_b32 exec_lo, exec_lo, s1
	v_cmp_eq_u32_e32 vcc_lo, 0xff, v0
	s_and_b32 s0, vcc_lo, s33
	s_delay_alu instid0(SALU_CYCLE_1)
	s_and_saveexec_b32 s1, s0
	s_cbranch_execz .LBB49_202
.LBB49_218:
	v_add_co_u32 v0, s0, v61, v65
	s_delay_alu instid0(VALU_DEP_1) | instskip(SKIP_1) | instid1(VALU_DEP_3)
	v_add_co_ci_u32_e64 v1, null, 0, 0, s0
	v_mov_b32_e32 v62, 0
	v_add_co_u32 v0, vcc_lo, v0, v29
	s_delay_alu instid0(VALU_DEP_3)
	v_add_co_ci_u32_e32 v1, vcc_lo, v1, v30, vcc_lo
	s_cmpk_lg_i32 s34, 0xf00
	global_store_b64 v62, v[0:1], s[26:27]
	s_cbranch_scc1 .LBB49_202
; %bb.219:
	v_lshlrev_b64 v[0:1], 3, v[61:62]
	s_delay_alu instid0(VALU_DEP_1) | instskip(NEXT) | instid1(VALU_DEP_2)
	v_add_co_u32 v0, vcc_lo, v4, v0
	v_add_co_ci_u32_e32 v1, vcc_lo, v5, v1, vcc_lo
	global_store_b64 v[0:1], v[63:64], off offset:-8
	s_nop 0
	s_sendmsg sendmsg(MSG_DEALLOC_VGPRS)
	s_endpgm
.LBB49_220:
	s_or_b32 exec_lo, exec_lo, s4
	v_mov_b32_e32 v113, s1
	s_and_saveexec_b32 s0, s45
	s_cbranch_execnz .LBB49_88
	s_branch .LBB49_89
.LBB49_221:
	s_and_saveexec_b32 s18, s13
	s_cbranch_execnz .LBB49_289
; %bb.222:
	s_or_b32 exec_lo, exec_lo, s18
	s_and_saveexec_b32 s18, s12
	s_cbranch_execnz .LBB49_290
.LBB49_223:
	s_or_b32 exec_lo, exec_lo, s18
	s_and_saveexec_b32 s18, s10
	s_cbranch_execnz .LBB49_291
.LBB49_224:
	s_or_b32 exec_lo, exec_lo, s18
	s_and_saveexec_b32 s18, s9
	s_cbranch_execnz .LBB49_292
.LBB49_225:
	s_or_b32 exec_lo, exec_lo, s18
	s_and_saveexec_b32 s18, s15
	s_cbranch_execnz .LBB49_293
.LBB49_226:
	s_or_b32 exec_lo, exec_lo, s18
	s_and_saveexec_b32 s18, s14
	s_cbranch_execnz .LBB49_294
.LBB49_227:
	s_or_b32 exec_lo, exec_lo, s18
	s_and_saveexec_b32 s18, s11
	s_cbranch_execnz .LBB49_295
.LBB49_228:
	s_or_b32 exec_lo, exec_lo, s18
	s_and_saveexec_b32 s18, s8
	s_cbranch_execnz .LBB49_296
.LBB49_229:
	s_or_b32 exec_lo, exec_lo, s18
	s_and_saveexec_b32 s18, s7
	s_cbranch_execnz .LBB49_297
.LBB49_230:
	s_or_b32 exec_lo, exec_lo, s18
	s_and_saveexec_b32 s18, s6
	s_cbranch_execnz .LBB49_298
.LBB49_231:
	s_or_b32 exec_lo, exec_lo, s18
	s_and_saveexec_b32 s18, s5
	s_cbranch_execnz .LBB49_299
.LBB49_232:
	s_or_b32 exec_lo, exec_lo, s18
	s_and_saveexec_b32 s18, s4
	s_cbranch_execnz .LBB49_300
.LBB49_233:
	s_or_b32 exec_lo, exec_lo, s18
	s_and_saveexec_b32 s18, s3
	s_cbranch_execnz .LBB49_301
.LBB49_234:
	s_or_b32 exec_lo, exec_lo, s18
	s_and_saveexec_b32 s18, s1
	s_cbranch_execz .LBB49_236
.LBB49_235:
	v_sub_nc_u32_e32 v52, v36, v65
	v_mov_b32_e32 v53, 0
	s_delay_alu instid0(VALU_DEP_1) | instskip(NEXT) | instid1(VALU_DEP_1)
	v_lshlrev_b64 v[52:53], 3, v[52:53]
	v_add_co_u32 v52, vcc_lo, v49, v52
	s_delay_alu instid0(VALU_DEP_2)
	v_add_co_ci_u32_e32 v53, vcc_lo, v50, v53, vcc_lo
	global_store_b64 v[52:53], v[3:4], off
.LBB49_236:
	s_or_b32 exec_lo, exec_lo, s18
	s_delay_alu instid0(SALU_CYCLE_1)
	s_and_b32 s18, s0, exec_lo
	s_and_not1_saveexec_b32 s16, s16
	s_cbranch_execz .LBB49_186
.LBB49_237:
	v_sub_nc_u32_e32 v52, v114, v65
	v_mov_b32_e32 v53, 0
	s_or_b32 s18, s18, exec_lo
	s_delay_alu instid0(VALU_DEP_1) | instskip(SKIP_1) | instid1(VALU_DEP_1)
	v_lshlrev_b64 v[54:55], 3, v[52:53]
	v_sub_nc_u32_e32 v52, v46, v65
	v_lshlrev_b64 v[59:60], 3, v[52:53]
	v_sub_nc_u32_e32 v52, v48, v65
	s_delay_alu instid0(VALU_DEP_4) | instskip(SKIP_1) | instid1(VALU_DEP_3)
	v_add_co_u32 v54, vcc_lo, v49, v54
	v_add_co_ci_u32_e32 v55, vcc_lo, v50, v55, vcc_lo
	v_lshlrev_b64 v[97:98], 3, v[52:53]
	v_sub_nc_u32_e32 v52, v47, v65
	v_add_co_u32 v59, vcc_lo, v49, v59
	v_add_co_ci_u32_e32 v60, vcc_lo, v50, v60, vcc_lo
	global_store_b64 v[54:55], v[25:26], off
	v_lshlrev_b64 v[54:55], 3, v[52:53]
	v_sub_nc_u32_e32 v52, v45, v65
	global_store_b64 v[59:60], v[27:28], off
	v_add_co_u32 v59, vcc_lo, v49, v97
	v_add_co_ci_u32_e32 v60, vcc_lo, v50, v98, vcc_lo
	v_lshlrev_b64 v[97:98], 3, v[52:53]
	v_sub_nc_u32_e32 v52, v44, v65
	v_add_co_u32 v54, vcc_lo, v49, v54
	v_add_co_ci_u32_e32 v55, vcc_lo, v50, v55, vcc_lo
	s_delay_alu instid0(VALU_DEP_3) | instskip(SKIP_3) | instid1(VALU_DEP_3)
	v_lshlrev_b64 v[115:116], 3, v[52:53]
	v_sub_nc_u32_e32 v52, v43, v65
	v_add_co_u32 v97, vcc_lo, v49, v97
	v_add_co_ci_u32_e32 v98, vcc_lo, v50, v98, vcc_lo
	v_lshlrev_b64 v[117:118], 3, v[52:53]
	v_sub_nc_u32_e32 v52, v42, v65
	v_add_co_u32 v115, vcc_lo, v49, v115
	v_add_co_ci_u32_e32 v116, vcc_lo, v50, v116, vcc_lo
	s_clause 0x3
	global_store_b64 v[59:60], v[21:22], off
	global_store_b64 v[54:55], v[23:24], off
	;; [unrolled: 1-line block ×4, first 2 shown]
	v_lshlrev_b64 v[54:55], 3, v[52:53]
	v_sub_nc_u32_e32 v52, v41, v65
	v_add_co_u32 v59, vcc_lo, v49, v117
	v_add_co_ci_u32_e32 v60, vcc_lo, v50, v118, vcc_lo
	s_delay_alu instid0(VALU_DEP_3) | instskip(SKIP_3) | instid1(VALU_DEP_3)
	v_lshlrev_b64 v[97:98], 3, v[52:53]
	v_sub_nc_u32_e32 v52, v40, v65
	v_add_co_u32 v54, vcc_lo, v49, v54
	v_add_co_ci_u32_e32 v55, vcc_lo, v50, v55, vcc_lo
	v_lshlrev_b64 v[115:116], 3, v[52:53]
	v_sub_nc_u32_e32 v52, v39, v65
	v_add_co_u32 v97, vcc_lo, v49, v97
	v_add_co_ci_u32_e32 v98, vcc_lo, v50, v98, vcc_lo
	s_delay_alu instid0(VALU_DEP_3)
	v_lshlrev_b64 v[117:118], 3, v[52:53]
	v_sub_nc_u32_e32 v52, v38, v65
	v_add_co_u32 v115, vcc_lo, v49, v115
	v_add_co_ci_u32_e32 v116, vcc_lo, v50, v116, vcc_lo
	s_clause 0x3
	global_store_b64 v[59:60], v[13:14], off
	global_store_b64 v[54:55], v[15:16], off
	;; [unrolled: 1-line block ×4, first 2 shown]
	v_lshlrev_b64 v[54:55], 3, v[52:53]
	v_sub_nc_u32_e32 v52, v37, v65
	v_add_co_u32 v59, vcc_lo, v49, v117
	v_add_co_ci_u32_e32 v60, vcc_lo, v50, v118, vcc_lo
	s_delay_alu instid0(VALU_DEP_3) | instskip(SKIP_3) | instid1(VALU_DEP_3)
	v_lshlrev_b64 v[97:98], 3, v[52:53]
	v_sub_nc_u32_e32 v52, v36, v65
	v_add_co_u32 v54, vcc_lo, v49, v54
	v_add_co_ci_u32_e32 v55, vcc_lo, v50, v55, vcc_lo
	v_lshlrev_b64 v[52:53], 3, v[52:53]
	v_add_co_u32 v97, vcc_lo, v49, v97
	v_add_co_ci_u32_e32 v98, vcc_lo, v50, v98, vcc_lo
	s_clause 0x2
	global_store_b64 v[59:60], v[5:6], off
	global_store_b64 v[54:55], v[7:8], off
	global_store_b64 v[97:98], v[1:2], off
	v_add_co_u32 v52, vcc_lo, v49, v52
	v_add_co_ci_u32_e32 v53, vcc_lo, v50, v53, vcc_lo
	global_store_b64 v[52:53], v[3:4], off
	s_or_b32 exec_lo, exec_lo, s16
	s_delay_alu instid0(SALU_CYCLE_1)
	s_and_b32 exec_lo, exec_lo, s18
	s_cbranch_execnz .LBB49_187
	s_branch .LBB49_188
.LBB49_238:
	s_and_saveexec_b32 s18, s13
	s_cbranch_execnz .LBB49_302
; %bb.239:
	s_or_b32 exec_lo, exec_lo, s18
	s_and_saveexec_b32 s13, s12
	s_cbranch_execnz .LBB49_303
.LBB49_240:
	s_or_b32 exec_lo, exec_lo, s13
	s_and_saveexec_b32 s12, s10
	s_cbranch_execnz .LBB49_304
.LBB49_241:
	s_or_b32 exec_lo, exec_lo, s12
	s_and_saveexec_b32 s10, s9
	s_cbranch_execnz .LBB49_305
.LBB49_242:
	s_or_b32 exec_lo, exec_lo, s10
	s_and_saveexec_b32 s9, s15
	s_cbranch_execnz .LBB49_306
.LBB49_243:
	s_or_b32 exec_lo, exec_lo, s9
	s_and_saveexec_b32 s9, s14
	s_cbranch_execnz .LBB49_307
.LBB49_244:
	s_or_b32 exec_lo, exec_lo, s9
	s_and_saveexec_b32 s9, s11
	s_cbranch_execnz .LBB49_308
.LBB49_245:
	s_or_b32 exec_lo, exec_lo, s9
	s_and_saveexec_b32 s9, s8
	s_cbranch_execnz .LBB49_309
.LBB49_246:
	s_or_b32 exec_lo, exec_lo, s9
	s_and_saveexec_b32 s8, s7
	s_cbranch_execnz .LBB49_310
.LBB49_247:
	s_or_b32 exec_lo, exec_lo, s8
	s_and_saveexec_b32 s7, s6
	s_cbranch_execnz .LBB49_311
.LBB49_248:
	s_or_b32 exec_lo, exec_lo, s7
	s_and_saveexec_b32 s6, s5
	s_cbranch_execnz .LBB49_312
.LBB49_249:
	s_or_b32 exec_lo, exec_lo, s6
	s_and_saveexec_b32 s5, s4
	s_cbranch_execnz .LBB49_313
.LBB49_250:
	s_or_b32 exec_lo, exec_lo, s5
	s_and_saveexec_b32 s4, s3
	s_cbranch_execnz .LBB49_314
.LBB49_251:
	s_or_b32 exec_lo, exec_lo, s4
	s_and_saveexec_b32 s3, s1
	s_cbranch_execz .LBB49_253
.LBB49_252:
	v_sub_nc_u32_e32 v1, v36, v65
	s_delay_alu instid0(VALU_DEP_1)
	v_lshlrev_b32_e32 v1, 3, v1
	ds_store_b64 v1, v[3:4]
.LBB49_253:
	s_or_b32 exec_lo, exec_lo, s3
	s_delay_alu instid0(SALU_CYCLE_1)
	s_and_b32 s18, s0, exec_lo
                                        ; implicit-def: $vgpr25_vgpr26
                                        ; implicit-def: $vgpr21_vgpr22
                                        ; implicit-def: $vgpr17_vgpr18
                                        ; implicit-def: $vgpr13_vgpr14
                                        ; implicit-def: $vgpr9_vgpr10
                                        ; implicit-def: $vgpr5_vgpr6
                                        ; implicit-def: $vgpr1_vgpr2
	s_and_not1_saveexec_b32 s0, s17
	s_cbranch_execz .LBB49_193
.LBB49_254:
	v_sub_nc_u32_e32 v51, v114, v65
	v_sub_nc_u32_e32 v52, v46, v65
	v_sub_nc_u32_e32 v54, v47, v65
	v_sub_nc_u32_e32 v53, v48, v65
	s_or_b32 s18, s18, exec_lo
	v_lshlrev_b32_e32 v51, 3, v51
	v_lshlrev_b32_e32 v52, 3, v52
	;; [unrolled: 1-line block ×4, first 2 shown]
	ds_store_b64 v51, v[25:26]
	ds_store_b64 v52, v[27:28]
	;; [unrolled: 1-line block ×3, first 2 shown]
	v_sub_nc_u32_e32 v21, v45, v65
	v_sub_nc_u32_e32 v22, v44, v65
	ds_store_b64 v54, v[23:24]
	v_sub_nc_u32_e32 v23, v43, v65
	v_sub_nc_u32_e32 v24, v42, v65
	v_lshlrev_b32_e32 v21, 3, v21
	v_sub_nc_u32_e32 v25, v41, v65
	v_lshlrev_b32_e32 v22, 3, v22
	v_lshlrev_b32_e32 v23, 3, v23
	;; [unrolled: 1-line block ×3, first 2 shown]
	ds_store_b64 v21, v[17:18]
	v_lshlrev_b32_e32 v17, 3, v25
	ds_store_b64 v22, v[19:20]
	ds_store_b64 v23, v[13:14]
	ds_store_b64 v24, v[15:16]
	v_sub_nc_u32_e32 v13, v40, v65
	v_sub_nc_u32_e32 v15, v36, v65
	;; [unrolled: 1-line block ×3, first 2 shown]
	ds_store_b64 v17, v[9:10]
	v_sub_nc_u32_e32 v9, v39, v65
	v_lshlrev_b32_e32 v13, 3, v13
	v_sub_nc_u32_e32 v10, v38, v65
	v_lshlrev_b32_e32 v14, 3, v14
	s_delay_alu instid0(VALU_DEP_4)
	v_lshlrev_b32_e32 v9, 3, v9
	ds_store_b64 v13, v[11:12]
	v_lshlrev_b32_e32 v11, 3, v15
	v_lshlrev_b32_e32 v10, 3, v10
	ds_store_b64 v9, v[5:6]
	ds_store_b64 v10, v[7:8]
	;; [unrolled: 1-line block ×4, first 2 shown]
	s_or_b32 exec_lo, exec_lo, s0
	s_delay_alu instid0(SALU_CYCLE_1)
	s_and_b32 exec_lo, exec_lo, s18
	s_cbranch_execnz .LBB49_194
	s_branch .LBB49_195
.LBB49_255:
	s_and_saveexec_b32 s17, s14
	s_cbranch_execnz .LBB49_315
; %bb.256:
	s_or_b32 exec_lo, exec_lo, s17
	s_and_saveexec_b32 s17, s13
	s_cbranch_execnz .LBB49_316
.LBB49_257:
	s_or_b32 exec_lo, exec_lo, s17
	s_and_saveexec_b32 s17, s12
	s_cbranch_execnz .LBB49_317
.LBB49_258:
	s_or_b32 exec_lo, exec_lo, s17
	s_and_saveexec_b32 s17, s11
	s_cbranch_execnz .LBB49_318
.LBB49_259:
	s_or_b32 exec_lo, exec_lo, s17
	s_and_saveexec_b32 s17, s10
	s_cbranch_execnz .LBB49_319
.LBB49_260:
	s_or_b32 exec_lo, exec_lo, s17
	s_and_saveexec_b32 s17, s9
	s_cbranch_execnz .LBB49_320
.LBB49_261:
	s_or_b32 exec_lo, exec_lo, s17
	s_and_saveexec_b32 s17, s8
	s_cbranch_execnz .LBB49_321
.LBB49_262:
	s_or_b32 exec_lo, exec_lo, s17
	s_and_saveexec_b32 s17, s7
	s_cbranch_execnz .LBB49_322
.LBB49_263:
	s_or_b32 exec_lo, exec_lo, s17
	s_and_saveexec_b32 s17, s6
	s_cbranch_execnz .LBB49_323
.LBB49_264:
	s_or_b32 exec_lo, exec_lo, s17
	s_and_saveexec_b32 s17, s5
	s_cbranch_execnz .LBB49_324
.LBB49_265:
	s_or_b32 exec_lo, exec_lo, s17
	s_and_saveexec_b32 s17, s4
	s_cbranch_execnz .LBB49_325
.LBB49_266:
	s_or_b32 exec_lo, exec_lo, s17
	s_and_saveexec_b32 s17, s3
	s_cbranch_execnz .LBB49_326
.LBB49_267:
	s_or_b32 exec_lo, exec_lo, s17
	s_and_saveexec_b32 s17, s2
	s_cbranch_execnz .LBB49_327
.LBB49_268:
	s_or_b32 exec_lo, exec_lo, s17
	s_and_saveexec_b32 s17, s1
	s_cbranch_execz .LBB49_270
.LBB49_269:
	v_sub_nc_u32_e32 v8, v36, v1
	v_mov_b32_e32 v9, 0
	s_delay_alu instid0(VALU_DEP_1) | instskip(NEXT) | instid1(VALU_DEP_1)
	v_lshlrev_b64 v[8:9], 3, v[8:9]
	v_add_co_u32 v8, vcc_lo, v6, v8
	s_delay_alu instid0(VALU_DEP_2)
	v_add_co_ci_u32_e32 v9, vcc_lo, v7, v9, vcc_lo
	global_store_b64 v[8:9], v[95:96], off
.LBB49_270:
	s_or_b32 exec_lo, exec_lo, s17
	s_delay_alu instid0(SALU_CYCLE_1)
	s_and_b32 s17, s0, exec_lo
	s_and_not1_saveexec_b32 s15, s15
	s_cbranch_execz .LBB49_206
.LBB49_271:
	v_sub_nc_u32_e32 v8, v114, v1
	v_mov_b32_e32 v9, 0
	s_or_b32 s17, s17, exec_lo
	s_delay_alu instid0(VALU_DEP_1) | instskip(SKIP_1) | instid1(VALU_DEP_1)
	v_lshlrev_b64 v[10:11], 3, v[8:9]
	v_sub_nc_u32_e32 v8, v46, v1
	v_lshlrev_b64 v[12:13], 3, v[8:9]
	v_sub_nc_u32_e32 v8, v48, v1
	s_delay_alu instid0(VALU_DEP_4) | instskip(SKIP_1) | instid1(VALU_DEP_3)
	v_add_co_u32 v10, vcc_lo, v6, v10
	v_add_co_ci_u32_e32 v11, vcc_lo, v7, v11, vcc_lo
	v_lshlrev_b64 v[14:15], 3, v[8:9]
	v_sub_nc_u32_e32 v8, v47, v1
	v_add_co_u32 v12, vcc_lo, v6, v12
	v_add_co_ci_u32_e32 v13, vcc_lo, v7, v13, vcc_lo
	global_store_b64 v[10:11], v[87:88], off
	v_lshlrev_b64 v[10:11], 3, v[8:9]
	v_sub_nc_u32_e32 v8, v45, v1
	global_store_b64 v[12:13], v[89:90], off
	v_add_co_u32 v12, vcc_lo, v6, v14
	v_add_co_ci_u32_e32 v13, vcc_lo, v7, v15, vcc_lo
	v_lshlrev_b64 v[14:15], 3, v[8:9]
	v_sub_nc_u32_e32 v8, v44, v1
	v_add_co_u32 v10, vcc_lo, v6, v10
	v_add_co_ci_u32_e32 v11, vcc_lo, v7, v11, vcc_lo
	s_delay_alu instid0(VALU_DEP_3) | instskip(SKIP_3) | instid1(VALU_DEP_3)
	v_lshlrev_b64 v[16:17], 3, v[8:9]
	v_sub_nc_u32_e32 v8, v43, v1
	v_add_co_u32 v14, vcc_lo, v6, v14
	v_add_co_ci_u32_e32 v15, vcc_lo, v7, v15, vcc_lo
	v_lshlrev_b64 v[18:19], 3, v[8:9]
	v_sub_nc_u32_e32 v8, v42, v1
	v_add_co_u32 v16, vcc_lo, v6, v16
	v_add_co_ci_u32_e32 v17, vcc_lo, v7, v17, vcc_lo
	s_clause 0x3
	global_store_b64 v[12:13], v[93:94], off
	global_store_b64 v[10:11], v[91:92], off
	;; [unrolled: 1-line block ×4, first 2 shown]
	v_lshlrev_b64 v[10:11], 3, v[8:9]
	v_sub_nc_u32_e32 v8, v41, v1
	v_add_co_u32 v12, vcc_lo, v6, v18
	v_add_co_ci_u32_e32 v13, vcc_lo, v7, v19, vcc_lo
	s_delay_alu instid0(VALU_DEP_3) | instskip(SKIP_3) | instid1(VALU_DEP_3)
	v_lshlrev_b64 v[14:15], 3, v[8:9]
	v_sub_nc_u32_e32 v8, v40, v1
	v_add_co_u32 v10, vcc_lo, v6, v10
	v_add_co_ci_u32_e32 v11, vcc_lo, v7, v11, vcc_lo
	v_lshlrev_b64 v[16:17], 3, v[8:9]
	v_sub_nc_u32_e32 v8, v39, v1
	v_add_co_u32 v14, vcc_lo, v6, v14
	v_add_co_ci_u32_e32 v15, vcc_lo, v7, v15, vcc_lo
	s_delay_alu instid0(VALU_DEP_3)
	v_lshlrev_b64 v[18:19], 3, v[8:9]
	v_sub_nc_u32_e32 v8, v38, v1
	v_add_co_u32 v16, vcc_lo, v6, v16
	v_add_co_ci_u32_e32 v17, vcc_lo, v7, v17, vcc_lo
	s_clause 0x3
	global_store_b64 v[12:13], v[79:80], off
	global_store_b64 v[10:11], v[83:84], off
	;; [unrolled: 1-line block ×4, first 2 shown]
	v_lshlrev_b64 v[10:11], 3, v[8:9]
	v_sub_nc_u32_e32 v8, v37, v1
	v_add_co_u32 v12, vcc_lo, v6, v18
	v_add_co_ci_u32_e32 v13, vcc_lo, v7, v19, vcc_lo
	s_delay_alu instid0(VALU_DEP_3) | instskip(SKIP_3) | instid1(VALU_DEP_3)
	v_lshlrev_b64 v[14:15], 3, v[8:9]
	v_sub_nc_u32_e32 v8, v36, v1
	v_add_co_u32 v10, vcc_lo, v6, v10
	v_add_co_ci_u32_e32 v11, vcc_lo, v7, v11, vcc_lo
	v_lshlrev_b64 v[8:9], 3, v[8:9]
	v_add_co_u32 v14, vcc_lo, v6, v14
	v_add_co_ci_u32_e32 v15, vcc_lo, v7, v15, vcc_lo
	s_clause 0x2
	global_store_b64 v[12:13], v[69:70], off
	global_store_b64 v[10:11], v[71:72], off
	;; [unrolled: 1-line block ×3, first 2 shown]
	v_add_co_u32 v8, vcc_lo, v6, v8
	v_add_co_ci_u32_e32 v9, vcc_lo, v7, v9, vcc_lo
	global_store_b64 v[8:9], v[95:96], off
	s_or_b32 exec_lo, exec_lo, s15
	s_delay_alu instid0(SALU_CYCLE_1)
	s_and_b32 exec_lo, exec_lo, s17
	s_cbranch_execnz .LBB49_207
	s_branch .LBB49_208
.LBB49_272:
	s_and_saveexec_b32 s17, s14
	s_cbranch_execnz .LBB49_328
; %bb.273:
	s_or_b32 exec_lo, exec_lo, s17
	s_and_saveexec_b32 s14, s13
	s_cbranch_execnz .LBB49_329
.LBB49_274:
	s_or_b32 exec_lo, exec_lo, s14
	s_and_saveexec_b32 s13, s12
	s_cbranch_execnz .LBB49_330
.LBB49_275:
	s_or_b32 exec_lo, exec_lo, s13
	s_and_saveexec_b32 s12, s11
	s_cbranch_execnz .LBB49_331
.LBB49_276:
	s_or_b32 exec_lo, exec_lo, s12
	s_and_saveexec_b32 s11, s10
	s_cbranch_execnz .LBB49_332
.LBB49_277:
	s_or_b32 exec_lo, exec_lo, s11
	s_and_saveexec_b32 s10, s9
	s_cbranch_execnz .LBB49_333
.LBB49_278:
	s_or_b32 exec_lo, exec_lo, s10
	s_and_saveexec_b32 s9, s8
	s_cbranch_execnz .LBB49_334
.LBB49_279:
	s_or_b32 exec_lo, exec_lo, s9
	s_and_saveexec_b32 s8, s7
	s_cbranch_execnz .LBB49_335
.LBB49_280:
	s_or_b32 exec_lo, exec_lo, s8
	s_and_saveexec_b32 s7, s6
	s_cbranch_execnz .LBB49_336
.LBB49_281:
	s_or_b32 exec_lo, exec_lo, s7
	s_and_saveexec_b32 s6, s5
	s_cbranch_execnz .LBB49_337
.LBB49_282:
	s_or_b32 exec_lo, exec_lo, s6
	s_and_saveexec_b32 s5, s4
	s_cbranch_execnz .LBB49_338
.LBB49_283:
	s_or_b32 exec_lo, exec_lo, s5
	s_and_saveexec_b32 s4, s3
	s_cbranch_execnz .LBB49_339
.LBB49_284:
	s_or_b32 exec_lo, exec_lo, s4
	s_and_saveexec_b32 s3, s2
	s_cbranch_execnz .LBB49_340
.LBB49_285:
	s_or_b32 exec_lo, exec_lo, s3
	s_and_saveexec_b32 s2, s1
	s_cbranch_execz .LBB49_287
.LBB49_286:
	v_sub_nc_u32_e32 v2, v36, v1
	s_delay_alu instid0(VALU_DEP_1)
	v_lshlrev_b32_e32 v2, 3, v2
	ds_store_b64 v2, v[95:96]
.LBB49_287:
	s_or_b32 exec_lo, exec_lo, s2
	s_delay_alu instid0(SALU_CYCLE_1)
	s_and_b32 s17, s0, exec_lo
                                        ; implicit-def: $vgpr87_vgpr88
                                        ; implicit-def: $vgpr89_vgpr90
                                        ; implicit-def: $vgpr93_vgpr94
                                        ; implicit-def: $vgpr91_vgpr92
                                        ; implicit-def: $vgpr75_vgpr76
                                        ; implicit-def: $vgpr77_vgpr78
                                        ; implicit-def: $vgpr79_vgpr80
                                        ; implicit-def: $vgpr83_vgpr84
                                        ; implicit-def: $vgpr81_vgpr82
                                        ; implicit-def: $vgpr67_vgpr68
                                        ; implicit-def: $vgpr69_vgpr70
                                        ; implicit-def: $vgpr71_vgpr72
                                        ; implicit-def: $vgpr73_vgpr74
                                        ; implicit-def: $vgpr95_vgpr96
                                        ; implicit-def: $vgpr114
                                        ; implicit-def: $vgpr46
                                        ; implicit-def: $vgpr48
                                        ; implicit-def: $vgpr47
                                        ; implicit-def: $vgpr45
                                        ; implicit-def: $vgpr44
                                        ; implicit-def: $vgpr43
                                        ; implicit-def: $vgpr42
                                        ; implicit-def: $vgpr41
                                        ; implicit-def: $vgpr40
                                        ; implicit-def: $vgpr39
                                        ; implicit-def: $vgpr38
                                        ; implicit-def: $vgpr37
                                        ; implicit-def: $vgpr36
	s_and_not1_saveexec_b32 s0, s16
	s_cbranch_execz .LBB49_212
.LBB49_288:
	v_sub_nc_u32_e32 v2, v114, v1
	v_sub_nc_u32_e32 v8, v46, v1
	;; [unrolled: 1-line block ×5, first 2 shown]
	v_lshlrev_b32_e32 v2, 3, v2
	v_lshlrev_b32_e32 v8, 3, v8
	;; [unrolled: 1-line block ×4, first 2 shown]
	s_or_b32 s17, s17, exec_lo
	ds_store_b64 v2, v[87:88]
	ds_store_b64 v8, v[89:90]
	;; [unrolled: 1-line block ×3, first 2 shown]
	v_sub_nc_u32_e32 v2, v45, v1
	v_sub_nc_u32_e32 v8, v44, v1
	;; [unrolled: 1-line block ×3, first 2 shown]
	ds_store_b64 v10, v[91:92]
	v_sub_nc_u32_e32 v10, v42, v1
	v_lshlrev_b32_e32 v2, 3, v2
	v_lshlrev_b32_e32 v8, 3, v8
	;; [unrolled: 1-line block ×3, first 2 shown]
	s_delay_alu instid0(VALU_DEP_4)
	v_lshlrev_b32_e32 v10, 3, v10
	ds_store_b64 v2, v[75:76]
	v_lshlrev_b32_e32 v2, 3, v11
	ds_store_b64 v8, v[77:78]
	ds_store_b64 v9, v[79:80]
	ds_store_b64 v10, v[83:84]
	v_sub_nc_u32_e32 v8, v40, v1
	v_sub_nc_u32_e32 v11, v36, v1
	;; [unrolled: 1-line block ×3, first 2 shown]
	ds_store_b64 v2, v[81:82]
	v_sub_nc_u32_e32 v2, v39, v1
	v_lshlrev_b32_e32 v8, 3, v8
	v_sub_nc_u32_e32 v10, v37, v1
	v_lshlrev_b32_e32 v9, 3, v9
	s_delay_alu instid0(VALU_DEP_4)
	v_lshlrev_b32_e32 v2, 3, v2
	ds_store_b64 v8, v[67:68]
	v_lshlrev_b32_e32 v8, 3, v11
	v_lshlrev_b32_e32 v10, 3, v10
	ds_store_b64 v2, v[69:70]
	ds_store_b64 v9, v[71:72]
	;; [unrolled: 1-line block ×4, first 2 shown]
	s_or_b32 exec_lo, exec_lo, s0
	s_delay_alu instid0(SALU_CYCLE_1)
	s_and_b32 exec_lo, exec_lo, s17
	s_cbranch_execnz .LBB49_213
	s_branch .LBB49_214
.LBB49_289:
	v_sub_nc_u32_e32 v52, v114, v65
	v_mov_b32_e32 v53, 0
	s_delay_alu instid0(VALU_DEP_1) | instskip(NEXT) | instid1(VALU_DEP_1)
	v_lshlrev_b64 v[52:53], 3, v[52:53]
	v_add_co_u32 v52, vcc_lo, v49, v52
	s_delay_alu instid0(VALU_DEP_2)
	v_add_co_ci_u32_e32 v53, vcc_lo, v50, v53, vcc_lo
	global_store_b64 v[52:53], v[25:26], off
	s_or_b32 exec_lo, exec_lo, s18
	s_and_saveexec_b32 s18, s12
	s_cbranch_execz .LBB49_223
.LBB49_290:
	v_sub_nc_u32_e32 v52, v46, v65
	v_mov_b32_e32 v53, 0
	s_delay_alu instid0(VALU_DEP_1) | instskip(NEXT) | instid1(VALU_DEP_1)
	v_lshlrev_b64 v[52:53], 3, v[52:53]
	v_add_co_u32 v52, vcc_lo, v49, v52
	s_delay_alu instid0(VALU_DEP_2)
	v_add_co_ci_u32_e32 v53, vcc_lo, v50, v53, vcc_lo
	global_store_b64 v[52:53], v[27:28], off
	s_or_b32 exec_lo, exec_lo, s18
	s_and_saveexec_b32 s18, s10
	s_cbranch_execz .LBB49_224
.LBB49_291:
	v_sub_nc_u32_e32 v52, v48, v65
	v_mov_b32_e32 v53, 0
	s_delay_alu instid0(VALU_DEP_1) | instskip(NEXT) | instid1(VALU_DEP_1)
	v_lshlrev_b64 v[52:53], 3, v[52:53]
	v_add_co_u32 v52, vcc_lo, v49, v52
	s_delay_alu instid0(VALU_DEP_2)
	v_add_co_ci_u32_e32 v53, vcc_lo, v50, v53, vcc_lo
	global_store_b64 v[52:53], v[21:22], off
	s_or_b32 exec_lo, exec_lo, s18
	s_and_saveexec_b32 s18, s9
	s_cbranch_execz .LBB49_225
.LBB49_292:
	v_sub_nc_u32_e32 v52, v47, v65
	v_mov_b32_e32 v53, 0
	s_delay_alu instid0(VALU_DEP_1) | instskip(NEXT) | instid1(VALU_DEP_1)
	v_lshlrev_b64 v[52:53], 3, v[52:53]
	v_add_co_u32 v52, vcc_lo, v49, v52
	s_delay_alu instid0(VALU_DEP_2)
	v_add_co_ci_u32_e32 v53, vcc_lo, v50, v53, vcc_lo
	global_store_b64 v[52:53], v[23:24], off
	s_or_b32 exec_lo, exec_lo, s18
	s_and_saveexec_b32 s18, s15
	s_cbranch_execz .LBB49_226
.LBB49_293:
	v_sub_nc_u32_e32 v52, v45, v65
	v_mov_b32_e32 v53, 0
	s_delay_alu instid0(VALU_DEP_1) | instskip(NEXT) | instid1(VALU_DEP_1)
	v_lshlrev_b64 v[52:53], 3, v[52:53]
	v_add_co_u32 v52, vcc_lo, v49, v52
	s_delay_alu instid0(VALU_DEP_2)
	v_add_co_ci_u32_e32 v53, vcc_lo, v50, v53, vcc_lo
	global_store_b64 v[52:53], v[17:18], off
	s_or_b32 exec_lo, exec_lo, s18
	s_and_saveexec_b32 s18, s14
	s_cbranch_execz .LBB49_227
.LBB49_294:
	v_sub_nc_u32_e32 v52, v44, v65
	v_mov_b32_e32 v53, 0
	s_delay_alu instid0(VALU_DEP_1) | instskip(NEXT) | instid1(VALU_DEP_1)
	v_lshlrev_b64 v[52:53], 3, v[52:53]
	v_add_co_u32 v52, vcc_lo, v49, v52
	s_delay_alu instid0(VALU_DEP_2)
	v_add_co_ci_u32_e32 v53, vcc_lo, v50, v53, vcc_lo
	global_store_b64 v[52:53], v[19:20], off
	s_or_b32 exec_lo, exec_lo, s18
	s_and_saveexec_b32 s18, s11
	s_cbranch_execz .LBB49_228
.LBB49_295:
	v_sub_nc_u32_e32 v52, v43, v65
	v_mov_b32_e32 v53, 0
	s_delay_alu instid0(VALU_DEP_1) | instskip(NEXT) | instid1(VALU_DEP_1)
	v_lshlrev_b64 v[52:53], 3, v[52:53]
	v_add_co_u32 v52, vcc_lo, v49, v52
	s_delay_alu instid0(VALU_DEP_2)
	v_add_co_ci_u32_e32 v53, vcc_lo, v50, v53, vcc_lo
	global_store_b64 v[52:53], v[13:14], off
	s_or_b32 exec_lo, exec_lo, s18
	s_and_saveexec_b32 s18, s8
	s_cbranch_execz .LBB49_229
.LBB49_296:
	v_sub_nc_u32_e32 v52, v42, v65
	v_mov_b32_e32 v53, 0
	s_delay_alu instid0(VALU_DEP_1) | instskip(NEXT) | instid1(VALU_DEP_1)
	v_lshlrev_b64 v[52:53], 3, v[52:53]
	v_add_co_u32 v52, vcc_lo, v49, v52
	s_delay_alu instid0(VALU_DEP_2)
	v_add_co_ci_u32_e32 v53, vcc_lo, v50, v53, vcc_lo
	global_store_b64 v[52:53], v[15:16], off
	s_or_b32 exec_lo, exec_lo, s18
	s_and_saveexec_b32 s18, s7
	s_cbranch_execz .LBB49_230
.LBB49_297:
	v_sub_nc_u32_e32 v52, v41, v65
	v_mov_b32_e32 v53, 0
	s_delay_alu instid0(VALU_DEP_1) | instskip(NEXT) | instid1(VALU_DEP_1)
	v_lshlrev_b64 v[52:53], 3, v[52:53]
	v_add_co_u32 v52, vcc_lo, v49, v52
	s_delay_alu instid0(VALU_DEP_2)
	v_add_co_ci_u32_e32 v53, vcc_lo, v50, v53, vcc_lo
	global_store_b64 v[52:53], v[9:10], off
	s_or_b32 exec_lo, exec_lo, s18
	s_and_saveexec_b32 s18, s6
	s_cbranch_execz .LBB49_231
.LBB49_298:
	v_sub_nc_u32_e32 v52, v40, v65
	v_mov_b32_e32 v53, 0
	s_delay_alu instid0(VALU_DEP_1) | instskip(NEXT) | instid1(VALU_DEP_1)
	v_lshlrev_b64 v[52:53], 3, v[52:53]
	v_add_co_u32 v52, vcc_lo, v49, v52
	s_delay_alu instid0(VALU_DEP_2)
	v_add_co_ci_u32_e32 v53, vcc_lo, v50, v53, vcc_lo
	global_store_b64 v[52:53], v[11:12], off
	s_or_b32 exec_lo, exec_lo, s18
	s_and_saveexec_b32 s18, s5
	s_cbranch_execz .LBB49_232
.LBB49_299:
	v_sub_nc_u32_e32 v52, v39, v65
	v_mov_b32_e32 v53, 0
	s_delay_alu instid0(VALU_DEP_1) | instskip(NEXT) | instid1(VALU_DEP_1)
	v_lshlrev_b64 v[52:53], 3, v[52:53]
	v_add_co_u32 v52, vcc_lo, v49, v52
	s_delay_alu instid0(VALU_DEP_2)
	v_add_co_ci_u32_e32 v53, vcc_lo, v50, v53, vcc_lo
	global_store_b64 v[52:53], v[5:6], off
	s_or_b32 exec_lo, exec_lo, s18
	s_and_saveexec_b32 s18, s4
	s_cbranch_execz .LBB49_233
.LBB49_300:
	v_sub_nc_u32_e32 v52, v38, v65
	v_mov_b32_e32 v53, 0
	s_delay_alu instid0(VALU_DEP_1) | instskip(NEXT) | instid1(VALU_DEP_1)
	v_lshlrev_b64 v[52:53], 3, v[52:53]
	v_add_co_u32 v52, vcc_lo, v49, v52
	s_delay_alu instid0(VALU_DEP_2)
	v_add_co_ci_u32_e32 v53, vcc_lo, v50, v53, vcc_lo
	global_store_b64 v[52:53], v[7:8], off
	s_or_b32 exec_lo, exec_lo, s18
	s_and_saveexec_b32 s18, s3
	s_cbranch_execz .LBB49_234
.LBB49_301:
	v_sub_nc_u32_e32 v52, v37, v65
	v_mov_b32_e32 v53, 0
	s_delay_alu instid0(VALU_DEP_1) | instskip(NEXT) | instid1(VALU_DEP_1)
	v_lshlrev_b64 v[52:53], 3, v[52:53]
	v_add_co_u32 v52, vcc_lo, v49, v52
	s_delay_alu instid0(VALU_DEP_2)
	v_add_co_ci_u32_e32 v53, vcc_lo, v50, v53, vcc_lo
	global_store_b64 v[52:53], v[1:2], off
	s_or_b32 exec_lo, exec_lo, s18
	s_and_saveexec_b32 s18, s1
	s_cbranch_execnz .LBB49_235
	s_branch .LBB49_236
.LBB49_302:
	v_sub_nc_u32_e32 v51, v114, v65
	s_delay_alu instid0(VALU_DEP_1)
	v_lshlrev_b32_e32 v51, 3, v51
	ds_store_b64 v51, v[25:26]
	s_or_b32 exec_lo, exec_lo, s18
	s_and_saveexec_b32 s13, s12
	s_cbranch_execz .LBB49_240
.LBB49_303:
	v_sub_nc_u32_e32 v25, v46, v65
	s_delay_alu instid0(VALU_DEP_1)
	v_lshlrev_b32_e32 v25, 3, v25
	ds_store_b64 v25, v[27:28]
	s_or_b32 exec_lo, exec_lo, s13
	s_and_saveexec_b32 s12, s10
	s_cbranch_execz .LBB49_241
.LBB49_304:
	v_sub_nc_u32_e32 v25, v48, v65
	s_delay_alu instid0(VALU_DEP_1)
	v_lshlrev_b32_e32 v25, 3, v25
	ds_store_b64 v25, v[21:22]
	s_or_b32 exec_lo, exec_lo, s12
	s_and_saveexec_b32 s10, s9
	s_cbranch_execz .LBB49_242
.LBB49_305:
	v_sub_nc_u32_e32 v21, v47, v65
	s_delay_alu instid0(VALU_DEP_1)
	v_lshlrev_b32_e32 v21, 3, v21
	ds_store_b64 v21, v[23:24]
	s_or_b32 exec_lo, exec_lo, s10
	s_and_saveexec_b32 s9, s15
	s_cbranch_execz .LBB49_243
.LBB49_306:
	v_sub_nc_u32_e32 v21, v45, v65
	s_delay_alu instid0(VALU_DEP_1)
	v_lshlrev_b32_e32 v21, 3, v21
	ds_store_b64 v21, v[17:18]
	s_or_b32 exec_lo, exec_lo, s9
	s_and_saveexec_b32 s9, s14
	s_cbranch_execz .LBB49_244
.LBB49_307:
	v_sub_nc_u32_e32 v17, v44, v65
	s_delay_alu instid0(VALU_DEP_1)
	v_lshlrev_b32_e32 v17, 3, v17
	ds_store_b64 v17, v[19:20]
	s_or_b32 exec_lo, exec_lo, s9
	s_and_saveexec_b32 s9, s11
	s_cbranch_execz .LBB49_245
.LBB49_308:
	v_sub_nc_u32_e32 v17, v43, v65
	s_delay_alu instid0(VALU_DEP_1)
	v_lshlrev_b32_e32 v17, 3, v17
	ds_store_b64 v17, v[13:14]
	s_or_b32 exec_lo, exec_lo, s9
	s_and_saveexec_b32 s9, s8
	s_cbranch_execz .LBB49_246
.LBB49_309:
	v_sub_nc_u32_e32 v13, v42, v65
	s_delay_alu instid0(VALU_DEP_1)
	v_lshlrev_b32_e32 v13, 3, v13
	ds_store_b64 v13, v[15:16]
	s_or_b32 exec_lo, exec_lo, s9
	s_and_saveexec_b32 s8, s7
	s_cbranch_execz .LBB49_247
.LBB49_310:
	v_sub_nc_u32_e32 v13, v41, v65
	s_delay_alu instid0(VALU_DEP_1)
	v_lshlrev_b32_e32 v13, 3, v13
	ds_store_b64 v13, v[9:10]
	s_or_b32 exec_lo, exec_lo, s8
	s_and_saveexec_b32 s7, s6
	s_cbranch_execz .LBB49_248
.LBB49_311:
	v_sub_nc_u32_e32 v9, v40, v65
	s_delay_alu instid0(VALU_DEP_1)
	v_lshlrev_b32_e32 v9, 3, v9
	ds_store_b64 v9, v[11:12]
	s_or_b32 exec_lo, exec_lo, s7
	s_and_saveexec_b32 s6, s5
	s_cbranch_execz .LBB49_249
.LBB49_312:
	v_sub_nc_u32_e32 v9, v39, v65
	s_delay_alu instid0(VALU_DEP_1)
	v_lshlrev_b32_e32 v9, 3, v9
	ds_store_b64 v9, v[5:6]
	s_or_b32 exec_lo, exec_lo, s6
	s_and_saveexec_b32 s5, s4
	s_cbranch_execz .LBB49_250
.LBB49_313:
	v_sub_nc_u32_e32 v5, v38, v65
	s_delay_alu instid0(VALU_DEP_1)
	v_lshlrev_b32_e32 v5, 3, v5
	ds_store_b64 v5, v[7:8]
	s_or_b32 exec_lo, exec_lo, s5
	s_and_saveexec_b32 s4, s3
	s_cbranch_execz .LBB49_251
.LBB49_314:
	v_sub_nc_u32_e32 v5, v37, v65
	s_delay_alu instid0(VALU_DEP_1)
	v_lshlrev_b32_e32 v5, 3, v5
	ds_store_b64 v5, v[1:2]
	s_or_b32 exec_lo, exec_lo, s4
	s_and_saveexec_b32 s3, s1
	s_cbranch_execnz .LBB49_252
	s_branch .LBB49_253
.LBB49_315:
	v_sub_nc_u32_e32 v8, v114, v1
	v_mov_b32_e32 v9, 0
	s_delay_alu instid0(VALU_DEP_1) | instskip(NEXT) | instid1(VALU_DEP_1)
	v_lshlrev_b64 v[8:9], 3, v[8:9]
	v_add_co_u32 v8, vcc_lo, v6, v8
	s_delay_alu instid0(VALU_DEP_2)
	v_add_co_ci_u32_e32 v9, vcc_lo, v7, v9, vcc_lo
	global_store_b64 v[8:9], v[87:88], off
	s_or_b32 exec_lo, exec_lo, s17
	s_and_saveexec_b32 s17, s13
	s_cbranch_execz .LBB49_257
.LBB49_316:
	v_sub_nc_u32_e32 v8, v46, v1
	v_mov_b32_e32 v9, 0
	s_delay_alu instid0(VALU_DEP_1) | instskip(NEXT) | instid1(VALU_DEP_1)
	v_lshlrev_b64 v[8:9], 3, v[8:9]
	v_add_co_u32 v8, vcc_lo, v6, v8
	s_delay_alu instid0(VALU_DEP_2)
	v_add_co_ci_u32_e32 v9, vcc_lo, v7, v9, vcc_lo
	global_store_b64 v[8:9], v[89:90], off
	s_or_b32 exec_lo, exec_lo, s17
	s_and_saveexec_b32 s17, s12
	s_cbranch_execz .LBB49_258
.LBB49_317:
	v_sub_nc_u32_e32 v8, v48, v1
	v_mov_b32_e32 v9, 0
	s_delay_alu instid0(VALU_DEP_1) | instskip(NEXT) | instid1(VALU_DEP_1)
	v_lshlrev_b64 v[8:9], 3, v[8:9]
	v_add_co_u32 v8, vcc_lo, v6, v8
	s_delay_alu instid0(VALU_DEP_2)
	v_add_co_ci_u32_e32 v9, vcc_lo, v7, v9, vcc_lo
	global_store_b64 v[8:9], v[93:94], off
	s_or_b32 exec_lo, exec_lo, s17
	s_and_saveexec_b32 s17, s11
	s_cbranch_execz .LBB49_259
.LBB49_318:
	v_sub_nc_u32_e32 v8, v47, v1
	v_mov_b32_e32 v9, 0
	s_delay_alu instid0(VALU_DEP_1) | instskip(NEXT) | instid1(VALU_DEP_1)
	v_lshlrev_b64 v[8:9], 3, v[8:9]
	v_add_co_u32 v8, vcc_lo, v6, v8
	s_delay_alu instid0(VALU_DEP_2)
	v_add_co_ci_u32_e32 v9, vcc_lo, v7, v9, vcc_lo
	global_store_b64 v[8:9], v[91:92], off
	s_or_b32 exec_lo, exec_lo, s17
	s_and_saveexec_b32 s17, s10
	s_cbranch_execz .LBB49_260
.LBB49_319:
	v_sub_nc_u32_e32 v8, v45, v1
	v_mov_b32_e32 v9, 0
	s_delay_alu instid0(VALU_DEP_1) | instskip(NEXT) | instid1(VALU_DEP_1)
	v_lshlrev_b64 v[8:9], 3, v[8:9]
	v_add_co_u32 v8, vcc_lo, v6, v8
	s_delay_alu instid0(VALU_DEP_2)
	v_add_co_ci_u32_e32 v9, vcc_lo, v7, v9, vcc_lo
	global_store_b64 v[8:9], v[75:76], off
	s_or_b32 exec_lo, exec_lo, s17
	s_and_saveexec_b32 s17, s9
	s_cbranch_execz .LBB49_261
.LBB49_320:
	v_sub_nc_u32_e32 v8, v44, v1
	v_mov_b32_e32 v9, 0
	s_delay_alu instid0(VALU_DEP_1) | instskip(NEXT) | instid1(VALU_DEP_1)
	v_lshlrev_b64 v[8:9], 3, v[8:9]
	v_add_co_u32 v8, vcc_lo, v6, v8
	s_delay_alu instid0(VALU_DEP_2)
	v_add_co_ci_u32_e32 v9, vcc_lo, v7, v9, vcc_lo
	global_store_b64 v[8:9], v[77:78], off
	s_or_b32 exec_lo, exec_lo, s17
	s_and_saveexec_b32 s17, s8
	s_cbranch_execz .LBB49_262
.LBB49_321:
	v_sub_nc_u32_e32 v8, v43, v1
	v_mov_b32_e32 v9, 0
	s_delay_alu instid0(VALU_DEP_1) | instskip(NEXT) | instid1(VALU_DEP_1)
	v_lshlrev_b64 v[8:9], 3, v[8:9]
	v_add_co_u32 v8, vcc_lo, v6, v8
	s_delay_alu instid0(VALU_DEP_2)
	v_add_co_ci_u32_e32 v9, vcc_lo, v7, v9, vcc_lo
	global_store_b64 v[8:9], v[79:80], off
	s_or_b32 exec_lo, exec_lo, s17
	s_and_saveexec_b32 s17, s7
	s_cbranch_execz .LBB49_263
.LBB49_322:
	v_sub_nc_u32_e32 v8, v42, v1
	v_mov_b32_e32 v9, 0
	s_delay_alu instid0(VALU_DEP_1) | instskip(NEXT) | instid1(VALU_DEP_1)
	v_lshlrev_b64 v[8:9], 3, v[8:9]
	v_add_co_u32 v8, vcc_lo, v6, v8
	s_delay_alu instid0(VALU_DEP_2)
	v_add_co_ci_u32_e32 v9, vcc_lo, v7, v9, vcc_lo
	global_store_b64 v[8:9], v[83:84], off
	s_or_b32 exec_lo, exec_lo, s17
	s_and_saveexec_b32 s17, s6
	s_cbranch_execz .LBB49_264
.LBB49_323:
	v_sub_nc_u32_e32 v8, v41, v1
	v_mov_b32_e32 v9, 0
	s_delay_alu instid0(VALU_DEP_1) | instskip(NEXT) | instid1(VALU_DEP_1)
	v_lshlrev_b64 v[8:9], 3, v[8:9]
	v_add_co_u32 v8, vcc_lo, v6, v8
	s_delay_alu instid0(VALU_DEP_2)
	v_add_co_ci_u32_e32 v9, vcc_lo, v7, v9, vcc_lo
	global_store_b64 v[8:9], v[81:82], off
	s_or_b32 exec_lo, exec_lo, s17
	s_and_saveexec_b32 s17, s5
	s_cbranch_execz .LBB49_265
.LBB49_324:
	v_sub_nc_u32_e32 v8, v40, v1
	v_mov_b32_e32 v9, 0
	s_delay_alu instid0(VALU_DEP_1) | instskip(NEXT) | instid1(VALU_DEP_1)
	v_lshlrev_b64 v[8:9], 3, v[8:9]
	v_add_co_u32 v8, vcc_lo, v6, v8
	s_delay_alu instid0(VALU_DEP_2)
	v_add_co_ci_u32_e32 v9, vcc_lo, v7, v9, vcc_lo
	global_store_b64 v[8:9], v[67:68], off
	s_or_b32 exec_lo, exec_lo, s17
	s_and_saveexec_b32 s17, s4
	s_cbranch_execz .LBB49_266
.LBB49_325:
	v_sub_nc_u32_e32 v8, v39, v1
	v_mov_b32_e32 v9, 0
	s_delay_alu instid0(VALU_DEP_1) | instskip(NEXT) | instid1(VALU_DEP_1)
	v_lshlrev_b64 v[8:9], 3, v[8:9]
	v_add_co_u32 v8, vcc_lo, v6, v8
	s_delay_alu instid0(VALU_DEP_2)
	v_add_co_ci_u32_e32 v9, vcc_lo, v7, v9, vcc_lo
	global_store_b64 v[8:9], v[69:70], off
	s_or_b32 exec_lo, exec_lo, s17
	s_and_saveexec_b32 s17, s3
	s_cbranch_execz .LBB49_267
.LBB49_326:
	v_sub_nc_u32_e32 v8, v38, v1
	v_mov_b32_e32 v9, 0
	s_delay_alu instid0(VALU_DEP_1) | instskip(NEXT) | instid1(VALU_DEP_1)
	v_lshlrev_b64 v[8:9], 3, v[8:9]
	v_add_co_u32 v8, vcc_lo, v6, v8
	s_delay_alu instid0(VALU_DEP_2)
	v_add_co_ci_u32_e32 v9, vcc_lo, v7, v9, vcc_lo
	global_store_b64 v[8:9], v[71:72], off
	s_or_b32 exec_lo, exec_lo, s17
	s_and_saveexec_b32 s17, s2
	s_cbranch_execz .LBB49_268
.LBB49_327:
	v_sub_nc_u32_e32 v8, v37, v1
	v_mov_b32_e32 v9, 0
	s_delay_alu instid0(VALU_DEP_1) | instskip(NEXT) | instid1(VALU_DEP_1)
	v_lshlrev_b64 v[8:9], 3, v[8:9]
	v_add_co_u32 v8, vcc_lo, v6, v8
	s_delay_alu instid0(VALU_DEP_2)
	v_add_co_ci_u32_e32 v9, vcc_lo, v7, v9, vcc_lo
	global_store_b64 v[8:9], v[73:74], off
	s_or_b32 exec_lo, exec_lo, s17
	s_and_saveexec_b32 s17, s1
	s_cbranch_execnz .LBB49_269
	s_branch .LBB49_270
.LBB49_328:
	v_sub_nc_u32_e32 v2, v114, v1
	s_delay_alu instid0(VALU_DEP_1)
	v_lshlrev_b32_e32 v2, 3, v2
	ds_store_b64 v2, v[87:88]
	s_or_b32 exec_lo, exec_lo, s17
	s_and_saveexec_b32 s14, s13
	s_cbranch_execz .LBB49_274
.LBB49_329:
	v_sub_nc_u32_e32 v2, v46, v1
	s_delay_alu instid0(VALU_DEP_1)
	v_lshlrev_b32_e32 v2, 3, v2
	ds_store_b64 v2, v[89:90]
	s_or_b32 exec_lo, exec_lo, s14
	s_and_saveexec_b32 s13, s12
	s_cbranch_execz .LBB49_275
.LBB49_330:
	v_sub_nc_u32_e32 v2, v48, v1
	s_delay_alu instid0(VALU_DEP_1)
	v_lshlrev_b32_e32 v2, 3, v2
	ds_store_b64 v2, v[93:94]
	s_or_b32 exec_lo, exec_lo, s13
	s_and_saveexec_b32 s12, s11
	s_cbranch_execz .LBB49_276
.LBB49_331:
	v_sub_nc_u32_e32 v2, v47, v1
	s_delay_alu instid0(VALU_DEP_1)
	v_lshlrev_b32_e32 v2, 3, v2
	ds_store_b64 v2, v[91:92]
	s_or_b32 exec_lo, exec_lo, s12
	s_and_saveexec_b32 s11, s10
	s_cbranch_execz .LBB49_277
.LBB49_332:
	v_sub_nc_u32_e32 v2, v45, v1
	s_delay_alu instid0(VALU_DEP_1)
	v_lshlrev_b32_e32 v2, 3, v2
	ds_store_b64 v2, v[75:76]
	s_or_b32 exec_lo, exec_lo, s11
	s_and_saveexec_b32 s10, s9
	s_cbranch_execz .LBB49_278
.LBB49_333:
	v_sub_nc_u32_e32 v2, v44, v1
	s_delay_alu instid0(VALU_DEP_1)
	v_lshlrev_b32_e32 v2, 3, v2
	ds_store_b64 v2, v[77:78]
	s_or_b32 exec_lo, exec_lo, s10
	s_and_saveexec_b32 s9, s8
	s_cbranch_execz .LBB49_279
.LBB49_334:
	v_sub_nc_u32_e32 v2, v43, v1
	s_delay_alu instid0(VALU_DEP_1)
	v_lshlrev_b32_e32 v2, 3, v2
	ds_store_b64 v2, v[79:80]
	s_or_b32 exec_lo, exec_lo, s9
	s_and_saveexec_b32 s8, s7
	s_cbranch_execz .LBB49_280
.LBB49_335:
	v_sub_nc_u32_e32 v2, v42, v1
	s_delay_alu instid0(VALU_DEP_1)
	v_lshlrev_b32_e32 v2, 3, v2
	ds_store_b64 v2, v[83:84]
	s_or_b32 exec_lo, exec_lo, s8
	s_and_saveexec_b32 s7, s6
	s_cbranch_execz .LBB49_281
.LBB49_336:
	v_sub_nc_u32_e32 v2, v41, v1
	s_delay_alu instid0(VALU_DEP_1)
	v_lshlrev_b32_e32 v2, 3, v2
	ds_store_b64 v2, v[81:82]
	s_or_b32 exec_lo, exec_lo, s7
	s_and_saveexec_b32 s6, s5
	s_cbranch_execz .LBB49_282
.LBB49_337:
	v_sub_nc_u32_e32 v2, v40, v1
	s_delay_alu instid0(VALU_DEP_1)
	v_lshlrev_b32_e32 v2, 3, v2
	ds_store_b64 v2, v[67:68]
	s_or_b32 exec_lo, exec_lo, s6
	s_and_saveexec_b32 s5, s4
	s_cbranch_execz .LBB49_283
.LBB49_338:
	v_sub_nc_u32_e32 v2, v39, v1
	s_delay_alu instid0(VALU_DEP_1)
	v_lshlrev_b32_e32 v2, 3, v2
	ds_store_b64 v2, v[69:70]
	s_or_b32 exec_lo, exec_lo, s5
	s_and_saveexec_b32 s4, s3
	s_cbranch_execz .LBB49_284
.LBB49_339:
	v_sub_nc_u32_e32 v2, v38, v1
	s_delay_alu instid0(VALU_DEP_1)
	v_lshlrev_b32_e32 v2, 3, v2
	ds_store_b64 v2, v[71:72]
	s_or_b32 exec_lo, exec_lo, s4
	s_and_saveexec_b32 s3, s2
	s_cbranch_execz .LBB49_285
.LBB49_340:
	v_sub_nc_u32_e32 v2, v37, v1
	s_delay_alu instid0(VALU_DEP_1)
	v_lshlrev_b32_e32 v2, 3, v2
	ds_store_b64 v2, v[73:74]
	s_or_b32 exec_lo, exec_lo, s3
	s_and_saveexec_b32 s2, s1
	s_cbranch_execnz .LBB49_286
	s_branch .LBB49_287
	.section	.rodata,"a",@progbits
	.p2align	6, 0x0
	.amdhsa_kernel _ZN7rocprim17ROCPRIM_400000_NS6detail17trampoline_kernelINS0_14default_configENS1_29reduce_by_key_config_selectorIddN6thrust23THRUST_200600_302600_NS4plusIdEEEEZZNS1_33reduce_by_key_impl_wrapped_configILNS1_25lookback_scan_determinismE0ES3_S9_NS6_6detail15normal_iteratorINS6_10device_ptrIdEEEESG_SG_SG_PmS8_NS6_8equal_toIdEEEE10hipError_tPvRmT2_T3_mT4_T5_T6_T7_T8_P12ihipStream_tbENKUlT_T0_E_clISt17integral_constantIbLb0EES10_IbLb1EEEEDaSW_SX_EUlSW_E_NS1_11comp_targetILNS1_3genE9ELNS1_11target_archE1100ELNS1_3gpuE3ELNS1_3repE0EEENS1_30default_config_static_selectorELNS0_4arch9wavefront6targetE0EEEvT1_
		.amdhsa_group_segment_fixed_size 30720
		.amdhsa_private_segment_fixed_size 0
		.amdhsa_kernarg_size 136
		.amdhsa_user_sgpr_count 15
		.amdhsa_user_sgpr_dispatch_ptr 0
		.amdhsa_user_sgpr_queue_ptr 0
		.amdhsa_user_sgpr_kernarg_segment_ptr 1
		.amdhsa_user_sgpr_dispatch_id 0
		.amdhsa_user_sgpr_private_segment_size 0
		.amdhsa_wavefront_size32 1
		.amdhsa_uses_dynamic_stack 0
		.amdhsa_enable_private_segment 0
		.amdhsa_system_sgpr_workgroup_id_x 1
		.amdhsa_system_sgpr_workgroup_id_y 0
		.amdhsa_system_sgpr_workgroup_id_z 0
		.amdhsa_system_sgpr_workgroup_info 0
		.amdhsa_system_vgpr_workitem_id 0
		.amdhsa_next_free_vgpr 120
		.amdhsa_next_free_sgpr 52
		.amdhsa_reserve_vcc 1
		.amdhsa_float_round_mode_32 0
		.amdhsa_float_round_mode_16_64 0
		.amdhsa_float_denorm_mode_32 3
		.amdhsa_float_denorm_mode_16_64 3
		.amdhsa_dx10_clamp 1
		.amdhsa_ieee_mode 1
		.amdhsa_fp16_overflow 0
		.amdhsa_workgroup_processor_mode 1
		.amdhsa_memory_ordered 1
		.amdhsa_forward_progress 0
		.amdhsa_shared_vgpr_count 0
		.amdhsa_exception_fp_ieee_invalid_op 0
		.amdhsa_exception_fp_denorm_src 0
		.amdhsa_exception_fp_ieee_div_zero 0
		.amdhsa_exception_fp_ieee_overflow 0
		.amdhsa_exception_fp_ieee_underflow 0
		.amdhsa_exception_fp_ieee_inexact 0
		.amdhsa_exception_int_div_zero 0
	.end_amdhsa_kernel
	.section	.text._ZN7rocprim17ROCPRIM_400000_NS6detail17trampoline_kernelINS0_14default_configENS1_29reduce_by_key_config_selectorIddN6thrust23THRUST_200600_302600_NS4plusIdEEEEZZNS1_33reduce_by_key_impl_wrapped_configILNS1_25lookback_scan_determinismE0ES3_S9_NS6_6detail15normal_iteratorINS6_10device_ptrIdEEEESG_SG_SG_PmS8_NS6_8equal_toIdEEEE10hipError_tPvRmT2_T3_mT4_T5_T6_T7_T8_P12ihipStream_tbENKUlT_T0_E_clISt17integral_constantIbLb0EES10_IbLb1EEEEDaSW_SX_EUlSW_E_NS1_11comp_targetILNS1_3genE9ELNS1_11target_archE1100ELNS1_3gpuE3ELNS1_3repE0EEENS1_30default_config_static_selectorELNS0_4arch9wavefront6targetE0EEEvT1_,"axG",@progbits,_ZN7rocprim17ROCPRIM_400000_NS6detail17trampoline_kernelINS0_14default_configENS1_29reduce_by_key_config_selectorIddN6thrust23THRUST_200600_302600_NS4plusIdEEEEZZNS1_33reduce_by_key_impl_wrapped_configILNS1_25lookback_scan_determinismE0ES3_S9_NS6_6detail15normal_iteratorINS6_10device_ptrIdEEEESG_SG_SG_PmS8_NS6_8equal_toIdEEEE10hipError_tPvRmT2_T3_mT4_T5_T6_T7_T8_P12ihipStream_tbENKUlT_T0_E_clISt17integral_constantIbLb0EES10_IbLb1EEEEDaSW_SX_EUlSW_E_NS1_11comp_targetILNS1_3genE9ELNS1_11target_archE1100ELNS1_3gpuE3ELNS1_3repE0EEENS1_30default_config_static_selectorELNS0_4arch9wavefront6targetE0EEEvT1_,comdat
.Lfunc_end49:
	.size	_ZN7rocprim17ROCPRIM_400000_NS6detail17trampoline_kernelINS0_14default_configENS1_29reduce_by_key_config_selectorIddN6thrust23THRUST_200600_302600_NS4plusIdEEEEZZNS1_33reduce_by_key_impl_wrapped_configILNS1_25lookback_scan_determinismE0ES3_S9_NS6_6detail15normal_iteratorINS6_10device_ptrIdEEEESG_SG_SG_PmS8_NS6_8equal_toIdEEEE10hipError_tPvRmT2_T3_mT4_T5_T6_T7_T8_P12ihipStream_tbENKUlT_T0_E_clISt17integral_constantIbLb0EES10_IbLb1EEEEDaSW_SX_EUlSW_E_NS1_11comp_targetILNS1_3genE9ELNS1_11target_archE1100ELNS1_3gpuE3ELNS1_3repE0EEENS1_30default_config_static_selectorELNS0_4arch9wavefront6targetE0EEEvT1_, .Lfunc_end49-_ZN7rocprim17ROCPRIM_400000_NS6detail17trampoline_kernelINS0_14default_configENS1_29reduce_by_key_config_selectorIddN6thrust23THRUST_200600_302600_NS4plusIdEEEEZZNS1_33reduce_by_key_impl_wrapped_configILNS1_25lookback_scan_determinismE0ES3_S9_NS6_6detail15normal_iteratorINS6_10device_ptrIdEEEESG_SG_SG_PmS8_NS6_8equal_toIdEEEE10hipError_tPvRmT2_T3_mT4_T5_T6_T7_T8_P12ihipStream_tbENKUlT_T0_E_clISt17integral_constantIbLb0EES10_IbLb1EEEEDaSW_SX_EUlSW_E_NS1_11comp_targetILNS1_3genE9ELNS1_11target_archE1100ELNS1_3gpuE3ELNS1_3repE0EEENS1_30default_config_static_selectorELNS0_4arch9wavefront6targetE0EEEvT1_
                                        ; -- End function
	.section	.AMDGPU.csdata,"",@progbits
; Kernel info:
; codeLenInByte = 18356
; NumSgprs: 54
; NumVgprs: 120
; ScratchSize: 0
; MemoryBound: 0
; FloatMode: 240
; IeeeMode: 1
; LDSByteSize: 30720 bytes/workgroup (compile time only)
; SGPRBlocks: 6
; VGPRBlocks: 14
; NumSGPRsForWavesPerEU: 54
; NumVGPRsForWavesPerEU: 120
; Occupancy: 8
; WaveLimiterHint : 1
; COMPUTE_PGM_RSRC2:SCRATCH_EN: 0
; COMPUTE_PGM_RSRC2:USER_SGPR: 15
; COMPUTE_PGM_RSRC2:TRAP_HANDLER: 0
; COMPUTE_PGM_RSRC2:TGID_X_EN: 1
; COMPUTE_PGM_RSRC2:TGID_Y_EN: 0
; COMPUTE_PGM_RSRC2:TGID_Z_EN: 0
; COMPUTE_PGM_RSRC2:TIDIG_COMP_CNT: 0
	.section	.text._ZN7rocprim17ROCPRIM_400000_NS6detail17trampoline_kernelINS0_14default_configENS1_29reduce_by_key_config_selectorIddN6thrust23THRUST_200600_302600_NS4plusIdEEEEZZNS1_33reduce_by_key_impl_wrapped_configILNS1_25lookback_scan_determinismE0ES3_S9_NS6_6detail15normal_iteratorINS6_10device_ptrIdEEEESG_SG_SG_PmS8_NS6_8equal_toIdEEEE10hipError_tPvRmT2_T3_mT4_T5_T6_T7_T8_P12ihipStream_tbENKUlT_T0_E_clISt17integral_constantIbLb0EES10_IbLb1EEEEDaSW_SX_EUlSW_E_NS1_11comp_targetILNS1_3genE8ELNS1_11target_archE1030ELNS1_3gpuE2ELNS1_3repE0EEENS1_30default_config_static_selectorELNS0_4arch9wavefront6targetE0EEEvT1_,"axG",@progbits,_ZN7rocprim17ROCPRIM_400000_NS6detail17trampoline_kernelINS0_14default_configENS1_29reduce_by_key_config_selectorIddN6thrust23THRUST_200600_302600_NS4plusIdEEEEZZNS1_33reduce_by_key_impl_wrapped_configILNS1_25lookback_scan_determinismE0ES3_S9_NS6_6detail15normal_iteratorINS6_10device_ptrIdEEEESG_SG_SG_PmS8_NS6_8equal_toIdEEEE10hipError_tPvRmT2_T3_mT4_T5_T6_T7_T8_P12ihipStream_tbENKUlT_T0_E_clISt17integral_constantIbLb0EES10_IbLb1EEEEDaSW_SX_EUlSW_E_NS1_11comp_targetILNS1_3genE8ELNS1_11target_archE1030ELNS1_3gpuE2ELNS1_3repE0EEENS1_30default_config_static_selectorELNS0_4arch9wavefront6targetE0EEEvT1_,comdat
	.protected	_ZN7rocprim17ROCPRIM_400000_NS6detail17trampoline_kernelINS0_14default_configENS1_29reduce_by_key_config_selectorIddN6thrust23THRUST_200600_302600_NS4plusIdEEEEZZNS1_33reduce_by_key_impl_wrapped_configILNS1_25lookback_scan_determinismE0ES3_S9_NS6_6detail15normal_iteratorINS6_10device_ptrIdEEEESG_SG_SG_PmS8_NS6_8equal_toIdEEEE10hipError_tPvRmT2_T3_mT4_T5_T6_T7_T8_P12ihipStream_tbENKUlT_T0_E_clISt17integral_constantIbLb0EES10_IbLb1EEEEDaSW_SX_EUlSW_E_NS1_11comp_targetILNS1_3genE8ELNS1_11target_archE1030ELNS1_3gpuE2ELNS1_3repE0EEENS1_30default_config_static_selectorELNS0_4arch9wavefront6targetE0EEEvT1_ ; -- Begin function _ZN7rocprim17ROCPRIM_400000_NS6detail17trampoline_kernelINS0_14default_configENS1_29reduce_by_key_config_selectorIddN6thrust23THRUST_200600_302600_NS4plusIdEEEEZZNS1_33reduce_by_key_impl_wrapped_configILNS1_25lookback_scan_determinismE0ES3_S9_NS6_6detail15normal_iteratorINS6_10device_ptrIdEEEESG_SG_SG_PmS8_NS6_8equal_toIdEEEE10hipError_tPvRmT2_T3_mT4_T5_T6_T7_T8_P12ihipStream_tbENKUlT_T0_E_clISt17integral_constantIbLb0EES10_IbLb1EEEEDaSW_SX_EUlSW_E_NS1_11comp_targetILNS1_3genE8ELNS1_11target_archE1030ELNS1_3gpuE2ELNS1_3repE0EEENS1_30default_config_static_selectorELNS0_4arch9wavefront6targetE0EEEvT1_
	.globl	_ZN7rocprim17ROCPRIM_400000_NS6detail17trampoline_kernelINS0_14default_configENS1_29reduce_by_key_config_selectorIddN6thrust23THRUST_200600_302600_NS4plusIdEEEEZZNS1_33reduce_by_key_impl_wrapped_configILNS1_25lookback_scan_determinismE0ES3_S9_NS6_6detail15normal_iteratorINS6_10device_ptrIdEEEESG_SG_SG_PmS8_NS6_8equal_toIdEEEE10hipError_tPvRmT2_T3_mT4_T5_T6_T7_T8_P12ihipStream_tbENKUlT_T0_E_clISt17integral_constantIbLb0EES10_IbLb1EEEEDaSW_SX_EUlSW_E_NS1_11comp_targetILNS1_3genE8ELNS1_11target_archE1030ELNS1_3gpuE2ELNS1_3repE0EEENS1_30default_config_static_selectorELNS0_4arch9wavefront6targetE0EEEvT1_
	.p2align	8
	.type	_ZN7rocprim17ROCPRIM_400000_NS6detail17trampoline_kernelINS0_14default_configENS1_29reduce_by_key_config_selectorIddN6thrust23THRUST_200600_302600_NS4plusIdEEEEZZNS1_33reduce_by_key_impl_wrapped_configILNS1_25lookback_scan_determinismE0ES3_S9_NS6_6detail15normal_iteratorINS6_10device_ptrIdEEEESG_SG_SG_PmS8_NS6_8equal_toIdEEEE10hipError_tPvRmT2_T3_mT4_T5_T6_T7_T8_P12ihipStream_tbENKUlT_T0_E_clISt17integral_constantIbLb0EES10_IbLb1EEEEDaSW_SX_EUlSW_E_NS1_11comp_targetILNS1_3genE8ELNS1_11target_archE1030ELNS1_3gpuE2ELNS1_3repE0EEENS1_30default_config_static_selectorELNS0_4arch9wavefront6targetE0EEEvT1_,@function
_ZN7rocprim17ROCPRIM_400000_NS6detail17trampoline_kernelINS0_14default_configENS1_29reduce_by_key_config_selectorIddN6thrust23THRUST_200600_302600_NS4plusIdEEEEZZNS1_33reduce_by_key_impl_wrapped_configILNS1_25lookback_scan_determinismE0ES3_S9_NS6_6detail15normal_iteratorINS6_10device_ptrIdEEEESG_SG_SG_PmS8_NS6_8equal_toIdEEEE10hipError_tPvRmT2_T3_mT4_T5_T6_T7_T8_P12ihipStream_tbENKUlT_T0_E_clISt17integral_constantIbLb0EES10_IbLb1EEEEDaSW_SX_EUlSW_E_NS1_11comp_targetILNS1_3genE8ELNS1_11target_archE1030ELNS1_3gpuE2ELNS1_3repE0EEENS1_30default_config_static_selectorELNS0_4arch9wavefront6targetE0EEEvT1_: ; @_ZN7rocprim17ROCPRIM_400000_NS6detail17trampoline_kernelINS0_14default_configENS1_29reduce_by_key_config_selectorIddN6thrust23THRUST_200600_302600_NS4plusIdEEEEZZNS1_33reduce_by_key_impl_wrapped_configILNS1_25lookback_scan_determinismE0ES3_S9_NS6_6detail15normal_iteratorINS6_10device_ptrIdEEEESG_SG_SG_PmS8_NS6_8equal_toIdEEEE10hipError_tPvRmT2_T3_mT4_T5_T6_T7_T8_P12ihipStream_tbENKUlT_T0_E_clISt17integral_constantIbLb0EES10_IbLb1EEEEDaSW_SX_EUlSW_E_NS1_11comp_targetILNS1_3genE8ELNS1_11target_archE1030ELNS1_3gpuE2ELNS1_3repE0EEENS1_30default_config_static_selectorELNS0_4arch9wavefront6targetE0EEEvT1_
; %bb.0:
	.section	.rodata,"a",@progbits
	.p2align	6, 0x0
	.amdhsa_kernel _ZN7rocprim17ROCPRIM_400000_NS6detail17trampoline_kernelINS0_14default_configENS1_29reduce_by_key_config_selectorIddN6thrust23THRUST_200600_302600_NS4plusIdEEEEZZNS1_33reduce_by_key_impl_wrapped_configILNS1_25lookback_scan_determinismE0ES3_S9_NS6_6detail15normal_iteratorINS6_10device_ptrIdEEEESG_SG_SG_PmS8_NS6_8equal_toIdEEEE10hipError_tPvRmT2_T3_mT4_T5_T6_T7_T8_P12ihipStream_tbENKUlT_T0_E_clISt17integral_constantIbLb0EES10_IbLb1EEEEDaSW_SX_EUlSW_E_NS1_11comp_targetILNS1_3genE8ELNS1_11target_archE1030ELNS1_3gpuE2ELNS1_3repE0EEENS1_30default_config_static_selectorELNS0_4arch9wavefront6targetE0EEEvT1_
		.amdhsa_group_segment_fixed_size 0
		.amdhsa_private_segment_fixed_size 0
		.amdhsa_kernarg_size 136
		.amdhsa_user_sgpr_count 15
		.amdhsa_user_sgpr_dispatch_ptr 0
		.amdhsa_user_sgpr_queue_ptr 0
		.amdhsa_user_sgpr_kernarg_segment_ptr 1
		.amdhsa_user_sgpr_dispatch_id 0
		.amdhsa_user_sgpr_private_segment_size 0
		.amdhsa_wavefront_size32 1
		.amdhsa_uses_dynamic_stack 0
		.amdhsa_enable_private_segment 0
		.amdhsa_system_sgpr_workgroup_id_x 1
		.amdhsa_system_sgpr_workgroup_id_y 0
		.amdhsa_system_sgpr_workgroup_id_z 0
		.amdhsa_system_sgpr_workgroup_info 0
		.amdhsa_system_vgpr_workitem_id 0
		.amdhsa_next_free_vgpr 1
		.amdhsa_next_free_sgpr 1
		.amdhsa_reserve_vcc 0
		.amdhsa_float_round_mode_32 0
		.amdhsa_float_round_mode_16_64 0
		.amdhsa_float_denorm_mode_32 3
		.amdhsa_float_denorm_mode_16_64 3
		.amdhsa_dx10_clamp 1
		.amdhsa_ieee_mode 1
		.amdhsa_fp16_overflow 0
		.amdhsa_workgroup_processor_mode 1
		.amdhsa_memory_ordered 1
		.amdhsa_forward_progress 0
		.amdhsa_shared_vgpr_count 0
		.amdhsa_exception_fp_ieee_invalid_op 0
		.amdhsa_exception_fp_denorm_src 0
		.amdhsa_exception_fp_ieee_div_zero 0
		.amdhsa_exception_fp_ieee_overflow 0
		.amdhsa_exception_fp_ieee_underflow 0
		.amdhsa_exception_fp_ieee_inexact 0
		.amdhsa_exception_int_div_zero 0
	.end_amdhsa_kernel
	.section	.text._ZN7rocprim17ROCPRIM_400000_NS6detail17trampoline_kernelINS0_14default_configENS1_29reduce_by_key_config_selectorIddN6thrust23THRUST_200600_302600_NS4plusIdEEEEZZNS1_33reduce_by_key_impl_wrapped_configILNS1_25lookback_scan_determinismE0ES3_S9_NS6_6detail15normal_iteratorINS6_10device_ptrIdEEEESG_SG_SG_PmS8_NS6_8equal_toIdEEEE10hipError_tPvRmT2_T3_mT4_T5_T6_T7_T8_P12ihipStream_tbENKUlT_T0_E_clISt17integral_constantIbLb0EES10_IbLb1EEEEDaSW_SX_EUlSW_E_NS1_11comp_targetILNS1_3genE8ELNS1_11target_archE1030ELNS1_3gpuE2ELNS1_3repE0EEENS1_30default_config_static_selectorELNS0_4arch9wavefront6targetE0EEEvT1_,"axG",@progbits,_ZN7rocprim17ROCPRIM_400000_NS6detail17trampoline_kernelINS0_14default_configENS1_29reduce_by_key_config_selectorIddN6thrust23THRUST_200600_302600_NS4plusIdEEEEZZNS1_33reduce_by_key_impl_wrapped_configILNS1_25lookback_scan_determinismE0ES3_S9_NS6_6detail15normal_iteratorINS6_10device_ptrIdEEEESG_SG_SG_PmS8_NS6_8equal_toIdEEEE10hipError_tPvRmT2_T3_mT4_T5_T6_T7_T8_P12ihipStream_tbENKUlT_T0_E_clISt17integral_constantIbLb0EES10_IbLb1EEEEDaSW_SX_EUlSW_E_NS1_11comp_targetILNS1_3genE8ELNS1_11target_archE1030ELNS1_3gpuE2ELNS1_3repE0EEENS1_30default_config_static_selectorELNS0_4arch9wavefront6targetE0EEEvT1_,comdat
.Lfunc_end50:
	.size	_ZN7rocprim17ROCPRIM_400000_NS6detail17trampoline_kernelINS0_14default_configENS1_29reduce_by_key_config_selectorIddN6thrust23THRUST_200600_302600_NS4plusIdEEEEZZNS1_33reduce_by_key_impl_wrapped_configILNS1_25lookback_scan_determinismE0ES3_S9_NS6_6detail15normal_iteratorINS6_10device_ptrIdEEEESG_SG_SG_PmS8_NS6_8equal_toIdEEEE10hipError_tPvRmT2_T3_mT4_T5_T6_T7_T8_P12ihipStream_tbENKUlT_T0_E_clISt17integral_constantIbLb0EES10_IbLb1EEEEDaSW_SX_EUlSW_E_NS1_11comp_targetILNS1_3genE8ELNS1_11target_archE1030ELNS1_3gpuE2ELNS1_3repE0EEENS1_30default_config_static_selectorELNS0_4arch9wavefront6targetE0EEEvT1_, .Lfunc_end50-_ZN7rocprim17ROCPRIM_400000_NS6detail17trampoline_kernelINS0_14default_configENS1_29reduce_by_key_config_selectorIddN6thrust23THRUST_200600_302600_NS4plusIdEEEEZZNS1_33reduce_by_key_impl_wrapped_configILNS1_25lookback_scan_determinismE0ES3_S9_NS6_6detail15normal_iteratorINS6_10device_ptrIdEEEESG_SG_SG_PmS8_NS6_8equal_toIdEEEE10hipError_tPvRmT2_T3_mT4_T5_T6_T7_T8_P12ihipStream_tbENKUlT_T0_E_clISt17integral_constantIbLb0EES10_IbLb1EEEEDaSW_SX_EUlSW_E_NS1_11comp_targetILNS1_3genE8ELNS1_11target_archE1030ELNS1_3gpuE2ELNS1_3repE0EEENS1_30default_config_static_selectorELNS0_4arch9wavefront6targetE0EEEvT1_
                                        ; -- End function
	.section	.AMDGPU.csdata,"",@progbits
; Kernel info:
; codeLenInByte = 0
; NumSgprs: 0
; NumVgprs: 0
; ScratchSize: 0
; MemoryBound: 0
; FloatMode: 240
; IeeeMode: 1
; LDSByteSize: 0 bytes/workgroup (compile time only)
; SGPRBlocks: 0
; VGPRBlocks: 0
; NumSGPRsForWavesPerEU: 1
; NumVGPRsForWavesPerEU: 1
; Occupancy: 16
; WaveLimiterHint : 0
; COMPUTE_PGM_RSRC2:SCRATCH_EN: 0
; COMPUTE_PGM_RSRC2:USER_SGPR: 15
; COMPUTE_PGM_RSRC2:TRAP_HANDLER: 0
; COMPUTE_PGM_RSRC2:TGID_X_EN: 1
; COMPUTE_PGM_RSRC2:TGID_Y_EN: 0
; COMPUTE_PGM_RSRC2:TGID_Z_EN: 0
; COMPUTE_PGM_RSRC2:TIDIG_COMP_CNT: 0
	.section	.text._ZN7rocprim17ROCPRIM_400000_NS6detail17trampoline_kernelINS0_14default_configENS1_29reduce_by_key_config_selectorIddN6thrust23THRUST_200600_302600_NS4plusIdEEEEZZNS1_33reduce_by_key_impl_wrapped_configILNS1_25lookback_scan_determinismE0ES3_S9_NS6_6detail15normal_iteratorINS6_10device_ptrIdEEEESG_SG_SG_PmS8_22is_equal_div_10_reduceIdEEE10hipError_tPvRmT2_T3_mT4_T5_T6_T7_T8_P12ihipStream_tbENKUlT_T0_E_clISt17integral_constantIbLb0EES11_EEDaSW_SX_EUlSW_E_NS1_11comp_targetILNS1_3genE0ELNS1_11target_archE4294967295ELNS1_3gpuE0ELNS1_3repE0EEENS1_30default_config_static_selectorELNS0_4arch9wavefront6targetE0EEEvT1_,"axG",@progbits,_ZN7rocprim17ROCPRIM_400000_NS6detail17trampoline_kernelINS0_14default_configENS1_29reduce_by_key_config_selectorIddN6thrust23THRUST_200600_302600_NS4plusIdEEEEZZNS1_33reduce_by_key_impl_wrapped_configILNS1_25lookback_scan_determinismE0ES3_S9_NS6_6detail15normal_iteratorINS6_10device_ptrIdEEEESG_SG_SG_PmS8_22is_equal_div_10_reduceIdEEE10hipError_tPvRmT2_T3_mT4_T5_T6_T7_T8_P12ihipStream_tbENKUlT_T0_E_clISt17integral_constantIbLb0EES11_EEDaSW_SX_EUlSW_E_NS1_11comp_targetILNS1_3genE0ELNS1_11target_archE4294967295ELNS1_3gpuE0ELNS1_3repE0EEENS1_30default_config_static_selectorELNS0_4arch9wavefront6targetE0EEEvT1_,comdat
	.protected	_ZN7rocprim17ROCPRIM_400000_NS6detail17trampoline_kernelINS0_14default_configENS1_29reduce_by_key_config_selectorIddN6thrust23THRUST_200600_302600_NS4plusIdEEEEZZNS1_33reduce_by_key_impl_wrapped_configILNS1_25lookback_scan_determinismE0ES3_S9_NS6_6detail15normal_iteratorINS6_10device_ptrIdEEEESG_SG_SG_PmS8_22is_equal_div_10_reduceIdEEE10hipError_tPvRmT2_T3_mT4_T5_T6_T7_T8_P12ihipStream_tbENKUlT_T0_E_clISt17integral_constantIbLb0EES11_EEDaSW_SX_EUlSW_E_NS1_11comp_targetILNS1_3genE0ELNS1_11target_archE4294967295ELNS1_3gpuE0ELNS1_3repE0EEENS1_30default_config_static_selectorELNS0_4arch9wavefront6targetE0EEEvT1_ ; -- Begin function _ZN7rocprim17ROCPRIM_400000_NS6detail17trampoline_kernelINS0_14default_configENS1_29reduce_by_key_config_selectorIddN6thrust23THRUST_200600_302600_NS4plusIdEEEEZZNS1_33reduce_by_key_impl_wrapped_configILNS1_25lookback_scan_determinismE0ES3_S9_NS6_6detail15normal_iteratorINS6_10device_ptrIdEEEESG_SG_SG_PmS8_22is_equal_div_10_reduceIdEEE10hipError_tPvRmT2_T3_mT4_T5_T6_T7_T8_P12ihipStream_tbENKUlT_T0_E_clISt17integral_constantIbLb0EES11_EEDaSW_SX_EUlSW_E_NS1_11comp_targetILNS1_3genE0ELNS1_11target_archE4294967295ELNS1_3gpuE0ELNS1_3repE0EEENS1_30default_config_static_selectorELNS0_4arch9wavefront6targetE0EEEvT1_
	.globl	_ZN7rocprim17ROCPRIM_400000_NS6detail17trampoline_kernelINS0_14default_configENS1_29reduce_by_key_config_selectorIddN6thrust23THRUST_200600_302600_NS4plusIdEEEEZZNS1_33reduce_by_key_impl_wrapped_configILNS1_25lookback_scan_determinismE0ES3_S9_NS6_6detail15normal_iteratorINS6_10device_ptrIdEEEESG_SG_SG_PmS8_22is_equal_div_10_reduceIdEEE10hipError_tPvRmT2_T3_mT4_T5_T6_T7_T8_P12ihipStream_tbENKUlT_T0_E_clISt17integral_constantIbLb0EES11_EEDaSW_SX_EUlSW_E_NS1_11comp_targetILNS1_3genE0ELNS1_11target_archE4294967295ELNS1_3gpuE0ELNS1_3repE0EEENS1_30default_config_static_selectorELNS0_4arch9wavefront6targetE0EEEvT1_
	.p2align	8
	.type	_ZN7rocprim17ROCPRIM_400000_NS6detail17trampoline_kernelINS0_14default_configENS1_29reduce_by_key_config_selectorIddN6thrust23THRUST_200600_302600_NS4plusIdEEEEZZNS1_33reduce_by_key_impl_wrapped_configILNS1_25lookback_scan_determinismE0ES3_S9_NS6_6detail15normal_iteratorINS6_10device_ptrIdEEEESG_SG_SG_PmS8_22is_equal_div_10_reduceIdEEE10hipError_tPvRmT2_T3_mT4_T5_T6_T7_T8_P12ihipStream_tbENKUlT_T0_E_clISt17integral_constantIbLb0EES11_EEDaSW_SX_EUlSW_E_NS1_11comp_targetILNS1_3genE0ELNS1_11target_archE4294967295ELNS1_3gpuE0ELNS1_3repE0EEENS1_30default_config_static_selectorELNS0_4arch9wavefront6targetE0EEEvT1_,@function
_ZN7rocprim17ROCPRIM_400000_NS6detail17trampoline_kernelINS0_14default_configENS1_29reduce_by_key_config_selectorIddN6thrust23THRUST_200600_302600_NS4plusIdEEEEZZNS1_33reduce_by_key_impl_wrapped_configILNS1_25lookback_scan_determinismE0ES3_S9_NS6_6detail15normal_iteratorINS6_10device_ptrIdEEEESG_SG_SG_PmS8_22is_equal_div_10_reduceIdEEE10hipError_tPvRmT2_T3_mT4_T5_T6_T7_T8_P12ihipStream_tbENKUlT_T0_E_clISt17integral_constantIbLb0EES11_EEDaSW_SX_EUlSW_E_NS1_11comp_targetILNS1_3genE0ELNS1_11target_archE4294967295ELNS1_3gpuE0ELNS1_3repE0EEENS1_30default_config_static_selectorELNS0_4arch9wavefront6targetE0EEEvT1_: ; @_ZN7rocprim17ROCPRIM_400000_NS6detail17trampoline_kernelINS0_14default_configENS1_29reduce_by_key_config_selectorIddN6thrust23THRUST_200600_302600_NS4plusIdEEEEZZNS1_33reduce_by_key_impl_wrapped_configILNS1_25lookback_scan_determinismE0ES3_S9_NS6_6detail15normal_iteratorINS6_10device_ptrIdEEEESG_SG_SG_PmS8_22is_equal_div_10_reduceIdEEE10hipError_tPvRmT2_T3_mT4_T5_T6_T7_T8_P12ihipStream_tbENKUlT_T0_E_clISt17integral_constantIbLb0EES11_EEDaSW_SX_EUlSW_E_NS1_11comp_targetILNS1_3genE0ELNS1_11target_archE4294967295ELNS1_3gpuE0ELNS1_3repE0EEENS1_30default_config_static_selectorELNS0_4arch9wavefront6targetE0EEEvT1_
; %bb.0:
	.section	.rodata,"a",@progbits
	.p2align	6, 0x0
	.amdhsa_kernel _ZN7rocprim17ROCPRIM_400000_NS6detail17trampoline_kernelINS0_14default_configENS1_29reduce_by_key_config_selectorIddN6thrust23THRUST_200600_302600_NS4plusIdEEEEZZNS1_33reduce_by_key_impl_wrapped_configILNS1_25lookback_scan_determinismE0ES3_S9_NS6_6detail15normal_iteratorINS6_10device_ptrIdEEEESG_SG_SG_PmS8_22is_equal_div_10_reduceIdEEE10hipError_tPvRmT2_T3_mT4_T5_T6_T7_T8_P12ihipStream_tbENKUlT_T0_E_clISt17integral_constantIbLb0EES11_EEDaSW_SX_EUlSW_E_NS1_11comp_targetILNS1_3genE0ELNS1_11target_archE4294967295ELNS1_3gpuE0ELNS1_3repE0EEENS1_30default_config_static_selectorELNS0_4arch9wavefront6targetE0EEEvT1_
		.amdhsa_group_segment_fixed_size 0
		.amdhsa_private_segment_fixed_size 0
		.amdhsa_kernarg_size 136
		.amdhsa_user_sgpr_count 15
		.amdhsa_user_sgpr_dispatch_ptr 0
		.amdhsa_user_sgpr_queue_ptr 0
		.amdhsa_user_sgpr_kernarg_segment_ptr 1
		.amdhsa_user_sgpr_dispatch_id 0
		.amdhsa_user_sgpr_private_segment_size 0
		.amdhsa_wavefront_size32 1
		.amdhsa_uses_dynamic_stack 0
		.amdhsa_enable_private_segment 0
		.amdhsa_system_sgpr_workgroup_id_x 1
		.amdhsa_system_sgpr_workgroup_id_y 0
		.amdhsa_system_sgpr_workgroup_id_z 0
		.amdhsa_system_sgpr_workgroup_info 0
		.amdhsa_system_vgpr_workitem_id 0
		.amdhsa_next_free_vgpr 1
		.amdhsa_next_free_sgpr 1
		.amdhsa_reserve_vcc 0
		.amdhsa_float_round_mode_32 0
		.amdhsa_float_round_mode_16_64 0
		.amdhsa_float_denorm_mode_32 3
		.amdhsa_float_denorm_mode_16_64 3
		.amdhsa_dx10_clamp 1
		.amdhsa_ieee_mode 1
		.amdhsa_fp16_overflow 0
		.amdhsa_workgroup_processor_mode 1
		.amdhsa_memory_ordered 1
		.amdhsa_forward_progress 0
		.amdhsa_shared_vgpr_count 0
		.amdhsa_exception_fp_ieee_invalid_op 0
		.amdhsa_exception_fp_denorm_src 0
		.amdhsa_exception_fp_ieee_div_zero 0
		.amdhsa_exception_fp_ieee_overflow 0
		.amdhsa_exception_fp_ieee_underflow 0
		.amdhsa_exception_fp_ieee_inexact 0
		.amdhsa_exception_int_div_zero 0
	.end_amdhsa_kernel
	.section	.text._ZN7rocprim17ROCPRIM_400000_NS6detail17trampoline_kernelINS0_14default_configENS1_29reduce_by_key_config_selectorIddN6thrust23THRUST_200600_302600_NS4plusIdEEEEZZNS1_33reduce_by_key_impl_wrapped_configILNS1_25lookback_scan_determinismE0ES3_S9_NS6_6detail15normal_iteratorINS6_10device_ptrIdEEEESG_SG_SG_PmS8_22is_equal_div_10_reduceIdEEE10hipError_tPvRmT2_T3_mT4_T5_T6_T7_T8_P12ihipStream_tbENKUlT_T0_E_clISt17integral_constantIbLb0EES11_EEDaSW_SX_EUlSW_E_NS1_11comp_targetILNS1_3genE0ELNS1_11target_archE4294967295ELNS1_3gpuE0ELNS1_3repE0EEENS1_30default_config_static_selectorELNS0_4arch9wavefront6targetE0EEEvT1_,"axG",@progbits,_ZN7rocprim17ROCPRIM_400000_NS6detail17trampoline_kernelINS0_14default_configENS1_29reduce_by_key_config_selectorIddN6thrust23THRUST_200600_302600_NS4plusIdEEEEZZNS1_33reduce_by_key_impl_wrapped_configILNS1_25lookback_scan_determinismE0ES3_S9_NS6_6detail15normal_iteratorINS6_10device_ptrIdEEEESG_SG_SG_PmS8_22is_equal_div_10_reduceIdEEE10hipError_tPvRmT2_T3_mT4_T5_T6_T7_T8_P12ihipStream_tbENKUlT_T0_E_clISt17integral_constantIbLb0EES11_EEDaSW_SX_EUlSW_E_NS1_11comp_targetILNS1_3genE0ELNS1_11target_archE4294967295ELNS1_3gpuE0ELNS1_3repE0EEENS1_30default_config_static_selectorELNS0_4arch9wavefront6targetE0EEEvT1_,comdat
.Lfunc_end51:
	.size	_ZN7rocprim17ROCPRIM_400000_NS6detail17trampoline_kernelINS0_14default_configENS1_29reduce_by_key_config_selectorIddN6thrust23THRUST_200600_302600_NS4plusIdEEEEZZNS1_33reduce_by_key_impl_wrapped_configILNS1_25lookback_scan_determinismE0ES3_S9_NS6_6detail15normal_iteratorINS6_10device_ptrIdEEEESG_SG_SG_PmS8_22is_equal_div_10_reduceIdEEE10hipError_tPvRmT2_T3_mT4_T5_T6_T7_T8_P12ihipStream_tbENKUlT_T0_E_clISt17integral_constantIbLb0EES11_EEDaSW_SX_EUlSW_E_NS1_11comp_targetILNS1_3genE0ELNS1_11target_archE4294967295ELNS1_3gpuE0ELNS1_3repE0EEENS1_30default_config_static_selectorELNS0_4arch9wavefront6targetE0EEEvT1_, .Lfunc_end51-_ZN7rocprim17ROCPRIM_400000_NS6detail17trampoline_kernelINS0_14default_configENS1_29reduce_by_key_config_selectorIddN6thrust23THRUST_200600_302600_NS4plusIdEEEEZZNS1_33reduce_by_key_impl_wrapped_configILNS1_25lookback_scan_determinismE0ES3_S9_NS6_6detail15normal_iteratorINS6_10device_ptrIdEEEESG_SG_SG_PmS8_22is_equal_div_10_reduceIdEEE10hipError_tPvRmT2_T3_mT4_T5_T6_T7_T8_P12ihipStream_tbENKUlT_T0_E_clISt17integral_constantIbLb0EES11_EEDaSW_SX_EUlSW_E_NS1_11comp_targetILNS1_3genE0ELNS1_11target_archE4294967295ELNS1_3gpuE0ELNS1_3repE0EEENS1_30default_config_static_selectorELNS0_4arch9wavefront6targetE0EEEvT1_
                                        ; -- End function
	.section	.AMDGPU.csdata,"",@progbits
; Kernel info:
; codeLenInByte = 0
; NumSgprs: 0
; NumVgprs: 0
; ScratchSize: 0
; MemoryBound: 0
; FloatMode: 240
; IeeeMode: 1
; LDSByteSize: 0 bytes/workgroup (compile time only)
; SGPRBlocks: 0
; VGPRBlocks: 0
; NumSGPRsForWavesPerEU: 1
; NumVGPRsForWavesPerEU: 1
; Occupancy: 16
; WaveLimiterHint : 0
; COMPUTE_PGM_RSRC2:SCRATCH_EN: 0
; COMPUTE_PGM_RSRC2:USER_SGPR: 15
; COMPUTE_PGM_RSRC2:TRAP_HANDLER: 0
; COMPUTE_PGM_RSRC2:TGID_X_EN: 1
; COMPUTE_PGM_RSRC2:TGID_Y_EN: 0
; COMPUTE_PGM_RSRC2:TGID_Z_EN: 0
; COMPUTE_PGM_RSRC2:TIDIG_COMP_CNT: 0
	.section	.text._ZN7rocprim17ROCPRIM_400000_NS6detail17trampoline_kernelINS0_14default_configENS1_29reduce_by_key_config_selectorIddN6thrust23THRUST_200600_302600_NS4plusIdEEEEZZNS1_33reduce_by_key_impl_wrapped_configILNS1_25lookback_scan_determinismE0ES3_S9_NS6_6detail15normal_iteratorINS6_10device_ptrIdEEEESG_SG_SG_PmS8_22is_equal_div_10_reduceIdEEE10hipError_tPvRmT2_T3_mT4_T5_T6_T7_T8_P12ihipStream_tbENKUlT_T0_E_clISt17integral_constantIbLb0EES11_EEDaSW_SX_EUlSW_E_NS1_11comp_targetILNS1_3genE5ELNS1_11target_archE942ELNS1_3gpuE9ELNS1_3repE0EEENS1_30default_config_static_selectorELNS0_4arch9wavefront6targetE0EEEvT1_,"axG",@progbits,_ZN7rocprim17ROCPRIM_400000_NS6detail17trampoline_kernelINS0_14default_configENS1_29reduce_by_key_config_selectorIddN6thrust23THRUST_200600_302600_NS4plusIdEEEEZZNS1_33reduce_by_key_impl_wrapped_configILNS1_25lookback_scan_determinismE0ES3_S9_NS6_6detail15normal_iteratorINS6_10device_ptrIdEEEESG_SG_SG_PmS8_22is_equal_div_10_reduceIdEEE10hipError_tPvRmT2_T3_mT4_T5_T6_T7_T8_P12ihipStream_tbENKUlT_T0_E_clISt17integral_constantIbLb0EES11_EEDaSW_SX_EUlSW_E_NS1_11comp_targetILNS1_3genE5ELNS1_11target_archE942ELNS1_3gpuE9ELNS1_3repE0EEENS1_30default_config_static_selectorELNS0_4arch9wavefront6targetE0EEEvT1_,comdat
	.protected	_ZN7rocprim17ROCPRIM_400000_NS6detail17trampoline_kernelINS0_14default_configENS1_29reduce_by_key_config_selectorIddN6thrust23THRUST_200600_302600_NS4plusIdEEEEZZNS1_33reduce_by_key_impl_wrapped_configILNS1_25lookback_scan_determinismE0ES3_S9_NS6_6detail15normal_iteratorINS6_10device_ptrIdEEEESG_SG_SG_PmS8_22is_equal_div_10_reduceIdEEE10hipError_tPvRmT2_T3_mT4_T5_T6_T7_T8_P12ihipStream_tbENKUlT_T0_E_clISt17integral_constantIbLb0EES11_EEDaSW_SX_EUlSW_E_NS1_11comp_targetILNS1_3genE5ELNS1_11target_archE942ELNS1_3gpuE9ELNS1_3repE0EEENS1_30default_config_static_selectorELNS0_4arch9wavefront6targetE0EEEvT1_ ; -- Begin function _ZN7rocprim17ROCPRIM_400000_NS6detail17trampoline_kernelINS0_14default_configENS1_29reduce_by_key_config_selectorIddN6thrust23THRUST_200600_302600_NS4plusIdEEEEZZNS1_33reduce_by_key_impl_wrapped_configILNS1_25lookback_scan_determinismE0ES3_S9_NS6_6detail15normal_iteratorINS6_10device_ptrIdEEEESG_SG_SG_PmS8_22is_equal_div_10_reduceIdEEE10hipError_tPvRmT2_T3_mT4_T5_T6_T7_T8_P12ihipStream_tbENKUlT_T0_E_clISt17integral_constantIbLb0EES11_EEDaSW_SX_EUlSW_E_NS1_11comp_targetILNS1_3genE5ELNS1_11target_archE942ELNS1_3gpuE9ELNS1_3repE0EEENS1_30default_config_static_selectorELNS0_4arch9wavefront6targetE0EEEvT1_
	.globl	_ZN7rocprim17ROCPRIM_400000_NS6detail17trampoline_kernelINS0_14default_configENS1_29reduce_by_key_config_selectorIddN6thrust23THRUST_200600_302600_NS4plusIdEEEEZZNS1_33reduce_by_key_impl_wrapped_configILNS1_25lookback_scan_determinismE0ES3_S9_NS6_6detail15normal_iteratorINS6_10device_ptrIdEEEESG_SG_SG_PmS8_22is_equal_div_10_reduceIdEEE10hipError_tPvRmT2_T3_mT4_T5_T6_T7_T8_P12ihipStream_tbENKUlT_T0_E_clISt17integral_constantIbLb0EES11_EEDaSW_SX_EUlSW_E_NS1_11comp_targetILNS1_3genE5ELNS1_11target_archE942ELNS1_3gpuE9ELNS1_3repE0EEENS1_30default_config_static_selectorELNS0_4arch9wavefront6targetE0EEEvT1_
	.p2align	8
	.type	_ZN7rocprim17ROCPRIM_400000_NS6detail17trampoline_kernelINS0_14default_configENS1_29reduce_by_key_config_selectorIddN6thrust23THRUST_200600_302600_NS4plusIdEEEEZZNS1_33reduce_by_key_impl_wrapped_configILNS1_25lookback_scan_determinismE0ES3_S9_NS6_6detail15normal_iteratorINS6_10device_ptrIdEEEESG_SG_SG_PmS8_22is_equal_div_10_reduceIdEEE10hipError_tPvRmT2_T3_mT4_T5_T6_T7_T8_P12ihipStream_tbENKUlT_T0_E_clISt17integral_constantIbLb0EES11_EEDaSW_SX_EUlSW_E_NS1_11comp_targetILNS1_3genE5ELNS1_11target_archE942ELNS1_3gpuE9ELNS1_3repE0EEENS1_30default_config_static_selectorELNS0_4arch9wavefront6targetE0EEEvT1_,@function
_ZN7rocprim17ROCPRIM_400000_NS6detail17trampoline_kernelINS0_14default_configENS1_29reduce_by_key_config_selectorIddN6thrust23THRUST_200600_302600_NS4plusIdEEEEZZNS1_33reduce_by_key_impl_wrapped_configILNS1_25lookback_scan_determinismE0ES3_S9_NS6_6detail15normal_iteratorINS6_10device_ptrIdEEEESG_SG_SG_PmS8_22is_equal_div_10_reduceIdEEE10hipError_tPvRmT2_T3_mT4_T5_T6_T7_T8_P12ihipStream_tbENKUlT_T0_E_clISt17integral_constantIbLb0EES11_EEDaSW_SX_EUlSW_E_NS1_11comp_targetILNS1_3genE5ELNS1_11target_archE942ELNS1_3gpuE9ELNS1_3repE0EEENS1_30default_config_static_selectorELNS0_4arch9wavefront6targetE0EEEvT1_: ; @_ZN7rocprim17ROCPRIM_400000_NS6detail17trampoline_kernelINS0_14default_configENS1_29reduce_by_key_config_selectorIddN6thrust23THRUST_200600_302600_NS4plusIdEEEEZZNS1_33reduce_by_key_impl_wrapped_configILNS1_25lookback_scan_determinismE0ES3_S9_NS6_6detail15normal_iteratorINS6_10device_ptrIdEEEESG_SG_SG_PmS8_22is_equal_div_10_reduceIdEEE10hipError_tPvRmT2_T3_mT4_T5_T6_T7_T8_P12ihipStream_tbENKUlT_T0_E_clISt17integral_constantIbLb0EES11_EEDaSW_SX_EUlSW_E_NS1_11comp_targetILNS1_3genE5ELNS1_11target_archE942ELNS1_3gpuE9ELNS1_3repE0EEENS1_30default_config_static_selectorELNS0_4arch9wavefront6targetE0EEEvT1_
; %bb.0:
	.section	.rodata,"a",@progbits
	.p2align	6, 0x0
	.amdhsa_kernel _ZN7rocprim17ROCPRIM_400000_NS6detail17trampoline_kernelINS0_14default_configENS1_29reduce_by_key_config_selectorIddN6thrust23THRUST_200600_302600_NS4plusIdEEEEZZNS1_33reduce_by_key_impl_wrapped_configILNS1_25lookback_scan_determinismE0ES3_S9_NS6_6detail15normal_iteratorINS6_10device_ptrIdEEEESG_SG_SG_PmS8_22is_equal_div_10_reduceIdEEE10hipError_tPvRmT2_T3_mT4_T5_T6_T7_T8_P12ihipStream_tbENKUlT_T0_E_clISt17integral_constantIbLb0EES11_EEDaSW_SX_EUlSW_E_NS1_11comp_targetILNS1_3genE5ELNS1_11target_archE942ELNS1_3gpuE9ELNS1_3repE0EEENS1_30default_config_static_selectorELNS0_4arch9wavefront6targetE0EEEvT1_
		.amdhsa_group_segment_fixed_size 0
		.amdhsa_private_segment_fixed_size 0
		.amdhsa_kernarg_size 136
		.amdhsa_user_sgpr_count 15
		.amdhsa_user_sgpr_dispatch_ptr 0
		.amdhsa_user_sgpr_queue_ptr 0
		.amdhsa_user_sgpr_kernarg_segment_ptr 1
		.amdhsa_user_sgpr_dispatch_id 0
		.amdhsa_user_sgpr_private_segment_size 0
		.amdhsa_wavefront_size32 1
		.amdhsa_uses_dynamic_stack 0
		.amdhsa_enable_private_segment 0
		.amdhsa_system_sgpr_workgroup_id_x 1
		.amdhsa_system_sgpr_workgroup_id_y 0
		.amdhsa_system_sgpr_workgroup_id_z 0
		.amdhsa_system_sgpr_workgroup_info 0
		.amdhsa_system_vgpr_workitem_id 0
		.amdhsa_next_free_vgpr 1
		.amdhsa_next_free_sgpr 1
		.amdhsa_reserve_vcc 0
		.amdhsa_float_round_mode_32 0
		.amdhsa_float_round_mode_16_64 0
		.amdhsa_float_denorm_mode_32 3
		.amdhsa_float_denorm_mode_16_64 3
		.amdhsa_dx10_clamp 1
		.amdhsa_ieee_mode 1
		.amdhsa_fp16_overflow 0
		.amdhsa_workgroup_processor_mode 1
		.amdhsa_memory_ordered 1
		.amdhsa_forward_progress 0
		.amdhsa_shared_vgpr_count 0
		.amdhsa_exception_fp_ieee_invalid_op 0
		.amdhsa_exception_fp_denorm_src 0
		.amdhsa_exception_fp_ieee_div_zero 0
		.amdhsa_exception_fp_ieee_overflow 0
		.amdhsa_exception_fp_ieee_underflow 0
		.amdhsa_exception_fp_ieee_inexact 0
		.amdhsa_exception_int_div_zero 0
	.end_amdhsa_kernel
	.section	.text._ZN7rocprim17ROCPRIM_400000_NS6detail17trampoline_kernelINS0_14default_configENS1_29reduce_by_key_config_selectorIddN6thrust23THRUST_200600_302600_NS4plusIdEEEEZZNS1_33reduce_by_key_impl_wrapped_configILNS1_25lookback_scan_determinismE0ES3_S9_NS6_6detail15normal_iteratorINS6_10device_ptrIdEEEESG_SG_SG_PmS8_22is_equal_div_10_reduceIdEEE10hipError_tPvRmT2_T3_mT4_T5_T6_T7_T8_P12ihipStream_tbENKUlT_T0_E_clISt17integral_constantIbLb0EES11_EEDaSW_SX_EUlSW_E_NS1_11comp_targetILNS1_3genE5ELNS1_11target_archE942ELNS1_3gpuE9ELNS1_3repE0EEENS1_30default_config_static_selectorELNS0_4arch9wavefront6targetE0EEEvT1_,"axG",@progbits,_ZN7rocprim17ROCPRIM_400000_NS6detail17trampoline_kernelINS0_14default_configENS1_29reduce_by_key_config_selectorIddN6thrust23THRUST_200600_302600_NS4plusIdEEEEZZNS1_33reduce_by_key_impl_wrapped_configILNS1_25lookback_scan_determinismE0ES3_S9_NS6_6detail15normal_iteratorINS6_10device_ptrIdEEEESG_SG_SG_PmS8_22is_equal_div_10_reduceIdEEE10hipError_tPvRmT2_T3_mT4_T5_T6_T7_T8_P12ihipStream_tbENKUlT_T0_E_clISt17integral_constantIbLb0EES11_EEDaSW_SX_EUlSW_E_NS1_11comp_targetILNS1_3genE5ELNS1_11target_archE942ELNS1_3gpuE9ELNS1_3repE0EEENS1_30default_config_static_selectorELNS0_4arch9wavefront6targetE0EEEvT1_,comdat
.Lfunc_end52:
	.size	_ZN7rocprim17ROCPRIM_400000_NS6detail17trampoline_kernelINS0_14default_configENS1_29reduce_by_key_config_selectorIddN6thrust23THRUST_200600_302600_NS4plusIdEEEEZZNS1_33reduce_by_key_impl_wrapped_configILNS1_25lookback_scan_determinismE0ES3_S9_NS6_6detail15normal_iteratorINS6_10device_ptrIdEEEESG_SG_SG_PmS8_22is_equal_div_10_reduceIdEEE10hipError_tPvRmT2_T3_mT4_T5_T6_T7_T8_P12ihipStream_tbENKUlT_T0_E_clISt17integral_constantIbLb0EES11_EEDaSW_SX_EUlSW_E_NS1_11comp_targetILNS1_3genE5ELNS1_11target_archE942ELNS1_3gpuE9ELNS1_3repE0EEENS1_30default_config_static_selectorELNS0_4arch9wavefront6targetE0EEEvT1_, .Lfunc_end52-_ZN7rocprim17ROCPRIM_400000_NS6detail17trampoline_kernelINS0_14default_configENS1_29reduce_by_key_config_selectorIddN6thrust23THRUST_200600_302600_NS4plusIdEEEEZZNS1_33reduce_by_key_impl_wrapped_configILNS1_25lookback_scan_determinismE0ES3_S9_NS6_6detail15normal_iteratorINS6_10device_ptrIdEEEESG_SG_SG_PmS8_22is_equal_div_10_reduceIdEEE10hipError_tPvRmT2_T3_mT4_T5_T6_T7_T8_P12ihipStream_tbENKUlT_T0_E_clISt17integral_constantIbLb0EES11_EEDaSW_SX_EUlSW_E_NS1_11comp_targetILNS1_3genE5ELNS1_11target_archE942ELNS1_3gpuE9ELNS1_3repE0EEENS1_30default_config_static_selectorELNS0_4arch9wavefront6targetE0EEEvT1_
                                        ; -- End function
	.section	.AMDGPU.csdata,"",@progbits
; Kernel info:
; codeLenInByte = 0
; NumSgprs: 0
; NumVgprs: 0
; ScratchSize: 0
; MemoryBound: 0
; FloatMode: 240
; IeeeMode: 1
; LDSByteSize: 0 bytes/workgroup (compile time only)
; SGPRBlocks: 0
; VGPRBlocks: 0
; NumSGPRsForWavesPerEU: 1
; NumVGPRsForWavesPerEU: 1
; Occupancy: 16
; WaveLimiterHint : 0
; COMPUTE_PGM_RSRC2:SCRATCH_EN: 0
; COMPUTE_PGM_RSRC2:USER_SGPR: 15
; COMPUTE_PGM_RSRC2:TRAP_HANDLER: 0
; COMPUTE_PGM_RSRC2:TGID_X_EN: 1
; COMPUTE_PGM_RSRC2:TGID_Y_EN: 0
; COMPUTE_PGM_RSRC2:TGID_Z_EN: 0
; COMPUTE_PGM_RSRC2:TIDIG_COMP_CNT: 0
	.section	.text._ZN7rocprim17ROCPRIM_400000_NS6detail17trampoline_kernelINS0_14default_configENS1_29reduce_by_key_config_selectorIddN6thrust23THRUST_200600_302600_NS4plusIdEEEEZZNS1_33reduce_by_key_impl_wrapped_configILNS1_25lookback_scan_determinismE0ES3_S9_NS6_6detail15normal_iteratorINS6_10device_ptrIdEEEESG_SG_SG_PmS8_22is_equal_div_10_reduceIdEEE10hipError_tPvRmT2_T3_mT4_T5_T6_T7_T8_P12ihipStream_tbENKUlT_T0_E_clISt17integral_constantIbLb0EES11_EEDaSW_SX_EUlSW_E_NS1_11comp_targetILNS1_3genE4ELNS1_11target_archE910ELNS1_3gpuE8ELNS1_3repE0EEENS1_30default_config_static_selectorELNS0_4arch9wavefront6targetE0EEEvT1_,"axG",@progbits,_ZN7rocprim17ROCPRIM_400000_NS6detail17trampoline_kernelINS0_14default_configENS1_29reduce_by_key_config_selectorIddN6thrust23THRUST_200600_302600_NS4plusIdEEEEZZNS1_33reduce_by_key_impl_wrapped_configILNS1_25lookback_scan_determinismE0ES3_S9_NS6_6detail15normal_iteratorINS6_10device_ptrIdEEEESG_SG_SG_PmS8_22is_equal_div_10_reduceIdEEE10hipError_tPvRmT2_T3_mT4_T5_T6_T7_T8_P12ihipStream_tbENKUlT_T0_E_clISt17integral_constantIbLb0EES11_EEDaSW_SX_EUlSW_E_NS1_11comp_targetILNS1_3genE4ELNS1_11target_archE910ELNS1_3gpuE8ELNS1_3repE0EEENS1_30default_config_static_selectorELNS0_4arch9wavefront6targetE0EEEvT1_,comdat
	.protected	_ZN7rocprim17ROCPRIM_400000_NS6detail17trampoline_kernelINS0_14default_configENS1_29reduce_by_key_config_selectorIddN6thrust23THRUST_200600_302600_NS4plusIdEEEEZZNS1_33reduce_by_key_impl_wrapped_configILNS1_25lookback_scan_determinismE0ES3_S9_NS6_6detail15normal_iteratorINS6_10device_ptrIdEEEESG_SG_SG_PmS8_22is_equal_div_10_reduceIdEEE10hipError_tPvRmT2_T3_mT4_T5_T6_T7_T8_P12ihipStream_tbENKUlT_T0_E_clISt17integral_constantIbLb0EES11_EEDaSW_SX_EUlSW_E_NS1_11comp_targetILNS1_3genE4ELNS1_11target_archE910ELNS1_3gpuE8ELNS1_3repE0EEENS1_30default_config_static_selectorELNS0_4arch9wavefront6targetE0EEEvT1_ ; -- Begin function _ZN7rocprim17ROCPRIM_400000_NS6detail17trampoline_kernelINS0_14default_configENS1_29reduce_by_key_config_selectorIddN6thrust23THRUST_200600_302600_NS4plusIdEEEEZZNS1_33reduce_by_key_impl_wrapped_configILNS1_25lookback_scan_determinismE0ES3_S9_NS6_6detail15normal_iteratorINS6_10device_ptrIdEEEESG_SG_SG_PmS8_22is_equal_div_10_reduceIdEEE10hipError_tPvRmT2_T3_mT4_T5_T6_T7_T8_P12ihipStream_tbENKUlT_T0_E_clISt17integral_constantIbLb0EES11_EEDaSW_SX_EUlSW_E_NS1_11comp_targetILNS1_3genE4ELNS1_11target_archE910ELNS1_3gpuE8ELNS1_3repE0EEENS1_30default_config_static_selectorELNS0_4arch9wavefront6targetE0EEEvT1_
	.globl	_ZN7rocprim17ROCPRIM_400000_NS6detail17trampoline_kernelINS0_14default_configENS1_29reduce_by_key_config_selectorIddN6thrust23THRUST_200600_302600_NS4plusIdEEEEZZNS1_33reduce_by_key_impl_wrapped_configILNS1_25lookback_scan_determinismE0ES3_S9_NS6_6detail15normal_iteratorINS6_10device_ptrIdEEEESG_SG_SG_PmS8_22is_equal_div_10_reduceIdEEE10hipError_tPvRmT2_T3_mT4_T5_T6_T7_T8_P12ihipStream_tbENKUlT_T0_E_clISt17integral_constantIbLb0EES11_EEDaSW_SX_EUlSW_E_NS1_11comp_targetILNS1_3genE4ELNS1_11target_archE910ELNS1_3gpuE8ELNS1_3repE0EEENS1_30default_config_static_selectorELNS0_4arch9wavefront6targetE0EEEvT1_
	.p2align	8
	.type	_ZN7rocprim17ROCPRIM_400000_NS6detail17trampoline_kernelINS0_14default_configENS1_29reduce_by_key_config_selectorIddN6thrust23THRUST_200600_302600_NS4plusIdEEEEZZNS1_33reduce_by_key_impl_wrapped_configILNS1_25lookback_scan_determinismE0ES3_S9_NS6_6detail15normal_iteratorINS6_10device_ptrIdEEEESG_SG_SG_PmS8_22is_equal_div_10_reduceIdEEE10hipError_tPvRmT2_T3_mT4_T5_T6_T7_T8_P12ihipStream_tbENKUlT_T0_E_clISt17integral_constantIbLb0EES11_EEDaSW_SX_EUlSW_E_NS1_11comp_targetILNS1_3genE4ELNS1_11target_archE910ELNS1_3gpuE8ELNS1_3repE0EEENS1_30default_config_static_selectorELNS0_4arch9wavefront6targetE0EEEvT1_,@function
_ZN7rocprim17ROCPRIM_400000_NS6detail17trampoline_kernelINS0_14default_configENS1_29reduce_by_key_config_selectorIddN6thrust23THRUST_200600_302600_NS4plusIdEEEEZZNS1_33reduce_by_key_impl_wrapped_configILNS1_25lookback_scan_determinismE0ES3_S9_NS6_6detail15normal_iteratorINS6_10device_ptrIdEEEESG_SG_SG_PmS8_22is_equal_div_10_reduceIdEEE10hipError_tPvRmT2_T3_mT4_T5_T6_T7_T8_P12ihipStream_tbENKUlT_T0_E_clISt17integral_constantIbLb0EES11_EEDaSW_SX_EUlSW_E_NS1_11comp_targetILNS1_3genE4ELNS1_11target_archE910ELNS1_3gpuE8ELNS1_3repE0EEENS1_30default_config_static_selectorELNS0_4arch9wavefront6targetE0EEEvT1_: ; @_ZN7rocprim17ROCPRIM_400000_NS6detail17trampoline_kernelINS0_14default_configENS1_29reduce_by_key_config_selectorIddN6thrust23THRUST_200600_302600_NS4plusIdEEEEZZNS1_33reduce_by_key_impl_wrapped_configILNS1_25lookback_scan_determinismE0ES3_S9_NS6_6detail15normal_iteratorINS6_10device_ptrIdEEEESG_SG_SG_PmS8_22is_equal_div_10_reduceIdEEE10hipError_tPvRmT2_T3_mT4_T5_T6_T7_T8_P12ihipStream_tbENKUlT_T0_E_clISt17integral_constantIbLb0EES11_EEDaSW_SX_EUlSW_E_NS1_11comp_targetILNS1_3genE4ELNS1_11target_archE910ELNS1_3gpuE8ELNS1_3repE0EEENS1_30default_config_static_selectorELNS0_4arch9wavefront6targetE0EEEvT1_
; %bb.0:
	.section	.rodata,"a",@progbits
	.p2align	6, 0x0
	.amdhsa_kernel _ZN7rocprim17ROCPRIM_400000_NS6detail17trampoline_kernelINS0_14default_configENS1_29reduce_by_key_config_selectorIddN6thrust23THRUST_200600_302600_NS4plusIdEEEEZZNS1_33reduce_by_key_impl_wrapped_configILNS1_25lookback_scan_determinismE0ES3_S9_NS6_6detail15normal_iteratorINS6_10device_ptrIdEEEESG_SG_SG_PmS8_22is_equal_div_10_reduceIdEEE10hipError_tPvRmT2_T3_mT4_T5_T6_T7_T8_P12ihipStream_tbENKUlT_T0_E_clISt17integral_constantIbLb0EES11_EEDaSW_SX_EUlSW_E_NS1_11comp_targetILNS1_3genE4ELNS1_11target_archE910ELNS1_3gpuE8ELNS1_3repE0EEENS1_30default_config_static_selectorELNS0_4arch9wavefront6targetE0EEEvT1_
		.amdhsa_group_segment_fixed_size 0
		.amdhsa_private_segment_fixed_size 0
		.amdhsa_kernarg_size 136
		.amdhsa_user_sgpr_count 15
		.amdhsa_user_sgpr_dispatch_ptr 0
		.amdhsa_user_sgpr_queue_ptr 0
		.amdhsa_user_sgpr_kernarg_segment_ptr 1
		.amdhsa_user_sgpr_dispatch_id 0
		.amdhsa_user_sgpr_private_segment_size 0
		.amdhsa_wavefront_size32 1
		.amdhsa_uses_dynamic_stack 0
		.amdhsa_enable_private_segment 0
		.amdhsa_system_sgpr_workgroup_id_x 1
		.amdhsa_system_sgpr_workgroup_id_y 0
		.amdhsa_system_sgpr_workgroup_id_z 0
		.amdhsa_system_sgpr_workgroup_info 0
		.amdhsa_system_vgpr_workitem_id 0
		.amdhsa_next_free_vgpr 1
		.amdhsa_next_free_sgpr 1
		.amdhsa_reserve_vcc 0
		.amdhsa_float_round_mode_32 0
		.amdhsa_float_round_mode_16_64 0
		.amdhsa_float_denorm_mode_32 3
		.amdhsa_float_denorm_mode_16_64 3
		.amdhsa_dx10_clamp 1
		.amdhsa_ieee_mode 1
		.amdhsa_fp16_overflow 0
		.amdhsa_workgroup_processor_mode 1
		.amdhsa_memory_ordered 1
		.amdhsa_forward_progress 0
		.amdhsa_shared_vgpr_count 0
		.amdhsa_exception_fp_ieee_invalid_op 0
		.amdhsa_exception_fp_denorm_src 0
		.amdhsa_exception_fp_ieee_div_zero 0
		.amdhsa_exception_fp_ieee_overflow 0
		.amdhsa_exception_fp_ieee_underflow 0
		.amdhsa_exception_fp_ieee_inexact 0
		.amdhsa_exception_int_div_zero 0
	.end_amdhsa_kernel
	.section	.text._ZN7rocprim17ROCPRIM_400000_NS6detail17trampoline_kernelINS0_14default_configENS1_29reduce_by_key_config_selectorIddN6thrust23THRUST_200600_302600_NS4plusIdEEEEZZNS1_33reduce_by_key_impl_wrapped_configILNS1_25lookback_scan_determinismE0ES3_S9_NS6_6detail15normal_iteratorINS6_10device_ptrIdEEEESG_SG_SG_PmS8_22is_equal_div_10_reduceIdEEE10hipError_tPvRmT2_T3_mT4_T5_T6_T7_T8_P12ihipStream_tbENKUlT_T0_E_clISt17integral_constantIbLb0EES11_EEDaSW_SX_EUlSW_E_NS1_11comp_targetILNS1_3genE4ELNS1_11target_archE910ELNS1_3gpuE8ELNS1_3repE0EEENS1_30default_config_static_selectorELNS0_4arch9wavefront6targetE0EEEvT1_,"axG",@progbits,_ZN7rocprim17ROCPRIM_400000_NS6detail17trampoline_kernelINS0_14default_configENS1_29reduce_by_key_config_selectorIddN6thrust23THRUST_200600_302600_NS4plusIdEEEEZZNS1_33reduce_by_key_impl_wrapped_configILNS1_25lookback_scan_determinismE0ES3_S9_NS6_6detail15normal_iteratorINS6_10device_ptrIdEEEESG_SG_SG_PmS8_22is_equal_div_10_reduceIdEEE10hipError_tPvRmT2_T3_mT4_T5_T6_T7_T8_P12ihipStream_tbENKUlT_T0_E_clISt17integral_constantIbLb0EES11_EEDaSW_SX_EUlSW_E_NS1_11comp_targetILNS1_3genE4ELNS1_11target_archE910ELNS1_3gpuE8ELNS1_3repE0EEENS1_30default_config_static_selectorELNS0_4arch9wavefront6targetE0EEEvT1_,comdat
.Lfunc_end53:
	.size	_ZN7rocprim17ROCPRIM_400000_NS6detail17trampoline_kernelINS0_14default_configENS1_29reduce_by_key_config_selectorIddN6thrust23THRUST_200600_302600_NS4plusIdEEEEZZNS1_33reduce_by_key_impl_wrapped_configILNS1_25lookback_scan_determinismE0ES3_S9_NS6_6detail15normal_iteratorINS6_10device_ptrIdEEEESG_SG_SG_PmS8_22is_equal_div_10_reduceIdEEE10hipError_tPvRmT2_T3_mT4_T5_T6_T7_T8_P12ihipStream_tbENKUlT_T0_E_clISt17integral_constantIbLb0EES11_EEDaSW_SX_EUlSW_E_NS1_11comp_targetILNS1_3genE4ELNS1_11target_archE910ELNS1_3gpuE8ELNS1_3repE0EEENS1_30default_config_static_selectorELNS0_4arch9wavefront6targetE0EEEvT1_, .Lfunc_end53-_ZN7rocprim17ROCPRIM_400000_NS6detail17trampoline_kernelINS0_14default_configENS1_29reduce_by_key_config_selectorIddN6thrust23THRUST_200600_302600_NS4plusIdEEEEZZNS1_33reduce_by_key_impl_wrapped_configILNS1_25lookback_scan_determinismE0ES3_S9_NS6_6detail15normal_iteratorINS6_10device_ptrIdEEEESG_SG_SG_PmS8_22is_equal_div_10_reduceIdEEE10hipError_tPvRmT2_T3_mT4_T5_T6_T7_T8_P12ihipStream_tbENKUlT_T0_E_clISt17integral_constantIbLb0EES11_EEDaSW_SX_EUlSW_E_NS1_11comp_targetILNS1_3genE4ELNS1_11target_archE910ELNS1_3gpuE8ELNS1_3repE0EEENS1_30default_config_static_selectorELNS0_4arch9wavefront6targetE0EEEvT1_
                                        ; -- End function
	.section	.AMDGPU.csdata,"",@progbits
; Kernel info:
; codeLenInByte = 0
; NumSgprs: 0
; NumVgprs: 0
; ScratchSize: 0
; MemoryBound: 0
; FloatMode: 240
; IeeeMode: 1
; LDSByteSize: 0 bytes/workgroup (compile time only)
; SGPRBlocks: 0
; VGPRBlocks: 0
; NumSGPRsForWavesPerEU: 1
; NumVGPRsForWavesPerEU: 1
; Occupancy: 16
; WaveLimiterHint : 0
; COMPUTE_PGM_RSRC2:SCRATCH_EN: 0
; COMPUTE_PGM_RSRC2:USER_SGPR: 15
; COMPUTE_PGM_RSRC2:TRAP_HANDLER: 0
; COMPUTE_PGM_RSRC2:TGID_X_EN: 1
; COMPUTE_PGM_RSRC2:TGID_Y_EN: 0
; COMPUTE_PGM_RSRC2:TGID_Z_EN: 0
; COMPUTE_PGM_RSRC2:TIDIG_COMP_CNT: 0
	.section	.text._ZN7rocprim17ROCPRIM_400000_NS6detail17trampoline_kernelINS0_14default_configENS1_29reduce_by_key_config_selectorIddN6thrust23THRUST_200600_302600_NS4plusIdEEEEZZNS1_33reduce_by_key_impl_wrapped_configILNS1_25lookback_scan_determinismE0ES3_S9_NS6_6detail15normal_iteratorINS6_10device_ptrIdEEEESG_SG_SG_PmS8_22is_equal_div_10_reduceIdEEE10hipError_tPvRmT2_T3_mT4_T5_T6_T7_T8_P12ihipStream_tbENKUlT_T0_E_clISt17integral_constantIbLb0EES11_EEDaSW_SX_EUlSW_E_NS1_11comp_targetILNS1_3genE3ELNS1_11target_archE908ELNS1_3gpuE7ELNS1_3repE0EEENS1_30default_config_static_selectorELNS0_4arch9wavefront6targetE0EEEvT1_,"axG",@progbits,_ZN7rocprim17ROCPRIM_400000_NS6detail17trampoline_kernelINS0_14default_configENS1_29reduce_by_key_config_selectorIddN6thrust23THRUST_200600_302600_NS4plusIdEEEEZZNS1_33reduce_by_key_impl_wrapped_configILNS1_25lookback_scan_determinismE0ES3_S9_NS6_6detail15normal_iteratorINS6_10device_ptrIdEEEESG_SG_SG_PmS8_22is_equal_div_10_reduceIdEEE10hipError_tPvRmT2_T3_mT4_T5_T6_T7_T8_P12ihipStream_tbENKUlT_T0_E_clISt17integral_constantIbLb0EES11_EEDaSW_SX_EUlSW_E_NS1_11comp_targetILNS1_3genE3ELNS1_11target_archE908ELNS1_3gpuE7ELNS1_3repE0EEENS1_30default_config_static_selectorELNS0_4arch9wavefront6targetE0EEEvT1_,comdat
	.protected	_ZN7rocprim17ROCPRIM_400000_NS6detail17trampoline_kernelINS0_14default_configENS1_29reduce_by_key_config_selectorIddN6thrust23THRUST_200600_302600_NS4plusIdEEEEZZNS1_33reduce_by_key_impl_wrapped_configILNS1_25lookback_scan_determinismE0ES3_S9_NS6_6detail15normal_iteratorINS6_10device_ptrIdEEEESG_SG_SG_PmS8_22is_equal_div_10_reduceIdEEE10hipError_tPvRmT2_T3_mT4_T5_T6_T7_T8_P12ihipStream_tbENKUlT_T0_E_clISt17integral_constantIbLb0EES11_EEDaSW_SX_EUlSW_E_NS1_11comp_targetILNS1_3genE3ELNS1_11target_archE908ELNS1_3gpuE7ELNS1_3repE0EEENS1_30default_config_static_selectorELNS0_4arch9wavefront6targetE0EEEvT1_ ; -- Begin function _ZN7rocprim17ROCPRIM_400000_NS6detail17trampoline_kernelINS0_14default_configENS1_29reduce_by_key_config_selectorIddN6thrust23THRUST_200600_302600_NS4plusIdEEEEZZNS1_33reduce_by_key_impl_wrapped_configILNS1_25lookback_scan_determinismE0ES3_S9_NS6_6detail15normal_iteratorINS6_10device_ptrIdEEEESG_SG_SG_PmS8_22is_equal_div_10_reduceIdEEE10hipError_tPvRmT2_T3_mT4_T5_T6_T7_T8_P12ihipStream_tbENKUlT_T0_E_clISt17integral_constantIbLb0EES11_EEDaSW_SX_EUlSW_E_NS1_11comp_targetILNS1_3genE3ELNS1_11target_archE908ELNS1_3gpuE7ELNS1_3repE0EEENS1_30default_config_static_selectorELNS0_4arch9wavefront6targetE0EEEvT1_
	.globl	_ZN7rocprim17ROCPRIM_400000_NS6detail17trampoline_kernelINS0_14default_configENS1_29reduce_by_key_config_selectorIddN6thrust23THRUST_200600_302600_NS4plusIdEEEEZZNS1_33reduce_by_key_impl_wrapped_configILNS1_25lookback_scan_determinismE0ES3_S9_NS6_6detail15normal_iteratorINS6_10device_ptrIdEEEESG_SG_SG_PmS8_22is_equal_div_10_reduceIdEEE10hipError_tPvRmT2_T3_mT4_T5_T6_T7_T8_P12ihipStream_tbENKUlT_T0_E_clISt17integral_constantIbLb0EES11_EEDaSW_SX_EUlSW_E_NS1_11comp_targetILNS1_3genE3ELNS1_11target_archE908ELNS1_3gpuE7ELNS1_3repE0EEENS1_30default_config_static_selectorELNS0_4arch9wavefront6targetE0EEEvT1_
	.p2align	8
	.type	_ZN7rocprim17ROCPRIM_400000_NS6detail17trampoline_kernelINS0_14default_configENS1_29reduce_by_key_config_selectorIddN6thrust23THRUST_200600_302600_NS4plusIdEEEEZZNS1_33reduce_by_key_impl_wrapped_configILNS1_25lookback_scan_determinismE0ES3_S9_NS6_6detail15normal_iteratorINS6_10device_ptrIdEEEESG_SG_SG_PmS8_22is_equal_div_10_reduceIdEEE10hipError_tPvRmT2_T3_mT4_T5_T6_T7_T8_P12ihipStream_tbENKUlT_T0_E_clISt17integral_constantIbLb0EES11_EEDaSW_SX_EUlSW_E_NS1_11comp_targetILNS1_3genE3ELNS1_11target_archE908ELNS1_3gpuE7ELNS1_3repE0EEENS1_30default_config_static_selectorELNS0_4arch9wavefront6targetE0EEEvT1_,@function
_ZN7rocprim17ROCPRIM_400000_NS6detail17trampoline_kernelINS0_14default_configENS1_29reduce_by_key_config_selectorIddN6thrust23THRUST_200600_302600_NS4plusIdEEEEZZNS1_33reduce_by_key_impl_wrapped_configILNS1_25lookback_scan_determinismE0ES3_S9_NS6_6detail15normal_iteratorINS6_10device_ptrIdEEEESG_SG_SG_PmS8_22is_equal_div_10_reduceIdEEE10hipError_tPvRmT2_T3_mT4_T5_T6_T7_T8_P12ihipStream_tbENKUlT_T0_E_clISt17integral_constantIbLb0EES11_EEDaSW_SX_EUlSW_E_NS1_11comp_targetILNS1_3genE3ELNS1_11target_archE908ELNS1_3gpuE7ELNS1_3repE0EEENS1_30default_config_static_selectorELNS0_4arch9wavefront6targetE0EEEvT1_: ; @_ZN7rocprim17ROCPRIM_400000_NS6detail17trampoline_kernelINS0_14default_configENS1_29reduce_by_key_config_selectorIddN6thrust23THRUST_200600_302600_NS4plusIdEEEEZZNS1_33reduce_by_key_impl_wrapped_configILNS1_25lookback_scan_determinismE0ES3_S9_NS6_6detail15normal_iteratorINS6_10device_ptrIdEEEESG_SG_SG_PmS8_22is_equal_div_10_reduceIdEEE10hipError_tPvRmT2_T3_mT4_T5_T6_T7_T8_P12ihipStream_tbENKUlT_T0_E_clISt17integral_constantIbLb0EES11_EEDaSW_SX_EUlSW_E_NS1_11comp_targetILNS1_3genE3ELNS1_11target_archE908ELNS1_3gpuE7ELNS1_3repE0EEENS1_30default_config_static_selectorELNS0_4arch9wavefront6targetE0EEEvT1_
; %bb.0:
	.section	.rodata,"a",@progbits
	.p2align	6, 0x0
	.amdhsa_kernel _ZN7rocprim17ROCPRIM_400000_NS6detail17trampoline_kernelINS0_14default_configENS1_29reduce_by_key_config_selectorIddN6thrust23THRUST_200600_302600_NS4plusIdEEEEZZNS1_33reduce_by_key_impl_wrapped_configILNS1_25lookback_scan_determinismE0ES3_S9_NS6_6detail15normal_iteratorINS6_10device_ptrIdEEEESG_SG_SG_PmS8_22is_equal_div_10_reduceIdEEE10hipError_tPvRmT2_T3_mT4_T5_T6_T7_T8_P12ihipStream_tbENKUlT_T0_E_clISt17integral_constantIbLb0EES11_EEDaSW_SX_EUlSW_E_NS1_11comp_targetILNS1_3genE3ELNS1_11target_archE908ELNS1_3gpuE7ELNS1_3repE0EEENS1_30default_config_static_selectorELNS0_4arch9wavefront6targetE0EEEvT1_
		.amdhsa_group_segment_fixed_size 0
		.amdhsa_private_segment_fixed_size 0
		.amdhsa_kernarg_size 136
		.amdhsa_user_sgpr_count 15
		.amdhsa_user_sgpr_dispatch_ptr 0
		.amdhsa_user_sgpr_queue_ptr 0
		.amdhsa_user_sgpr_kernarg_segment_ptr 1
		.amdhsa_user_sgpr_dispatch_id 0
		.amdhsa_user_sgpr_private_segment_size 0
		.amdhsa_wavefront_size32 1
		.amdhsa_uses_dynamic_stack 0
		.amdhsa_enable_private_segment 0
		.amdhsa_system_sgpr_workgroup_id_x 1
		.amdhsa_system_sgpr_workgroup_id_y 0
		.amdhsa_system_sgpr_workgroup_id_z 0
		.amdhsa_system_sgpr_workgroup_info 0
		.amdhsa_system_vgpr_workitem_id 0
		.amdhsa_next_free_vgpr 1
		.amdhsa_next_free_sgpr 1
		.amdhsa_reserve_vcc 0
		.amdhsa_float_round_mode_32 0
		.amdhsa_float_round_mode_16_64 0
		.amdhsa_float_denorm_mode_32 3
		.amdhsa_float_denorm_mode_16_64 3
		.amdhsa_dx10_clamp 1
		.amdhsa_ieee_mode 1
		.amdhsa_fp16_overflow 0
		.amdhsa_workgroup_processor_mode 1
		.amdhsa_memory_ordered 1
		.amdhsa_forward_progress 0
		.amdhsa_shared_vgpr_count 0
		.amdhsa_exception_fp_ieee_invalid_op 0
		.amdhsa_exception_fp_denorm_src 0
		.amdhsa_exception_fp_ieee_div_zero 0
		.amdhsa_exception_fp_ieee_overflow 0
		.amdhsa_exception_fp_ieee_underflow 0
		.amdhsa_exception_fp_ieee_inexact 0
		.amdhsa_exception_int_div_zero 0
	.end_amdhsa_kernel
	.section	.text._ZN7rocprim17ROCPRIM_400000_NS6detail17trampoline_kernelINS0_14default_configENS1_29reduce_by_key_config_selectorIddN6thrust23THRUST_200600_302600_NS4plusIdEEEEZZNS1_33reduce_by_key_impl_wrapped_configILNS1_25lookback_scan_determinismE0ES3_S9_NS6_6detail15normal_iteratorINS6_10device_ptrIdEEEESG_SG_SG_PmS8_22is_equal_div_10_reduceIdEEE10hipError_tPvRmT2_T3_mT4_T5_T6_T7_T8_P12ihipStream_tbENKUlT_T0_E_clISt17integral_constantIbLb0EES11_EEDaSW_SX_EUlSW_E_NS1_11comp_targetILNS1_3genE3ELNS1_11target_archE908ELNS1_3gpuE7ELNS1_3repE0EEENS1_30default_config_static_selectorELNS0_4arch9wavefront6targetE0EEEvT1_,"axG",@progbits,_ZN7rocprim17ROCPRIM_400000_NS6detail17trampoline_kernelINS0_14default_configENS1_29reduce_by_key_config_selectorIddN6thrust23THRUST_200600_302600_NS4plusIdEEEEZZNS1_33reduce_by_key_impl_wrapped_configILNS1_25lookback_scan_determinismE0ES3_S9_NS6_6detail15normal_iteratorINS6_10device_ptrIdEEEESG_SG_SG_PmS8_22is_equal_div_10_reduceIdEEE10hipError_tPvRmT2_T3_mT4_T5_T6_T7_T8_P12ihipStream_tbENKUlT_T0_E_clISt17integral_constantIbLb0EES11_EEDaSW_SX_EUlSW_E_NS1_11comp_targetILNS1_3genE3ELNS1_11target_archE908ELNS1_3gpuE7ELNS1_3repE0EEENS1_30default_config_static_selectorELNS0_4arch9wavefront6targetE0EEEvT1_,comdat
.Lfunc_end54:
	.size	_ZN7rocprim17ROCPRIM_400000_NS6detail17trampoline_kernelINS0_14default_configENS1_29reduce_by_key_config_selectorIddN6thrust23THRUST_200600_302600_NS4plusIdEEEEZZNS1_33reduce_by_key_impl_wrapped_configILNS1_25lookback_scan_determinismE0ES3_S9_NS6_6detail15normal_iteratorINS6_10device_ptrIdEEEESG_SG_SG_PmS8_22is_equal_div_10_reduceIdEEE10hipError_tPvRmT2_T3_mT4_T5_T6_T7_T8_P12ihipStream_tbENKUlT_T0_E_clISt17integral_constantIbLb0EES11_EEDaSW_SX_EUlSW_E_NS1_11comp_targetILNS1_3genE3ELNS1_11target_archE908ELNS1_3gpuE7ELNS1_3repE0EEENS1_30default_config_static_selectorELNS0_4arch9wavefront6targetE0EEEvT1_, .Lfunc_end54-_ZN7rocprim17ROCPRIM_400000_NS6detail17trampoline_kernelINS0_14default_configENS1_29reduce_by_key_config_selectorIddN6thrust23THRUST_200600_302600_NS4plusIdEEEEZZNS1_33reduce_by_key_impl_wrapped_configILNS1_25lookback_scan_determinismE0ES3_S9_NS6_6detail15normal_iteratorINS6_10device_ptrIdEEEESG_SG_SG_PmS8_22is_equal_div_10_reduceIdEEE10hipError_tPvRmT2_T3_mT4_T5_T6_T7_T8_P12ihipStream_tbENKUlT_T0_E_clISt17integral_constantIbLb0EES11_EEDaSW_SX_EUlSW_E_NS1_11comp_targetILNS1_3genE3ELNS1_11target_archE908ELNS1_3gpuE7ELNS1_3repE0EEENS1_30default_config_static_selectorELNS0_4arch9wavefront6targetE0EEEvT1_
                                        ; -- End function
	.section	.AMDGPU.csdata,"",@progbits
; Kernel info:
; codeLenInByte = 0
; NumSgprs: 0
; NumVgprs: 0
; ScratchSize: 0
; MemoryBound: 0
; FloatMode: 240
; IeeeMode: 1
; LDSByteSize: 0 bytes/workgroup (compile time only)
; SGPRBlocks: 0
; VGPRBlocks: 0
; NumSGPRsForWavesPerEU: 1
; NumVGPRsForWavesPerEU: 1
; Occupancy: 16
; WaveLimiterHint : 0
; COMPUTE_PGM_RSRC2:SCRATCH_EN: 0
; COMPUTE_PGM_RSRC2:USER_SGPR: 15
; COMPUTE_PGM_RSRC2:TRAP_HANDLER: 0
; COMPUTE_PGM_RSRC2:TGID_X_EN: 1
; COMPUTE_PGM_RSRC2:TGID_Y_EN: 0
; COMPUTE_PGM_RSRC2:TGID_Z_EN: 0
; COMPUTE_PGM_RSRC2:TIDIG_COMP_CNT: 0
	.section	.text._ZN7rocprim17ROCPRIM_400000_NS6detail17trampoline_kernelINS0_14default_configENS1_29reduce_by_key_config_selectorIddN6thrust23THRUST_200600_302600_NS4plusIdEEEEZZNS1_33reduce_by_key_impl_wrapped_configILNS1_25lookback_scan_determinismE0ES3_S9_NS6_6detail15normal_iteratorINS6_10device_ptrIdEEEESG_SG_SG_PmS8_22is_equal_div_10_reduceIdEEE10hipError_tPvRmT2_T3_mT4_T5_T6_T7_T8_P12ihipStream_tbENKUlT_T0_E_clISt17integral_constantIbLb0EES11_EEDaSW_SX_EUlSW_E_NS1_11comp_targetILNS1_3genE2ELNS1_11target_archE906ELNS1_3gpuE6ELNS1_3repE0EEENS1_30default_config_static_selectorELNS0_4arch9wavefront6targetE0EEEvT1_,"axG",@progbits,_ZN7rocprim17ROCPRIM_400000_NS6detail17trampoline_kernelINS0_14default_configENS1_29reduce_by_key_config_selectorIddN6thrust23THRUST_200600_302600_NS4plusIdEEEEZZNS1_33reduce_by_key_impl_wrapped_configILNS1_25lookback_scan_determinismE0ES3_S9_NS6_6detail15normal_iteratorINS6_10device_ptrIdEEEESG_SG_SG_PmS8_22is_equal_div_10_reduceIdEEE10hipError_tPvRmT2_T3_mT4_T5_T6_T7_T8_P12ihipStream_tbENKUlT_T0_E_clISt17integral_constantIbLb0EES11_EEDaSW_SX_EUlSW_E_NS1_11comp_targetILNS1_3genE2ELNS1_11target_archE906ELNS1_3gpuE6ELNS1_3repE0EEENS1_30default_config_static_selectorELNS0_4arch9wavefront6targetE0EEEvT1_,comdat
	.protected	_ZN7rocprim17ROCPRIM_400000_NS6detail17trampoline_kernelINS0_14default_configENS1_29reduce_by_key_config_selectorIddN6thrust23THRUST_200600_302600_NS4plusIdEEEEZZNS1_33reduce_by_key_impl_wrapped_configILNS1_25lookback_scan_determinismE0ES3_S9_NS6_6detail15normal_iteratorINS6_10device_ptrIdEEEESG_SG_SG_PmS8_22is_equal_div_10_reduceIdEEE10hipError_tPvRmT2_T3_mT4_T5_T6_T7_T8_P12ihipStream_tbENKUlT_T0_E_clISt17integral_constantIbLb0EES11_EEDaSW_SX_EUlSW_E_NS1_11comp_targetILNS1_3genE2ELNS1_11target_archE906ELNS1_3gpuE6ELNS1_3repE0EEENS1_30default_config_static_selectorELNS0_4arch9wavefront6targetE0EEEvT1_ ; -- Begin function _ZN7rocprim17ROCPRIM_400000_NS6detail17trampoline_kernelINS0_14default_configENS1_29reduce_by_key_config_selectorIddN6thrust23THRUST_200600_302600_NS4plusIdEEEEZZNS1_33reduce_by_key_impl_wrapped_configILNS1_25lookback_scan_determinismE0ES3_S9_NS6_6detail15normal_iteratorINS6_10device_ptrIdEEEESG_SG_SG_PmS8_22is_equal_div_10_reduceIdEEE10hipError_tPvRmT2_T3_mT4_T5_T6_T7_T8_P12ihipStream_tbENKUlT_T0_E_clISt17integral_constantIbLb0EES11_EEDaSW_SX_EUlSW_E_NS1_11comp_targetILNS1_3genE2ELNS1_11target_archE906ELNS1_3gpuE6ELNS1_3repE0EEENS1_30default_config_static_selectorELNS0_4arch9wavefront6targetE0EEEvT1_
	.globl	_ZN7rocprim17ROCPRIM_400000_NS6detail17trampoline_kernelINS0_14default_configENS1_29reduce_by_key_config_selectorIddN6thrust23THRUST_200600_302600_NS4plusIdEEEEZZNS1_33reduce_by_key_impl_wrapped_configILNS1_25lookback_scan_determinismE0ES3_S9_NS6_6detail15normal_iteratorINS6_10device_ptrIdEEEESG_SG_SG_PmS8_22is_equal_div_10_reduceIdEEE10hipError_tPvRmT2_T3_mT4_T5_T6_T7_T8_P12ihipStream_tbENKUlT_T0_E_clISt17integral_constantIbLb0EES11_EEDaSW_SX_EUlSW_E_NS1_11comp_targetILNS1_3genE2ELNS1_11target_archE906ELNS1_3gpuE6ELNS1_3repE0EEENS1_30default_config_static_selectorELNS0_4arch9wavefront6targetE0EEEvT1_
	.p2align	8
	.type	_ZN7rocprim17ROCPRIM_400000_NS6detail17trampoline_kernelINS0_14default_configENS1_29reduce_by_key_config_selectorIddN6thrust23THRUST_200600_302600_NS4plusIdEEEEZZNS1_33reduce_by_key_impl_wrapped_configILNS1_25lookback_scan_determinismE0ES3_S9_NS6_6detail15normal_iteratorINS6_10device_ptrIdEEEESG_SG_SG_PmS8_22is_equal_div_10_reduceIdEEE10hipError_tPvRmT2_T3_mT4_T5_T6_T7_T8_P12ihipStream_tbENKUlT_T0_E_clISt17integral_constantIbLb0EES11_EEDaSW_SX_EUlSW_E_NS1_11comp_targetILNS1_3genE2ELNS1_11target_archE906ELNS1_3gpuE6ELNS1_3repE0EEENS1_30default_config_static_selectorELNS0_4arch9wavefront6targetE0EEEvT1_,@function
_ZN7rocprim17ROCPRIM_400000_NS6detail17trampoline_kernelINS0_14default_configENS1_29reduce_by_key_config_selectorIddN6thrust23THRUST_200600_302600_NS4plusIdEEEEZZNS1_33reduce_by_key_impl_wrapped_configILNS1_25lookback_scan_determinismE0ES3_S9_NS6_6detail15normal_iteratorINS6_10device_ptrIdEEEESG_SG_SG_PmS8_22is_equal_div_10_reduceIdEEE10hipError_tPvRmT2_T3_mT4_T5_T6_T7_T8_P12ihipStream_tbENKUlT_T0_E_clISt17integral_constantIbLb0EES11_EEDaSW_SX_EUlSW_E_NS1_11comp_targetILNS1_3genE2ELNS1_11target_archE906ELNS1_3gpuE6ELNS1_3repE0EEENS1_30default_config_static_selectorELNS0_4arch9wavefront6targetE0EEEvT1_: ; @_ZN7rocprim17ROCPRIM_400000_NS6detail17trampoline_kernelINS0_14default_configENS1_29reduce_by_key_config_selectorIddN6thrust23THRUST_200600_302600_NS4plusIdEEEEZZNS1_33reduce_by_key_impl_wrapped_configILNS1_25lookback_scan_determinismE0ES3_S9_NS6_6detail15normal_iteratorINS6_10device_ptrIdEEEESG_SG_SG_PmS8_22is_equal_div_10_reduceIdEEE10hipError_tPvRmT2_T3_mT4_T5_T6_T7_T8_P12ihipStream_tbENKUlT_T0_E_clISt17integral_constantIbLb0EES11_EEDaSW_SX_EUlSW_E_NS1_11comp_targetILNS1_3genE2ELNS1_11target_archE906ELNS1_3gpuE6ELNS1_3repE0EEENS1_30default_config_static_selectorELNS0_4arch9wavefront6targetE0EEEvT1_
; %bb.0:
	.section	.rodata,"a",@progbits
	.p2align	6, 0x0
	.amdhsa_kernel _ZN7rocprim17ROCPRIM_400000_NS6detail17trampoline_kernelINS0_14default_configENS1_29reduce_by_key_config_selectorIddN6thrust23THRUST_200600_302600_NS4plusIdEEEEZZNS1_33reduce_by_key_impl_wrapped_configILNS1_25lookback_scan_determinismE0ES3_S9_NS6_6detail15normal_iteratorINS6_10device_ptrIdEEEESG_SG_SG_PmS8_22is_equal_div_10_reduceIdEEE10hipError_tPvRmT2_T3_mT4_T5_T6_T7_T8_P12ihipStream_tbENKUlT_T0_E_clISt17integral_constantIbLb0EES11_EEDaSW_SX_EUlSW_E_NS1_11comp_targetILNS1_3genE2ELNS1_11target_archE906ELNS1_3gpuE6ELNS1_3repE0EEENS1_30default_config_static_selectorELNS0_4arch9wavefront6targetE0EEEvT1_
		.amdhsa_group_segment_fixed_size 0
		.amdhsa_private_segment_fixed_size 0
		.amdhsa_kernarg_size 136
		.amdhsa_user_sgpr_count 15
		.amdhsa_user_sgpr_dispatch_ptr 0
		.amdhsa_user_sgpr_queue_ptr 0
		.amdhsa_user_sgpr_kernarg_segment_ptr 1
		.amdhsa_user_sgpr_dispatch_id 0
		.amdhsa_user_sgpr_private_segment_size 0
		.amdhsa_wavefront_size32 1
		.amdhsa_uses_dynamic_stack 0
		.amdhsa_enable_private_segment 0
		.amdhsa_system_sgpr_workgroup_id_x 1
		.amdhsa_system_sgpr_workgroup_id_y 0
		.amdhsa_system_sgpr_workgroup_id_z 0
		.amdhsa_system_sgpr_workgroup_info 0
		.amdhsa_system_vgpr_workitem_id 0
		.amdhsa_next_free_vgpr 1
		.amdhsa_next_free_sgpr 1
		.amdhsa_reserve_vcc 0
		.amdhsa_float_round_mode_32 0
		.amdhsa_float_round_mode_16_64 0
		.amdhsa_float_denorm_mode_32 3
		.amdhsa_float_denorm_mode_16_64 3
		.amdhsa_dx10_clamp 1
		.amdhsa_ieee_mode 1
		.amdhsa_fp16_overflow 0
		.amdhsa_workgroup_processor_mode 1
		.amdhsa_memory_ordered 1
		.amdhsa_forward_progress 0
		.amdhsa_shared_vgpr_count 0
		.amdhsa_exception_fp_ieee_invalid_op 0
		.amdhsa_exception_fp_denorm_src 0
		.amdhsa_exception_fp_ieee_div_zero 0
		.amdhsa_exception_fp_ieee_overflow 0
		.amdhsa_exception_fp_ieee_underflow 0
		.amdhsa_exception_fp_ieee_inexact 0
		.amdhsa_exception_int_div_zero 0
	.end_amdhsa_kernel
	.section	.text._ZN7rocprim17ROCPRIM_400000_NS6detail17trampoline_kernelINS0_14default_configENS1_29reduce_by_key_config_selectorIddN6thrust23THRUST_200600_302600_NS4plusIdEEEEZZNS1_33reduce_by_key_impl_wrapped_configILNS1_25lookback_scan_determinismE0ES3_S9_NS6_6detail15normal_iteratorINS6_10device_ptrIdEEEESG_SG_SG_PmS8_22is_equal_div_10_reduceIdEEE10hipError_tPvRmT2_T3_mT4_T5_T6_T7_T8_P12ihipStream_tbENKUlT_T0_E_clISt17integral_constantIbLb0EES11_EEDaSW_SX_EUlSW_E_NS1_11comp_targetILNS1_3genE2ELNS1_11target_archE906ELNS1_3gpuE6ELNS1_3repE0EEENS1_30default_config_static_selectorELNS0_4arch9wavefront6targetE0EEEvT1_,"axG",@progbits,_ZN7rocprim17ROCPRIM_400000_NS6detail17trampoline_kernelINS0_14default_configENS1_29reduce_by_key_config_selectorIddN6thrust23THRUST_200600_302600_NS4plusIdEEEEZZNS1_33reduce_by_key_impl_wrapped_configILNS1_25lookback_scan_determinismE0ES3_S9_NS6_6detail15normal_iteratorINS6_10device_ptrIdEEEESG_SG_SG_PmS8_22is_equal_div_10_reduceIdEEE10hipError_tPvRmT2_T3_mT4_T5_T6_T7_T8_P12ihipStream_tbENKUlT_T0_E_clISt17integral_constantIbLb0EES11_EEDaSW_SX_EUlSW_E_NS1_11comp_targetILNS1_3genE2ELNS1_11target_archE906ELNS1_3gpuE6ELNS1_3repE0EEENS1_30default_config_static_selectorELNS0_4arch9wavefront6targetE0EEEvT1_,comdat
.Lfunc_end55:
	.size	_ZN7rocprim17ROCPRIM_400000_NS6detail17trampoline_kernelINS0_14default_configENS1_29reduce_by_key_config_selectorIddN6thrust23THRUST_200600_302600_NS4plusIdEEEEZZNS1_33reduce_by_key_impl_wrapped_configILNS1_25lookback_scan_determinismE0ES3_S9_NS6_6detail15normal_iteratorINS6_10device_ptrIdEEEESG_SG_SG_PmS8_22is_equal_div_10_reduceIdEEE10hipError_tPvRmT2_T3_mT4_T5_T6_T7_T8_P12ihipStream_tbENKUlT_T0_E_clISt17integral_constantIbLb0EES11_EEDaSW_SX_EUlSW_E_NS1_11comp_targetILNS1_3genE2ELNS1_11target_archE906ELNS1_3gpuE6ELNS1_3repE0EEENS1_30default_config_static_selectorELNS0_4arch9wavefront6targetE0EEEvT1_, .Lfunc_end55-_ZN7rocprim17ROCPRIM_400000_NS6detail17trampoline_kernelINS0_14default_configENS1_29reduce_by_key_config_selectorIddN6thrust23THRUST_200600_302600_NS4plusIdEEEEZZNS1_33reduce_by_key_impl_wrapped_configILNS1_25lookback_scan_determinismE0ES3_S9_NS6_6detail15normal_iteratorINS6_10device_ptrIdEEEESG_SG_SG_PmS8_22is_equal_div_10_reduceIdEEE10hipError_tPvRmT2_T3_mT4_T5_T6_T7_T8_P12ihipStream_tbENKUlT_T0_E_clISt17integral_constantIbLb0EES11_EEDaSW_SX_EUlSW_E_NS1_11comp_targetILNS1_3genE2ELNS1_11target_archE906ELNS1_3gpuE6ELNS1_3repE0EEENS1_30default_config_static_selectorELNS0_4arch9wavefront6targetE0EEEvT1_
                                        ; -- End function
	.section	.AMDGPU.csdata,"",@progbits
; Kernel info:
; codeLenInByte = 0
; NumSgprs: 0
; NumVgprs: 0
; ScratchSize: 0
; MemoryBound: 0
; FloatMode: 240
; IeeeMode: 1
; LDSByteSize: 0 bytes/workgroup (compile time only)
; SGPRBlocks: 0
; VGPRBlocks: 0
; NumSGPRsForWavesPerEU: 1
; NumVGPRsForWavesPerEU: 1
; Occupancy: 16
; WaveLimiterHint : 0
; COMPUTE_PGM_RSRC2:SCRATCH_EN: 0
; COMPUTE_PGM_RSRC2:USER_SGPR: 15
; COMPUTE_PGM_RSRC2:TRAP_HANDLER: 0
; COMPUTE_PGM_RSRC2:TGID_X_EN: 1
; COMPUTE_PGM_RSRC2:TGID_Y_EN: 0
; COMPUTE_PGM_RSRC2:TGID_Z_EN: 0
; COMPUTE_PGM_RSRC2:TIDIG_COMP_CNT: 0
	.section	.text._ZN7rocprim17ROCPRIM_400000_NS6detail17trampoline_kernelINS0_14default_configENS1_29reduce_by_key_config_selectorIddN6thrust23THRUST_200600_302600_NS4plusIdEEEEZZNS1_33reduce_by_key_impl_wrapped_configILNS1_25lookback_scan_determinismE0ES3_S9_NS6_6detail15normal_iteratorINS6_10device_ptrIdEEEESG_SG_SG_PmS8_22is_equal_div_10_reduceIdEEE10hipError_tPvRmT2_T3_mT4_T5_T6_T7_T8_P12ihipStream_tbENKUlT_T0_E_clISt17integral_constantIbLb0EES11_EEDaSW_SX_EUlSW_E_NS1_11comp_targetILNS1_3genE10ELNS1_11target_archE1201ELNS1_3gpuE5ELNS1_3repE0EEENS1_30default_config_static_selectorELNS0_4arch9wavefront6targetE0EEEvT1_,"axG",@progbits,_ZN7rocprim17ROCPRIM_400000_NS6detail17trampoline_kernelINS0_14default_configENS1_29reduce_by_key_config_selectorIddN6thrust23THRUST_200600_302600_NS4plusIdEEEEZZNS1_33reduce_by_key_impl_wrapped_configILNS1_25lookback_scan_determinismE0ES3_S9_NS6_6detail15normal_iteratorINS6_10device_ptrIdEEEESG_SG_SG_PmS8_22is_equal_div_10_reduceIdEEE10hipError_tPvRmT2_T3_mT4_T5_T6_T7_T8_P12ihipStream_tbENKUlT_T0_E_clISt17integral_constantIbLb0EES11_EEDaSW_SX_EUlSW_E_NS1_11comp_targetILNS1_3genE10ELNS1_11target_archE1201ELNS1_3gpuE5ELNS1_3repE0EEENS1_30default_config_static_selectorELNS0_4arch9wavefront6targetE0EEEvT1_,comdat
	.protected	_ZN7rocprim17ROCPRIM_400000_NS6detail17trampoline_kernelINS0_14default_configENS1_29reduce_by_key_config_selectorIddN6thrust23THRUST_200600_302600_NS4plusIdEEEEZZNS1_33reduce_by_key_impl_wrapped_configILNS1_25lookback_scan_determinismE0ES3_S9_NS6_6detail15normal_iteratorINS6_10device_ptrIdEEEESG_SG_SG_PmS8_22is_equal_div_10_reduceIdEEE10hipError_tPvRmT2_T3_mT4_T5_T6_T7_T8_P12ihipStream_tbENKUlT_T0_E_clISt17integral_constantIbLb0EES11_EEDaSW_SX_EUlSW_E_NS1_11comp_targetILNS1_3genE10ELNS1_11target_archE1201ELNS1_3gpuE5ELNS1_3repE0EEENS1_30default_config_static_selectorELNS0_4arch9wavefront6targetE0EEEvT1_ ; -- Begin function _ZN7rocprim17ROCPRIM_400000_NS6detail17trampoline_kernelINS0_14default_configENS1_29reduce_by_key_config_selectorIddN6thrust23THRUST_200600_302600_NS4plusIdEEEEZZNS1_33reduce_by_key_impl_wrapped_configILNS1_25lookback_scan_determinismE0ES3_S9_NS6_6detail15normal_iteratorINS6_10device_ptrIdEEEESG_SG_SG_PmS8_22is_equal_div_10_reduceIdEEE10hipError_tPvRmT2_T3_mT4_T5_T6_T7_T8_P12ihipStream_tbENKUlT_T0_E_clISt17integral_constantIbLb0EES11_EEDaSW_SX_EUlSW_E_NS1_11comp_targetILNS1_3genE10ELNS1_11target_archE1201ELNS1_3gpuE5ELNS1_3repE0EEENS1_30default_config_static_selectorELNS0_4arch9wavefront6targetE0EEEvT1_
	.globl	_ZN7rocprim17ROCPRIM_400000_NS6detail17trampoline_kernelINS0_14default_configENS1_29reduce_by_key_config_selectorIddN6thrust23THRUST_200600_302600_NS4plusIdEEEEZZNS1_33reduce_by_key_impl_wrapped_configILNS1_25lookback_scan_determinismE0ES3_S9_NS6_6detail15normal_iteratorINS6_10device_ptrIdEEEESG_SG_SG_PmS8_22is_equal_div_10_reduceIdEEE10hipError_tPvRmT2_T3_mT4_T5_T6_T7_T8_P12ihipStream_tbENKUlT_T0_E_clISt17integral_constantIbLb0EES11_EEDaSW_SX_EUlSW_E_NS1_11comp_targetILNS1_3genE10ELNS1_11target_archE1201ELNS1_3gpuE5ELNS1_3repE0EEENS1_30default_config_static_selectorELNS0_4arch9wavefront6targetE0EEEvT1_
	.p2align	8
	.type	_ZN7rocprim17ROCPRIM_400000_NS6detail17trampoline_kernelINS0_14default_configENS1_29reduce_by_key_config_selectorIddN6thrust23THRUST_200600_302600_NS4plusIdEEEEZZNS1_33reduce_by_key_impl_wrapped_configILNS1_25lookback_scan_determinismE0ES3_S9_NS6_6detail15normal_iteratorINS6_10device_ptrIdEEEESG_SG_SG_PmS8_22is_equal_div_10_reduceIdEEE10hipError_tPvRmT2_T3_mT4_T5_T6_T7_T8_P12ihipStream_tbENKUlT_T0_E_clISt17integral_constantIbLb0EES11_EEDaSW_SX_EUlSW_E_NS1_11comp_targetILNS1_3genE10ELNS1_11target_archE1201ELNS1_3gpuE5ELNS1_3repE0EEENS1_30default_config_static_selectorELNS0_4arch9wavefront6targetE0EEEvT1_,@function
_ZN7rocprim17ROCPRIM_400000_NS6detail17trampoline_kernelINS0_14default_configENS1_29reduce_by_key_config_selectorIddN6thrust23THRUST_200600_302600_NS4plusIdEEEEZZNS1_33reduce_by_key_impl_wrapped_configILNS1_25lookback_scan_determinismE0ES3_S9_NS6_6detail15normal_iteratorINS6_10device_ptrIdEEEESG_SG_SG_PmS8_22is_equal_div_10_reduceIdEEE10hipError_tPvRmT2_T3_mT4_T5_T6_T7_T8_P12ihipStream_tbENKUlT_T0_E_clISt17integral_constantIbLb0EES11_EEDaSW_SX_EUlSW_E_NS1_11comp_targetILNS1_3genE10ELNS1_11target_archE1201ELNS1_3gpuE5ELNS1_3repE0EEENS1_30default_config_static_selectorELNS0_4arch9wavefront6targetE0EEEvT1_: ; @_ZN7rocprim17ROCPRIM_400000_NS6detail17trampoline_kernelINS0_14default_configENS1_29reduce_by_key_config_selectorIddN6thrust23THRUST_200600_302600_NS4plusIdEEEEZZNS1_33reduce_by_key_impl_wrapped_configILNS1_25lookback_scan_determinismE0ES3_S9_NS6_6detail15normal_iteratorINS6_10device_ptrIdEEEESG_SG_SG_PmS8_22is_equal_div_10_reduceIdEEE10hipError_tPvRmT2_T3_mT4_T5_T6_T7_T8_P12ihipStream_tbENKUlT_T0_E_clISt17integral_constantIbLb0EES11_EEDaSW_SX_EUlSW_E_NS1_11comp_targetILNS1_3genE10ELNS1_11target_archE1201ELNS1_3gpuE5ELNS1_3repE0EEENS1_30default_config_static_selectorELNS0_4arch9wavefront6targetE0EEEvT1_
; %bb.0:
	.section	.rodata,"a",@progbits
	.p2align	6, 0x0
	.amdhsa_kernel _ZN7rocprim17ROCPRIM_400000_NS6detail17trampoline_kernelINS0_14default_configENS1_29reduce_by_key_config_selectorIddN6thrust23THRUST_200600_302600_NS4plusIdEEEEZZNS1_33reduce_by_key_impl_wrapped_configILNS1_25lookback_scan_determinismE0ES3_S9_NS6_6detail15normal_iteratorINS6_10device_ptrIdEEEESG_SG_SG_PmS8_22is_equal_div_10_reduceIdEEE10hipError_tPvRmT2_T3_mT4_T5_T6_T7_T8_P12ihipStream_tbENKUlT_T0_E_clISt17integral_constantIbLb0EES11_EEDaSW_SX_EUlSW_E_NS1_11comp_targetILNS1_3genE10ELNS1_11target_archE1201ELNS1_3gpuE5ELNS1_3repE0EEENS1_30default_config_static_selectorELNS0_4arch9wavefront6targetE0EEEvT1_
		.amdhsa_group_segment_fixed_size 0
		.amdhsa_private_segment_fixed_size 0
		.amdhsa_kernarg_size 136
		.amdhsa_user_sgpr_count 15
		.amdhsa_user_sgpr_dispatch_ptr 0
		.amdhsa_user_sgpr_queue_ptr 0
		.amdhsa_user_sgpr_kernarg_segment_ptr 1
		.amdhsa_user_sgpr_dispatch_id 0
		.amdhsa_user_sgpr_private_segment_size 0
		.amdhsa_wavefront_size32 1
		.amdhsa_uses_dynamic_stack 0
		.amdhsa_enable_private_segment 0
		.amdhsa_system_sgpr_workgroup_id_x 1
		.amdhsa_system_sgpr_workgroup_id_y 0
		.amdhsa_system_sgpr_workgroup_id_z 0
		.amdhsa_system_sgpr_workgroup_info 0
		.amdhsa_system_vgpr_workitem_id 0
		.amdhsa_next_free_vgpr 1
		.amdhsa_next_free_sgpr 1
		.amdhsa_reserve_vcc 0
		.amdhsa_float_round_mode_32 0
		.amdhsa_float_round_mode_16_64 0
		.amdhsa_float_denorm_mode_32 3
		.amdhsa_float_denorm_mode_16_64 3
		.amdhsa_dx10_clamp 1
		.amdhsa_ieee_mode 1
		.amdhsa_fp16_overflow 0
		.amdhsa_workgroup_processor_mode 1
		.amdhsa_memory_ordered 1
		.amdhsa_forward_progress 0
		.amdhsa_shared_vgpr_count 0
		.amdhsa_exception_fp_ieee_invalid_op 0
		.amdhsa_exception_fp_denorm_src 0
		.amdhsa_exception_fp_ieee_div_zero 0
		.amdhsa_exception_fp_ieee_overflow 0
		.amdhsa_exception_fp_ieee_underflow 0
		.amdhsa_exception_fp_ieee_inexact 0
		.amdhsa_exception_int_div_zero 0
	.end_amdhsa_kernel
	.section	.text._ZN7rocprim17ROCPRIM_400000_NS6detail17trampoline_kernelINS0_14default_configENS1_29reduce_by_key_config_selectorIddN6thrust23THRUST_200600_302600_NS4plusIdEEEEZZNS1_33reduce_by_key_impl_wrapped_configILNS1_25lookback_scan_determinismE0ES3_S9_NS6_6detail15normal_iteratorINS6_10device_ptrIdEEEESG_SG_SG_PmS8_22is_equal_div_10_reduceIdEEE10hipError_tPvRmT2_T3_mT4_T5_T6_T7_T8_P12ihipStream_tbENKUlT_T0_E_clISt17integral_constantIbLb0EES11_EEDaSW_SX_EUlSW_E_NS1_11comp_targetILNS1_3genE10ELNS1_11target_archE1201ELNS1_3gpuE5ELNS1_3repE0EEENS1_30default_config_static_selectorELNS0_4arch9wavefront6targetE0EEEvT1_,"axG",@progbits,_ZN7rocprim17ROCPRIM_400000_NS6detail17trampoline_kernelINS0_14default_configENS1_29reduce_by_key_config_selectorIddN6thrust23THRUST_200600_302600_NS4plusIdEEEEZZNS1_33reduce_by_key_impl_wrapped_configILNS1_25lookback_scan_determinismE0ES3_S9_NS6_6detail15normal_iteratorINS6_10device_ptrIdEEEESG_SG_SG_PmS8_22is_equal_div_10_reduceIdEEE10hipError_tPvRmT2_T3_mT4_T5_T6_T7_T8_P12ihipStream_tbENKUlT_T0_E_clISt17integral_constantIbLb0EES11_EEDaSW_SX_EUlSW_E_NS1_11comp_targetILNS1_3genE10ELNS1_11target_archE1201ELNS1_3gpuE5ELNS1_3repE0EEENS1_30default_config_static_selectorELNS0_4arch9wavefront6targetE0EEEvT1_,comdat
.Lfunc_end56:
	.size	_ZN7rocprim17ROCPRIM_400000_NS6detail17trampoline_kernelINS0_14default_configENS1_29reduce_by_key_config_selectorIddN6thrust23THRUST_200600_302600_NS4plusIdEEEEZZNS1_33reduce_by_key_impl_wrapped_configILNS1_25lookback_scan_determinismE0ES3_S9_NS6_6detail15normal_iteratorINS6_10device_ptrIdEEEESG_SG_SG_PmS8_22is_equal_div_10_reduceIdEEE10hipError_tPvRmT2_T3_mT4_T5_T6_T7_T8_P12ihipStream_tbENKUlT_T0_E_clISt17integral_constantIbLb0EES11_EEDaSW_SX_EUlSW_E_NS1_11comp_targetILNS1_3genE10ELNS1_11target_archE1201ELNS1_3gpuE5ELNS1_3repE0EEENS1_30default_config_static_selectorELNS0_4arch9wavefront6targetE0EEEvT1_, .Lfunc_end56-_ZN7rocprim17ROCPRIM_400000_NS6detail17trampoline_kernelINS0_14default_configENS1_29reduce_by_key_config_selectorIddN6thrust23THRUST_200600_302600_NS4plusIdEEEEZZNS1_33reduce_by_key_impl_wrapped_configILNS1_25lookback_scan_determinismE0ES3_S9_NS6_6detail15normal_iteratorINS6_10device_ptrIdEEEESG_SG_SG_PmS8_22is_equal_div_10_reduceIdEEE10hipError_tPvRmT2_T3_mT4_T5_T6_T7_T8_P12ihipStream_tbENKUlT_T0_E_clISt17integral_constantIbLb0EES11_EEDaSW_SX_EUlSW_E_NS1_11comp_targetILNS1_3genE10ELNS1_11target_archE1201ELNS1_3gpuE5ELNS1_3repE0EEENS1_30default_config_static_selectorELNS0_4arch9wavefront6targetE0EEEvT1_
                                        ; -- End function
	.section	.AMDGPU.csdata,"",@progbits
; Kernel info:
; codeLenInByte = 0
; NumSgprs: 0
; NumVgprs: 0
; ScratchSize: 0
; MemoryBound: 0
; FloatMode: 240
; IeeeMode: 1
; LDSByteSize: 0 bytes/workgroup (compile time only)
; SGPRBlocks: 0
; VGPRBlocks: 0
; NumSGPRsForWavesPerEU: 1
; NumVGPRsForWavesPerEU: 1
; Occupancy: 16
; WaveLimiterHint : 0
; COMPUTE_PGM_RSRC2:SCRATCH_EN: 0
; COMPUTE_PGM_RSRC2:USER_SGPR: 15
; COMPUTE_PGM_RSRC2:TRAP_HANDLER: 0
; COMPUTE_PGM_RSRC2:TGID_X_EN: 1
; COMPUTE_PGM_RSRC2:TGID_Y_EN: 0
; COMPUTE_PGM_RSRC2:TGID_Z_EN: 0
; COMPUTE_PGM_RSRC2:TIDIG_COMP_CNT: 0
	.section	.text._ZN7rocprim17ROCPRIM_400000_NS6detail17trampoline_kernelINS0_14default_configENS1_29reduce_by_key_config_selectorIddN6thrust23THRUST_200600_302600_NS4plusIdEEEEZZNS1_33reduce_by_key_impl_wrapped_configILNS1_25lookback_scan_determinismE0ES3_S9_NS6_6detail15normal_iteratorINS6_10device_ptrIdEEEESG_SG_SG_PmS8_22is_equal_div_10_reduceIdEEE10hipError_tPvRmT2_T3_mT4_T5_T6_T7_T8_P12ihipStream_tbENKUlT_T0_E_clISt17integral_constantIbLb0EES11_EEDaSW_SX_EUlSW_E_NS1_11comp_targetILNS1_3genE10ELNS1_11target_archE1200ELNS1_3gpuE4ELNS1_3repE0EEENS1_30default_config_static_selectorELNS0_4arch9wavefront6targetE0EEEvT1_,"axG",@progbits,_ZN7rocprim17ROCPRIM_400000_NS6detail17trampoline_kernelINS0_14default_configENS1_29reduce_by_key_config_selectorIddN6thrust23THRUST_200600_302600_NS4plusIdEEEEZZNS1_33reduce_by_key_impl_wrapped_configILNS1_25lookback_scan_determinismE0ES3_S9_NS6_6detail15normal_iteratorINS6_10device_ptrIdEEEESG_SG_SG_PmS8_22is_equal_div_10_reduceIdEEE10hipError_tPvRmT2_T3_mT4_T5_T6_T7_T8_P12ihipStream_tbENKUlT_T0_E_clISt17integral_constantIbLb0EES11_EEDaSW_SX_EUlSW_E_NS1_11comp_targetILNS1_3genE10ELNS1_11target_archE1200ELNS1_3gpuE4ELNS1_3repE0EEENS1_30default_config_static_selectorELNS0_4arch9wavefront6targetE0EEEvT1_,comdat
	.protected	_ZN7rocprim17ROCPRIM_400000_NS6detail17trampoline_kernelINS0_14default_configENS1_29reduce_by_key_config_selectorIddN6thrust23THRUST_200600_302600_NS4plusIdEEEEZZNS1_33reduce_by_key_impl_wrapped_configILNS1_25lookback_scan_determinismE0ES3_S9_NS6_6detail15normal_iteratorINS6_10device_ptrIdEEEESG_SG_SG_PmS8_22is_equal_div_10_reduceIdEEE10hipError_tPvRmT2_T3_mT4_T5_T6_T7_T8_P12ihipStream_tbENKUlT_T0_E_clISt17integral_constantIbLb0EES11_EEDaSW_SX_EUlSW_E_NS1_11comp_targetILNS1_3genE10ELNS1_11target_archE1200ELNS1_3gpuE4ELNS1_3repE0EEENS1_30default_config_static_selectorELNS0_4arch9wavefront6targetE0EEEvT1_ ; -- Begin function _ZN7rocprim17ROCPRIM_400000_NS6detail17trampoline_kernelINS0_14default_configENS1_29reduce_by_key_config_selectorIddN6thrust23THRUST_200600_302600_NS4plusIdEEEEZZNS1_33reduce_by_key_impl_wrapped_configILNS1_25lookback_scan_determinismE0ES3_S9_NS6_6detail15normal_iteratorINS6_10device_ptrIdEEEESG_SG_SG_PmS8_22is_equal_div_10_reduceIdEEE10hipError_tPvRmT2_T3_mT4_T5_T6_T7_T8_P12ihipStream_tbENKUlT_T0_E_clISt17integral_constantIbLb0EES11_EEDaSW_SX_EUlSW_E_NS1_11comp_targetILNS1_3genE10ELNS1_11target_archE1200ELNS1_3gpuE4ELNS1_3repE0EEENS1_30default_config_static_selectorELNS0_4arch9wavefront6targetE0EEEvT1_
	.globl	_ZN7rocprim17ROCPRIM_400000_NS6detail17trampoline_kernelINS0_14default_configENS1_29reduce_by_key_config_selectorIddN6thrust23THRUST_200600_302600_NS4plusIdEEEEZZNS1_33reduce_by_key_impl_wrapped_configILNS1_25lookback_scan_determinismE0ES3_S9_NS6_6detail15normal_iteratorINS6_10device_ptrIdEEEESG_SG_SG_PmS8_22is_equal_div_10_reduceIdEEE10hipError_tPvRmT2_T3_mT4_T5_T6_T7_T8_P12ihipStream_tbENKUlT_T0_E_clISt17integral_constantIbLb0EES11_EEDaSW_SX_EUlSW_E_NS1_11comp_targetILNS1_3genE10ELNS1_11target_archE1200ELNS1_3gpuE4ELNS1_3repE0EEENS1_30default_config_static_selectorELNS0_4arch9wavefront6targetE0EEEvT1_
	.p2align	8
	.type	_ZN7rocprim17ROCPRIM_400000_NS6detail17trampoline_kernelINS0_14default_configENS1_29reduce_by_key_config_selectorIddN6thrust23THRUST_200600_302600_NS4plusIdEEEEZZNS1_33reduce_by_key_impl_wrapped_configILNS1_25lookback_scan_determinismE0ES3_S9_NS6_6detail15normal_iteratorINS6_10device_ptrIdEEEESG_SG_SG_PmS8_22is_equal_div_10_reduceIdEEE10hipError_tPvRmT2_T3_mT4_T5_T6_T7_T8_P12ihipStream_tbENKUlT_T0_E_clISt17integral_constantIbLb0EES11_EEDaSW_SX_EUlSW_E_NS1_11comp_targetILNS1_3genE10ELNS1_11target_archE1200ELNS1_3gpuE4ELNS1_3repE0EEENS1_30default_config_static_selectorELNS0_4arch9wavefront6targetE0EEEvT1_,@function
_ZN7rocprim17ROCPRIM_400000_NS6detail17trampoline_kernelINS0_14default_configENS1_29reduce_by_key_config_selectorIddN6thrust23THRUST_200600_302600_NS4plusIdEEEEZZNS1_33reduce_by_key_impl_wrapped_configILNS1_25lookback_scan_determinismE0ES3_S9_NS6_6detail15normal_iteratorINS6_10device_ptrIdEEEESG_SG_SG_PmS8_22is_equal_div_10_reduceIdEEE10hipError_tPvRmT2_T3_mT4_T5_T6_T7_T8_P12ihipStream_tbENKUlT_T0_E_clISt17integral_constantIbLb0EES11_EEDaSW_SX_EUlSW_E_NS1_11comp_targetILNS1_3genE10ELNS1_11target_archE1200ELNS1_3gpuE4ELNS1_3repE0EEENS1_30default_config_static_selectorELNS0_4arch9wavefront6targetE0EEEvT1_: ; @_ZN7rocprim17ROCPRIM_400000_NS6detail17trampoline_kernelINS0_14default_configENS1_29reduce_by_key_config_selectorIddN6thrust23THRUST_200600_302600_NS4plusIdEEEEZZNS1_33reduce_by_key_impl_wrapped_configILNS1_25lookback_scan_determinismE0ES3_S9_NS6_6detail15normal_iteratorINS6_10device_ptrIdEEEESG_SG_SG_PmS8_22is_equal_div_10_reduceIdEEE10hipError_tPvRmT2_T3_mT4_T5_T6_T7_T8_P12ihipStream_tbENKUlT_T0_E_clISt17integral_constantIbLb0EES11_EEDaSW_SX_EUlSW_E_NS1_11comp_targetILNS1_3genE10ELNS1_11target_archE1200ELNS1_3gpuE4ELNS1_3repE0EEENS1_30default_config_static_selectorELNS0_4arch9wavefront6targetE0EEEvT1_
; %bb.0:
	.section	.rodata,"a",@progbits
	.p2align	6, 0x0
	.amdhsa_kernel _ZN7rocprim17ROCPRIM_400000_NS6detail17trampoline_kernelINS0_14default_configENS1_29reduce_by_key_config_selectorIddN6thrust23THRUST_200600_302600_NS4plusIdEEEEZZNS1_33reduce_by_key_impl_wrapped_configILNS1_25lookback_scan_determinismE0ES3_S9_NS6_6detail15normal_iteratorINS6_10device_ptrIdEEEESG_SG_SG_PmS8_22is_equal_div_10_reduceIdEEE10hipError_tPvRmT2_T3_mT4_T5_T6_T7_T8_P12ihipStream_tbENKUlT_T0_E_clISt17integral_constantIbLb0EES11_EEDaSW_SX_EUlSW_E_NS1_11comp_targetILNS1_3genE10ELNS1_11target_archE1200ELNS1_3gpuE4ELNS1_3repE0EEENS1_30default_config_static_selectorELNS0_4arch9wavefront6targetE0EEEvT1_
		.amdhsa_group_segment_fixed_size 0
		.amdhsa_private_segment_fixed_size 0
		.amdhsa_kernarg_size 136
		.amdhsa_user_sgpr_count 15
		.amdhsa_user_sgpr_dispatch_ptr 0
		.amdhsa_user_sgpr_queue_ptr 0
		.amdhsa_user_sgpr_kernarg_segment_ptr 1
		.amdhsa_user_sgpr_dispatch_id 0
		.amdhsa_user_sgpr_private_segment_size 0
		.amdhsa_wavefront_size32 1
		.amdhsa_uses_dynamic_stack 0
		.amdhsa_enable_private_segment 0
		.amdhsa_system_sgpr_workgroup_id_x 1
		.amdhsa_system_sgpr_workgroup_id_y 0
		.amdhsa_system_sgpr_workgroup_id_z 0
		.amdhsa_system_sgpr_workgroup_info 0
		.amdhsa_system_vgpr_workitem_id 0
		.amdhsa_next_free_vgpr 1
		.amdhsa_next_free_sgpr 1
		.amdhsa_reserve_vcc 0
		.amdhsa_float_round_mode_32 0
		.amdhsa_float_round_mode_16_64 0
		.amdhsa_float_denorm_mode_32 3
		.amdhsa_float_denorm_mode_16_64 3
		.amdhsa_dx10_clamp 1
		.amdhsa_ieee_mode 1
		.amdhsa_fp16_overflow 0
		.amdhsa_workgroup_processor_mode 1
		.amdhsa_memory_ordered 1
		.amdhsa_forward_progress 0
		.amdhsa_shared_vgpr_count 0
		.amdhsa_exception_fp_ieee_invalid_op 0
		.amdhsa_exception_fp_denorm_src 0
		.amdhsa_exception_fp_ieee_div_zero 0
		.amdhsa_exception_fp_ieee_overflow 0
		.amdhsa_exception_fp_ieee_underflow 0
		.amdhsa_exception_fp_ieee_inexact 0
		.amdhsa_exception_int_div_zero 0
	.end_amdhsa_kernel
	.section	.text._ZN7rocprim17ROCPRIM_400000_NS6detail17trampoline_kernelINS0_14default_configENS1_29reduce_by_key_config_selectorIddN6thrust23THRUST_200600_302600_NS4plusIdEEEEZZNS1_33reduce_by_key_impl_wrapped_configILNS1_25lookback_scan_determinismE0ES3_S9_NS6_6detail15normal_iteratorINS6_10device_ptrIdEEEESG_SG_SG_PmS8_22is_equal_div_10_reduceIdEEE10hipError_tPvRmT2_T3_mT4_T5_T6_T7_T8_P12ihipStream_tbENKUlT_T0_E_clISt17integral_constantIbLb0EES11_EEDaSW_SX_EUlSW_E_NS1_11comp_targetILNS1_3genE10ELNS1_11target_archE1200ELNS1_3gpuE4ELNS1_3repE0EEENS1_30default_config_static_selectorELNS0_4arch9wavefront6targetE0EEEvT1_,"axG",@progbits,_ZN7rocprim17ROCPRIM_400000_NS6detail17trampoline_kernelINS0_14default_configENS1_29reduce_by_key_config_selectorIddN6thrust23THRUST_200600_302600_NS4plusIdEEEEZZNS1_33reduce_by_key_impl_wrapped_configILNS1_25lookback_scan_determinismE0ES3_S9_NS6_6detail15normal_iteratorINS6_10device_ptrIdEEEESG_SG_SG_PmS8_22is_equal_div_10_reduceIdEEE10hipError_tPvRmT2_T3_mT4_T5_T6_T7_T8_P12ihipStream_tbENKUlT_T0_E_clISt17integral_constantIbLb0EES11_EEDaSW_SX_EUlSW_E_NS1_11comp_targetILNS1_3genE10ELNS1_11target_archE1200ELNS1_3gpuE4ELNS1_3repE0EEENS1_30default_config_static_selectorELNS0_4arch9wavefront6targetE0EEEvT1_,comdat
.Lfunc_end57:
	.size	_ZN7rocprim17ROCPRIM_400000_NS6detail17trampoline_kernelINS0_14default_configENS1_29reduce_by_key_config_selectorIddN6thrust23THRUST_200600_302600_NS4plusIdEEEEZZNS1_33reduce_by_key_impl_wrapped_configILNS1_25lookback_scan_determinismE0ES3_S9_NS6_6detail15normal_iteratorINS6_10device_ptrIdEEEESG_SG_SG_PmS8_22is_equal_div_10_reduceIdEEE10hipError_tPvRmT2_T3_mT4_T5_T6_T7_T8_P12ihipStream_tbENKUlT_T0_E_clISt17integral_constantIbLb0EES11_EEDaSW_SX_EUlSW_E_NS1_11comp_targetILNS1_3genE10ELNS1_11target_archE1200ELNS1_3gpuE4ELNS1_3repE0EEENS1_30default_config_static_selectorELNS0_4arch9wavefront6targetE0EEEvT1_, .Lfunc_end57-_ZN7rocprim17ROCPRIM_400000_NS6detail17trampoline_kernelINS0_14default_configENS1_29reduce_by_key_config_selectorIddN6thrust23THRUST_200600_302600_NS4plusIdEEEEZZNS1_33reduce_by_key_impl_wrapped_configILNS1_25lookback_scan_determinismE0ES3_S9_NS6_6detail15normal_iteratorINS6_10device_ptrIdEEEESG_SG_SG_PmS8_22is_equal_div_10_reduceIdEEE10hipError_tPvRmT2_T3_mT4_T5_T6_T7_T8_P12ihipStream_tbENKUlT_T0_E_clISt17integral_constantIbLb0EES11_EEDaSW_SX_EUlSW_E_NS1_11comp_targetILNS1_3genE10ELNS1_11target_archE1200ELNS1_3gpuE4ELNS1_3repE0EEENS1_30default_config_static_selectorELNS0_4arch9wavefront6targetE0EEEvT1_
                                        ; -- End function
	.section	.AMDGPU.csdata,"",@progbits
; Kernel info:
; codeLenInByte = 0
; NumSgprs: 0
; NumVgprs: 0
; ScratchSize: 0
; MemoryBound: 0
; FloatMode: 240
; IeeeMode: 1
; LDSByteSize: 0 bytes/workgroup (compile time only)
; SGPRBlocks: 0
; VGPRBlocks: 0
; NumSGPRsForWavesPerEU: 1
; NumVGPRsForWavesPerEU: 1
; Occupancy: 16
; WaveLimiterHint : 0
; COMPUTE_PGM_RSRC2:SCRATCH_EN: 0
; COMPUTE_PGM_RSRC2:USER_SGPR: 15
; COMPUTE_PGM_RSRC2:TRAP_HANDLER: 0
; COMPUTE_PGM_RSRC2:TGID_X_EN: 1
; COMPUTE_PGM_RSRC2:TGID_Y_EN: 0
; COMPUTE_PGM_RSRC2:TGID_Z_EN: 0
; COMPUTE_PGM_RSRC2:TIDIG_COMP_CNT: 0
	.section	.text._ZN7rocprim17ROCPRIM_400000_NS6detail17trampoline_kernelINS0_14default_configENS1_29reduce_by_key_config_selectorIddN6thrust23THRUST_200600_302600_NS4plusIdEEEEZZNS1_33reduce_by_key_impl_wrapped_configILNS1_25lookback_scan_determinismE0ES3_S9_NS6_6detail15normal_iteratorINS6_10device_ptrIdEEEESG_SG_SG_PmS8_22is_equal_div_10_reduceIdEEE10hipError_tPvRmT2_T3_mT4_T5_T6_T7_T8_P12ihipStream_tbENKUlT_T0_E_clISt17integral_constantIbLb0EES11_EEDaSW_SX_EUlSW_E_NS1_11comp_targetILNS1_3genE9ELNS1_11target_archE1100ELNS1_3gpuE3ELNS1_3repE0EEENS1_30default_config_static_selectorELNS0_4arch9wavefront6targetE0EEEvT1_,"axG",@progbits,_ZN7rocprim17ROCPRIM_400000_NS6detail17trampoline_kernelINS0_14default_configENS1_29reduce_by_key_config_selectorIddN6thrust23THRUST_200600_302600_NS4plusIdEEEEZZNS1_33reduce_by_key_impl_wrapped_configILNS1_25lookback_scan_determinismE0ES3_S9_NS6_6detail15normal_iteratorINS6_10device_ptrIdEEEESG_SG_SG_PmS8_22is_equal_div_10_reduceIdEEE10hipError_tPvRmT2_T3_mT4_T5_T6_T7_T8_P12ihipStream_tbENKUlT_T0_E_clISt17integral_constantIbLb0EES11_EEDaSW_SX_EUlSW_E_NS1_11comp_targetILNS1_3genE9ELNS1_11target_archE1100ELNS1_3gpuE3ELNS1_3repE0EEENS1_30default_config_static_selectorELNS0_4arch9wavefront6targetE0EEEvT1_,comdat
	.protected	_ZN7rocprim17ROCPRIM_400000_NS6detail17trampoline_kernelINS0_14default_configENS1_29reduce_by_key_config_selectorIddN6thrust23THRUST_200600_302600_NS4plusIdEEEEZZNS1_33reduce_by_key_impl_wrapped_configILNS1_25lookback_scan_determinismE0ES3_S9_NS6_6detail15normal_iteratorINS6_10device_ptrIdEEEESG_SG_SG_PmS8_22is_equal_div_10_reduceIdEEE10hipError_tPvRmT2_T3_mT4_T5_T6_T7_T8_P12ihipStream_tbENKUlT_T0_E_clISt17integral_constantIbLb0EES11_EEDaSW_SX_EUlSW_E_NS1_11comp_targetILNS1_3genE9ELNS1_11target_archE1100ELNS1_3gpuE3ELNS1_3repE0EEENS1_30default_config_static_selectorELNS0_4arch9wavefront6targetE0EEEvT1_ ; -- Begin function _ZN7rocprim17ROCPRIM_400000_NS6detail17trampoline_kernelINS0_14default_configENS1_29reduce_by_key_config_selectorIddN6thrust23THRUST_200600_302600_NS4plusIdEEEEZZNS1_33reduce_by_key_impl_wrapped_configILNS1_25lookback_scan_determinismE0ES3_S9_NS6_6detail15normal_iteratorINS6_10device_ptrIdEEEESG_SG_SG_PmS8_22is_equal_div_10_reduceIdEEE10hipError_tPvRmT2_T3_mT4_T5_T6_T7_T8_P12ihipStream_tbENKUlT_T0_E_clISt17integral_constantIbLb0EES11_EEDaSW_SX_EUlSW_E_NS1_11comp_targetILNS1_3genE9ELNS1_11target_archE1100ELNS1_3gpuE3ELNS1_3repE0EEENS1_30default_config_static_selectorELNS0_4arch9wavefront6targetE0EEEvT1_
	.globl	_ZN7rocprim17ROCPRIM_400000_NS6detail17trampoline_kernelINS0_14default_configENS1_29reduce_by_key_config_selectorIddN6thrust23THRUST_200600_302600_NS4plusIdEEEEZZNS1_33reduce_by_key_impl_wrapped_configILNS1_25lookback_scan_determinismE0ES3_S9_NS6_6detail15normal_iteratorINS6_10device_ptrIdEEEESG_SG_SG_PmS8_22is_equal_div_10_reduceIdEEE10hipError_tPvRmT2_T3_mT4_T5_T6_T7_T8_P12ihipStream_tbENKUlT_T0_E_clISt17integral_constantIbLb0EES11_EEDaSW_SX_EUlSW_E_NS1_11comp_targetILNS1_3genE9ELNS1_11target_archE1100ELNS1_3gpuE3ELNS1_3repE0EEENS1_30default_config_static_selectorELNS0_4arch9wavefront6targetE0EEEvT1_
	.p2align	8
	.type	_ZN7rocprim17ROCPRIM_400000_NS6detail17trampoline_kernelINS0_14default_configENS1_29reduce_by_key_config_selectorIddN6thrust23THRUST_200600_302600_NS4plusIdEEEEZZNS1_33reduce_by_key_impl_wrapped_configILNS1_25lookback_scan_determinismE0ES3_S9_NS6_6detail15normal_iteratorINS6_10device_ptrIdEEEESG_SG_SG_PmS8_22is_equal_div_10_reduceIdEEE10hipError_tPvRmT2_T3_mT4_T5_T6_T7_T8_P12ihipStream_tbENKUlT_T0_E_clISt17integral_constantIbLb0EES11_EEDaSW_SX_EUlSW_E_NS1_11comp_targetILNS1_3genE9ELNS1_11target_archE1100ELNS1_3gpuE3ELNS1_3repE0EEENS1_30default_config_static_selectorELNS0_4arch9wavefront6targetE0EEEvT1_,@function
_ZN7rocprim17ROCPRIM_400000_NS6detail17trampoline_kernelINS0_14default_configENS1_29reduce_by_key_config_selectorIddN6thrust23THRUST_200600_302600_NS4plusIdEEEEZZNS1_33reduce_by_key_impl_wrapped_configILNS1_25lookback_scan_determinismE0ES3_S9_NS6_6detail15normal_iteratorINS6_10device_ptrIdEEEESG_SG_SG_PmS8_22is_equal_div_10_reduceIdEEE10hipError_tPvRmT2_T3_mT4_T5_T6_T7_T8_P12ihipStream_tbENKUlT_T0_E_clISt17integral_constantIbLb0EES11_EEDaSW_SX_EUlSW_E_NS1_11comp_targetILNS1_3genE9ELNS1_11target_archE1100ELNS1_3gpuE3ELNS1_3repE0EEENS1_30default_config_static_selectorELNS0_4arch9wavefront6targetE0EEEvT1_: ; @_ZN7rocprim17ROCPRIM_400000_NS6detail17trampoline_kernelINS0_14default_configENS1_29reduce_by_key_config_selectorIddN6thrust23THRUST_200600_302600_NS4plusIdEEEEZZNS1_33reduce_by_key_impl_wrapped_configILNS1_25lookback_scan_determinismE0ES3_S9_NS6_6detail15normal_iteratorINS6_10device_ptrIdEEEESG_SG_SG_PmS8_22is_equal_div_10_reduceIdEEE10hipError_tPvRmT2_T3_mT4_T5_T6_T7_T8_P12ihipStream_tbENKUlT_T0_E_clISt17integral_constantIbLb0EES11_EEDaSW_SX_EUlSW_E_NS1_11comp_targetILNS1_3genE9ELNS1_11target_archE1100ELNS1_3gpuE3ELNS1_3repE0EEENS1_30default_config_static_selectorELNS0_4arch9wavefront6targetE0EEEvT1_
; %bb.0:
	s_clause 0x2
	s_load_b256 s[36:43], s[0:1], 0x0
	s_load_b512 s[16:31], s[0:1], 0x38
	s_load_b128 s[44:47], s[0:1], 0x20
	s_mov_b32 s3, 0
	s_mul_i32 s2, s15, 0xf00
	s_waitcnt lgkmcnt(0)
	s_lshl_b64 s[4:5], s[38:39], 3
	s_mul_i32 s6, s24, s23
	s_add_u32 s10, s36, s4
	s_mul_hi_u32 s7, s24, s22
	s_addc_u32 s11, s37, s5
	s_add_u32 s12, s40, s4
	s_mul_i32 s8, s25, s22
	s_addc_u32 s13, s41, s5
	s_add_i32 s6, s7, s6
	s_lshl_b64 s[4:5], s[2:3], 3
	s_add_i32 s6, s6, s8
	s_add_u32 s14, s10, s4
	s_addc_u32 s36, s11, s5
	s_mul_i32 s9, s24, s22
	s_add_u32 s33, s12, s4
	s_addc_u32 s38, s13, s5
	s_add_u32 s34, s9, s15
	s_addc_u32 s35, s6, 0
	s_add_u32 s4, s26, -1
	s_addc_u32 s5, s27, -1
	s_mul_i32 s27, s4, 0xfffff100
	s_cmp_eq_u64 s[34:35], s[4:5]
	s_cselect_b32 s26, -1, 0
	s_cmp_lg_u64 s[34:35], s[4:5]
	s_cselect_b32 s37, -1, 0
	s_and_b32 vcc_lo, exec_lo, s26
	s_cbranch_vccnz .LBB58_2
; %bb.1:
	v_lshlrev_b32_e32 v62, 3, v0
	s_delay_alu instid0(VALU_DEP_1) | instskip(NEXT) | instid1(VALU_DEP_1)
	v_add_co_u32 v1, s2, s14, v62
	v_add_co_ci_u32_e64 v2, null, s36, 0, s2
	v_add_co_u32 v31, s2, s33, v62
	s_delay_alu instid0(VALU_DEP_3) | instskip(NEXT) | instid1(VALU_DEP_3)
	v_add_co_u32 v3, vcc_lo, 0x1000, v1
	v_add_co_ci_u32_e32 v4, vcc_lo, 0, v2, vcc_lo
	v_add_co_u32 v5, vcc_lo, 0x2000, v1
	v_add_co_ci_u32_e32 v6, vcc_lo, 0, v2, vcc_lo
	;; [unrolled: 2-line block ×6, first 2 shown]
	s_clause 0x7
	flat_load_b64 v[9:10], v[1:2]
	flat_load_b64 v[11:12], v[1:2] offset:2048
	flat_load_b64 v[13:14], v[3:4]
	flat_load_b64 v[3:4], v[3:4] offset:2048
	;; [unrolled: 2-line block ×4, first 2 shown]
	v_add_co_u32 v1, vcc_lo, 0x7000, v1
	v_add_co_ci_u32_e32 v2, vcc_lo, 0, v2, vcc_lo
	s_clause 0x6
	flat_load_b64 v[25:26], v[19:20]
	flat_load_b64 v[19:20], v[19:20] offset:2048
	flat_load_b64 v[27:28], v[21:22]
	flat_load_b64 v[21:22], v[21:22] offset:2048
	;; [unrolled: 2-line block ×3, first 2 shown]
	flat_load_b64 v[1:2], v[1:2]
	v_add_co_ci_u32_e64 v32, null, s38, 0, s2
	v_add_co_u32 v33, vcc_lo, 0x1000, v31
	v_mad_u32_u24 v61, 0x70, v0, v62
	s_delay_alu instid0(VALU_DEP_3)
	v_add_co_ci_u32_e32 v34, vcc_lo, 0, v32, vcc_lo
	v_add_co_u32 v35, vcc_lo, 0x2000, v31
	v_add_co_ci_u32_e32 v36, vcc_lo, 0, v32, vcc_lo
	v_add_co_u32 v37, vcc_lo, 0x3000, v31
	;; [unrolled: 2-line block ×6, first 2 shown]
	v_add_co_ci_u32_e32 v46, vcc_lo, 0, v32, vcc_lo
	s_waitcnt vmcnt(13) lgkmcnt(13)
	ds_store_2addr_stride64_b64 v62, v[9:10], v[11:12] offset1:4
	s_waitcnt vmcnt(11) lgkmcnt(12)
	ds_store_2addr_stride64_b64 v62, v[13:14], v[3:4] offset0:8 offset1:12
	s_waitcnt vmcnt(9) lgkmcnt(11)
	ds_store_2addr_stride64_b64 v62, v[15:16], v[5:6] offset0:16 offset1:20
	;; [unrolled: 2-line block ×6, first 2 shown]
	s_waitcnt vmcnt(0) lgkmcnt(7)
	ds_store_b64 v62, v[1:2] offset:28672
	s_waitcnt lgkmcnt(0)
	s_barrier
	buffer_gl0_inv
	ds_load_2addr_b64 v[25:28], v61 offset1:1
	ds_load_2addr_b64 v[21:24], v61 offset0:2 offset1:3
	ds_load_2addr_b64 v[17:20], v61 offset0:4 offset1:5
	;; [unrolled: 1-line block ×6, first 2 shown]
	ds_load_b64 v[57:58], v61 offset:112
	s_waitcnt lgkmcnt(0)
	s_barrier
	buffer_gl0_inv
	s_clause 0xe
	flat_load_b64 v[29:30], v[31:32]
	flat_load_b64 v[31:32], v[31:32] offset:2048
	flat_load_b64 v[47:48], v[33:34]
	flat_load_b64 v[33:34], v[33:34] offset:2048
	;; [unrolled: 2-line block ×7, first 2 shown]
	flat_load_b64 v[45:46], v[45:46]
	s_waitcnt vmcnt(13) lgkmcnt(13)
	ds_store_2addr_stride64_b64 v62, v[29:30], v[31:32] offset1:4
	s_waitcnt vmcnt(11) lgkmcnt(12)
	ds_store_2addr_stride64_b64 v62, v[47:48], v[33:34] offset0:8 offset1:12
	s_waitcnt vmcnt(9) lgkmcnt(11)
	ds_store_2addr_stride64_b64 v62, v[49:50], v[35:36] offset0:16 offset1:20
	s_waitcnt vmcnt(7) lgkmcnt(10)
	ds_store_2addr_stride64_b64 v62, v[51:52], v[37:38] offset0:24 offset1:28
	s_waitcnt vmcnt(5) lgkmcnt(9)
	ds_store_2addr_stride64_b64 v62, v[53:54], v[39:40] offset0:32 offset1:36
	s_waitcnt vmcnt(3) lgkmcnt(8)
	ds_store_2addr_stride64_b64 v62, v[55:56], v[41:42] offset0:40 offset1:44
	s_waitcnt vmcnt(1) lgkmcnt(7)
	ds_store_2addr_stride64_b64 v62, v[59:60], v[43:44] offset0:48 offset1:52
	s_waitcnt vmcnt(0) lgkmcnt(7)
	ds_store_b64 v62, v[45:46] offset:28672
	s_waitcnt lgkmcnt(0)
	s_barrier
	s_load_b64 s[24:25], s[0:1], 0x78
	s_and_not1_b32 vcc_lo, exec_lo, s3
	s_add_i32 s27, s27, s28
	s_cbranch_vccz .LBB58_3
	s_branch .LBB58_50
.LBB58_2:
                                        ; implicit-def: $vgpr61
                                        ; implicit-def: $vgpr25_vgpr26
                                        ; implicit-def: $vgpr21_vgpr22
                                        ; implicit-def: $vgpr17_vgpr18
                                        ; implicit-def: $vgpr13_vgpr14
                                        ; implicit-def: $vgpr9_vgpr10
                                        ; implicit-def: $vgpr5_vgpr6
                                        ; implicit-def: $vgpr1_vgpr2
                                        ; implicit-def: $vgpr57_vgpr58
	s_load_b64 s[24:25], s[0:1], 0x78
	s_add_i32 s27, s27, s28
.LBB58_3:
	s_delay_alu instid0(SALU_CYCLE_1)
	v_cmp_gt_u32_e32 vcc_lo, s27, v0
                                        ; implicit-def: $vgpr1_vgpr2
	s_and_saveexec_b32 s0, vcc_lo
	s_cbranch_execz .LBB58_5
; %bb.4:
	v_lshlrev_b32_e32 v1, 3, v0
	s_delay_alu instid0(VALU_DEP_1) | instskip(NEXT) | instid1(VALU_DEP_1)
	v_add_co_u32 v1, s1, s14, v1
	v_add_co_ci_u32_e64 v2, null, s36, 0, s1
	flat_load_b64 v[1:2], v[1:2]
.LBB58_5:
	s_or_b32 exec_lo, exec_lo, s0
	v_or_b32_e32 v3, 0x100, v0
	s_delay_alu instid0(VALU_DEP_1) | instskip(NEXT) | instid1(VALU_DEP_1)
	v_cmp_gt_u32_e64 s0, s27, v3
                                        ; implicit-def: $vgpr3_vgpr4
	s_and_saveexec_b32 s1, s0
	s_cbranch_execz .LBB58_7
; %bb.6:
	v_lshlrev_b32_e32 v3, 3, v0
	s_delay_alu instid0(VALU_DEP_1) | instskip(NEXT) | instid1(VALU_DEP_1)
	v_add_co_u32 v3, s2, s14, v3
	v_add_co_ci_u32_e64 v4, null, s36, 0, s2
	flat_load_b64 v[3:4], v[3:4] offset:2048
.LBB58_7:
	s_or_b32 exec_lo, exec_lo, s1
	v_or_b32_e32 v5, 0x200, v0
	s_delay_alu instid0(VALU_DEP_1) | instskip(SKIP_1) | instid1(VALU_DEP_2)
	v_cmp_gt_u32_e64 s1, s27, v5
	v_lshlrev_b32_e32 v35, 3, v5
                                        ; implicit-def: $vgpr5_vgpr6
	s_and_saveexec_b32 s2, s1
	s_cbranch_execz .LBB58_9
; %bb.8:
	s_delay_alu instid0(VALU_DEP_1) | instskip(NEXT) | instid1(VALU_DEP_1)
	v_add_co_u32 v5, s3, s14, v35
	v_add_co_ci_u32_e64 v6, null, s36, 0, s3
	flat_load_b64 v[5:6], v[5:6]
.LBB58_9:
	s_or_b32 exec_lo, exec_lo, s2
	v_or_b32_e32 v7, 0x300, v0
	s_delay_alu instid0(VALU_DEP_1) | instskip(SKIP_1) | instid1(VALU_DEP_2)
	v_cmp_gt_u32_e64 s2, s27, v7
	v_lshlrev_b32_e32 v37, 3, v7
                                        ; implicit-def: $vgpr7_vgpr8
	s_and_saveexec_b32 s3, s2
	s_cbranch_execz .LBB58_11
; %bb.10:
	s_delay_alu instid0(VALU_DEP_1) | instskip(NEXT) | instid1(VALU_DEP_1)
	v_add_co_u32 v7, s4, s14, v37
	v_add_co_ci_u32_e64 v8, null, s36, 0, s4
	flat_load_b64 v[7:8], v[7:8]
.LBB58_11:
	s_or_b32 exec_lo, exec_lo, s3
	v_or_b32_e32 v9, 0x400, v0
	s_delay_alu instid0(VALU_DEP_1) | instskip(SKIP_1) | instid1(VALU_DEP_2)
	v_cmp_gt_u32_e64 s3, s27, v9
	v_lshlrev_b32_e32 v39, 3, v9
                                        ; implicit-def: $vgpr9_vgpr10
	s_and_saveexec_b32 s4, s3
	s_cbranch_execz .LBB58_13
; %bb.12:
	s_delay_alu instid0(VALU_DEP_1) | instskip(NEXT) | instid1(VALU_DEP_1)
	v_add_co_u32 v9, s5, s14, v39
	v_add_co_ci_u32_e64 v10, null, s36, 0, s5
	flat_load_b64 v[9:10], v[9:10]
.LBB58_13:
	s_or_b32 exec_lo, exec_lo, s4
	v_or_b32_e32 v11, 0x500, v0
	s_delay_alu instid0(VALU_DEP_1) | instskip(SKIP_1) | instid1(VALU_DEP_2)
	v_cmp_gt_u32_e64 s4, s27, v11
	v_lshlrev_b32_e32 v41, 3, v11
                                        ; implicit-def: $vgpr11_vgpr12
	s_and_saveexec_b32 s5, s4
	s_cbranch_execz .LBB58_15
; %bb.14:
	s_delay_alu instid0(VALU_DEP_1) | instskip(NEXT) | instid1(VALU_DEP_1)
	v_add_co_u32 v11, s6, s14, v41
	v_add_co_ci_u32_e64 v12, null, s36, 0, s6
	flat_load_b64 v[11:12], v[11:12]
.LBB58_15:
	s_or_b32 exec_lo, exec_lo, s5
	v_or_b32_e32 v13, 0x600, v0
	s_delay_alu instid0(VALU_DEP_1) | instskip(SKIP_1) | instid1(VALU_DEP_2)
	v_cmp_gt_u32_e64 s5, s27, v13
	v_lshlrev_b32_e32 v43, 3, v13
                                        ; implicit-def: $vgpr13_vgpr14
	s_and_saveexec_b32 s6, s5
	s_cbranch_execz .LBB58_17
; %bb.16:
	s_delay_alu instid0(VALU_DEP_1) | instskip(NEXT) | instid1(VALU_DEP_1)
	v_add_co_u32 v13, s7, s14, v43
	v_add_co_ci_u32_e64 v14, null, s36, 0, s7
	flat_load_b64 v[13:14], v[13:14]
.LBB58_17:
	s_or_b32 exec_lo, exec_lo, s6
	v_or_b32_e32 v15, 0x700, v0
	s_delay_alu instid0(VALU_DEP_1) | instskip(SKIP_1) | instid1(VALU_DEP_2)
	v_cmp_gt_u32_e64 s6, s27, v15
	v_lshlrev_b32_e32 v45, 3, v15
                                        ; implicit-def: $vgpr15_vgpr16
	s_and_saveexec_b32 s7, s6
	s_cbranch_execz .LBB58_19
; %bb.18:
	s_delay_alu instid0(VALU_DEP_1) | instskip(NEXT) | instid1(VALU_DEP_1)
	v_add_co_u32 v15, s8, s14, v45
	v_add_co_ci_u32_e64 v16, null, s36, 0, s8
	flat_load_b64 v[15:16], v[15:16]
.LBB58_19:
	s_or_b32 exec_lo, exec_lo, s7
	v_or_b32_e32 v17, 0x800, v0
	s_delay_alu instid0(VALU_DEP_1) | instskip(SKIP_1) | instid1(VALU_DEP_2)
	v_cmp_gt_u32_e64 s7, s27, v17
	v_lshlrev_b32_e32 v47, 3, v17
                                        ; implicit-def: $vgpr17_vgpr18
	s_and_saveexec_b32 s8, s7
	s_cbranch_execz .LBB58_21
; %bb.20:
	s_delay_alu instid0(VALU_DEP_1) | instskip(NEXT) | instid1(VALU_DEP_1)
	v_add_co_u32 v17, s9, s14, v47
	v_add_co_ci_u32_e64 v18, null, s36, 0, s9
	flat_load_b64 v[17:18], v[17:18]
.LBB58_21:
	s_or_b32 exec_lo, exec_lo, s8
	v_or_b32_e32 v19, 0x900, v0
	s_delay_alu instid0(VALU_DEP_1) | instskip(SKIP_1) | instid1(VALU_DEP_2)
	v_cmp_gt_u32_e64 s8, s27, v19
	v_lshlrev_b32_e32 v49, 3, v19
                                        ; implicit-def: $vgpr19_vgpr20
	s_and_saveexec_b32 s9, s8
	s_cbranch_execz .LBB58_23
; %bb.22:
	s_delay_alu instid0(VALU_DEP_1) | instskip(NEXT) | instid1(VALU_DEP_1)
	v_add_co_u32 v19, s10, s14, v49
	v_add_co_ci_u32_e64 v20, null, s36, 0, s10
	flat_load_b64 v[19:20], v[19:20]
.LBB58_23:
	s_or_b32 exec_lo, exec_lo, s9
	v_or_b32_e32 v21, 0xa00, v0
	s_delay_alu instid0(VALU_DEP_1) | instskip(SKIP_1) | instid1(VALU_DEP_2)
	v_cmp_gt_u32_e64 s9, s27, v21
	v_lshlrev_b32_e32 v51, 3, v21
                                        ; implicit-def: $vgpr21_vgpr22
	s_and_saveexec_b32 s10, s9
	s_cbranch_execz .LBB58_25
; %bb.24:
	s_delay_alu instid0(VALU_DEP_1) | instskip(NEXT) | instid1(VALU_DEP_1)
	v_add_co_u32 v21, s11, s14, v51
	v_add_co_ci_u32_e64 v22, null, s36, 0, s11
	flat_load_b64 v[21:22], v[21:22]
.LBB58_25:
	s_or_b32 exec_lo, exec_lo, s10
	v_or_b32_e32 v23, 0xb00, v0
	s_delay_alu instid0(VALU_DEP_1) | instskip(SKIP_1) | instid1(VALU_DEP_2)
	v_cmp_gt_u32_e64 s10, s27, v23
	v_lshlrev_b32_e32 v53, 3, v23
                                        ; implicit-def: $vgpr23_vgpr24
	s_and_saveexec_b32 s11, s10
	s_cbranch_execz .LBB58_27
; %bb.26:
	s_delay_alu instid0(VALU_DEP_1) | instskip(NEXT) | instid1(VALU_DEP_1)
	v_add_co_u32 v23, s12, s14, v53
	v_add_co_ci_u32_e64 v24, null, s36, 0, s12
	flat_load_b64 v[23:24], v[23:24]
.LBB58_27:
	s_or_b32 exec_lo, exec_lo, s11
	v_or_b32_e32 v25, 0xc00, v0
	s_delay_alu instid0(VALU_DEP_1) | instskip(SKIP_1) | instid1(VALU_DEP_2)
	v_cmp_gt_u32_e64 s11, s27, v25
	v_lshlrev_b32_e32 v55, 3, v25
                                        ; implicit-def: $vgpr25_vgpr26
	s_and_saveexec_b32 s12, s11
	s_cbranch_execz .LBB58_29
; %bb.28:
	s_delay_alu instid0(VALU_DEP_1) | instskip(NEXT) | instid1(VALU_DEP_1)
	v_add_co_u32 v25, s13, s14, v55
	v_add_co_ci_u32_e64 v26, null, s36, 0, s13
	flat_load_b64 v[25:26], v[25:26]
.LBB58_29:
	s_or_b32 exec_lo, exec_lo, s12
	v_or_b32_e32 v27, 0xd00, v0
	s_delay_alu instid0(VALU_DEP_1) | instskip(SKIP_1) | instid1(VALU_DEP_2)
	v_cmp_gt_u32_e64 s12, s27, v27
	v_lshlrev_b32_e32 v59, 3, v27
                                        ; implicit-def: $vgpr27_vgpr28
	s_and_saveexec_b32 s13, s12
	s_cbranch_execz .LBB58_31
; %bb.30:
	s_delay_alu instid0(VALU_DEP_1) | instskip(NEXT) | instid1(VALU_DEP_1)
	v_add_co_u32 v27, s39, s14, v59
	v_add_co_ci_u32_e64 v28, null, s36, 0, s39
	flat_load_b64 v[27:28], v[27:28]
.LBB58_31:
	s_or_b32 exec_lo, exec_lo, s13
	v_or_b32_e32 v29, 0xe00, v0
	s_delay_alu instid0(VALU_DEP_1) | instskip(SKIP_1) | instid1(VALU_DEP_2)
	v_cmp_gt_u32_e64 s13, s27, v29
	v_lshlrev_b32_e32 v63, 3, v29
                                        ; implicit-def: $vgpr29_vgpr30
	s_and_saveexec_b32 s39, s13
	s_cbranch_execz .LBB58_33
; %bb.32:
	s_delay_alu instid0(VALU_DEP_1) | instskip(NEXT) | instid1(VALU_DEP_1)
	v_add_co_u32 v29, s40, s14, v63
	v_add_co_ci_u32_e64 v30, null, s36, 0, s40
	flat_load_b64 v[29:30], v[29:30]
.LBB58_33:
	s_or_b32 exec_lo, exec_lo, s39
	v_lshlrev_b32_e32 v62, 3, v0
	s_waitcnt vmcnt(0) lgkmcnt(0)
	ds_store_2addr_stride64_b64 v62, v[1:2], v[3:4] offset1:4
	ds_store_2addr_stride64_b64 v62, v[5:6], v[7:8] offset0:8 offset1:12
	ds_store_2addr_stride64_b64 v62, v[9:10], v[11:12] offset0:16 offset1:20
	;; [unrolled: 1-line block ×6, first 2 shown]
	v_mad_u32_u24 v61, 0x70, v0, v62
	ds_store_b64 v62, v[29:30] offset:28672
	s_waitcnt lgkmcnt(0)
	s_barrier
	buffer_gl0_inv
	ds_load_2addr_b64 v[25:28], v61 offset1:1
	ds_load_2addr_b64 v[21:24], v61 offset0:2 offset1:3
	ds_load_2addr_b64 v[17:20], v61 offset0:4 offset1:5
	;; [unrolled: 1-line block ×6, first 2 shown]
	ds_load_b64 v[57:58], v61 offset:112
	s_waitcnt lgkmcnt(0)
	s_barrier
	buffer_gl0_inv
                                        ; implicit-def: $vgpr29_vgpr30
	s_and_saveexec_b32 s39, vcc_lo
	s_cbranch_execnz .LBB58_57
; %bb.34:
	s_or_b32 exec_lo, exec_lo, s39
                                        ; implicit-def: $vgpr31_vgpr32
	s_and_saveexec_b32 s39, s0
	s_cbranch_execnz .LBB58_58
.LBB58_35:
	s_or_b32 exec_lo, exec_lo, s39
                                        ; implicit-def: $vgpr33_vgpr34
	s_and_saveexec_b32 s0, s1
	s_cbranch_execnz .LBB58_59
.LBB58_36:
	s_or_b32 exec_lo, exec_lo, s0
                                        ; implicit-def: $vgpr35_vgpr36
	s_and_saveexec_b32 s0, s2
	s_cbranch_execnz .LBB58_60
.LBB58_37:
	s_or_b32 exec_lo, exec_lo, s0
                                        ; implicit-def: $vgpr37_vgpr38
	s_and_saveexec_b32 s0, s3
	s_cbranch_execnz .LBB58_61
.LBB58_38:
	s_or_b32 exec_lo, exec_lo, s0
                                        ; implicit-def: $vgpr39_vgpr40
	s_and_saveexec_b32 s0, s4
	s_cbranch_execnz .LBB58_62
.LBB58_39:
	s_or_b32 exec_lo, exec_lo, s0
                                        ; implicit-def: $vgpr41_vgpr42
	s_and_saveexec_b32 s0, s5
	s_cbranch_execnz .LBB58_63
.LBB58_40:
	s_or_b32 exec_lo, exec_lo, s0
                                        ; implicit-def: $vgpr43_vgpr44
	s_and_saveexec_b32 s0, s6
	s_cbranch_execnz .LBB58_64
.LBB58_41:
	s_or_b32 exec_lo, exec_lo, s0
                                        ; implicit-def: $vgpr45_vgpr46
	s_and_saveexec_b32 s0, s7
	s_cbranch_execnz .LBB58_65
.LBB58_42:
	s_or_b32 exec_lo, exec_lo, s0
                                        ; implicit-def: $vgpr47_vgpr48
	s_and_saveexec_b32 s0, s8
	s_cbranch_execnz .LBB58_66
.LBB58_43:
	s_or_b32 exec_lo, exec_lo, s0
                                        ; implicit-def: $vgpr49_vgpr50
	s_and_saveexec_b32 s0, s9
	s_cbranch_execnz .LBB58_67
.LBB58_44:
	s_or_b32 exec_lo, exec_lo, s0
                                        ; implicit-def: $vgpr51_vgpr52
	s_and_saveexec_b32 s0, s10
	s_cbranch_execnz .LBB58_68
.LBB58_45:
	s_or_b32 exec_lo, exec_lo, s0
                                        ; implicit-def: $vgpr53_vgpr54
	s_and_saveexec_b32 s0, s11
	s_cbranch_execnz .LBB58_69
.LBB58_46:
	s_or_b32 exec_lo, exec_lo, s0
                                        ; implicit-def: $vgpr55_vgpr56
	s_and_saveexec_b32 s0, s12
	s_cbranch_execnz .LBB58_70
.LBB58_47:
	s_or_b32 exec_lo, exec_lo, s0
                                        ; implicit-def: $vgpr59_vgpr60
	s_and_saveexec_b32 s0, s13
	s_cbranch_execz .LBB58_49
.LBB58_48:
	v_add_co_u32 v59, s1, s33, v63
	s_delay_alu instid0(VALU_DEP_1)
	v_add_co_ci_u32_e64 v60, null, s38, 0, s1
	flat_load_b64 v[59:60], v[59:60]
.LBB58_49:
	s_or_b32 exec_lo, exec_lo, s0
	s_waitcnt vmcnt(0) lgkmcnt(0)
	ds_store_2addr_stride64_b64 v62, v[29:30], v[31:32] offset1:4
	ds_store_2addr_stride64_b64 v62, v[33:34], v[35:36] offset0:8 offset1:12
	ds_store_2addr_stride64_b64 v62, v[37:38], v[39:40] offset0:16 offset1:20
	;; [unrolled: 1-line block ×6, first 2 shown]
	ds_store_b64 v62, v[59:60] offset:28672
	s_waitcnt lgkmcnt(0)
	s_barrier
.LBB58_50:
	s_waitcnt lgkmcnt(0)
	buffer_gl0_inv
	ds_load_2addr_b64 v[53:56], v61 offset1:1
	ds_load_2addr_b64 v[49:52], v61 offset0:2 offset1:3
	ds_load_2addr_b64 v[45:48], v61 offset0:4 offset1:5
	;; [unrolled: 1-line block ×6, first 2 shown]
	ds_load_b64 v[73:74], v61 offset:112
	s_cmp_eq_u64 s[34:35], 0
	s_waitcnt lgkmcnt(0)
	s_cselect_b32 s33, -1, 0
	s_cmp_lg_u64 s[34:35], 0
	s_barrier
	s_cselect_b32 s38, -1, 0
	s_and_b32 vcc_lo, exec_lo, s37
	buffer_gl0_inv
	s_cbranch_vccz .LBB58_56
; %bb.51:
	s_and_b32 vcc_lo, exec_lo, s38
	s_cbranch_vccz .LBB58_71
; %bb.52:
	v_add_co_u32 v59, s0, -8, s14
	s_delay_alu instid0(VALU_DEP_1)
	v_add_co_ci_u32_e64 v60, null, -1, s36, s0
	v_cvt_i32_f64_e32 v62, v[3:4]
	v_cvt_i32_f64_e32 v63, v[57:58]
	;; [unrolled: 1-line block ×3, first 2 shown]
	flat_load_b64 v[59:60], v[59:60]
	v_cvt_i32_f64_e32 v65, v[7:8]
	v_cvt_i32_f64_e32 v67, v[11:12]
	;; [unrolled: 1-line block ×9, first 2 shown]
	v_lshlrev_b32_e32 v61, 3, v0
	s_mov_b32 s37, -1
	s_mov_b32 s39, 0
	s_mov_b32 s40, exec_lo
	ds_store_b64 v61, v[57:58]
	s_waitcnt vmcnt(0) lgkmcnt(0)
	s_barrier
	buffer_gl0_inv
	v_mul_hi_i32 v62, 0x66666667, v62
	v_mul_hi_i32 v63, 0x66666667, v63
	v_mul_hi_i32 v64, 0x66666667, v64
	v_mul_hi_i32 v65, 0x66666667, v65
	v_mul_hi_i32 v67, 0x66666667, v67
	v_mul_hi_i32 v66, 0x66666667, v66
	v_mul_hi_i32 v68, 0x66666667, v68
	v_lshrrev_b32_e32 v72, 31, v62
	v_ashrrev_i32_e32 v62, 2, v62
	v_lshrrev_b32_e32 v75, 31, v63
	v_ashrrev_i32_e32 v63, 2, v63
	;; [unrolled: 2-line block ×3, first 2 shown]
	v_add_nc_u32_e32 v62, v62, v72
	v_cvt_i32_f64_e32 v72, v[17:18]
	v_add_nc_u32_e32 v63, v63, v75
	v_cvt_i32_f64_e32 v75, v[23:24]
	v_add_nc_u32_e32 v64, v64, v76
	v_cvt_i32_f64_e32 v76, v[21:22]
	v_lshrrev_b32_e32 v77, 31, v65
	v_ashrrev_i32_e32 v65, 2, v65
	v_lshrrev_b32_e32 v81, 31, v67
	v_ashrrev_i32_e32 v67, 2, v67
	v_cmp_ne_u32_e32 vcc_lo, v62, v63
	v_cmp_ne_u32_e64 s0, v64, v62
	v_add_nc_u32_e32 v62, v65, v77
	v_lshrrev_b32_e32 v80, 31, v66
	v_ashrrev_i32_e32 v66, 2, v66
	v_add_nc_u32_e32 v65, v67, v81
	v_mul_hi_i32 v67, 0x66666667, v69
	v_mul_hi_i32 v69, 0x66666667, v70
	v_cmp_ne_u32_e64 s1, v62, v64
	v_mul_hi_i32 v64, 0x66666667, v71
	v_add_nc_u32_e32 v63, v66, v80
	v_lshrrev_b32_e32 v66, 31, v68
	v_ashrrev_i32_e32 v68, 2, v68
	s_delay_alu instid0(VALU_DEP_3) | instskip(SKIP_1) | instid1(VALU_DEP_3)
	v_cmp_ne_u32_e64 s2, v63, v62
	v_cmp_ne_u32_e64 s3, v65, v63
	v_add_nc_u32_e32 v62, v68, v66
	v_lshrrev_b32_e32 v63, 31, v67
	v_ashrrev_i32_e32 v66, 2, v67
	v_lshrrev_b32_e32 v67, 31, v69
	v_ashrrev_i32_e32 v68, 2, v69
	;; [unrolled: 2-line block ×3, first 2 shown]
	v_add_nc_u32_e32 v63, v66, v63
	v_cmp_ne_u32_e64 s4, v62, v65
	v_add_nc_u32_e32 v65, v68, v67
	v_mul_hi_i32 v68, 0x66666667, v79
	v_add_nc_u32_e32 v64, v64, v69
	v_mul_hi_i32 v66, 0x66666667, v72
	v_cmp_ne_u32_e64 s5, v63, v62
	v_mul_hi_i32 v62, 0x66666667, v75
	v_cmp_ne_u32_e64 s6, v65, v63
	;; [unrolled: 2-line block ×3, first 2 shown]
	v_mul_hi_i32 v65, 0x66666667, v78
	v_lshrrev_b32_e32 v72, 31, v68
	v_lshrrev_b32_e32 v67, 31, v66
	v_ashrrev_i32_e32 v66, 2, v66
	v_lshrrev_b32_e32 v69, 31, v62
	v_ashrrev_i32_e32 v62, 2, v62
	v_lshrrev_b32_e32 v70, 31, v63
	v_ashrrev_i32_e32 v63, 2, v63
	v_lshrrev_b32_e32 v71, 31, v65
	v_ashrrev_i32_e32 v65, 2, v65
	v_ashrrev_i32_e32 v68, 2, v68
	v_add_nc_u32_e32 v66, v66, v67
	v_add_nc_u32_e32 v62, v62, v69
	;; [unrolled: 1-line block ×5, first 2 shown]
	v_cmp_ne_u32_e64 s12, v66, v64
	v_cmp_ne_u32_e64 s8, v62, v66
	;; [unrolled: 1-line block ×5, first 2 shown]
	v_cmpx_ne_u32_e32 0, v0
	s_cbranch_execz .LBB58_54
; %bb.53:
	v_add_nc_u32_e32 v59, -8, v61
	ds_load_b64 v[59:60], v59
.LBB58_54:
	s_or_b32 exec_lo, exec_lo, s40
	s_waitcnt lgkmcnt(0)
	v_cvt_i32_f64_e32 v59, v[59:60]
	v_cndmask_b32_e64 v111, 0, 1, vcc_lo
	v_cndmask_b32_e64 v76, 0, 1, s0
	v_cndmask_b32_e64 v112, 0, 1, s1
	;; [unrolled: 1-line block ×13, first 2 shown]
	v_mul_hi_i32 v59, 0x66666667, v59
	s_delay_alu instid0(VALU_DEP_1) | instskip(SKIP_1) | instid1(VALU_DEP_1)
	v_lshrrev_b32_e32 v64, 31, v59
	v_ashrrev_i32_e32 v59, 2, v59
	v_add_nc_u32_e32 v59, v59, v64
	s_delay_alu instid0(VALU_DEP_1)
	v_cmp_ne_u32_e64 s2, v59, v63
	s_and_b32 vcc_lo, exec_lo, s39
	s_cbranch_vccnz .LBB58_72
.LBB58_55:
                                        ; implicit-def: $sgpr0
	s_branch .LBB58_75
.LBB58_56:
	s_mov_b32 s37, 0
                                        ; implicit-def: $sgpr2
                                        ; implicit-def: $vgpr111
                                        ; implicit-def: $vgpr76
                                        ; implicit-def: $vgpr112
                                        ; implicit-def: $vgpr60
                                        ; implicit-def: $vgpr113
                                        ; implicit-def: $vgpr62
                                        ; implicit-def: $vgpr61
                                        ; implicit-def: $vgpr66
                                        ; implicit-def: $vgpr65
                                        ; implicit-def: $vgpr68
                                        ; implicit-def: $vgpr67
                                        ; implicit-def: $vgpr70
                                        ; implicit-def: $vgpr69
                                        ; implicit-def: $vgpr72
                                        ; implicit-def: $vgpr64
                                        ; implicit-def: $sgpr0
	s_cbranch_execnz .LBB58_76
	s_branch .LBB58_111
.LBB58_57:
	v_add_co_u32 v29, s40, s33, v62
	s_delay_alu instid0(VALU_DEP_1)
	v_add_co_ci_u32_e64 v30, null, s38, 0, s40
	flat_load_b64 v[29:30], v[29:30]
	s_or_b32 exec_lo, exec_lo, s39
                                        ; implicit-def: $vgpr31_vgpr32
	s_and_saveexec_b32 s39, s0
	s_cbranch_execz .LBB58_35
.LBB58_58:
	v_add_co_u32 v31, s0, s33, v62
	s_delay_alu instid0(VALU_DEP_1)
	v_add_co_ci_u32_e64 v32, null, s38, 0, s0
	flat_load_b64 v[31:32], v[31:32] offset:2048
	s_or_b32 exec_lo, exec_lo, s39
                                        ; implicit-def: $vgpr33_vgpr34
	s_and_saveexec_b32 s0, s1
	s_cbranch_execz .LBB58_36
.LBB58_59:
	v_add_co_u32 v33, s1, s33, v35
	s_delay_alu instid0(VALU_DEP_1)
	v_add_co_ci_u32_e64 v34, null, s38, 0, s1
	flat_load_b64 v[33:34], v[33:34]
	s_or_b32 exec_lo, exec_lo, s0
                                        ; implicit-def: $vgpr35_vgpr36
	s_and_saveexec_b32 s0, s2
	s_cbranch_execz .LBB58_37
.LBB58_60:
	v_add_co_u32 v35, s1, s33, v37
	s_delay_alu instid0(VALU_DEP_1)
	v_add_co_ci_u32_e64 v36, null, s38, 0, s1
	flat_load_b64 v[35:36], v[35:36]
	s_or_b32 exec_lo, exec_lo, s0
                                        ; implicit-def: $vgpr37_vgpr38
	s_and_saveexec_b32 s0, s3
	s_cbranch_execz .LBB58_38
.LBB58_61:
	v_add_co_u32 v37, s1, s33, v39
	s_delay_alu instid0(VALU_DEP_1)
	v_add_co_ci_u32_e64 v38, null, s38, 0, s1
	flat_load_b64 v[37:38], v[37:38]
	s_or_b32 exec_lo, exec_lo, s0
                                        ; implicit-def: $vgpr39_vgpr40
	s_and_saveexec_b32 s0, s4
	s_cbranch_execz .LBB58_39
.LBB58_62:
	v_add_co_u32 v39, s1, s33, v41
	s_delay_alu instid0(VALU_DEP_1)
	v_add_co_ci_u32_e64 v40, null, s38, 0, s1
	flat_load_b64 v[39:40], v[39:40]
	s_or_b32 exec_lo, exec_lo, s0
                                        ; implicit-def: $vgpr41_vgpr42
	s_and_saveexec_b32 s0, s5
	s_cbranch_execz .LBB58_40
.LBB58_63:
	v_add_co_u32 v41, s1, s33, v43
	s_delay_alu instid0(VALU_DEP_1)
	v_add_co_ci_u32_e64 v42, null, s38, 0, s1
	flat_load_b64 v[41:42], v[41:42]
	s_or_b32 exec_lo, exec_lo, s0
                                        ; implicit-def: $vgpr43_vgpr44
	s_and_saveexec_b32 s0, s6
	s_cbranch_execz .LBB58_41
.LBB58_64:
	v_add_co_u32 v43, s1, s33, v45
	s_delay_alu instid0(VALU_DEP_1)
	v_add_co_ci_u32_e64 v44, null, s38, 0, s1
	flat_load_b64 v[43:44], v[43:44]
	s_or_b32 exec_lo, exec_lo, s0
                                        ; implicit-def: $vgpr45_vgpr46
	s_and_saveexec_b32 s0, s7
	s_cbranch_execz .LBB58_42
.LBB58_65:
	v_add_co_u32 v45, s1, s33, v47
	s_delay_alu instid0(VALU_DEP_1)
	v_add_co_ci_u32_e64 v46, null, s38, 0, s1
	flat_load_b64 v[45:46], v[45:46]
	s_or_b32 exec_lo, exec_lo, s0
                                        ; implicit-def: $vgpr47_vgpr48
	s_and_saveexec_b32 s0, s8
	s_cbranch_execz .LBB58_43
.LBB58_66:
	v_add_co_u32 v47, s1, s33, v49
	s_delay_alu instid0(VALU_DEP_1)
	v_add_co_ci_u32_e64 v48, null, s38, 0, s1
	flat_load_b64 v[47:48], v[47:48]
	s_or_b32 exec_lo, exec_lo, s0
                                        ; implicit-def: $vgpr49_vgpr50
	s_and_saveexec_b32 s0, s9
	s_cbranch_execz .LBB58_44
.LBB58_67:
	v_add_co_u32 v49, s1, s33, v51
	s_delay_alu instid0(VALU_DEP_1)
	v_add_co_ci_u32_e64 v50, null, s38, 0, s1
	flat_load_b64 v[49:50], v[49:50]
	s_or_b32 exec_lo, exec_lo, s0
                                        ; implicit-def: $vgpr51_vgpr52
	s_and_saveexec_b32 s0, s10
	s_cbranch_execz .LBB58_45
.LBB58_68:
	v_add_co_u32 v51, s1, s33, v53
	s_delay_alu instid0(VALU_DEP_1)
	v_add_co_ci_u32_e64 v52, null, s38, 0, s1
	flat_load_b64 v[51:52], v[51:52]
	s_or_b32 exec_lo, exec_lo, s0
                                        ; implicit-def: $vgpr53_vgpr54
	s_and_saveexec_b32 s0, s11
	s_cbranch_execz .LBB58_46
.LBB58_69:
	v_add_co_u32 v53, s1, s33, v55
	s_delay_alu instid0(VALU_DEP_1)
	v_add_co_ci_u32_e64 v54, null, s38, 0, s1
	flat_load_b64 v[53:54], v[53:54]
	s_or_b32 exec_lo, exec_lo, s0
                                        ; implicit-def: $vgpr55_vgpr56
	s_and_saveexec_b32 s0, s12
	s_cbranch_execz .LBB58_47
.LBB58_70:
	v_add_co_u32 v55, s1, s33, v59
	s_delay_alu instid0(VALU_DEP_1)
	v_add_co_ci_u32_e64 v56, null, s38, 0, s1
	flat_load_b64 v[55:56], v[55:56]
	s_or_b32 exec_lo, exec_lo, s0
                                        ; implicit-def: $vgpr59_vgpr60
	s_and_saveexec_b32 s0, s13
	s_cbranch_execnz .LBB58_48
	s_branch .LBB58_49
.LBB58_71:
	s_mov_b32 s37, 0
                                        ; implicit-def: $sgpr2
                                        ; implicit-def: $vgpr111
                                        ; implicit-def: $vgpr76
                                        ; implicit-def: $vgpr112
                                        ; implicit-def: $vgpr60
                                        ; implicit-def: $vgpr113
                                        ; implicit-def: $vgpr62
                                        ; implicit-def: $vgpr61
                                        ; implicit-def: $vgpr66
                                        ; implicit-def: $vgpr65
                                        ; implicit-def: $vgpr68
                                        ; implicit-def: $vgpr67
                                        ; implicit-def: $vgpr70
                                        ; implicit-def: $vgpr69
                                        ; implicit-def: $vgpr72
	s_cbranch_execz .LBB58_55
.LBB58_72:
	v_cvt_i32_f64_e32 v60, v[3:4]
	v_cvt_i32_f64_e32 v61, v[57:58]
	;; [unrolled: 1-line block ×15, first 2 shown]
	v_lshlrev_b32_e32 v59, 3, v0
	s_mov_b32 s0, exec_lo
                                        ; implicit-def: $sgpr2
	ds_store_b64 v59, v[57:58]
	s_waitcnt lgkmcnt(0)
	s_barrier
	buffer_gl0_inv
	v_mul_hi_i32 v60, 0x66666667, v60
	v_mul_hi_i32 v61, 0x66666667, v61
	;; [unrolled: 1-line block ×8, first 2 shown]
	v_lshrrev_b32_e32 v76, 31, v60
	v_ashrrev_i32_e32 v60, 2, v60
	v_lshrrev_b32_e32 v78, 31, v61
	v_ashrrev_i32_e32 v61, 2, v61
	;; [unrolled: 2-line block ×3, first 2 shown]
	v_add_nc_u32_e32 v60, v60, v76
	v_lshrrev_b32_e32 v80, 31, v63
	v_add_nc_u32_e32 v61, v61, v78
	v_ashrrev_i32_e32 v63, 2, v63
	v_add_nc_u32_e32 v62, v62, v79
	v_lshrrev_b32_e32 v81, 31, v64
	v_ashrrev_i32_e32 v64, 2, v64
	v_cmp_ne_u32_e32 vcc_lo, v60, v61
	v_add_nc_u32_e32 v63, v63, v80
	v_lshrrev_b32_e32 v82, 31, v65
	v_ashrrev_i32_e32 v65, 2, v65
	v_add_nc_u32_e32 v64, v64, v81
	v_cndmask_b32_e64 v111, 0, 1, vcc_lo
	v_cmp_ne_u32_e32 vcc_lo, v62, v60
	v_lshrrev_b32_e32 v83, 31, v66
	v_ashrrev_i32_e32 v66, 2, v66
	v_add_nc_u32_e32 v65, v65, v82
	v_mul_hi_i32 v68, 0x66666667, v68
	v_cndmask_b32_e64 v76, 0, 1, vcc_lo
	v_cmp_ne_u32_e32 vcc_lo, v63, v62
	v_lshrrev_b32_e32 v84, 31, v67
	v_ashrrev_i32_e32 v67, 2, v67
	v_add_nc_u32_e32 v66, v66, v83
	v_cndmask_b32_e64 v112, 0, 1, vcc_lo
	v_cmp_ne_u32_e32 vcc_lo, v64, v63
	v_mul_hi_i32 v63, 0x66666667, v69
	v_lshrrev_b32_e32 v85, 31, v68
	v_ashrrev_i32_e32 v61, 2, v68
	v_mul_hi_i32 v68, 0x66666667, v70
	v_cndmask_b32_e64 v60, 0, 1, vcc_lo
	v_cmp_ne_u32_e32 vcc_lo, v65, v64
	v_add_nc_u32_e32 v64, v67, v84
	v_mul_hi_i32 v70, 0x66666667, v75
	v_lshrrev_b32_e32 v67, 31, v63
	v_ashrrev_i32_e32 v63, 2, v63
	v_cndmask_b32_e64 v113, 0, 1, vcc_lo
	v_cmp_ne_u32_e32 vcc_lo, v66, v65
	v_add_nc_u32_e32 v65, v61, v85
	v_lshrrev_b32_e32 v69, 31, v68
	v_ashrrev_i32_e32 v68, 2, v68
	v_add_nc_u32_e32 v63, v63, v67
	v_cndmask_b32_e64 v62, 0, 1, vcc_lo
	v_cmp_ne_u32_e32 vcc_lo, v64, v66
	v_mul_hi_i32 v67, 0x66666667, v71
	v_lshrrev_b32_e32 v75, 31, v70
	v_ashrrev_i32_e32 v70, 2, v70
	v_cndmask_b32_e64 v61, 0, 1, vcc_lo
	v_cmp_ne_u32_e32 vcc_lo, v65, v64
	v_add_nc_u32_e32 v64, v68, v69
	v_mul_hi_i32 v69, 0x66666667, v72
	v_lshrrev_b32_e32 v71, 31, v67
	v_ashrrev_i32_e32 v67, 2, v67
	v_cndmask_b32_e64 v66, 0, 1, vcc_lo
	v_cmp_ne_u32_e32 vcc_lo, v63, v65
	s_delay_alu instid0(VALU_DEP_3)
	v_add_nc_u32_e32 v71, v67, v71
	v_lshrrev_b32_e32 v72, 31, v69
	v_cndmask_b32_e64 v65, 0, 1, vcc_lo
	v_cmp_ne_u32_e32 vcc_lo, v64, v63
	v_ashrrev_i32_e32 v69, 2, v69
	v_mul_hi_i32 v63, 0x66666667, v77
	v_cndmask_b32_e64 v68, 0, 1, vcc_lo
	s_delay_alu instid0(VALU_DEP_3)
	v_add_nc_u32_e32 v69, v69, v72
	v_cmp_ne_u32_e32 vcc_lo, v71, v64
	v_add_nc_u32_e32 v72, v70, v75
	v_lshrrev_b32_e32 v77, 31, v63
	v_ashrrev_i32_e32 v63, 2, v63
	v_cndmask_b32_e64 v67, 0, 1, vcc_lo
	v_cmp_ne_u32_e32 vcc_lo, v69, v71
	s_delay_alu instid0(VALU_DEP_3) | instskip(SKIP_3) | instid1(VALU_DEP_4)
	v_add_nc_u32_e32 v63, v63, v77
	v_cndmask_b32_e64 v70, 0, 1, vcc_lo
	v_cmp_ne_u32_e32 vcc_lo, v72, v69
	v_cndmask_b32_e64 v69, 0, 1, vcc_lo
	v_cmp_ne_u32_e32 vcc_lo, v63, v72
	v_cndmask_b32_e64 v72, 0, 1, vcc_lo
	v_cmpx_ne_u32_e32 0, v0
	s_xor_b32 s0, exec_lo, s0
	s_cbranch_execz .LBB58_74
; %bb.73:
	v_add_nc_u32_e32 v59, -8, v59
	s_or_b32 s37, s37, exec_lo
	ds_load_b64 v[77:78], v59
	s_waitcnt lgkmcnt(0)
	v_cvt_i32_f64_e32 v59, v[77:78]
	s_delay_alu instid0(VALU_DEP_1) | instskip(NEXT) | instid1(VALU_DEP_1)
	v_mul_hi_i32 v59, 0x66666667, v59
	v_lshrrev_b32_e32 v64, 31, v59
	v_ashrrev_i32_e32 v59, 2, v59
	s_delay_alu instid0(VALU_DEP_1) | instskip(NEXT) | instid1(VALU_DEP_1)
	v_add_nc_u32_e32 v59, v59, v64
	v_cmp_ne_u32_e32 vcc_lo, v59, v63
	s_and_b32 s2, vcc_lo, exec_lo
.LBB58_74:
	s_or_b32 exec_lo, exec_lo, s0
	s_mov_b32 s0, 1
.LBB58_75:
	v_mov_b32_e32 v64, v76
	s_branch .LBB58_111
.LBB58_76:
	s_mul_hi_u32 s0, s34, 0xfffff100
	s_mul_i32 s1, s35, 0xfffff100
	s_sub_i32 s0, s0, s34
	s_mul_i32 s2, s34, 0xfffff100
	v_mul_u32_u24_e32 v77, 15, v0
	v_mad_u32_u24 v63, v0, 15, 14
	s_add_i32 s1, s0, s1
	s_add_u32 s0, s2, s28
	s_addc_u32 s1, s1, s29
	s_and_b32 vcc_lo, exec_lo, s38
	s_cbranch_vccz .LBB58_244
; %bb.77:
	v_add_co_u32 v59, s2, -8, s14
	s_delay_alu instid0(VALU_DEP_1)
	v_add_co_ci_u32_e64 v60, null, -1, s36, s2
	v_dual_mov_b32 v76, 0 :: v_dual_mov_b32 v111, 0
	v_lshlrev_b32_e32 v78, 3, v0
	flat_load_b64 v[79:80], v[59:60]
	s_mov_b32 s2, exec_lo
	v_mov_b32_e32 v64, v76
	ds_store_b64 v78, v[57:58]
	v_cmpx_gt_u64_e64 s[0:1], v[63:64]
	s_cbranch_execz .LBB58_79
; %bb.78:
	v_cvt_i32_f64_e32 v59, v[3:4]
	v_cvt_i32_f64_e32 v60, v[57:58]
	s_delay_alu instid0(VALU_DEP_2) | instskip(NEXT) | instid1(VALU_DEP_2)
	v_mul_hi_i32 v59, 0x66666667, v59
	v_mul_hi_i32 v60, 0x66666667, v60
	s_delay_alu instid0(VALU_DEP_2) | instskip(SKIP_1) | instid1(VALU_DEP_3)
	v_lshrrev_b32_e32 v61, 31, v59
	v_ashrrev_i32_e32 v59, 2, v59
	v_lshrrev_b32_e32 v62, 31, v60
	v_ashrrev_i32_e32 v60, 2, v60
	s_delay_alu instid0(VALU_DEP_3) | instskip(NEXT) | instid1(VALU_DEP_2)
	v_add_nc_u32_e32 v59, v59, v61
	v_add_nc_u32_e32 v60, v60, v62
	s_delay_alu instid0(VALU_DEP_1)
	v_cmp_ne_u32_e32 vcc_lo, v59, v60
	v_cndmask_b32_e64 v111, 0, 1, vcc_lo
.LBB58_79:
	s_or_b32 exec_lo, exec_lo, s2
	v_add_nc_u32_e32 v75, 13, v77
	s_mov_b32 s2, exec_lo
	s_delay_alu instid0(VALU_DEP_1)
	v_cmpx_gt_u64_e64 s[0:1], v[75:76]
	s_cbranch_execz .LBB58_81
; %bb.80:
	v_cvt_i32_f64_e32 v59, v[1:2]
	v_cvt_i32_f64_e32 v60, v[3:4]
	s_delay_alu instid0(VALU_DEP_2) | instskip(NEXT) | instid1(VALU_DEP_2)
	v_mul_hi_i32 v59, 0x66666667, v59
	v_mul_hi_i32 v60, 0x66666667, v60
	s_delay_alu instid0(VALU_DEP_2) | instskip(SKIP_1) | instid1(VALU_DEP_3)
	v_lshrrev_b32_e32 v61, 31, v59
	v_ashrrev_i32_e32 v59, 2, v59
	v_lshrrev_b32_e32 v62, 31, v60
	v_ashrrev_i32_e32 v60, 2, v60
	s_delay_alu instid0(VALU_DEP_3) | instskip(NEXT) | instid1(VALU_DEP_2)
	v_add_nc_u32_e32 v59, v59, v61
	v_add_nc_u32_e32 v60, v60, v62
	s_delay_alu instid0(VALU_DEP_1)
	v_cmp_ne_u32_e32 vcc_lo, v59, v60
	v_cndmask_b32_e64 v76, 0, 1, vcc_lo
.LBB58_81:
	s_or_b32 exec_lo, exec_lo, s2
	v_dual_mov_b32 v60, 0 :: v_dual_add_nc_u32 v59, 12, v77
	v_mov_b32_e32 v112, 0
	s_mov_b32 s2, exec_lo
	s_delay_alu instid0(VALU_DEP_2)
	v_cmpx_gt_u64_e64 s[0:1], v[59:60]
	s_cbranch_execz .LBB58_83
; %bb.82:
	v_cvt_i32_f64_e32 v59, v[7:8]
	v_cvt_i32_f64_e32 v61, v[1:2]
	s_delay_alu instid0(VALU_DEP_2) | instskip(NEXT) | instid1(VALU_DEP_2)
	v_mul_hi_i32 v59, 0x66666667, v59
	v_mul_hi_i32 v61, 0x66666667, v61
	s_delay_alu instid0(VALU_DEP_2) | instskip(SKIP_1) | instid1(VALU_DEP_3)
	v_lshrrev_b32_e32 v62, 31, v59
	v_ashrrev_i32_e32 v59, 2, v59
	v_lshrrev_b32_e32 v64, 31, v61
	v_ashrrev_i32_e32 v61, 2, v61
	s_delay_alu instid0(VALU_DEP_3) | instskip(NEXT) | instid1(VALU_DEP_2)
	v_add_nc_u32_e32 v59, v59, v62
	v_add_nc_u32_e32 v61, v61, v64
	s_delay_alu instid0(VALU_DEP_1)
	v_cmp_ne_u32_e32 vcc_lo, v59, v61
	v_cndmask_b32_e64 v112, 0, 1, vcc_lo
.LBB58_83:
	s_or_b32 exec_lo, exec_lo, s2
	v_add_nc_u32_e32 v59, 11, v77
	s_mov_b32 s2, exec_lo
	s_delay_alu instid0(VALU_DEP_1)
	v_cmpx_gt_u64_e64 s[0:1], v[59:60]
	s_cbranch_execz .LBB58_85
; %bb.84:
	v_cvt_i32_f64_e32 v59, v[5:6]
	v_cvt_i32_f64_e32 v60, v[7:8]
	s_delay_alu instid0(VALU_DEP_2) | instskip(NEXT) | instid1(VALU_DEP_2)
	v_mul_hi_i32 v59, 0x66666667, v59
	v_mul_hi_i32 v60, 0x66666667, v60
	s_delay_alu instid0(VALU_DEP_2) | instskip(SKIP_1) | instid1(VALU_DEP_3)
	v_lshrrev_b32_e32 v61, 31, v59
	v_ashrrev_i32_e32 v59, 2, v59
	v_lshrrev_b32_e32 v62, 31, v60
	v_ashrrev_i32_e32 v60, 2, v60
	s_delay_alu instid0(VALU_DEP_3) | instskip(NEXT) | instid1(VALU_DEP_2)
	v_add_nc_u32_e32 v59, v59, v61
	v_add_nc_u32_e32 v60, v60, v62
	s_delay_alu instid0(VALU_DEP_1)
	v_cmp_ne_u32_e32 vcc_lo, v59, v60
	v_cndmask_b32_e64 v60, 0, 1, vcc_lo
.LBB58_85:
	s_or_b32 exec_lo, exec_lo, s2
	v_dual_mov_b32 v62, 0 :: v_dual_add_nc_u32 v61, 10, v77
	v_mov_b32_e32 v113, 0
	s_mov_b32 s2, exec_lo
	s_delay_alu instid0(VALU_DEP_2)
	;; [unrolled: 49-line block ×6, first 2 shown]
	v_cmpx_gt_u64_e64 s[0:1], v[71:72]
	s_cbranch_execz .LBB58_103
; %bb.102:
	v_cvt_i32_f64_e32 v59, v[27:28]
	v_cvt_i32_f64_e32 v64, v[21:22]
	s_delay_alu instid0(VALU_DEP_2) | instskip(NEXT) | instid1(VALU_DEP_2)
	v_mul_hi_i32 v59, 0x66666667, v59
	v_mul_hi_i32 v64, 0x66666667, v64
	s_delay_alu instid0(VALU_DEP_2) | instskip(SKIP_1) | instid1(VALU_DEP_3)
	v_lshrrev_b32_e32 v69, 31, v59
	v_ashrrev_i32_e32 v59, 2, v59
	v_lshrrev_b32_e32 v71, 31, v64
	v_ashrrev_i32_e32 v64, 2, v64
	s_delay_alu instid0(VALU_DEP_3) | instskip(NEXT) | instid1(VALU_DEP_2)
	v_add_nc_u32_e32 v59, v59, v69
	v_add_nc_u32_e32 v64, v64, v71
	s_delay_alu instid0(VALU_DEP_1)
	v_cmp_ne_u32_e32 vcc_lo, v59, v64
	v_cndmask_b32_e64 v69, 0, 1, vcc_lo
.LBB58_103:
	s_or_b32 exec_lo, exec_lo, s2
	v_add_nc_u32_e32 v71, 1, v77
	s_mov_b32 s2, exec_lo
	s_delay_alu instid0(VALU_DEP_1)
	v_cmpx_gt_u64_e64 s[0:1], v[71:72]
	s_cbranch_execz .LBB58_105
; %bb.104:
	v_cvt_i32_f64_e32 v59, v[25:26]
	v_cvt_i32_f64_e32 v64, v[27:28]
	s_delay_alu instid0(VALU_DEP_2) | instskip(NEXT) | instid1(VALU_DEP_2)
	v_mul_hi_i32 v59, 0x66666667, v59
	v_mul_hi_i32 v64, 0x66666667, v64
	s_delay_alu instid0(VALU_DEP_2) | instskip(SKIP_1) | instid1(VALU_DEP_3)
	v_lshrrev_b32_e32 v71, 31, v59
	v_ashrrev_i32_e32 v59, 2, v59
	v_lshrrev_b32_e32 v72, 31, v64
	v_ashrrev_i32_e32 v64, 2, v64
	s_delay_alu instid0(VALU_DEP_3) | instskip(NEXT) | instid1(VALU_DEP_2)
	v_add_nc_u32_e32 v59, v59, v71
	v_add_nc_u32_e32 v64, v64, v72
	s_delay_alu instid0(VALU_DEP_1)
	v_cmp_ne_u32_e32 vcc_lo, v59, v64
	v_cndmask_b32_e64 v72, 0, 1, vcc_lo
.LBB58_105:
	s_or_b32 exec_lo, exec_lo, s2
	s_mov_b32 s2, 0
	s_mov_b32 s3, exec_lo
	s_waitcnt vmcnt(0) lgkmcnt(0)
	s_barrier
	buffer_gl0_inv
	v_cmpx_ne_u32_e32 0, v0
	s_cbranch_execz .LBB58_107
; %bb.106:
	v_add_nc_u32_e32 v59, -8, v78
	ds_load_b64 v[79:80], v59
.LBB58_107:
	s_or_b32 exec_lo, exec_lo, s3
	v_mov_b32_e32 v78, 0
	s_mov_b32 s3, exec_lo
	s_delay_alu instid0(VALU_DEP_1)
	v_cmpx_gt_u64_e64 s[0:1], v[77:78]
	s_cbranch_execz .LBB58_109
; %bb.108:
	s_waitcnt lgkmcnt(0)
	v_cvt_i32_f64_e32 v59, v[79:80]
	v_cvt_i32_f64_e32 v64, v[25:26]
	s_delay_alu instid0(VALU_DEP_2) | instskip(NEXT) | instid1(VALU_DEP_2)
	v_mul_hi_i32 v59, 0x66666667, v59
	v_mul_hi_i32 v64, 0x66666667, v64
	s_delay_alu instid0(VALU_DEP_2) | instskip(SKIP_1) | instid1(VALU_DEP_3)
	v_lshrrev_b32_e32 v71, 31, v59
	v_ashrrev_i32_e32 v59, 2, v59
	v_lshrrev_b32_e32 v75, 31, v64
	v_ashrrev_i32_e32 v64, 2, v64
	s_delay_alu instid0(VALU_DEP_3) | instskip(NEXT) | instid1(VALU_DEP_2)
	v_add_nc_u32_e32 v59, v59, v71
	v_add_nc_u32_e32 v64, v64, v75
	s_delay_alu instid0(VALU_DEP_1)
	v_cmp_ne_u32_e32 vcc_lo, v59, v64
	s_and_b32 s2, vcc_lo, exec_lo
.LBB58_109:
	s_or_b32 exec_lo, exec_lo, s3
	s_mov_b32 s37, -1
.LBB58_110:
                                        ; implicit-def: $vgpr64
                                        ; implicit-def: $sgpr0
.LBB58_111:
	v_mov_b32_e32 v63, s0
	s_and_saveexec_b32 s0, s37
.LBB58_112:
	v_cndmask_b32_e64 v63, 0, 1, s2
	v_mov_b32_e32 v64, v76
.LBB58_113:
	s_or_b32 exec_lo, exec_lo, s0
	v_add_f64 v[109:110], v[53:54], v[55:56]
	s_delay_alu instid0(VALU_DEP_2)
	v_add3_u32 v59, v72, v63, v69
	v_cmp_eq_u32_e64 s12, 0, v72
	v_cmp_eq_u32_e64 s11, 0, v69
	;; [unrolled: 1-line block ×4, first 2 shown]
	v_add3_u32 v115, v59, v70, v67
	v_cmp_eq_u32_e64 s8, 0, v68
	v_cmp_eq_u32_e64 s7, 0, v65
	;; [unrolled: 1-line block ×9, first 2 shown]
	v_cmp_eq_u32_e32 vcc_lo, 0, v111
	v_mbcnt_lo_u32_b32 v114, -1, 0
	s_cmp_eq_u64 s[22:23], 0
	s_cselect_b32 s14, -1, 0
	s_cmp_lg_u32 s15, 0
	s_cbranch_scc0 .LBB58_176
; %bb.114:
	v_cndmask_b32_e64 v76, v56, v110, s12
	v_cndmask_b32_e64 v75, v55, v109, s12
	v_add3_u32 v59, v115, v68, v65
	s_mov_b32 s13, exec_lo
	s_delay_alu instid0(VALU_DEP_2) | instskip(NEXT) | instid1(VALU_DEP_2)
	v_add_f64 v[75:76], v[49:50], v[75:76]
	v_add3_u32 v59, v59, v66, v61
	s_delay_alu instid0(VALU_DEP_1) | instskip(NEXT) | instid1(VALU_DEP_1)
	v_add3_u32 v59, v59, v62, v113
	v_add3_u32 v59, v59, v60, v112
	s_delay_alu instid0(VALU_DEP_1) | instskip(SKIP_2) | instid1(VALU_DEP_2)
	v_add3_u32 v71, v59, v64, v111
	v_and_b32_e32 v59, 15, v114
	s_waitcnt lgkmcnt(0)
	v_mov_b32_dpp v79, v71 row_shr:1 row_mask:0xf bank_mask:0xf
	v_cndmask_b32_e64 v76, v50, v76, s11
	v_cndmask_b32_e64 v75, v49, v75, s11
	s_delay_alu instid0(VALU_DEP_1) | instskip(NEXT) | instid1(VALU_DEP_1)
	v_add_f64 v[75:76], v[51:52], v[75:76]
	v_cndmask_b32_e64 v76, v52, v76, s10
	s_delay_alu instid0(VALU_DEP_2) | instskip(NEXT) | instid1(VALU_DEP_1)
	v_cndmask_b32_e64 v75, v51, v75, s10
	v_add_f64 v[75:76], v[45:46], v[75:76]
	s_delay_alu instid0(VALU_DEP_1) | instskip(NEXT) | instid1(VALU_DEP_2)
	v_cndmask_b32_e64 v76, v46, v76, s9
	v_cndmask_b32_e64 v75, v45, v75, s9
	s_delay_alu instid0(VALU_DEP_1) | instskip(NEXT) | instid1(VALU_DEP_1)
	v_add_f64 v[75:76], v[47:48], v[75:76]
	v_cndmask_b32_e64 v76, v48, v76, s8
	s_delay_alu instid0(VALU_DEP_2) | instskip(NEXT) | instid1(VALU_DEP_1)
	v_cndmask_b32_e64 v75, v47, v75, s8
	v_add_f64 v[75:76], v[41:42], v[75:76]
	s_delay_alu instid0(VALU_DEP_1) | instskip(NEXT) | instid1(VALU_DEP_2)
	;; [unrolled: 9-line block ×5, first 2 shown]
	v_cndmask_b32_e64 v76, v30, v76, s1
	v_cndmask_b32_e64 v75, v29, v75, s1
	s_delay_alu instid0(VALU_DEP_1) | instskip(NEXT) | instid1(VALU_DEP_1)
	v_add_f64 v[75:76], v[31:32], v[75:76]
	v_cndmask_b32_e64 v76, v32, v76, s0
	s_delay_alu instid0(VALU_DEP_2) | instskip(NEXT) | instid1(VALU_DEP_1)
	v_cndmask_b32_e64 v75, v31, v75, s0
	v_add_f64 v[75:76], v[73:74], v[75:76]
	s_delay_alu instid0(VALU_DEP_1) | instskip(NEXT) | instid1(VALU_DEP_1)
	v_dual_cndmask_b32 v77, v73, v75 :: v_dual_cndmask_b32 v78, v74, v76
	v_mov_b32_dpp v75, v77 row_shr:1 row_mask:0xf bank_mask:0xf
	s_delay_alu instid0(VALU_DEP_2)
	v_mov_b32_dpp v76, v78 row_shr:1 row_mask:0xf bank_mask:0xf
	v_cmpx_ne_u32_e32 0, v59
; %bb.115:
	s_delay_alu instid0(VALU_DEP_2) | instskip(SKIP_1) | instid1(VALU_DEP_2)
	v_add_f64 v[75:76], v[77:78], v[75:76]
	v_cmp_eq_u32_e32 vcc_lo, 0, v71
	v_dual_cndmask_b32 v78, v78, v76 :: v_dual_add_nc_u32 v71, v79, v71
	s_delay_alu instid0(VALU_DEP_3)
	v_cndmask_b32_e32 v77, v77, v75, vcc_lo
; %bb.116:
	s_or_b32 exec_lo, exec_lo, s13
	s_delay_alu instid0(VALU_DEP_2) | instskip(NEXT) | instid1(VALU_DEP_2)
	v_mov_b32_dpp v79, v71 row_shr:2 row_mask:0xf bank_mask:0xf
	v_mov_b32_dpp v75, v77 row_shr:2 row_mask:0xf bank_mask:0xf
	v_mov_b32_dpp v76, v78 row_shr:2 row_mask:0xf bank_mask:0xf
	s_mov_b32 s13, exec_lo
	v_cmpx_lt_u32_e32 1, v59
; %bb.117:
	s_delay_alu instid0(VALU_DEP_2) | instskip(SKIP_1) | instid1(VALU_DEP_2)
	v_add_f64 v[75:76], v[77:78], v[75:76]
	v_cmp_eq_u32_e32 vcc_lo, 0, v71
	v_dual_cndmask_b32 v78, v78, v76 :: v_dual_add_nc_u32 v71, v79, v71
	s_delay_alu instid0(VALU_DEP_3)
	v_cndmask_b32_e32 v77, v77, v75, vcc_lo
; %bb.118:
	s_or_b32 exec_lo, exec_lo, s13
	s_delay_alu instid0(VALU_DEP_2) | instskip(NEXT) | instid1(VALU_DEP_2)
	v_mov_b32_dpp v79, v71 row_shr:4 row_mask:0xf bank_mask:0xf
	v_mov_b32_dpp v75, v77 row_shr:4 row_mask:0xf bank_mask:0xf
	v_mov_b32_dpp v76, v78 row_shr:4 row_mask:0xf bank_mask:0xf
	s_mov_b32 s13, exec_lo
	v_cmpx_lt_u32_e32 3, v59
; %bb.119:
	s_delay_alu instid0(VALU_DEP_2) | instskip(SKIP_1) | instid1(VALU_DEP_2)
	v_add_f64 v[75:76], v[77:78], v[75:76]
	v_cmp_eq_u32_e32 vcc_lo, 0, v71
	v_dual_cndmask_b32 v78, v78, v76 :: v_dual_add_nc_u32 v71, v79, v71
	s_delay_alu instid0(VALU_DEP_3)
	v_cndmask_b32_e32 v77, v77, v75, vcc_lo
; %bb.120:
	s_or_b32 exec_lo, exec_lo, s13
	s_delay_alu instid0(VALU_DEP_2) | instskip(NEXT) | instid1(VALU_DEP_2)
	v_mov_b32_dpp v79, v71 row_shr:8 row_mask:0xf bank_mask:0xf
	v_mov_b32_dpp v75, v77 row_shr:8 row_mask:0xf bank_mask:0xf
	v_mov_b32_dpp v76, v78 row_shr:8 row_mask:0xf bank_mask:0xf
	s_mov_b32 s13, exec_lo
	v_cmpx_lt_u32_e32 7, v59
; %bb.121:
	s_delay_alu instid0(VALU_DEP_2) | instskip(SKIP_1) | instid1(VALU_DEP_2)
	v_add_f64 v[75:76], v[77:78], v[75:76]
	v_cmp_eq_u32_e32 vcc_lo, 0, v71
	v_dual_cndmask_b32 v78, v78, v76 :: v_dual_add_nc_u32 v71, v79, v71
	s_delay_alu instid0(VALU_DEP_3)
	v_cndmask_b32_e32 v77, v77, v75, vcc_lo
; %bb.122:
	s_or_b32 exec_lo, exec_lo, s13
	ds_swizzle_b32 v59, v71 offset:swizzle(BROADCAST,32,15)
	ds_swizzle_b32 v75, v77 offset:swizzle(BROADCAST,32,15)
	ds_swizzle_b32 v76, v78 offset:swizzle(BROADCAST,32,15)
	v_and_b32_e32 v79, 16, v114
	s_mov_b32 s13, exec_lo
	s_delay_alu instid0(VALU_DEP_1)
	v_cmpx_ne_u32_e32 0, v79
	s_cbranch_execz .LBB58_124
; %bb.123:
	s_waitcnt lgkmcnt(0)
	v_add_f64 v[75:76], v[77:78], v[75:76]
	v_cmp_eq_u32_e32 vcc_lo, 0, v71
	s_delay_alu instid0(VALU_DEP_2) | instskip(NEXT) | instid1(VALU_DEP_3)
	v_dual_cndmask_b32 v78, v78, v76 :: v_dual_add_nc_u32 v71, v59, v71
	v_cndmask_b32_e32 v77, v77, v75, vcc_lo
.LBB58_124:
	s_or_b32 exec_lo, exec_lo, s13
	s_waitcnt lgkmcnt(1)
	v_lshrrev_b32_e32 v75, 5, v0
	v_or_b32_e32 v59, 31, v0
	s_mov_b32 s13, exec_lo
	s_delay_alu instid0(VALU_DEP_2) | instskip(NEXT) | instid1(VALU_DEP_2)
	v_lshlrev_b32_e32 v81, 4, v75
	v_cmpx_eq_u32_e64 v59, v0
	s_cbranch_execz .LBB58_126
; %bb.125:
	ds_store_b32 v81, v71 offset:4128
	ds_store_b64 v81, v[77:78] offset:4136
.LBB58_126:
	s_or_b32 exec_lo, exec_lo, s13
	s_delay_alu instid0(SALU_CYCLE_1)
	s_mov_b32 s13, exec_lo
	s_waitcnt lgkmcnt(0)
	s_barrier
	buffer_gl0_inv
	v_cmpx_gt_u32_e32 8, v0
	s_cbranch_execz .LBB58_134
; %bb.127:
	v_lshlrev_b32_e32 v59, 4, v0
	v_and_b32_e32 v83, 7, v114
	s_mov_b32 s22, exec_lo
	ds_load_b32 v82, v59 offset:4128
	ds_load_b64 v[75:76], v59 offset:4136
	s_waitcnt lgkmcnt(1)
	v_mov_b32_dpp v84, v82 row_shr:1 row_mask:0xf bank_mask:0xf
	s_waitcnt lgkmcnt(0)
	v_mov_b32_dpp v79, v75 row_shr:1 row_mask:0xf bank_mask:0xf
	v_mov_b32_dpp v80, v76 row_shr:1 row_mask:0xf bank_mask:0xf
	v_cmpx_ne_u32_e32 0, v83
; %bb.128:
	s_delay_alu instid0(VALU_DEP_2) | instskip(SKIP_1) | instid1(VALU_DEP_2)
	v_add_f64 v[79:80], v[75:76], v[79:80]
	v_cmp_eq_u32_e32 vcc_lo, 0, v82
	v_dual_cndmask_b32 v75, v75, v79 :: v_dual_add_nc_u32 v82, v84, v82
	s_delay_alu instid0(VALU_DEP_3)
	v_cndmask_b32_e32 v76, v76, v80, vcc_lo
; %bb.129:
	s_or_b32 exec_lo, exec_lo, s22
	s_delay_alu instid0(VALU_DEP_2) | instskip(NEXT) | instid1(VALU_DEP_3)
	v_mov_b32_dpp v84, v82 row_shr:2 row_mask:0xf bank_mask:0xf
	v_mov_b32_dpp v79, v75 row_shr:2 row_mask:0xf bank_mask:0xf
	s_delay_alu instid0(VALU_DEP_3)
	v_mov_b32_dpp v80, v76 row_shr:2 row_mask:0xf bank_mask:0xf
	s_mov_b32 s22, exec_lo
	v_cmpx_lt_u32_e32 1, v83
; %bb.130:
	s_delay_alu instid0(VALU_DEP_2) | instskip(SKIP_1) | instid1(VALU_DEP_2)
	v_add_f64 v[79:80], v[75:76], v[79:80]
	v_cmp_eq_u32_e32 vcc_lo, 0, v82
	v_dual_cndmask_b32 v75, v75, v79 :: v_dual_add_nc_u32 v82, v84, v82
	s_delay_alu instid0(VALU_DEP_3)
	v_cndmask_b32_e32 v76, v76, v80, vcc_lo
; %bb.131:
	s_or_b32 exec_lo, exec_lo, s22
	s_delay_alu instid0(VALU_DEP_2) | instskip(NEXT) | instid1(VALU_DEP_3)
	v_mov_b32_dpp v84, v82 row_shr:4 row_mask:0xf bank_mask:0xf
	v_mov_b32_dpp v79, v75 row_shr:4 row_mask:0xf bank_mask:0xf
	s_delay_alu instid0(VALU_DEP_3)
	v_mov_b32_dpp v80, v76 row_shr:4 row_mask:0xf bank_mask:0xf
	s_mov_b32 s22, exec_lo
	v_cmpx_lt_u32_e32 3, v83
; %bb.132:
	s_delay_alu instid0(VALU_DEP_2) | instskip(SKIP_1) | instid1(VALU_DEP_2)
	v_add_f64 v[79:80], v[75:76], v[79:80]
	v_cmp_eq_u32_e32 vcc_lo, 0, v82
	v_dual_cndmask_b32 v75, v75, v79 :: v_dual_add_nc_u32 v82, v84, v82
	s_delay_alu instid0(VALU_DEP_3)
	v_cndmask_b32_e32 v76, v76, v80, vcc_lo
; %bb.133:
	s_or_b32 exec_lo, exec_lo, s22
	ds_store_b32 v59, v82 offset:4128
	ds_store_b64 v59, v[75:76] offset:4136
.LBB58_134:
	s_or_b32 exec_lo, exec_lo, s13
	v_mov_b32_e32 v75, 0
	v_cmp_gt_u32_e32 vcc_lo, 32, v0
	v_dual_mov_b32 v76, 0 :: v_dual_mov_b32 v59, 0
	s_mov_b32 s22, exec_lo
	s_waitcnt lgkmcnt(0)
	s_barrier
	buffer_gl0_inv
	v_cmpx_lt_u32_e32 31, v0
	s_cbranch_execz .LBB58_136
; %bb.135:
	ds_load_b64 v[75:76], v81 offset:4120
	ds_load_b32 v59, v81 offset:4112
	v_cmp_eq_u32_e64 s13, 0, v71
	s_waitcnt lgkmcnt(1)
	v_add_f64 v[79:80], v[77:78], v[75:76]
	s_waitcnt lgkmcnt(0)
	v_add_nc_u32_e32 v71, v59, v71
	s_delay_alu instid0(VALU_DEP_2) | instskip(NEXT) | instid1(VALU_DEP_3)
	v_cndmask_b32_e64 v78, v78, v80, s13
	v_cndmask_b32_e64 v77, v77, v79, s13
.LBB58_136:
	s_or_b32 exec_lo, exec_lo, s22
	v_add_nc_u32_e32 v79, -1, v114
	s_delay_alu instid0(VALU_DEP_1) | instskip(NEXT) | instid1(VALU_DEP_1)
	v_cmp_gt_i32_e64 s13, 0, v79
	v_cndmask_b32_e64 v79, v79, v114, s13
	v_cmp_eq_u32_e64 s13, 0, v114
	s_delay_alu instid0(VALU_DEP_2)
	v_lshlrev_b32_e32 v79, 2, v79
	ds_bpermute_b32 v71, v79, v71
	ds_bpermute_b32 v87, v79, v77
	;; [unrolled: 1-line block ×3, first 2 shown]
	s_and_saveexec_b32 s22, vcc_lo
	s_cbranch_execz .LBB58_175
; %bb.137:
	v_mov_b32_e32 v81, 0
	ds_load_b32 v89, v81 offset:4240
	ds_load_b64 v[77:78], v81 offset:4248
	s_and_saveexec_b32 s23, s13
	s_cbranch_execz .LBB58_139
; %bb.138:
	s_add_i32 s28, s15, 32
	s_mov_b32 s29, 0
	v_dual_mov_b32 v79, s28 :: v_dual_mov_b32 v80, 1
	s_lshl_b64 s[34:35], s[28:29], 4
	s_delay_alu instid0(SALU_CYCLE_1)
	s_add_u32 s28, s16, s34
	s_addc_u32 s29, s17, s35
	s_waitcnt lgkmcnt(1)
	global_store_b32 v81, v89, s[28:29]
	s_waitcnt lgkmcnt(0)
	global_store_b64 v81, v[77:78], s[28:29] offset:8
	s_waitcnt_vscnt null, 0x0
	buffer_gl1_inv
	buffer_gl0_inv
	global_store_b8 v79, v80, s[20:21]
.LBB58_139:
	s_or_b32 exec_lo, exec_lo, s23
	v_xad_u32 v79, v114, -1, s15
	s_mov_b32 s28, 0
	s_mov_b32 s23, exec_lo
	s_delay_alu instid0(VALU_DEP_1)
	v_add_nc_u32_e32 v80, 32, v79
	global_load_u8 v90, v80, s[20:21] glc
	s_waitcnt vmcnt(0)
	v_cmpx_eq_u16_e32 0, v90
	s_cbranch_execz .LBB58_143
; %bb.140:
	v_add_co_u32 v82, s29, s20, v80
	s_delay_alu instid0(VALU_DEP_1)
	v_add_co_ci_u32_e64 v83, null, s21, 0, s29
.LBB58_141:                             ; =>This Inner Loop Header: Depth=1
	global_load_u8 v90, v[82:83], off glc
	s_waitcnt vmcnt(0)
	v_cmp_ne_u16_e32 vcc_lo, 0, v90
	s_or_b32 s28, vcc_lo, s28
	s_delay_alu instid0(SALU_CYCLE_1)
	s_and_not1_b32 exec_lo, exec_lo, s28
	s_cbranch_execnz .LBB58_141
; %bb.142:
	s_or_b32 exec_lo, exec_lo, s28
.LBB58_143:
	s_delay_alu instid0(SALU_CYCLE_1)
	s_or_b32 exec_lo, exec_lo, s23
	v_dual_mov_b32 v82, s17 :: v_dual_mov_b32 v83, s16
	v_cmp_eq_u16_e32 vcc_lo, 1, v90
	v_lshlrev_b64 v[80:81], 4, v[80:81]
	s_waitcnt lgkmcnt(0)
	s_waitcnt_vscnt null, 0x0
	buffer_gl1_inv
	buffer_gl0_inv
	v_lshlrev_b32_e64 v92, v114, -1
	s_mov_b32 s23, exec_lo
	v_cndmask_b32_e32 v83, s18, v83, vcc_lo
	v_cndmask_b32_e32 v82, s19, v82, vcc_lo
	s_delay_alu instid0(VALU_DEP_2) | instskip(NEXT) | instid1(VALU_DEP_2)
	v_add_co_u32 v80, vcc_lo, v83, v80
	v_add_co_ci_u32_e32 v81, vcc_lo, v82, v81, vcc_lo
	v_cmp_ne_u32_e32 vcc_lo, 31, v114
	s_clause 0x1
	global_load_b32 v85, v[80:81], off
	global_load_b64 v[83:84], v[80:81], off offset:8
	v_add_co_ci_u32_e32 v80, vcc_lo, 0, v114, vcc_lo
	v_cmp_eq_u16_e32 vcc_lo, 2, v90
	s_delay_alu instid0(VALU_DEP_2) | instskip(SKIP_1) | instid1(VALU_DEP_1)
	v_lshlrev_b32_e32 v91, 2, v80
	v_and_or_b32 v82, vcc_lo, v92, 0x80000000
	v_ctz_i32_b32_e32 v82, v82
	s_waitcnt vmcnt(1)
	ds_bpermute_b32 v86, v91, v85
	s_waitcnt vmcnt(0)
	ds_bpermute_b32 v80, v91, v83
	ds_bpermute_b32 v81, v91, v84
	v_cmpx_lt_u32_e64 v114, v82
	s_cbranch_execz .LBB58_145
; %bb.144:
	s_waitcnt lgkmcnt(0)
	v_add_f64 v[80:81], v[83:84], v[80:81]
	v_cmp_eq_u32_e32 vcc_lo, 0, v85
	v_add_nc_u32_e32 v85, v86, v85
	s_delay_alu instid0(VALU_DEP_3)
	v_dual_cndmask_b32 v84, v84, v81 :: v_dual_cndmask_b32 v83, v83, v80
.LBB58_145:
	s_or_b32 exec_lo, exec_lo, s23
	v_cmp_gt_u32_e32 vcc_lo, 30, v114
	v_add_nc_u32_e32 v94, 2, v114
	s_mov_b32 s23, exec_lo
	s_waitcnt lgkmcnt(1)
	v_cndmask_b32_e64 v80, 0, 1, vcc_lo
	s_delay_alu instid0(VALU_DEP_1) | instskip(NEXT) | instid1(VALU_DEP_1)
	v_lshlrev_b32_e32 v80, 1, v80
	v_add_lshl_u32 v93, v80, v114, 2
	ds_bpermute_b32 v86, v93, v85
	ds_bpermute_b32 v80, v93, v83
	s_waitcnt lgkmcnt(2)
	ds_bpermute_b32 v81, v93, v84
	v_cmpx_le_u32_e64 v94, v82
	s_cbranch_execz .LBB58_147
; %bb.146:
	s_waitcnt lgkmcnt(0)
	v_add_f64 v[80:81], v[83:84], v[80:81]
	v_cmp_eq_u32_e32 vcc_lo, 0, v85
	v_add_nc_u32_e32 v85, v86, v85
	s_delay_alu instid0(VALU_DEP_3)
	v_dual_cndmask_b32 v84, v84, v81 :: v_dual_cndmask_b32 v83, v83, v80
.LBB58_147:
	s_or_b32 exec_lo, exec_lo, s23
	v_cmp_gt_u32_e32 vcc_lo, 28, v114
	v_add_nc_u32_e32 v96, 4, v114
	s_mov_b32 s23, exec_lo
	s_waitcnt lgkmcnt(1)
	v_cndmask_b32_e64 v80, 0, 1, vcc_lo
	s_delay_alu instid0(VALU_DEP_1) | instskip(NEXT) | instid1(VALU_DEP_1)
	v_lshlrev_b32_e32 v80, 2, v80
	v_add_lshl_u32 v95, v80, v114, 2
	ds_bpermute_b32 v86, v95, v85
	ds_bpermute_b32 v80, v95, v83
	s_waitcnt lgkmcnt(2)
	ds_bpermute_b32 v81, v95, v84
	v_cmpx_le_u32_e64 v96, v82
	;; [unrolled: 23-line block ×4, first 2 shown]
	s_cbranch_execz .LBB58_153
; %bb.152:
	s_waitcnt lgkmcnt(0)
	v_add_f64 v[80:81], v[83:84], v[80:81]
	v_cmp_eq_u32_e32 vcc_lo, 0, v85
	v_add_nc_u32_e32 v85, v86, v85
	s_delay_alu instid0(VALU_DEP_3)
	v_dual_cndmask_b32 v84, v84, v81 :: v_dual_cndmask_b32 v83, v83, v80
.LBB58_153:
	s_or_b32 exec_lo, exec_lo, s23
	s_waitcnt lgkmcnt(1)
	v_mov_b32_e32 v80, 0
	s_branch .LBB58_155
.LBB58_154:                             ;   in Loop: Header=BB58_155 Depth=1
	s_or_b32 exec_lo, exec_lo, s23
	s_delay_alu instid0(VALU_DEP_1) | instskip(SKIP_4) | instid1(VALU_DEP_4)
	v_add_f64 v[83:84], v[81:82], v[83:84]
	v_cmp_eq_u32_e32 vcc_lo, 0, v99
	v_subrev_nc_u32_e32 v79, 32, v79
	s_waitcnt lgkmcnt(1)
	v_add_nc_u32_e32 v85, v102, v99
	v_dual_cndmask_b32 v84, v82, v84 :: v_dual_cndmask_b32 v83, v81, v83
.LBB58_155:                             ; =>This Loop Header: Depth=1
                                        ;     Child Loop BB58_158 Depth 2
	s_waitcnt lgkmcnt(0)
	v_and_b32_e32 v81, 0xff, v90
	s_delay_alu instid0(VALU_DEP_3) | instskip(NEXT) | instid1(VALU_DEP_2)
	v_mov_b32_e32 v99, v85
	v_cmp_ne_u16_e32 vcc_lo, 2, v81
	v_cndmask_b32_e64 v81, 0, 1, vcc_lo
	;;#ASMSTART
	;;#ASMEND
	s_delay_alu instid0(VALU_DEP_1)
	v_cmp_ne_u32_e32 vcc_lo, 0, v81
	v_dual_mov_b32 v81, v83 :: v_dual_mov_b32 v82, v84
	s_cmp_lg_u32 vcc_lo, exec_lo
	s_cbranch_scc1 .LBB58_170
; %bb.156:                              ;   in Loop: Header=BB58_155 Depth=1
	global_load_u8 v90, v79, s[20:21] glc
	s_mov_b32 s23, exec_lo
	s_waitcnt vmcnt(0)
	v_cmpx_eq_u16_e32 0, v90
	s_cbranch_execz .LBB58_160
; %bb.157:                              ;   in Loop: Header=BB58_155 Depth=1
	v_add_co_u32 v83, s28, s20, v79
	s_delay_alu instid0(VALU_DEP_1)
	v_add_co_ci_u32_e64 v84, null, s21, 0, s28
	s_mov_b32 s28, 0
.LBB58_158:                             ;   Parent Loop BB58_155 Depth=1
                                        ; =>  This Inner Loop Header: Depth=2
	global_load_u8 v90, v[83:84], off glc
	s_waitcnt vmcnt(0)
	v_cmp_ne_u16_e32 vcc_lo, 0, v90
	s_or_b32 s28, vcc_lo, s28
	s_delay_alu instid0(SALU_CYCLE_1)
	s_and_not1_b32 exec_lo, exec_lo, s28
	s_cbranch_execnz .LBB58_158
; %bb.159:                              ;   in Loop: Header=BB58_155 Depth=1
	s_or_b32 exec_lo, exec_lo, s28
.LBB58_160:                             ;   in Loop: Header=BB58_155 Depth=1
	s_delay_alu instid0(SALU_CYCLE_1)
	s_or_b32 exec_lo, exec_lo, s23
	v_dual_mov_b32 v85, s17 :: v_dual_mov_b32 v86, s16
	v_cmp_eq_u16_e32 vcc_lo, 1, v90
	v_lshlrev_b64 v[83:84], 4, v[79:80]
	buffer_gl1_inv
	buffer_gl0_inv
	s_mov_b32 s23, exec_lo
	v_cndmask_b32_e32 v86, s18, v86, vcc_lo
	v_cndmask_b32_e32 v85, s19, v85, vcc_lo
	s_delay_alu instid0(VALU_DEP_2) | instskip(NEXT) | instid1(VALU_DEP_2)
	v_add_co_u32 v83, vcc_lo, v86, v83
	v_add_co_ci_u32_e32 v84, vcc_lo, v85, v84, vcc_lo
	v_cmp_eq_u16_e32 vcc_lo, 2, v90
	s_clause 0x1
	global_load_b32 v102, v[83:84], off
	global_load_b64 v[83:84], v[83:84], off offset:8
	v_and_or_b32 v103, vcc_lo, v92, 0x80000000
	s_delay_alu instid0(VALU_DEP_1)
	v_ctz_i32_b32_e32 v103, v103
	s_waitcnt vmcnt(1)
	ds_bpermute_b32 v104, v91, v102
	s_waitcnt vmcnt(0)
	ds_bpermute_b32 v85, v91, v83
	ds_bpermute_b32 v86, v91, v84
	v_cmpx_lt_u32_e64 v114, v103
	s_cbranch_execz .LBB58_162
; %bb.161:                              ;   in Loop: Header=BB58_155 Depth=1
	s_waitcnt lgkmcnt(0)
	v_add_f64 v[85:86], v[83:84], v[85:86]
	v_cmp_eq_u32_e32 vcc_lo, 0, v102
	s_delay_alu instid0(VALU_DEP_2) | instskip(NEXT) | instid1(VALU_DEP_3)
	v_dual_cndmask_b32 v83, v83, v85 :: v_dual_add_nc_u32 v102, v104, v102
	v_cndmask_b32_e32 v84, v84, v86, vcc_lo
.LBB58_162:                             ;   in Loop: Header=BB58_155 Depth=1
	s_or_b32 exec_lo, exec_lo, s23
	s_waitcnt lgkmcnt(2)
	ds_bpermute_b32 v104, v93, v102
	s_waitcnt lgkmcnt(2)
	ds_bpermute_b32 v85, v93, v83
	s_waitcnt lgkmcnt(2)
	ds_bpermute_b32 v86, v93, v84
	s_mov_b32 s23, exec_lo
	v_cmpx_le_u32_e64 v94, v103
	s_cbranch_execz .LBB58_164
; %bb.163:                              ;   in Loop: Header=BB58_155 Depth=1
	s_waitcnt lgkmcnt(0)
	v_add_f64 v[85:86], v[83:84], v[85:86]
	v_cmp_eq_u32_e32 vcc_lo, 0, v102
	s_delay_alu instid0(VALU_DEP_2) | instskip(NEXT) | instid1(VALU_DEP_3)
	v_dual_cndmask_b32 v83, v83, v85 :: v_dual_add_nc_u32 v102, v104, v102
	v_cndmask_b32_e32 v84, v84, v86, vcc_lo
.LBB58_164:                             ;   in Loop: Header=BB58_155 Depth=1
	s_or_b32 exec_lo, exec_lo, s23
	s_waitcnt lgkmcnt(2)
	ds_bpermute_b32 v104, v95, v102
	s_waitcnt lgkmcnt(2)
	ds_bpermute_b32 v85, v95, v83
	s_waitcnt lgkmcnt(2)
	ds_bpermute_b32 v86, v95, v84
	s_mov_b32 s23, exec_lo
	v_cmpx_le_u32_e64 v96, v103
	;; [unrolled: 18-line block ×4, first 2 shown]
	s_cbranch_execz .LBB58_154
; %bb.169:                              ;   in Loop: Header=BB58_155 Depth=1
	s_waitcnt lgkmcnt(0)
	v_add_f64 v[85:86], v[83:84], v[85:86]
	v_cmp_eq_u32_e32 vcc_lo, 0, v102
	s_delay_alu instid0(VALU_DEP_2) | instskip(NEXT) | instid1(VALU_DEP_3)
	v_dual_cndmask_b32 v83, v83, v85 :: v_dual_add_nc_u32 v102, v104, v102
	v_cndmask_b32_e32 v84, v84, v86, vcc_lo
	s_branch .LBB58_154
.LBB58_170:                             ;   in Loop: Header=BB58_155 Depth=1
                                        ; implicit-def: $vgpr83_vgpr84
                                        ; implicit-def: $vgpr85
                                        ; implicit-def: $vgpr90
	s_cbranch_execz .LBB58_155
; %bb.171:
	s_and_saveexec_b32 s16, s13
	s_cbranch_execz .LBB58_173
; %bb.172:
	v_add_f64 v[79:80], v[77:78], v[81:82]
	v_cmp_eq_u32_e32 vcc_lo, 0, v89
	s_mov_b32 s29, 0
	s_add_i32 s28, s15, 32
	v_dual_mov_b32 v84, 0 :: v_dual_add_nc_u32 v83, v99, v89
	s_waitcnt lgkmcnt(0)
	v_dual_mov_b32 v85, 2 :: v_dual_mov_b32 v86, s28
	s_lshl_b64 s[34:35], s[28:29], 4
	s_delay_alu instid0(SALU_CYCLE_1) | instskip(SKIP_1) | instid1(VALU_DEP_4)
	s_add_u32 s28, s18, s34
	s_addc_u32 s29, s19, s35
	v_dual_cndmask_b32 v80, v78, v80 :: v_dual_cndmask_b32 v79, v77, v79
	s_clause 0x1
	global_store_b32 v84, v83, s[28:29]
	global_store_b64 v84, v[79:80], s[28:29] offset:8
	s_waitcnt_vscnt null, 0x0
	buffer_gl1_inv
	buffer_gl0_inv
	global_store_b8 v86, v85, s[20:21]
	ds_store_b32 v84, v89 offset:4096
	ds_store_b64 v84, v[77:78] offset:4104
	ds_store_b32 v84, v99 offset:4112
	ds_store_b64 v84, v[81:82] offset:4120
.LBB58_173:
	s_or_b32 exec_lo, exec_lo, s16
	v_cmp_eq_u32_e32 vcc_lo, 0, v0
	s_and_b32 exec_lo, exec_lo, vcc_lo
	s_cbranch_execz .LBB58_175
; %bb.174:
	v_mov_b32_e32 v77, 0
	ds_store_b32 v77, v99 offset:4240
	ds_store_b64 v77, v[81:82] offset:4248
.LBB58_175:
	s_or_b32 exec_lo, exec_lo, s22
	s_waitcnt lgkmcnt(2)
	v_cndmask_b32_e64 v59, v71, v59, s13
	s_waitcnt lgkmcnt(1)
	v_cndmask_b32_e64 v75, v87, v75, s13
	s_waitcnt lgkmcnt(0)
	s_waitcnt_vscnt null, 0x0
	s_barrier
	buffer_gl0_inv
	v_cmp_eq_u32_e32 vcc_lo, 0, v59
	v_mov_b32_e32 v118, 0
	v_cndmask_b32_e64 v76, v88, v76, s13
	ds_load_b64 v[77:78], v118 offset:4248
	s_waitcnt lgkmcnt(0)
	v_add_f64 v[79:80], v[75:76], v[77:78]
	s_delay_alu instid0(VALU_DEP_1) | instskip(NEXT) | instid1(VALU_DEP_2)
	v_cndmask_b32_e32 v71, v75, v79, vcc_lo
	v_cndmask_b32_e32 v75, v76, v80, vcc_lo
	v_cmp_eq_u32_e32 vcc_lo, 0, v0
	s_delay_alu instid0(VALU_DEP_2) | instskip(NEXT) | instid1(VALU_DEP_4)
	v_cndmask_b32_e32 v100, v75, v78, vcc_lo
	v_cndmask_b32_e32 v99, v71, v77, vcc_lo
	v_cndmask_b32_e64 v119, v59, 0, vcc_lo
	v_cmp_eq_u32_e32 vcc_lo, 0, v63
	ds_load_b32 v71, v118 offset:4240
	s_waitcnt lgkmcnt(0)
	v_add_f64 v[75:76], v[53:54], v[99:100]
	s_barrier
	buffer_gl0_inv
	ds_load_b64 v[97:98], v118 offset:4120
	ds_load_b64 v[116:117], v118 offset:4104
	ds_load_b32 v77, v118 offset:4112
	ds_load_b32 v59, v118 offset:4096
	v_dual_cndmask_b32 v102, v54, v76 :: v_dual_cndmask_b32 v101, v53, v75
	s_waitcnt lgkmcnt(0)
	v_cmp_eq_u32_e32 vcc_lo, 0, v59
	s_delay_alu instid0(VALU_DEP_2) | instskip(NEXT) | instid1(VALU_DEP_1)
	v_add_f64 v[75:76], v[55:56], v[101:102]
	v_cndmask_b32_e64 v106, v56, v76, s12
	s_delay_alu instid0(VALU_DEP_2) | instskip(NEXT) | instid1(VALU_DEP_1)
	v_cndmask_b32_e64 v105, v55, v75, s12
	v_add_f64 v[75:76], v[49:50], v[105:106]
	s_delay_alu instid0(VALU_DEP_1) | instskip(NEXT) | instid1(VALU_DEP_2)
	v_cndmask_b32_e64 v104, v50, v76, s11
	v_cndmask_b32_e64 v103, v49, v75, s11
	s_delay_alu instid0(VALU_DEP_1) | instskip(NEXT) | instid1(VALU_DEP_1)
	v_add_f64 v[75:76], v[51:52], v[103:104]
	v_cndmask_b32_e64 v88, v52, v76, s10
	s_delay_alu instid0(VALU_DEP_2) | instskip(NEXT) | instid1(VALU_DEP_1)
	v_cndmask_b32_e64 v87, v51, v75, s10
	v_add_f64 v[75:76], v[45:46], v[87:88]
	s_delay_alu instid0(VALU_DEP_1) | instskip(NEXT) | instid1(VALU_DEP_2)
	v_cndmask_b32_e64 v90, v46, v76, s9
	v_cndmask_b32_e64 v89, v45, v75, s9
	s_delay_alu instid0(VALU_DEP_1) | instskip(NEXT) | instid1(VALU_DEP_1)
	;; [unrolled: 9-line block ×5, first 2 shown]
	v_add_f64 v[75:76], v[35:36], v[83:84]
	v_cndmask_b32_e64 v86, v36, v76, s2
	s_delay_alu instid0(VALU_DEP_2) | instskip(NEXT) | instid1(VALU_DEP_1)
	v_cndmask_b32_e64 v85, v35, v75, s2
	v_add_f64 v[75:76], v[29:30], v[85:86]
	s_delay_alu instid0(VALU_DEP_1) | instskip(NEXT) | instid1(VALU_DEP_2)
	v_cndmask_b32_e64 v108, v30, v76, s1
	v_cndmask_b32_e64 v107, v29, v75, s1
	v_add_f64 v[75:76], v[97:98], v[116:117]
	v_add_nc_u32_e32 v71, v71, v119
	s_delay_alu instid0(VALU_DEP_3) | instskip(NEXT) | instid1(VALU_DEP_3)
	v_add_f64 v[97:98], v[31:32], v[107:108]
	v_dual_cndmask_b32 v76, v117, v76 :: v_dual_cndmask_b32 v75, v116, v75
	s_delay_alu instid0(VALU_DEP_2) | instskip(NEXT) | instid1(VALU_DEP_3)
	v_cndmask_b32_e64 v98, v32, v98, s0
	v_cndmask_b32_e64 v97, v31, v97, s0
	s_branch .LBB58_204
.LBB58_176:
                                        ; implicit-def: $vgpr59
                                        ; implicit-def: $vgpr75_vgpr76
                                        ; implicit-def: $vgpr77
                                        ; implicit-def: $vgpr99_vgpr100
                                        ; implicit-def: $vgpr101_vgpr102
                                        ; implicit-def: $vgpr105_vgpr106
                                        ; implicit-def: $vgpr103_vgpr104
                                        ; implicit-def: $vgpr87_vgpr88
                                        ; implicit-def: $vgpr89_vgpr90
                                        ; implicit-def: $vgpr91_vgpr92
                                        ; implicit-def: $vgpr95_vgpr96
                                        ; implicit-def: $vgpr93_vgpr94
                                        ; implicit-def: $vgpr79_vgpr80
                                        ; implicit-def: $vgpr81_vgpr82
                                        ; implicit-def: $vgpr83_vgpr84
                                        ; implicit-def: $vgpr85_vgpr86
                                        ; implicit-def: $vgpr107_vgpr108
                                        ; implicit-def: $vgpr97_vgpr98
                                        ; implicit-def: $vgpr71
	s_cbranch_execz .LBB58_204
; %bb.177:
	s_and_b32 s0, s14, exec_lo
	v_dual_mov_b32 v78, v54 :: v_dual_mov_b32 v77, v53
	s_cselect_b32 s1, 0, s25
	s_cselect_b32 s0, 0, s24
	s_delay_alu instid0(SALU_CYCLE_1)
	s_cmp_eq_u64 s[0:1], 0
	s_cbranch_scc1 .LBB58_179
; %bb.178:
	v_mov_b32_e32 v59, 0
	global_load_b64 v[77:78], v59, s[0:1]
.LBB58_179:
	v_cmp_eq_u32_e32 vcc_lo, 0, v72
	v_cmp_eq_u32_e64 s0, 0, v69
	v_cmp_eq_u32_e64 s1, 0, v70
	;; [unrolled: 1-line block ×4, first 2 shown]
	v_dual_cndmask_b32 v76, v56, v110 :: v_dual_cndmask_b32 v75, v55, v109
	v_cmp_eq_u32_e64 s4, 0, v65
	v_cmp_eq_u32_e64 s5, 0, v66
	;; [unrolled: 1-line block ×4, first 2 shown]
	v_add_f64 v[75:76], v[49:50], v[75:76]
	v_cmp_eq_u32_e64 s10, 0, v113
	v_cmp_eq_u32_e64 s11, 0, v60
	;; [unrolled: 1-line block ×4, first 2 shown]
	v_add3_u32 v59, v115, v68, v65
	v_cmp_eq_u32_e64 s12, 0, v111
	v_and_b32_e32 v71, 15, v114
	s_mov_b32 s13, exec_lo
	s_delay_alu instid0(VALU_DEP_3) | instskip(NEXT) | instid1(VALU_DEP_1)
	v_add3_u32 v59, v59, v66, v61
	v_add3_u32 v59, v59, v62, v113
	s_delay_alu instid0(VALU_DEP_1) | instskip(NEXT) | instid1(VALU_DEP_1)
	v_add3_u32 v59, v59, v60, v112
	v_add3_u32 v59, v59, v64, v111
	s_waitcnt lgkmcnt(0)
	s_delay_alu instid0(VALU_DEP_1) | instskip(SKIP_2) | instid1(VALU_DEP_1)
	v_mov_b32_dpp v79, v59 row_shr:1 row_mask:0xf bank_mask:0xf
	v_cndmask_b32_e64 v76, v50, v76, s0
	v_cndmask_b32_e64 v75, v49, v75, s0
	v_add_f64 v[75:76], v[51:52], v[75:76]
	s_delay_alu instid0(VALU_DEP_1) | instskip(NEXT) | instid1(VALU_DEP_2)
	v_cndmask_b32_e64 v76, v52, v76, s1
	v_cndmask_b32_e64 v75, v51, v75, s1
	s_delay_alu instid0(VALU_DEP_1) | instskip(NEXT) | instid1(VALU_DEP_1)
	v_add_f64 v[75:76], v[45:46], v[75:76]
	v_cndmask_b32_e64 v76, v46, v76, s2
	s_delay_alu instid0(VALU_DEP_2) | instskip(NEXT) | instid1(VALU_DEP_1)
	v_cndmask_b32_e64 v75, v45, v75, s2
	v_add_f64 v[75:76], v[47:48], v[75:76]
	s_delay_alu instid0(VALU_DEP_1) | instskip(NEXT) | instid1(VALU_DEP_2)
	v_cndmask_b32_e64 v76, v48, v76, s3
	v_cndmask_b32_e64 v75, v47, v75, s3
	s_delay_alu instid0(VALU_DEP_1) | instskip(NEXT) | instid1(VALU_DEP_1)
	v_add_f64 v[75:76], v[41:42], v[75:76]
	v_cndmask_b32_e64 v76, v42, v76, s4
	s_delay_alu instid0(VALU_DEP_2) | instskip(NEXT) | instid1(VALU_DEP_1)
	;; [unrolled: 9-line block ×5, first 2 shown]
	v_cndmask_b32_e64 v75, v29, v75, s8
	v_add_f64 v[75:76], v[31:32], v[75:76]
	s_delay_alu instid0(VALU_DEP_1) | instskip(NEXT) | instid1(VALU_DEP_2)
	v_cndmask_b32_e64 v76, v32, v76, s7
	v_cndmask_b32_e64 v75, v31, v75, s7
	s_delay_alu instid0(VALU_DEP_1) | instskip(NEXT) | instid1(VALU_DEP_1)
	v_add_f64 v[75:76], v[73:74], v[75:76]
	v_cndmask_b32_e64 v74, v74, v76, s12
	s_delay_alu instid0(VALU_DEP_2) | instskip(NEXT) | instid1(VALU_DEP_2)
	v_cndmask_b32_e64 v73, v73, v75, s12
	v_mov_b32_dpp v76, v74 row_shr:1 row_mask:0xf bank_mask:0xf
	s_delay_alu instid0(VALU_DEP_2)
	v_mov_b32_dpp v75, v73 row_shr:1 row_mask:0xf bank_mask:0xf
	v_cmpx_ne_u32_e32 0, v71
; %bb.180:
	s_delay_alu instid0(VALU_DEP_2) | instskip(SKIP_2) | instid1(VALU_DEP_2)
	v_add_f64 v[75:76], v[73:74], v[75:76]
	v_cmp_eq_u32_e64 s12, 0, v59
	v_add_nc_u32_e32 v59, v79, v59
	v_cndmask_b32_e64 v74, v74, v76, s12
	s_delay_alu instid0(VALU_DEP_4)
	v_cndmask_b32_e64 v73, v73, v75, s12
; %bb.181:
	s_or_b32 exec_lo, exec_lo, s13
	s_delay_alu instid0(VALU_DEP_3) | instskip(NEXT) | instid1(VALU_DEP_2)
	v_mov_b32_dpp v79, v59 row_shr:2 row_mask:0xf bank_mask:0xf
	v_mov_b32_dpp v75, v73 row_shr:2 row_mask:0xf bank_mask:0xf
	v_mov_b32_dpp v76, v74 row_shr:2 row_mask:0xf bank_mask:0xf
	s_mov_b32 s13, exec_lo
	v_cmpx_lt_u32_e32 1, v71
; %bb.182:
	s_delay_alu instid0(VALU_DEP_2) | instskip(SKIP_2) | instid1(VALU_DEP_2)
	v_add_f64 v[75:76], v[73:74], v[75:76]
	v_cmp_eq_u32_e64 s12, 0, v59
	v_add_nc_u32_e32 v59, v79, v59
	v_cndmask_b32_e64 v74, v74, v76, s12
	s_delay_alu instid0(VALU_DEP_4)
	v_cndmask_b32_e64 v73, v73, v75, s12
; %bb.183:
	s_or_b32 exec_lo, exec_lo, s13
	s_delay_alu instid0(VALU_DEP_3) | instskip(NEXT) | instid1(VALU_DEP_2)
	v_mov_b32_dpp v79, v59 row_shr:4 row_mask:0xf bank_mask:0xf
	v_mov_b32_dpp v75, v73 row_shr:4 row_mask:0xf bank_mask:0xf
	v_mov_b32_dpp v76, v74 row_shr:4 row_mask:0xf bank_mask:0xf
	s_mov_b32 s13, exec_lo
	v_cmpx_lt_u32_e32 3, v71
	;; [unrolled: 16-line block ×3, first 2 shown]
; %bb.186:
	s_delay_alu instid0(VALU_DEP_2) | instskip(SKIP_2) | instid1(VALU_DEP_2)
	v_add_f64 v[75:76], v[73:74], v[75:76]
	v_cmp_eq_u32_e64 s12, 0, v59
	v_add_nc_u32_e32 v59, v79, v59
	v_cndmask_b32_e64 v74, v74, v76, s12
	s_delay_alu instid0(VALU_DEP_4)
	v_cndmask_b32_e64 v73, v73, v75, s12
; %bb.187:
	s_or_b32 exec_lo, exec_lo, s13
	ds_swizzle_b32 v71, v59 offset:swizzle(BROADCAST,32,15)
	ds_swizzle_b32 v75, v73 offset:swizzle(BROADCAST,32,15)
	;; [unrolled: 1-line block ×3, first 2 shown]
	v_and_b32_e32 v79, 16, v114
	s_mov_b32 s13, exec_lo
	s_delay_alu instid0(VALU_DEP_1)
	v_cmpx_ne_u32_e32 0, v79
	s_cbranch_execz .LBB58_189
; %bb.188:
	s_waitcnt lgkmcnt(0)
	v_add_f64 v[75:76], v[73:74], v[75:76]
	v_cmp_eq_u32_e64 s12, 0, v59
	v_add_nc_u32_e32 v59, v71, v59
	s_delay_alu instid0(VALU_DEP_2) | instskip(NEXT) | instid1(VALU_DEP_4)
	v_cndmask_b32_e64 v74, v74, v76, s12
	v_cndmask_b32_e64 v73, v73, v75, s12
.LBB58_189:
	s_or_b32 exec_lo, exec_lo, s13
	s_waitcnt lgkmcnt(2)
	v_or_b32_e32 v71, 31, v0
	s_waitcnt lgkmcnt(1)
	v_lshrrev_b32_e32 v75, 5, v0
	s_delay_alu instid0(VALU_DEP_2) | instskip(NEXT) | instid1(VALU_DEP_2)
	v_cmp_eq_u32_e64 s12, v71, v0
	v_lshlrev_b32_e32 v71, 4, v75
	s_delay_alu instid0(VALU_DEP_2)
	s_and_saveexec_b32 s13, s12
	s_cbranch_execz .LBB58_191
; %bb.190:
	ds_store_b32 v71, v59 offset:4128
	ds_store_b64 v71, v[73:74] offset:4136
.LBB58_191:
	s_or_b32 exec_lo, exec_lo, s13
	s_delay_alu instid0(SALU_CYCLE_1)
	s_mov_b32 s13, exec_lo
	s_waitcnt vmcnt(0) lgkmcnt(0)
	s_barrier
	buffer_gl0_inv
	v_cmpx_gt_u32_e32 8, v0
	s_cbranch_execz .LBB58_199
; %bb.192:
	v_lshlrev_b32_e32 v81, 4, v0
	v_and_b32_e32 v83, 7, v114
	s_mov_b32 s15, exec_lo
	ds_load_b32 v82, v81 offset:4128
	ds_load_b64 v[75:76], v81 offset:4136
	s_waitcnt lgkmcnt(1)
	v_mov_b32_dpp v84, v82 row_shr:1 row_mask:0xf bank_mask:0xf
	s_waitcnt lgkmcnt(0)
	v_mov_b32_dpp v79, v75 row_shr:1 row_mask:0xf bank_mask:0xf
	v_mov_b32_dpp v80, v76 row_shr:1 row_mask:0xf bank_mask:0xf
	v_cmpx_ne_u32_e32 0, v83
; %bb.193:
	s_delay_alu instid0(VALU_DEP_2) | instskip(SKIP_2) | instid1(VALU_DEP_2)
	v_add_f64 v[79:80], v[75:76], v[79:80]
	v_cmp_eq_u32_e64 s12, 0, v82
	v_add_nc_u32_e32 v82, v84, v82
	v_cndmask_b32_e64 v76, v76, v80, s12
	s_delay_alu instid0(VALU_DEP_4)
	v_cndmask_b32_e64 v75, v75, v79, s12
; %bb.194:
	s_or_b32 exec_lo, exec_lo, s15
	s_delay_alu instid0(VALU_DEP_3) | instskip(NEXT) | instid1(VALU_DEP_2)
	v_mov_b32_dpp v84, v82 row_shr:2 row_mask:0xf bank_mask:0xf
	v_mov_b32_dpp v79, v75 row_shr:2 row_mask:0xf bank_mask:0xf
	;; [unrolled: 1-line block ×3, first 2 shown]
	s_mov_b32 s15, exec_lo
	v_cmpx_lt_u32_e32 1, v83
; %bb.195:
	s_delay_alu instid0(VALU_DEP_2) | instskip(SKIP_2) | instid1(VALU_DEP_2)
	v_add_f64 v[79:80], v[75:76], v[79:80]
	v_cmp_eq_u32_e64 s12, 0, v82
	v_add_nc_u32_e32 v82, v84, v82
	v_cndmask_b32_e64 v76, v76, v80, s12
	s_delay_alu instid0(VALU_DEP_4)
	v_cndmask_b32_e64 v75, v75, v79, s12
; %bb.196:
	s_or_b32 exec_lo, exec_lo, s15
	s_delay_alu instid0(VALU_DEP_3) | instskip(NEXT) | instid1(VALU_DEP_2)
	v_mov_b32_dpp v84, v82 row_shr:4 row_mask:0xf bank_mask:0xf
	v_mov_b32_dpp v79, v75 row_shr:4 row_mask:0xf bank_mask:0xf
	;; [unrolled: 1-line block ×3, first 2 shown]
	s_mov_b32 s15, exec_lo
	v_cmpx_lt_u32_e32 3, v83
; %bb.197:
	s_delay_alu instid0(VALU_DEP_2) | instskip(SKIP_2) | instid1(VALU_DEP_2)
	v_add_f64 v[79:80], v[75:76], v[79:80]
	v_cmp_eq_u32_e64 s12, 0, v82
	v_add_nc_u32_e32 v82, v84, v82
	v_cndmask_b32_e64 v76, v76, v80, s12
	s_delay_alu instid0(VALU_DEP_4)
	v_cndmask_b32_e64 v75, v75, v79, s12
; %bb.198:
	s_or_b32 exec_lo, exec_lo, s15
	ds_store_b32 v81, v82 offset:4128
	ds_store_b64 v81, v[75:76] offset:4136
.LBB58_199:
	s_or_b32 exec_lo, exec_lo, s13
	v_mov_b32_e32 v75, v77
	v_dual_mov_b32 v97, 0 :: v_dual_mov_b32 v76, v78
	v_mov_b32_e32 v79, 0
	s_mov_b32 s13, exec_lo
	s_waitcnt lgkmcnt(0)
	s_barrier
	buffer_gl0_inv
	v_cmpx_lt_u32_e32 31, v0
	s_cbranch_execz .LBB58_201
; %bb.200:
	ds_load_b64 v[75:76], v71 offset:4120
	ds_load_b32 v79, v71 offset:4112
	s_waitcnt lgkmcnt(1)
	v_add_f64 v[80:81], v[77:78], v[75:76]
	s_waitcnt lgkmcnt(0)
	v_cmp_eq_u32_e64 s12, 0, v79
	s_delay_alu instid0(VALU_DEP_1) | instskip(NEXT) | instid1(VALU_DEP_3)
	v_cndmask_b32_e64 v76, v76, v81, s12
	v_cndmask_b32_e64 v75, v75, v80, s12
.LBB58_201:
	s_or_b32 exec_lo, exec_lo, s13
	s_delay_alu instid0(VALU_DEP_1) | instskip(SKIP_2) | instid1(VALU_DEP_2)
	v_add_f64 v[80:81], v[73:74], v[75:76]
	v_add_nc_u32_e32 v71, -1, v114
	v_cmp_eq_u32_e64 s13, 0, v63
	v_cmp_gt_i32_e64 s12, 0, v71
	s_delay_alu instid0(VALU_DEP_1) | instskip(SKIP_2) | instid1(VALU_DEP_3)
	v_cndmask_b32_e64 v71, v71, v114, s12
	v_cmp_eq_u32_e64 s12, 0, v59
	v_add_nc_u32_e32 v59, v79, v59
	v_lshlrev_b32_e32 v71, 2, v71
	ds_bpermute_b32 v59, v71, v59
	v_cndmask_b32_e64 v74, v74, v81, s12
	v_cndmask_b32_e64 v73, v73, v80, s12
	v_cmp_eq_u32_e64 s12, 0, v114
	ds_bpermute_b32 v74, v71, v74
	ds_bpermute_b32 v73, v71, v73
	s_waitcnt lgkmcnt(2)
	v_cndmask_b32_e64 v71, v59, v79, s12
	ds_load_b32 v59, v97 offset:4240
	s_waitcnt lgkmcnt(2)
	v_cndmask_b32_e64 v100, v74, v76, s12
	s_waitcnt lgkmcnt(1)
	v_cndmask_b32_e64 v99, v73, v75, s12
	v_cmp_eq_u32_e64 s12, 0, v0
	s_delay_alu instid0(VALU_DEP_1) | instskip(NEXT) | instid1(VALU_DEP_3)
	v_cndmask_b32_e64 v74, v100, v78, s12
	v_cndmask_b32_e64 v73, v99, v77, s12
	s_delay_alu instid0(VALU_DEP_1) | instskip(NEXT) | instid1(VALU_DEP_1)
	v_add_f64 v[73:74], v[53:54], v[73:74]
	v_cndmask_b32_e64 v102, v54, v74, s13
	s_delay_alu instid0(VALU_DEP_2) | instskip(NEXT) | instid1(VALU_DEP_1)
	v_cndmask_b32_e64 v101, v53, v73, s13
	v_add_f64 v[53:54], v[55:56], v[101:102]
	s_delay_alu instid0(VALU_DEP_1) | instskip(SKIP_2) | instid1(VALU_DEP_2)
	v_dual_cndmask_b32 v106, v56, v54 :: v_dual_cndmask_b32 v105, v55, v53
	s_waitcnt lgkmcnt(0)
	v_cmp_eq_u32_e32 vcc_lo, 0, v59
	v_add_f64 v[53:54], v[49:50], v[105:106]
	s_delay_alu instid0(VALU_DEP_1) | instskip(NEXT) | instid1(VALU_DEP_2)
	v_cndmask_b32_e64 v104, v50, v54, s0
	v_cndmask_b32_e64 v103, v49, v53, s0
	s_delay_alu instid0(VALU_DEP_1) | instskip(NEXT) | instid1(VALU_DEP_1)
	v_add_f64 v[49:50], v[51:52], v[103:104]
	v_cndmask_b32_e64 v88, v52, v50, s1
	s_delay_alu instid0(VALU_DEP_2) | instskip(NEXT) | instid1(VALU_DEP_1)
	v_cndmask_b32_e64 v87, v51, v49, s1
	v_add_f64 v[49:50], v[45:46], v[87:88]
	s_delay_alu instid0(VALU_DEP_1) | instskip(NEXT) | instid1(VALU_DEP_2)
	v_cndmask_b32_e64 v90, v46, v50, s2
	v_cndmask_b32_e64 v89, v45, v49, s2
	s_delay_alu instid0(VALU_DEP_1) | instskip(NEXT) | instid1(VALU_DEP_1)
	v_add_f64 v[45:46], v[47:48], v[89:90]
	v_cndmask_b32_e64 v92, v48, v46, s3
	s_delay_alu instid0(VALU_DEP_2) | instskip(NEXT) | instid1(VALU_DEP_1)
	v_cndmask_b32_e64 v91, v47, v45, s3
	;; [unrolled: 9-line block ×4, first 2 shown]
	v_add_f64 v[37:38], v[33:34], v[81:82]
	s_delay_alu instid0(VALU_DEP_1) | instskip(NEXT) | instid1(VALU_DEP_2)
	v_cndmask_b32_e64 v84, v34, v38, s10
	v_cndmask_b32_e64 v83, v33, v37, s10
	s_delay_alu instid0(VALU_DEP_1) | instskip(NEXT) | instid1(VALU_DEP_1)
	v_add_f64 v[33:34], v[35:36], v[83:84]
	v_cndmask_b32_e64 v86, v36, v34, s11
	s_delay_alu instid0(VALU_DEP_2) | instskip(SKIP_2) | instid1(VALU_DEP_1)
	v_cndmask_b32_e64 v85, v35, v33, s11
	ds_load_b64 v[35:36], v97 offset:4248
	v_add_f64 v[33:34], v[29:30], v[85:86]
	v_cndmask_b32_e64 v108, v30, v34, s8
	s_delay_alu instid0(VALU_DEP_2) | instskip(SKIP_2) | instid1(VALU_DEP_2)
	v_cndmask_b32_e64 v107, v29, v33, s8
	s_waitcnt lgkmcnt(0)
	v_add_f64 v[29:30], v[77:78], v[35:36]
	v_add_f64 v[33:34], v[31:32], v[107:108]
	s_delay_alu instid0(VALU_DEP_2) | instskip(NEXT) | instid1(VALU_DEP_2)
	v_dual_cndmask_b32 v76, v36, v30 :: v_dual_cndmask_b32 v75, v35, v29
	v_cndmask_b32_e64 v98, v32, v34, s7
	s_delay_alu instid0(VALU_DEP_3)
	v_cndmask_b32_e64 v97, v31, v33, s7
	s_and_saveexec_b32 s0, s12
	s_cbranch_execz .LBB58_203
; %bb.202:
	v_dual_mov_b32 v71, 0 :: v_dual_mov_b32 v100, v78
	v_mov_b32_e32 v29, 2
	v_mov_b32_e32 v99, v77
	s_clause 0x1
	global_store_b32 v71, v59, s[18:19] offset:512
	global_store_b64 v71, v[75:76], s[18:19] offset:520
	s_waitcnt_vscnt null, 0x0
	buffer_gl1_inv
	buffer_gl0_inv
	global_store_b8 v71, v29, s[20:21] offset:32
.LBB58_203:
	s_or_b32 exec_lo, exec_lo, s0
	v_mov_b32_e32 v77, 0
.LBB58_204:
	v_mov_b32_e32 v29, 0
	s_and_b32 s0, s14, exec_lo
	v_mov_b32_e32 v30, 0
	s_cselect_b32 s1, 0, s31
	s_cselect_b32 s0, 0, s30
	s_waitcnt lgkmcnt(0)
	s_waitcnt_vscnt null, 0x0
	s_cmp_eq_u64 s[0:1], 0
	s_barrier
	buffer_gl0_inv
	s_cbranch_scc1 .LBB58_206
; %bb.205:
	v_mov_b32_e32 v29, 0
	global_load_b64 v[29:30], v29, s[0:1]
.LBB58_206:
	v_cmp_eq_u32_e32 vcc_lo, 0, v63
	v_add_nc_u32_e32 v46, v71, v63
	v_cmp_ne_u32_e64 s12, 0, v63
	v_cmp_ne_u32_e64 s11, 0, v72
	;; [unrolled: 1-line block ×3, first 2 shown]
	v_cndmask_b32_e64 v31, 1, 2, vcc_lo
	v_cmp_eq_u32_e32 vcc_lo, 0, v72
	v_add_nc_u32_e32 v48, v46, v72
	v_cmp_ne_u32_e64 s8, 0, v70
	v_cmp_ne_u32_e64 s14, 0, v67
	;; [unrolled: 1-line block ×3, first 2 shown]
	v_cndmask_b32_e64 v32, 1, 2, vcc_lo
	v_cmp_eq_u32_e32 vcc_lo, 0, v69
	v_add_nc_u32_e32 v47, v48, v69
	v_cmp_ne_u32_e64 s10, 0, v65
	s_delay_alu instid0(VALU_DEP_4)
	v_dual_mov_b32 v78, 0 :: v_dual_and_b32 v31, v32, v31
	v_cndmask_b32_e64 v33, 1, 2, vcc_lo
	v_cmp_eq_u32_e32 vcc_lo, 0, v70
	v_add_nc_u32_e32 v45, v47, v70
	v_cmp_ne_u32_e64 s7, 0, v66
	v_cmp_ne_u32_e64 s6, 0, v61
	v_and_b32_e32 v33, v31, v33
	v_cndmask_b32_e64 v34, 1, 2, vcc_lo
	v_cmp_eq_u32_e32 vcc_lo, 0, v67
	v_add_nc_u32_e32 v44, v45, v67
	s_waitcnt vmcnt(0)
	v_lshlrev_b64 v[31:32], 3, v[29:30]
	v_cmp_ne_u32_e64 s5, 0, v62
	v_and_b32_e32 v33, v33, v34
	v_cndmask_b32_e64 v35, 1, 2, vcc_lo
	v_cmp_eq_u32_e32 vcc_lo, 0, v68
	v_add_nc_u32_e32 v43, v44, v68
	v_cmp_ne_u32_e64 s4, 0, v113
	v_cmp_ne_u32_e64 s3, 0, v60
	v_and_b32_e32 v33, v33, v35
	v_cndmask_b32_e64 v34, 1, 2, vcc_lo
	v_cmp_eq_u32_e32 vcc_lo, 0, v65
	v_add_nc_u32_e32 v42, v43, v65
	v_cmp_ne_u32_e64 s2, 0, v112
	;; [unrolled: 6-line block ×3, first 2 shown]
	s_mov_b32 s16, -1
	v_and_b32_e32 v33, v33, v35
	v_cndmask_b32_e64 v34, 1, 2, vcc_lo
	v_cmp_eq_u32_e32 vcc_lo, 0, v61
	v_add_nc_u32_e32 v40, v41, v61
	s_delay_alu instid0(VALU_DEP_3) | instskip(SKIP_2) | instid1(VALU_DEP_4)
	v_and_b32_e32 v33, v33, v34
	v_cndmask_b32_e64 v35, 1, 2, vcc_lo
	v_cmp_eq_u32_e32 vcc_lo, 0, v62
	v_add_nc_u32_e32 v39, v40, v62
	s_delay_alu instid0(VALU_DEP_3) | instskip(SKIP_2) | instid1(VALU_DEP_4)
	v_and_b32_e32 v33, v33, v35
	v_cndmask_b32_e64 v34, 1, 2, vcc_lo
	v_cmp_eq_u32_e32 vcc_lo, 0, v113
	v_add_nc_u32_e32 v38, v39, v113
	s_delay_alu instid0(VALU_DEP_3) | instskip(SKIP_3) | instid1(VALU_DEP_3)
	v_and_b32_e32 v37, v33, v34
	v_cndmask_b32_e64 v35, 1, 2, vcc_lo
	v_cmp_eq_u32_e32 vcc_lo, 0, v60
	v_lshlrev_b64 v[33:34], 3, v[77:78]
	v_and_b32_e32 v35, v37, v35
	v_cndmask_b32_e64 v36, 1, 2, vcc_lo
	v_cmp_eq_u32_e32 vcc_lo, 0, v112
	v_add_nc_u32_e32 v37, v38, v60
	s_delay_alu instid0(VALU_DEP_3) | instskip(SKIP_3) | instid1(VALU_DEP_3)
	v_and_b32_e32 v52, v35, v36
	v_cndmask_b32_e64 v51, 1, 2, vcc_lo
	v_add_co_u32 v49, vcc_lo, s42, v31
	v_add_co_ci_u32_e32 v50, vcc_lo, s43, v32, vcc_lo
	v_and_b32_e32 v51, v52, v51
	s_delay_alu instid0(VALU_DEP_3) | instskip(NEXT) | instid1(VALU_DEP_3)
	v_add_co_u32 v49, vcc_lo, v49, v33
	v_add_co_ci_u32_e32 v50, vcc_lo, v50, v34, vcc_lo
	v_cmp_eq_u32_e32 vcc_lo, 0, v64
	v_add_nc_u32_e32 v36, v37, v112
	v_cndmask_b32_e64 v52, 1, 2, vcc_lo
	v_cmp_eq_u32_e32 vcc_lo, 0, v111
	s_delay_alu instid0(VALU_DEP_3) | instskip(NEXT) | instid1(VALU_DEP_3)
	v_add_nc_u32_e32 v35, v36, v64
	v_and_b32_e32 v51, v51, v52
	v_cndmask_b32_e64 v52, 1, 2, vcc_lo
	v_cmp_gt_u32_e32 vcc_lo, 0x100, v59
	s_delay_alu instid0(VALU_DEP_2) | instskip(NEXT) | instid1(VALU_DEP_1)
	v_and_b32_e32 v51, v51, v52
	v_cmp_gt_i16_e64 s15, 2, v51
	s_cbranch_vccz .LBB58_213
; %bb.207:
	s_delay_alu instid0(VALU_DEP_1)
	s_and_saveexec_b32 s16, s15
	s_cbranch_execz .LBB58_212
; %bb.208:
	s_mov_b32 s17, 0
	s_mov_b32 s15, exec_lo
	v_cmpx_ne_u16_e32 1, v51
	s_xor_b32 s15, exec_lo, s15
	s_cbranch_execnz .LBB58_278
; %bb.209:
	s_and_not1_saveexec_b32 s15, s15
	s_cbranch_execnz .LBB58_294
.LBB58_210:
	s_or_b32 exec_lo, exec_lo, s15
	s_delay_alu instid0(SALU_CYCLE_1)
	s_and_b32 exec_lo, exec_lo, s17
	s_cbranch_execz .LBB58_212
.LBB58_211:
	v_sub_nc_u32_e32 v52, v35, v77
	v_mov_b32_e32 v53, 0
	s_delay_alu instid0(VALU_DEP_1) | instskip(NEXT) | instid1(VALU_DEP_1)
	v_lshlrev_b64 v[52:53], 3, v[52:53]
	v_add_co_u32 v52, vcc_lo, v49, v52
	s_delay_alu instid0(VALU_DEP_2)
	v_add_co_ci_u32_e32 v53, vcc_lo, v50, v53, vcc_lo
	global_store_b64 v[52:53], v[57:58], off
.LBB58_212:
	s_or_b32 exec_lo, exec_lo, s16
	s_mov_b32 s16, 0
.LBB58_213:
	s_delay_alu instid0(SALU_CYCLE_1)
	s_and_b32 vcc_lo, exec_lo, s16
	s_cbranch_vccz .LBB58_223
; %bb.214:
	s_mov_b32 s15, exec_lo
	v_cmpx_gt_i16_e32 2, v51
	s_cbranch_execz .LBB58_219
; %bb.215:
	s_mov_b32 s17, 0
	s_mov_b32 s16, exec_lo
	v_cmpx_ne_u16_e32 1, v51
	s_xor_b32 s16, exec_lo, s16
	s_cbranch_execnz .LBB58_295
; %bb.216:
	s_and_not1_saveexec_b32 s0, s16
	s_cbranch_execnz .LBB58_311
.LBB58_217:
	s_or_b32 exec_lo, exec_lo, s0
	s_delay_alu instid0(SALU_CYCLE_1)
	s_and_b32 exec_lo, exec_lo, s17
	s_cbranch_execz .LBB58_219
.LBB58_218:
	v_sub_nc_u32_e32 v1, v35, v77
	s_delay_alu instid0(VALU_DEP_1)
	v_lshlrev_b32_e32 v1, 3, v1
	ds_store_b64 v1, v[57:58]
.LBB58_219:
	s_or_b32 exec_lo, exec_lo, s15
	s_delay_alu instid0(SALU_CYCLE_1)
	s_mov_b32 s1, exec_lo
	s_waitcnt lgkmcnt(0)
	s_waitcnt_vscnt null, 0x0
	s_barrier
	buffer_gl0_inv
	v_cmpx_lt_u32_e64 v0, v59
	s_cbranch_execz .LBB58_222
; %bb.220:
	v_dual_mov_b32 v2, 0 :: v_dual_lshlrev_b32 v3, 3, v0
	v_mov_b32_e32 v1, v0
	s_mov_b32 s2, 0
	.p2align	6
.LBB58_221:                             ; =>This Inner Loop Header: Depth=1
	ds_load_b64 v[4:5], v3
	v_lshlrev_b64 v[6:7], 3, v[1:2]
	v_add_nc_u32_e32 v1, 0x100, v1
	v_add_nc_u32_e32 v3, 0x800, v3
	s_delay_alu instid0(VALU_DEP_2) | instskip(NEXT) | instid1(VALU_DEP_4)
	v_cmp_ge_u32_e32 vcc_lo, v1, v59
	v_add_co_u32 v6, s0, v49, v6
	s_delay_alu instid0(VALU_DEP_1)
	v_add_co_ci_u32_e64 v7, s0, v50, v7, s0
	s_or_b32 s2, vcc_lo, s2
	s_waitcnt lgkmcnt(0)
	global_store_b64 v[6:7], v[4:5], off
	s_and_not1_b32 exec_lo, exec_lo, s2
	s_cbranch_execnz .LBB58_221
.LBB58_222:
	s_or_b32 exec_lo, exec_lo, s1
.LBB58_223:
	s_cmpk_lg_i32 s27, 0xf00
	v_cmp_eq_u32_e32 vcc_lo, 0, v0
	s_cselect_b32 s0, -1, 0
	v_cndmask_b32_e64 v1, 0, 1, s33
	s_and_b32 s0, s26, s0
	v_mad_i32_i24 v4, v0, -15, s27
	v_cndmask_b32_e64 v3, 0, 1, s0
	s_mul_hi_u32 s0, s27, 0x88888889
	s_and_b32 s1, vcc_lo, s33
	s_lshr_b32 s0, s0, 3
	v_sub_nc_u32_e32 v2, v59, v1
	v_cndmask_b32_e64 v5, v63, 0, s1
	v_cmp_eq_u32_e32 vcc_lo, s0, v0
	v_cmp_ne_u32_e64 s0, 0, v4
	s_mov_b32 s16, -1
	s_waitcnt_vscnt null, 0x0
	s_barrier
	s_and_b32 vcc_lo, s26, vcc_lo
	v_add_nc_u32_e32 v3, v2, v3
	v_cndmask_b32_e64 v2, 1, v5, s0
	v_cmp_ne_u32_e64 s0, 1, v4
	buffer_gl0_inv
	v_cndmask_b32_e32 v2, v5, v2, vcc_lo
	v_cndmask_b32_e64 v6, 1, v72, s0
	v_cmp_ne_u32_e64 s0, 14, v4
	s_delay_alu instid0(VALU_DEP_3) | instskip(NEXT) | instid1(VALU_DEP_3)
	v_cmp_ne_u32_e64 s14, 0, v2
	v_cndmask_b32_e32 v11, v72, v6, vcc_lo
	s_delay_alu instid0(VALU_DEP_3) | instskip(SKIP_1) | instid1(VALU_DEP_3)
	v_cndmask_b32_e64 v7, 1, v111, s0
	v_cmp_ne_u32_e64 s0, 2, v4
	v_cmp_ne_u32_e64 s13, 0, v11
	s_delay_alu instid0(VALU_DEP_3) | instskip(NEXT) | instid1(VALU_DEP_3)
	v_cndmask_b32_e32 v10, v111, v7, vcc_lo
	v_cndmask_b32_e64 v8, 1, v69, s0
	v_cmp_ne_u32_e64 s0, 3, v4
	s_delay_alu instid0(VALU_DEP_1) | instskip(SKIP_1) | instid1(VALU_DEP_2)
	v_cndmask_b32_e64 v9, 1, v70, s0
	v_cmp_ne_u32_e64 s0, 4, v4
	v_dual_cndmask_b32 v8, v69, v8 :: v_dual_cndmask_b32 v9, v70, v9
	s_delay_alu instid0(VALU_DEP_2) | instskip(SKIP_1) | instid1(VALU_DEP_3)
	v_cndmask_b32_e64 v5, 1, v67, s0
	v_cmp_ne_u32_e64 s0, 5, v4
	v_cmp_ne_u32_e64 s12, 0, v8
	s_delay_alu instid0(VALU_DEP_4) | instskip(NEXT) | instid1(VALU_DEP_4)
	v_cmp_ne_u32_e64 s11, 0, v9
	v_cndmask_b32_e32 v16, v67, v5, vcc_lo
	s_delay_alu instid0(VALU_DEP_4) | instskip(SKIP_1) | instid1(VALU_DEP_3)
	v_cndmask_b32_e64 v6, 1, v68, s0
	v_cmp_eq_u32_e64 s0, 0, v2
	v_cmp_ne_u32_e64 s10, 0, v16
	s_delay_alu instid0(VALU_DEP_2) | instskip(SKIP_1) | instid1(VALU_DEP_1)
	v_cndmask_b32_e64 v7, 1, 2, s0
	v_cmp_eq_u32_e64 s0, 0, v11
	v_cndmask_b32_e64 v12, 1, 2, s0
	v_cmp_ne_u32_e64 s0, 6, v4
	s_delay_alu instid0(VALU_DEP_2) | instskip(NEXT) | instid1(VALU_DEP_2)
	v_and_b32_e32 v7, v12, v7
	v_cndmask_b32_e64 v13, 1, v65, s0
	v_cmp_eq_u32_e64 s0, 0, v8
	s_delay_alu instid0(VALU_DEP_2) | instskip(NEXT) | instid1(VALU_DEP_2)
	v_cndmask_b32_e32 v13, v65, v13, vcc_lo
	v_cndmask_b32_e64 v12, 1, 2, s0
	v_cmp_ne_u32_e64 s0, 7, v4
	s_delay_alu instid0(VALU_DEP_3) | instskip(NEXT) | instid1(VALU_DEP_2)
	v_cmp_ne_u32_e64 s8, 0, v13
	v_cndmask_b32_e64 v14, 1, v66, s0
	v_cmp_ne_u32_e64 s0, 8, v4
	s_delay_alu instid0(VALU_DEP_2) | instskip(NEXT) | instid1(VALU_DEP_2)
	v_dual_cndmask_b32 v14, v66, v14 :: v_dual_and_b32 v7, v7, v12
	v_cndmask_b32_e64 v15, 1, v61, s0
	v_cmp_eq_u32_e64 s0, 0, v9
	s_delay_alu instid0(VALU_DEP_3) | instskip(NEXT) | instid1(VALU_DEP_3)
	v_cmp_ne_u32_e64 s7, 0, v14
	v_cndmask_b32_e32 v15, v61, v15, vcc_lo
	s_delay_alu instid0(VALU_DEP_3) | instskip(SKIP_2) | instid1(VALU_DEP_4)
	v_cndmask_b32_e64 v12, 1, 2, s0
	v_cmp_ne_u32_e64 s0, 9, v4
	v_cndmask_b32_e32 v17, v68, v6, vcc_lo
	v_cmp_ne_u32_e64 s6, 0, v15
	s_delay_alu instid0(VALU_DEP_4) | instskip(NEXT) | instid1(VALU_DEP_4)
	v_and_b32_e32 v6, v7, v12
	v_cndmask_b32_e64 v5, 1, v62, s0
	v_cmp_eq_u32_e64 s0, 0, v16
	v_cmp_ne_u32_e64 s9, 0, v17
	s_delay_alu instid0(VALU_DEP_3) | instskip(NEXT) | instid1(VALU_DEP_3)
	v_cndmask_b32_e32 v21, v62, v5, vcc_lo
	v_cndmask_b32_e64 v7, 1, 2, s0
	v_cmp_ne_u32_e64 s0, 10, v4
	s_delay_alu instid0(VALU_DEP_3) | instskip(NEXT) | instid1(VALU_DEP_3)
	v_cmp_ne_u32_e64 s5, 0, v21
	v_and_b32_e32 v6, v6, v7
	s_delay_alu instid0(VALU_DEP_3) | instskip(SKIP_1) | instid1(VALU_DEP_2)
	v_cndmask_b32_e64 v12, 1, v113, s0
	v_cmp_ne_u32_e64 s0, 12, v4
	v_cndmask_b32_e32 v12, v113, v12, vcc_lo
	s_delay_alu instid0(VALU_DEP_2) | instskip(SKIP_1) | instid1(VALU_DEP_3)
	v_cndmask_b32_e64 v18, 1, v112, s0
	v_cmp_eq_u32_e64 s0, 0, v17
	v_cmp_ne_u32_e64 s4, 0, v12
	s_delay_alu instid0(VALU_DEP_3) | instskip(NEXT) | instid1(VALU_DEP_3)
	v_cndmask_b32_e32 v18, v112, v18, vcc_lo
	v_cndmask_b32_e64 v7, 1, 2, s0
	v_cmp_ne_u32_e64 s0, 13, v4
	s_delay_alu instid0(VALU_DEP_3) | instskip(NEXT) | instid1(VALU_DEP_3)
	v_cmp_ne_u32_e64 s2, 0, v18
	v_and_b32_e32 v6, v6, v7
	s_delay_alu instid0(VALU_DEP_3) | instskip(SKIP_1) | instid1(VALU_DEP_2)
	v_cndmask_b32_e64 v19, 1, v64, s0
	v_cmp_eq_u32_e64 s0, 0, v13
	v_cndmask_b32_e32 v19, v64, v19, vcc_lo
	s_delay_alu instid0(VALU_DEP_2) | instskip(SKIP_1) | instid1(VALU_DEP_3)
	v_cndmask_b32_e64 v7, 1, 2, s0
	v_cmp_ne_u32_e64 s0, 11, v4
	v_cmp_ne_u32_e64 s1, 0, v19
	s_delay_alu instid0(VALU_DEP_3) | instskip(NEXT) | instid1(VALU_DEP_3)
	v_and_b32_e32 v6, v6, v7
	v_cndmask_b32_e64 v4, 1, v60, s0
	v_cmp_eq_u32_e64 s0, 0, v14
	s_delay_alu instid0(VALU_DEP_2) | instskip(NEXT) | instid1(VALU_DEP_2)
	v_cndmask_b32_e32 v20, v60, v4, vcc_lo
	v_cndmask_b32_e64 v7, 1, 2, s0
	v_cmp_eq_u32_e32 vcc_lo, 0, v15
	v_cmp_ne_u32_e64 s0, 0, v10
	s_delay_alu instid0(VALU_DEP_4) | instskip(NEXT) | instid1(VALU_DEP_4)
	v_cmp_ne_u32_e64 s3, 0, v20
	v_and_b32_e32 v4, v6, v7
	v_cndmask_b32_e64 v5, 1, 2, vcc_lo
	v_add_co_u32 v6, vcc_lo, s44, v31
	v_add_co_ci_u32_e32 v7, vcc_lo, s45, v32, vcc_lo
	v_cmp_eq_u32_e32 vcc_lo, 0, v21
	s_delay_alu instid0(VALU_DEP_4)
	v_and_b32_e32 v22, v4, v5
	v_cndmask_b32_e64 v23, 1, 2, vcc_lo
	v_add_co_u32 v4, vcc_lo, v6, v33
	v_add_co_ci_u32_e32 v5, vcc_lo, v7, v34, vcc_lo
	v_lshlrev_b32_e32 v6, 3, v1
	v_cmp_eq_u32_e32 vcc_lo, 0, v12
	v_and_b32_e32 v7, v22, v23
	v_add_nc_u32_e32 v1, v77, v1
	v_cndmask_b32_e64 v22, 1, 2, vcc_lo
	v_add_co_u32 v6, vcc_lo, v6, v4
	v_add_co_ci_u32_e32 v23, vcc_lo, 0, v5, vcc_lo
	v_cmp_eq_u32_e32 vcc_lo, 0, v20
	s_delay_alu instid0(VALU_DEP_4) | instskip(SKIP_4) | instid1(VALU_DEP_4)
	v_and_b32_e32 v22, v7, v22
	v_cndmask_b32_e64 v24, 1, 2, vcc_lo
	v_add_co_u32 v6, vcc_lo, v6, -8
	v_add_co_ci_u32_e32 v7, vcc_lo, -1, v23, vcc_lo
	v_cmp_eq_u32_e32 vcc_lo, 0, v18
	v_and_b32_e32 v22, v22, v24
	v_cndmask_b32_e64 v23, 1, 2, vcc_lo
	v_cmp_eq_u32_e32 vcc_lo, 0, v19
	s_delay_alu instid0(VALU_DEP_2) | instskip(SKIP_2) | instid1(VALU_DEP_2)
	v_and_b32_e32 v2, v22, v23
	v_cndmask_b32_e64 v8, 1, 2, vcc_lo
	v_cmp_eq_u32_e32 vcc_lo, 0, v10
	v_and_b32_e32 v2, v2, v8
	v_cndmask_b32_e64 v8, 1, 2, vcc_lo
	v_cmp_gt_u32_e32 vcc_lo, 0x100, v3
	s_delay_alu instid0(VALU_DEP_2) | instskip(NEXT) | instid1(VALU_DEP_1)
	v_and_b32_e32 v2, v2, v8
	v_cmp_gt_i16_e64 s15, 2, v2
	s_cbranch_vccnz .LBB58_227
; %bb.224:
	s_and_b32 vcc_lo, exec_lo, s16
	s_cbranch_vccnz .LBB58_233
.LBB58_225:
	v_cmp_eq_u32_e32 vcc_lo, 0xff, v0
	s_and_b32 s0, vcc_lo, s26
	s_delay_alu instid0(SALU_CYCLE_1)
	s_and_saveexec_b32 s1, s0
	s_cbranch_execnz .LBB58_242
.LBB58_226:
	s_nop 0
	s_sendmsg sendmsg(MSG_DEALLOC_VGPRS)
	s_endpgm
.LBB58_227:
	s_delay_alu instid0(VALU_DEP_1)
	s_and_saveexec_b32 s16, s15
	s_cbranch_execz .LBB58_232
; %bb.228:
	s_mov_b32 s17, 0
	s_mov_b32 s15, exec_lo
	v_cmpx_ne_u16_e32 1, v2
	s_xor_b32 s15, exec_lo, s15
	s_cbranch_execnz .LBB58_312
; %bb.229:
	s_and_not1_saveexec_b32 s15, s15
	s_cbranch_execnz .LBB58_328
.LBB58_230:
	s_or_b32 exec_lo, exec_lo, s15
	s_delay_alu instid0(SALU_CYCLE_1)
	s_and_b32 exec_lo, exec_lo, s17
	s_cbranch_execz .LBB58_232
.LBB58_231:
	v_sub_nc_u32_e32 v8, v35, v1
	v_mov_b32_e32 v9, 0
	s_delay_alu instid0(VALU_DEP_1) | instskip(NEXT) | instid1(VALU_DEP_1)
	v_lshlrev_b64 v[8:9], 3, v[8:9]
	v_add_co_u32 v8, vcc_lo, v6, v8
	s_delay_alu instid0(VALU_DEP_2)
	v_add_co_ci_u32_e32 v9, vcc_lo, v7, v9, vcc_lo
	global_store_b64 v[8:9], v[97:98], off
.LBB58_232:
	s_or_b32 exec_lo, exec_lo, s16
	s_branch .LBB58_225
.LBB58_233:
	s_mov_b32 s15, exec_lo
	v_cmpx_gt_i16_e32 2, v2
	s_cbranch_execz .LBB58_238
; %bb.234:
	s_mov_b32 s17, 0
	s_mov_b32 s16, exec_lo
	v_cmpx_ne_u16_e32 1, v2
	s_xor_b32 s16, exec_lo, s16
	s_cbranch_execnz .LBB58_329
; %bb.235:
	s_and_not1_saveexec_b32 s0, s16
	s_cbranch_execnz .LBB58_345
.LBB58_236:
	s_or_b32 exec_lo, exec_lo, s0
	s_delay_alu instid0(SALU_CYCLE_1)
	s_and_b32 exec_lo, exec_lo, s17
	s_cbranch_execz .LBB58_238
.LBB58_237:
	v_sub_nc_u32_e32 v1, v35, v1
	s_delay_alu instid0(VALU_DEP_1)
	v_lshlrev_b32_e32 v1, 3, v1
	ds_store_b64 v1, v[97:98]
.LBB58_238:
	s_or_b32 exec_lo, exec_lo, s15
	s_delay_alu instid0(SALU_CYCLE_1)
	s_mov_b32 s1, exec_lo
	s_waitcnt lgkmcnt(0)
	s_waitcnt_vscnt null, 0x0
	s_barrier
	buffer_gl0_inv
	v_cmpx_lt_u32_e64 v0, v3
	s_cbranch_execz .LBB58_241
; %bb.239:
	v_dual_mov_b32 v1, v0 :: v_dual_lshlrev_b32 v8, 3, v0
	v_mov_b32_e32 v2, 0
	s_mov_b32 s2, 0
	.p2align	6
.LBB58_240:                             ; =>This Inner Loop Header: Depth=1
	ds_load_b64 v[9:10], v8
	v_lshlrev_b64 v[11:12], 3, v[1:2]
	v_add_nc_u32_e32 v1, 0x100, v1
	v_add_nc_u32_e32 v8, 0x800, v8
	s_delay_alu instid0(VALU_DEP_2) | instskip(NEXT) | instid1(VALU_DEP_4)
	v_cmp_ge_u32_e32 vcc_lo, v1, v3
	v_add_co_u32 v11, s0, v6, v11
	s_delay_alu instid0(VALU_DEP_1)
	v_add_co_ci_u32_e64 v12, s0, v7, v12, s0
	s_or_b32 s2, vcc_lo, s2
	s_waitcnt lgkmcnt(0)
	global_store_b64 v[11:12], v[9:10], off
	s_and_not1_b32 exec_lo, exec_lo, s2
	s_cbranch_execnz .LBB58_240
.LBB58_241:
	s_or_b32 exec_lo, exec_lo, s1
	v_cmp_eq_u32_e32 vcc_lo, 0xff, v0
	s_and_b32 s0, vcc_lo, s26
	s_delay_alu instid0(SALU_CYCLE_1)
	s_and_saveexec_b32 s1, s0
	s_cbranch_execz .LBB58_226
.LBB58_242:
	v_add_co_u32 v0, s0, v59, v77
	s_delay_alu instid0(VALU_DEP_1) | instskip(SKIP_1) | instid1(VALU_DEP_3)
	v_add_co_ci_u32_e64 v1, null, 0, 0, s0
	v_mov_b32_e32 v60, 0
	v_add_co_u32 v0, vcc_lo, v0, v29
	s_delay_alu instid0(VALU_DEP_3)
	v_add_co_ci_u32_e32 v1, vcc_lo, v1, v30, vcc_lo
	s_cmpk_lg_i32 s27, 0xf00
	global_store_b64 v60, v[0:1], s[46:47]
	s_cbranch_scc1 .LBB58_226
; %bb.243:
	v_lshlrev_b64 v[0:1], 3, v[59:60]
	s_delay_alu instid0(VALU_DEP_1) | instskip(NEXT) | instid1(VALU_DEP_2)
	v_add_co_u32 v0, vcc_lo, v4, v0
	v_add_co_ci_u32_e32 v1, vcc_lo, v5, v1, vcc_lo
	global_store_b64 v[0:1], v[75:76], off offset:-8
	s_nop 0
	s_sendmsg sendmsg(MSG_DEALLOC_VGPRS)
	s_endpgm
.LBB58_244:
                                        ; implicit-def: $sgpr2
                                        ; implicit-def: $vgpr111
                                        ; implicit-def: $vgpr76
                                        ; implicit-def: $vgpr112
                                        ; implicit-def: $vgpr60
                                        ; implicit-def: $vgpr113
                                        ; implicit-def: $vgpr62
                                        ; implicit-def: $vgpr61
                                        ; implicit-def: $vgpr66
                                        ; implicit-def: $vgpr65
                                        ; implicit-def: $vgpr68
                                        ; implicit-def: $vgpr67
                                        ; implicit-def: $vgpr70
                                        ; implicit-def: $vgpr69
                                        ; implicit-def: $vgpr72
	s_cbranch_execz .LBB58_110
; %bb.245:
	v_dual_mov_b32 v64, 0 :: v_dual_lshlrev_b32 v75, 3, v0
	v_mov_b32_e32 v111, 0
	s_mov_b32 s2, exec_lo
	ds_store_b64 v75, v[57:58]
	v_cmpx_gt_u64_e64 s[0:1], v[63:64]
	s_cbranch_execz .LBB58_247
; %bb.246:
	v_cvt_i32_f64_e32 v59, v[3:4]
	v_cvt_i32_f64_e32 v60, v[57:58]
	s_delay_alu instid0(VALU_DEP_2) | instskip(NEXT) | instid1(VALU_DEP_2)
	v_mul_hi_i32 v59, 0x66666667, v59
	v_mul_hi_i32 v60, 0x66666667, v60
	s_delay_alu instid0(VALU_DEP_2) | instskip(SKIP_1) | instid1(VALU_DEP_3)
	v_lshrrev_b32_e32 v61, 31, v59
	v_ashrrev_i32_e32 v59, 2, v59
	v_lshrrev_b32_e32 v62, 31, v60
	v_ashrrev_i32_e32 v60, 2, v60
	s_delay_alu instid0(VALU_DEP_3) | instskip(NEXT) | instid1(VALU_DEP_2)
	v_add_nc_u32_e32 v59, v59, v61
	v_add_nc_u32_e32 v60, v60, v62
	s_delay_alu instid0(VALU_DEP_1)
	v_cmp_ne_u32_e32 vcc_lo, v59, v60
	v_cndmask_b32_e64 v111, 0, 1, vcc_lo
.LBB58_247:
	s_or_b32 exec_lo, exec_lo, s2
	v_add_nc_u32_e32 v63, 13, v77
	s_mov_b32 s2, exec_lo
	s_delay_alu instid0(VALU_DEP_1)
	v_cmpx_gt_u64_e64 s[0:1], v[63:64]
	s_cbranch_execz .LBB58_249
; %bb.248:
	v_cvt_i32_f64_e32 v59, v[1:2]
	v_cvt_i32_f64_e32 v60, v[3:4]
	s_delay_alu instid0(VALU_DEP_2) | instskip(NEXT) | instid1(VALU_DEP_2)
	v_mul_hi_i32 v59, 0x66666667, v59
	v_mul_hi_i32 v60, 0x66666667, v60
	s_delay_alu instid0(VALU_DEP_2) | instskip(SKIP_1) | instid1(VALU_DEP_3)
	v_lshrrev_b32_e32 v61, 31, v59
	v_ashrrev_i32_e32 v59, 2, v59
	v_lshrrev_b32_e32 v62, 31, v60
	v_ashrrev_i32_e32 v60, 2, v60
	s_delay_alu instid0(VALU_DEP_3) | instskip(NEXT) | instid1(VALU_DEP_2)
	v_add_nc_u32_e32 v59, v59, v61
	v_add_nc_u32_e32 v60, v60, v62
	s_delay_alu instid0(VALU_DEP_1)
	v_cmp_ne_u32_e32 vcc_lo, v59, v60
	v_cndmask_b32_e64 v64, 0, 1, vcc_lo
.LBB58_249:
	s_or_b32 exec_lo, exec_lo, s2
	v_dual_mov_b32 v60, 0 :: v_dual_add_nc_u32 v59, 12, v77
	v_mov_b32_e32 v112, 0
	s_mov_b32 s2, exec_lo
	s_delay_alu instid0(VALU_DEP_2)
	v_cmpx_gt_u64_e64 s[0:1], v[59:60]
	s_cbranch_execz .LBB58_251
; %bb.250:
	v_cvt_i32_f64_e32 v59, v[7:8]
	v_cvt_i32_f64_e32 v61, v[1:2]
	s_delay_alu instid0(VALU_DEP_2) | instskip(NEXT) | instid1(VALU_DEP_2)
	v_mul_hi_i32 v59, 0x66666667, v59
	v_mul_hi_i32 v61, 0x66666667, v61
	s_delay_alu instid0(VALU_DEP_2) | instskip(SKIP_1) | instid1(VALU_DEP_3)
	v_lshrrev_b32_e32 v62, 31, v59
	v_ashrrev_i32_e32 v59, 2, v59
	v_lshrrev_b32_e32 v63, 31, v61
	v_ashrrev_i32_e32 v61, 2, v61
	s_delay_alu instid0(VALU_DEP_3) | instskip(NEXT) | instid1(VALU_DEP_2)
	v_add_nc_u32_e32 v59, v59, v62
	v_add_nc_u32_e32 v61, v61, v63
	s_delay_alu instid0(VALU_DEP_1)
	v_cmp_ne_u32_e32 vcc_lo, v59, v61
	v_cndmask_b32_e64 v112, 0, 1, vcc_lo
.LBB58_251:
	s_or_b32 exec_lo, exec_lo, s2
	v_add_nc_u32_e32 v59, 11, v77
	s_mov_b32 s2, exec_lo
	s_delay_alu instid0(VALU_DEP_1)
	v_cmpx_gt_u64_e64 s[0:1], v[59:60]
	s_cbranch_execz .LBB58_253
; %bb.252:
	v_cvt_i32_f64_e32 v59, v[5:6]
	v_cvt_i32_f64_e32 v60, v[7:8]
	s_delay_alu instid0(VALU_DEP_2) | instskip(NEXT) | instid1(VALU_DEP_2)
	v_mul_hi_i32 v59, 0x66666667, v59
	v_mul_hi_i32 v60, 0x66666667, v60
	s_delay_alu instid0(VALU_DEP_2) | instskip(SKIP_1) | instid1(VALU_DEP_3)
	v_lshrrev_b32_e32 v61, 31, v59
	v_ashrrev_i32_e32 v59, 2, v59
	v_lshrrev_b32_e32 v62, 31, v60
	v_ashrrev_i32_e32 v60, 2, v60
	s_delay_alu instid0(VALU_DEP_3) | instskip(NEXT) | instid1(VALU_DEP_2)
	v_add_nc_u32_e32 v59, v59, v61
	v_add_nc_u32_e32 v60, v60, v62
	s_delay_alu instid0(VALU_DEP_1)
	v_cmp_ne_u32_e32 vcc_lo, v59, v60
	v_cndmask_b32_e64 v60, 0, 1, vcc_lo
.LBB58_253:
	s_or_b32 exec_lo, exec_lo, s2
	v_dual_mov_b32 v62, 0 :: v_dual_add_nc_u32 v61, 10, v77
	v_mov_b32_e32 v113, 0
	s_mov_b32 s2, exec_lo
	s_delay_alu instid0(VALU_DEP_2)
	;; [unrolled: 49-line block ×6, first 2 shown]
	v_cmpx_gt_u64_e64 s[0:1], v[71:72]
	s_cbranch_execz .LBB58_271
; %bb.270:
	v_cvt_i32_f64_e32 v59, v[27:28]
	v_cvt_i32_f64_e32 v63, v[21:22]
	s_delay_alu instid0(VALU_DEP_2) | instskip(NEXT) | instid1(VALU_DEP_2)
	v_mul_hi_i32 v59, 0x66666667, v59
	v_mul_hi_i32 v63, 0x66666667, v63
	s_delay_alu instid0(VALU_DEP_2) | instskip(SKIP_1) | instid1(VALU_DEP_3)
	v_lshrrev_b32_e32 v69, 31, v59
	v_ashrrev_i32_e32 v59, 2, v59
	v_lshrrev_b32_e32 v71, 31, v63
	v_ashrrev_i32_e32 v63, 2, v63
	s_delay_alu instid0(VALU_DEP_3) | instskip(NEXT) | instid1(VALU_DEP_2)
	v_add_nc_u32_e32 v59, v59, v69
	v_add_nc_u32_e32 v63, v63, v71
	s_delay_alu instid0(VALU_DEP_1)
	v_cmp_ne_u32_e32 vcc_lo, v59, v63
	v_cndmask_b32_e64 v69, 0, 1, vcc_lo
.LBB58_271:
	s_or_b32 exec_lo, exec_lo, s2
	v_add_nc_u32_e32 v71, 1, v77
	s_mov_b32 s2, exec_lo
	s_delay_alu instid0(VALU_DEP_1)
	v_cmpx_gt_u64_e64 s[0:1], v[71:72]
	s_cbranch_execz .LBB58_273
; %bb.272:
	v_cvt_i32_f64_e32 v59, v[25:26]
	v_cvt_i32_f64_e32 v63, v[27:28]
	s_delay_alu instid0(VALU_DEP_2) | instskip(NEXT) | instid1(VALU_DEP_2)
	v_mul_hi_i32 v59, 0x66666667, v59
	v_mul_hi_i32 v63, 0x66666667, v63
	s_delay_alu instid0(VALU_DEP_2) | instskip(SKIP_1) | instid1(VALU_DEP_3)
	v_lshrrev_b32_e32 v71, 31, v59
	v_ashrrev_i32_e32 v59, 2, v59
	v_lshrrev_b32_e32 v72, 31, v63
	v_ashrrev_i32_e32 v63, 2, v63
	s_delay_alu instid0(VALU_DEP_3) | instskip(NEXT) | instid1(VALU_DEP_2)
	v_add_nc_u32_e32 v59, v59, v71
	v_add_nc_u32_e32 v63, v63, v72
	s_delay_alu instid0(VALU_DEP_1)
	v_cmp_ne_u32_e32 vcc_lo, v59, v63
	v_cndmask_b32_e64 v72, 0, 1, vcc_lo
.LBB58_273:
	s_or_b32 exec_lo, exec_lo, s2
	s_mov_b32 s4, 0
	s_mov_b32 s3, exec_lo
	s_waitcnt lgkmcnt(0)
	s_barrier
	buffer_gl0_inv
                                        ; implicit-def: $sgpr2
	v_cmpx_ne_u32_e32 0, v0
	s_cbranch_execz .LBB58_277
; %bb.274:
	v_mov_b32_e32 v78, 0
	s_delay_alu instid0(VALU_DEP_1)
	v_cmp_gt_u64_e32 vcc_lo, s[0:1], v[77:78]
	s_and_saveexec_b32 s0, vcc_lo
	s_cbranch_execz .LBB58_276
; %bb.275:
	v_add_nc_u32_e32 v59, -8, v75
	ds_load_b64 v[75:76], v59
	v_cvt_i32_f64_e32 v59, v[25:26]
	s_waitcnt lgkmcnt(0)
	v_cvt_i32_f64_e32 v63, v[75:76]
	s_delay_alu instid0(VALU_DEP_2) | instskip(NEXT) | instid1(VALU_DEP_1)
	v_mul_hi_i32 v59, 0x66666667, v59
	v_lshrrev_b32_e32 v71, 31, v59
	v_ashrrev_i32_e32 v59, 2, v59
	s_delay_alu instid0(VALU_DEP_1) | instskip(SKIP_1) | instid1(VALU_DEP_1)
	v_add_nc_u32_e32 v59, v59, v71
	v_mul_hi_i32 v63, 0x66666667, v63
	v_lshrrev_b32_e32 v75, 31, v63
	v_ashrrev_i32_e32 v63, 2, v63
	s_delay_alu instid0(VALU_DEP_1) | instskip(NEXT) | instid1(VALU_DEP_1)
	v_add_nc_u32_e32 v63, v63, v75
	v_cmp_ne_u32_e32 vcc_lo, v63, v59
	s_and_b32 s4, vcc_lo, exec_lo
.LBB58_276:
	s_or_b32 exec_lo, exec_lo, s0
	s_delay_alu instid0(SALU_CYCLE_1)
	s_and_b32 s2, s4, exec_lo
	s_or_b32 s37, s37, exec_lo
.LBB58_277:
	s_or_b32 exec_lo, exec_lo, s3
	v_mov_b32_e32 v76, v64
	s_mov_b32 s0, 1
	s_delay_alu instid0(SALU_CYCLE_1)
	v_mov_b32_e32 v63, s0
	s_and_saveexec_b32 s0, s37
	s_cbranch_execnz .LBB58_112
	s_branch .LBB58_113
.LBB58_278:
	s_and_saveexec_b32 s17, s12
	s_cbranch_execnz .LBB58_346
; %bb.279:
	s_or_b32 exec_lo, exec_lo, s17
	s_and_saveexec_b32 s17, s11
	s_cbranch_execnz .LBB58_347
.LBB58_280:
	s_or_b32 exec_lo, exec_lo, s17
	s_and_saveexec_b32 s17, s9
	s_cbranch_execnz .LBB58_348
.LBB58_281:
	s_or_b32 exec_lo, exec_lo, s17
	s_and_saveexec_b32 s17, s8
	s_cbranch_execnz .LBB58_349
.LBB58_282:
	s_or_b32 exec_lo, exec_lo, s17
	s_and_saveexec_b32 s17, s14
	s_cbranch_execnz .LBB58_350
.LBB58_283:
	s_or_b32 exec_lo, exec_lo, s17
	s_and_saveexec_b32 s17, s13
	s_cbranch_execnz .LBB58_351
.LBB58_284:
	s_or_b32 exec_lo, exec_lo, s17
	s_and_saveexec_b32 s17, s10
	s_cbranch_execnz .LBB58_352
.LBB58_285:
	s_or_b32 exec_lo, exec_lo, s17
	s_and_saveexec_b32 s17, s7
	s_cbranch_execnz .LBB58_353
.LBB58_286:
	s_or_b32 exec_lo, exec_lo, s17
	s_and_saveexec_b32 s17, s6
	s_cbranch_execnz .LBB58_354
.LBB58_287:
	s_or_b32 exec_lo, exec_lo, s17
	s_and_saveexec_b32 s17, s5
	s_cbranch_execnz .LBB58_355
.LBB58_288:
	s_or_b32 exec_lo, exec_lo, s17
	s_and_saveexec_b32 s17, s4
	s_cbranch_execnz .LBB58_356
.LBB58_289:
	s_or_b32 exec_lo, exec_lo, s17
	s_and_saveexec_b32 s17, s3
	s_cbranch_execnz .LBB58_357
.LBB58_290:
	s_or_b32 exec_lo, exec_lo, s17
	s_and_saveexec_b32 s17, s2
	s_cbranch_execnz .LBB58_358
.LBB58_291:
	s_or_b32 exec_lo, exec_lo, s17
	s_and_saveexec_b32 s17, s1
	s_cbranch_execz .LBB58_293
.LBB58_292:
	v_sub_nc_u32_e32 v52, v36, v77
	v_mov_b32_e32 v53, 0
	s_delay_alu instid0(VALU_DEP_1) | instskip(NEXT) | instid1(VALU_DEP_1)
	v_lshlrev_b64 v[52:53], 3, v[52:53]
	v_add_co_u32 v52, vcc_lo, v49, v52
	s_delay_alu instid0(VALU_DEP_2)
	v_add_co_ci_u32_e32 v53, vcc_lo, v50, v53, vcc_lo
	global_store_b64 v[52:53], v[3:4], off
.LBB58_293:
	s_or_b32 exec_lo, exec_lo, s17
	s_delay_alu instid0(SALU_CYCLE_1)
	s_and_b32 s17, s0, exec_lo
	s_and_not1_saveexec_b32 s15, s15
	s_cbranch_execz .LBB58_210
.LBB58_294:
	v_sub_nc_u32_e32 v52, v71, v77
	v_mov_b32_e32 v53, 0
	s_or_b32 s17, s17, exec_lo
	s_delay_alu instid0(VALU_DEP_1) | instskip(SKIP_1) | instid1(VALU_DEP_1)
	v_lshlrev_b64 v[54:55], 3, v[52:53]
	v_sub_nc_u32_e32 v52, v46, v77
	v_lshlrev_b64 v[73:74], 3, v[52:53]
	v_sub_nc_u32_e32 v52, v48, v77
	s_delay_alu instid0(VALU_DEP_4) | instskip(SKIP_1) | instid1(VALU_DEP_3)
	v_add_co_u32 v54, vcc_lo, v49, v54
	v_add_co_ci_u32_e32 v55, vcc_lo, v50, v55, vcc_lo
	v_lshlrev_b64 v[109:110], 3, v[52:53]
	v_sub_nc_u32_e32 v52, v47, v77
	v_add_co_u32 v73, vcc_lo, v49, v73
	v_add_co_ci_u32_e32 v74, vcc_lo, v50, v74, vcc_lo
	global_store_b64 v[54:55], v[25:26], off
	v_lshlrev_b64 v[54:55], 3, v[52:53]
	v_sub_nc_u32_e32 v52, v45, v77
	global_store_b64 v[73:74], v[27:28], off
	v_add_co_u32 v73, vcc_lo, v49, v109
	v_add_co_ci_u32_e32 v74, vcc_lo, v50, v110, vcc_lo
	v_lshlrev_b64 v[109:110], 3, v[52:53]
	v_sub_nc_u32_e32 v52, v44, v77
	v_add_co_u32 v54, vcc_lo, v49, v54
	v_add_co_ci_u32_e32 v55, vcc_lo, v50, v55, vcc_lo
	s_delay_alu instid0(VALU_DEP_3) | instskip(SKIP_3) | instid1(VALU_DEP_3)
	v_lshlrev_b64 v[114:115], 3, v[52:53]
	v_sub_nc_u32_e32 v52, v43, v77
	v_add_co_u32 v109, vcc_lo, v49, v109
	v_add_co_ci_u32_e32 v110, vcc_lo, v50, v110, vcc_lo
	v_lshlrev_b64 v[116:117], 3, v[52:53]
	v_sub_nc_u32_e32 v52, v42, v77
	v_add_co_u32 v114, vcc_lo, v49, v114
	v_add_co_ci_u32_e32 v115, vcc_lo, v50, v115, vcc_lo
	s_clause 0x3
	global_store_b64 v[73:74], v[21:22], off
	global_store_b64 v[54:55], v[23:24], off
	;; [unrolled: 1-line block ×4, first 2 shown]
	v_lshlrev_b64 v[54:55], 3, v[52:53]
	v_sub_nc_u32_e32 v52, v41, v77
	v_add_co_u32 v73, vcc_lo, v49, v116
	v_add_co_ci_u32_e32 v74, vcc_lo, v50, v117, vcc_lo
	s_delay_alu instid0(VALU_DEP_3) | instskip(SKIP_3) | instid1(VALU_DEP_3)
	v_lshlrev_b64 v[109:110], 3, v[52:53]
	v_sub_nc_u32_e32 v52, v40, v77
	v_add_co_u32 v54, vcc_lo, v49, v54
	v_add_co_ci_u32_e32 v55, vcc_lo, v50, v55, vcc_lo
	v_lshlrev_b64 v[114:115], 3, v[52:53]
	v_sub_nc_u32_e32 v52, v39, v77
	v_add_co_u32 v109, vcc_lo, v49, v109
	v_add_co_ci_u32_e32 v110, vcc_lo, v50, v110, vcc_lo
	s_delay_alu instid0(VALU_DEP_3)
	v_lshlrev_b64 v[116:117], 3, v[52:53]
	v_sub_nc_u32_e32 v52, v38, v77
	v_add_co_u32 v114, vcc_lo, v49, v114
	v_add_co_ci_u32_e32 v115, vcc_lo, v50, v115, vcc_lo
	s_clause 0x3
	global_store_b64 v[73:74], v[13:14], off
	global_store_b64 v[54:55], v[15:16], off
	;; [unrolled: 1-line block ×4, first 2 shown]
	v_lshlrev_b64 v[54:55], 3, v[52:53]
	v_sub_nc_u32_e32 v52, v37, v77
	v_add_co_u32 v73, vcc_lo, v49, v116
	v_add_co_ci_u32_e32 v74, vcc_lo, v50, v117, vcc_lo
	s_delay_alu instid0(VALU_DEP_3) | instskip(SKIP_3) | instid1(VALU_DEP_3)
	v_lshlrev_b64 v[109:110], 3, v[52:53]
	v_sub_nc_u32_e32 v52, v36, v77
	v_add_co_u32 v54, vcc_lo, v49, v54
	v_add_co_ci_u32_e32 v55, vcc_lo, v50, v55, vcc_lo
	v_lshlrev_b64 v[52:53], 3, v[52:53]
	v_add_co_u32 v109, vcc_lo, v49, v109
	v_add_co_ci_u32_e32 v110, vcc_lo, v50, v110, vcc_lo
	s_clause 0x2
	global_store_b64 v[73:74], v[5:6], off
	global_store_b64 v[54:55], v[7:8], off
	;; [unrolled: 1-line block ×3, first 2 shown]
	v_add_co_u32 v52, vcc_lo, v49, v52
	v_add_co_ci_u32_e32 v53, vcc_lo, v50, v53, vcc_lo
	global_store_b64 v[52:53], v[3:4], off
	s_or_b32 exec_lo, exec_lo, s15
	s_delay_alu instid0(SALU_CYCLE_1)
	s_and_b32 exec_lo, exec_lo, s17
	s_cbranch_execnz .LBB58_211
	s_branch .LBB58_212
.LBB58_295:
	s_and_saveexec_b32 s17, s12
	s_cbranch_execnz .LBB58_359
; %bb.296:
	s_or_b32 exec_lo, exec_lo, s17
	s_and_saveexec_b32 s12, s11
	s_cbranch_execnz .LBB58_360
.LBB58_297:
	s_or_b32 exec_lo, exec_lo, s12
	s_and_saveexec_b32 s11, s9
	s_cbranch_execnz .LBB58_361
.LBB58_298:
	s_or_b32 exec_lo, exec_lo, s11
	s_and_saveexec_b32 s9, s8
	s_cbranch_execnz .LBB58_362
.LBB58_299:
	s_or_b32 exec_lo, exec_lo, s9
	s_and_saveexec_b32 s8, s14
	s_cbranch_execnz .LBB58_363
.LBB58_300:
	s_or_b32 exec_lo, exec_lo, s8
	s_and_saveexec_b32 s8, s13
	s_cbranch_execnz .LBB58_364
.LBB58_301:
	s_or_b32 exec_lo, exec_lo, s8
	s_and_saveexec_b32 s8, s10
	s_cbranch_execnz .LBB58_365
.LBB58_302:
	s_or_b32 exec_lo, exec_lo, s8
	s_and_saveexec_b32 s8, s7
	s_cbranch_execnz .LBB58_366
.LBB58_303:
	s_or_b32 exec_lo, exec_lo, s8
	s_and_saveexec_b32 s7, s6
	s_cbranch_execnz .LBB58_367
.LBB58_304:
	s_or_b32 exec_lo, exec_lo, s7
	s_and_saveexec_b32 s6, s5
	s_cbranch_execnz .LBB58_368
.LBB58_305:
	s_or_b32 exec_lo, exec_lo, s6
	s_and_saveexec_b32 s5, s4
	s_cbranch_execnz .LBB58_369
.LBB58_306:
	s_or_b32 exec_lo, exec_lo, s5
	s_and_saveexec_b32 s4, s3
	s_cbranch_execnz .LBB58_370
.LBB58_307:
	s_or_b32 exec_lo, exec_lo, s4
	s_and_saveexec_b32 s3, s2
	s_cbranch_execnz .LBB58_371
.LBB58_308:
	s_or_b32 exec_lo, exec_lo, s3
	s_and_saveexec_b32 s2, s1
	s_cbranch_execz .LBB58_310
.LBB58_309:
	v_sub_nc_u32_e32 v1, v36, v77
	s_delay_alu instid0(VALU_DEP_1)
	v_lshlrev_b32_e32 v1, 3, v1
	ds_store_b64 v1, v[3:4]
.LBB58_310:
	s_or_b32 exec_lo, exec_lo, s2
	s_delay_alu instid0(SALU_CYCLE_1)
	s_and_b32 s17, s0, exec_lo
                                        ; implicit-def: $vgpr25_vgpr26
                                        ; implicit-def: $vgpr21_vgpr22
                                        ; implicit-def: $vgpr17_vgpr18
                                        ; implicit-def: $vgpr13_vgpr14
                                        ; implicit-def: $vgpr9_vgpr10
                                        ; implicit-def: $vgpr5_vgpr6
                                        ; implicit-def: $vgpr1_vgpr2
	s_and_not1_saveexec_b32 s0, s16
	s_cbranch_execz .LBB58_217
.LBB58_311:
	v_sub_nc_u32_e32 v51, v71, v77
	v_sub_nc_u32_e32 v52, v46, v77
	v_sub_nc_u32_e32 v54, v47, v77
	v_sub_nc_u32_e32 v53, v48, v77
	s_or_b32 s17, s17, exec_lo
	v_lshlrev_b32_e32 v51, 3, v51
	v_lshlrev_b32_e32 v52, 3, v52
	;; [unrolled: 1-line block ×4, first 2 shown]
	ds_store_b64 v51, v[25:26]
	ds_store_b64 v52, v[27:28]
	ds_store_b64 v53, v[21:22]
	v_sub_nc_u32_e32 v21, v45, v77
	v_sub_nc_u32_e32 v22, v44, v77
	ds_store_b64 v54, v[23:24]
	v_sub_nc_u32_e32 v23, v43, v77
	v_sub_nc_u32_e32 v24, v42, v77
	v_lshlrev_b32_e32 v21, 3, v21
	v_sub_nc_u32_e32 v25, v41, v77
	v_lshlrev_b32_e32 v22, 3, v22
	v_lshlrev_b32_e32 v23, 3, v23
	;; [unrolled: 1-line block ×3, first 2 shown]
	ds_store_b64 v21, v[17:18]
	v_lshlrev_b32_e32 v17, 3, v25
	ds_store_b64 v22, v[19:20]
	ds_store_b64 v23, v[13:14]
	;; [unrolled: 1-line block ×3, first 2 shown]
	v_sub_nc_u32_e32 v13, v40, v77
	v_sub_nc_u32_e32 v15, v36, v77
	;; [unrolled: 1-line block ×3, first 2 shown]
	ds_store_b64 v17, v[9:10]
	v_sub_nc_u32_e32 v9, v39, v77
	v_lshlrev_b32_e32 v13, 3, v13
	v_sub_nc_u32_e32 v10, v38, v77
	v_lshlrev_b32_e32 v14, 3, v14
	s_delay_alu instid0(VALU_DEP_4)
	v_lshlrev_b32_e32 v9, 3, v9
	ds_store_b64 v13, v[11:12]
	v_lshlrev_b32_e32 v11, 3, v15
	v_lshlrev_b32_e32 v10, 3, v10
	ds_store_b64 v9, v[5:6]
	ds_store_b64 v10, v[7:8]
	;; [unrolled: 1-line block ×4, first 2 shown]
	s_or_b32 exec_lo, exec_lo, s0
	s_delay_alu instid0(SALU_CYCLE_1)
	s_and_b32 exec_lo, exec_lo, s17
	s_cbranch_execnz .LBB58_218
	s_branch .LBB58_219
.LBB58_312:
	s_and_saveexec_b32 s17, s14
	s_cbranch_execnz .LBB58_372
; %bb.313:
	s_or_b32 exec_lo, exec_lo, s17
	s_and_saveexec_b32 s17, s13
	s_cbranch_execnz .LBB58_373
.LBB58_314:
	s_or_b32 exec_lo, exec_lo, s17
	s_and_saveexec_b32 s17, s12
	s_cbranch_execnz .LBB58_374
.LBB58_315:
	s_or_b32 exec_lo, exec_lo, s17
	s_and_saveexec_b32 s17, s11
	s_cbranch_execnz .LBB58_375
.LBB58_316:
	s_or_b32 exec_lo, exec_lo, s17
	s_and_saveexec_b32 s17, s10
	s_cbranch_execnz .LBB58_376
.LBB58_317:
	s_or_b32 exec_lo, exec_lo, s17
	s_and_saveexec_b32 s17, s9
	s_cbranch_execnz .LBB58_377
.LBB58_318:
	s_or_b32 exec_lo, exec_lo, s17
	s_and_saveexec_b32 s17, s8
	s_cbranch_execnz .LBB58_378
.LBB58_319:
	s_or_b32 exec_lo, exec_lo, s17
	s_and_saveexec_b32 s17, s7
	s_cbranch_execnz .LBB58_379
.LBB58_320:
	s_or_b32 exec_lo, exec_lo, s17
	s_and_saveexec_b32 s17, s6
	s_cbranch_execnz .LBB58_380
.LBB58_321:
	s_or_b32 exec_lo, exec_lo, s17
	s_and_saveexec_b32 s17, s5
	s_cbranch_execnz .LBB58_381
.LBB58_322:
	s_or_b32 exec_lo, exec_lo, s17
	s_and_saveexec_b32 s17, s4
	s_cbranch_execnz .LBB58_382
.LBB58_323:
	s_or_b32 exec_lo, exec_lo, s17
	s_and_saveexec_b32 s17, s3
	s_cbranch_execnz .LBB58_383
.LBB58_324:
	s_or_b32 exec_lo, exec_lo, s17
	s_and_saveexec_b32 s17, s2
	s_cbranch_execnz .LBB58_384
.LBB58_325:
	s_or_b32 exec_lo, exec_lo, s17
	s_and_saveexec_b32 s17, s1
	s_cbranch_execz .LBB58_327
.LBB58_326:
	v_sub_nc_u32_e32 v8, v36, v1
	v_mov_b32_e32 v9, 0
	s_delay_alu instid0(VALU_DEP_1) | instskip(NEXT) | instid1(VALU_DEP_1)
	v_lshlrev_b64 v[8:9], 3, v[8:9]
	v_add_co_u32 v8, vcc_lo, v6, v8
	s_delay_alu instid0(VALU_DEP_2)
	v_add_co_ci_u32_e32 v9, vcc_lo, v7, v9, vcc_lo
	global_store_b64 v[8:9], v[107:108], off
.LBB58_327:
	s_or_b32 exec_lo, exec_lo, s17
	s_delay_alu instid0(SALU_CYCLE_1)
	s_and_b32 s17, s0, exec_lo
	s_and_not1_saveexec_b32 s15, s15
	s_cbranch_execz .LBB58_230
.LBB58_328:
	v_sub_nc_u32_e32 v8, v71, v1
	v_mov_b32_e32 v9, 0
	s_or_b32 s17, s17, exec_lo
	s_delay_alu instid0(VALU_DEP_1) | instskip(SKIP_1) | instid1(VALU_DEP_1)
	v_lshlrev_b64 v[10:11], 3, v[8:9]
	v_sub_nc_u32_e32 v8, v46, v1
	v_lshlrev_b64 v[12:13], 3, v[8:9]
	v_sub_nc_u32_e32 v8, v48, v1
	s_delay_alu instid0(VALU_DEP_4) | instskip(SKIP_1) | instid1(VALU_DEP_3)
	v_add_co_u32 v10, vcc_lo, v6, v10
	v_add_co_ci_u32_e32 v11, vcc_lo, v7, v11, vcc_lo
	v_lshlrev_b64 v[14:15], 3, v[8:9]
	v_sub_nc_u32_e32 v8, v47, v1
	v_add_co_u32 v12, vcc_lo, v6, v12
	v_add_co_ci_u32_e32 v13, vcc_lo, v7, v13, vcc_lo
	global_store_b64 v[10:11], v[99:100], off
	v_lshlrev_b64 v[10:11], 3, v[8:9]
	v_sub_nc_u32_e32 v8, v45, v1
	global_store_b64 v[12:13], v[101:102], off
	v_add_co_u32 v12, vcc_lo, v6, v14
	v_add_co_ci_u32_e32 v13, vcc_lo, v7, v15, vcc_lo
	v_lshlrev_b64 v[14:15], 3, v[8:9]
	v_sub_nc_u32_e32 v8, v44, v1
	v_add_co_u32 v10, vcc_lo, v6, v10
	v_add_co_ci_u32_e32 v11, vcc_lo, v7, v11, vcc_lo
	s_delay_alu instid0(VALU_DEP_3) | instskip(SKIP_3) | instid1(VALU_DEP_3)
	v_lshlrev_b64 v[16:17], 3, v[8:9]
	v_sub_nc_u32_e32 v8, v43, v1
	v_add_co_u32 v14, vcc_lo, v6, v14
	v_add_co_ci_u32_e32 v15, vcc_lo, v7, v15, vcc_lo
	v_lshlrev_b64 v[18:19], 3, v[8:9]
	v_sub_nc_u32_e32 v8, v42, v1
	v_add_co_u32 v16, vcc_lo, v6, v16
	v_add_co_ci_u32_e32 v17, vcc_lo, v7, v17, vcc_lo
	s_clause 0x3
	global_store_b64 v[12:13], v[105:106], off
	global_store_b64 v[10:11], v[103:104], off
	;; [unrolled: 1-line block ×4, first 2 shown]
	v_lshlrev_b64 v[10:11], 3, v[8:9]
	v_sub_nc_u32_e32 v8, v41, v1
	v_add_co_u32 v12, vcc_lo, v6, v18
	v_add_co_ci_u32_e32 v13, vcc_lo, v7, v19, vcc_lo
	s_delay_alu instid0(VALU_DEP_3) | instskip(SKIP_3) | instid1(VALU_DEP_3)
	v_lshlrev_b64 v[14:15], 3, v[8:9]
	v_sub_nc_u32_e32 v8, v40, v1
	v_add_co_u32 v10, vcc_lo, v6, v10
	v_add_co_ci_u32_e32 v11, vcc_lo, v7, v11, vcc_lo
	v_lshlrev_b64 v[16:17], 3, v[8:9]
	v_sub_nc_u32_e32 v8, v39, v1
	v_add_co_u32 v14, vcc_lo, v6, v14
	v_add_co_ci_u32_e32 v15, vcc_lo, v7, v15, vcc_lo
	s_delay_alu instid0(VALU_DEP_3)
	v_lshlrev_b64 v[18:19], 3, v[8:9]
	v_sub_nc_u32_e32 v8, v38, v1
	v_add_co_u32 v16, vcc_lo, v6, v16
	v_add_co_ci_u32_e32 v17, vcc_lo, v7, v17, vcc_lo
	s_clause 0x3
	global_store_b64 v[12:13], v[91:92], off
	global_store_b64 v[10:11], v[95:96], off
	;; [unrolled: 1-line block ×4, first 2 shown]
	v_lshlrev_b64 v[10:11], 3, v[8:9]
	v_sub_nc_u32_e32 v8, v37, v1
	v_add_co_u32 v12, vcc_lo, v6, v18
	v_add_co_ci_u32_e32 v13, vcc_lo, v7, v19, vcc_lo
	s_delay_alu instid0(VALU_DEP_3) | instskip(SKIP_3) | instid1(VALU_DEP_3)
	v_lshlrev_b64 v[14:15], 3, v[8:9]
	v_sub_nc_u32_e32 v8, v36, v1
	v_add_co_u32 v10, vcc_lo, v6, v10
	v_add_co_ci_u32_e32 v11, vcc_lo, v7, v11, vcc_lo
	v_lshlrev_b64 v[8:9], 3, v[8:9]
	v_add_co_u32 v14, vcc_lo, v6, v14
	v_add_co_ci_u32_e32 v15, vcc_lo, v7, v15, vcc_lo
	s_clause 0x2
	global_store_b64 v[12:13], v[81:82], off
	global_store_b64 v[10:11], v[83:84], off
	;; [unrolled: 1-line block ×3, first 2 shown]
	v_add_co_u32 v8, vcc_lo, v6, v8
	v_add_co_ci_u32_e32 v9, vcc_lo, v7, v9, vcc_lo
	global_store_b64 v[8:9], v[107:108], off
	s_or_b32 exec_lo, exec_lo, s15
	s_delay_alu instid0(SALU_CYCLE_1)
	s_and_b32 exec_lo, exec_lo, s17
	s_cbranch_execnz .LBB58_231
	s_branch .LBB58_232
.LBB58_329:
	s_and_saveexec_b32 s17, s14
	s_cbranch_execnz .LBB58_385
; %bb.330:
	s_or_b32 exec_lo, exec_lo, s17
	s_and_saveexec_b32 s14, s13
	s_cbranch_execnz .LBB58_386
.LBB58_331:
	s_or_b32 exec_lo, exec_lo, s14
	s_and_saveexec_b32 s13, s12
	s_cbranch_execnz .LBB58_387
.LBB58_332:
	s_or_b32 exec_lo, exec_lo, s13
	s_and_saveexec_b32 s12, s11
	s_cbranch_execnz .LBB58_388
.LBB58_333:
	s_or_b32 exec_lo, exec_lo, s12
	s_and_saveexec_b32 s11, s10
	s_cbranch_execnz .LBB58_389
.LBB58_334:
	s_or_b32 exec_lo, exec_lo, s11
	s_and_saveexec_b32 s10, s9
	s_cbranch_execnz .LBB58_390
.LBB58_335:
	s_or_b32 exec_lo, exec_lo, s10
	s_and_saveexec_b32 s9, s8
	s_cbranch_execnz .LBB58_391
.LBB58_336:
	s_or_b32 exec_lo, exec_lo, s9
	s_and_saveexec_b32 s8, s7
	s_cbranch_execnz .LBB58_392
.LBB58_337:
	s_or_b32 exec_lo, exec_lo, s8
	s_and_saveexec_b32 s7, s6
	s_cbranch_execnz .LBB58_393
.LBB58_338:
	s_or_b32 exec_lo, exec_lo, s7
	s_and_saveexec_b32 s6, s5
	s_cbranch_execnz .LBB58_394
.LBB58_339:
	s_or_b32 exec_lo, exec_lo, s6
	s_and_saveexec_b32 s5, s4
	s_cbranch_execnz .LBB58_395
.LBB58_340:
	s_or_b32 exec_lo, exec_lo, s5
	s_and_saveexec_b32 s4, s3
	s_cbranch_execnz .LBB58_396
.LBB58_341:
	s_or_b32 exec_lo, exec_lo, s4
	s_and_saveexec_b32 s3, s2
	s_cbranch_execnz .LBB58_397
.LBB58_342:
	s_or_b32 exec_lo, exec_lo, s3
	s_and_saveexec_b32 s2, s1
	s_cbranch_execz .LBB58_344
.LBB58_343:
	v_sub_nc_u32_e32 v2, v36, v1
	s_delay_alu instid0(VALU_DEP_1)
	v_lshlrev_b32_e32 v2, 3, v2
	ds_store_b64 v2, v[107:108]
.LBB58_344:
	s_or_b32 exec_lo, exec_lo, s2
	s_delay_alu instid0(SALU_CYCLE_1)
	s_and_b32 s17, s0, exec_lo
                                        ; implicit-def: $vgpr99_vgpr100
                                        ; implicit-def: $vgpr101_vgpr102
                                        ; implicit-def: $vgpr105_vgpr106
                                        ; implicit-def: $vgpr103_vgpr104
                                        ; implicit-def: $vgpr87_vgpr88
                                        ; implicit-def: $vgpr89_vgpr90
                                        ; implicit-def: $vgpr91_vgpr92
                                        ; implicit-def: $vgpr95_vgpr96
                                        ; implicit-def: $vgpr93_vgpr94
                                        ; implicit-def: $vgpr79_vgpr80
                                        ; implicit-def: $vgpr81_vgpr82
                                        ; implicit-def: $vgpr83_vgpr84
                                        ; implicit-def: $vgpr85_vgpr86
                                        ; implicit-def: $vgpr107_vgpr108
                                        ; implicit-def: $vgpr71
                                        ; implicit-def: $vgpr46
                                        ; implicit-def: $vgpr48
                                        ; implicit-def: $vgpr47
                                        ; implicit-def: $vgpr45
                                        ; implicit-def: $vgpr44
                                        ; implicit-def: $vgpr43
                                        ; implicit-def: $vgpr42
                                        ; implicit-def: $vgpr41
                                        ; implicit-def: $vgpr40
                                        ; implicit-def: $vgpr39
                                        ; implicit-def: $vgpr38
                                        ; implicit-def: $vgpr37
                                        ; implicit-def: $vgpr36
	s_and_not1_saveexec_b32 s0, s16
	s_cbranch_execz .LBB58_236
.LBB58_345:
	v_sub_nc_u32_e32 v2, v71, v1
	v_sub_nc_u32_e32 v8, v46, v1
	;; [unrolled: 1-line block ×5, first 2 shown]
	v_lshlrev_b32_e32 v2, 3, v2
	v_lshlrev_b32_e32 v8, 3, v8
	;; [unrolled: 1-line block ×4, first 2 shown]
	s_or_b32 s17, s17, exec_lo
	ds_store_b64 v2, v[99:100]
	ds_store_b64 v8, v[101:102]
	;; [unrolled: 1-line block ×3, first 2 shown]
	v_sub_nc_u32_e32 v2, v45, v1
	v_sub_nc_u32_e32 v8, v44, v1
	;; [unrolled: 1-line block ×3, first 2 shown]
	ds_store_b64 v10, v[103:104]
	v_sub_nc_u32_e32 v10, v42, v1
	v_lshlrev_b32_e32 v2, 3, v2
	v_lshlrev_b32_e32 v8, 3, v8
	;; [unrolled: 1-line block ×3, first 2 shown]
	s_delay_alu instid0(VALU_DEP_4)
	v_lshlrev_b32_e32 v10, 3, v10
	ds_store_b64 v2, v[87:88]
	v_lshlrev_b32_e32 v2, 3, v11
	ds_store_b64 v8, v[89:90]
	ds_store_b64 v9, v[91:92]
	ds_store_b64 v10, v[95:96]
	v_sub_nc_u32_e32 v8, v40, v1
	v_sub_nc_u32_e32 v11, v36, v1
	;; [unrolled: 1-line block ×3, first 2 shown]
	ds_store_b64 v2, v[93:94]
	v_sub_nc_u32_e32 v2, v39, v1
	v_lshlrev_b32_e32 v8, 3, v8
	v_sub_nc_u32_e32 v10, v37, v1
	v_lshlrev_b32_e32 v9, 3, v9
	s_delay_alu instid0(VALU_DEP_4)
	v_lshlrev_b32_e32 v2, 3, v2
	ds_store_b64 v8, v[79:80]
	v_lshlrev_b32_e32 v8, 3, v11
	v_lshlrev_b32_e32 v10, 3, v10
	ds_store_b64 v2, v[81:82]
	ds_store_b64 v9, v[83:84]
	ds_store_b64 v10, v[85:86]
	ds_store_b64 v8, v[107:108]
	s_or_b32 exec_lo, exec_lo, s0
	s_delay_alu instid0(SALU_CYCLE_1)
	s_and_b32 exec_lo, exec_lo, s17
	s_cbranch_execnz .LBB58_237
	s_branch .LBB58_238
.LBB58_346:
	v_sub_nc_u32_e32 v52, v71, v77
	v_mov_b32_e32 v53, 0
	s_delay_alu instid0(VALU_DEP_1) | instskip(NEXT) | instid1(VALU_DEP_1)
	v_lshlrev_b64 v[52:53], 3, v[52:53]
	v_add_co_u32 v52, vcc_lo, v49, v52
	s_delay_alu instid0(VALU_DEP_2)
	v_add_co_ci_u32_e32 v53, vcc_lo, v50, v53, vcc_lo
	global_store_b64 v[52:53], v[25:26], off
	s_or_b32 exec_lo, exec_lo, s17
	s_and_saveexec_b32 s17, s11
	s_cbranch_execz .LBB58_280
.LBB58_347:
	v_sub_nc_u32_e32 v52, v46, v77
	v_mov_b32_e32 v53, 0
	s_delay_alu instid0(VALU_DEP_1) | instskip(NEXT) | instid1(VALU_DEP_1)
	v_lshlrev_b64 v[52:53], 3, v[52:53]
	v_add_co_u32 v52, vcc_lo, v49, v52
	s_delay_alu instid0(VALU_DEP_2)
	v_add_co_ci_u32_e32 v53, vcc_lo, v50, v53, vcc_lo
	global_store_b64 v[52:53], v[27:28], off
	s_or_b32 exec_lo, exec_lo, s17
	s_and_saveexec_b32 s17, s9
	s_cbranch_execz .LBB58_281
.LBB58_348:
	v_sub_nc_u32_e32 v52, v48, v77
	v_mov_b32_e32 v53, 0
	s_delay_alu instid0(VALU_DEP_1) | instskip(NEXT) | instid1(VALU_DEP_1)
	v_lshlrev_b64 v[52:53], 3, v[52:53]
	v_add_co_u32 v52, vcc_lo, v49, v52
	s_delay_alu instid0(VALU_DEP_2)
	v_add_co_ci_u32_e32 v53, vcc_lo, v50, v53, vcc_lo
	global_store_b64 v[52:53], v[21:22], off
	s_or_b32 exec_lo, exec_lo, s17
	s_and_saveexec_b32 s17, s8
	s_cbranch_execz .LBB58_282
.LBB58_349:
	v_sub_nc_u32_e32 v52, v47, v77
	v_mov_b32_e32 v53, 0
	s_delay_alu instid0(VALU_DEP_1) | instskip(NEXT) | instid1(VALU_DEP_1)
	v_lshlrev_b64 v[52:53], 3, v[52:53]
	v_add_co_u32 v52, vcc_lo, v49, v52
	s_delay_alu instid0(VALU_DEP_2)
	v_add_co_ci_u32_e32 v53, vcc_lo, v50, v53, vcc_lo
	global_store_b64 v[52:53], v[23:24], off
	s_or_b32 exec_lo, exec_lo, s17
	s_and_saveexec_b32 s17, s14
	s_cbranch_execz .LBB58_283
.LBB58_350:
	v_sub_nc_u32_e32 v52, v45, v77
	v_mov_b32_e32 v53, 0
	s_delay_alu instid0(VALU_DEP_1) | instskip(NEXT) | instid1(VALU_DEP_1)
	v_lshlrev_b64 v[52:53], 3, v[52:53]
	v_add_co_u32 v52, vcc_lo, v49, v52
	s_delay_alu instid0(VALU_DEP_2)
	v_add_co_ci_u32_e32 v53, vcc_lo, v50, v53, vcc_lo
	global_store_b64 v[52:53], v[17:18], off
	s_or_b32 exec_lo, exec_lo, s17
	s_and_saveexec_b32 s17, s13
	s_cbranch_execz .LBB58_284
.LBB58_351:
	v_sub_nc_u32_e32 v52, v44, v77
	v_mov_b32_e32 v53, 0
	s_delay_alu instid0(VALU_DEP_1) | instskip(NEXT) | instid1(VALU_DEP_1)
	v_lshlrev_b64 v[52:53], 3, v[52:53]
	v_add_co_u32 v52, vcc_lo, v49, v52
	s_delay_alu instid0(VALU_DEP_2)
	v_add_co_ci_u32_e32 v53, vcc_lo, v50, v53, vcc_lo
	global_store_b64 v[52:53], v[19:20], off
	s_or_b32 exec_lo, exec_lo, s17
	s_and_saveexec_b32 s17, s10
	s_cbranch_execz .LBB58_285
.LBB58_352:
	v_sub_nc_u32_e32 v52, v43, v77
	v_mov_b32_e32 v53, 0
	s_delay_alu instid0(VALU_DEP_1) | instskip(NEXT) | instid1(VALU_DEP_1)
	v_lshlrev_b64 v[52:53], 3, v[52:53]
	v_add_co_u32 v52, vcc_lo, v49, v52
	s_delay_alu instid0(VALU_DEP_2)
	v_add_co_ci_u32_e32 v53, vcc_lo, v50, v53, vcc_lo
	global_store_b64 v[52:53], v[13:14], off
	s_or_b32 exec_lo, exec_lo, s17
	s_and_saveexec_b32 s17, s7
	s_cbranch_execz .LBB58_286
.LBB58_353:
	v_sub_nc_u32_e32 v52, v42, v77
	v_mov_b32_e32 v53, 0
	s_delay_alu instid0(VALU_DEP_1) | instskip(NEXT) | instid1(VALU_DEP_1)
	v_lshlrev_b64 v[52:53], 3, v[52:53]
	v_add_co_u32 v52, vcc_lo, v49, v52
	s_delay_alu instid0(VALU_DEP_2)
	v_add_co_ci_u32_e32 v53, vcc_lo, v50, v53, vcc_lo
	global_store_b64 v[52:53], v[15:16], off
	s_or_b32 exec_lo, exec_lo, s17
	s_and_saveexec_b32 s17, s6
	s_cbranch_execz .LBB58_287
.LBB58_354:
	v_sub_nc_u32_e32 v52, v41, v77
	v_mov_b32_e32 v53, 0
	s_delay_alu instid0(VALU_DEP_1) | instskip(NEXT) | instid1(VALU_DEP_1)
	v_lshlrev_b64 v[52:53], 3, v[52:53]
	v_add_co_u32 v52, vcc_lo, v49, v52
	s_delay_alu instid0(VALU_DEP_2)
	v_add_co_ci_u32_e32 v53, vcc_lo, v50, v53, vcc_lo
	global_store_b64 v[52:53], v[9:10], off
	s_or_b32 exec_lo, exec_lo, s17
	s_and_saveexec_b32 s17, s5
	s_cbranch_execz .LBB58_288
.LBB58_355:
	v_sub_nc_u32_e32 v52, v40, v77
	v_mov_b32_e32 v53, 0
	s_delay_alu instid0(VALU_DEP_1) | instskip(NEXT) | instid1(VALU_DEP_1)
	v_lshlrev_b64 v[52:53], 3, v[52:53]
	v_add_co_u32 v52, vcc_lo, v49, v52
	s_delay_alu instid0(VALU_DEP_2)
	v_add_co_ci_u32_e32 v53, vcc_lo, v50, v53, vcc_lo
	global_store_b64 v[52:53], v[11:12], off
	s_or_b32 exec_lo, exec_lo, s17
	s_and_saveexec_b32 s17, s4
	s_cbranch_execz .LBB58_289
.LBB58_356:
	v_sub_nc_u32_e32 v52, v39, v77
	v_mov_b32_e32 v53, 0
	s_delay_alu instid0(VALU_DEP_1) | instskip(NEXT) | instid1(VALU_DEP_1)
	v_lshlrev_b64 v[52:53], 3, v[52:53]
	v_add_co_u32 v52, vcc_lo, v49, v52
	s_delay_alu instid0(VALU_DEP_2)
	v_add_co_ci_u32_e32 v53, vcc_lo, v50, v53, vcc_lo
	global_store_b64 v[52:53], v[5:6], off
	s_or_b32 exec_lo, exec_lo, s17
	s_and_saveexec_b32 s17, s3
	s_cbranch_execz .LBB58_290
.LBB58_357:
	v_sub_nc_u32_e32 v52, v38, v77
	v_mov_b32_e32 v53, 0
	s_delay_alu instid0(VALU_DEP_1) | instskip(NEXT) | instid1(VALU_DEP_1)
	v_lshlrev_b64 v[52:53], 3, v[52:53]
	v_add_co_u32 v52, vcc_lo, v49, v52
	s_delay_alu instid0(VALU_DEP_2)
	v_add_co_ci_u32_e32 v53, vcc_lo, v50, v53, vcc_lo
	global_store_b64 v[52:53], v[7:8], off
	s_or_b32 exec_lo, exec_lo, s17
	s_and_saveexec_b32 s17, s2
	s_cbranch_execz .LBB58_291
.LBB58_358:
	v_sub_nc_u32_e32 v52, v37, v77
	v_mov_b32_e32 v53, 0
	s_delay_alu instid0(VALU_DEP_1) | instskip(NEXT) | instid1(VALU_DEP_1)
	v_lshlrev_b64 v[52:53], 3, v[52:53]
	v_add_co_u32 v52, vcc_lo, v49, v52
	s_delay_alu instid0(VALU_DEP_2)
	v_add_co_ci_u32_e32 v53, vcc_lo, v50, v53, vcc_lo
	global_store_b64 v[52:53], v[1:2], off
	s_or_b32 exec_lo, exec_lo, s17
	s_and_saveexec_b32 s17, s1
	s_cbranch_execnz .LBB58_292
	s_branch .LBB58_293
.LBB58_359:
	v_sub_nc_u32_e32 v51, v71, v77
	s_delay_alu instid0(VALU_DEP_1)
	v_lshlrev_b32_e32 v51, 3, v51
	ds_store_b64 v51, v[25:26]
	s_or_b32 exec_lo, exec_lo, s17
	s_and_saveexec_b32 s12, s11
	s_cbranch_execz .LBB58_297
.LBB58_360:
	v_sub_nc_u32_e32 v25, v46, v77
	s_delay_alu instid0(VALU_DEP_1)
	v_lshlrev_b32_e32 v25, 3, v25
	ds_store_b64 v25, v[27:28]
	s_or_b32 exec_lo, exec_lo, s12
	s_and_saveexec_b32 s11, s9
	s_cbranch_execz .LBB58_298
.LBB58_361:
	v_sub_nc_u32_e32 v25, v48, v77
	s_delay_alu instid0(VALU_DEP_1)
	v_lshlrev_b32_e32 v25, 3, v25
	ds_store_b64 v25, v[21:22]
	s_or_b32 exec_lo, exec_lo, s11
	s_and_saveexec_b32 s9, s8
	s_cbranch_execz .LBB58_299
.LBB58_362:
	v_sub_nc_u32_e32 v21, v47, v77
	s_delay_alu instid0(VALU_DEP_1)
	v_lshlrev_b32_e32 v21, 3, v21
	ds_store_b64 v21, v[23:24]
	s_or_b32 exec_lo, exec_lo, s9
	s_and_saveexec_b32 s8, s14
	s_cbranch_execz .LBB58_300
.LBB58_363:
	v_sub_nc_u32_e32 v21, v45, v77
	s_delay_alu instid0(VALU_DEP_1)
	v_lshlrev_b32_e32 v21, 3, v21
	ds_store_b64 v21, v[17:18]
	s_or_b32 exec_lo, exec_lo, s8
	s_and_saveexec_b32 s8, s13
	s_cbranch_execz .LBB58_301
.LBB58_364:
	v_sub_nc_u32_e32 v17, v44, v77
	s_delay_alu instid0(VALU_DEP_1)
	v_lshlrev_b32_e32 v17, 3, v17
	ds_store_b64 v17, v[19:20]
	s_or_b32 exec_lo, exec_lo, s8
	s_and_saveexec_b32 s8, s10
	s_cbranch_execz .LBB58_302
.LBB58_365:
	v_sub_nc_u32_e32 v17, v43, v77
	s_delay_alu instid0(VALU_DEP_1)
	v_lshlrev_b32_e32 v17, 3, v17
	ds_store_b64 v17, v[13:14]
	s_or_b32 exec_lo, exec_lo, s8
	s_and_saveexec_b32 s8, s7
	s_cbranch_execz .LBB58_303
.LBB58_366:
	v_sub_nc_u32_e32 v13, v42, v77
	s_delay_alu instid0(VALU_DEP_1)
	v_lshlrev_b32_e32 v13, 3, v13
	ds_store_b64 v13, v[15:16]
	s_or_b32 exec_lo, exec_lo, s8
	s_and_saveexec_b32 s7, s6
	s_cbranch_execz .LBB58_304
.LBB58_367:
	v_sub_nc_u32_e32 v13, v41, v77
	s_delay_alu instid0(VALU_DEP_1)
	v_lshlrev_b32_e32 v13, 3, v13
	ds_store_b64 v13, v[9:10]
	s_or_b32 exec_lo, exec_lo, s7
	s_and_saveexec_b32 s6, s5
	s_cbranch_execz .LBB58_305
.LBB58_368:
	v_sub_nc_u32_e32 v9, v40, v77
	s_delay_alu instid0(VALU_DEP_1)
	v_lshlrev_b32_e32 v9, 3, v9
	ds_store_b64 v9, v[11:12]
	s_or_b32 exec_lo, exec_lo, s6
	s_and_saveexec_b32 s5, s4
	s_cbranch_execz .LBB58_306
.LBB58_369:
	v_sub_nc_u32_e32 v9, v39, v77
	s_delay_alu instid0(VALU_DEP_1)
	v_lshlrev_b32_e32 v9, 3, v9
	ds_store_b64 v9, v[5:6]
	s_or_b32 exec_lo, exec_lo, s5
	s_and_saveexec_b32 s4, s3
	s_cbranch_execz .LBB58_307
.LBB58_370:
	v_sub_nc_u32_e32 v5, v38, v77
	s_delay_alu instid0(VALU_DEP_1)
	v_lshlrev_b32_e32 v5, 3, v5
	ds_store_b64 v5, v[7:8]
	s_or_b32 exec_lo, exec_lo, s4
	s_and_saveexec_b32 s3, s2
	s_cbranch_execz .LBB58_308
.LBB58_371:
	v_sub_nc_u32_e32 v5, v37, v77
	s_delay_alu instid0(VALU_DEP_1)
	v_lshlrev_b32_e32 v5, 3, v5
	ds_store_b64 v5, v[1:2]
	s_or_b32 exec_lo, exec_lo, s3
	s_and_saveexec_b32 s2, s1
	s_cbranch_execnz .LBB58_309
	s_branch .LBB58_310
.LBB58_372:
	v_sub_nc_u32_e32 v8, v71, v1
	v_mov_b32_e32 v9, 0
	s_delay_alu instid0(VALU_DEP_1) | instskip(NEXT) | instid1(VALU_DEP_1)
	v_lshlrev_b64 v[8:9], 3, v[8:9]
	v_add_co_u32 v8, vcc_lo, v6, v8
	s_delay_alu instid0(VALU_DEP_2)
	v_add_co_ci_u32_e32 v9, vcc_lo, v7, v9, vcc_lo
	global_store_b64 v[8:9], v[99:100], off
	s_or_b32 exec_lo, exec_lo, s17
	s_and_saveexec_b32 s17, s13
	s_cbranch_execz .LBB58_314
.LBB58_373:
	v_sub_nc_u32_e32 v8, v46, v1
	v_mov_b32_e32 v9, 0
	s_delay_alu instid0(VALU_DEP_1) | instskip(NEXT) | instid1(VALU_DEP_1)
	v_lshlrev_b64 v[8:9], 3, v[8:9]
	v_add_co_u32 v8, vcc_lo, v6, v8
	s_delay_alu instid0(VALU_DEP_2)
	v_add_co_ci_u32_e32 v9, vcc_lo, v7, v9, vcc_lo
	global_store_b64 v[8:9], v[101:102], off
	s_or_b32 exec_lo, exec_lo, s17
	s_and_saveexec_b32 s17, s12
	s_cbranch_execz .LBB58_315
.LBB58_374:
	v_sub_nc_u32_e32 v8, v48, v1
	v_mov_b32_e32 v9, 0
	s_delay_alu instid0(VALU_DEP_1) | instskip(NEXT) | instid1(VALU_DEP_1)
	v_lshlrev_b64 v[8:9], 3, v[8:9]
	v_add_co_u32 v8, vcc_lo, v6, v8
	s_delay_alu instid0(VALU_DEP_2)
	v_add_co_ci_u32_e32 v9, vcc_lo, v7, v9, vcc_lo
	global_store_b64 v[8:9], v[105:106], off
	s_or_b32 exec_lo, exec_lo, s17
	s_and_saveexec_b32 s17, s11
	s_cbranch_execz .LBB58_316
.LBB58_375:
	v_sub_nc_u32_e32 v8, v47, v1
	v_mov_b32_e32 v9, 0
	s_delay_alu instid0(VALU_DEP_1) | instskip(NEXT) | instid1(VALU_DEP_1)
	v_lshlrev_b64 v[8:9], 3, v[8:9]
	v_add_co_u32 v8, vcc_lo, v6, v8
	s_delay_alu instid0(VALU_DEP_2)
	v_add_co_ci_u32_e32 v9, vcc_lo, v7, v9, vcc_lo
	global_store_b64 v[8:9], v[103:104], off
	s_or_b32 exec_lo, exec_lo, s17
	s_and_saveexec_b32 s17, s10
	s_cbranch_execz .LBB58_317
.LBB58_376:
	v_sub_nc_u32_e32 v8, v45, v1
	v_mov_b32_e32 v9, 0
	s_delay_alu instid0(VALU_DEP_1) | instskip(NEXT) | instid1(VALU_DEP_1)
	v_lshlrev_b64 v[8:9], 3, v[8:9]
	v_add_co_u32 v8, vcc_lo, v6, v8
	s_delay_alu instid0(VALU_DEP_2)
	v_add_co_ci_u32_e32 v9, vcc_lo, v7, v9, vcc_lo
	global_store_b64 v[8:9], v[87:88], off
	s_or_b32 exec_lo, exec_lo, s17
	s_and_saveexec_b32 s17, s9
	s_cbranch_execz .LBB58_318
.LBB58_377:
	v_sub_nc_u32_e32 v8, v44, v1
	v_mov_b32_e32 v9, 0
	s_delay_alu instid0(VALU_DEP_1) | instskip(NEXT) | instid1(VALU_DEP_1)
	v_lshlrev_b64 v[8:9], 3, v[8:9]
	v_add_co_u32 v8, vcc_lo, v6, v8
	s_delay_alu instid0(VALU_DEP_2)
	v_add_co_ci_u32_e32 v9, vcc_lo, v7, v9, vcc_lo
	global_store_b64 v[8:9], v[89:90], off
	s_or_b32 exec_lo, exec_lo, s17
	s_and_saveexec_b32 s17, s8
	s_cbranch_execz .LBB58_319
.LBB58_378:
	v_sub_nc_u32_e32 v8, v43, v1
	v_mov_b32_e32 v9, 0
	s_delay_alu instid0(VALU_DEP_1) | instskip(NEXT) | instid1(VALU_DEP_1)
	v_lshlrev_b64 v[8:9], 3, v[8:9]
	v_add_co_u32 v8, vcc_lo, v6, v8
	s_delay_alu instid0(VALU_DEP_2)
	v_add_co_ci_u32_e32 v9, vcc_lo, v7, v9, vcc_lo
	global_store_b64 v[8:9], v[91:92], off
	s_or_b32 exec_lo, exec_lo, s17
	s_and_saveexec_b32 s17, s7
	s_cbranch_execz .LBB58_320
.LBB58_379:
	v_sub_nc_u32_e32 v8, v42, v1
	v_mov_b32_e32 v9, 0
	s_delay_alu instid0(VALU_DEP_1) | instskip(NEXT) | instid1(VALU_DEP_1)
	v_lshlrev_b64 v[8:9], 3, v[8:9]
	v_add_co_u32 v8, vcc_lo, v6, v8
	s_delay_alu instid0(VALU_DEP_2)
	v_add_co_ci_u32_e32 v9, vcc_lo, v7, v9, vcc_lo
	global_store_b64 v[8:9], v[95:96], off
	s_or_b32 exec_lo, exec_lo, s17
	s_and_saveexec_b32 s17, s6
	s_cbranch_execz .LBB58_321
.LBB58_380:
	v_sub_nc_u32_e32 v8, v41, v1
	v_mov_b32_e32 v9, 0
	s_delay_alu instid0(VALU_DEP_1) | instskip(NEXT) | instid1(VALU_DEP_1)
	v_lshlrev_b64 v[8:9], 3, v[8:9]
	v_add_co_u32 v8, vcc_lo, v6, v8
	s_delay_alu instid0(VALU_DEP_2)
	v_add_co_ci_u32_e32 v9, vcc_lo, v7, v9, vcc_lo
	global_store_b64 v[8:9], v[93:94], off
	s_or_b32 exec_lo, exec_lo, s17
	s_and_saveexec_b32 s17, s5
	s_cbranch_execz .LBB58_322
.LBB58_381:
	v_sub_nc_u32_e32 v8, v40, v1
	v_mov_b32_e32 v9, 0
	s_delay_alu instid0(VALU_DEP_1) | instskip(NEXT) | instid1(VALU_DEP_1)
	v_lshlrev_b64 v[8:9], 3, v[8:9]
	v_add_co_u32 v8, vcc_lo, v6, v8
	s_delay_alu instid0(VALU_DEP_2)
	v_add_co_ci_u32_e32 v9, vcc_lo, v7, v9, vcc_lo
	global_store_b64 v[8:9], v[79:80], off
	s_or_b32 exec_lo, exec_lo, s17
	s_and_saveexec_b32 s17, s4
	s_cbranch_execz .LBB58_323
.LBB58_382:
	v_sub_nc_u32_e32 v8, v39, v1
	v_mov_b32_e32 v9, 0
	s_delay_alu instid0(VALU_DEP_1) | instskip(NEXT) | instid1(VALU_DEP_1)
	v_lshlrev_b64 v[8:9], 3, v[8:9]
	v_add_co_u32 v8, vcc_lo, v6, v8
	s_delay_alu instid0(VALU_DEP_2)
	v_add_co_ci_u32_e32 v9, vcc_lo, v7, v9, vcc_lo
	global_store_b64 v[8:9], v[81:82], off
	s_or_b32 exec_lo, exec_lo, s17
	s_and_saveexec_b32 s17, s3
	s_cbranch_execz .LBB58_324
.LBB58_383:
	v_sub_nc_u32_e32 v8, v38, v1
	v_mov_b32_e32 v9, 0
	s_delay_alu instid0(VALU_DEP_1) | instskip(NEXT) | instid1(VALU_DEP_1)
	v_lshlrev_b64 v[8:9], 3, v[8:9]
	v_add_co_u32 v8, vcc_lo, v6, v8
	s_delay_alu instid0(VALU_DEP_2)
	v_add_co_ci_u32_e32 v9, vcc_lo, v7, v9, vcc_lo
	global_store_b64 v[8:9], v[83:84], off
	s_or_b32 exec_lo, exec_lo, s17
	s_and_saveexec_b32 s17, s2
	s_cbranch_execz .LBB58_325
.LBB58_384:
	v_sub_nc_u32_e32 v8, v37, v1
	v_mov_b32_e32 v9, 0
	s_delay_alu instid0(VALU_DEP_1) | instskip(NEXT) | instid1(VALU_DEP_1)
	v_lshlrev_b64 v[8:9], 3, v[8:9]
	v_add_co_u32 v8, vcc_lo, v6, v8
	s_delay_alu instid0(VALU_DEP_2)
	v_add_co_ci_u32_e32 v9, vcc_lo, v7, v9, vcc_lo
	global_store_b64 v[8:9], v[85:86], off
	s_or_b32 exec_lo, exec_lo, s17
	s_and_saveexec_b32 s17, s1
	s_cbranch_execnz .LBB58_326
	s_branch .LBB58_327
.LBB58_385:
	v_sub_nc_u32_e32 v2, v71, v1
	s_delay_alu instid0(VALU_DEP_1)
	v_lshlrev_b32_e32 v2, 3, v2
	ds_store_b64 v2, v[99:100]
	s_or_b32 exec_lo, exec_lo, s17
	s_and_saveexec_b32 s14, s13
	s_cbranch_execz .LBB58_331
.LBB58_386:
	v_sub_nc_u32_e32 v2, v46, v1
	s_delay_alu instid0(VALU_DEP_1)
	v_lshlrev_b32_e32 v2, 3, v2
	ds_store_b64 v2, v[101:102]
	s_or_b32 exec_lo, exec_lo, s14
	s_and_saveexec_b32 s13, s12
	s_cbranch_execz .LBB58_332
.LBB58_387:
	v_sub_nc_u32_e32 v2, v48, v1
	s_delay_alu instid0(VALU_DEP_1)
	v_lshlrev_b32_e32 v2, 3, v2
	ds_store_b64 v2, v[105:106]
	s_or_b32 exec_lo, exec_lo, s13
	s_and_saveexec_b32 s12, s11
	s_cbranch_execz .LBB58_333
.LBB58_388:
	v_sub_nc_u32_e32 v2, v47, v1
	s_delay_alu instid0(VALU_DEP_1)
	v_lshlrev_b32_e32 v2, 3, v2
	ds_store_b64 v2, v[103:104]
	s_or_b32 exec_lo, exec_lo, s12
	s_and_saveexec_b32 s11, s10
	s_cbranch_execz .LBB58_334
.LBB58_389:
	v_sub_nc_u32_e32 v2, v45, v1
	s_delay_alu instid0(VALU_DEP_1)
	v_lshlrev_b32_e32 v2, 3, v2
	ds_store_b64 v2, v[87:88]
	s_or_b32 exec_lo, exec_lo, s11
	s_and_saveexec_b32 s10, s9
	s_cbranch_execz .LBB58_335
.LBB58_390:
	v_sub_nc_u32_e32 v2, v44, v1
	s_delay_alu instid0(VALU_DEP_1)
	v_lshlrev_b32_e32 v2, 3, v2
	ds_store_b64 v2, v[89:90]
	s_or_b32 exec_lo, exec_lo, s10
	s_and_saveexec_b32 s9, s8
	s_cbranch_execz .LBB58_336
.LBB58_391:
	v_sub_nc_u32_e32 v2, v43, v1
	s_delay_alu instid0(VALU_DEP_1)
	v_lshlrev_b32_e32 v2, 3, v2
	ds_store_b64 v2, v[91:92]
	s_or_b32 exec_lo, exec_lo, s9
	s_and_saveexec_b32 s8, s7
	s_cbranch_execz .LBB58_337
.LBB58_392:
	v_sub_nc_u32_e32 v2, v42, v1
	s_delay_alu instid0(VALU_DEP_1)
	v_lshlrev_b32_e32 v2, 3, v2
	ds_store_b64 v2, v[95:96]
	s_or_b32 exec_lo, exec_lo, s8
	s_and_saveexec_b32 s7, s6
	s_cbranch_execz .LBB58_338
.LBB58_393:
	v_sub_nc_u32_e32 v2, v41, v1
	s_delay_alu instid0(VALU_DEP_1)
	v_lshlrev_b32_e32 v2, 3, v2
	ds_store_b64 v2, v[93:94]
	s_or_b32 exec_lo, exec_lo, s7
	s_and_saveexec_b32 s6, s5
	s_cbranch_execz .LBB58_339
.LBB58_394:
	v_sub_nc_u32_e32 v2, v40, v1
	s_delay_alu instid0(VALU_DEP_1)
	v_lshlrev_b32_e32 v2, 3, v2
	ds_store_b64 v2, v[79:80]
	s_or_b32 exec_lo, exec_lo, s6
	s_and_saveexec_b32 s5, s4
	s_cbranch_execz .LBB58_340
.LBB58_395:
	v_sub_nc_u32_e32 v2, v39, v1
	s_delay_alu instid0(VALU_DEP_1)
	v_lshlrev_b32_e32 v2, 3, v2
	ds_store_b64 v2, v[81:82]
	s_or_b32 exec_lo, exec_lo, s5
	s_and_saveexec_b32 s4, s3
	s_cbranch_execz .LBB58_341
.LBB58_396:
	v_sub_nc_u32_e32 v2, v38, v1
	s_delay_alu instid0(VALU_DEP_1)
	v_lshlrev_b32_e32 v2, 3, v2
	ds_store_b64 v2, v[83:84]
	s_or_b32 exec_lo, exec_lo, s4
	s_and_saveexec_b32 s3, s2
	s_cbranch_execz .LBB58_342
.LBB58_397:
	v_sub_nc_u32_e32 v2, v37, v1
	s_delay_alu instid0(VALU_DEP_1)
	v_lshlrev_b32_e32 v2, 3, v2
	ds_store_b64 v2, v[85:86]
	s_or_b32 exec_lo, exec_lo, s3
	s_and_saveexec_b32 s2, s1
	s_cbranch_execnz .LBB58_343
	s_branch .LBB58_344
	.section	.rodata,"a",@progbits
	.p2align	6, 0x0
	.amdhsa_kernel _ZN7rocprim17ROCPRIM_400000_NS6detail17trampoline_kernelINS0_14default_configENS1_29reduce_by_key_config_selectorIddN6thrust23THRUST_200600_302600_NS4plusIdEEEEZZNS1_33reduce_by_key_impl_wrapped_configILNS1_25lookback_scan_determinismE0ES3_S9_NS6_6detail15normal_iteratorINS6_10device_ptrIdEEEESG_SG_SG_PmS8_22is_equal_div_10_reduceIdEEE10hipError_tPvRmT2_T3_mT4_T5_T6_T7_T8_P12ihipStream_tbENKUlT_T0_E_clISt17integral_constantIbLb0EES11_EEDaSW_SX_EUlSW_E_NS1_11comp_targetILNS1_3genE9ELNS1_11target_archE1100ELNS1_3gpuE3ELNS1_3repE0EEENS1_30default_config_static_selectorELNS0_4arch9wavefront6targetE0EEEvT1_
		.amdhsa_group_segment_fixed_size 30720
		.amdhsa_private_segment_fixed_size 0
		.amdhsa_kernarg_size 136
		.amdhsa_user_sgpr_count 15
		.amdhsa_user_sgpr_dispatch_ptr 0
		.amdhsa_user_sgpr_queue_ptr 0
		.amdhsa_user_sgpr_kernarg_segment_ptr 1
		.amdhsa_user_sgpr_dispatch_id 0
		.amdhsa_user_sgpr_private_segment_size 0
		.amdhsa_wavefront_size32 1
		.amdhsa_uses_dynamic_stack 0
		.amdhsa_enable_private_segment 0
		.amdhsa_system_sgpr_workgroup_id_x 1
		.amdhsa_system_sgpr_workgroup_id_y 0
		.amdhsa_system_sgpr_workgroup_id_z 0
		.amdhsa_system_sgpr_workgroup_info 0
		.amdhsa_system_vgpr_workitem_id 0
		.amdhsa_next_free_vgpr 120
		.amdhsa_next_free_sgpr 48
		.amdhsa_reserve_vcc 1
		.amdhsa_float_round_mode_32 0
		.amdhsa_float_round_mode_16_64 0
		.amdhsa_float_denorm_mode_32 3
		.amdhsa_float_denorm_mode_16_64 3
		.amdhsa_dx10_clamp 1
		.amdhsa_ieee_mode 1
		.amdhsa_fp16_overflow 0
		.amdhsa_workgroup_processor_mode 1
		.amdhsa_memory_ordered 1
		.amdhsa_forward_progress 0
		.amdhsa_shared_vgpr_count 0
		.amdhsa_exception_fp_ieee_invalid_op 0
		.amdhsa_exception_fp_denorm_src 0
		.amdhsa_exception_fp_ieee_div_zero 0
		.amdhsa_exception_fp_ieee_overflow 0
		.amdhsa_exception_fp_ieee_underflow 0
		.amdhsa_exception_fp_ieee_inexact 0
		.amdhsa_exception_int_div_zero 0
	.end_amdhsa_kernel
	.section	.text._ZN7rocprim17ROCPRIM_400000_NS6detail17trampoline_kernelINS0_14default_configENS1_29reduce_by_key_config_selectorIddN6thrust23THRUST_200600_302600_NS4plusIdEEEEZZNS1_33reduce_by_key_impl_wrapped_configILNS1_25lookback_scan_determinismE0ES3_S9_NS6_6detail15normal_iteratorINS6_10device_ptrIdEEEESG_SG_SG_PmS8_22is_equal_div_10_reduceIdEEE10hipError_tPvRmT2_T3_mT4_T5_T6_T7_T8_P12ihipStream_tbENKUlT_T0_E_clISt17integral_constantIbLb0EES11_EEDaSW_SX_EUlSW_E_NS1_11comp_targetILNS1_3genE9ELNS1_11target_archE1100ELNS1_3gpuE3ELNS1_3repE0EEENS1_30default_config_static_selectorELNS0_4arch9wavefront6targetE0EEEvT1_,"axG",@progbits,_ZN7rocprim17ROCPRIM_400000_NS6detail17trampoline_kernelINS0_14default_configENS1_29reduce_by_key_config_selectorIddN6thrust23THRUST_200600_302600_NS4plusIdEEEEZZNS1_33reduce_by_key_impl_wrapped_configILNS1_25lookback_scan_determinismE0ES3_S9_NS6_6detail15normal_iteratorINS6_10device_ptrIdEEEESG_SG_SG_PmS8_22is_equal_div_10_reduceIdEEE10hipError_tPvRmT2_T3_mT4_T5_T6_T7_T8_P12ihipStream_tbENKUlT_T0_E_clISt17integral_constantIbLb0EES11_EEDaSW_SX_EUlSW_E_NS1_11comp_targetILNS1_3genE9ELNS1_11target_archE1100ELNS1_3gpuE3ELNS1_3repE0EEENS1_30default_config_static_selectorELNS0_4arch9wavefront6targetE0EEEvT1_,comdat
.Lfunc_end58:
	.size	_ZN7rocprim17ROCPRIM_400000_NS6detail17trampoline_kernelINS0_14default_configENS1_29reduce_by_key_config_selectorIddN6thrust23THRUST_200600_302600_NS4plusIdEEEEZZNS1_33reduce_by_key_impl_wrapped_configILNS1_25lookback_scan_determinismE0ES3_S9_NS6_6detail15normal_iteratorINS6_10device_ptrIdEEEESG_SG_SG_PmS8_22is_equal_div_10_reduceIdEEE10hipError_tPvRmT2_T3_mT4_T5_T6_T7_T8_P12ihipStream_tbENKUlT_T0_E_clISt17integral_constantIbLb0EES11_EEDaSW_SX_EUlSW_E_NS1_11comp_targetILNS1_3genE9ELNS1_11target_archE1100ELNS1_3gpuE3ELNS1_3repE0EEENS1_30default_config_static_selectorELNS0_4arch9wavefront6targetE0EEEvT1_, .Lfunc_end58-_ZN7rocprim17ROCPRIM_400000_NS6detail17trampoline_kernelINS0_14default_configENS1_29reduce_by_key_config_selectorIddN6thrust23THRUST_200600_302600_NS4plusIdEEEEZZNS1_33reduce_by_key_impl_wrapped_configILNS1_25lookback_scan_determinismE0ES3_S9_NS6_6detail15normal_iteratorINS6_10device_ptrIdEEEESG_SG_SG_PmS8_22is_equal_div_10_reduceIdEEE10hipError_tPvRmT2_T3_mT4_T5_T6_T7_T8_P12ihipStream_tbENKUlT_T0_E_clISt17integral_constantIbLb0EES11_EEDaSW_SX_EUlSW_E_NS1_11comp_targetILNS1_3genE9ELNS1_11target_archE1100ELNS1_3gpuE3ELNS1_3repE0EEENS1_30default_config_static_selectorELNS0_4arch9wavefront6targetE0EEEvT1_
                                        ; -- End function
	.section	.AMDGPU.csdata,"",@progbits
; Kernel info:
; codeLenInByte = 21728
; NumSgprs: 50
; NumVgprs: 120
; ScratchSize: 0
; MemoryBound: 0
; FloatMode: 240
; IeeeMode: 1
; LDSByteSize: 30720 bytes/workgroup (compile time only)
; SGPRBlocks: 6
; VGPRBlocks: 14
; NumSGPRsForWavesPerEU: 50
; NumVGPRsForWavesPerEU: 120
; Occupancy: 8
; WaveLimiterHint : 1
; COMPUTE_PGM_RSRC2:SCRATCH_EN: 0
; COMPUTE_PGM_RSRC2:USER_SGPR: 15
; COMPUTE_PGM_RSRC2:TRAP_HANDLER: 0
; COMPUTE_PGM_RSRC2:TGID_X_EN: 1
; COMPUTE_PGM_RSRC2:TGID_Y_EN: 0
; COMPUTE_PGM_RSRC2:TGID_Z_EN: 0
; COMPUTE_PGM_RSRC2:TIDIG_COMP_CNT: 0
	.section	.text._ZN7rocprim17ROCPRIM_400000_NS6detail17trampoline_kernelINS0_14default_configENS1_29reduce_by_key_config_selectorIddN6thrust23THRUST_200600_302600_NS4plusIdEEEEZZNS1_33reduce_by_key_impl_wrapped_configILNS1_25lookback_scan_determinismE0ES3_S9_NS6_6detail15normal_iteratorINS6_10device_ptrIdEEEESG_SG_SG_PmS8_22is_equal_div_10_reduceIdEEE10hipError_tPvRmT2_T3_mT4_T5_T6_T7_T8_P12ihipStream_tbENKUlT_T0_E_clISt17integral_constantIbLb0EES11_EEDaSW_SX_EUlSW_E_NS1_11comp_targetILNS1_3genE8ELNS1_11target_archE1030ELNS1_3gpuE2ELNS1_3repE0EEENS1_30default_config_static_selectorELNS0_4arch9wavefront6targetE0EEEvT1_,"axG",@progbits,_ZN7rocprim17ROCPRIM_400000_NS6detail17trampoline_kernelINS0_14default_configENS1_29reduce_by_key_config_selectorIddN6thrust23THRUST_200600_302600_NS4plusIdEEEEZZNS1_33reduce_by_key_impl_wrapped_configILNS1_25lookback_scan_determinismE0ES3_S9_NS6_6detail15normal_iteratorINS6_10device_ptrIdEEEESG_SG_SG_PmS8_22is_equal_div_10_reduceIdEEE10hipError_tPvRmT2_T3_mT4_T5_T6_T7_T8_P12ihipStream_tbENKUlT_T0_E_clISt17integral_constantIbLb0EES11_EEDaSW_SX_EUlSW_E_NS1_11comp_targetILNS1_3genE8ELNS1_11target_archE1030ELNS1_3gpuE2ELNS1_3repE0EEENS1_30default_config_static_selectorELNS0_4arch9wavefront6targetE0EEEvT1_,comdat
	.protected	_ZN7rocprim17ROCPRIM_400000_NS6detail17trampoline_kernelINS0_14default_configENS1_29reduce_by_key_config_selectorIddN6thrust23THRUST_200600_302600_NS4plusIdEEEEZZNS1_33reduce_by_key_impl_wrapped_configILNS1_25lookback_scan_determinismE0ES3_S9_NS6_6detail15normal_iteratorINS6_10device_ptrIdEEEESG_SG_SG_PmS8_22is_equal_div_10_reduceIdEEE10hipError_tPvRmT2_T3_mT4_T5_T6_T7_T8_P12ihipStream_tbENKUlT_T0_E_clISt17integral_constantIbLb0EES11_EEDaSW_SX_EUlSW_E_NS1_11comp_targetILNS1_3genE8ELNS1_11target_archE1030ELNS1_3gpuE2ELNS1_3repE0EEENS1_30default_config_static_selectorELNS0_4arch9wavefront6targetE0EEEvT1_ ; -- Begin function _ZN7rocprim17ROCPRIM_400000_NS6detail17trampoline_kernelINS0_14default_configENS1_29reduce_by_key_config_selectorIddN6thrust23THRUST_200600_302600_NS4plusIdEEEEZZNS1_33reduce_by_key_impl_wrapped_configILNS1_25lookback_scan_determinismE0ES3_S9_NS6_6detail15normal_iteratorINS6_10device_ptrIdEEEESG_SG_SG_PmS8_22is_equal_div_10_reduceIdEEE10hipError_tPvRmT2_T3_mT4_T5_T6_T7_T8_P12ihipStream_tbENKUlT_T0_E_clISt17integral_constantIbLb0EES11_EEDaSW_SX_EUlSW_E_NS1_11comp_targetILNS1_3genE8ELNS1_11target_archE1030ELNS1_3gpuE2ELNS1_3repE0EEENS1_30default_config_static_selectorELNS0_4arch9wavefront6targetE0EEEvT1_
	.globl	_ZN7rocprim17ROCPRIM_400000_NS6detail17trampoline_kernelINS0_14default_configENS1_29reduce_by_key_config_selectorIddN6thrust23THRUST_200600_302600_NS4plusIdEEEEZZNS1_33reduce_by_key_impl_wrapped_configILNS1_25lookback_scan_determinismE0ES3_S9_NS6_6detail15normal_iteratorINS6_10device_ptrIdEEEESG_SG_SG_PmS8_22is_equal_div_10_reduceIdEEE10hipError_tPvRmT2_T3_mT4_T5_T6_T7_T8_P12ihipStream_tbENKUlT_T0_E_clISt17integral_constantIbLb0EES11_EEDaSW_SX_EUlSW_E_NS1_11comp_targetILNS1_3genE8ELNS1_11target_archE1030ELNS1_3gpuE2ELNS1_3repE0EEENS1_30default_config_static_selectorELNS0_4arch9wavefront6targetE0EEEvT1_
	.p2align	8
	.type	_ZN7rocprim17ROCPRIM_400000_NS6detail17trampoline_kernelINS0_14default_configENS1_29reduce_by_key_config_selectorIddN6thrust23THRUST_200600_302600_NS4plusIdEEEEZZNS1_33reduce_by_key_impl_wrapped_configILNS1_25lookback_scan_determinismE0ES3_S9_NS6_6detail15normal_iteratorINS6_10device_ptrIdEEEESG_SG_SG_PmS8_22is_equal_div_10_reduceIdEEE10hipError_tPvRmT2_T3_mT4_T5_T6_T7_T8_P12ihipStream_tbENKUlT_T0_E_clISt17integral_constantIbLb0EES11_EEDaSW_SX_EUlSW_E_NS1_11comp_targetILNS1_3genE8ELNS1_11target_archE1030ELNS1_3gpuE2ELNS1_3repE0EEENS1_30default_config_static_selectorELNS0_4arch9wavefront6targetE0EEEvT1_,@function
_ZN7rocprim17ROCPRIM_400000_NS6detail17trampoline_kernelINS0_14default_configENS1_29reduce_by_key_config_selectorIddN6thrust23THRUST_200600_302600_NS4plusIdEEEEZZNS1_33reduce_by_key_impl_wrapped_configILNS1_25lookback_scan_determinismE0ES3_S9_NS6_6detail15normal_iteratorINS6_10device_ptrIdEEEESG_SG_SG_PmS8_22is_equal_div_10_reduceIdEEE10hipError_tPvRmT2_T3_mT4_T5_T6_T7_T8_P12ihipStream_tbENKUlT_T0_E_clISt17integral_constantIbLb0EES11_EEDaSW_SX_EUlSW_E_NS1_11comp_targetILNS1_3genE8ELNS1_11target_archE1030ELNS1_3gpuE2ELNS1_3repE0EEENS1_30default_config_static_selectorELNS0_4arch9wavefront6targetE0EEEvT1_: ; @_ZN7rocprim17ROCPRIM_400000_NS6detail17trampoline_kernelINS0_14default_configENS1_29reduce_by_key_config_selectorIddN6thrust23THRUST_200600_302600_NS4plusIdEEEEZZNS1_33reduce_by_key_impl_wrapped_configILNS1_25lookback_scan_determinismE0ES3_S9_NS6_6detail15normal_iteratorINS6_10device_ptrIdEEEESG_SG_SG_PmS8_22is_equal_div_10_reduceIdEEE10hipError_tPvRmT2_T3_mT4_T5_T6_T7_T8_P12ihipStream_tbENKUlT_T0_E_clISt17integral_constantIbLb0EES11_EEDaSW_SX_EUlSW_E_NS1_11comp_targetILNS1_3genE8ELNS1_11target_archE1030ELNS1_3gpuE2ELNS1_3repE0EEENS1_30default_config_static_selectorELNS0_4arch9wavefront6targetE0EEEvT1_
; %bb.0:
	.section	.rodata,"a",@progbits
	.p2align	6, 0x0
	.amdhsa_kernel _ZN7rocprim17ROCPRIM_400000_NS6detail17trampoline_kernelINS0_14default_configENS1_29reduce_by_key_config_selectorIddN6thrust23THRUST_200600_302600_NS4plusIdEEEEZZNS1_33reduce_by_key_impl_wrapped_configILNS1_25lookback_scan_determinismE0ES3_S9_NS6_6detail15normal_iteratorINS6_10device_ptrIdEEEESG_SG_SG_PmS8_22is_equal_div_10_reduceIdEEE10hipError_tPvRmT2_T3_mT4_T5_T6_T7_T8_P12ihipStream_tbENKUlT_T0_E_clISt17integral_constantIbLb0EES11_EEDaSW_SX_EUlSW_E_NS1_11comp_targetILNS1_3genE8ELNS1_11target_archE1030ELNS1_3gpuE2ELNS1_3repE0EEENS1_30default_config_static_selectorELNS0_4arch9wavefront6targetE0EEEvT1_
		.amdhsa_group_segment_fixed_size 0
		.amdhsa_private_segment_fixed_size 0
		.amdhsa_kernarg_size 136
		.amdhsa_user_sgpr_count 15
		.amdhsa_user_sgpr_dispatch_ptr 0
		.amdhsa_user_sgpr_queue_ptr 0
		.amdhsa_user_sgpr_kernarg_segment_ptr 1
		.amdhsa_user_sgpr_dispatch_id 0
		.amdhsa_user_sgpr_private_segment_size 0
		.amdhsa_wavefront_size32 1
		.amdhsa_uses_dynamic_stack 0
		.amdhsa_enable_private_segment 0
		.amdhsa_system_sgpr_workgroup_id_x 1
		.amdhsa_system_sgpr_workgroup_id_y 0
		.amdhsa_system_sgpr_workgroup_id_z 0
		.amdhsa_system_sgpr_workgroup_info 0
		.amdhsa_system_vgpr_workitem_id 0
		.amdhsa_next_free_vgpr 1
		.amdhsa_next_free_sgpr 1
		.amdhsa_reserve_vcc 0
		.amdhsa_float_round_mode_32 0
		.amdhsa_float_round_mode_16_64 0
		.amdhsa_float_denorm_mode_32 3
		.amdhsa_float_denorm_mode_16_64 3
		.amdhsa_dx10_clamp 1
		.amdhsa_ieee_mode 1
		.amdhsa_fp16_overflow 0
		.amdhsa_workgroup_processor_mode 1
		.amdhsa_memory_ordered 1
		.amdhsa_forward_progress 0
		.amdhsa_shared_vgpr_count 0
		.amdhsa_exception_fp_ieee_invalid_op 0
		.amdhsa_exception_fp_denorm_src 0
		.amdhsa_exception_fp_ieee_div_zero 0
		.amdhsa_exception_fp_ieee_overflow 0
		.amdhsa_exception_fp_ieee_underflow 0
		.amdhsa_exception_fp_ieee_inexact 0
		.amdhsa_exception_int_div_zero 0
	.end_amdhsa_kernel
	.section	.text._ZN7rocprim17ROCPRIM_400000_NS6detail17trampoline_kernelINS0_14default_configENS1_29reduce_by_key_config_selectorIddN6thrust23THRUST_200600_302600_NS4plusIdEEEEZZNS1_33reduce_by_key_impl_wrapped_configILNS1_25lookback_scan_determinismE0ES3_S9_NS6_6detail15normal_iteratorINS6_10device_ptrIdEEEESG_SG_SG_PmS8_22is_equal_div_10_reduceIdEEE10hipError_tPvRmT2_T3_mT4_T5_T6_T7_T8_P12ihipStream_tbENKUlT_T0_E_clISt17integral_constantIbLb0EES11_EEDaSW_SX_EUlSW_E_NS1_11comp_targetILNS1_3genE8ELNS1_11target_archE1030ELNS1_3gpuE2ELNS1_3repE0EEENS1_30default_config_static_selectorELNS0_4arch9wavefront6targetE0EEEvT1_,"axG",@progbits,_ZN7rocprim17ROCPRIM_400000_NS6detail17trampoline_kernelINS0_14default_configENS1_29reduce_by_key_config_selectorIddN6thrust23THRUST_200600_302600_NS4plusIdEEEEZZNS1_33reduce_by_key_impl_wrapped_configILNS1_25lookback_scan_determinismE0ES3_S9_NS6_6detail15normal_iteratorINS6_10device_ptrIdEEEESG_SG_SG_PmS8_22is_equal_div_10_reduceIdEEE10hipError_tPvRmT2_T3_mT4_T5_T6_T7_T8_P12ihipStream_tbENKUlT_T0_E_clISt17integral_constantIbLb0EES11_EEDaSW_SX_EUlSW_E_NS1_11comp_targetILNS1_3genE8ELNS1_11target_archE1030ELNS1_3gpuE2ELNS1_3repE0EEENS1_30default_config_static_selectorELNS0_4arch9wavefront6targetE0EEEvT1_,comdat
.Lfunc_end59:
	.size	_ZN7rocprim17ROCPRIM_400000_NS6detail17trampoline_kernelINS0_14default_configENS1_29reduce_by_key_config_selectorIddN6thrust23THRUST_200600_302600_NS4plusIdEEEEZZNS1_33reduce_by_key_impl_wrapped_configILNS1_25lookback_scan_determinismE0ES3_S9_NS6_6detail15normal_iteratorINS6_10device_ptrIdEEEESG_SG_SG_PmS8_22is_equal_div_10_reduceIdEEE10hipError_tPvRmT2_T3_mT4_T5_T6_T7_T8_P12ihipStream_tbENKUlT_T0_E_clISt17integral_constantIbLb0EES11_EEDaSW_SX_EUlSW_E_NS1_11comp_targetILNS1_3genE8ELNS1_11target_archE1030ELNS1_3gpuE2ELNS1_3repE0EEENS1_30default_config_static_selectorELNS0_4arch9wavefront6targetE0EEEvT1_, .Lfunc_end59-_ZN7rocprim17ROCPRIM_400000_NS6detail17trampoline_kernelINS0_14default_configENS1_29reduce_by_key_config_selectorIddN6thrust23THRUST_200600_302600_NS4plusIdEEEEZZNS1_33reduce_by_key_impl_wrapped_configILNS1_25lookback_scan_determinismE0ES3_S9_NS6_6detail15normal_iteratorINS6_10device_ptrIdEEEESG_SG_SG_PmS8_22is_equal_div_10_reduceIdEEE10hipError_tPvRmT2_T3_mT4_T5_T6_T7_T8_P12ihipStream_tbENKUlT_T0_E_clISt17integral_constantIbLb0EES11_EEDaSW_SX_EUlSW_E_NS1_11comp_targetILNS1_3genE8ELNS1_11target_archE1030ELNS1_3gpuE2ELNS1_3repE0EEENS1_30default_config_static_selectorELNS0_4arch9wavefront6targetE0EEEvT1_
                                        ; -- End function
	.section	.AMDGPU.csdata,"",@progbits
; Kernel info:
; codeLenInByte = 0
; NumSgprs: 0
; NumVgprs: 0
; ScratchSize: 0
; MemoryBound: 0
; FloatMode: 240
; IeeeMode: 1
; LDSByteSize: 0 bytes/workgroup (compile time only)
; SGPRBlocks: 0
; VGPRBlocks: 0
; NumSGPRsForWavesPerEU: 1
; NumVGPRsForWavesPerEU: 1
; Occupancy: 16
; WaveLimiterHint : 0
; COMPUTE_PGM_RSRC2:SCRATCH_EN: 0
; COMPUTE_PGM_RSRC2:USER_SGPR: 15
; COMPUTE_PGM_RSRC2:TRAP_HANDLER: 0
; COMPUTE_PGM_RSRC2:TGID_X_EN: 1
; COMPUTE_PGM_RSRC2:TGID_Y_EN: 0
; COMPUTE_PGM_RSRC2:TGID_Z_EN: 0
; COMPUTE_PGM_RSRC2:TIDIG_COMP_CNT: 0
	.section	.text._ZN7rocprim17ROCPRIM_400000_NS6detail17trampoline_kernelINS0_14default_configENS1_29reduce_by_key_config_selectorIddN6thrust23THRUST_200600_302600_NS4plusIdEEEEZZNS1_33reduce_by_key_impl_wrapped_configILNS1_25lookback_scan_determinismE0ES3_S9_NS6_6detail15normal_iteratorINS6_10device_ptrIdEEEESG_SG_SG_PmS8_22is_equal_div_10_reduceIdEEE10hipError_tPvRmT2_T3_mT4_T5_T6_T7_T8_P12ihipStream_tbENKUlT_T0_E_clISt17integral_constantIbLb1EES11_EEDaSW_SX_EUlSW_E_NS1_11comp_targetILNS1_3genE0ELNS1_11target_archE4294967295ELNS1_3gpuE0ELNS1_3repE0EEENS1_30default_config_static_selectorELNS0_4arch9wavefront6targetE0EEEvT1_,"axG",@progbits,_ZN7rocprim17ROCPRIM_400000_NS6detail17trampoline_kernelINS0_14default_configENS1_29reduce_by_key_config_selectorIddN6thrust23THRUST_200600_302600_NS4plusIdEEEEZZNS1_33reduce_by_key_impl_wrapped_configILNS1_25lookback_scan_determinismE0ES3_S9_NS6_6detail15normal_iteratorINS6_10device_ptrIdEEEESG_SG_SG_PmS8_22is_equal_div_10_reduceIdEEE10hipError_tPvRmT2_T3_mT4_T5_T6_T7_T8_P12ihipStream_tbENKUlT_T0_E_clISt17integral_constantIbLb1EES11_EEDaSW_SX_EUlSW_E_NS1_11comp_targetILNS1_3genE0ELNS1_11target_archE4294967295ELNS1_3gpuE0ELNS1_3repE0EEENS1_30default_config_static_selectorELNS0_4arch9wavefront6targetE0EEEvT1_,comdat
	.protected	_ZN7rocprim17ROCPRIM_400000_NS6detail17trampoline_kernelINS0_14default_configENS1_29reduce_by_key_config_selectorIddN6thrust23THRUST_200600_302600_NS4plusIdEEEEZZNS1_33reduce_by_key_impl_wrapped_configILNS1_25lookback_scan_determinismE0ES3_S9_NS6_6detail15normal_iteratorINS6_10device_ptrIdEEEESG_SG_SG_PmS8_22is_equal_div_10_reduceIdEEE10hipError_tPvRmT2_T3_mT4_T5_T6_T7_T8_P12ihipStream_tbENKUlT_T0_E_clISt17integral_constantIbLb1EES11_EEDaSW_SX_EUlSW_E_NS1_11comp_targetILNS1_3genE0ELNS1_11target_archE4294967295ELNS1_3gpuE0ELNS1_3repE0EEENS1_30default_config_static_selectorELNS0_4arch9wavefront6targetE0EEEvT1_ ; -- Begin function _ZN7rocprim17ROCPRIM_400000_NS6detail17trampoline_kernelINS0_14default_configENS1_29reduce_by_key_config_selectorIddN6thrust23THRUST_200600_302600_NS4plusIdEEEEZZNS1_33reduce_by_key_impl_wrapped_configILNS1_25lookback_scan_determinismE0ES3_S9_NS6_6detail15normal_iteratorINS6_10device_ptrIdEEEESG_SG_SG_PmS8_22is_equal_div_10_reduceIdEEE10hipError_tPvRmT2_T3_mT4_T5_T6_T7_T8_P12ihipStream_tbENKUlT_T0_E_clISt17integral_constantIbLb1EES11_EEDaSW_SX_EUlSW_E_NS1_11comp_targetILNS1_3genE0ELNS1_11target_archE4294967295ELNS1_3gpuE0ELNS1_3repE0EEENS1_30default_config_static_selectorELNS0_4arch9wavefront6targetE0EEEvT1_
	.globl	_ZN7rocprim17ROCPRIM_400000_NS6detail17trampoline_kernelINS0_14default_configENS1_29reduce_by_key_config_selectorIddN6thrust23THRUST_200600_302600_NS4plusIdEEEEZZNS1_33reduce_by_key_impl_wrapped_configILNS1_25lookback_scan_determinismE0ES3_S9_NS6_6detail15normal_iteratorINS6_10device_ptrIdEEEESG_SG_SG_PmS8_22is_equal_div_10_reduceIdEEE10hipError_tPvRmT2_T3_mT4_T5_T6_T7_T8_P12ihipStream_tbENKUlT_T0_E_clISt17integral_constantIbLb1EES11_EEDaSW_SX_EUlSW_E_NS1_11comp_targetILNS1_3genE0ELNS1_11target_archE4294967295ELNS1_3gpuE0ELNS1_3repE0EEENS1_30default_config_static_selectorELNS0_4arch9wavefront6targetE0EEEvT1_
	.p2align	8
	.type	_ZN7rocprim17ROCPRIM_400000_NS6detail17trampoline_kernelINS0_14default_configENS1_29reduce_by_key_config_selectorIddN6thrust23THRUST_200600_302600_NS4plusIdEEEEZZNS1_33reduce_by_key_impl_wrapped_configILNS1_25lookback_scan_determinismE0ES3_S9_NS6_6detail15normal_iteratorINS6_10device_ptrIdEEEESG_SG_SG_PmS8_22is_equal_div_10_reduceIdEEE10hipError_tPvRmT2_T3_mT4_T5_T6_T7_T8_P12ihipStream_tbENKUlT_T0_E_clISt17integral_constantIbLb1EES11_EEDaSW_SX_EUlSW_E_NS1_11comp_targetILNS1_3genE0ELNS1_11target_archE4294967295ELNS1_3gpuE0ELNS1_3repE0EEENS1_30default_config_static_selectorELNS0_4arch9wavefront6targetE0EEEvT1_,@function
_ZN7rocprim17ROCPRIM_400000_NS6detail17trampoline_kernelINS0_14default_configENS1_29reduce_by_key_config_selectorIddN6thrust23THRUST_200600_302600_NS4plusIdEEEEZZNS1_33reduce_by_key_impl_wrapped_configILNS1_25lookback_scan_determinismE0ES3_S9_NS6_6detail15normal_iteratorINS6_10device_ptrIdEEEESG_SG_SG_PmS8_22is_equal_div_10_reduceIdEEE10hipError_tPvRmT2_T3_mT4_T5_T6_T7_T8_P12ihipStream_tbENKUlT_T0_E_clISt17integral_constantIbLb1EES11_EEDaSW_SX_EUlSW_E_NS1_11comp_targetILNS1_3genE0ELNS1_11target_archE4294967295ELNS1_3gpuE0ELNS1_3repE0EEENS1_30default_config_static_selectorELNS0_4arch9wavefront6targetE0EEEvT1_: ; @_ZN7rocprim17ROCPRIM_400000_NS6detail17trampoline_kernelINS0_14default_configENS1_29reduce_by_key_config_selectorIddN6thrust23THRUST_200600_302600_NS4plusIdEEEEZZNS1_33reduce_by_key_impl_wrapped_configILNS1_25lookback_scan_determinismE0ES3_S9_NS6_6detail15normal_iteratorINS6_10device_ptrIdEEEESG_SG_SG_PmS8_22is_equal_div_10_reduceIdEEE10hipError_tPvRmT2_T3_mT4_T5_T6_T7_T8_P12ihipStream_tbENKUlT_T0_E_clISt17integral_constantIbLb1EES11_EEDaSW_SX_EUlSW_E_NS1_11comp_targetILNS1_3genE0ELNS1_11target_archE4294967295ELNS1_3gpuE0ELNS1_3repE0EEENS1_30default_config_static_selectorELNS0_4arch9wavefront6targetE0EEEvT1_
; %bb.0:
	.section	.rodata,"a",@progbits
	.p2align	6, 0x0
	.amdhsa_kernel _ZN7rocprim17ROCPRIM_400000_NS6detail17trampoline_kernelINS0_14default_configENS1_29reduce_by_key_config_selectorIddN6thrust23THRUST_200600_302600_NS4plusIdEEEEZZNS1_33reduce_by_key_impl_wrapped_configILNS1_25lookback_scan_determinismE0ES3_S9_NS6_6detail15normal_iteratorINS6_10device_ptrIdEEEESG_SG_SG_PmS8_22is_equal_div_10_reduceIdEEE10hipError_tPvRmT2_T3_mT4_T5_T6_T7_T8_P12ihipStream_tbENKUlT_T0_E_clISt17integral_constantIbLb1EES11_EEDaSW_SX_EUlSW_E_NS1_11comp_targetILNS1_3genE0ELNS1_11target_archE4294967295ELNS1_3gpuE0ELNS1_3repE0EEENS1_30default_config_static_selectorELNS0_4arch9wavefront6targetE0EEEvT1_
		.amdhsa_group_segment_fixed_size 0
		.amdhsa_private_segment_fixed_size 0
		.amdhsa_kernarg_size 136
		.amdhsa_user_sgpr_count 15
		.amdhsa_user_sgpr_dispatch_ptr 0
		.amdhsa_user_sgpr_queue_ptr 0
		.amdhsa_user_sgpr_kernarg_segment_ptr 1
		.amdhsa_user_sgpr_dispatch_id 0
		.amdhsa_user_sgpr_private_segment_size 0
		.amdhsa_wavefront_size32 1
		.amdhsa_uses_dynamic_stack 0
		.amdhsa_enable_private_segment 0
		.amdhsa_system_sgpr_workgroup_id_x 1
		.amdhsa_system_sgpr_workgroup_id_y 0
		.amdhsa_system_sgpr_workgroup_id_z 0
		.amdhsa_system_sgpr_workgroup_info 0
		.amdhsa_system_vgpr_workitem_id 0
		.amdhsa_next_free_vgpr 1
		.amdhsa_next_free_sgpr 1
		.amdhsa_reserve_vcc 0
		.amdhsa_float_round_mode_32 0
		.amdhsa_float_round_mode_16_64 0
		.amdhsa_float_denorm_mode_32 3
		.amdhsa_float_denorm_mode_16_64 3
		.amdhsa_dx10_clamp 1
		.amdhsa_ieee_mode 1
		.amdhsa_fp16_overflow 0
		.amdhsa_workgroup_processor_mode 1
		.amdhsa_memory_ordered 1
		.amdhsa_forward_progress 0
		.amdhsa_shared_vgpr_count 0
		.amdhsa_exception_fp_ieee_invalid_op 0
		.amdhsa_exception_fp_denorm_src 0
		.amdhsa_exception_fp_ieee_div_zero 0
		.amdhsa_exception_fp_ieee_overflow 0
		.amdhsa_exception_fp_ieee_underflow 0
		.amdhsa_exception_fp_ieee_inexact 0
		.amdhsa_exception_int_div_zero 0
	.end_amdhsa_kernel
	.section	.text._ZN7rocprim17ROCPRIM_400000_NS6detail17trampoline_kernelINS0_14default_configENS1_29reduce_by_key_config_selectorIddN6thrust23THRUST_200600_302600_NS4plusIdEEEEZZNS1_33reduce_by_key_impl_wrapped_configILNS1_25lookback_scan_determinismE0ES3_S9_NS6_6detail15normal_iteratorINS6_10device_ptrIdEEEESG_SG_SG_PmS8_22is_equal_div_10_reduceIdEEE10hipError_tPvRmT2_T3_mT4_T5_T6_T7_T8_P12ihipStream_tbENKUlT_T0_E_clISt17integral_constantIbLb1EES11_EEDaSW_SX_EUlSW_E_NS1_11comp_targetILNS1_3genE0ELNS1_11target_archE4294967295ELNS1_3gpuE0ELNS1_3repE0EEENS1_30default_config_static_selectorELNS0_4arch9wavefront6targetE0EEEvT1_,"axG",@progbits,_ZN7rocprim17ROCPRIM_400000_NS6detail17trampoline_kernelINS0_14default_configENS1_29reduce_by_key_config_selectorIddN6thrust23THRUST_200600_302600_NS4plusIdEEEEZZNS1_33reduce_by_key_impl_wrapped_configILNS1_25lookback_scan_determinismE0ES3_S9_NS6_6detail15normal_iteratorINS6_10device_ptrIdEEEESG_SG_SG_PmS8_22is_equal_div_10_reduceIdEEE10hipError_tPvRmT2_T3_mT4_T5_T6_T7_T8_P12ihipStream_tbENKUlT_T0_E_clISt17integral_constantIbLb1EES11_EEDaSW_SX_EUlSW_E_NS1_11comp_targetILNS1_3genE0ELNS1_11target_archE4294967295ELNS1_3gpuE0ELNS1_3repE0EEENS1_30default_config_static_selectorELNS0_4arch9wavefront6targetE0EEEvT1_,comdat
.Lfunc_end60:
	.size	_ZN7rocprim17ROCPRIM_400000_NS6detail17trampoline_kernelINS0_14default_configENS1_29reduce_by_key_config_selectorIddN6thrust23THRUST_200600_302600_NS4plusIdEEEEZZNS1_33reduce_by_key_impl_wrapped_configILNS1_25lookback_scan_determinismE0ES3_S9_NS6_6detail15normal_iteratorINS6_10device_ptrIdEEEESG_SG_SG_PmS8_22is_equal_div_10_reduceIdEEE10hipError_tPvRmT2_T3_mT4_T5_T6_T7_T8_P12ihipStream_tbENKUlT_T0_E_clISt17integral_constantIbLb1EES11_EEDaSW_SX_EUlSW_E_NS1_11comp_targetILNS1_3genE0ELNS1_11target_archE4294967295ELNS1_3gpuE0ELNS1_3repE0EEENS1_30default_config_static_selectorELNS0_4arch9wavefront6targetE0EEEvT1_, .Lfunc_end60-_ZN7rocprim17ROCPRIM_400000_NS6detail17trampoline_kernelINS0_14default_configENS1_29reduce_by_key_config_selectorIddN6thrust23THRUST_200600_302600_NS4plusIdEEEEZZNS1_33reduce_by_key_impl_wrapped_configILNS1_25lookback_scan_determinismE0ES3_S9_NS6_6detail15normal_iteratorINS6_10device_ptrIdEEEESG_SG_SG_PmS8_22is_equal_div_10_reduceIdEEE10hipError_tPvRmT2_T3_mT4_T5_T6_T7_T8_P12ihipStream_tbENKUlT_T0_E_clISt17integral_constantIbLb1EES11_EEDaSW_SX_EUlSW_E_NS1_11comp_targetILNS1_3genE0ELNS1_11target_archE4294967295ELNS1_3gpuE0ELNS1_3repE0EEENS1_30default_config_static_selectorELNS0_4arch9wavefront6targetE0EEEvT1_
                                        ; -- End function
	.section	.AMDGPU.csdata,"",@progbits
; Kernel info:
; codeLenInByte = 0
; NumSgprs: 0
; NumVgprs: 0
; ScratchSize: 0
; MemoryBound: 0
; FloatMode: 240
; IeeeMode: 1
; LDSByteSize: 0 bytes/workgroup (compile time only)
; SGPRBlocks: 0
; VGPRBlocks: 0
; NumSGPRsForWavesPerEU: 1
; NumVGPRsForWavesPerEU: 1
; Occupancy: 16
; WaveLimiterHint : 0
; COMPUTE_PGM_RSRC2:SCRATCH_EN: 0
; COMPUTE_PGM_RSRC2:USER_SGPR: 15
; COMPUTE_PGM_RSRC2:TRAP_HANDLER: 0
; COMPUTE_PGM_RSRC2:TGID_X_EN: 1
; COMPUTE_PGM_RSRC2:TGID_Y_EN: 0
; COMPUTE_PGM_RSRC2:TGID_Z_EN: 0
; COMPUTE_PGM_RSRC2:TIDIG_COMP_CNT: 0
	.section	.text._ZN7rocprim17ROCPRIM_400000_NS6detail17trampoline_kernelINS0_14default_configENS1_29reduce_by_key_config_selectorIddN6thrust23THRUST_200600_302600_NS4plusIdEEEEZZNS1_33reduce_by_key_impl_wrapped_configILNS1_25lookback_scan_determinismE0ES3_S9_NS6_6detail15normal_iteratorINS6_10device_ptrIdEEEESG_SG_SG_PmS8_22is_equal_div_10_reduceIdEEE10hipError_tPvRmT2_T3_mT4_T5_T6_T7_T8_P12ihipStream_tbENKUlT_T0_E_clISt17integral_constantIbLb1EES11_EEDaSW_SX_EUlSW_E_NS1_11comp_targetILNS1_3genE5ELNS1_11target_archE942ELNS1_3gpuE9ELNS1_3repE0EEENS1_30default_config_static_selectorELNS0_4arch9wavefront6targetE0EEEvT1_,"axG",@progbits,_ZN7rocprim17ROCPRIM_400000_NS6detail17trampoline_kernelINS0_14default_configENS1_29reduce_by_key_config_selectorIddN6thrust23THRUST_200600_302600_NS4plusIdEEEEZZNS1_33reduce_by_key_impl_wrapped_configILNS1_25lookback_scan_determinismE0ES3_S9_NS6_6detail15normal_iteratorINS6_10device_ptrIdEEEESG_SG_SG_PmS8_22is_equal_div_10_reduceIdEEE10hipError_tPvRmT2_T3_mT4_T5_T6_T7_T8_P12ihipStream_tbENKUlT_T0_E_clISt17integral_constantIbLb1EES11_EEDaSW_SX_EUlSW_E_NS1_11comp_targetILNS1_3genE5ELNS1_11target_archE942ELNS1_3gpuE9ELNS1_3repE0EEENS1_30default_config_static_selectorELNS0_4arch9wavefront6targetE0EEEvT1_,comdat
	.protected	_ZN7rocprim17ROCPRIM_400000_NS6detail17trampoline_kernelINS0_14default_configENS1_29reduce_by_key_config_selectorIddN6thrust23THRUST_200600_302600_NS4plusIdEEEEZZNS1_33reduce_by_key_impl_wrapped_configILNS1_25lookback_scan_determinismE0ES3_S9_NS6_6detail15normal_iteratorINS6_10device_ptrIdEEEESG_SG_SG_PmS8_22is_equal_div_10_reduceIdEEE10hipError_tPvRmT2_T3_mT4_T5_T6_T7_T8_P12ihipStream_tbENKUlT_T0_E_clISt17integral_constantIbLb1EES11_EEDaSW_SX_EUlSW_E_NS1_11comp_targetILNS1_3genE5ELNS1_11target_archE942ELNS1_3gpuE9ELNS1_3repE0EEENS1_30default_config_static_selectorELNS0_4arch9wavefront6targetE0EEEvT1_ ; -- Begin function _ZN7rocprim17ROCPRIM_400000_NS6detail17trampoline_kernelINS0_14default_configENS1_29reduce_by_key_config_selectorIddN6thrust23THRUST_200600_302600_NS4plusIdEEEEZZNS1_33reduce_by_key_impl_wrapped_configILNS1_25lookback_scan_determinismE0ES3_S9_NS6_6detail15normal_iteratorINS6_10device_ptrIdEEEESG_SG_SG_PmS8_22is_equal_div_10_reduceIdEEE10hipError_tPvRmT2_T3_mT4_T5_T6_T7_T8_P12ihipStream_tbENKUlT_T0_E_clISt17integral_constantIbLb1EES11_EEDaSW_SX_EUlSW_E_NS1_11comp_targetILNS1_3genE5ELNS1_11target_archE942ELNS1_3gpuE9ELNS1_3repE0EEENS1_30default_config_static_selectorELNS0_4arch9wavefront6targetE0EEEvT1_
	.globl	_ZN7rocprim17ROCPRIM_400000_NS6detail17trampoline_kernelINS0_14default_configENS1_29reduce_by_key_config_selectorIddN6thrust23THRUST_200600_302600_NS4plusIdEEEEZZNS1_33reduce_by_key_impl_wrapped_configILNS1_25lookback_scan_determinismE0ES3_S9_NS6_6detail15normal_iteratorINS6_10device_ptrIdEEEESG_SG_SG_PmS8_22is_equal_div_10_reduceIdEEE10hipError_tPvRmT2_T3_mT4_T5_T6_T7_T8_P12ihipStream_tbENKUlT_T0_E_clISt17integral_constantIbLb1EES11_EEDaSW_SX_EUlSW_E_NS1_11comp_targetILNS1_3genE5ELNS1_11target_archE942ELNS1_3gpuE9ELNS1_3repE0EEENS1_30default_config_static_selectorELNS0_4arch9wavefront6targetE0EEEvT1_
	.p2align	8
	.type	_ZN7rocprim17ROCPRIM_400000_NS6detail17trampoline_kernelINS0_14default_configENS1_29reduce_by_key_config_selectorIddN6thrust23THRUST_200600_302600_NS4plusIdEEEEZZNS1_33reduce_by_key_impl_wrapped_configILNS1_25lookback_scan_determinismE0ES3_S9_NS6_6detail15normal_iteratorINS6_10device_ptrIdEEEESG_SG_SG_PmS8_22is_equal_div_10_reduceIdEEE10hipError_tPvRmT2_T3_mT4_T5_T6_T7_T8_P12ihipStream_tbENKUlT_T0_E_clISt17integral_constantIbLb1EES11_EEDaSW_SX_EUlSW_E_NS1_11comp_targetILNS1_3genE5ELNS1_11target_archE942ELNS1_3gpuE9ELNS1_3repE0EEENS1_30default_config_static_selectorELNS0_4arch9wavefront6targetE0EEEvT1_,@function
_ZN7rocprim17ROCPRIM_400000_NS6detail17trampoline_kernelINS0_14default_configENS1_29reduce_by_key_config_selectorIddN6thrust23THRUST_200600_302600_NS4plusIdEEEEZZNS1_33reduce_by_key_impl_wrapped_configILNS1_25lookback_scan_determinismE0ES3_S9_NS6_6detail15normal_iteratorINS6_10device_ptrIdEEEESG_SG_SG_PmS8_22is_equal_div_10_reduceIdEEE10hipError_tPvRmT2_T3_mT4_T5_T6_T7_T8_P12ihipStream_tbENKUlT_T0_E_clISt17integral_constantIbLb1EES11_EEDaSW_SX_EUlSW_E_NS1_11comp_targetILNS1_3genE5ELNS1_11target_archE942ELNS1_3gpuE9ELNS1_3repE0EEENS1_30default_config_static_selectorELNS0_4arch9wavefront6targetE0EEEvT1_: ; @_ZN7rocprim17ROCPRIM_400000_NS6detail17trampoline_kernelINS0_14default_configENS1_29reduce_by_key_config_selectorIddN6thrust23THRUST_200600_302600_NS4plusIdEEEEZZNS1_33reduce_by_key_impl_wrapped_configILNS1_25lookback_scan_determinismE0ES3_S9_NS6_6detail15normal_iteratorINS6_10device_ptrIdEEEESG_SG_SG_PmS8_22is_equal_div_10_reduceIdEEE10hipError_tPvRmT2_T3_mT4_T5_T6_T7_T8_P12ihipStream_tbENKUlT_T0_E_clISt17integral_constantIbLb1EES11_EEDaSW_SX_EUlSW_E_NS1_11comp_targetILNS1_3genE5ELNS1_11target_archE942ELNS1_3gpuE9ELNS1_3repE0EEENS1_30default_config_static_selectorELNS0_4arch9wavefront6targetE0EEEvT1_
; %bb.0:
	.section	.rodata,"a",@progbits
	.p2align	6, 0x0
	.amdhsa_kernel _ZN7rocprim17ROCPRIM_400000_NS6detail17trampoline_kernelINS0_14default_configENS1_29reduce_by_key_config_selectorIddN6thrust23THRUST_200600_302600_NS4plusIdEEEEZZNS1_33reduce_by_key_impl_wrapped_configILNS1_25lookback_scan_determinismE0ES3_S9_NS6_6detail15normal_iteratorINS6_10device_ptrIdEEEESG_SG_SG_PmS8_22is_equal_div_10_reduceIdEEE10hipError_tPvRmT2_T3_mT4_T5_T6_T7_T8_P12ihipStream_tbENKUlT_T0_E_clISt17integral_constantIbLb1EES11_EEDaSW_SX_EUlSW_E_NS1_11comp_targetILNS1_3genE5ELNS1_11target_archE942ELNS1_3gpuE9ELNS1_3repE0EEENS1_30default_config_static_selectorELNS0_4arch9wavefront6targetE0EEEvT1_
		.amdhsa_group_segment_fixed_size 0
		.amdhsa_private_segment_fixed_size 0
		.amdhsa_kernarg_size 136
		.amdhsa_user_sgpr_count 15
		.amdhsa_user_sgpr_dispatch_ptr 0
		.amdhsa_user_sgpr_queue_ptr 0
		.amdhsa_user_sgpr_kernarg_segment_ptr 1
		.amdhsa_user_sgpr_dispatch_id 0
		.amdhsa_user_sgpr_private_segment_size 0
		.amdhsa_wavefront_size32 1
		.amdhsa_uses_dynamic_stack 0
		.amdhsa_enable_private_segment 0
		.amdhsa_system_sgpr_workgroup_id_x 1
		.amdhsa_system_sgpr_workgroup_id_y 0
		.amdhsa_system_sgpr_workgroup_id_z 0
		.amdhsa_system_sgpr_workgroup_info 0
		.amdhsa_system_vgpr_workitem_id 0
		.amdhsa_next_free_vgpr 1
		.amdhsa_next_free_sgpr 1
		.amdhsa_reserve_vcc 0
		.amdhsa_float_round_mode_32 0
		.amdhsa_float_round_mode_16_64 0
		.amdhsa_float_denorm_mode_32 3
		.amdhsa_float_denorm_mode_16_64 3
		.amdhsa_dx10_clamp 1
		.amdhsa_ieee_mode 1
		.amdhsa_fp16_overflow 0
		.amdhsa_workgroup_processor_mode 1
		.amdhsa_memory_ordered 1
		.amdhsa_forward_progress 0
		.amdhsa_shared_vgpr_count 0
		.amdhsa_exception_fp_ieee_invalid_op 0
		.amdhsa_exception_fp_denorm_src 0
		.amdhsa_exception_fp_ieee_div_zero 0
		.amdhsa_exception_fp_ieee_overflow 0
		.amdhsa_exception_fp_ieee_underflow 0
		.amdhsa_exception_fp_ieee_inexact 0
		.amdhsa_exception_int_div_zero 0
	.end_amdhsa_kernel
	.section	.text._ZN7rocprim17ROCPRIM_400000_NS6detail17trampoline_kernelINS0_14default_configENS1_29reduce_by_key_config_selectorIddN6thrust23THRUST_200600_302600_NS4plusIdEEEEZZNS1_33reduce_by_key_impl_wrapped_configILNS1_25lookback_scan_determinismE0ES3_S9_NS6_6detail15normal_iteratorINS6_10device_ptrIdEEEESG_SG_SG_PmS8_22is_equal_div_10_reduceIdEEE10hipError_tPvRmT2_T3_mT4_T5_T6_T7_T8_P12ihipStream_tbENKUlT_T0_E_clISt17integral_constantIbLb1EES11_EEDaSW_SX_EUlSW_E_NS1_11comp_targetILNS1_3genE5ELNS1_11target_archE942ELNS1_3gpuE9ELNS1_3repE0EEENS1_30default_config_static_selectorELNS0_4arch9wavefront6targetE0EEEvT1_,"axG",@progbits,_ZN7rocprim17ROCPRIM_400000_NS6detail17trampoline_kernelINS0_14default_configENS1_29reduce_by_key_config_selectorIddN6thrust23THRUST_200600_302600_NS4plusIdEEEEZZNS1_33reduce_by_key_impl_wrapped_configILNS1_25lookback_scan_determinismE0ES3_S9_NS6_6detail15normal_iteratorINS6_10device_ptrIdEEEESG_SG_SG_PmS8_22is_equal_div_10_reduceIdEEE10hipError_tPvRmT2_T3_mT4_T5_T6_T7_T8_P12ihipStream_tbENKUlT_T0_E_clISt17integral_constantIbLb1EES11_EEDaSW_SX_EUlSW_E_NS1_11comp_targetILNS1_3genE5ELNS1_11target_archE942ELNS1_3gpuE9ELNS1_3repE0EEENS1_30default_config_static_selectorELNS0_4arch9wavefront6targetE0EEEvT1_,comdat
.Lfunc_end61:
	.size	_ZN7rocprim17ROCPRIM_400000_NS6detail17trampoline_kernelINS0_14default_configENS1_29reduce_by_key_config_selectorIddN6thrust23THRUST_200600_302600_NS4plusIdEEEEZZNS1_33reduce_by_key_impl_wrapped_configILNS1_25lookback_scan_determinismE0ES3_S9_NS6_6detail15normal_iteratorINS6_10device_ptrIdEEEESG_SG_SG_PmS8_22is_equal_div_10_reduceIdEEE10hipError_tPvRmT2_T3_mT4_T5_T6_T7_T8_P12ihipStream_tbENKUlT_T0_E_clISt17integral_constantIbLb1EES11_EEDaSW_SX_EUlSW_E_NS1_11comp_targetILNS1_3genE5ELNS1_11target_archE942ELNS1_3gpuE9ELNS1_3repE0EEENS1_30default_config_static_selectorELNS0_4arch9wavefront6targetE0EEEvT1_, .Lfunc_end61-_ZN7rocprim17ROCPRIM_400000_NS6detail17trampoline_kernelINS0_14default_configENS1_29reduce_by_key_config_selectorIddN6thrust23THRUST_200600_302600_NS4plusIdEEEEZZNS1_33reduce_by_key_impl_wrapped_configILNS1_25lookback_scan_determinismE0ES3_S9_NS6_6detail15normal_iteratorINS6_10device_ptrIdEEEESG_SG_SG_PmS8_22is_equal_div_10_reduceIdEEE10hipError_tPvRmT2_T3_mT4_T5_T6_T7_T8_P12ihipStream_tbENKUlT_T0_E_clISt17integral_constantIbLb1EES11_EEDaSW_SX_EUlSW_E_NS1_11comp_targetILNS1_3genE5ELNS1_11target_archE942ELNS1_3gpuE9ELNS1_3repE0EEENS1_30default_config_static_selectorELNS0_4arch9wavefront6targetE0EEEvT1_
                                        ; -- End function
	.section	.AMDGPU.csdata,"",@progbits
; Kernel info:
; codeLenInByte = 0
; NumSgprs: 0
; NumVgprs: 0
; ScratchSize: 0
; MemoryBound: 0
; FloatMode: 240
; IeeeMode: 1
; LDSByteSize: 0 bytes/workgroup (compile time only)
; SGPRBlocks: 0
; VGPRBlocks: 0
; NumSGPRsForWavesPerEU: 1
; NumVGPRsForWavesPerEU: 1
; Occupancy: 16
; WaveLimiterHint : 0
; COMPUTE_PGM_RSRC2:SCRATCH_EN: 0
; COMPUTE_PGM_RSRC2:USER_SGPR: 15
; COMPUTE_PGM_RSRC2:TRAP_HANDLER: 0
; COMPUTE_PGM_RSRC2:TGID_X_EN: 1
; COMPUTE_PGM_RSRC2:TGID_Y_EN: 0
; COMPUTE_PGM_RSRC2:TGID_Z_EN: 0
; COMPUTE_PGM_RSRC2:TIDIG_COMP_CNT: 0
	.section	.text._ZN7rocprim17ROCPRIM_400000_NS6detail17trampoline_kernelINS0_14default_configENS1_29reduce_by_key_config_selectorIddN6thrust23THRUST_200600_302600_NS4plusIdEEEEZZNS1_33reduce_by_key_impl_wrapped_configILNS1_25lookback_scan_determinismE0ES3_S9_NS6_6detail15normal_iteratorINS6_10device_ptrIdEEEESG_SG_SG_PmS8_22is_equal_div_10_reduceIdEEE10hipError_tPvRmT2_T3_mT4_T5_T6_T7_T8_P12ihipStream_tbENKUlT_T0_E_clISt17integral_constantIbLb1EES11_EEDaSW_SX_EUlSW_E_NS1_11comp_targetILNS1_3genE4ELNS1_11target_archE910ELNS1_3gpuE8ELNS1_3repE0EEENS1_30default_config_static_selectorELNS0_4arch9wavefront6targetE0EEEvT1_,"axG",@progbits,_ZN7rocprim17ROCPRIM_400000_NS6detail17trampoline_kernelINS0_14default_configENS1_29reduce_by_key_config_selectorIddN6thrust23THRUST_200600_302600_NS4plusIdEEEEZZNS1_33reduce_by_key_impl_wrapped_configILNS1_25lookback_scan_determinismE0ES3_S9_NS6_6detail15normal_iteratorINS6_10device_ptrIdEEEESG_SG_SG_PmS8_22is_equal_div_10_reduceIdEEE10hipError_tPvRmT2_T3_mT4_T5_T6_T7_T8_P12ihipStream_tbENKUlT_T0_E_clISt17integral_constantIbLb1EES11_EEDaSW_SX_EUlSW_E_NS1_11comp_targetILNS1_3genE4ELNS1_11target_archE910ELNS1_3gpuE8ELNS1_3repE0EEENS1_30default_config_static_selectorELNS0_4arch9wavefront6targetE0EEEvT1_,comdat
	.protected	_ZN7rocprim17ROCPRIM_400000_NS6detail17trampoline_kernelINS0_14default_configENS1_29reduce_by_key_config_selectorIddN6thrust23THRUST_200600_302600_NS4plusIdEEEEZZNS1_33reduce_by_key_impl_wrapped_configILNS1_25lookback_scan_determinismE0ES3_S9_NS6_6detail15normal_iteratorINS6_10device_ptrIdEEEESG_SG_SG_PmS8_22is_equal_div_10_reduceIdEEE10hipError_tPvRmT2_T3_mT4_T5_T6_T7_T8_P12ihipStream_tbENKUlT_T0_E_clISt17integral_constantIbLb1EES11_EEDaSW_SX_EUlSW_E_NS1_11comp_targetILNS1_3genE4ELNS1_11target_archE910ELNS1_3gpuE8ELNS1_3repE0EEENS1_30default_config_static_selectorELNS0_4arch9wavefront6targetE0EEEvT1_ ; -- Begin function _ZN7rocprim17ROCPRIM_400000_NS6detail17trampoline_kernelINS0_14default_configENS1_29reduce_by_key_config_selectorIddN6thrust23THRUST_200600_302600_NS4plusIdEEEEZZNS1_33reduce_by_key_impl_wrapped_configILNS1_25lookback_scan_determinismE0ES3_S9_NS6_6detail15normal_iteratorINS6_10device_ptrIdEEEESG_SG_SG_PmS8_22is_equal_div_10_reduceIdEEE10hipError_tPvRmT2_T3_mT4_T5_T6_T7_T8_P12ihipStream_tbENKUlT_T0_E_clISt17integral_constantIbLb1EES11_EEDaSW_SX_EUlSW_E_NS1_11comp_targetILNS1_3genE4ELNS1_11target_archE910ELNS1_3gpuE8ELNS1_3repE0EEENS1_30default_config_static_selectorELNS0_4arch9wavefront6targetE0EEEvT1_
	.globl	_ZN7rocprim17ROCPRIM_400000_NS6detail17trampoline_kernelINS0_14default_configENS1_29reduce_by_key_config_selectorIddN6thrust23THRUST_200600_302600_NS4plusIdEEEEZZNS1_33reduce_by_key_impl_wrapped_configILNS1_25lookback_scan_determinismE0ES3_S9_NS6_6detail15normal_iteratorINS6_10device_ptrIdEEEESG_SG_SG_PmS8_22is_equal_div_10_reduceIdEEE10hipError_tPvRmT2_T3_mT4_T5_T6_T7_T8_P12ihipStream_tbENKUlT_T0_E_clISt17integral_constantIbLb1EES11_EEDaSW_SX_EUlSW_E_NS1_11comp_targetILNS1_3genE4ELNS1_11target_archE910ELNS1_3gpuE8ELNS1_3repE0EEENS1_30default_config_static_selectorELNS0_4arch9wavefront6targetE0EEEvT1_
	.p2align	8
	.type	_ZN7rocprim17ROCPRIM_400000_NS6detail17trampoline_kernelINS0_14default_configENS1_29reduce_by_key_config_selectorIddN6thrust23THRUST_200600_302600_NS4plusIdEEEEZZNS1_33reduce_by_key_impl_wrapped_configILNS1_25lookback_scan_determinismE0ES3_S9_NS6_6detail15normal_iteratorINS6_10device_ptrIdEEEESG_SG_SG_PmS8_22is_equal_div_10_reduceIdEEE10hipError_tPvRmT2_T3_mT4_T5_T6_T7_T8_P12ihipStream_tbENKUlT_T0_E_clISt17integral_constantIbLb1EES11_EEDaSW_SX_EUlSW_E_NS1_11comp_targetILNS1_3genE4ELNS1_11target_archE910ELNS1_3gpuE8ELNS1_3repE0EEENS1_30default_config_static_selectorELNS0_4arch9wavefront6targetE0EEEvT1_,@function
_ZN7rocprim17ROCPRIM_400000_NS6detail17trampoline_kernelINS0_14default_configENS1_29reduce_by_key_config_selectorIddN6thrust23THRUST_200600_302600_NS4plusIdEEEEZZNS1_33reduce_by_key_impl_wrapped_configILNS1_25lookback_scan_determinismE0ES3_S9_NS6_6detail15normal_iteratorINS6_10device_ptrIdEEEESG_SG_SG_PmS8_22is_equal_div_10_reduceIdEEE10hipError_tPvRmT2_T3_mT4_T5_T6_T7_T8_P12ihipStream_tbENKUlT_T0_E_clISt17integral_constantIbLb1EES11_EEDaSW_SX_EUlSW_E_NS1_11comp_targetILNS1_3genE4ELNS1_11target_archE910ELNS1_3gpuE8ELNS1_3repE0EEENS1_30default_config_static_selectorELNS0_4arch9wavefront6targetE0EEEvT1_: ; @_ZN7rocprim17ROCPRIM_400000_NS6detail17trampoline_kernelINS0_14default_configENS1_29reduce_by_key_config_selectorIddN6thrust23THRUST_200600_302600_NS4plusIdEEEEZZNS1_33reduce_by_key_impl_wrapped_configILNS1_25lookback_scan_determinismE0ES3_S9_NS6_6detail15normal_iteratorINS6_10device_ptrIdEEEESG_SG_SG_PmS8_22is_equal_div_10_reduceIdEEE10hipError_tPvRmT2_T3_mT4_T5_T6_T7_T8_P12ihipStream_tbENKUlT_T0_E_clISt17integral_constantIbLb1EES11_EEDaSW_SX_EUlSW_E_NS1_11comp_targetILNS1_3genE4ELNS1_11target_archE910ELNS1_3gpuE8ELNS1_3repE0EEENS1_30default_config_static_selectorELNS0_4arch9wavefront6targetE0EEEvT1_
; %bb.0:
	.section	.rodata,"a",@progbits
	.p2align	6, 0x0
	.amdhsa_kernel _ZN7rocprim17ROCPRIM_400000_NS6detail17trampoline_kernelINS0_14default_configENS1_29reduce_by_key_config_selectorIddN6thrust23THRUST_200600_302600_NS4plusIdEEEEZZNS1_33reduce_by_key_impl_wrapped_configILNS1_25lookback_scan_determinismE0ES3_S9_NS6_6detail15normal_iteratorINS6_10device_ptrIdEEEESG_SG_SG_PmS8_22is_equal_div_10_reduceIdEEE10hipError_tPvRmT2_T3_mT4_T5_T6_T7_T8_P12ihipStream_tbENKUlT_T0_E_clISt17integral_constantIbLb1EES11_EEDaSW_SX_EUlSW_E_NS1_11comp_targetILNS1_3genE4ELNS1_11target_archE910ELNS1_3gpuE8ELNS1_3repE0EEENS1_30default_config_static_selectorELNS0_4arch9wavefront6targetE0EEEvT1_
		.amdhsa_group_segment_fixed_size 0
		.amdhsa_private_segment_fixed_size 0
		.amdhsa_kernarg_size 136
		.amdhsa_user_sgpr_count 15
		.amdhsa_user_sgpr_dispatch_ptr 0
		.amdhsa_user_sgpr_queue_ptr 0
		.amdhsa_user_sgpr_kernarg_segment_ptr 1
		.amdhsa_user_sgpr_dispatch_id 0
		.amdhsa_user_sgpr_private_segment_size 0
		.amdhsa_wavefront_size32 1
		.amdhsa_uses_dynamic_stack 0
		.amdhsa_enable_private_segment 0
		.amdhsa_system_sgpr_workgroup_id_x 1
		.amdhsa_system_sgpr_workgroup_id_y 0
		.amdhsa_system_sgpr_workgroup_id_z 0
		.amdhsa_system_sgpr_workgroup_info 0
		.amdhsa_system_vgpr_workitem_id 0
		.amdhsa_next_free_vgpr 1
		.amdhsa_next_free_sgpr 1
		.amdhsa_reserve_vcc 0
		.amdhsa_float_round_mode_32 0
		.amdhsa_float_round_mode_16_64 0
		.amdhsa_float_denorm_mode_32 3
		.amdhsa_float_denorm_mode_16_64 3
		.amdhsa_dx10_clamp 1
		.amdhsa_ieee_mode 1
		.amdhsa_fp16_overflow 0
		.amdhsa_workgroup_processor_mode 1
		.amdhsa_memory_ordered 1
		.amdhsa_forward_progress 0
		.amdhsa_shared_vgpr_count 0
		.amdhsa_exception_fp_ieee_invalid_op 0
		.amdhsa_exception_fp_denorm_src 0
		.amdhsa_exception_fp_ieee_div_zero 0
		.amdhsa_exception_fp_ieee_overflow 0
		.amdhsa_exception_fp_ieee_underflow 0
		.amdhsa_exception_fp_ieee_inexact 0
		.amdhsa_exception_int_div_zero 0
	.end_amdhsa_kernel
	.section	.text._ZN7rocprim17ROCPRIM_400000_NS6detail17trampoline_kernelINS0_14default_configENS1_29reduce_by_key_config_selectorIddN6thrust23THRUST_200600_302600_NS4plusIdEEEEZZNS1_33reduce_by_key_impl_wrapped_configILNS1_25lookback_scan_determinismE0ES3_S9_NS6_6detail15normal_iteratorINS6_10device_ptrIdEEEESG_SG_SG_PmS8_22is_equal_div_10_reduceIdEEE10hipError_tPvRmT2_T3_mT4_T5_T6_T7_T8_P12ihipStream_tbENKUlT_T0_E_clISt17integral_constantIbLb1EES11_EEDaSW_SX_EUlSW_E_NS1_11comp_targetILNS1_3genE4ELNS1_11target_archE910ELNS1_3gpuE8ELNS1_3repE0EEENS1_30default_config_static_selectorELNS0_4arch9wavefront6targetE0EEEvT1_,"axG",@progbits,_ZN7rocprim17ROCPRIM_400000_NS6detail17trampoline_kernelINS0_14default_configENS1_29reduce_by_key_config_selectorIddN6thrust23THRUST_200600_302600_NS4plusIdEEEEZZNS1_33reduce_by_key_impl_wrapped_configILNS1_25lookback_scan_determinismE0ES3_S9_NS6_6detail15normal_iteratorINS6_10device_ptrIdEEEESG_SG_SG_PmS8_22is_equal_div_10_reduceIdEEE10hipError_tPvRmT2_T3_mT4_T5_T6_T7_T8_P12ihipStream_tbENKUlT_T0_E_clISt17integral_constantIbLb1EES11_EEDaSW_SX_EUlSW_E_NS1_11comp_targetILNS1_3genE4ELNS1_11target_archE910ELNS1_3gpuE8ELNS1_3repE0EEENS1_30default_config_static_selectorELNS0_4arch9wavefront6targetE0EEEvT1_,comdat
.Lfunc_end62:
	.size	_ZN7rocprim17ROCPRIM_400000_NS6detail17trampoline_kernelINS0_14default_configENS1_29reduce_by_key_config_selectorIddN6thrust23THRUST_200600_302600_NS4plusIdEEEEZZNS1_33reduce_by_key_impl_wrapped_configILNS1_25lookback_scan_determinismE0ES3_S9_NS6_6detail15normal_iteratorINS6_10device_ptrIdEEEESG_SG_SG_PmS8_22is_equal_div_10_reduceIdEEE10hipError_tPvRmT2_T3_mT4_T5_T6_T7_T8_P12ihipStream_tbENKUlT_T0_E_clISt17integral_constantIbLb1EES11_EEDaSW_SX_EUlSW_E_NS1_11comp_targetILNS1_3genE4ELNS1_11target_archE910ELNS1_3gpuE8ELNS1_3repE0EEENS1_30default_config_static_selectorELNS0_4arch9wavefront6targetE0EEEvT1_, .Lfunc_end62-_ZN7rocprim17ROCPRIM_400000_NS6detail17trampoline_kernelINS0_14default_configENS1_29reduce_by_key_config_selectorIddN6thrust23THRUST_200600_302600_NS4plusIdEEEEZZNS1_33reduce_by_key_impl_wrapped_configILNS1_25lookback_scan_determinismE0ES3_S9_NS6_6detail15normal_iteratorINS6_10device_ptrIdEEEESG_SG_SG_PmS8_22is_equal_div_10_reduceIdEEE10hipError_tPvRmT2_T3_mT4_T5_T6_T7_T8_P12ihipStream_tbENKUlT_T0_E_clISt17integral_constantIbLb1EES11_EEDaSW_SX_EUlSW_E_NS1_11comp_targetILNS1_3genE4ELNS1_11target_archE910ELNS1_3gpuE8ELNS1_3repE0EEENS1_30default_config_static_selectorELNS0_4arch9wavefront6targetE0EEEvT1_
                                        ; -- End function
	.section	.AMDGPU.csdata,"",@progbits
; Kernel info:
; codeLenInByte = 0
; NumSgprs: 0
; NumVgprs: 0
; ScratchSize: 0
; MemoryBound: 0
; FloatMode: 240
; IeeeMode: 1
; LDSByteSize: 0 bytes/workgroup (compile time only)
; SGPRBlocks: 0
; VGPRBlocks: 0
; NumSGPRsForWavesPerEU: 1
; NumVGPRsForWavesPerEU: 1
; Occupancy: 16
; WaveLimiterHint : 0
; COMPUTE_PGM_RSRC2:SCRATCH_EN: 0
; COMPUTE_PGM_RSRC2:USER_SGPR: 15
; COMPUTE_PGM_RSRC2:TRAP_HANDLER: 0
; COMPUTE_PGM_RSRC2:TGID_X_EN: 1
; COMPUTE_PGM_RSRC2:TGID_Y_EN: 0
; COMPUTE_PGM_RSRC2:TGID_Z_EN: 0
; COMPUTE_PGM_RSRC2:TIDIG_COMP_CNT: 0
	.section	.text._ZN7rocprim17ROCPRIM_400000_NS6detail17trampoline_kernelINS0_14default_configENS1_29reduce_by_key_config_selectorIddN6thrust23THRUST_200600_302600_NS4plusIdEEEEZZNS1_33reduce_by_key_impl_wrapped_configILNS1_25lookback_scan_determinismE0ES3_S9_NS6_6detail15normal_iteratorINS6_10device_ptrIdEEEESG_SG_SG_PmS8_22is_equal_div_10_reduceIdEEE10hipError_tPvRmT2_T3_mT4_T5_T6_T7_T8_P12ihipStream_tbENKUlT_T0_E_clISt17integral_constantIbLb1EES11_EEDaSW_SX_EUlSW_E_NS1_11comp_targetILNS1_3genE3ELNS1_11target_archE908ELNS1_3gpuE7ELNS1_3repE0EEENS1_30default_config_static_selectorELNS0_4arch9wavefront6targetE0EEEvT1_,"axG",@progbits,_ZN7rocprim17ROCPRIM_400000_NS6detail17trampoline_kernelINS0_14default_configENS1_29reduce_by_key_config_selectorIddN6thrust23THRUST_200600_302600_NS4plusIdEEEEZZNS1_33reduce_by_key_impl_wrapped_configILNS1_25lookback_scan_determinismE0ES3_S9_NS6_6detail15normal_iteratorINS6_10device_ptrIdEEEESG_SG_SG_PmS8_22is_equal_div_10_reduceIdEEE10hipError_tPvRmT2_T3_mT4_T5_T6_T7_T8_P12ihipStream_tbENKUlT_T0_E_clISt17integral_constantIbLb1EES11_EEDaSW_SX_EUlSW_E_NS1_11comp_targetILNS1_3genE3ELNS1_11target_archE908ELNS1_3gpuE7ELNS1_3repE0EEENS1_30default_config_static_selectorELNS0_4arch9wavefront6targetE0EEEvT1_,comdat
	.protected	_ZN7rocprim17ROCPRIM_400000_NS6detail17trampoline_kernelINS0_14default_configENS1_29reduce_by_key_config_selectorIddN6thrust23THRUST_200600_302600_NS4plusIdEEEEZZNS1_33reduce_by_key_impl_wrapped_configILNS1_25lookback_scan_determinismE0ES3_S9_NS6_6detail15normal_iteratorINS6_10device_ptrIdEEEESG_SG_SG_PmS8_22is_equal_div_10_reduceIdEEE10hipError_tPvRmT2_T3_mT4_T5_T6_T7_T8_P12ihipStream_tbENKUlT_T0_E_clISt17integral_constantIbLb1EES11_EEDaSW_SX_EUlSW_E_NS1_11comp_targetILNS1_3genE3ELNS1_11target_archE908ELNS1_3gpuE7ELNS1_3repE0EEENS1_30default_config_static_selectorELNS0_4arch9wavefront6targetE0EEEvT1_ ; -- Begin function _ZN7rocprim17ROCPRIM_400000_NS6detail17trampoline_kernelINS0_14default_configENS1_29reduce_by_key_config_selectorIddN6thrust23THRUST_200600_302600_NS4plusIdEEEEZZNS1_33reduce_by_key_impl_wrapped_configILNS1_25lookback_scan_determinismE0ES3_S9_NS6_6detail15normal_iteratorINS6_10device_ptrIdEEEESG_SG_SG_PmS8_22is_equal_div_10_reduceIdEEE10hipError_tPvRmT2_T3_mT4_T5_T6_T7_T8_P12ihipStream_tbENKUlT_T0_E_clISt17integral_constantIbLb1EES11_EEDaSW_SX_EUlSW_E_NS1_11comp_targetILNS1_3genE3ELNS1_11target_archE908ELNS1_3gpuE7ELNS1_3repE0EEENS1_30default_config_static_selectorELNS0_4arch9wavefront6targetE0EEEvT1_
	.globl	_ZN7rocprim17ROCPRIM_400000_NS6detail17trampoline_kernelINS0_14default_configENS1_29reduce_by_key_config_selectorIddN6thrust23THRUST_200600_302600_NS4plusIdEEEEZZNS1_33reduce_by_key_impl_wrapped_configILNS1_25lookback_scan_determinismE0ES3_S9_NS6_6detail15normal_iteratorINS6_10device_ptrIdEEEESG_SG_SG_PmS8_22is_equal_div_10_reduceIdEEE10hipError_tPvRmT2_T3_mT4_T5_T6_T7_T8_P12ihipStream_tbENKUlT_T0_E_clISt17integral_constantIbLb1EES11_EEDaSW_SX_EUlSW_E_NS1_11comp_targetILNS1_3genE3ELNS1_11target_archE908ELNS1_3gpuE7ELNS1_3repE0EEENS1_30default_config_static_selectorELNS0_4arch9wavefront6targetE0EEEvT1_
	.p2align	8
	.type	_ZN7rocprim17ROCPRIM_400000_NS6detail17trampoline_kernelINS0_14default_configENS1_29reduce_by_key_config_selectorIddN6thrust23THRUST_200600_302600_NS4plusIdEEEEZZNS1_33reduce_by_key_impl_wrapped_configILNS1_25lookback_scan_determinismE0ES3_S9_NS6_6detail15normal_iteratorINS6_10device_ptrIdEEEESG_SG_SG_PmS8_22is_equal_div_10_reduceIdEEE10hipError_tPvRmT2_T3_mT4_T5_T6_T7_T8_P12ihipStream_tbENKUlT_T0_E_clISt17integral_constantIbLb1EES11_EEDaSW_SX_EUlSW_E_NS1_11comp_targetILNS1_3genE3ELNS1_11target_archE908ELNS1_3gpuE7ELNS1_3repE0EEENS1_30default_config_static_selectorELNS0_4arch9wavefront6targetE0EEEvT1_,@function
_ZN7rocprim17ROCPRIM_400000_NS6detail17trampoline_kernelINS0_14default_configENS1_29reduce_by_key_config_selectorIddN6thrust23THRUST_200600_302600_NS4plusIdEEEEZZNS1_33reduce_by_key_impl_wrapped_configILNS1_25lookback_scan_determinismE0ES3_S9_NS6_6detail15normal_iteratorINS6_10device_ptrIdEEEESG_SG_SG_PmS8_22is_equal_div_10_reduceIdEEE10hipError_tPvRmT2_T3_mT4_T5_T6_T7_T8_P12ihipStream_tbENKUlT_T0_E_clISt17integral_constantIbLb1EES11_EEDaSW_SX_EUlSW_E_NS1_11comp_targetILNS1_3genE3ELNS1_11target_archE908ELNS1_3gpuE7ELNS1_3repE0EEENS1_30default_config_static_selectorELNS0_4arch9wavefront6targetE0EEEvT1_: ; @_ZN7rocprim17ROCPRIM_400000_NS6detail17trampoline_kernelINS0_14default_configENS1_29reduce_by_key_config_selectorIddN6thrust23THRUST_200600_302600_NS4plusIdEEEEZZNS1_33reduce_by_key_impl_wrapped_configILNS1_25lookback_scan_determinismE0ES3_S9_NS6_6detail15normal_iteratorINS6_10device_ptrIdEEEESG_SG_SG_PmS8_22is_equal_div_10_reduceIdEEE10hipError_tPvRmT2_T3_mT4_T5_T6_T7_T8_P12ihipStream_tbENKUlT_T0_E_clISt17integral_constantIbLb1EES11_EEDaSW_SX_EUlSW_E_NS1_11comp_targetILNS1_3genE3ELNS1_11target_archE908ELNS1_3gpuE7ELNS1_3repE0EEENS1_30default_config_static_selectorELNS0_4arch9wavefront6targetE0EEEvT1_
; %bb.0:
	.section	.rodata,"a",@progbits
	.p2align	6, 0x0
	.amdhsa_kernel _ZN7rocprim17ROCPRIM_400000_NS6detail17trampoline_kernelINS0_14default_configENS1_29reduce_by_key_config_selectorIddN6thrust23THRUST_200600_302600_NS4plusIdEEEEZZNS1_33reduce_by_key_impl_wrapped_configILNS1_25lookback_scan_determinismE0ES3_S9_NS6_6detail15normal_iteratorINS6_10device_ptrIdEEEESG_SG_SG_PmS8_22is_equal_div_10_reduceIdEEE10hipError_tPvRmT2_T3_mT4_T5_T6_T7_T8_P12ihipStream_tbENKUlT_T0_E_clISt17integral_constantIbLb1EES11_EEDaSW_SX_EUlSW_E_NS1_11comp_targetILNS1_3genE3ELNS1_11target_archE908ELNS1_3gpuE7ELNS1_3repE0EEENS1_30default_config_static_selectorELNS0_4arch9wavefront6targetE0EEEvT1_
		.amdhsa_group_segment_fixed_size 0
		.amdhsa_private_segment_fixed_size 0
		.amdhsa_kernarg_size 136
		.amdhsa_user_sgpr_count 15
		.amdhsa_user_sgpr_dispatch_ptr 0
		.amdhsa_user_sgpr_queue_ptr 0
		.amdhsa_user_sgpr_kernarg_segment_ptr 1
		.amdhsa_user_sgpr_dispatch_id 0
		.amdhsa_user_sgpr_private_segment_size 0
		.amdhsa_wavefront_size32 1
		.amdhsa_uses_dynamic_stack 0
		.amdhsa_enable_private_segment 0
		.amdhsa_system_sgpr_workgroup_id_x 1
		.amdhsa_system_sgpr_workgroup_id_y 0
		.amdhsa_system_sgpr_workgroup_id_z 0
		.amdhsa_system_sgpr_workgroup_info 0
		.amdhsa_system_vgpr_workitem_id 0
		.amdhsa_next_free_vgpr 1
		.amdhsa_next_free_sgpr 1
		.amdhsa_reserve_vcc 0
		.amdhsa_float_round_mode_32 0
		.amdhsa_float_round_mode_16_64 0
		.amdhsa_float_denorm_mode_32 3
		.amdhsa_float_denorm_mode_16_64 3
		.amdhsa_dx10_clamp 1
		.amdhsa_ieee_mode 1
		.amdhsa_fp16_overflow 0
		.amdhsa_workgroup_processor_mode 1
		.amdhsa_memory_ordered 1
		.amdhsa_forward_progress 0
		.amdhsa_shared_vgpr_count 0
		.amdhsa_exception_fp_ieee_invalid_op 0
		.amdhsa_exception_fp_denorm_src 0
		.amdhsa_exception_fp_ieee_div_zero 0
		.amdhsa_exception_fp_ieee_overflow 0
		.amdhsa_exception_fp_ieee_underflow 0
		.amdhsa_exception_fp_ieee_inexact 0
		.amdhsa_exception_int_div_zero 0
	.end_amdhsa_kernel
	.section	.text._ZN7rocprim17ROCPRIM_400000_NS6detail17trampoline_kernelINS0_14default_configENS1_29reduce_by_key_config_selectorIddN6thrust23THRUST_200600_302600_NS4plusIdEEEEZZNS1_33reduce_by_key_impl_wrapped_configILNS1_25lookback_scan_determinismE0ES3_S9_NS6_6detail15normal_iteratorINS6_10device_ptrIdEEEESG_SG_SG_PmS8_22is_equal_div_10_reduceIdEEE10hipError_tPvRmT2_T3_mT4_T5_T6_T7_T8_P12ihipStream_tbENKUlT_T0_E_clISt17integral_constantIbLb1EES11_EEDaSW_SX_EUlSW_E_NS1_11comp_targetILNS1_3genE3ELNS1_11target_archE908ELNS1_3gpuE7ELNS1_3repE0EEENS1_30default_config_static_selectorELNS0_4arch9wavefront6targetE0EEEvT1_,"axG",@progbits,_ZN7rocprim17ROCPRIM_400000_NS6detail17trampoline_kernelINS0_14default_configENS1_29reduce_by_key_config_selectorIddN6thrust23THRUST_200600_302600_NS4plusIdEEEEZZNS1_33reduce_by_key_impl_wrapped_configILNS1_25lookback_scan_determinismE0ES3_S9_NS6_6detail15normal_iteratorINS6_10device_ptrIdEEEESG_SG_SG_PmS8_22is_equal_div_10_reduceIdEEE10hipError_tPvRmT2_T3_mT4_T5_T6_T7_T8_P12ihipStream_tbENKUlT_T0_E_clISt17integral_constantIbLb1EES11_EEDaSW_SX_EUlSW_E_NS1_11comp_targetILNS1_3genE3ELNS1_11target_archE908ELNS1_3gpuE7ELNS1_3repE0EEENS1_30default_config_static_selectorELNS0_4arch9wavefront6targetE0EEEvT1_,comdat
.Lfunc_end63:
	.size	_ZN7rocprim17ROCPRIM_400000_NS6detail17trampoline_kernelINS0_14default_configENS1_29reduce_by_key_config_selectorIddN6thrust23THRUST_200600_302600_NS4plusIdEEEEZZNS1_33reduce_by_key_impl_wrapped_configILNS1_25lookback_scan_determinismE0ES3_S9_NS6_6detail15normal_iteratorINS6_10device_ptrIdEEEESG_SG_SG_PmS8_22is_equal_div_10_reduceIdEEE10hipError_tPvRmT2_T3_mT4_T5_T6_T7_T8_P12ihipStream_tbENKUlT_T0_E_clISt17integral_constantIbLb1EES11_EEDaSW_SX_EUlSW_E_NS1_11comp_targetILNS1_3genE3ELNS1_11target_archE908ELNS1_3gpuE7ELNS1_3repE0EEENS1_30default_config_static_selectorELNS0_4arch9wavefront6targetE0EEEvT1_, .Lfunc_end63-_ZN7rocprim17ROCPRIM_400000_NS6detail17trampoline_kernelINS0_14default_configENS1_29reduce_by_key_config_selectorIddN6thrust23THRUST_200600_302600_NS4plusIdEEEEZZNS1_33reduce_by_key_impl_wrapped_configILNS1_25lookback_scan_determinismE0ES3_S9_NS6_6detail15normal_iteratorINS6_10device_ptrIdEEEESG_SG_SG_PmS8_22is_equal_div_10_reduceIdEEE10hipError_tPvRmT2_T3_mT4_T5_T6_T7_T8_P12ihipStream_tbENKUlT_T0_E_clISt17integral_constantIbLb1EES11_EEDaSW_SX_EUlSW_E_NS1_11comp_targetILNS1_3genE3ELNS1_11target_archE908ELNS1_3gpuE7ELNS1_3repE0EEENS1_30default_config_static_selectorELNS0_4arch9wavefront6targetE0EEEvT1_
                                        ; -- End function
	.section	.AMDGPU.csdata,"",@progbits
; Kernel info:
; codeLenInByte = 0
; NumSgprs: 0
; NumVgprs: 0
; ScratchSize: 0
; MemoryBound: 0
; FloatMode: 240
; IeeeMode: 1
; LDSByteSize: 0 bytes/workgroup (compile time only)
; SGPRBlocks: 0
; VGPRBlocks: 0
; NumSGPRsForWavesPerEU: 1
; NumVGPRsForWavesPerEU: 1
; Occupancy: 16
; WaveLimiterHint : 0
; COMPUTE_PGM_RSRC2:SCRATCH_EN: 0
; COMPUTE_PGM_RSRC2:USER_SGPR: 15
; COMPUTE_PGM_RSRC2:TRAP_HANDLER: 0
; COMPUTE_PGM_RSRC2:TGID_X_EN: 1
; COMPUTE_PGM_RSRC2:TGID_Y_EN: 0
; COMPUTE_PGM_RSRC2:TGID_Z_EN: 0
; COMPUTE_PGM_RSRC2:TIDIG_COMP_CNT: 0
	.section	.text._ZN7rocprim17ROCPRIM_400000_NS6detail17trampoline_kernelINS0_14default_configENS1_29reduce_by_key_config_selectorIddN6thrust23THRUST_200600_302600_NS4plusIdEEEEZZNS1_33reduce_by_key_impl_wrapped_configILNS1_25lookback_scan_determinismE0ES3_S9_NS6_6detail15normal_iteratorINS6_10device_ptrIdEEEESG_SG_SG_PmS8_22is_equal_div_10_reduceIdEEE10hipError_tPvRmT2_T3_mT4_T5_T6_T7_T8_P12ihipStream_tbENKUlT_T0_E_clISt17integral_constantIbLb1EES11_EEDaSW_SX_EUlSW_E_NS1_11comp_targetILNS1_3genE2ELNS1_11target_archE906ELNS1_3gpuE6ELNS1_3repE0EEENS1_30default_config_static_selectorELNS0_4arch9wavefront6targetE0EEEvT1_,"axG",@progbits,_ZN7rocprim17ROCPRIM_400000_NS6detail17trampoline_kernelINS0_14default_configENS1_29reduce_by_key_config_selectorIddN6thrust23THRUST_200600_302600_NS4plusIdEEEEZZNS1_33reduce_by_key_impl_wrapped_configILNS1_25lookback_scan_determinismE0ES3_S9_NS6_6detail15normal_iteratorINS6_10device_ptrIdEEEESG_SG_SG_PmS8_22is_equal_div_10_reduceIdEEE10hipError_tPvRmT2_T3_mT4_T5_T6_T7_T8_P12ihipStream_tbENKUlT_T0_E_clISt17integral_constantIbLb1EES11_EEDaSW_SX_EUlSW_E_NS1_11comp_targetILNS1_3genE2ELNS1_11target_archE906ELNS1_3gpuE6ELNS1_3repE0EEENS1_30default_config_static_selectorELNS0_4arch9wavefront6targetE0EEEvT1_,comdat
	.protected	_ZN7rocprim17ROCPRIM_400000_NS6detail17trampoline_kernelINS0_14default_configENS1_29reduce_by_key_config_selectorIddN6thrust23THRUST_200600_302600_NS4plusIdEEEEZZNS1_33reduce_by_key_impl_wrapped_configILNS1_25lookback_scan_determinismE0ES3_S9_NS6_6detail15normal_iteratorINS6_10device_ptrIdEEEESG_SG_SG_PmS8_22is_equal_div_10_reduceIdEEE10hipError_tPvRmT2_T3_mT4_T5_T6_T7_T8_P12ihipStream_tbENKUlT_T0_E_clISt17integral_constantIbLb1EES11_EEDaSW_SX_EUlSW_E_NS1_11comp_targetILNS1_3genE2ELNS1_11target_archE906ELNS1_3gpuE6ELNS1_3repE0EEENS1_30default_config_static_selectorELNS0_4arch9wavefront6targetE0EEEvT1_ ; -- Begin function _ZN7rocprim17ROCPRIM_400000_NS6detail17trampoline_kernelINS0_14default_configENS1_29reduce_by_key_config_selectorIddN6thrust23THRUST_200600_302600_NS4plusIdEEEEZZNS1_33reduce_by_key_impl_wrapped_configILNS1_25lookback_scan_determinismE0ES3_S9_NS6_6detail15normal_iteratorINS6_10device_ptrIdEEEESG_SG_SG_PmS8_22is_equal_div_10_reduceIdEEE10hipError_tPvRmT2_T3_mT4_T5_T6_T7_T8_P12ihipStream_tbENKUlT_T0_E_clISt17integral_constantIbLb1EES11_EEDaSW_SX_EUlSW_E_NS1_11comp_targetILNS1_3genE2ELNS1_11target_archE906ELNS1_3gpuE6ELNS1_3repE0EEENS1_30default_config_static_selectorELNS0_4arch9wavefront6targetE0EEEvT1_
	.globl	_ZN7rocprim17ROCPRIM_400000_NS6detail17trampoline_kernelINS0_14default_configENS1_29reduce_by_key_config_selectorIddN6thrust23THRUST_200600_302600_NS4plusIdEEEEZZNS1_33reduce_by_key_impl_wrapped_configILNS1_25lookback_scan_determinismE0ES3_S9_NS6_6detail15normal_iteratorINS6_10device_ptrIdEEEESG_SG_SG_PmS8_22is_equal_div_10_reduceIdEEE10hipError_tPvRmT2_T3_mT4_T5_T6_T7_T8_P12ihipStream_tbENKUlT_T0_E_clISt17integral_constantIbLb1EES11_EEDaSW_SX_EUlSW_E_NS1_11comp_targetILNS1_3genE2ELNS1_11target_archE906ELNS1_3gpuE6ELNS1_3repE0EEENS1_30default_config_static_selectorELNS0_4arch9wavefront6targetE0EEEvT1_
	.p2align	8
	.type	_ZN7rocprim17ROCPRIM_400000_NS6detail17trampoline_kernelINS0_14default_configENS1_29reduce_by_key_config_selectorIddN6thrust23THRUST_200600_302600_NS4plusIdEEEEZZNS1_33reduce_by_key_impl_wrapped_configILNS1_25lookback_scan_determinismE0ES3_S9_NS6_6detail15normal_iteratorINS6_10device_ptrIdEEEESG_SG_SG_PmS8_22is_equal_div_10_reduceIdEEE10hipError_tPvRmT2_T3_mT4_T5_T6_T7_T8_P12ihipStream_tbENKUlT_T0_E_clISt17integral_constantIbLb1EES11_EEDaSW_SX_EUlSW_E_NS1_11comp_targetILNS1_3genE2ELNS1_11target_archE906ELNS1_3gpuE6ELNS1_3repE0EEENS1_30default_config_static_selectorELNS0_4arch9wavefront6targetE0EEEvT1_,@function
_ZN7rocprim17ROCPRIM_400000_NS6detail17trampoline_kernelINS0_14default_configENS1_29reduce_by_key_config_selectorIddN6thrust23THRUST_200600_302600_NS4plusIdEEEEZZNS1_33reduce_by_key_impl_wrapped_configILNS1_25lookback_scan_determinismE0ES3_S9_NS6_6detail15normal_iteratorINS6_10device_ptrIdEEEESG_SG_SG_PmS8_22is_equal_div_10_reduceIdEEE10hipError_tPvRmT2_T3_mT4_T5_T6_T7_T8_P12ihipStream_tbENKUlT_T0_E_clISt17integral_constantIbLb1EES11_EEDaSW_SX_EUlSW_E_NS1_11comp_targetILNS1_3genE2ELNS1_11target_archE906ELNS1_3gpuE6ELNS1_3repE0EEENS1_30default_config_static_selectorELNS0_4arch9wavefront6targetE0EEEvT1_: ; @_ZN7rocprim17ROCPRIM_400000_NS6detail17trampoline_kernelINS0_14default_configENS1_29reduce_by_key_config_selectorIddN6thrust23THRUST_200600_302600_NS4plusIdEEEEZZNS1_33reduce_by_key_impl_wrapped_configILNS1_25lookback_scan_determinismE0ES3_S9_NS6_6detail15normal_iteratorINS6_10device_ptrIdEEEESG_SG_SG_PmS8_22is_equal_div_10_reduceIdEEE10hipError_tPvRmT2_T3_mT4_T5_T6_T7_T8_P12ihipStream_tbENKUlT_T0_E_clISt17integral_constantIbLb1EES11_EEDaSW_SX_EUlSW_E_NS1_11comp_targetILNS1_3genE2ELNS1_11target_archE906ELNS1_3gpuE6ELNS1_3repE0EEENS1_30default_config_static_selectorELNS0_4arch9wavefront6targetE0EEEvT1_
; %bb.0:
	.section	.rodata,"a",@progbits
	.p2align	6, 0x0
	.amdhsa_kernel _ZN7rocprim17ROCPRIM_400000_NS6detail17trampoline_kernelINS0_14default_configENS1_29reduce_by_key_config_selectorIddN6thrust23THRUST_200600_302600_NS4plusIdEEEEZZNS1_33reduce_by_key_impl_wrapped_configILNS1_25lookback_scan_determinismE0ES3_S9_NS6_6detail15normal_iteratorINS6_10device_ptrIdEEEESG_SG_SG_PmS8_22is_equal_div_10_reduceIdEEE10hipError_tPvRmT2_T3_mT4_T5_T6_T7_T8_P12ihipStream_tbENKUlT_T0_E_clISt17integral_constantIbLb1EES11_EEDaSW_SX_EUlSW_E_NS1_11comp_targetILNS1_3genE2ELNS1_11target_archE906ELNS1_3gpuE6ELNS1_3repE0EEENS1_30default_config_static_selectorELNS0_4arch9wavefront6targetE0EEEvT1_
		.amdhsa_group_segment_fixed_size 0
		.amdhsa_private_segment_fixed_size 0
		.amdhsa_kernarg_size 136
		.amdhsa_user_sgpr_count 15
		.amdhsa_user_sgpr_dispatch_ptr 0
		.amdhsa_user_sgpr_queue_ptr 0
		.amdhsa_user_sgpr_kernarg_segment_ptr 1
		.amdhsa_user_sgpr_dispatch_id 0
		.amdhsa_user_sgpr_private_segment_size 0
		.amdhsa_wavefront_size32 1
		.amdhsa_uses_dynamic_stack 0
		.amdhsa_enable_private_segment 0
		.amdhsa_system_sgpr_workgroup_id_x 1
		.amdhsa_system_sgpr_workgroup_id_y 0
		.amdhsa_system_sgpr_workgroup_id_z 0
		.amdhsa_system_sgpr_workgroup_info 0
		.amdhsa_system_vgpr_workitem_id 0
		.amdhsa_next_free_vgpr 1
		.amdhsa_next_free_sgpr 1
		.amdhsa_reserve_vcc 0
		.amdhsa_float_round_mode_32 0
		.amdhsa_float_round_mode_16_64 0
		.amdhsa_float_denorm_mode_32 3
		.amdhsa_float_denorm_mode_16_64 3
		.amdhsa_dx10_clamp 1
		.amdhsa_ieee_mode 1
		.amdhsa_fp16_overflow 0
		.amdhsa_workgroup_processor_mode 1
		.amdhsa_memory_ordered 1
		.amdhsa_forward_progress 0
		.amdhsa_shared_vgpr_count 0
		.amdhsa_exception_fp_ieee_invalid_op 0
		.amdhsa_exception_fp_denorm_src 0
		.amdhsa_exception_fp_ieee_div_zero 0
		.amdhsa_exception_fp_ieee_overflow 0
		.amdhsa_exception_fp_ieee_underflow 0
		.amdhsa_exception_fp_ieee_inexact 0
		.amdhsa_exception_int_div_zero 0
	.end_amdhsa_kernel
	.section	.text._ZN7rocprim17ROCPRIM_400000_NS6detail17trampoline_kernelINS0_14default_configENS1_29reduce_by_key_config_selectorIddN6thrust23THRUST_200600_302600_NS4plusIdEEEEZZNS1_33reduce_by_key_impl_wrapped_configILNS1_25lookback_scan_determinismE0ES3_S9_NS6_6detail15normal_iteratorINS6_10device_ptrIdEEEESG_SG_SG_PmS8_22is_equal_div_10_reduceIdEEE10hipError_tPvRmT2_T3_mT4_T5_T6_T7_T8_P12ihipStream_tbENKUlT_T0_E_clISt17integral_constantIbLb1EES11_EEDaSW_SX_EUlSW_E_NS1_11comp_targetILNS1_3genE2ELNS1_11target_archE906ELNS1_3gpuE6ELNS1_3repE0EEENS1_30default_config_static_selectorELNS0_4arch9wavefront6targetE0EEEvT1_,"axG",@progbits,_ZN7rocprim17ROCPRIM_400000_NS6detail17trampoline_kernelINS0_14default_configENS1_29reduce_by_key_config_selectorIddN6thrust23THRUST_200600_302600_NS4plusIdEEEEZZNS1_33reduce_by_key_impl_wrapped_configILNS1_25lookback_scan_determinismE0ES3_S9_NS6_6detail15normal_iteratorINS6_10device_ptrIdEEEESG_SG_SG_PmS8_22is_equal_div_10_reduceIdEEE10hipError_tPvRmT2_T3_mT4_T5_T6_T7_T8_P12ihipStream_tbENKUlT_T0_E_clISt17integral_constantIbLb1EES11_EEDaSW_SX_EUlSW_E_NS1_11comp_targetILNS1_3genE2ELNS1_11target_archE906ELNS1_3gpuE6ELNS1_3repE0EEENS1_30default_config_static_selectorELNS0_4arch9wavefront6targetE0EEEvT1_,comdat
.Lfunc_end64:
	.size	_ZN7rocprim17ROCPRIM_400000_NS6detail17trampoline_kernelINS0_14default_configENS1_29reduce_by_key_config_selectorIddN6thrust23THRUST_200600_302600_NS4plusIdEEEEZZNS1_33reduce_by_key_impl_wrapped_configILNS1_25lookback_scan_determinismE0ES3_S9_NS6_6detail15normal_iteratorINS6_10device_ptrIdEEEESG_SG_SG_PmS8_22is_equal_div_10_reduceIdEEE10hipError_tPvRmT2_T3_mT4_T5_T6_T7_T8_P12ihipStream_tbENKUlT_T0_E_clISt17integral_constantIbLb1EES11_EEDaSW_SX_EUlSW_E_NS1_11comp_targetILNS1_3genE2ELNS1_11target_archE906ELNS1_3gpuE6ELNS1_3repE0EEENS1_30default_config_static_selectorELNS0_4arch9wavefront6targetE0EEEvT1_, .Lfunc_end64-_ZN7rocprim17ROCPRIM_400000_NS6detail17trampoline_kernelINS0_14default_configENS1_29reduce_by_key_config_selectorIddN6thrust23THRUST_200600_302600_NS4plusIdEEEEZZNS1_33reduce_by_key_impl_wrapped_configILNS1_25lookback_scan_determinismE0ES3_S9_NS6_6detail15normal_iteratorINS6_10device_ptrIdEEEESG_SG_SG_PmS8_22is_equal_div_10_reduceIdEEE10hipError_tPvRmT2_T3_mT4_T5_T6_T7_T8_P12ihipStream_tbENKUlT_T0_E_clISt17integral_constantIbLb1EES11_EEDaSW_SX_EUlSW_E_NS1_11comp_targetILNS1_3genE2ELNS1_11target_archE906ELNS1_3gpuE6ELNS1_3repE0EEENS1_30default_config_static_selectorELNS0_4arch9wavefront6targetE0EEEvT1_
                                        ; -- End function
	.section	.AMDGPU.csdata,"",@progbits
; Kernel info:
; codeLenInByte = 0
; NumSgprs: 0
; NumVgprs: 0
; ScratchSize: 0
; MemoryBound: 0
; FloatMode: 240
; IeeeMode: 1
; LDSByteSize: 0 bytes/workgroup (compile time only)
; SGPRBlocks: 0
; VGPRBlocks: 0
; NumSGPRsForWavesPerEU: 1
; NumVGPRsForWavesPerEU: 1
; Occupancy: 16
; WaveLimiterHint : 0
; COMPUTE_PGM_RSRC2:SCRATCH_EN: 0
; COMPUTE_PGM_RSRC2:USER_SGPR: 15
; COMPUTE_PGM_RSRC2:TRAP_HANDLER: 0
; COMPUTE_PGM_RSRC2:TGID_X_EN: 1
; COMPUTE_PGM_RSRC2:TGID_Y_EN: 0
; COMPUTE_PGM_RSRC2:TGID_Z_EN: 0
; COMPUTE_PGM_RSRC2:TIDIG_COMP_CNT: 0
	.section	.text._ZN7rocprim17ROCPRIM_400000_NS6detail17trampoline_kernelINS0_14default_configENS1_29reduce_by_key_config_selectorIddN6thrust23THRUST_200600_302600_NS4plusIdEEEEZZNS1_33reduce_by_key_impl_wrapped_configILNS1_25lookback_scan_determinismE0ES3_S9_NS6_6detail15normal_iteratorINS6_10device_ptrIdEEEESG_SG_SG_PmS8_22is_equal_div_10_reduceIdEEE10hipError_tPvRmT2_T3_mT4_T5_T6_T7_T8_P12ihipStream_tbENKUlT_T0_E_clISt17integral_constantIbLb1EES11_EEDaSW_SX_EUlSW_E_NS1_11comp_targetILNS1_3genE10ELNS1_11target_archE1201ELNS1_3gpuE5ELNS1_3repE0EEENS1_30default_config_static_selectorELNS0_4arch9wavefront6targetE0EEEvT1_,"axG",@progbits,_ZN7rocprim17ROCPRIM_400000_NS6detail17trampoline_kernelINS0_14default_configENS1_29reduce_by_key_config_selectorIddN6thrust23THRUST_200600_302600_NS4plusIdEEEEZZNS1_33reduce_by_key_impl_wrapped_configILNS1_25lookback_scan_determinismE0ES3_S9_NS6_6detail15normal_iteratorINS6_10device_ptrIdEEEESG_SG_SG_PmS8_22is_equal_div_10_reduceIdEEE10hipError_tPvRmT2_T3_mT4_T5_T6_T7_T8_P12ihipStream_tbENKUlT_T0_E_clISt17integral_constantIbLb1EES11_EEDaSW_SX_EUlSW_E_NS1_11comp_targetILNS1_3genE10ELNS1_11target_archE1201ELNS1_3gpuE5ELNS1_3repE0EEENS1_30default_config_static_selectorELNS0_4arch9wavefront6targetE0EEEvT1_,comdat
	.protected	_ZN7rocprim17ROCPRIM_400000_NS6detail17trampoline_kernelINS0_14default_configENS1_29reduce_by_key_config_selectorIddN6thrust23THRUST_200600_302600_NS4plusIdEEEEZZNS1_33reduce_by_key_impl_wrapped_configILNS1_25lookback_scan_determinismE0ES3_S9_NS6_6detail15normal_iteratorINS6_10device_ptrIdEEEESG_SG_SG_PmS8_22is_equal_div_10_reduceIdEEE10hipError_tPvRmT2_T3_mT4_T5_T6_T7_T8_P12ihipStream_tbENKUlT_T0_E_clISt17integral_constantIbLb1EES11_EEDaSW_SX_EUlSW_E_NS1_11comp_targetILNS1_3genE10ELNS1_11target_archE1201ELNS1_3gpuE5ELNS1_3repE0EEENS1_30default_config_static_selectorELNS0_4arch9wavefront6targetE0EEEvT1_ ; -- Begin function _ZN7rocprim17ROCPRIM_400000_NS6detail17trampoline_kernelINS0_14default_configENS1_29reduce_by_key_config_selectorIddN6thrust23THRUST_200600_302600_NS4plusIdEEEEZZNS1_33reduce_by_key_impl_wrapped_configILNS1_25lookback_scan_determinismE0ES3_S9_NS6_6detail15normal_iteratorINS6_10device_ptrIdEEEESG_SG_SG_PmS8_22is_equal_div_10_reduceIdEEE10hipError_tPvRmT2_T3_mT4_T5_T6_T7_T8_P12ihipStream_tbENKUlT_T0_E_clISt17integral_constantIbLb1EES11_EEDaSW_SX_EUlSW_E_NS1_11comp_targetILNS1_3genE10ELNS1_11target_archE1201ELNS1_3gpuE5ELNS1_3repE0EEENS1_30default_config_static_selectorELNS0_4arch9wavefront6targetE0EEEvT1_
	.globl	_ZN7rocprim17ROCPRIM_400000_NS6detail17trampoline_kernelINS0_14default_configENS1_29reduce_by_key_config_selectorIddN6thrust23THRUST_200600_302600_NS4plusIdEEEEZZNS1_33reduce_by_key_impl_wrapped_configILNS1_25lookback_scan_determinismE0ES3_S9_NS6_6detail15normal_iteratorINS6_10device_ptrIdEEEESG_SG_SG_PmS8_22is_equal_div_10_reduceIdEEE10hipError_tPvRmT2_T3_mT4_T5_T6_T7_T8_P12ihipStream_tbENKUlT_T0_E_clISt17integral_constantIbLb1EES11_EEDaSW_SX_EUlSW_E_NS1_11comp_targetILNS1_3genE10ELNS1_11target_archE1201ELNS1_3gpuE5ELNS1_3repE0EEENS1_30default_config_static_selectorELNS0_4arch9wavefront6targetE0EEEvT1_
	.p2align	8
	.type	_ZN7rocprim17ROCPRIM_400000_NS6detail17trampoline_kernelINS0_14default_configENS1_29reduce_by_key_config_selectorIddN6thrust23THRUST_200600_302600_NS4plusIdEEEEZZNS1_33reduce_by_key_impl_wrapped_configILNS1_25lookback_scan_determinismE0ES3_S9_NS6_6detail15normal_iteratorINS6_10device_ptrIdEEEESG_SG_SG_PmS8_22is_equal_div_10_reduceIdEEE10hipError_tPvRmT2_T3_mT4_T5_T6_T7_T8_P12ihipStream_tbENKUlT_T0_E_clISt17integral_constantIbLb1EES11_EEDaSW_SX_EUlSW_E_NS1_11comp_targetILNS1_3genE10ELNS1_11target_archE1201ELNS1_3gpuE5ELNS1_3repE0EEENS1_30default_config_static_selectorELNS0_4arch9wavefront6targetE0EEEvT1_,@function
_ZN7rocprim17ROCPRIM_400000_NS6detail17trampoline_kernelINS0_14default_configENS1_29reduce_by_key_config_selectorIddN6thrust23THRUST_200600_302600_NS4plusIdEEEEZZNS1_33reduce_by_key_impl_wrapped_configILNS1_25lookback_scan_determinismE0ES3_S9_NS6_6detail15normal_iteratorINS6_10device_ptrIdEEEESG_SG_SG_PmS8_22is_equal_div_10_reduceIdEEE10hipError_tPvRmT2_T3_mT4_T5_T6_T7_T8_P12ihipStream_tbENKUlT_T0_E_clISt17integral_constantIbLb1EES11_EEDaSW_SX_EUlSW_E_NS1_11comp_targetILNS1_3genE10ELNS1_11target_archE1201ELNS1_3gpuE5ELNS1_3repE0EEENS1_30default_config_static_selectorELNS0_4arch9wavefront6targetE0EEEvT1_: ; @_ZN7rocprim17ROCPRIM_400000_NS6detail17trampoline_kernelINS0_14default_configENS1_29reduce_by_key_config_selectorIddN6thrust23THRUST_200600_302600_NS4plusIdEEEEZZNS1_33reduce_by_key_impl_wrapped_configILNS1_25lookback_scan_determinismE0ES3_S9_NS6_6detail15normal_iteratorINS6_10device_ptrIdEEEESG_SG_SG_PmS8_22is_equal_div_10_reduceIdEEE10hipError_tPvRmT2_T3_mT4_T5_T6_T7_T8_P12ihipStream_tbENKUlT_T0_E_clISt17integral_constantIbLb1EES11_EEDaSW_SX_EUlSW_E_NS1_11comp_targetILNS1_3genE10ELNS1_11target_archE1201ELNS1_3gpuE5ELNS1_3repE0EEENS1_30default_config_static_selectorELNS0_4arch9wavefront6targetE0EEEvT1_
; %bb.0:
	.section	.rodata,"a",@progbits
	.p2align	6, 0x0
	.amdhsa_kernel _ZN7rocprim17ROCPRIM_400000_NS6detail17trampoline_kernelINS0_14default_configENS1_29reduce_by_key_config_selectorIddN6thrust23THRUST_200600_302600_NS4plusIdEEEEZZNS1_33reduce_by_key_impl_wrapped_configILNS1_25lookback_scan_determinismE0ES3_S9_NS6_6detail15normal_iteratorINS6_10device_ptrIdEEEESG_SG_SG_PmS8_22is_equal_div_10_reduceIdEEE10hipError_tPvRmT2_T3_mT4_T5_T6_T7_T8_P12ihipStream_tbENKUlT_T0_E_clISt17integral_constantIbLb1EES11_EEDaSW_SX_EUlSW_E_NS1_11comp_targetILNS1_3genE10ELNS1_11target_archE1201ELNS1_3gpuE5ELNS1_3repE0EEENS1_30default_config_static_selectorELNS0_4arch9wavefront6targetE0EEEvT1_
		.amdhsa_group_segment_fixed_size 0
		.amdhsa_private_segment_fixed_size 0
		.amdhsa_kernarg_size 136
		.amdhsa_user_sgpr_count 15
		.amdhsa_user_sgpr_dispatch_ptr 0
		.amdhsa_user_sgpr_queue_ptr 0
		.amdhsa_user_sgpr_kernarg_segment_ptr 1
		.amdhsa_user_sgpr_dispatch_id 0
		.amdhsa_user_sgpr_private_segment_size 0
		.amdhsa_wavefront_size32 1
		.amdhsa_uses_dynamic_stack 0
		.amdhsa_enable_private_segment 0
		.amdhsa_system_sgpr_workgroup_id_x 1
		.amdhsa_system_sgpr_workgroup_id_y 0
		.amdhsa_system_sgpr_workgroup_id_z 0
		.amdhsa_system_sgpr_workgroup_info 0
		.amdhsa_system_vgpr_workitem_id 0
		.amdhsa_next_free_vgpr 1
		.amdhsa_next_free_sgpr 1
		.amdhsa_reserve_vcc 0
		.amdhsa_float_round_mode_32 0
		.amdhsa_float_round_mode_16_64 0
		.amdhsa_float_denorm_mode_32 3
		.amdhsa_float_denorm_mode_16_64 3
		.amdhsa_dx10_clamp 1
		.amdhsa_ieee_mode 1
		.amdhsa_fp16_overflow 0
		.amdhsa_workgroup_processor_mode 1
		.amdhsa_memory_ordered 1
		.amdhsa_forward_progress 0
		.amdhsa_shared_vgpr_count 0
		.amdhsa_exception_fp_ieee_invalid_op 0
		.amdhsa_exception_fp_denorm_src 0
		.amdhsa_exception_fp_ieee_div_zero 0
		.amdhsa_exception_fp_ieee_overflow 0
		.amdhsa_exception_fp_ieee_underflow 0
		.amdhsa_exception_fp_ieee_inexact 0
		.amdhsa_exception_int_div_zero 0
	.end_amdhsa_kernel
	.section	.text._ZN7rocprim17ROCPRIM_400000_NS6detail17trampoline_kernelINS0_14default_configENS1_29reduce_by_key_config_selectorIddN6thrust23THRUST_200600_302600_NS4plusIdEEEEZZNS1_33reduce_by_key_impl_wrapped_configILNS1_25lookback_scan_determinismE0ES3_S9_NS6_6detail15normal_iteratorINS6_10device_ptrIdEEEESG_SG_SG_PmS8_22is_equal_div_10_reduceIdEEE10hipError_tPvRmT2_T3_mT4_T5_T6_T7_T8_P12ihipStream_tbENKUlT_T0_E_clISt17integral_constantIbLb1EES11_EEDaSW_SX_EUlSW_E_NS1_11comp_targetILNS1_3genE10ELNS1_11target_archE1201ELNS1_3gpuE5ELNS1_3repE0EEENS1_30default_config_static_selectorELNS0_4arch9wavefront6targetE0EEEvT1_,"axG",@progbits,_ZN7rocprim17ROCPRIM_400000_NS6detail17trampoline_kernelINS0_14default_configENS1_29reduce_by_key_config_selectorIddN6thrust23THRUST_200600_302600_NS4plusIdEEEEZZNS1_33reduce_by_key_impl_wrapped_configILNS1_25lookback_scan_determinismE0ES3_S9_NS6_6detail15normal_iteratorINS6_10device_ptrIdEEEESG_SG_SG_PmS8_22is_equal_div_10_reduceIdEEE10hipError_tPvRmT2_T3_mT4_T5_T6_T7_T8_P12ihipStream_tbENKUlT_T0_E_clISt17integral_constantIbLb1EES11_EEDaSW_SX_EUlSW_E_NS1_11comp_targetILNS1_3genE10ELNS1_11target_archE1201ELNS1_3gpuE5ELNS1_3repE0EEENS1_30default_config_static_selectorELNS0_4arch9wavefront6targetE0EEEvT1_,comdat
.Lfunc_end65:
	.size	_ZN7rocprim17ROCPRIM_400000_NS6detail17trampoline_kernelINS0_14default_configENS1_29reduce_by_key_config_selectorIddN6thrust23THRUST_200600_302600_NS4plusIdEEEEZZNS1_33reduce_by_key_impl_wrapped_configILNS1_25lookback_scan_determinismE0ES3_S9_NS6_6detail15normal_iteratorINS6_10device_ptrIdEEEESG_SG_SG_PmS8_22is_equal_div_10_reduceIdEEE10hipError_tPvRmT2_T3_mT4_T5_T6_T7_T8_P12ihipStream_tbENKUlT_T0_E_clISt17integral_constantIbLb1EES11_EEDaSW_SX_EUlSW_E_NS1_11comp_targetILNS1_3genE10ELNS1_11target_archE1201ELNS1_3gpuE5ELNS1_3repE0EEENS1_30default_config_static_selectorELNS0_4arch9wavefront6targetE0EEEvT1_, .Lfunc_end65-_ZN7rocprim17ROCPRIM_400000_NS6detail17trampoline_kernelINS0_14default_configENS1_29reduce_by_key_config_selectorIddN6thrust23THRUST_200600_302600_NS4plusIdEEEEZZNS1_33reduce_by_key_impl_wrapped_configILNS1_25lookback_scan_determinismE0ES3_S9_NS6_6detail15normal_iteratorINS6_10device_ptrIdEEEESG_SG_SG_PmS8_22is_equal_div_10_reduceIdEEE10hipError_tPvRmT2_T3_mT4_T5_T6_T7_T8_P12ihipStream_tbENKUlT_T0_E_clISt17integral_constantIbLb1EES11_EEDaSW_SX_EUlSW_E_NS1_11comp_targetILNS1_3genE10ELNS1_11target_archE1201ELNS1_3gpuE5ELNS1_3repE0EEENS1_30default_config_static_selectorELNS0_4arch9wavefront6targetE0EEEvT1_
                                        ; -- End function
	.section	.AMDGPU.csdata,"",@progbits
; Kernel info:
; codeLenInByte = 0
; NumSgprs: 0
; NumVgprs: 0
; ScratchSize: 0
; MemoryBound: 0
; FloatMode: 240
; IeeeMode: 1
; LDSByteSize: 0 bytes/workgroup (compile time only)
; SGPRBlocks: 0
; VGPRBlocks: 0
; NumSGPRsForWavesPerEU: 1
; NumVGPRsForWavesPerEU: 1
; Occupancy: 16
; WaveLimiterHint : 0
; COMPUTE_PGM_RSRC2:SCRATCH_EN: 0
; COMPUTE_PGM_RSRC2:USER_SGPR: 15
; COMPUTE_PGM_RSRC2:TRAP_HANDLER: 0
; COMPUTE_PGM_RSRC2:TGID_X_EN: 1
; COMPUTE_PGM_RSRC2:TGID_Y_EN: 0
; COMPUTE_PGM_RSRC2:TGID_Z_EN: 0
; COMPUTE_PGM_RSRC2:TIDIG_COMP_CNT: 0
	.section	.text._ZN7rocprim17ROCPRIM_400000_NS6detail17trampoline_kernelINS0_14default_configENS1_29reduce_by_key_config_selectorIddN6thrust23THRUST_200600_302600_NS4plusIdEEEEZZNS1_33reduce_by_key_impl_wrapped_configILNS1_25lookback_scan_determinismE0ES3_S9_NS6_6detail15normal_iteratorINS6_10device_ptrIdEEEESG_SG_SG_PmS8_22is_equal_div_10_reduceIdEEE10hipError_tPvRmT2_T3_mT4_T5_T6_T7_T8_P12ihipStream_tbENKUlT_T0_E_clISt17integral_constantIbLb1EES11_EEDaSW_SX_EUlSW_E_NS1_11comp_targetILNS1_3genE10ELNS1_11target_archE1200ELNS1_3gpuE4ELNS1_3repE0EEENS1_30default_config_static_selectorELNS0_4arch9wavefront6targetE0EEEvT1_,"axG",@progbits,_ZN7rocprim17ROCPRIM_400000_NS6detail17trampoline_kernelINS0_14default_configENS1_29reduce_by_key_config_selectorIddN6thrust23THRUST_200600_302600_NS4plusIdEEEEZZNS1_33reduce_by_key_impl_wrapped_configILNS1_25lookback_scan_determinismE0ES3_S9_NS6_6detail15normal_iteratorINS6_10device_ptrIdEEEESG_SG_SG_PmS8_22is_equal_div_10_reduceIdEEE10hipError_tPvRmT2_T3_mT4_T5_T6_T7_T8_P12ihipStream_tbENKUlT_T0_E_clISt17integral_constantIbLb1EES11_EEDaSW_SX_EUlSW_E_NS1_11comp_targetILNS1_3genE10ELNS1_11target_archE1200ELNS1_3gpuE4ELNS1_3repE0EEENS1_30default_config_static_selectorELNS0_4arch9wavefront6targetE0EEEvT1_,comdat
	.protected	_ZN7rocprim17ROCPRIM_400000_NS6detail17trampoline_kernelINS0_14default_configENS1_29reduce_by_key_config_selectorIddN6thrust23THRUST_200600_302600_NS4plusIdEEEEZZNS1_33reduce_by_key_impl_wrapped_configILNS1_25lookback_scan_determinismE0ES3_S9_NS6_6detail15normal_iteratorINS6_10device_ptrIdEEEESG_SG_SG_PmS8_22is_equal_div_10_reduceIdEEE10hipError_tPvRmT2_T3_mT4_T5_T6_T7_T8_P12ihipStream_tbENKUlT_T0_E_clISt17integral_constantIbLb1EES11_EEDaSW_SX_EUlSW_E_NS1_11comp_targetILNS1_3genE10ELNS1_11target_archE1200ELNS1_3gpuE4ELNS1_3repE0EEENS1_30default_config_static_selectorELNS0_4arch9wavefront6targetE0EEEvT1_ ; -- Begin function _ZN7rocprim17ROCPRIM_400000_NS6detail17trampoline_kernelINS0_14default_configENS1_29reduce_by_key_config_selectorIddN6thrust23THRUST_200600_302600_NS4plusIdEEEEZZNS1_33reduce_by_key_impl_wrapped_configILNS1_25lookback_scan_determinismE0ES3_S9_NS6_6detail15normal_iteratorINS6_10device_ptrIdEEEESG_SG_SG_PmS8_22is_equal_div_10_reduceIdEEE10hipError_tPvRmT2_T3_mT4_T5_T6_T7_T8_P12ihipStream_tbENKUlT_T0_E_clISt17integral_constantIbLb1EES11_EEDaSW_SX_EUlSW_E_NS1_11comp_targetILNS1_3genE10ELNS1_11target_archE1200ELNS1_3gpuE4ELNS1_3repE0EEENS1_30default_config_static_selectorELNS0_4arch9wavefront6targetE0EEEvT1_
	.globl	_ZN7rocprim17ROCPRIM_400000_NS6detail17trampoline_kernelINS0_14default_configENS1_29reduce_by_key_config_selectorIddN6thrust23THRUST_200600_302600_NS4plusIdEEEEZZNS1_33reduce_by_key_impl_wrapped_configILNS1_25lookback_scan_determinismE0ES3_S9_NS6_6detail15normal_iteratorINS6_10device_ptrIdEEEESG_SG_SG_PmS8_22is_equal_div_10_reduceIdEEE10hipError_tPvRmT2_T3_mT4_T5_T6_T7_T8_P12ihipStream_tbENKUlT_T0_E_clISt17integral_constantIbLb1EES11_EEDaSW_SX_EUlSW_E_NS1_11comp_targetILNS1_3genE10ELNS1_11target_archE1200ELNS1_3gpuE4ELNS1_3repE0EEENS1_30default_config_static_selectorELNS0_4arch9wavefront6targetE0EEEvT1_
	.p2align	8
	.type	_ZN7rocprim17ROCPRIM_400000_NS6detail17trampoline_kernelINS0_14default_configENS1_29reduce_by_key_config_selectorIddN6thrust23THRUST_200600_302600_NS4plusIdEEEEZZNS1_33reduce_by_key_impl_wrapped_configILNS1_25lookback_scan_determinismE0ES3_S9_NS6_6detail15normal_iteratorINS6_10device_ptrIdEEEESG_SG_SG_PmS8_22is_equal_div_10_reduceIdEEE10hipError_tPvRmT2_T3_mT4_T5_T6_T7_T8_P12ihipStream_tbENKUlT_T0_E_clISt17integral_constantIbLb1EES11_EEDaSW_SX_EUlSW_E_NS1_11comp_targetILNS1_3genE10ELNS1_11target_archE1200ELNS1_3gpuE4ELNS1_3repE0EEENS1_30default_config_static_selectorELNS0_4arch9wavefront6targetE0EEEvT1_,@function
_ZN7rocprim17ROCPRIM_400000_NS6detail17trampoline_kernelINS0_14default_configENS1_29reduce_by_key_config_selectorIddN6thrust23THRUST_200600_302600_NS4plusIdEEEEZZNS1_33reduce_by_key_impl_wrapped_configILNS1_25lookback_scan_determinismE0ES3_S9_NS6_6detail15normal_iteratorINS6_10device_ptrIdEEEESG_SG_SG_PmS8_22is_equal_div_10_reduceIdEEE10hipError_tPvRmT2_T3_mT4_T5_T6_T7_T8_P12ihipStream_tbENKUlT_T0_E_clISt17integral_constantIbLb1EES11_EEDaSW_SX_EUlSW_E_NS1_11comp_targetILNS1_3genE10ELNS1_11target_archE1200ELNS1_3gpuE4ELNS1_3repE0EEENS1_30default_config_static_selectorELNS0_4arch9wavefront6targetE0EEEvT1_: ; @_ZN7rocprim17ROCPRIM_400000_NS6detail17trampoline_kernelINS0_14default_configENS1_29reduce_by_key_config_selectorIddN6thrust23THRUST_200600_302600_NS4plusIdEEEEZZNS1_33reduce_by_key_impl_wrapped_configILNS1_25lookback_scan_determinismE0ES3_S9_NS6_6detail15normal_iteratorINS6_10device_ptrIdEEEESG_SG_SG_PmS8_22is_equal_div_10_reduceIdEEE10hipError_tPvRmT2_T3_mT4_T5_T6_T7_T8_P12ihipStream_tbENKUlT_T0_E_clISt17integral_constantIbLb1EES11_EEDaSW_SX_EUlSW_E_NS1_11comp_targetILNS1_3genE10ELNS1_11target_archE1200ELNS1_3gpuE4ELNS1_3repE0EEENS1_30default_config_static_selectorELNS0_4arch9wavefront6targetE0EEEvT1_
; %bb.0:
	.section	.rodata,"a",@progbits
	.p2align	6, 0x0
	.amdhsa_kernel _ZN7rocprim17ROCPRIM_400000_NS6detail17trampoline_kernelINS0_14default_configENS1_29reduce_by_key_config_selectorIddN6thrust23THRUST_200600_302600_NS4plusIdEEEEZZNS1_33reduce_by_key_impl_wrapped_configILNS1_25lookback_scan_determinismE0ES3_S9_NS6_6detail15normal_iteratorINS6_10device_ptrIdEEEESG_SG_SG_PmS8_22is_equal_div_10_reduceIdEEE10hipError_tPvRmT2_T3_mT4_T5_T6_T7_T8_P12ihipStream_tbENKUlT_T0_E_clISt17integral_constantIbLb1EES11_EEDaSW_SX_EUlSW_E_NS1_11comp_targetILNS1_3genE10ELNS1_11target_archE1200ELNS1_3gpuE4ELNS1_3repE0EEENS1_30default_config_static_selectorELNS0_4arch9wavefront6targetE0EEEvT1_
		.amdhsa_group_segment_fixed_size 0
		.amdhsa_private_segment_fixed_size 0
		.amdhsa_kernarg_size 136
		.amdhsa_user_sgpr_count 15
		.amdhsa_user_sgpr_dispatch_ptr 0
		.amdhsa_user_sgpr_queue_ptr 0
		.amdhsa_user_sgpr_kernarg_segment_ptr 1
		.amdhsa_user_sgpr_dispatch_id 0
		.amdhsa_user_sgpr_private_segment_size 0
		.amdhsa_wavefront_size32 1
		.amdhsa_uses_dynamic_stack 0
		.amdhsa_enable_private_segment 0
		.amdhsa_system_sgpr_workgroup_id_x 1
		.amdhsa_system_sgpr_workgroup_id_y 0
		.amdhsa_system_sgpr_workgroup_id_z 0
		.amdhsa_system_sgpr_workgroup_info 0
		.amdhsa_system_vgpr_workitem_id 0
		.amdhsa_next_free_vgpr 1
		.amdhsa_next_free_sgpr 1
		.amdhsa_reserve_vcc 0
		.amdhsa_float_round_mode_32 0
		.amdhsa_float_round_mode_16_64 0
		.amdhsa_float_denorm_mode_32 3
		.amdhsa_float_denorm_mode_16_64 3
		.amdhsa_dx10_clamp 1
		.amdhsa_ieee_mode 1
		.amdhsa_fp16_overflow 0
		.amdhsa_workgroup_processor_mode 1
		.amdhsa_memory_ordered 1
		.amdhsa_forward_progress 0
		.amdhsa_shared_vgpr_count 0
		.amdhsa_exception_fp_ieee_invalid_op 0
		.amdhsa_exception_fp_denorm_src 0
		.amdhsa_exception_fp_ieee_div_zero 0
		.amdhsa_exception_fp_ieee_overflow 0
		.amdhsa_exception_fp_ieee_underflow 0
		.amdhsa_exception_fp_ieee_inexact 0
		.amdhsa_exception_int_div_zero 0
	.end_amdhsa_kernel
	.section	.text._ZN7rocprim17ROCPRIM_400000_NS6detail17trampoline_kernelINS0_14default_configENS1_29reduce_by_key_config_selectorIddN6thrust23THRUST_200600_302600_NS4plusIdEEEEZZNS1_33reduce_by_key_impl_wrapped_configILNS1_25lookback_scan_determinismE0ES3_S9_NS6_6detail15normal_iteratorINS6_10device_ptrIdEEEESG_SG_SG_PmS8_22is_equal_div_10_reduceIdEEE10hipError_tPvRmT2_T3_mT4_T5_T6_T7_T8_P12ihipStream_tbENKUlT_T0_E_clISt17integral_constantIbLb1EES11_EEDaSW_SX_EUlSW_E_NS1_11comp_targetILNS1_3genE10ELNS1_11target_archE1200ELNS1_3gpuE4ELNS1_3repE0EEENS1_30default_config_static_selectorELNS0_4arch9wavefront6targetE0EEEvT1_,"axG",@progbits,_ZN7rocprim17ROCPRIM_400000_NS6detail17trampoline_kernelINS0_14default_configENS1_29reduce_by_key_config_selectorIddN6thrust23THRUST_200600_302600_NS4plusIdEEEEZZNS1_33reduce_by_key_impl_wrapped_configILNS1_25lookback_scan_determinismE0ES3_S9_NS6_6detail15normal_iteratorINS6_10device_ptrIdEEEESG_SG_SG_PmS8_22is_equal_div_10_reduceIdEEE10hipError_tPvRmT2_T3_mT4_T5_T6_T7_T8_P12ihipStream_tbENKUlT_T0_E_clISt17integral_constantIbLb1EES11_EEDaSW_SX_EUlSW_E_NS1_11comp_targetILNS1_3genE10ELNS1_11target_archE1200ELNS1_3gpuE4ELNS1_3repE0EEENS1_30default_config_static_selectorELNS0_4arch9wavefront6targetE0EEEvT1_,comdat
.Lfunc_end66:
	.size	_ZN7rocprim17ROCPRIM_400000_NS6detail17trampoline_kernelINS0_14default_configENS1_29reduce_by_key_config_selectorIddN6thrust23THRUST_200600_302600_NS4plusIdEEEEZZNS1_33reduce_by_key_impl_wrapped_configILNS1_25lookback_scan_determinismE0ES3_S9_NS6_6detail15normal_iteratorINS6_10device_ptrIdEEEESG_SG_SG_PmS8_22is_equal_div_10_reduceIdEEE10hipError_tPvRmT2_T3_mT4_T5_T6_T7_T8_P12ihipStream_tbENKUlT_T0_E_clISt17integral_constantIbLb1EES11_EEDaSW_SX_EUlSW_E_NS1_11comp_targetILNS1_3genE10ELNS1_11target_archE1200ELNS1_3gpuE4ELNS1_3repE0EEENS1_30default_config_static_selectorELNS0_4arch9wavefront6targetE0EEEvT1_, .Lfunc_end66-_ZN7rocprim17ROCPRIM_400000_NS6detail17trampoline_kernelINS0_14default_configENS1_29reduce_by_key_config_selectorIddN6thrust23THRUST_200600_302600_NS4plusIdEEEEZZNS1_33reduce_by_key_impl_wrapped_configILNS1_25lookback_scan_determinismE0ES3_S9_NS6_6detail15normal_iteratorINS6_10device_ptrIdEEEESG_SG_SG_PmS8_22is_equal_div_10_reduceIdEEE10hipError_tPvRmT2_T3_mT4_T5_T6_T7_T8_P12ihipStream_tbENKUlT_T0_E_clISt17integral_constantIbLb1EES11_EEDaSW_SX_EUlSW_E_NS1_11comp_targetILNS1_3genE10ELNS1_11target_archE1200ELNS1_3gpuE4ELNS1_3repE0EEENS1_30default_config_static_selectorELNS0_4arch9wavefront6targetE0EEEvT1_
                                        ; -- End function
	.section	.AMDGPU.csdata,"",@progbits
; Kernel info:
; codeLenInByte = 0
; NumSgprs: 0
; NumVgprs: 0
; ScratchSize: 0
; MemoryBound: 0
; FloatMode: 240
; IeeeMode: 1
; LDSByteSize: 0 bytes/workgroup (compile time only)
; SGPRBlocks: 0
; VGPRBlocks: 0
; NumSGPRsForWavesPerEU: 1
; NumVGPRsForWavesPerEU: 1
; Occupancy: 16
; WaveLimiterHint : 0
; COMPUTE_PGM_RSRC2:SCRATCH_EN: 0
; COMPUTE_PGM_RSRC2:USER_SGPR: 15
; COMPUTE_PGM_RSRC2:TRAP_HANDLER: 0
; COMPUTE_PGM_RSRC2:TGID_X_EN: 1
; COMPUTE_PGM_RSRC2:TGID_Y_EN: 0
; COMPUTE_PGM_RSRC2:TGID_Z_EN: 0
; COMPUTE_PGM_RSRC2:TIDIG_COMP_CNT: 0
	.section	.text._ZN7rocprim17ROCPRIM_400000_NS6detail17trampoline_kernelINS0_14default_configENS1_29reduce_by_key_config_selectorIddN6thrust23THRUST_200600_302600_NS4plusIdEEEEZZNS1_33reduce_by_key_impl_wrapped_configILNS1_25lookback_scan_determinismE0ES3_S9_NS6_6detail15normal_iteratorINS6_10device_ptrIdEEEESG_SG_SG_PmS8_22is_equal_div_10_reduceIdEEE10hipError_tPvRmT2_T3_mT4_T5_T6_T7_T8_P12ihipStream_tbENKUlT_T0_E_clISt17integral_constantIbLb1EES11_EEDaSW_SX_EUlSW_E_NS1_11comp_targetILNS1_3genE9ELNS1_11target_archE1100ELNS1_3gpuE3ELNS1_3repE0EEENS1_30default_config_static_selectorELNS0_4arch9wavefront6targetE0EEEvT1_,"axG",@progbits,_ZN7rocprim17ROCPRIM_400000_NS6detail17trampoline_kernelINS0_14default_configENS1_29reduce_by_key_config_selectorIddN6thrust23THRUST_200600_302600_NS4plusIdEEEEZZNS1_33reduce_by_key_impl_wrapped_configILNS1_25lookback_scan_determinismE0ES3_S9_NS6_6detail15normal_iteratorINS6_10device_ptrIdEEEESG_SG_SG_PmS8_22is_equal_div_10_reduceIdEEE10hipError_tPvRmT2_T3_mT4_T5_T6_T7_T8_P12ihipStream_tbENKUlT_T0_E_clISt17integral_constantIbLb1EES11_EEDaSW_SX_EUlSW_E_NS1_11comp_targetILNS1_3genE9ELNS1_11target_archE1100ELNS1_3gpuE3ELNS1_3repE0EEENS1_30default_config_static_selectorELNS0_4arch9wavefront6targetE0EEEvT1_,comdat
	.protected	_ZN7rocprim17ROCPRIM_400000_NS6detail17trampoline_kernelINS0_14default_configENS1_29reduce_by_key_config_selectorIddN6thrust23THRUST_200600_302600_NS4plusIdEEEEZZNS1_33reduce_by_key_impl_wrapped_configILNS1_25lookback_scan_determinismE0ES3_S9_NS6_6detail15normal_iteratorINS6_10device_ptrIdEEEESG_SG_SG_PmS8_22is_equal_div_10_reduceIdEEE10hipError_tPvRmT2_T3_mT4_T5_T6_T7_T8_P12ihipStream_tbENKUlT_T0_E_clISt17integral_constantIbLb1EES11_EEDaSW_SX_EUlSW_E_NS1_11comp_targetILNS1_3genE9ELNS1_11target_archE1100ELNS1_3gpuE3ELNS1_3repE0EEENS1_30default_config_static_selectorELNS0_4arch9wavefront6targetE0EEEvT1_ ; -- Begin function _ZN7rocprim17ROCPRIM_400000_NS6detail17trampoline_kernelINS0_14default_configENS1_29reduce_by_key_config_selectorIddN6thrust23THRUST_200600_302600_NS4plusIdEEEEZZNS1_33reduce_by_key_impl_wrapped_configILNS1_25lookback_scan_determinismE0ES3_S9_NS6_6detail15normal_iteratorINS6_10device_ptrIdEEEESG_SG_SG_PmS8_22is_equal_div_10_reduceIdEEE10hipError_tPvRmT2_T3_mT4_T5_T6_T7_T8_P12ihipStream_tbENKUlT_T0_E_clISt17integral_constantIbLb1EES11_EEDaSW_SX_EUlSW_E_NS1_11comp_targetILNS1_3genE9ELNS1_11target_archE1100ELNS1_3gpuE3ELNS1_3repE0EEENS1_30default_config_static_selectorELNS0_4arch9wavefront6targetE0EEEvT1_
	.globl	_ZN7rocprim17ROCPRIM_400000_NS6detail17trampoline_kernelINS0_14default_configENS1_29reduce_by_key_config_selectorIddN6thrust23THRUST_200600_302600_NS4plusIdEEEEZZNS1_33reduce_by_key_impl_wrapped_configILNS1_25lookback_scan_determinismE0ES3_S9_NS6_6detail15normal_iteratorINS6_10device_ptrIdEEEESG_SG_SG_PmS8_22is_equal_div_10_reduceIdEEE10hipError_tPvRmT2_T3_mT4_T5_T6_T7_T8_P12ihipStream_tbENKUlT_T0_E_clISt17integral_constantIbLb1EES11_EEDaSW_SX_EUlSW_E_NS1_11comp_targetILNS1_3genE9ELNS1_11target_archE1100ELNS1_3gpuE3ELNS1_3repE0EEENS1_30default_config_static_selectorELNS0_4arch9wavefront6targetE0EEEvT1_
	.p2align	8
	.type	_ZN7rocprim17ROCPRIM_400000_NS6detail17trampoline_kernelINS0_14default_configENS1_29reduce_by_key_config_selectorIddN6thrust23THRUST_200600_302600_NS4plusIdEEEEZZNS1_33reduce_by_key_impl_wrapped_configILNS1_25lookback_scan_determinismE0ES3_S9_NS6_6detail15normal_iteratorINS6_10device_ptrIdEEEESG_SG_SG_PmS8_22is_equal_div_10_reduceIdEEE10hipError_tPvRmT2_T3_mT4_T5_T6_T7_T8_P12ihipStream_tbENKUlT_T0_E_clISt17integral_constantIbLb1EES11_EEDaSW_SX_EUlSW_E_NS1_11comp_targetILNS1_3genE9ELNS1_11target_archE1100ELNS1_3gpuE3ELNS1_3repE0EEENS1_30default_config_static_selectorELNS0_4arch9wavefront6targetE0EEEvT1_,@function
_ZN7rocprim17ROCPRIM_400000_NS6detail17trampoline_kernelINS0_14default_configENS1_29reduce_by_key_config_selectorIddN6thrust23THRUST_200600_302600_NS4plusIdEEEEZZNS1_33reduce_by_key_impl_wrapped_configILNS1_25lookback_scan_determinismE0ES3_S9_NS6_6detail15normal_iteratorINS6_10device_ptrIdEEEESG_SG_SG_PmS8_22is_equal_div_10_reduceIdEEE10hipError_tPvRmT2_T3_mT4_T5_T6_T7_T8_P12ihipStream_tbENKUlT_T0_E_clISt17integral_constantIbLb1EES11_EEDaSW_SX_EUlSW_E_NS1_11comp_targetILNS1_3genE9ELNS1_11target_archE1100ELNS1_3gpuE3ELNS1_3repE0EEENS1_30default_config_static_selectorELNS0_4arch9wavefront6targetE0EEEvT1_: ; @_ZN7rocprim17ROCPRIM_400000_NS6detail17trampoline_kernelINS0_14default_configENS1_29reduce_by_key_config_selectorIddN6thrust23THRUST_200600_302600_NS4plusIdEEEEZZNS1_33reduce_by_key_impl_wrapped_configILNS1_25lookback_scan_determinismE0ES3_S9_NS6_6detail15normal_iteratorINS6_10device_ptrIdEEEESG_SG_SG_PmS8_22is_equal_div_10_reduceIdEEE10hipError_tPvRmT2_T3_mT4_T5_T6_T7_T8_P12ihipStream_tbENKUlT_T0_E_clISt17integral_constantIbLb1EES11_EEDaSW_SX_EUlSW_E_NS1_11comp_targetILNS1_3genE9ELNS1_11target_archE1100ELNS1_3gpuE3ELNS1_3repE0EEENS1_30default_config_static_selectorELNS0_4arch9wavefront6targetE0EEEvT1_
; %bb.0:
	s_clause 0x2
	s_load_b256 s[12:19], s[0:1], 0x0
	s_load_b128 s[20:23], s[0:1], 0x20
	s_load_b64 s[24:25], s[0:1], 0x78
	v_cmp_ne_u32_e64 s3, 0, v0
	v_cmp_eq_u32_e64 s2, 0, v0
	s_delay_alu instid0(VALU_DEP_1)
	s_and_saveexec_b32 s4, s2
	s_cbranch_execz .LBB67_4
; %bb.1:
	s_mov_b32 s6, exec_lo
	s_mov_b32 s5, exec_lo
	v_mbcnt_lo_u32_b32 v1, s6, 0
                                        ; implicit-def: $vgpr2
	s_delay_alu instid0(VALU_DEP_1)
	v_cmpx_eq_u32_e32 0, v1
	s_cbranch_execz .LBB67_3
; %bb.2:
	s_load_b64 s[8:9], s[0:1], 0x80
	s_bcnt1_i32_b32 s6, s6
	s_delay_alu instid0(SALU_CYCLE_1)
	v_dual_mov_b32 v2, 0 :: v_dual_mov_b32 v3, s6
	s_waitcnt lgkmcnt(0)
	global_atomic_add_u32 v2, v2, v3, s[8:9] glc
.LBB67_3:
	s_or_b32 exec_lo, exec_lo, s5
	s_waitcnt vmcnt(0)
	v_readfirstlane_b32 s5, v2
	s_delay_alu instid0(VALU_DEP_1)
	v_dual_mov_b32 v2, 0 :: v_dual_add_nc_u32 v1, s5, v1
	ds_store_b32 v2, v1
.LBB67_4:
	s_or_b32 exec_lo, exec_lo, s4
	v_mov_b32_e32 v2, 0
	s_waitcnt lgkmcnt(0)
	s_barrier
	buffer_gl0_inv
	s_load_b512 s[36:51], s[0:1], 0x38
	ds_load_b32 v1, v2
	s_lshl_b64 s[4:5], s[14:15], 3
	s_mov_b32 s0, 0
	s_add_u32 s9, s12, s4
	s_addc_u32 s10, s13, s5
	s_add_u32 s11, s16, s4
	s_addc_u32 s12, s17, s5
	s_waitcnt lgkmcnt(0)
	s_barrier
	buffer_gl0_inv
	s_mul_i32 s1, s44, s43
	v_readfirstlane_b32 s30, v1
	v_mul_lo_u32 v1, 0xf00, v1
	s_mul_hi_u32 s6, s44, s42
	s_mul_i32 s7, s45, s42
	s_add_i32 s1, s6, s1
	s_mul_i32 s8, s44, s42
	s_add_i32 s1, s1, s7
	s_add_u32 s26, s8, s30
	s_addc_u32 s27, s1, 0
	v_lshlrev_b64 v[1:2], 3, v[1:2]
	s_add_u32 s4, s46, -1
	s_addc_u32 s5, s47, -1
	s_mul_i32 s28, s4, 0xfffff100
	s_cmp_eq_u64 s[26:27], s[4:5]
	s_delay_alu instid0(VALU_DEP_1)
	v_add_co_u32 v71, vcc_lo, s9, v1
	v_add_co_ci_u32_e32 v75, vcc_lo, s10, v2, vcc_lo
	v_add_co_u32 v61, vcc_lo, s11, v1
	v_add_co_ci_u32_e32 v62, vcc_lo, s12, v2, vcc_lo
	s_cselect_b32 s17, -1, 0
	s_cmp_lg_u64 s[26:27], s[4:5]
	s_cselect_b32 s31, -1, 0
	s_and_b32 vcc_lo, exec_lo, s17
	s_cbranch_vccnz .LBB67_6
; %bb.5:
	v_lshlrev_b32_e32 v64, 3, v0
	s_delay_alu instid0(VALU_DEP_1) | instskip(SKIP_2) | instid1(VALU_DEP_3)
	v_add_co_u32 v1, vcc_lo, v71, v64
	v_add_co_ci_u32_e32 v2, vcc_lo, 0, v75, vcc_lo
	v_mad_u32_u24 v63, 0x70, v0, v64
	v_add_co_u32 v3, vcc_lo, 0x1000, v1
	s_delay_alu instid0(VALU_DEP_3)
	v_add_co_ci_u32_e32 v4, vcc_lo, 0, v2, vcc_lo
	v_add_co_u32 v5, vcc_lo, 0x2000, v1
	v_add_co_ci_u32_e32 v6, vcc_lo, 0, v2, vcc_lo
	v_add_co_u32 v7, vcc_lo, 0x3000, v1
	;; [unrolled: 2-line block ×5, first 2 shown]
	v_add_co_ci_u32_e32 v24, vcc_lo, 0, v2, vcc_lo
	s_clause 0x7
	flat_load_b64 v[9:10], v[1:2]
	flat_load_b64 v[11:12], v[1:2] offset:2048
	flat_load_b64 v[13:14], v[3:4]
	flat_load_b64 v[3:4], v[3:4] offset:2048
	flat_load_b64 v[15:16], v[5:6]
	flat_load_b64 v[5:6], v[5:6] offset:2048
	flat_load_b64 v[17:18], v[7:8]
	flat_load_b64 v[7:8], v[7:8] offset:2048
	v_add_co_u32 v1, vcc_lo, 0x7000, v1
	v_add_co_ci_u32_e32 v2, vcc_lo, 0, v2, vcc_lo
	s_clause 0x6
	flat_load_b64 v[25:26], v[19:20]
	flat_load_b64 v[19:20], v[19:20] offset:2048
	flat_load_b64 v[27:28], v[21:22]
	flat_load_b64 v[21:22], v[21:22] offset:2048
	;; [unrolled: 2-line block ×3, first 2 shown]
	flat_load_b64 v[1:2], v[1:2]
	v_add_co_u32 v31, vcc_lo, v61, v64
	v_add_co_ci_u32_e32 v32, vcc_lo, 0, v62, vcc_lo
	s_waitcnt vmcnt(13) lgkmcnt(13)
	ds_store_2addr_stride64_b64 v64, v[9:10], v[11:12] offset1:4
	s_waitcnt vmcnt(11) lgkmcnt(12)
	ds_store_2addr_stride64_b64 v64, v[13:14], v[3:4] offset0:8 offset1:12
	s_waitcnt vmcnt(9) lgkmcnt(11)
	ds_store_2addr_stride64_b64 v64, v[15:16], v[5:6] offset0:16 offset1:20
	;; [unrolled: 2-line block ×6, first 2 shown]
	s_waitcnt vmcnt(0) lgkmcnt(7)
	ds_store_b64 v64, v[1:2] offset:28672
	v_add_co_u32 v33, vcc_lo, 0x1000, v31
	v_add_co_ci_u32_e32 v34, vcc_lo, 0, v32, vcc_lo
	v_add_co_u32 v35, vcc_lo, 0x2000, v31
	v_add_co_ci_u32_e32 v36, vcc_lo, 0, v32, vcc_lo
	;; [unrolled: 2-line block ×7, first 2 shown]
	s_waitcnt lgkmcnt(0)
	s_barrier
	buffer_gl0_inv
	ds_load_2addr_b64 v[25:28], v63 offset1:1
	ds_load_2addr_b64 v[21:24], v63 offset0:2 offset1:3
	ds_load_2addr_b64 v[17:20], v63 offset0:4 offset1:5
	;; [unrolled: 1-line block ×6, first 2 shown]
	ds_load_b64 v[57:58], v63 offset:112
	s_waitcnt lgkmcnt(0)
	s_barrier
	buffer_gl0_inv
	s_clause 0xe
	flat_load_b64 v[29:30], v[31:32]
	flat_load_b64 v[31:32], v[31:32] offset:2048
	flat_load_b64 v[47:48], v[33:34]
	flat_load_b64 v[33:34], v[33:34] offset:2048
	;; [unrolled: 2-line block ×7, first 2 shown]
	flat_load_b64 v[45:46], v[45:46]
	s_waitcnt vmcnt(13) lgkmcnt(13)
	ds_store_2addr_stride64_b64 v64, v[29:30], v[31:32] offset1:4
	s_waitcnt vmcnt(11) lgkmcnt(12)
	ds_store_2addr_stride64_b64 v64, v[47:48], v[33:34] offset0:8 offset1:12
	s_waitcnt vmcnt(9) lgkmcnt(11)
	ds_store_2addr_stride64_b64 v64, v[49:50], v[35:36] offset0:16 offset1:20
	;; [unrolled: 2-line block ×6, first 2 shown]
	s_waitcnt vmcnt(0) lgkmcnt(7)
	ds_store_b64 v64, v[45:46] offset:28672
	s_waitcnt lgkmcnt(0)
	s_barrier
	s_and_not1_b32 vcc_lo, exec_lo, s0
	s_add_i32 s28, s28, s48
	s_cbranch_vccz .LBB67_7
	s_branch .LBB67_54
.LBB67_6:
                                        ; implicit-def: $vgpr63
                                        ; implicit-def: $vgpr25_vgpr26
                                        ; implicit-def: $vgpr21_vgpr22
                                        ; implicit-def: $vgpr17_vgpr18
                                        ; implicit-def: $vgpr13_vgpr14
                                        ; implicit-def: $vgpr9_vgpr10
                                        ; implicit-def: $vgpr5_vgpr6
                                        ; implicit-def: $vgpr1_vgpr2
                                        ; implicit-def: $vgpr57_vgpr58
	s_add_i32 s28, s28, s48
.LBB67_7:
	s_delay_alu instid0(SALU_CYCLE_1)
	v_cmp_gt_u32_e32 vcc_lo, s28, v0
                                        ; implicit-def: $vgpr1_vgpr2
	s_and_saveexec_b32 s1, vcc_lo
	s_cbranch_execz .LBB67_9
; %bb.8:
	v_lshlrev_b32_e32 v1, 3, v0
	s_delay_alu instid0(VALU_DEP_1) | instskip(NEXT) | instid1(VALU_DEP_1)
	v_add_co_u32 v1, s0, v71, v1
	v_add_co_ci_u32_e64 v2, s0, 0, v75, s0
	flat_load_b64 v[1:2], v[1:2]
.LBB67_9:
	s_or_b32 exec_lo, exec_lo, s1
	v_or_b32_e32 v3, 0x100, v0
	s_delay_alu instid0(VALU_DEP_1) | instskip(NEXT) | instid1(VALU_DEP_1)
	v_cmp_gt_u32_e64 s0, s28, v3
                                        ; implicit-def: $vgpr3_vgpr4
	s_and_saveexec_b32 s4, s0
	s_cbranch_execz .LBB67_11
; %bb.10:
	v_lshlrev_b32_e32 v3, 3, v0
	s_delay_alu instid0(VALU_DEP_1) | instskip(NEXT) | instid1(VALU_DEP_1)
	v_add_co_u32 v3, s1, v71, v3
	v_add_co_ci_u32_e64 v4, s1, 0, v75, s1
	flat_load_b64 v[3:4], v[3:4] offset:2048
.LBB67_11:
	s_or_b32 exec_lo, exec_lo, s4
	v_or_b32_e32 v35, 0x200, v0
                                        ; implicit-def: $vgpr5_vgpr6
	s_delay_alu instid0(VALU_DEP_1) | instskip(NEXT) | instid1(VALU_DEP_1)
	v_cmp_gt_u32_e64 s1, s28, v35
	s_and_saveexec_b32 s5, s1
	s_cbranch_execz .LBB67_13
; %bb.12:
	v_lshlrev_b32_e32 v5, 3, v35
	s_delay_alu instid0(VALU_DEP_1) | instskip(NEXT) | instid1(VALU_DEP_1)
	v_add_co_u32 v5, s4, v71, v5
	v_add_co_ci_u32_e64 v6, s4, 0, v75, s4
	flat_load_b64 v[5:6], v[5:6]
.LBB67_13:
	s_or_b32 exec_lo, exec_lo, s5
	v_or_b32_e32 v37, 0x300, v0
                                        ; implicit-def: $vgpr7_vgpr8
	s_delay_alu instid0(VALU_DEP_1) | instskip(NEXT) | instid1(VALU_DEP_1)
	v_cmp_gt_u32_e64 s4, s28, v37
	s_and_saveexec_b32 s6, s4
	s_cbranch_execz .LBB67_15
; %bb.14:
	v_lshlrev_b32_e32 v7, 3, v37
	s_delay_alu instid0(VALU_DEP_1) | instskip(NEXT) | instid1(VALU_DEP_1)
	v_add_co_u32 v7, s5, v71, v7
	v_add_co_ci_u32_e64 v8, s5, 0, v75, s5
	flat_load_b64 v[7:8], v[7:8]
.LBB67_15:
	s_or_b32 exec_lo, exec_lo, s6
	v_or_b32_e32 v39, 0x400, v0
                                        ; implicit-def: $vgpr9_vgpr10
	s_delay_alu instid0(VALU_DEP_1) | instskip(NEXT) | instid1(VALU_DEP_1)
	v_cmp_gt_u32_e64 s5, s28, v39
	s_and_saveexec_b32 s7, s5
	s_cbranch_execz .LBB67_17
; %bb.16:
	v_lshlrev_b32_e32 v9, 3, v39
	s_delay_alu instid0(VALU_DEP_1) | instskip(NEXT) | instid1(VALU_DEP_1)
	v_add_co_u32 v9, s6, v71, v9
	v_add_co_ci_u32_e64 v10, s6, 0, v75, s6
	flat_load_b64 v[9:10], v[9:10]
.LBB67_17:
	s_or_b32 exec_lo, exec_lo, s7
	v_or_b32_e32 v41, 0x500, v0
                                        ; implicit-def: $vgpr11_vgpr12
	s_delay_alu instid0(VALU_DEP_1) | instskip(NEXT) | instid1(VALU_DEP_1)
	v_cmp_gt_u32_e64 s6, s28, v41
	s_and_saveexec_b32 s8, s6
	s_cbranch_execz .LBB67_19
; %bb.18:
	v_lshlrev_b32_e32 v11, 3, v41
	s_delay_alu instid0(VALU_DEP_1) | instskip(NEXT) | instid1(VALU_DEP_1)
	v_add_co_u32 v11, s7, v71, v11
	v_add_co_ci_u32_e64 v12, s7, 0, v75, s7
	flat_load_b64 v[11:12], v[11:12]
.LBB67_19:
	s_or_b32 exec_lo, exec_lo, s8
	v_or_b32_e32 v43, 0x600, v0
                                        ; implicit-def: $vgpr13_vgpr14
	s_delay_alu instid0(VALU_DEP_1) | instskip(NEXT) | instid1(VALU_DEP_1)
	v_cmp_gt_u32_e64 s7, s28, v43
	s_and_saveexec_b32 s9, s7
	s_cbranch_execz .LBB67_21
; %bb.20:
	v_lshlrev_b32_e32 v13, 3, v43
	s_delay_alu instid0(VALU_DEP_1) | instskip(NEXT) | instid1(VALU_DEP_1)
	v_add_co_u32 v13, s8, v71, v13
	v_add_co_ci_u32_e64 v14, s8, 0, v75, s8
	flat_load_b64 v[13:14], v[13:14]
.LBB67_21:
	s_or_b32 exec_lo, exec_lo, s9
	v_or_b32_e32 v45, 0x700, v0
                                        ; implicit-def: $vgpr15_vgpr16
	s_delay_alu instid0(VALU_DEP_1) | instskip(NEXT) | instid1(VALU_DEP_1)
	v_cmp_gt_u32_e64 s8, s28, v45
	s_and_saveexec_b32 s10, s8
	s_cbranch_execz .LBB67_23
; %bb.22:
	v_lshlrev_b32_e32 v15, 3, v45
	s_delay_alu instid0(VALU_DEP_1) | instskip(NEXT) | instid1(VALU_DEP_1)
	v_add_co_u32 v15, s9, v71, v15
	v_add_co_ci_u32_e64 v16, s9, 0, v75, s9
	flat_load_b64 v[15:16], v[15:16]
.LBB67_23:
	s_or_b32 exec_lo, exec_lo, s10
	v_or_b32_e32 v47, 0x800, v0
                                        ; implicit-def: $vgpr17_vgpr18
	s_delay_alu instid0(VALU_DEP_1) | instskip(NEXT) | instid1(VALU_DEP_1)
	v_cmp_gt_u32_e64 s9, s28, v47
	s_and_saveexec_b32 s11, s9
	s_cbranch_execz .LBB67_25
; %bb.24:
	v_lshlrev_b32_e32 v17, 3, v47
	s_delay_alu instid0(VALU_DEP_1) | instskip(NEXT) | instid1(VALU_DEP_1)
	v_add_co_u32 v17, s10, v71, v17
	v_add_co_ci_u32_e64 v18, s10, 0, v75, s10
	flat_load_b64 v[17:18], v[17:18]
.LBB67_25:
	s_or_b32 exec_lo, exec_lo, s11
	v_or_b32_e32 v49, 0x900, v0
                                        ; implicit-def: $vgpr19_vgpr20
	s_delay_alu instid0(VALU_DEP_1) | instskip(NEXT) | instid1(VALU_DEP_1)
	v_cmp_gt_u32_e64 s10, s28, v49
	s_and_saveexec_b32 s12, s10
	s_cbranch_execz .LBB67_27
; %bb.26:
	v_lshlrev_b32_e32 v19, 3, v49
	s_delay_alu instid0(VALU_DEP_1) | instskip(NEXT) | instid1(VALU_DEP_1)
	v_add_co_u32 v19, s11, v71, v19
	v_add_co_ci_u32_e64 v20, s11, 0, v75, s11
	flat_load_b64 v[19:20], v[19:20]
.LBB67_27:
	s_or_b32 exec_lo, exec_lo, s12
	v_or_b32_e32 v51, 0xa00, v0
                                        ; implicit-def: $vgpr21_vgpr22
	s_delay_alu instid0(VALU_DEP_1) | instskip(NEXT) | instid1(VALU_DEP_1)
	v_cmp_gt_u32_e64 s11, s28, v51
	s_and_saveexec_b32 s13, s11
	s_cbranch_execz .LBB67_29
; %bb.28:
	v_lshlrev_b32_e32 v21, 3, v51
	s_delay_alu instid0(VALU_DEP_1) | instskip(NEXT) | instid1(VALU_DEP_1)
	v_add_co_u32 v21, s12, v71, v21
	v_add_co_ci_u32_e64 v22, s12, 0, v75, s12
	flat_load_b64 v[21:22], v[21:22]
.LBB67_29:
	s_or_b32 exec_lo, exec_lo, s13
	v_or_b32_e32 v53, 0xb00, v0
                                        ; implicit-def: $vgpr23_vgpr24
	s_delay_alu instid0(VALU_DEP_1) | instskip(NEXT) | instid1(VALU_DEP_1)
	v_cmp_gt_u32_e64 s12, s28, v53
	s_and_saveexec_b32 s14, s12
	s_cbranch_execz .LBB67_31
; %bb.30:
	v_lshlrev_b32_e32 v23, 3, v53
	s_delay_alu instid0(VALU_DEP_1) | instskip(NEXT) | instid1(VALU_DEP_1)
	v_add_co_u32 v23, s13, v71, v23
	v_add_co_ci_u32_e64 v24, s13, 0, v75, s13
	flat_load_b64 v[23:24], v[23:24]
.LBB67_31:
	s_or_b32 exec_lo, exec_lo, s14
	v_or_b32_e32 v55, 0xc00, v0
                                        ; implicit-def: $vgpr25_vgpr26
	s_delay_alu instid0(VALU_DEP_1) | instskip(NEXT) | instid1(VALU_DEP_1)
	v_cmp_gt_u32_e64 s13, s28, v55
	s_and_saveexec_b32 s15, s13
	s_cbranch_execz .LBB67_33
; %bb.32:
	v_lshlrev_b32_e32 v25, 3, v55
	s_delay_alu instid0(VALU_DEP_1) | instskip(NEXT) | instid1(VALU_DEP_1)
	v_add_co_u32 v25, s14, v71, v25
	v_add_co_ci_u32_e64 v26, s14, 0, v75, s14
	flat_load_b64 v[25:26], v[25:26]
.LBB67_33:
	s_or_b32 exec_lo, exec_lo, s15
	v_or_b32_e32 v59, 0xd00, v0
                                        ; implicit-def: $vgpr27_vgpr28
	s_delay_alu instid0(VALU_DEP_1) | instskip(NEXT) | instid1(VALU_DEP_1)
	v_cmp_gt_u32_e64 s14, s28, v59
	s_and_saveexec_b32 s16, s14
	s_cbranch_execz .LBB67_35
; %bb.34:
	v_lshlrev_b32_e32 v27, 3, v59
	s_delay_alu instid0(VALU_DEP_1) | instskip(NEXT) | instid1(VALU_DEP_1)
	v_add_co_u32 v27, s15, v71, v27
	v_add_co_ci_u32_e64 v28, s15, 0, v75, s15
	flat_load_b64 v[27:28], v[27:28]
.LBB67_35:
	s_or_b32 exec_lo, exec_lo, s16
	v_or_b32_e32 v65, 0xe00, v0
                                        ; implicit-def: $vgpr29_vgpr30
	s_delay_alu instid0(VALU_DEP_1) | instskip(NEXT) | instid1(VALU_DEP_1)
	v_cmp_gt_u32_e64 s15, s28, v65
	s_and_saveexec_b32 s29, s15
	s_cbranch_execz .LBB67_37
; %bb.36:
	v_lshlrev_b32_e32 v29, 3, v65
	s_delay_alu instid0(VALU_DEP_1) | instskip(NEXT) | instid1(VALU_DEP_1)
	v_add_co_u32 v29, s16, v71, v29
	v_add_co_ci_u32_e64 v30, s16, 0, v75, s16
	flat_load_b64 v[29:30], v[29:30]
.LBB67_37:
	s_or_b32 exec_lo, exec_lo, s29
	v_lshlrev_b32_e32 v64, 3, v0
	s_waitcnt vmcnt(0) lgkmcnt(0)
	ds_store_2addr_stride64_b64 v64, v[1:2], v[3:4] offset1:4
	ds_store_2addr_stride64_b64 v64, v[5:6], v[7:8] offset0:8 offset1:12
	ds_store_2addr_stride64_b64 v64, v[9:10], v[11:12] offset0:16 offset1:20
	;; [unrolled: 1-line block ×6, first 2 shown]
	v_mad_u32_u24 v63, 0x70, v0, v64
	ds_store_b64 v64, v[29:30] offset:28672
	s_waitcnt lgkmcnt(0)
	s_barrier
	buffer_gl0_inv
	ds_load_2addr_b64 v[25:28], v63 offset1:1
	ds_load_2addr_b64 v[21:24], v63 offset0:2 offset1:3
	ds_load_2addr_b64 v[17:20], v63 offset0:4 offset1:5
	;; [unrolled: 1-line block ×6, first 2 shown]
	ds_load_b64 v[57:58], v63 offset:112
	s_waitcnt lgkmcnt(0)
	s_barrier
	buffer_gl0_inv
                                        ; implicit-def: $vgpr29_vgpr30
	s_and_saveexec_b32 s16, vcc_lo
	s_cbranch_execnz .LBB67_61
; %bb.38:
	s_or_b32 exec_lo, exec_lo, s16
                                        ; implicit-def: $vgpr31_vgpr32
	s_and_saveexec_b32 s16, s0
	s_cbranch_execnz .LBB67_62
.LBB67_39:
	s_or_b32 exec_lo, exec_lo, s16
                                        ; implicit-def: $vgpr33_vgpr34
	s_and_saveexec_b32 s0, s1
	s_cbranch_execnz .LBB67_63
.LBB67_40:
	s_or_b32 exec_lo, exec_lo, s0
                                        ; implicit-def: $vgpr35_vgpr36
	s_and_saveexec_b32 s0, s4
	s_cbranch_execnz .LBB67_64
.LBB67_41:
	s_or_b32 exec_lo, exec_lo, s0
                                        ; implicit-def: $vgpr37_vgpr38
	s_and_saveexec_b32 s0, s5
	s_cbranch_execnz .LBB67_65
.LBB67_42:
	s_or_b32 exec_lo, exec_lo, s0
                                        ; implicit-def: $vgpr39_vgpr40
	s_and_saveexec_b32 s0, s6
	s_cbranch_execnz .LBB67_66
.LBB67_43:
	s_or_b32 exec_lo, exec_lo, s0
                                        ; implicit-def: $vgpr41_vgpr42
	s_and_saveexec_b32 s0, s7
	s_cbranch_execnz .LBB67_67
.LBB67_44:
	s_or_b32 exec_lo, exec_lo, s0
                                        ; implicit-def: $vgpr43_vgpr44
	s_and_saveexec_b32 s0, s8
	s_cbranch_execnz .LBB67_68
.LBB67_45:
	s_or_b32 exec_lo, exec_lo, s0
                                        ; implicit-def: $vgpr45_vgpr46
	s_and_saveexec_b32 s0, s9
	s_cbranch_execnz .LBB67_69
.LBB67_46:
	s_or_b32 exec_lo, exec_lo, s0
                                        ; implicit-def: $vgpr47_vgpr48
	s_and_saveexec_b32 s0, s10
	s_cbranch_execnz .LBB67_70
.LBB67_47:
	s_or_b32 exec_lo, exec_lo, s0
                                        ; implicit-def: $vgpr49_vgpr50
	s_and_saveexec_b32 s0, s11
	s_cbranch_execnz .LBB67_71
.LBB67_48:
	s_or_b32 exec_lo, exec_lo, s0
                                        ; implicit-def: $vgpr51_vgpr52
	s_and_saveexec_b32 s0, s12
	s_cbranch_execnz .LBB67_72
.LBB67_49:
	s_or_b32 exec_lo, exec_lo, s0
                                        ; implicit-def: $vgpr53_vgpr54
	s_and_saveexec_b32 s0, s13
	s_cbranch_execnz .LBB67_73
.LBB67_50:
	s_or_b32 exec_lo, exec_lo, s0
                                        ; implicit-def: $vgpr55_vgpr56
	s_and_saveexec_b32 s0, s14
	s_cbranch_execnz .LBB67_74
.LBB67_51:
	s_or_b32 exec_lo, exec_lo, s0
                                        ; implicit-def: $vgpr59_vgpr60
	s_and_saveexec_b32 s0, s15
	s_cbranch_execz .LBB67_53
.LBB67_52:
	v_lshlrev_b32_e32 v59, 3, v65
	s_delay_alu instid0(VALU_DEP_1)
	v_add_co_u32 v59, vcc_lo, v61, v59
	v_add_co_ci_u32_e32 v60, vcc_lo, 0, v62, vcc_lo
	flat_load_b64 v[59:60], v[59:60]
.LBB67_53:
	s_or_b32 exec_lo, exec_lo, s0
	s_waitcnt vmcnt(0) lgkmcnt(0)
	ds_store_2addr_stride64_b64 v64, v[29:30], v[31:32] offset1:4
	ds_store_2addr_stride64_b64 v64, v[33:34], v[35:36] offset0:8 offset1:12
	ds_store_2addr_stride64_b64 v64, v[37:38], v[39:40] offset0:16 offset1:20
	;; [unrolled: 1-line block ×6, first 2 shown]
	ds_store_b64 v64, v[59:60] offset:28672
	s_waitcnt lgkmcnt(0)
	s_barrier
.LBB67_54:
	buffer_gl0_inv
	ds_load_2addr_b64 v[53:56], v63 offset1:1
	ds_load_2addr_b64 v[49:52], v63 offset0:2 offset1:3
	ds_load_2addr_b64 v[45:48], v63 offset0:4 offset1:5
	;; [unrolled: 1-line block ×6, first 2 shown]
	ds_load_b64 v[73:74], v63 offset:112
	s_cmp_eq_u64 s[26:27], 0
	s_waitcnt lgkmcnt(0)
	s_cselect_b32 s29, -1, 0
	s_cmp_lg_u64 s[26:27], 0
	s_barrier
	s_cselect_b32 s16, -1, 0
	s_and_b32 vcc_lo, exec_lo, s31
	buffer_gl0_inv
	s_cbranch_vccz .LBB67_60
; %bb.55:
	s_and_b32 vcc_lo, exec_lo, s16
	s_cbranch_vccz .LBB67_75
; %bb.56:
	v_add_co_u32 v59, vcc_lo, -8, v71
	v_add_co_ci_u32_e32 v60, vcc_lo, -1, v75, vcc_lo
	v_cvt_i32_f64_e32 v61, v[3:4]
	v_cvt_i32_f64_e32 v62, v[57:58]
	;; [unrolled: 1-line block ×3, first 2 shown]
	flat_load_b64 v[59:60], v[59:60]
	v_cvt_i32_f64_e32 v64, v[7:8]
	v_cvt_i32_f64_e32 v65, v[5:6]
	;; [unrolled: 1-line block ×9, first 2 shown]
	s_mov_b32 s15, -1
	v_mul_hi_i32 v68, 0x66666667, v61
	v_mul_hi_i32 v62, 0x66666667, v62
	;; [unrolled: 1-line block ×3, first 2 shown]
	v_lshlrev_b32_e32 v61, 3, v0
	v_mul_hi_i32 v64, 0x66666667, v64
	v_mul_hi_i32 v65, 0x66666667, v65
	;; [unrolled: 1-line block ×4, first 2 shown]
	v_lshrrev_b32_e32 v76, 31, v68
	v_ashrrev_i32_e32 v68, 2, v68
	v_lshrrev_b32_e32 v77, 31, v62
	v_ashrrev_i32_e32 v62, 2, v62
	;; [unrolled: 2-line block ×3, first 2 shown]
	v_add_nc_u32_e32 v68, v68, v76
	v_cvt_i32_f64_e32 v76, v[17:18]
	v_add_nc_u32_e32 v62, v62, v77
	v_cvt_i32_f64_e32 v77, v[23:24]
	;; [unrolled: 2-line block ×3, first 2 shown]
	v_lshrrev_b32_e32 v79, 31, v64
	v_ashrrev_i32_e32 v64, 2, v64
	v_cmp_ne_u32_e32 vcc_lo, v68, v62
	v_lshrrev_b32_e32 v82, 31, v65
	v_ashrrev_i32_e32 v65, 2, v65
	v_lshrrev_b32_e32 v83, 31, v66
	v_add_nc_u32_e32 v62, v64, v79
	v_ashrrev_i32_e32 v66, 2, v66
	v_cmp_ne_u32_e64 s0, v63, v68
	v_mul_hi_i32 v68, 0x66666667, v69
	v_mul_hi_i32 v69, 0x66666667, v70
	v_cmp_ne_u32_e64 s1, v62, v63
	v_mul_hi_i32 v63, 0x66666667, v72
	v_add_nc_u32_e32 v64, v65, v82
	v_add_nc_u32_e32 v65, v66, v83
	v_lshrrev_b32_e32 v66, 31, v67
	v_ashrrev_i32_e32 v67, 2, v67
	ds_store_b64 v61, v[57:58]
	v_cmp_ne_u32_e64 s4, v64, v62
	v_cmp_ne_u32_e64 s5, v65, v64
	v_lshrrev_b32_e32 v64, 31, v68
	v_add_nc_u32_e32 v62, v67, v66
	v_ashrrev_i32_e32 v66, 2, v68
	v_lshrrev_b32_e32 v67, 31, v69
	v_ashrrev_i32_e32 v68, 2, v69
	v_lshrrev_b32_e32 v69, 31, v63
	v_ashrrev_i32_e32 v63, 2, v63
	v_add_nc_u32_e32 v64, v66, v64
	v_cmp_ne_u32_e64 s6, v62, v65
	v_add_nc_u32_e32 v65, v68, v67
	v_mul_hi_i32 v68, 0x66666667, v81
	v_add_nc_u32_e32 v63, v63, v69
	v_cmp_ne_u32_e64 s7, v64, v62
	v_mul_hi_i32 v66, 0x66666667, v76
	v_cmp_ne_u32_e64 s8, v65, v64
	v_mul_hi_i32 v62, 0x66666667, v77
	;; [unrolled: 2-line block ×3, first 2 shown]
	v_mul_hi_i32 v65, 0x66666667, v80
	v_lshrrev_b32_e32 v76, 31, v68
	v_ashrrev_i32_e32 v68, 2, v68
	v_lshrrev_b32_e32 v67, 31, v66
	v_ashrrev_i32_e32 v66, 2, v66
	;; [unrolled: 2-line block ×5, first 2 shown]
	v_add_nc_u32_e32 v66, v66, v67
	v_add_nc_u32_e32 v62, v62, v69
	;; [unrolled: 1-line block ×5, first 2 shown]
	v_cmp_ne_u32_e64 s14, v66, v63
	v_cmp_ne_u32_e64 s10, v62, v66
	;; [unrolled: 1-line block ×3, first 2 shown]
	s_waitcnt vmcnt(0) lgkmcnt(0)
	v_cmp_ne_u32_e64 s12, v65, v64
	v_cmp_ne_u32_e64 s13, v76, v65
	s_barrier
	buffer_gl0_inv
	s_and_saveexec_b32 s31, s3
	s_cbranch_execz .LBB67_58
; %bb.57:
	v_add_nc_u32_e32 v59, -8, v61
	ds_load_b64 v[59:60], v59
.LBB67_58:
	s_or_b32 exec_lo, exec_lo, s31
	s_waitcnt lgkmcnt(0)
	v_cvt_i32_f64_e32 v59, v[59:60]
	v_cndmask_b32_e64 v111, 0, 1, vcc_lo
	v_cndmask_b32_e64 v60, 0, 1, s0
	v_cndmask_b32_e64 v112, 0, 1, s1
	;; [unrolled: 1-line block ×12, first 2 shown]
	v_mul_hi_i32 v59, 0x66666667, v59
	s_delay_alu instid0(VALU_DEP_1) | instskip(SKIP_1) | instid1(VALU_DEP_1)
	v_lshrrev_b32_e32 v67, 31, v59
	v_ashrrev_i32_e32 v59, 2, v59
	v_add_nc_u32_e32 v59, v59, v67
	v_cndmask_b32_e64 v67, 0, 1, s10
	s_delay_alu instid0(VALU_DEP_2)
	v_cmp_ne_u32_e64 s4, v59, v76
.LBB67_59:
                                        ; implicit-def: $sgpr0
	s_branch .LBB67_114
.LBB67_60:
	s_mov_b32 s15, 0
                                        ; implicit-def: $sgpr4
                                        ; implicit-def: $vgpr111
                                        ; implicit-def: $vgpr60
                                        ; implicit-def: $vgpr112
                                        ; implicit-def: $vgpr62
                                        ; implicit-def: $vgpr61
                                        ; implicit-def: $vgpr64
                                        ; implicit-def: $vgpr63
                                        ; implicit-def: $vgpr66
                                        ; implicit-def: $vgpr65
                                        ; implicit-def: $vgpr68
                                        ; implicit-def: $vgpr67
                                        ; implicit-def: $vgpr70
                                        ; implicit-def: $vgpr69
                                        ; implicit-def: $vgpr72
                                        ; implicit-def: $sgpr0
	s_cbranch_execnz .LBB67_79
	s_branch .LBB67_114
.LBB67_61:
	v_add_co_u32 v29, vcc_lo, v61, v64
	v_add_co_ci_u32_e32 v30, vcc_lo, 0, v62, vcc_lo
	flat_load_b64 v[29:30], v[29:30]
	s_or_b32 exec_lo, exec_lo, s16
                                        ; implicit-def: $vgpr31_vgpr32
	s_and_saveexec_b32 s16, s0
	s_cbranch_execz .LBB67_39
.LBB67_62:
	v_add_co_u32 v31, vcc_lo, v61, v64
	v_add_co_ci_u32_e32 v32, vcc_lo, 0, v62, vcc_lo
	flat_load_b64 v[31:32], v[31:32] offset:2048
	s_or_b32 exec_lo, exec_lo, s16
                                        ; implicit-def: $vgpr33_vgpr34
	s_and_saveexec_b32 s0, s1
	s_cbranch_execz .LBB67_40
.LBB67_63:
	v_lshlrev_b32_e32 v33, 3, v35
	s_delay_alu instid0(VALU_DEP_1)
	v_add_co_u32 v33, vcc_lo, v61, v33
	v_add_co_ci_u32_e32 v34, vcc_lo, 0, v62, vcc_lo
	flat_load_b64 v[33:34], v[33:34]
	s_or_b32 exec_lo, exec_lo, s0
                                        ; implicit-def: $vgpr35_vgpr36
	s_and_saveexec_b32 s0, s4
	s_cbranch_execz .LBB67_41
.LBB67_64:
	v_lshlrev_b32_e32 v35, 3, v37
	s_delay_alu instid0(VALU_DEP_1)
	v_add_co_u32 v35, vcc_lo, v61, v35
	v_add_co_ci_u32_e32 v36, vcc_lo, 0, v62, vcc_lo
	flat_load_b64 v[35:36], v[35:36]
	s_or_b32 exec_lo, exec_lo, s0
                                        ; implicit-def: $vgpr37_vgpr38
	s_and_saveexec_b32 s0, s5
	s_cbranch_execz .LBB67_42
.LBB67_65:
	v_lshlrev_b32_e32 v37, 3, v39
	s_delay_alu instid0(VALU_DEP_1)
	v_add_co_u32 v37, vcc_lo, v61, v37
	v_add_co_ci_u32_e32 v38, vcc_lo, 0, v62, vcc_lo
	flat_load_b64 v[37:38], v[37:38]
	s_or_b32 exec_lo, exec_lo, s0
                                        ; implicit-def: $vgpr39_vgpr40
	s_and_saveexec_b32 s0, s6
	s_cbranch_execz .LBB67_43
.LBB67_66:
	v_lshlrev_b32_e32 v39, 3, v41
	s_delay_alu instid0(VALU_DEP_1)
	v_add_co_u32 v39, vcc_lo, v61, v39
	v_add_co_ci_u32_e32 v40, vcc_lo, 0, v62, vcc_lo
	flat_load_b64 v[39:40], v[39:40]
	s_or_b32 exec_lo, exec_lo, s0
                                        ; implicit-def: $vgpr41_vgpr42
	s_and_saveexec_b32 s0, s7
	s_cbranch_execz .LBB67_44
.LBB67_67:
	v_lshlrev_b32_e32 v41, 3, v43
	s_delay_alu instid0(VALU_DEP_1)
	v_add_co_u32 v41, vcc_lo, v61, v41
	v_add_co_ci_u32_e32 v42, vcc_lo, 0, v62, vcc_lo
	flat_load_b64 v[41:42], v[41:42]
	s_or_b32 exec_lo, exec_lo, s0
                                        ; implicit-def: $vgpr43_vgpr44
	s_and_saveexec_b32 s0, s8
	s_cbranch_execz .LBB67_45
.LBB67_68:
	v_lshlrev_b32_e32 v43, 3, v45
	s_delay_alu instid0(VALU_DEP_1)
	v_add_co_u32 v43, vcc_lo, v61, v43
	v_add_co_ci_u32_e32 v44, vcc_lo, 0, v62, vcc_lo
	flat_load_b64 v[43:44], v[43:44]
	s_or_b32 exec_lo, exec_lo, s0
                                        ; implicit-def: $vgpr45_vgpr46
	s_and_saveexec_b32 s0, s9
	s_cbranch_execz .LBB67_46
.LBB67_69:
	v_lshlrev_b32_e32 v45, 3, v47
	s_delay_alu instid0(VALU_DEP_1)
	v_add_co_u32 v45, vcc_lo, v61, v45
	v_add_co_ci_u32_e32 v46, vcc_lo, 0, v62, vcc_lo
	flat_load_b64 v[45:46], v[45:46]
	s_or_b32 exec_lo, exec_lo, s0
                                        ; implicit-def: $vgpr47_vgpr48
	s_and_saveexec_b32 s0, s10
	s_cbranch_execz .LBB67_47
.LBB67_70:
	v_lshlrev_b32_e32 v47, 3, v49
	s_delay_alu instid0(VALU_DEP_1)
	v_add_co_u32 v47, vcc_lo, v61, v47
	v_add_co_ci_u32_e32 v48, vcc_lo, 0, v62, vcc_lo
	flat_load_b64 v[47:48], v[47:48]
	s_or_b32 exec_lo, exec_lo, s0
                                        ; implicit-def: $vgpr49_vgpr50
	s_and_saveexec_b32 s0, s11
	s_cbranch_execz .LBB67_48
.LBB67_71:
	v_lshlrev_b32_e32 v49, 3, v51
	s_delay_alu instid0(VALU_DEP_1)
	v_add_co_u32 v49, vcc_lo, v61, v49
	v_add_co_ci_u32_e32 v50, vcc_lo, 0, v62, vcc_lo
	flat_load_b64 v[49:50], v[49:50]
	s_or_b32 exec_lo, exec_lo, s0
                                        ; implicit-def: $vgpr51_vgpr52
	s_and_saveexec_b32 s0, s12
	s_cbranch_execz .LBB67_49
.LBB67_72:
	v_lshlrev_b32_e32 v51, 3, v53
	s_delay_alu instid0(VALU_DEP_1)
	v_add_co_u32 v51, vcc_lo, v61, v51
	v_add_co_ci_u32_e32 v52, vcc_lo, 0, v62, vcc_lo
	flat_load_b64 v[51:52], v[51:52]
	s_or_b32 exec_lo, exec_lo, s0
                                        ; implicit-def: $vgpr53_vgpr54
	s_and_saveexec_b32 s0, s13
	s_cbranch_execz .LBB67_50
.LBB67_73:
	v_lshlrev_b32_e32 v53, 3, v55
	s_delay_alu instid0(VALU_DEP_1)
	v_add_co_u32 v53, vcc_lo, v61, v53
	v_add_co_ci_u32_e32 v54, vcc_lo, 0, v62, vcc_lo
	flat_load_b64 v[53:54], v[53:54]
	s_or_b32 exec_lo, exec_lo, s0
                                        ; implicit-def: $vgpr55_vgpr56
	s_and_saveexec_b32 s0, s14
	s_cbranch_execz .LBB67_51
.LBB67_74:
	v_lshlrev_b32_e32 v55, 3, v59
	s_delay_alu instid0(VALU_DEP_1)
	v_add_co_u32 v55, vcc_lo, v61, v55
	v_add_co_ci_u32_e32 v56, vcc_lo, 0, v62, vcc_lo
	flat_load_b64 v[55:56], v[55:56]
	s_or_b32 exec_lo, exec_lo, s0
                                        ; implicit-def: $vgpr59_vgpr60
	s_and_saveexec_b32 s0, s15
	s_cbranch_execnz .LBB67_52
	s_branch .LBB67_53
.LBB67_75:
	s_mov_b32 s15, 0
                                        ; implicit-def: $sgpr4
                                        ; implicit-def: $vgpr111
                                        ; implicit-def: $vgpr60
                                        ; implicit-def: $vgpr112
                                        ; implicit-def: $vgpr62
                                        ; implicit-def: $vgpr61
                                        ; implicit-def: $vgpr64
                                        ; implicit-def: $vgpr63
                                        ; implicit-def: $vgpr66
                                        ; implicit-def: $vgpr65
                                        ; implicit-def: $vgpr68
                                        ; implicit-def: $vgpr67
                                        ; implicit-def: $vgpr70
                                        ; implicit-def: $vgpr69
                                        ; implicit-def: $vgpr72
	s_cbranch_execz .LBB67_59
; %bb.76:
	v_cvt_i32_f64_e32 v60, v[3:4]
	v_cvt_i32_f64_e32 v61, v[57:58]
	;; [unrolled: 1-line block ×15, first 2 shown]
	v_lshlrev_b32_e32 v59, 3, v0
                                        ; implicit-def: $sgpr4
	ds_store_b64 v59, v[57:58]
	s_waitcnt lgkmcnt(0)
	s_barrier
	buffer_gl0_inv
	v_mul_hi_i32 v60, 0x66666667, v60
	v_mul_hi_i32 v61, 0x66666667, v61
	;; [unrolled: 1-line block ×8, first 2 shown]
	v_lshrrev_b32_e32 v79, 31, v60
	v_ashrrev_i32_e32 v60, 2, v60
	v_lshrrev_b32_e32 v80, 31, v61
	v_ashrrev_i32_e32 v61, 2, v61
	;; [unrolled: 2-line block ×3, first 2 shown]
	v_add_nc_u32_e32 v60, v60, v79
	v_lshrrev_b32_e32 v82, 31, v63
	v_add_nc_u32_e32 v61, v61, v80
	v_ashrrev_i32_e32 v63, 2, v63
	v_add_nc_u32_e32 v62, v62, v81
	v_lshrrev_b32_e32 v83, 31, v64
	v_ashrrev_i32_e32 v64, 2, v64
	v_cmp_ne_u32_e32 vcc_lo, v60, v61
	v_add_nc_u32_e32 v63, v63, v82
	v_lshrrev_b32_e32 v84, 31, v65
	v_ashrrev_i32_e32 v65, 2, v65
	v_add_nc_u32_e32 v64, v64, v83
	v_cndmask_b32_e64 v111, 0, 1, vcc_lo
	v_cmp_ne_u32_e32 vcc_lo, v62, v60
	v_mul_hi_i32 v67, 0x66666667, v67
	v_lshrrev_b32_e32 v85, 31, v66
	v_ashrrev_i32_e32 v66, 2, v66
	v_add_nc_u32_e32 v65, v65, v84
	v_cndmask_b32_e64 v60, 0, 1, vcc_lo
	v_cmp_ne_u32_e32 vcc_lo, v63, v62
	v_lshrrev_b32_e32 v87, 31, v68
	v_add_nc_u32_e32 v66, v66, v85
	v_lshrrev_b32_e32 v86, 31, v67
	v_ashrrev_i32_e32 v67, 2, v67
	v_cndmask_b32_e64 v112, 0, 1, vcc_lo
	v_cmp_ne_u32_e32 vcc_lo, v64, v63
	v_ashrrev_i32_e32 v63, 2, v68
	v_mul_hi_i32 v68, 0x66666667, v69
	v_mul_hi_i32 v69, 0x66666667, v70
	v_cndmask_b32_e64 v62, 0, 1, vcc_lo
	v_cmp_ne_u32_e32 vcc_lo, v65, v64
	s_delay_alu instid0(VALU_DEP_4)
	v_lshrrev_b32_e32 v70, 31, v68
	v_cndmask_b32_e64 v61, 0, 1, vcc_lo
	v_cmp_ne_u32_e32 vcc_lo, v66, v65
	v_add_nc_u32_e32 v65, v67, v86
	v_ashrrev_i32_e32 v68, 2, v68
	v_add_nc_u32_e32 v67, v63, v87
	v_lshrrev_b32_e32 v79, 31, v69
	v_cndmask_b32_e64 v64, 0, 1, vcc_lo
	v_cmp_ne_u32_e32 vcc_lo, v65, v66
	v_add_nc_u32_e32 v68, v68, v70
	v_mul_hi_i32 v70, 0x66666667, v72
	v_ashrrev_i32_e32 v69, 2, v69
	v_mul_hi_i32 v72, 0x66666667, v76
	v_cndmask_b32_e64 v63, 0, 1, vcc_lo
	v_cmp_ne_u32_e32 vcc_lo, v67, v65
	v_mul_hi_i32 v76, 0x66666667, v78
	v_add_nc_u32_e32 v69, v69, v79
	v_cndmask_b32_e64 v66, 0, 1, vcc_lo
	v_cmp_ne_u32_e32 vcc_lo, v68, v67
	v_mul_hi_i32 v67, 0x66666667, v77
	v_lshrrev_b32_e32 v77, 31, v70
	v_ashrrev_i32_e32 v70, 2, v70
	v_lshrrev_b32_e32 v78, 31, v72
	v_cndmask_b32_e64 v65, 0, 1, vcc_lo
	v_cmp_ne_u32_e32 vcc_lo, v69, v68
	v_ashrrev_i32_e32 v72, 2, v72
	v_add_nc_u32_e32 v70, v70, v77
	v_lshrrev_b32_e32 v79, 31, v67
	v_ashrrev_i32_e32 v67, 2, v67
	v_cndmask_b32_e64 v68, 0, 1, vcc_lo
	v_add_nc_u32_e32 v72, v72, v78
	v_cmp_ne_u32_e32 vcc_lo, v70, v69
	v_lshrrev_b32_e32 v77, 31, v76
	v_ashrrev_i32_e32 v76, 2, v76
	v_add_nc_u32_e32 v78, v67, v79
	v_cndmask_b32_e64 v67, 0, 1, vcc_lo
	v_cmp_ne_u32_e32 vcc_lo, v72, v70
	s_delay_alu instid0(VALU_DEP_4) | instskip(SKIP_3) | instid1(VALU_DEP_4)
	v_add_nc_u32_e32 v76, v76, v77
	v_cndmask_b32_e64 v70, 0, 1, vcc_lo
	v_cmp_ne_u32_e32 vcc_lo, v78, v72
	v_cndmask_b32_e64 v69, 0, 1, vcc_lo
	v_cmp_ne_u32_e32 vcc_lo, v76, v78
	v_cndmask_b32_e64 v72, 0, 1, vcc_lo
	s_and_saveexec_b32 s0, s3
	s_delay_alu instid0(SALU_CYCLE_1)
	s_xor_b32 s0, exec_lo, s0
	s_cbranch_execz .LBB67_78
; %bb.77:
	v_add_nc_u32_e32 v59, -8, v59
	s_or_b32 s15, s15, exec_lo
	ds_load_b64 v[77:78], v59
	s_waitcnt lgkmcnt(0)
	v_cvt_i32_f64_e32 v59, v[77:78]
	s_delay_alu instid0(VALU_DEP_1) | instskip(NEXT) | instid1(VALU_DEP_1)
	v_mul_hi_i32 v59, 0x66666667, v59
	v_lshrrev_b32_e32 v77, 31, v59
	v_ashrrev_i32_e32 v59, 2, v59
	s_delay_alu instid0(VALU_DEP_1) | instskip(NEXT) | instid1(VALU_DEP_1)
	v_add_nc_u32_e32 v59, v59, v77
	v_cmp_ne_u32_e32 vcc_lo, v59, v76
	s_and_b32 s4, vcc_lo, exec_lo
.LBB67_78:
	s_or_b32 exec_lo, exec_lo, s0
	s_mov_b32 s0, 1
	s_branch .LBB67_114
.LBB67_79:
	s_mul_hi_u32 s0, s26, 0xfffff100
	s_mul_i32 s1, s27, 0xfffff100
	s_sub_i32 s0, s0, s26
	s_mul_i32 s4, s26, 0xfffff100
	s_add_i32 s1, s0, s1
	s_add_u32 s0, s4, s48
	s_addc_u32 s1, s1, s49
	s_and_b32 vcc_lo, exec_lo, s16
	s_cbranch_vccz .LBB67_251
; %bb.80:
	v_add_co_u32 v59, vcc_lo, -8, v71
	v_add_co_ci_u32_e32 v60, vcc_lo, -1, v75, vcc_lo
	v_lshlrev_b32_e32 v78, 3, v0
	v_mul_u32_u24_e32 v77, 15, v0
	s_mov_b32 s4, exec_lo
	flat_load_b64 v[75:76], v[59:60]
	v_mad_u32_u24 v59, v0, 15, 14
	v_dual_mov_b32 v60, 0 :: v_dual_mov_b32 v111, 0
	ds_store_b64 v78, v[57:58]
	v_cmpx_gt_u64_e64 s[0:1], v[59:60]
	s_cbranch_execz .LBB67_82
; %bb.81:
	v_cvt_i32_f64_e32 v59, v[3:4]
	v_cvt_i32_f64_e32 v61, v[57:58]
	s_delay_alu instid0(VALU_DEP_2) | instskip(NEXT) | instid1(VALU_DEP_2)
	v_mul_hi_i32 v59, 0x66666667, v59
	v_mul_hi_i32 v61, 0x66666667, v61
	s_delay_alu instid0(VALU_DEP_2) | instskip(SKIP_1) | instid1(VALU_DEP_3)
	v_lshrrev_b32_e32 v62, 31, v59
	v_ashrrev_i32_e32 v59, 2, v59
	v_lshrrev_b32_e32 v63, 31, v61
	v_ashrrev_i32_e32 v61, 2, v61
	s_delay_alu instid0(VALU_DEP_3) | instskip(NEXT) | instid1(VALU_DEP_2)
	v_add_nc_u32_e32 v59, v59, v62
	v_add_nc_u32_e32 v61, v61, v63
	s_delay_alu instid0(VALU_DEP_1)
	v_cmp_ne_u32_e32 vcc_lo, v59, v61
	v_cndmask_b32_e64 v111, 0, 1, vcc_lo
.LBB67_82:
	s_or_b32 exec_lo, exec_lo, s4
	v_add_nc_u32_e32 v59, 13, v77
	s_mov_b32 s4, exec_lo
	s_delay_alu instid0(VALU_DEP_1)
	v_cmpx_gt_u64_e64 s[0:1], v[59:60]
	s_cbranch_execz .LBB67_84
; %bb.83:
	v_cvt_i32_f64_e32 v59, v[1:2]
	v_cvt_i32_f64_e32 v60, v[3:4]
	s_delay_alu instid0(VALU_DEP_2) | instskip(NEXT) | instid1(VALU_DEP_2)
	v_mul_hi_i32 v59, 0x66666667, v59
	v_mul_hi_i32 v60, 0x66666667, v60
	s_delay_alu instid0(VALU_DEP_2) | instskip(SKIP_1) | instid1(VALU_DEP_3)
	v_lshrrev_b32_e32 v61, 31, v59
	v_ashrrev_i32_e32 v59, 2, v59
	v_lshrrev_b32_e32 v62, 31, v60
	v_ashrrev_i32_e32 v60, 2, v60
	s_delay_alu instid0(VALU_DEP_3) | instskip(NEXT) | instid1(VALU_DEP_2)
	v_add_nc_u32_e32 v59, v59, v61
	v_add_nc_u32_e32 v60, v60, v62
	s_delay_alu instid0(VALU_DEP_1)
	v_cmp_ne_u32_e32 vcc_lo, v59, v60
	v_cndmask_b32_e64 v60, 0, 1, vcc_lo
.LBB67_84:
	s_or_b32 exec_lo, exec_lo, s4
	v_dual_mov_b32 v62, 0 :: v_dual_add_nc_u32 v61, 12, v77
	v_mov_b32_e32 v112, 0
	s_mov_b32 s4, exec_lo
	s_delay_alu instid0(VALU_DEP_2)
	v_cmpx_gt_u64_e64 s[0:1], v[61:62]
	s_cbranch_execz .LBB67_86
; %bb.85:
	v_cvt_i32_f64_e32 v59, v[7:8]
	v_cvt_i32_f64_e32 v61, v[1:2]
	s_delay_alu instid0(VALU_DEP_2) | instskip(NEXT) | instid1(VALU_DEP_2)
	v_mul_hi_i32 v59, 0x66666667, v59
	v_mul_hi_i32 v61, 0x66666667, v61
	s_delay_alu instid0(VALU_DEP_2) | instskip(SKIP_1) | instid1(VALU_DEP_3)
	v_lshrrev_b32_e32 v63, 31, v59
	v_ashrrev_i32_e32 v59, 2, v59
	v_lshrrev_b32_e32 v64, 31, v61
	v_ashrrev_i32_e32 v61, 2, v61
	s_delay_alu instid0(VALU_DEP_3) | instskip(NEXT) | instid1(VALU_DEP_2)
	v_add_nc_u32_e32 v59, v59, v63
	v_add_nc_u32_e32 v61, v61, v64
	s_delay_alu instid0(VALU_DEP_1)
	v_cmp_ne_u32_e32 vcc_lo, v59, v61
	v_cndmask_b32_e64 v112, 0, 1, vcc_lo
.LBB67_86:
	s_or_b32 exec_lo, exec_lo, s4
	v_add_nc_u32_e32 v61, 11, v77
	s_mov_b32 s4, exec_lo
	s_delay_alu instid0(VALU_DEP_1)
	v_cmpx_gt_u64_e64 s[0:1], v[61:62]
	s_cbranch_execz .LBB67_88
; %bb.87:
	v_cvt_i32_f64_e32 v59, v[5:6]
	v_cvt_i32_f64_e32 v61, v[7:8]
	s_delay_alu instid0(VALU_DEP_2) | instskip(NEXT) | instid1(VALU_DEP_2)
	v_mul_hi_i32 v59, 0x66666667, v59
	v_mul_hi_i32 v61, 0x66666667, v61
	s_delay_alu instid0(VALU_DEP_2) | instskip(SKIP_1) | instid1(VALU_DEP_3)
	v_lshrrev_b32_e32 v62, 31, v59
	v_ashrrev_i32_e32 v59, 2, v59
	v_lshrrev_b32_e32 v63, 31, v61
	v_ashrrev_i32_e32 v61, 2, v61
	s_delay_alu instid0(VALU_DEP_3) | instskip(NEXT) | instid1(VALU_DEP_2)
	v_add_nc_u32_e32 v59, v59, v62
	v_add_nc_u32_e32 v61, v61, v63
	s_delay_alu instid0(VALU_DEP_1)
	v_cmp_ne_u32_e32 vcc_lo, v59, v61
	v_cndmask_b32_e64 v62, 0, 1, vcc_lo
.LBB67_88:
	s_or_b32 exec_lo, exec_lo, s4
	v_dual_mov_b32 v64, 0 :: v_dual_add_nc_u32 v63, 10, v77
	v_mov_b32_e32 v61, 0
	s_mov_b32 s4, exec_lo
	s_delay_alu instid0(VALU_DEP_2)
	;; [unrolled: 49-line block ×6, first 2 shown]
	v_cmpx_gt_u64_e64 s[0:1], v[71:72]
	s_cbranch_execz .LBB67_106
; %bb.105:
	v_cvt_i32_f64_e32 v59, v[27:28]
	v_cvt_i32_f64_e32 v69, v[21:22]
	s_delay_alu instid0(VALU_DEP_2) | instskip(NEXT) | instid1(VALU_DEP_2)
	v_mul_hi_i32 v59, 0x66666667, v59
	v_mul_hi_i32 v69, 0x66666667, v69
	s_delay_alu instid0(VALU_DEP_2) | instskip(SKIP_1) | instid1(VALU_DEP_3)
	v_lshrrev_b32_e32 v71, 31, v59
	v_ashrrev_i32_e32 v59, 2, v59
	v_lshrrev_b32_e32 v79, 31, v69
	v_ashrrev_i32_e32 v69, 2, v69
	s_delay_alu instid0(VALU_DEP_3) | instskip(NEXT) | instid1(VALU_DEP_2)
	v_add_nc_u32_e32 v59, v59, v71
	v_add_nc_u32_e32 v69, v69, v79
	s_delay_alu instid0(VALU_DEP_1)
	v_cmp_ne_u32_e32 vcc_lo, v59, v69
	v_cndmask_b32_e64 v69, 0, 1, vcc_lo
.LBB67_106:
	s_or_b32 exec_lo, exec_lo, s4
	v_add_nc_u32_e32 v71, 1, v77
	s_mov_b32 s4, exec_lo
	s_delay_alu instid0(VALU_DEP_1)
	v_cmpx_gt_u64_e64 s[0:1], v[71:72]
	s_cbranch_execz .LBB67_108
; %bb.107:
	v_cvt_i32_f64_e32 v59, v[25:26]
	v_cvt_i32_f64_e32 v71, v[27:28]
	s_delay_alu instid0(VALU_DEP_2) | instskip(NEXT) | instid1(VALU_DEP_2)
	v_mul_hi_i32 v59, 0x66666667, v59
	v_mul_hi_i32 v71, 0x66666667, v71
	s_delay_alu instid0(VALU_DEP_2) | instskip(SKIP_1) | instid1(VALU_DEP_3)
	v_lshrrev_b32_e32 v72, 31, v59
	v_ashrrev_i32_e32 v59, 2, v59
	v_lshrrev_b32_e32 v79, 31, v71
	v_ashrrev_i32_e32 v71, 2, v71
	s_delay_alu instid0(VALU_DEP_3) | instskip(NEXT) | instid1(VALU_DEP_2)
	v_add_nc_u32_e32 v59, v59, v72
	v_add_nc_u32_e32 v71, v71, v79
	s_delay_alu instid0(VALU_DEP_1)
	v_cmp_ne_u32_e32 vcc_lo, v59, v71
	v_cndmask_b32_e64 v72, 0, 1, vcc_lo
.LBB67_108:
	s_or_b32 exec_lo, exec_lo, s4
	s_waitcnt vmcnt(0) lgkmcnt(0)
	s_barrier
	buffer_gl0_inv
	s_and_saveexec_b32 s4, s3
	s_cbranch_execz .LBB67_110
; %bb.109:
	v_add_nc_u32_e32 v59, -8, v78
	ds_load_b64 v[75:76], v59
.LBB67_110:
	s_or_b32 exec_lo, exec_lo, s4
	v_mov_b32_e32 v78, 0
	s_mov_b32 s5, 0
	s_mov_b32 s4, 0
	s_mov_b32 s6, exec_lo
	s_delay_alu instid0(VALU_DEP_1)
	v_cmpx_gt_u64_e64 s[0:1], v[77:78]
	s_cbranch_execz .LBB67_112
; %bb.111:
	s_waitcnt lgkmcnt(0)
	v_cvt_i32_f64_e32 v59, v[75:76]
	v_cvt_i32_f64_e32 v71, v[25:26]
	s_delay_alu instid0(VALU_DEP_2) | instskip(NEXT) | instid1(VALU_DEP_2)
	v_mul_hi_i32 v59, 0x66666667, v59
	v_mul_hi_i32 v71, 0x66666667, v71
	s_delay_alu instid0(VALU_DEP_2) | instskip(SKIP_1) | instid1(VALU_DEP_3)
	v_lshrrev_b32_e32 v75, 31, v59
	v_ashrrev_i32_e32 v59, 2, v59
	v_lshrrev_b32_e32 v76, 31, v71
	v_ashrrev_i32_e32 v71, 2, v71
	s_delay_alu instid0(VALU_DEP_3) | instskip(NEXT) | instid1(VALU_DEP_2)
	v_add_nc_u32_e32 v59, v59, v75
	v_add_nc_u32_e32 v71, v71, v76
	s_delay_alu instid0(VALU_DEP_1)
	v_cmp_ne_u32_e32 vcc_lo, v59, v71
	s_and_b32 s4, vcc_lo, exec_lo
.LBB67_112:
	s_or_b32 exec_lo, exec_lo, s6
	s_mov_b32 s15, -1
	s_and_b32 vcc_lo, exec_lo, s5
	s_cbranch_vccnz .LBB67_252
.LBB67_113:
                                        ; implicit-def: $sgpr0
.LBB67_114:
	v_mov_b32_e32 v71, s0
	s_and_saveexec_b32 s0, s15
.LBB67_115:
	s_delay_alu instid0(VALU_DEP_2)
	v_cndmask_b32_e64 v71, 0, 1, s4
.LBB67_116:
	s_or_b32 exec_lo, exec_lo, s0
	v_add_f64 v[109:110], v[53:54], v[55:56]
	s_delay_alu instid0(VALU_DEP_2)
	v_add3_u32 v59, v72, v71, v69
	v_cmp_eq_u32_e64 s13, 0, v72
	v_cmp_eq_u32_e64 s12, 0, v69
	;; [unrolled: 1-line block ×4, first 2 shown]
	v_add3_u32 v115, v59, v70, v67
	v_cmp_eq_u32_e64 s9, 0, v68
	v_cmp_eq_u32_e64 s8, 0, v65
	v_cmp_eq_u32_e64 s7, 0, v66
	v_cmp_eq_u32_e64 s6, 0, v63
	v_cmp_eq_u32_e64 s5, 0, v64
	v_cmp_eq_u32_e64 s4, 0, v61
	v_cmp_eq_u32_e64 s3, 0, v62
	v_cmp_eq_u32_e64 s1, 0, v112
	v_cmp_eq_u32_e64 s0, 0, v60
	v_cmp_eq_u32_e32 vcc_lo, 0, v111
	v_mbcnt_lo_u32_b32 v114, -1, 0
	s_cmp_eq_u64 s[42:43], 0
	s_cselect_b32 s15, -1, 0
	s_cmp_lg_u32 s30, 0
	s_cbranch_scc0 .LBB67_183
; %bb.117:
	s_waitcnt lgkmcnt(0)
	v_cndmask_b32_e64 v76, v56, v110, s13
	v_cndmask_b32_e64 v75, v55, v109, s13
	v_add3_u32 v59, v115, v68, v65
	s_mov_b32 s14, exec_lo
	s_delay_alu instid0(VALU_DEP_2) | instskip(NEXT) | instid1(VALU_DEP_2)
	v_add_f64 v[75:76], v[49:50], v[75:76]
	v_add3_u32 v59, v59, v66, v63
	s_delay_alu instid0(VALU_DEP_1) | instskip(NEXT) | instid1(VALU_DEP_1)
	v_add3_u32 v59, v59, v64, v61
	v_add3_u32 v59, v59, v62, v112
	s_delay_alu instid0(VALU_DEP_1) | instskip(SKIP_1) | instid1(VALU_DEP_2)
	v_add3_u32 v81, v59, v60, v111
	v_and_b32_e32 v59, 15, v114
	v_mov_b32_dpp v79, v81 row_shr:1 row_mask:0xf bank_mask:0xf
	v_cndmask_b32_e64 v76, v50, v76, s12
	v_cndmask_b32_e64 v75, v49, v75, s12
	s_delay_alu instid0(VALU_DEP_1) | instskip(NEXT) | instid1(VALU_DEP_1)
	v_add_f64 v[75:76], v[51:52], v[75:76]
	v_cndmask_b32_e64 v76, v52, v76, s11
	s_delay_alu instid0(VALU_DEP_2) | instskip(NEXT) | instid1(VALU_DEP_1)
	v_cndmask_b32_e64 v75, v51, v75, s11
	v_add_f64 v[75:76], v[45:46], v[75:76]
	s_delay_alu instid0(VALU_DEP_1) | instskip(NEXT) | instid1(VALU_DEP_2)
	v_cndmask_b32_e64 v76, v46, v76, s10
	v_cndmask_b32_e64 v75, v45, v75, s10
	s_delay_alu instid0(VALU_DEP_1) | instskip(NEXT) | instid1(VALU_DEP_1)
	v_add_f64 v[75:76], v[47:48], v[75:76]
	v_cndmask_b32_e64 v76, v48, v76, s9
	s_delay_alu instid0(VALU_DEP_2) | instskip(NEXT) | instid1(VALU_DEP_1)
	v_cndmask_b32_e64 v75, v47, v75, s9
	v_add_f64 v[75:76], v[41:42], v[75:76]
	s_delay_alu instid0(VALU_DEP_1) | instskip(NEXT) | instid1(VALU_DEP_2)
	;; [unrolled: 9-line block ×5, first 2 shown]
	v_cndmask_b32_e64 v76, v30, v76, s1
	v_cndmask_b32_e64 v75, v29, v75, s1
	s_delay_alu instid0(VALU_DEP_1) | instskip(NEXT) | instid1(VALU_DEP_1)
	v_add_f64 v[75:76], v[31:32], v[75:76]
	v_cndmask_b32_e64 v76, v32, v76, s0
	s_delay_alu instid0(VALU_DEP_2) | instskip(NEXT) | instid1(VALU_DEP_1)
	v_cndmask_b32_e64 v75, v31, v75, s0
	v_add_f64 v[75:76], v[73:74], v[75:76]
	s_delay_alu instid0(VALU_DEP_1) | instskip(NEXT) | instid1(VALU_DEP_1)
	v_dual_cndmask_b32 v77, v73, v75 :: v_dual_cndmask_b32 v78, v74, v76
	v_mov_b32_dpp v75, v77 row_shr:1 row_mask:0xf bank_mask:0xf
	s_delay_alu instid0(VALU_DEP_2)
	v_mov_b32_dpp v76, v78 row_shr:1 row_mask:0xf bank_mask:0xf
	v_cmpx_ne_u32_e32 0, v59
; %bb.118:
	s_delay_alu instid0(VALU_DEP_2) | instskip(SKIP_1) | instid1(VALU_DEP_2)
	v_add_f64 v[75:76], v[77:78], v[75:76]
	v_cmp_eq_u32_e32 vcc_lo, 0, v81
	v_dual_cndmask_b32 v78, v78, v76 :: v_dual_add_nc_u32 v81, v79, v81
	s_delay_alu instid0(VALU_DEP_3)
	v_cndmask_b32_e32 v77, v77, v75, vcc_lo
; %bb.119:
	s_or_b32 exec_lo, exec_lo, s14
	s_delay_alu instid0(VALU_DEP_2) | instskip(NEXT) | instid1(VALU_DEP_2)
	v_mov_b32_dpp v79, v81 row_shr:2 row_mask:0xf bank_mask:0xf
	v_mov_b32_dpp v75, v77 row_shr:2 row_mask:0xf bank_mask:0xf
	v_mov_b32_dpp v76, v78 row_shr:2 row_mask:0xf bank_mask:0xf
	s_mov_b32 s14, exec_lo
	v_cmpx_lt_u32_e32 1, v59
; %bb.120:
	s_delay_alu instid0(VALU_DEP_2) | instskip(SKIP_1) | instid1(VALU_DEP_2)
	v_add_f64 v[75:76], v[77:78], v[75:76]
	v_cmp_eq_u32_e32 vcc_lo, 0, v81
	v_dual_cndmask_b32 v78, v78, v76 :: v_dual_add_nc_u32 v81, v79, v81
	s_delay_alu instid0(VALU_DEP_3)
	v_cndmask_b32_e32 v77, v77, v75, vcc_lo
; %bb.121:
	s_or_b32 exec_lo, exec_lo, s14
	s_delay_alu instid0(VALU_DEP_2) | instskip(NEXT) | instid1(VALU_DEP_2)
	v_mov_b32_dpp v79, v81 row_shr:4 row_mask:0xf bank_mask:0xf
	v_mov_b32_dpp v75, v77 row_shr:4 row_mask:0xf bank_mask:0xf
	v_mov_b32_dpp v76, v78 row_shr:4 row_mask:0xf bank_mask:0xf
	s_mov_b32 s14, exec_lo
	v_cmpx_lt_u32_e32 3, v59
	;; [unrolled: 15-line block ×3, first 2 shown]
; %bb.124:
	s_delay_alu instid0(VALU_DEP_2) | instskip(SKIP_1) | instid1(VALU_DEP_2)
	v_add_f64 v[75:76], v[77:78], v[75:76]
	v_cmp_eq_u32_e32 vcc_lo, 0, v81
	v_dual_cndmask_b32 v78, v78, v76 :: v_dual_add_nc_u32 v81, v79, v81
	s_delay_alu instid0(VALU_DEP_3)
	v_cndmask_b32_e32 v77, v77, v75, vcc_lo
; %bb.125:
	s_or_b32 exec_lo, exec_lo, s14
	ds_swizzle_b32 v59, v81 offset:swizzle(BROADCAST,32,15)
	ds_swizzle_b32 v75, v77 offset:swizzle(BROADCAST,32,15)
	;; [unrolled: 1-line block ×3, first 2 shown]
	v_and_b32_e32 v79, 16, v114
	s_mov_b32 s14, exec_lo
	s_delay_alu instid0(VALU_DEP_1)
	v_cmpx_ne_u32_e32 0, v79
	s_cbranch_execz .LBB67_127
; %bb.126:
	s_waitcnt lgkmcnt(0)
	v_add_f64 v[75:76], v[77:78], v[75:76]
	v_cmp_eq_u32_e32 vcc_lo, 0, v81
	s_delay_alu instid0(VALU_DEP_2) | instskip(NEXT) | instid1(VALU_DEP_3)
	v_dual_cndmask_b32 v78, v78, v76 :: v_dual_add_nc_u32 v81, v59, v81
	v_cndmask_b32_e32 v77, v77, v75, vcc_lo
.LBB67_127:
	s_or_b32 exec_lo, exec_lo, s14
	s_waitcnt lgkmcnt(1)
	v_lshrrev_b32_e32 v75, 5, v0
	v_or_b32_e32 v59, 31, v0
	s_mov_b32 s14, exec_lo
	s_delay_alu instid0(VALU_DEP_2) | instskip(NEXT) | instid1(VALU_DEP_2)
	v_lshlrev_b32_e32 v82, 4, v75
	v_cmpx_eq_u32_e64 v59, v0
	s_cbranch_execz .LBB67_129
; %bb.128:
	ds_store_b32 v82, v81 offset:4128
	ds_store_b64 v82, v[77:78] offset:4136
.LBB67_129:
	s_or_b32 exec_lo, exec_lo, s14
	s_delay_alu instid0(SALU_CYCLE_1)
	s_mov_b32 s14, exec_lo
	s_waitcnt lgkmcnt(0)
	s_barrier
	buffer_gl0_inv
	v_cmpx_gt_u32_e32 8, v0
	s_cbranch_execz .LBB67_137
; %bb.130:
	v_lshlrev_b32_e32 v59, 4, v0
	v_and_b32_e32 v84, 7, v114
	s_mov_b32 s16, exec_lo
	ds_load_b32 v83, v59 offset:4128
	ds_load_b64 v[75:76], v59 offset:4136
	s_waitcnt lgkmcnt(1)
	v_mov_b32_dpp v85, v83 row_shr:1 row_mask:0xf bank_mask:0xf
	s_waitcnt lgkmcnt(0)
	v_mov_b32_dpp v79, v75 row_shr:1 row_mask:0xf bank_mask:0xf
	v_mov_b32_dpp v80, v76 row_shr:1 row_mask:0xf bank_mask:0xf
	v_cmpx_ne_u32_e32 0, v84
; %bb.131:
	s_delay_alu instid0(VALU_DEP_2) | instskip(SKIP_1) | instid1(VALU_DEP_2)
	v_add_f64 v[79:80], v[75:76], v[79:80]
	v_cmp_eq_u32_e32 vcc_lo, 0, v83
	v_dual_cndmask_b32 v76, v76, v80 :: v_dual_add_nc_u32 v83, v85, v83
	s_delay_alu instid0(VALU_DEP_3)
	v_cndmask_b32_e32 v75, v75, v79, vcc_lo
; %bb.132:
	s_or_b32 exec_lo, exec_lo, s16
	s_delay_alu instid0(VALU_DEP_2) | instskip(NEXT) | instid1(VALU_DEP_2)
	v_mov_b32_dpp v85, v83 row_shr:2 row_mask:0xf bank_mask:0xf
	v_mov_b32_dpp v79, v75 row_shr:2 row_mask:0xf bank_mask:0xf
	;; [unrolled: 1-line block ×3, first 2 shown]
	s_mov_b32 s16, exec_lo
	v_cmpx_lt_u32_e32 1, v84
; %bb.133:
	s_delay_alu instid0(VALU_DEP_2) | instskip(SKIP_1) | instid1(VALU_DEP_2)
	v_add_f64 v[79:80], v[75:76], v[79:80]
	v_cmp_eq_u32_e32 vcc_lo, 0, v83
	v_dual_cndmask_b32 v76, v76, v80 :: v_dual_add_nc_u32 v83, v85, v83
	s_delay_alu instid0(VALU_DEP_3)
	v_cndmask_b32_e32 v75, v75, v79, vcc_lo
; %bb.134:
	s_or_b32 exec_lo, exec_lo, s16
	s_delay_alu instid0(VALU_DEP_2) | instskip(NEXT) | instid1(VALU_DEP_2)
	v_mov_b32_dpp v85, v83 row_shr:4 row_mask:0xf bank_mask:0xf
	v_mov_b32_dpp v79, v75 row_shr:4 row_mask:0xf bank_mask:0xf
	;; [unrolled: 1-line block ×3, first 2 shown]
	s_mov_b32 s16, exec_lo
	v_cmpx_lt_u32_e32 3, v84
; %bb.135:
	s_delay_alu instid0(VALU_DEP_2) | instskip(SKIP_1) | instid1(VALU_DEP_2)
	v_add_f64 v[79:80], v[75:76], v[79:80]
	v_cmp_eq_u32_e32 vcc_lo, 0, v83
	v_dual_cndmask_b32 v76, v76, v80 :: v_dual_add_nc_u32 v83, v85, v83
	s_delay_alu instid0(VALU_DEP_3)
	v_cndmask_b32_e32 v75, v75, v79, vcc_lo
; %bb.136:
	s_or_b32 exec_lo, exec_lo, s16
	ds_store_b32 v59, v83 offset:4128
	ds_store_b64 v59, v[75:76] offset:4136
.LBB67_137:
	s_or_b32 exec_lo, exec_lo, s14
	v_mov_b32_e32 v75, 0
	v_cmp_gt_u32_e32 vcc_lo, 32, v0
	v_dual_mov_b32 v76, 0 :: v_dual_mov_b32 v59, 0
	s_mov_b32 s16, exec_lo
	s_waitcnt lgkmcnt(0)
	s_barrier
	buffer_gl0_inv
	v_cmpx_lt_u32_e32 31, v0
	s_cbranch_execz .LBB67_139
; %bb.138:
	ds_load_b64 v[75:76], v82 offset:4120
	ds_load_b32 v59, v82 offset:4112
	v_cmp_eq_u32_e64 s14, 0, v81
	s_waitcnt lgkmcnt(1)
	v_add_f64 v[79:80], v[77:78], v[75:76]
	s_waitcnt lgkmcnt(0)
	v_add_nc_u32_e32 v81, v59, v81
	s_delay_alu instid0(VALU_DEP_2) | instskip(NEXT) | instid1(VALU_DEP_3)
	v_cndmask_b32_e64 v78, v78, v80, s14
	v_cndmask_b32_e64 v77, v77, v79, s14
.LBB67_139:
	s_or_b32 exec_lo, exec_lo, s16
	v_add_nc_u32_e32 v79, -1, v114
	s_delay_alu instid0(VALU_DEP_1) | instskip(NEXT) | instid1(VALU_DEP_1)
	v_cmp_gt_i32_e64 s14, 0, v79
	v_cndmask_b32_e64 v79, v79, v114, s14
	v_cmp_eq_u32_e64 s14, 0, v114
	s_delay_alu instid0(VALU_DEP_2)
	v_lshlrev_b32_e32 v79, 2, v79
	ds_bpermute_b32 v87, v79, v81
	ds_bpermute_b32 v88, v79, v77
	;; [unrolled: 1-line block ×3, first 2 shown]
	s_and_saveexec_b32 s16, vcc_lo
	s_cbranch_execz .LBB67_182
; %bb.140:
	v_mov_b32_e32 v81, 0
	ds_load_b32 v90, v81 offset:4240
	ds_load_b64 v[77:78], v81 offset:4248
	s_and_saveexec_b32 s26, s14
	s_cbranch_execz .LBB67_142
; %bb.141:
	s_add_i32 s34, s30, 32
	s_mov_b32 s35, 0
	v_dual_mov_b32 v79, s34 :: v_dual_mov_b32 v80, 1
	s_lshl_b64 s[42:43], s[34:35], 4
	s_delay_alu instid0(SALU_CYCLE_1)
	s_add_u32 s34, s36, s42
	s_addc_u32 s35, s37, s43
	s_waitcnt lgkmcnt(1)
	global_store_b32 v81, v90, s[34:35]
	s_waitcnt lgkmcnt(0)
	global_store_b64 v81, v[77:78], s[34:35] offset:8
	s_waitcnt_vscnt null, 0x0
	buffer_gl1_inv
	buffer_gl0_inv
	global_store_b8 v79, v80, s[40:41]
.LBB67_142:
	s_or_b32 exec_lo, exec_lo, s26
	v_xad_u32 v79, v114, -1, s30
	s_mov_b32 s27, 0
	s_mov_b32 s26, exec_lo
	s_delay_alu instid0(VALU_DEP_1)
	v_add_nc_u32_e32 v80, 32, v79
	global_load_u8 v91, v80, s[40:41] glc
	s_waitcnt vmcnt(0)
	v_cmpx_eq_u16_e32 0, v91
	s_cbranch_execz .LBB67_148
; %bb.143:
	v_add_co_u32 v82, s31, s40, v80
	s_delay_alu instid0(VALU_DEP_1)
	v_add_co_ci_u32_e64 v83, null, s41, 0, s31
	s_mov_b32 s31, 1
.LBB67_144:                             ; =>This Loop Header: Depth=1
                                        ;     Child Loop BB67_145 Depth 2
	s_delay_alu instid0(SALU_CYCLE_1)
	s_max_u32 s33, s31, 1
.LBB67_145:                             ;   Parent Loop BB67_144 Depth=1
                                        ; =>  This Inner Loop Header: Depth=2
	s_delay_alu instid0(SALU_CYCLE_1)
	s_add_i32 s33, s33, -1
	s_sleep 1
	s_cmp_eq_u32 s33, 0
	s_cbranch_scc0 .LBB67_145
; %bb.146:                              ;   in Loop: Header=BB67_144 Depth=1
	global_load_u8 v91, v[82:83], off glc
	s_cmp_lt_u32 s31, 32
	s_cselect_b32 s33, -1, 0
	s_delay_alu instid0(SALU_CYCLE_1) | instskip(SKIP_4) | instid1(SALU_CYCLE_1)
	s_cmp_lg_u32 s33, 0
	s_addc_u32 s31, s31, 0
	s_waitcnt vmcnt(0)
	v_cmp_ne_u16_e32 vcc_lo, 0, v91
	s_or_b32 s27, vcc_lo, s27
	s_and_not1_b32 exec_lo, exec_lo, s27
	s_cbranch_execnz .LBB67_144
; %bb.147:
	s_or_b32 exec_lo, exec_lo, s27
.LBB67_148:
	s_delay_alu instid0(SALU_CYCLE_1)
	s_or_b32 exec_lo, exec_lo, s26
	v_dual_mov_b32 v82, s37 :: v_dual_mov_b32 v83, s36
	v_cmp_eq_u16_e32 vcc_lo, 1, v91
	v_lshlrev_b64 v[80:81], 4, v[80:81]
	s_waitcnt lgkmcnt(0)
	s_waitcnt_vscnt null, 0x0
	buffer_gl1_inv
	buffer_gl0_inv
	v_lshlrev_b32_e64 v93, v114, -1
	s_mov_b32 s26, exec_lo
	v_cndmask_b32_e32 v83, s38, v83, vcc_lo
	v_cndmask_b32_e32 v82, s39, v82, vcc_lo
	s_delay_alu instid0(VALU_DEP_2) | instskip(NEXT) | instid1(VALU_DEP_2)
	v_add_co_u32 v80, vcc_lo, v83, v80
	v_add_co_ci_u32_e32 v81, vcc_lo, v82, v81, vcc_lo
	v_cmp_ne_u32_e32 vcc_lo, 31, v114
	s_clause 0x1
	global_load_b32 v85, v[80:81], off
	global_load_b64 v[83:84], v[80:81], off offset:8
	v_add_co_ci_u32_e32 v80, vcc_lo, 0, v114, vcc_lo
	v_cmp_eq_u16_e32 vcc_lo, 2, v91
	s_delay_alu instid0(VALU_DEP_2) | instskip(SKIP_1) | instid1(VALU_DEP_1)
	v_lshlrev_b32_e32 v92, 2, v80
	v_and_or_b32 v82, vcc_lo, v93, 0x80000000
	v_ctz_i32_b32_e32 v82, v82
	s_waitcnt vmcnt(1)
	ds_bpermute_b32 v86, v92, v85
	s_waitcnt vmcnt(0)
	ds_bpermute_b32 v80, v92, v83
	ds_bpermute_b32 v81, v92, v84
	v_cmpx_lt_u32_e64 v114, v82
	s_cbranch_execz .LBB67_150
; %bb.149:
	s_waitcnt lgkmcnt(0)
	v_add_f64 v[80:81], v[83:84], v[80:81]
	v_cmp_eq_u32_e32 vcc_lo, 0, v85
	v_add_nc_u32_e32 v85, v86, v85
	s_delay_alu instid0(VALU_DEP_3)
	v_dual_cndmask_b32 v84, v84, v81 :: v_dual_cndmask_b32 v83, v83, v80
.LBB67_150:
	s_or_b32 exec_lo, exec_lo, s26
	v_cmp_gt_u32_e32 vcc_lo, 30, v114
	v_add_nc_u32_e32 v95, 2, v114
	s_mov_b32 s26, exec_lo
	s_waitcnt lgkmcnt(1)
	v_cndmask_b32_e64 v80, 0, 1, vcc_lo
	s_delay_alu instid0(VALU_DEP_1) | instskip(NEXT) | instid1(VALU_DEP_1)
	v_lshlrev_b32_e32 v80, 1, v80
	v_add_lshl_u32 v94, v80, v114, 2
	ds_bpermute_b32 v86, v94, v85
	ds_bpermute_b32 v80, v94, v83
	s_waitcnt lgkmcnt(2)
	ds_bpermute_b32 v81, v94, v84
	v_cmpx_le_u32_e64 v95, v82
	s_cbranch_execz .LBB67_152
; %bb.151:
	s_waitcnt lgkmcnt(0)
	v_add_f64 v[80:81], v[83:84], v[80:81]
	v_cmp_eq_u32_e32 vcc_lo, 0, v85
	v_add_nc_u32_e32 v85, v86, v85
	s_delay_alu instid0(VALU_DEP_3)
	v_dual_cndmask_b32 v84, v84, v81 :: v_dual_cndmask_b32 v83, v83, v80
.LBB67_152:
	s_or_b32 exec_lo, exec_lo, s26
	v_cmp_gt_u32_e32 vcc_lo, 28, v114
	v_add_nc_u32_e32 v97, 4, v114
	s_mov_b32 s26, exec_lo
	s_waitcnt lgkmcnt(1)
	v_cndmask_b32_e64 v80, 0, 1, vcc_lo
	s_delay_alu instid0(VALU_DEP_1) | instskip(NEXT) | instid1(VALU_DEP_1)
	v_lshlrev_b32_e32 v80, 2, v80
	v_add_lshl_u32 v96, v80, v114, 2
	ds_bpermute_b32 v86, v96, v85
	ds_bpermute_b32 v80, v96, v83
	s_waitcnt lgkmcnt(2)
	ds_bpermute_b32 v81, v96, v84
	v_cmpx_le_u32_e64 v97, v82
	s_cbranch_execz .LBB67_154
; %bb.153:
	s_waitcnt lgkmcnt(0)
	v_add_f64 v[80:81], v[83:84], v[80:81]
	v_cmp_eq_u32_e32 vcc_lo, 0, v85
	v_add_nc_u32_e32 v85, v86, v85
	s_delay_alu instid0(VALU_DEP_3)
	v_dual_cndmask_b32 v84, v84, v81 :: v_dual_cndmask_b32 v83, v83, v80
.LBB67_154:
	s_or_b32 exec_lo, exec_lo, s26
	v_cmp_gt_u32_e32 vcc_lo, 24, v114
	v_add_nc_u32_e32 v99, 8, v114
	s_mov_b32 s26, exec_lo
	s_waitcnt lgkmcnt(1)
	v_cndmask_b32_e64 v80, 0, 1, vcc_lo
	s_delay_alu instid0(VALU_DEP_1) | instskip(NEXT) | instid1(VALU_DEP_1)
	v_lshlrev_b32_e32 v80, 3, v80
	v_add_lshl_u32 v98, v80, v114, 2
	ds_bpermute_b32 v86, v98, v85
	ds_bpermute_b32 v80, v98, v83
	s_waitcnt lgkmcnt(2)
	ds_bpermute_b32 v81, v98, v84
	v_cmpx_le_u32_e64 v99, v82
	s_cbranch_execz .LBB67_156
; %bb.155:
	s_waitcnt lgkmcnt(0)
	v_add_f64 v[80:81], v[83:84], v[80:81]
	v_cmp_eq_u32_e32 vcc_lo, 0, v85
	v_add_nc_u32_e32 v85, v86, v85
	s_delay_alu instid0(VALU_DEP_3)
	v_dual_cndmask_b32 v84, v84, v81 :: v_dual_cndmask_b32 v83, v83, v80
.LBB67_156:
	s_or_b32 exec_lo, exec_lo, s26
	v_cmp_gt_u32_e32 vcc_lo, 16, v114
	v_add_nc_u32_e32 v102, 16, v114
	s_mov_b32 s26, exec_lo
	s_waitcnt lgkmcnt(1)
	v_cndmask_b32_e64 v80, 0, 1, vcc_lo
	s_delay_alu instid0(VALU_DEP_1) | instskip(NEXT) | instid1(VALU_DEP_1)
	v_lshlrev_b32_e32 v80, 4, v80
	v_add_lshl_u32 v101, v80, v114, 2
	ds_bpermute_b32 v86, v101, v85
	ds_bpermute_b32 v80, v101, v83
	s_waitcnt lgkmcnt(2)
	ds_bpermute_b32 v81, v101, v84
	v_cmpx_le_u32_e64 v102, v82
	s_cbranch_execz .LBB67_158
; %bb.157:
	s_waitcnt lgkmcnt(0)
	v_add_f64 v[80:81], v[83:84], v[80:81]
	v_cmp_eq_u32_e32 vcc_lo, 0, v85
	v_add_nc_u32_e32 v85, v86, v85
	s_delay_alu instid0(VALU_DEP_3)
	v_dual_cndmask_b32 v84, v84, v81 :: v_dual_cndmask_b32 v83, v83, v80
.LBB67_158:
	s_or_b32 exec_lo, exec_lo, s26
	s_waitcnt lgkmcnt(1)
	v_mov_b32_e32 v80, 0
	s_branch .LBB67_160
.LBB67_159:                             ;   in Loop: Header=BB67_160 Depth=1
	s_or_b32 exec_lo, exec_lo, s26
	s_delay_alu instid0(VALU_DEP_1) | instskip(SKIP_4) | instid1(VALU_DEP_4)
	v_add_f64 v[83:84], v[81:82], v[83:84]
	v_cmp_eq_u32_e32 vcc_lo, 0, v100
	v_subrev_nc_u32_e32 v79, 32, v79
	s_waitcnt lgkmcnt(1)
	v_add_nc_u32_e32 v85, v103, v100
	v_dual_cndmask_b32 v84, v82, v84 :: v_dual_cndmask_b32 v83, v81, v83
.LBB67_160:                             ; =>This Loop Header: Depth=1
                                        ;     Child Loop BB67_163 Depth 2
                                        ;       Child Loop BB67_164 Depth 3
	s_waitcnt lgkmcnt(0)
	s_delay_alu instid0(VALU_DEP_2) | instskip(NEXT) | instid1(VALU_DEP_1)
	v_dual_mov_b32 v100, v85 :: v_dual_and_b32 v81, 0xff, v91
	v_cmp_ne_u16_e32 vcc_lo, 2, v81
	v_cndmask_b32_e64 v81, 0, 1, vcc_lo
	;;#ASMSTART
	;;#ASMEND
	s_delay_alu instid0(VALU_DEP_1)
	v_cmp_ne_u32_e32 vcc_lo, 0, v81
	v_dual_mov_b32 v81, v83 :: v_dual_mov_b32 v82, v84
	s_cmp_lg_u32 vcc_lo, exec_lo
	s_cbranch_scc1 .LBB67_177
; %bb.161:                              ;   in Loop: Header=BB67_160 Depth=1
	global_load_u8 v91, v79, s[40:41] glc
	s_mov_b32 s26, exec_lo
	s_waitcnt vmcnt(0)
	v_cmpx_eq_u16_e32 0, v91
	s_cbranch_execz .LBB67_167
; %bb.162:                              ;   in Loop: Header=BB67_160 Depth=1
	v_add_co_u32 v83, s27, s40, v79
	s_delay_alu instid0(VALU_DEP_1)
	v_add_co_ci_u32_e64 v84, null, s41, 0, s27
	s_mov_b32 s31, 1
	s_mov_b32 s27, 0
.LBB67_163:                             ;   Parent Loop BB67_160 Depth=1
                                        ; =>  This Loop Header: Depth=2
                                        ;       Child Loop BB67_164 Depth 3
	s_max_u32 s33, s31, 1
.LBB67_164:                             ;   Parent Loop BB67_160 Depth=1
                                        ;     Parent Loop BB67_163 Depth=2
                                        ; =>    This Inner Loop Header: Depth=3
	s_delay_alu instid0(SALU_CYCLE_1)
	s_add_i32 s33, s33, -1
	s_sleep 1
	s_cmp_eq_u32 s33, 0
	s_cbranch_scc0 .LBB67_164
; %bb.165:                              ;   in Loop: Header=BB67_163 Depth=2
	global_load_u8 v91, v[83:84], off glc
	s_cmp_lt_u32 s31, 32
	s_cselect_b32 s33, -1, 0
	s_delay_alu instid0(SALU_CYCLE_1) | instskip(SKIP_4) | instid1(SALU_CYCLE_1)
	s_cmp_lg_u32 s33, 0
	s_addc_u32 s31, s31, 0
	s_waitcnt vmcnt(0)
	v_cmp_ne_u16_e32 vcc_lo, 0, v91
	s_or_b32 s27, vcc_lo, s27
	s_and_not1_b32 exec_lo, exec_lo, s27
	s_cbranch_execnz .LBB67_163
; %bb.166:                              ;   in Loop: Header=BB67_160 Depth=1
	s_or_b32 exec_lo, exec_lo, s27
.LBB67_167:                             ;   in Loop: Header=BB67_160 Depth=1
	s_delay_alu instid0(SALU_CYCLE_1)
	s_or_b32 exec_lo, exec_lo, s26
	v_dual_mov_b32 v85, s37 :: v_dual_mov_b32 v86, s36
	v_cmp_eq_u16_e32 vcc_lo, 1, v91
	v_lshlrev_b64 v[83:84], 4, v[79:80]
	buffer_gl1_inv
	buffer_gl0_inv
	s_mov_b32 s26, exec_lo
	v_cndmask_b32_e32 v86, s38, v86, vcc_lo
	v_cndmask_b32_e32 v85, s39, v85, vcc_lo
	s_delay_alu instid0(VALU_DEP_2) | instskip(NEXT) | instid1(VALU_DEP_2)
	v_add_co_u32 v83, vcc_lo, v86, v83
	v_add_co_ci_u32_e32 v84, vcc_lo, v85, v84, vcc_lo
	v_cmp_eq_u16_e32 vcc_lo, 2, v91
	s_clause 0x1
	global_load_b32 v103, v[83:84], off
	global_load_b64 v[83:84], v[83:84], off offset:8
	v_and_or_b32 v104, vcc_lo, v93, 0x80000000
	s_delay_alu instid0(VALU_DEP_1)
	v_ctz_i32_b32_e32 v104, v104
	s_waitcnt vmcnt(1)
	ds_bpermute_b32 v105, v92, v103
	s_waitcnt vmcnt(0)
	ds_bpermute_b32 v85, v92, v83
	ds_bpermute_b32 v86, v92, v84
	v_cmpx_lt_u32_e64 v114, v104
	s_cbranch_execz .LBB67_169
; %bb.168:                              ;   in Loop: Header=BB67_160 Depth=1
	s_waitcnt lgkmcnt(0)
	v_add_f64 v[85:86], v[83:84], v[85:86]
	v_cmp_eq_u32_e32 vcc_lo, 0, v103
	s_delay_alu instid0(VALU_DEP_2) | instskip(NEXT) | instid1(VALU_DEP_3)
	v_dual_cndmask_b32 v84, v84, v86 :: v_dual_add_nc_u32 v103, v105, v103
	v_cndmask_b32_e32 v83, v83, v85, vcc_lo
.LBB67_169:                             ;   in Loop: Header=BB67_160 Depth=1
	s_or_b32 exec_lo, exec_lo, s26
	s_waitcnt lgkmcnt(2)
	ds_bpermute_b32 v105, v94, v103
	s_waitcnt lgkmcnt(2)
	ds_bpermute_b32 v85, v94, v83
	s_waitcnt lgkmcnt(2)
	ds_bpermute_b32 v86, v94, v84
	s_mov_b32 s26, exec_lo
	v_cmpx_le_u32_e64 v95, v104
	s_cbranch_execz .LBB67_171
; %bb.170:                              ;   in Loop: Header=BB67_160 Depth=1
	s_waitcnt lgkmcnt(0)
	v_add_f64 v[85:86], v[83:84], v[85:86]
	v_cmp_eq_u32_e32 vcc_lo, 0, v103
	s_delay_alu instid0(VALU_DEP_2) | instskip(NEXT) | instid1(VALU_DEP_3)
	v_dual_cndmask_b32 v84, v84, v86 :: v_dual_add_nc_u32 v103, v105, v103
	v_cndmask_b32_e32 v83, v83, v85, vcc_lo
.LBB67_171:                             ;   in Loop: Header=BB67_160 Depth=1
	s_or_b32 exec_lo, exec_lo, s26
	s_waitcnt lgkmcnt(2)
	ds_bpermute_b32 v105, v96, v103
	s_waitcnt lgkmcnt(2)
	ds_bpermute_b32 v85, v96, v83
	s_waitcnt lgkmcnt(2)
	ds_bpermute_b32 v86, v96, v84
	s_mov_b32 s26, exec_lo
	v_cmpx_le_u32_e64 v97, v104
	;; [unrolled: 18-line block ×4, first 2 shown]
	s_cbranch_execz .LBB67_159
; %bb.176:                              ;   in Loop: Header=BB67_160 Depth=1
	s_waitcnt lgkmcnt(0)
	v_add_f64 v[85:86], v[83:84], v[85:86]
	v_cmp_eq_u32_e32 vcc_lo, 0, v103
	s_delay_alu instid0(VALU_DEP_2) | instskip(NEXT) | instid1(VALU_DEP_3)
	v_dual_cndmask_b32 v84, v84, v86 :: v_dual_add_nc_u32 v103, v105, v103
	v_cndmask_b32_e32 v83, v83, v85, vcc_lo
	s_branch .LBB67_159
.LBB67_177:                             ;   in Loop: Header=BB67_160 Depth=1
                                        ; implicit-def: $vgpr83_vgpr84
                                        ; implicit-def: $vgpr85
                                        ; implicit-def: $vgpr91
	s_cbranch_execz .LBB67_160
; %bb.178:
	s_and_saveexec_b32 s26, s14
	s_cbranch_execz .LBB67_180
; %bb.179:
	v_add_f64 v[79:80], v[77:78], v[81:82]
	v_cmp_eq_u32_e32 vcc_lo, 0, v90
	s_mov_b32 s31, 0
	s_add_i32 s30, s30, 32
	v_dual_mov_b32 v84, 0 :: v_dual_add_nc_u32 v83, v100, v90
	s_waitcnt lgkmcnt(0)
	v_dual_mov_b32 v85, 2 :: v_dual_mov_b32 v86, s30
	s_lshl_b64 s[34:35], s[30:31], 4
	s_delay_alu instid0(SALU_CYCLE_1) | instskip(SKIP_1) | instid1(VALU_DEP_4)
	s_add_u32 s30, s38, s34
	s_addc_u32 s31, s39, s35
	v_dual_cndmask_b32 v80, v78, v80 :: v_dual_cndmask_b32 v79, v77, v79
	s_clause 0x1
	global_store_b32 v84, v83, s[30:31]
	global_store_b64 v84, v[79:80], s[30:31] offset:8
	s_waitcnt_vscnt null, 0x0
	buffer_gl1_inv
	buffer_gl0_inv
	global_store_b8 v86, v85, s[40:41]
	ds_store_b32 v84, v90 offset:4096
	ds_store_b64 v84, v[77:78] offset:4104
	ds_store_b32 v84, v100 offset:4112
	ds_store_b64 v84, v[81:82] offset:4120
.LBB67_180:
	s_or_b32 exec_lo, exec_lo, s26
	s_delay_alu instid0(SALU_CYCLE_1)
	s_and_b32 exec_lo, exec_lo, s2
	s_cbranch_execz .LBB67_182
; %bb.181:
	v_mov_b32_e32 v77, 0
	ds_store_b32 v77, v100 offset:4240
	ds_store_b64 v77, v[81:82] offset:4248
.LBB67_182:
	s_or_b32 exec_lo, exec_lo, s16
	v_mov_b32_e32 v113, 0
	s_waitcnt lgkmcnt(0)
	s_waitcnt_vscnt null, 0x0
	s_barrier
	buffer_gl0_inv
	v_cndmask_b32_e64 v76, v89, v76, s14
	ds_load_b64 v[77:78], v113 offset:4248
	v_cndmask_b32_e64 v75, v88, v75, s14
	v_cndmask_b32_e64 v118, v87, v59, s14
	s_delay_alu instid0(VALU_DEP_1) | instskip(SKIP_1) | instid1(VALU_DEP_3)
	v_cmp_eq_u32_e32 vcc_lo, 0, v118
	s_waitcnt lgkmcnt(0)
	v_add_f64 v[79:80], v[75:76], v[77:78]
	s_delay_alu instid0(VALU_DEP_1) | instskip(NEXT) | instid1(VALU_DEP_2)
	v_cndmask_b32_e32 v59, v75, v79, vcc_lo
	v_cndmask_b32_e32 v75, v76, v80, vcc_lo
	v_cmp_eq_u32_e32 vcc_lo, 0, v71
	s_delay_alu instid0(VALU_DEP_3) | instskip(NEXT) | instid1(VALU_DEP_3)
	v_cndmask_b32_e64 v99, v59, v77, s2
	v_cndmask_b32_e64 v100, v75, v78, s2
	s_delay_alu instid0(VALU_DEP_1) | instskip(NEXT) | instid1(VALU_DEP_1)
	v_add_f64 v[75:76], v[53:54], v[99:100]
	v_dual_cndmask_b32 v102, v54, v76 :: v_dual_cndmask_b32 v101, v53, v75
	ds_load_b32 v78, v113 offset:4240
	s_waitcnt lgkmcnt(0)
	s_barrier
	buffer_gl0_inv
	v_add_f64 v[75:76], v[55:56], v[101:102]
	ds_load_b64 v[97:98], v113 offset:4120
	ds_load_b64 v[116:117], v113 offset:4104
	ds_load_b32 v77, v113 offset:4112
	ds_load_b32 v59, v113 offset:4096
	v_cndmask_b32_e64 v113, v118, 0, s2
	s_delay_alu instid0(VALU_DEP_1) | instskip(SKIP_4) | instid1(VALU_DEP_1)
	v_add_nc_u32_e32 v113, v78, v113
	s_waitcnt lgkmcnt(0)
	v_cmp_eq_u32_e32 vcc_lo, 0, v59
	v_cndmask_b32_e64 v106, v56, v76, s13
	v_cndmask_b32_e64 v105, v55, v75, s13
	v_add_f64 v[75:76], v[49:50], v[105:106]
	s_delay_alu instid0(VALU_DEP_1) | instskip(NEXT) | instid1(VALU_DEP_2)
	v_cndmask_b32_e64 v104, v50, v76, s12
	v_cndmask_b32_e64 v103, v49, v75, s12
	s_delay_alu instid0(VALU_DEP_1) | instskip(NEXT) | instid1(VALU_DEP_1)
	v_add_f64 v[75:76], v[51:52], v[103:104]
	v_cndmask_b32_e64 v88, v52, v76, s11
	s_delay_alu instid0(VALU_DEP_2) | instskip(NEXT) | instid1(VALU_DEP_1)
	v_cndmask_b32_e64 v87, v51, v75, s11
	v_add_f64 v[75:76], v[45:46], v[87:88]
	s_delay_alu instid0(VALU_DEP_1) | instskip(NEXT) | instid1(VALU_DEP_2)
	v_cndmask_b32_e64 v90, v46, v76, s10
	v_cndmask_b32_e64 v89, v45, v75, s10
	s_delay_alu instid0(VALU_DEP_1) | instskip(NEXT) | instid1(VALU_DEP_1)
	v_add_f64 v[75:76], v[47:48], v[89:90]
	v_cndmask_b32_e64 v92, v48, v76, s9
	s_delay_alu instid0(VALU_DEP_2) | instskip(NEXT) | instid1(VALU_DEP_1)
	;; [unrolled: 9-line block ×5, first 2 shown]
	v_cndmask_b32_e64 v85, v35, v75, s3
	v_add_f64 v[75:76], v[29:30], v[85:86]
	s_delay_alu instid0(VALU_DEP_1) | instskip(NEXT) | instid1(VALU_DEP_2)
	v_cndmask_b32_e64 v108, v30, v76, s1
	v_cndmask_b32_e64 v107, v29, v75, s1
	v_add_f64 v[75:76], v[97:98], v[116:117]
	s_delay_alu instid0(VALU_DEP_2) | instskip(NEXT) | instid1(VALU_DEP_2)
	v_add_f64 v[97:98], v[31:32], v[107:108]
	v_dual_cndmask_b32 v76, v117, v76 :: v_dual_cndmask_b32 v75, v116, v75
	s_delay_alu instid0(VALU_DEP_2) | instskip(NEXT) | instid1(VALU_DEP_3)
	v_cndmask_b32_e64 v98, v32, v98, s0
	v_cndmask_b32_e64 v97, v31, v97, s0
	s_branch .LBB67_211
.LBB67_183:
                                        ; implicit-def: $vgpr59
                                        ; implicit-def: $vgpr75_vgpr76
                                        ; implicit-def: $vgpr77
                                        ; implicit-def: $vgpr99_vgpr100
                                        ; implicit-def: $vgpr101_vgpr102
                                        ; implicit-def: $vgpr105_vgpr106
                                        ; implicit-def: $vgpr103_vgpr104
                                        ; implicit-def: $vgpr87_vgpr88
                                        ; implicit-def: $vgpr89_vgpr90
                                        ; implicit-def: $vgpr91_vgpr92
                                        ; implicit-def: $vgpr95_vgpr96
                                        ; implicit-def: $vgpr93_vgpr94
                                        ; implicit-def: $vgpr79_vgpr80
                                        ; implicit-def: $vgpr81_vgpr82
                                        ; implicit-def: $vgpr83_vgpr84
                                        ; implicit-def: $vgpr85_vgpr86
                                        ; implicit-def: $vgpr107_vgpr108
                                        ; implicit-def: $vgpr97_vgpr98
                                        ; implicit-def: $vgpr113
	s_cbranch_execz .LBB67_211
; %bb.184:
	s_and_b32 s0, s15, exec_lo
	v_dual_mov_b32 v78, v54 :: v_dual_mov_b32 v77, v53
	s_cselect_b32 s1, 0, s25
	s_cselect_b32 s0, 0, s24
	s_delay_alu instid0(SALU_CYCLE_1)
	s_cmp_eq_u64 s[0:1], 0
	s_cbranch_scc1 .LBB67_186
; %bb.185:
	v_mov_b32_e32 v59, 0
	global_load_b64 v[77:78], v59, s[0:1]
.LBB67_186:
	v_cmp_eq_u32_e32 vcc_lo, 0, v72
	v_cmp_eq_u32_e64 s0, 0, v69
	v_cmp_eq_u32_e64 s1, 0, v70
	v_cmp_eq_u32_e64 s3, 0, v67
	v_cmp_eq_u32_e64 s4, 0, v68
	s_waitcnt lgkmcnt(0)
	v_dual_cndmask_b32 v76, v56, v110 :: v_dual_cndmask_b32 v75, v55, v109
	v_cmp_eq_u32_e64 s5, 0, v65
	v_cmp_eq_u32_e64 s6, 0, v66
	;; [unrolled: 1-line block ×4, first 2 shown]
	v_add_f64 v[75:76], v[49:50], v[75:76]
	v_cmp_eq_u32_e64 s11, 0, v61
	v_cmp_eq_u32_e64 s12, 0, v62
	;; [unrolled: 1-line block ×4, first 2 shown]
	v_add3_u32 v59, v115, v68, v65
	v_cmp_eq_u32_e64 s13, 0, v111
	v_and_b32_e32 v79, 15, v114
	s_mov_b32 s14, exec_lo
	s_delay_alu instid0(VALU_DEP_3) | instskip(NEXT) | instid1(VALU_DEP_1)
	v_add3_u32 v59, v59, v66, v63
	v_add3_u32 v59, v59, v64, v61
	s_delay_alu instid0(VALU_DEP_1) | instskip(NEXT) | instid1(VALU_DEP_1)
	v_add3_u32 v59, v59, v62, v112
	v_add3_u32 v59, v59, v60, v111
	s_delay_alu instid0(VALU_DEP_1) | instskip(SKIP_2) | instid1(VALU_DEP_1)
	v_mov_b32_dpp v80, v59 row_shr:1 row_mask:0xf bank_mask:0xf
	v_cndmask_b32_e64 v76, v50, v76, s0
	v_cndmask_b32_e64 v75, v49, v75, s0
	v_add_f64 v[75:76], v[51:52], v[75:76]
	s_delay_alu instid0(VALU_DEP_1) | instskip(NEXT) | instid1(VALU_DEP_2)
	v_cndmask_b32_e64 v76, v52, v76, s1
	v_cndmask_b32_e64 v75, v51, v75, s1
	s_delay_alu instid0(VALU_DEP_1) | instskip(NEXT) | instid1(VALU_DEP_1)
	v_add_f64 v[75:76], v[45:46], v[75:76]
	v_cndmask_b32_e64 v76, v46, v76, s3
	s_delay_alu instid0(VALU_DEP_2) | instskip(NEXT) | instid1(VALU_DEP_1)
	v_cndmask_b32_e64 v75, v45, v75, s3
	v_add_f64 v[75:76], v[47:48], v[75:76]
	s_delay_alu instid0(VALU_DEP_1) | instskip(NEXT) | instid1(VALU_DEP_2)
	v_cndmask_b32_e64 v76, v48, v76, s4
	v_cndmask_b32_e64 v75, v47, v75, s4
	s_delay_alu instid0(VALU_DEP_1) | instskip(NEXT) | instid1(VALU_DEP_1)
	v_add_f64 v[75:76], v[41:42], v[75:76]
	v_cndmask_b32_e64 v76, v42, v76, s5
	s_delay_alu instid0(VALU_DEP_2) | instskip(NEXT) | instid1(VALU_DEP_1)
	;; [unrolled: 9-line block ×5, first 2 shown]
	v_cndmask_b32_e64 v75, v29, v75, s9
	v_add_f64 v[75:76], v[31:32], v[75:76]
	s_delay_alu instid0(VALU_DEP_1) | instskip(NEXT) | instid1(VALU_DEP_2)
	v_cndmask_b32_e64 v76, v32, v76, s8
	v_cndmask_b32_e64 v75, v31, v75, s8
	s_delay_alu instid0(VALU_DEP_1) | instskip(NEXT) | instid1(VALU_DEP_1)
	v_add_f64 v[75:76], v[73:74], v[75:76]
	v_cndmask_b32_e64 v74, v74, v76, s13
	s_delay_alu instid0(VALU_DEP_2) | instskip(NEXT) | instid1(VALU_DEP_2)
	v_cndmask_b32_e64 v73, v73, v75, s13
	v_mov_b32_dpp v76, v74 row_shr:1 row_mask:0xf bank_mask:0xf
	s_delay_alu instid0(VALU_DEP_2)
	v_mov_b32_dpp v75, v73 row_shr:1 row_mask:0xf bank_mask:0xf
	v_cmpx_ne_u32_e32 0, v79
; %bb.187:
	s_delay_alu instid0(VALU_DEP_2) | instskip(SKIP_2) | instid1(VALU_DEP_2)
	v_add_f64 v[75:76], v[73:74], v[75:76]
	v_cmp_eq_u32_e64 s13, 0, v59
	v_add_nc_u32_e32 v59, v80, v59
	v_cndmask_b32_e64 v74, v74, v76, s13
	s_delay_alu instid0(VALU_DEP_4)
	v_cndmask_b32_e64 v73, v73, v75, s13
; %bb.188:
	s_or_b32 exec_lo, exec_lo, s14
	s_delay_alu instid0(VALU_DEP_3) | instskip(NEXT) | instid1(VALU_DEP_2)
	v_mov_b32_dpp v80, v59 row_shr:2 row_mask:0xf bank_mask:0xf
	v_mov_b32_dpp v75, v73 row_shr:2 row_mask:0xf bank_mask:0xf
	v_mov_b32_dpp v76, v74 row_shr:2 row_mask:0xf bank_mask:0xf
	s_mov_b32 s14, exec_lo
	v_cmpx_lt_u32_e32 1, v79
; %bb.189:
	s_delay_alu instid0(VALU_DEP_2) | instskip(SKIP_2) | instid1(VALU_DEP_2)
	v_add_f64 v[75:76], v[73:74], v[75:76]
	v_cmp_eq_u32_e64 s13, 0, v59
	v_add_nc_u32_e32 v59, v80, v59
	v_cndmask_b32_e64 v74, v74, v76, s13
	s_delay_alu instid0(VALU_DEP_4)
	v_cndmask_b32_e64 v73, v73, v75, s13
; %bb.190:
	s_or_b32 exec_lo, exec_lo, s14
	s_delay_alu instid0(VALU_DEP_3) | instskip(NEXT) | instid1(VALU_DEP_2)
	v_mov_b32_dpp v80, v59 row_shr:4 row_mask:0xf bank_mask:0xf
	v_mov_b32_dpp v75, v73 row_shr:4 row_mask:0xf bank_mask:0xf
	v_mov_b32_dpp v76, v74 row_shr:4 row_mask:0xf bank_mask:0xf
	s_mov_b32 s14, exec_lo
	v_cmpx_lt_u32_e32 3, v79
	;; [unrolled: 16-line block ×3, first 2 shown]
; %bb.193:
	s_delay_alu instid0(VALU_DEP_2) | instskip(SKIP_2) | instid1(VALU_DEP_2)
	v_add_f64 v[75:76], v[73:74], v[75:76]
	v_cmp_eq_u32_e64 s13, 0, v59
	v_add_nc_u32_e32 v59, v80, v59
	v_cndmask_b32_e64 v74, v74, v76, s13
	s_delay_alu instid0(VALU_DEP_4)
	v_cndmask_b32_e64 v73, v73, v75, s13
; %bb.194:
	s_or_b32 exec_lo, exec_lo, s14
	ds_swizzle_b32 v79, v59 offset:swizzle(BROADCAST,32,15)
	ds_swizzle_b32 v75, v73 offset:swizzle(BROADCAST,32,15)
	;; [unrolled: 1-line block ×3, first 2 shown]
	v_and_b32_e32 v80, 16, v114
	s_mov_b32 s14, exec_lo
	s_delay_alu instid0(VALU_DEP_1)
	v_cmpx_ne_u32_e32 0, v80
	s_cbranch_execz .LBB67_196
; %bb.195:
	s_waitcnt lgkmcnt(0)
	v_add_f64 v[75:76], v[73:74], v[75:76]
	v_cmp_eq_u32_e64 s13, 0, v59
	v_add_nc_u32_e32 v59, v79, v59
	s_delay_alu instid0(VALU_DEP_2) | instskip(NEXT) | instid1(VALU_DEP_4)
	v_cndmask_b32_e64 v74, v74, v76, s13
	v_cndmask_b32_e64 v73, v73, v75, s13
.LBB67_196:
	s_or_b32 exec_lo, exec_lo, s14
	s_waitcnt lgkmcnt(1)
	v_or_b32_e32 v75, 31, v0
	v_lshrrev_b32_e32 v81, 5, v0
	s_mov_b32 s14, exec_lo
	s_delay_alu instid0(VALU_DEP_2)
	v_cmpx_eq_u32_e64 v75, v0
	s_cbranch_execz .LBB67_198
; %bb.197:
	s_delay_alu instid0(VALU_DEP_2)
	v_lshlrev_b32_e32 v75, 4, v81
	ds_store_b32 v75, v59 offset:4128
	ds_store_b64 v75, v[73:74] offset:4136
.LBB67_198:
	s_or_b32 exec_lo, exec_lo, s14
	s_delay_alu instid0(SALU_CYCLE_1)
	s_mov_b32 s14, exec_lo
	s_waitcnt vmcnt(0) lgkmcnt(0)
	s_barrier
	buffer_gl0_inv
	v_cmpx_gt_u32_e32 8, v0
	s_cbranch_execz .LBB67_206
; %bb.199:
	v_lshlrev_b32_e32 v82, 4, v0
	v_and_b32_e32 v84, 7, v114
	s_mov_b32 s16, exec_lo
	ds_load_b32 v83, v82 offset:4128
	ds_load_b64 v[75:76], v82 offset:4136
	s_waitcnt lgkmcnt(1)
	v_mov_b32_dpp v85, v83 row_shr:1 row_mask:0xf bank_mask:0xf
	s_waitcnt lgkmcnt(0)
	v_mov_b32_dpp v79, v75 row_shr:1 row_mask:0xf bank_mask:0xf
	v_mov_b32_dpp v80, v76 row_shr:1 row_mask:0xf bank_mask:0xf
	v_cmpx_ne_u32_e32 0, v84
; %bb.200:
	s_delay_alu instid0(VALU_DEP_2) | instskip(SKIP_2) | instid1(VALU_DEP_2)
	v_add_f64 v[79:80], v[75:76], v[79:80]
	v_cmp_eq_u32_e64 s13, 0, v83
	v_add_nc_u32_e32 v83, v85, v83
	v_cndmask_b32_e64 v76, v76, v80, s13
	s_delay_alu instid0(VALU_DEP_4)
	v_cndmask_b32_e64 v75, v75, v79, s13
; %bb.201:
	s_or_b32 exec_lo, exec_lo, s16
	s_delay_alu instid0(VALU_DEP_3) | instskip(NEXT) | instid1(VALU_DEP_2)
	v_mov_b32_dpp v85, v83 row_shr:2 row_mask:0xf bank_mask:0xf
	v_mov_b32_dpp v79, v75 row_shr:2 row_mask:0xf bank_mask:0xf
	;; [unrolled: 1-line block ×3, first 2 shown]
	s_mov_b32 s16, exec_lo
	v_cmpx_lt_u32_e32 1, v84
; %bb.202:
	s_delay_alu instid0(VALU_DEP_2) | instskip(SKIP_2) | instid1(VALU_DEP_2)
	v_add_f64 v[79:80], v[75:76], v[79:80]
	v_cmp_eq_u32_e64 s13, 0, v83
	v_add_nc_u32_e32 v83, v85, v83
	v_cndmask_b32_e64 v76, v76, v80, s13
	s_delay_alu instid0(VALU_DEP_4)
	v_cndmask_b32_e64 v75, v75, v79, s13
; %bb.203:
	s_or_b32 exec_lo, exec_lo, s16
	s_delay_alu instid0(VALU_DEP_3) | instskip(NEXT) | instid1(VALU_DEP_2)
	v_mov_b32_dpp v85, v83 row_shr:4 row_mask:0xf bank_mask:0xf
	v_mov_b32_dpp v79, v75 row_shr:4 row_mask:0xf bank_mask:0xf
	;; [unrolled: 1-line block ×3, first 2 shown]
	s_mov_b32 s16, exec_lo
	v_cmpx_lt_u32_e32 3, v84
; %bb.204:
	s_delay_alu instid0(VALU_DEP_2) | instskip(SKIP_2) | instid1(VALU_DEP_2)
	v_add_f64 v[79:80], v[75:76], v[79:80]
	v_cmp_eq_u32_e64 s13, 0, v83
	v_add_nc_u32_e32 v83, v85, v83
	v_cndmask_b32_e64 v76, v76, v80, s13
	s_delay_alu instid0(VALU_DEP_4)
	v_cndmask_b32_e64 v75, v75, v79, s13
; %bb.205:
	s_or_b32 exec_lo, exec_lo, s16
	ds_store_b32 v82, v83 offset:4128
	ds_store_b64 v82, v[75:76] offset:4136
.LBB67_206:
	s_or_b32 exec_lo, exec_lo, s14
	v_mov_b32_e32 v75, v77
	v_dual_mov_b32 v97, 0 :: v_dual_mov_b32 v76, v78
	v_mov_b32_e32 v79, 0
	s_mov_b32 s14, exec_lo
	s_waitcnt lgkmcnt(0)
	s_barrier
	buffer_gl0_inv
	v_cmpx_lt_u32_e32 31, v0
	s_cbranch_execz .LBB67_208
; %bb.207:
	v_lshlrev_b32_e32 v79, 4, v81
	ds_load_b64 v[75:76], v79 offset:4120
	ds_load_b32 v79, v79 offset:4112
	s_waitcnt lgkmcnt(1)
	v_add_f64 v[80:81], v[77:78], v[75:76]
	s_waitcnt lgkmcnt(0)
	v_cmp_eq_u32_e64 s13, 0, v79
	s_delay_alu instid0(VALU_DEP_1) | instskip(NEXT) | instid1(VALU_DEP_3)
	v_cndmask_b32_e64 v76, v76, v81, s13
	v_cndmask_b32_e64 v75, v75, v80, s13
.LBB67_208:
	s_or_b32 exec_lo, exec_lo, s14
	s_delay_alu instid0(VALU_DEP_1) | instskip(SKIP_1) | instid1(VALU_DEP_1)
	v_add_f64 v[80:81], v[73:74], v[75:76]
	v_add_nc_u32_e32 v82, -1, v114
	v_cmp_gt_i32_e64 s13, 0, v82
	s_delay_alu instid0(VALU_DEP_1) | instskip(SKIP_2) | instid1(VALU_DEP_3)
	v_cndmask_b32_e64 v82, v82, v114, s13
	v_cmp_eq_u32_e64 s13, 0, v59
	v_add_nc_u32_e32 v59, v79, v59
	v_lshlrev_b32_e32 v82, 2, v82
	ds_bpermute_b32 v59, v82, v59
	v_cndmask_b32_e64 v74, v74, v81, s13
	v_cndmask_b32_e64 v73, v73, v80, s13
	v_cmp_eq_u32_e64 s13, 0, v114
	ds_bpermute_b32 v74, v82, v74
	ds_bpermute_b32 v73, v82, v73
	s_waitcnt lgkmcnt(2)
	v_cndmask_b32_e64 v113, v59, v79, s13
	ds_load_b32 v59, v97 offset:4240
	s_waitcnt lgkmcnt(2)
	v_cndmask_b32_e64 v100, v74, v76, s13
	s_waitcnt lgkmcnt(1)
	v_cndmask_b32_e64 v99, v73, v75, s13
	v_cmp_eq_u32_e64 s13, 0, v71
	s_delay_alu instid0(VALU_DEP_3) | instskip(NEXT) | instid1(VALU_DEP_3)
	v_cndmask_b32_e64 v74, v100, v78, s2
	v_cndmask_b32_e64 v73, v99, v77, s2
	s_delay_alu instid0(VALU_DEP_1) | instskip(NEXT) | instid1(VALU_DEP_1)
	v_add_f64 v[73:74], v[53:54], v[73:74]
	v_cndmask_b32_e64 v102, v54, v74, s13
	s_delay_alu instid0(VALU_DEP_2) | instskip(NEXT) | instid1(VALU_DEP_1)
	v_cndmask_b32_e64 v101, v53, v73, s13
	v_add_f64 v[53:54], v[55:56], v[101:102]
	s_delay_alu instid0(VALU_DEP_1) | instskip(SKIP_2) | instid1(VALU_DEP_2)
	v_dual_cndmask_b32 v106, v56, v54 :: v_dual_cndmask_b32 v105, v55, v53
	s_waitcnt lgkmcnt(0)
	v_cmp_eq_u32_e32 vcc_lo, 0, v59
	v_add_f64 v[53:54], v[49:50], v[105:106]
	s_delay_alu instid0(VALU_DEP_1) | instskip(NEXT) | instid1(VALU_DEP_2)
	v_cndmask_b32_e64 v104, v50, v54, s0
	v_cndmask_b32_e64 v103, v49, v53, s0
	s_delay_alu instid0(VALU_DEP_1) | instskip(NEXT) | instid1(VALU_DEP_1)
	v_add_f64 v[49:50], v[51:52], v[103:104]
	v_cndmask_b32_e64 v88, v52, v50, s1
	s_delay_alu instid0(VALU_DEP_2) | instskip(NEXT) | instid1(VALU_DEP_1)
	v_cndmask_b32_e64 v87, v51, v49, s1
	v_add_f64 v[49:50], v[45:46], v[87:88]
	s_delay_alu instid0(VALU_DEP_1) | instskip(NEXT) | instid1(VALU_DEP_2)
	v_cndmask_b32_e64 v90, v46, v50, s3
	v_cndmask_b32_e64 v89, v45, v49, s3
	s_delay_alu instid0(VALU_DEP_1) | instskip(NEXT) | instid1(VALU_DEP_1)
	v_add_f64 v[45:46], v[47:48], v[89:90]
	v_cndmask_b32_e64 v92, v48, v46, s4
	s_delay_alu instid0(VALU_DEP_2) | instskip(NEXT) | instid1(VALU_DEP_1)
	v_cndmask_b32_e64 v91, v47, v45, s4
	;; [unrolled: 9-line block ×4, first 2 shown]
	v_add_f64 v[37:38], v[33:34], v[81:82]
	s_delay_alu instid0(VALU_DEP_1) | instskip(NEXT) | instid1(VALU_DEP_2)
	v_cndmask_b32_e64 v84, v34, v38, s11
	v_cndmask_b32_e64 v83, v33, v37, s11
	s_delay_alu instid0(VALU_DEP_1) | instskip(NEXT) | instid1(VALU_DEP_1)
	v_add_f64 v[33:34], v[35:36], v[83:84]
	v_cndmask_b32_e64 v86, v36, v34, s12
	s_delay_alu instid0(VALU_DEP_2) | instskip(SKIP_2) | instid1(VALU_DEP_1)
	v_cndmask_b32_e64 v85, v35, v33, s12
	ds_load_b64 v[35:36], v97 offset:4248
	v_add_f64 v[33:34], v[29:30], v[85:86]
	v_cndmask_b32_e64 v108, v30, v34, s9
	s_delay_alu instid0(VALU_DEP_2) | instskip(SKIP_2) | instid1(VALU_DEP_2)
	v_cndmask_b32_e64 v107, v29, v33, s9
	s_waitcnt lgkmcnt(0)
	v_add_f64 v[29:30], v[77:78], v[35:36]
	v_add_f64 v[33:34], v[31:32], v[107:108]
	s_delay_alu instid0(VALU_DEP_2) | instskip(NEXT) | instid1(VALU_DEP_2)
	v_dual_cndmask_b32 v76, v36, v30 :: v_dual_cndmask_b32 v75, v35, v29
	v_cndmask_b32_e64 v98, v32, v34, s8
	s_delay_alu instid0(VALU_DEP_3)
	v_cndmask_b32_e64 v97, v31, v33, s8
	s_and_saveexec_b32 s0, s2
	s_cbranch_execz .LBB67_210
; %bb.209:
	v_dual_mov_b32 v113, 0 :: v_dual_mov_b32 v100, v78
	v_mov_b32_e32 v29, 2
	v_mov_b32_e32 v99, v77
	s_clause 0x1
	global_store_b32 v113, v59, s[38:39] offset:512
	global_store_b64 v113, v[75:76], s[38:39] offset:520
	s_waitcnt_vscnt null, 0x0
	buffer_gl1_inv
	buffer_gl0_inv
	global_store_b8 v113, v29, s[40:41] offset:32
.LBB67_210:
	s_or_b32 exec_lo, exec_lo, s0
	v_mov_b32_e32 v77, 0
.LBB67_211:
	v_mov_b32_e32 v29, 0
	s_and_b32 s0, s15, exec_lo
	v_mov_b32_e32 v30, 0
	s_cselect_b32 s1, 0, s51
	s_cselect_b32 s0, 0, s50
	s_waitcnt lgkmcnt(0)
	s_waitcnt_vscnt null, 0x0
	s_cmp_eq_u64 s[0:1], 0
	s_barrier
	buffer_gl0_inv
	s_cbranch_scc1 .LBB67_213
; %bb.212:
	v_mov_b32_e32 v29, 0
	global_load_b64 v[29:30], v29, s[0:1]
.LBB67_213:
	v_cmp_eq_u32_e32 vcc_lo, 0, v71
	v_add_nc_u32_e32 v46, v113, v71
	v_cmp_ne_u32_e64 s13, 0, v71
	v_cmp_ne_u32_e64 s12, 0, v72
	;; [unrolled: 1-line block ×3, first 2 shown]
	v_cndmask_b32_e64 v31, 1, 2, vcc_lo
	v_cmp_eq_u32_e32 vcc_lo, 0, v72
	v_add_nc_u32_e32 v48, v46, v72
	v_cmp_ne_u32_e64 s9, 0, v70
	v_cmp_ne_u32_e64 s15, 0, v67
	;; [unrolled: 1-line block ×3, first 2 shown]
	v_cndmask_b32_e64 v32, 1, 2, vcc_lo
	v_cmp_eq_u32_e32 vcc_lo, 0, v69
	v_add_nc_u32_e32 v47, v48, v69
	v_cmp_ne_u32_e64 s11, 0, v65
	s_delay_alu instid0(VALU_DEP_4)
	v_dual_mov_b32 v78, 0 :: v_dual_and_b32 v31, v32, v31
	v_cndmask_b32_e64 v33, 1, 2, vcc_lo
	v_cmp_eq_u32_e32 vcc_lo, 0, v70
	v_add_nc_u32_e32 v45, v47, v70
	v_cmp_ne_u32_e64 s8, 0, v66
	v_cmp_ne_u32_e64 s7, 0, v63
	v_and_b32_e32 v33, v31, v33
	v_cndmask_b32_e64 v34, 1, 2, vcc_lo
	v_cmp_eq_u32_e32 vcc_lo, 0, v67
	v_add_nc_u32_e32 v44, v45, v67
	s_waitcnt vmcnt(0)
	v_lshlrev_b64 v[31:32], 3, v[29:30]
	v_cmp_ne_u32_e64 s6, 0, v64
	v_and_b32_e32 v33, v33, v34
	v_cndmask_b32_e64 v35, 1, 2, vcc_lo
	v_cmp_eq_u32_e32 vcc_lo, 0, v68
	v_add_nc_u32_e32 v43, v44, v68
	v_cmp_ne_u32_e64 s5, 0, v61
	v_cmp_ne_u32_e64 s4, 0, v62
	v_and_b32_e32 v33, v33, v35
	v_cndmask_b32_e64 v34, 1, 2, vcc_lo
	v_cmp_eq_u32_e32 vcc_lo, 0, v65
	v_add_nc_u32_e32 v42, v43, v65
	v_cmp_ne_u32_e64 s3, 0, v112
	;; [unrolled: 6-line block ×3, first 2 shown]
	s_delay_alu instid0(VALU_DEP_4) | instskip(SKIP_3) | instid1(VALU_DEP_3)
	v_and_b32_e32 v33, v33, v35
	v_cndmask_b32_e64 v34, 1, 2, vcc_lo
	v_cmp_eq_u32_e32 vcc_lo, 0, v63
	v_add_nc_u32_e32 v40, v41, v63
	v_and_b32_e32 v33, v33, v34
	v_cndmask_b32_e64 v35, 1, 2, vcc_lo
	v_cmp_eq_u32_e32 vcc_lo, 0, v64
	s_delay_alu instid0(VALU_DEP_4) | instskip(NEXT) | instid1(VALU_DEP_3)
	v_add_nc_u32_e32 v39, v40, v64
	v_and_b32_e32 v33, v33, v35
	v_cndmask_b32_e64 v34, 1, 2, vcc_lo
	v_cmp_eq_u32_e32 vcc_lo, 0, v61
	s_delay_alu instid0(VALU_DEP_4) | instskip(NEXT) | instid1(VALU_DEP_3)
	v_add_nc_u32_e32 v38, v39, v61
	v_and_b32_e32 v37, v33, v34
	v_cndmask_b32_e64 v35, 1, 2, vcc_lo
	v_cmp_eq_u32_e32 vcc_lo, 0, v62
	v_lshlrev_b64 v[33:34], 3, v[77:78]
	s_delay_alu instid0(VALU_DEP_3) | instskip(SKIP_3) | instid1(VALU_DEP_3)
	v_and_b32_e32 v35, v37, v35
	v_cndmask_b32_e64 v36, 1, 2, vcc_lo
	v_cmp_eq_u32_e32 vcc_lo, 0, v112
	v_add_nc_u32_e32 v37, v38, v62
	v_and_b32_e32 v52, v35, v36
	v_cndmask_b32_e64 v51, 1, 2, vcc_lo
	v_add_co_u32 v49, vcc_lo, s18, v31
	v_add_co_ci_u32_e32 v50, vcc_lo, s19, v32, vcc_lo
	s_delay_alu instid0(VALU_DEP_3) | instskip(NEXT) | instid1(VALU_DEP_3)
	v_and_b32_e32 v51, v52, v51
	v_add_co_u32 v49, vcc_lo, v49, v33
	s_delay_alu instid0(VALU_DEP_3)
	v_add_co_ci_u32_e32 v50, vcc_lo, v50, v34, vcc_lo
	v_cmp_eq_u32_e32 vcc_lo, 0, v60
	v_add_nc_u32_e32 v36, v37, v112
	s_mov_b32 s18, -1
	v_cndmask_b32_e64 v52, 1, 2, vcc_lo
	v_cmp_eq_u32_e32 vcc_lo, 0, v111
	s_delay_alu instid0(VALU_DEP_3) | instskip(NEXT) | instid1(VALU_DEP_3)
	v_add_nc_u32_e32 v35, v36, v60
	v_and_b32_e32 v51, v51, v52
	v_cndmask_b32_e64 v52, 1, 2, vcc_lo
	v_cmp_gt_u32_e32 vcc_lo, 0x100, v59
	s_delay_alu instid0(VALU_DEP_2) | instskip(NEXT) | instid1(VALU_DEP_1)
	v_and_b32_e32 v51, v51, v52
	v_cmp_gt_i16_e64 s16, 2, v51
	s_cbranch_vccz .LBB67_220
; %bb.214:
	s_delay_alu instid0(VALU_DEP_1)
	s_and_saveexec_b32 s18, s16
	s_cbranch_execz .LBB67_219
; %bb.215:
	s_mov_b32 s19, 0
	s_mov_b32 s16, exec_lo
	v_cmpx_ne_u16_e32 1, v51
	s_xor_b32 s16, exec_lo, s16
	s_cbranch_execnz .LBB67_285
; %bb.216:
	s_and_not1_saveexec_b32 s16, s16
	s_cbranch_execnz .LBB67_301
.LBB67_217:
	s_or_b32 exec_lo, exec_lo, s16
	s_delay_alu instid0(SALU_CYCLE_1)
	s_and_b32 exec_lo, exec_lo, s19
	s_cbranch_execz .LBB67_219
.LBB67_218:
	v_sub_nc_u32_e32 v52, v35, v77
	v_mov_b32_e32 v53, 0
	s_delay_alu instid0(VALU_DEP_1) | instskip(NEXT) | instid1(VALU_DEP_1)
	v_lshlrev_b64 v[52:53], 3, v[52:53]
	v_add_co_u32 v52, vcc_lo, v49, v52
	s_delay_alu instid0(VALU_DEP_2)
	v_add_co_ci_u32_e32 v53, vcc_lo, v50, v53, vcc_lo
	global_store_b64 v[52:53], v[57:58], off
.LBB67_219:
	s_or_b32 exec_lo, exec_lo, s18
	s_mov_b32 s18, 0
.LBB67_220:
	s_delay_alu instid0(SALU_CYCLE_1)
	s_and_b32 vcc_lo, exec_lo, s18
	s_cbranch_vccz .LBB67_230
; %bb.221:
	s_mov_b32 s16, exec_lo
	v_cmpx_gt_i16_e32 2, v51
	s_cbranch_execz .LBB67_226
; %bb.222:
	s_mov_b32 s19, 0
	s_mov_b32 s18, exec_lo
	v_cmpx_ne_u16_e32 1, v51
	s_xor_b32 s18, exec_lo, s18
	s_cbranch_execnz .LBB67_302
; %bb.223:
	s_and_not1_saveexec_b32 s0, s18
	s_cbranch_execnz .LBB67_318
.LBB67_224:
	s_or_b32 exec_lo, exec_lo, s0
	s_delay_alu instid0(SALU_CYCLE_1)
	s_and_b32 exec_lo, exec_lo, s19
	s_cbranch_execz .LBB67_226
.LBB67_225:
	v_sub_nc_u32_e32 v1, v35, v77
	s_delay_alu instid0(VALU_DEP_1)
	v_lshlrev_b32_e32 v1, 3, v1
	ds_store_b64 v1, v[57:58]
.LBB67_226:
	s_or_b32 exec_lo, exec_lo, s16
	s_delay_alu instid0(SALU_CYCLE_1)
	s_mov_b32 s1, exec_lo
	s_waitcnt lgkmcnt(0)
	s_waitcnt_vscnt null, 0x0
	s_barrier
	buffer_gl0_inv
	v_cmpx_lt_u32_e64 v0, v59
	s_cbranch_execz .LBB67_229
; %bb.227:
	v_dual_mov_b32 v2, 0 :: v_dual_lshlrev_b32 v3, 3, v0
	v_mov_b32_e32 v1, v0
	s_mov_b32 s3, 0
	.p2align	6
.LBB67_228:                             ; =>This Inner Loop Header: Depth=1
	ds_load_b64 v[4:5], v3
	v_lshlrev_b64 v[6:7], 3, v[1:2]
	v_add_nc_u32_e32 v1, 0x100, v1
	v_add_nc_u32_e32 v3, 0x800, v3
	s_delay_alu instid0(VALU_DEP_2) | instskip(NEXT) | instid1(VALU_DEP_4)
	v_cmp_ge_u32_e32 vcc_lo, v1, v59
	v_add_co_u32 v6, s0, v49, v6
	s_delay_alu instid0(VALU_DEP_1)
	v_add_co_ci_u32_e64 v7, s0, v50, v7, s0
	s_or_b32 s3, vcc_lo, s3
	s_waitcnt lgkmcnt(0)
	global_store_b64 v[6:7], v[4:5], off
	s_and_not1_b32 exec_lo, exec_lo, s3
	s_cbranch_execnz .LBB67_228
.LBB67_229:
	s_or_b32 exec_lo, exec_lo, s1
.LBB67_230:
	s_cmpk_lg_i32 s28, 0xf00
	v_cndmask_b32_e64 v1, 0, 1, s29
	s_cselect_b32 s0, -1, 0
	v_mad_i32_i24 v4, v0, -15, s28
	s_and_b32 s0, s0, s17
	s_and_b32 s1, s2, s29
	v_cndmask_b32_e64 v3, 0, 1, s0
	s_mul_hi_u32 s0, s28, 0x88888889
	v_sub_nc_u32_e32 v2, v59, v1
	s_lshr_b32 s0, s0, 3
	v_cndmask_b32_e64 v5, v71, 0, s1
	v_cmp_eq_u32_e32 vcc_lo, s0, v0
	v_cmp_ne_u32_e64 s0, 0, v4
	s_mov_b32 s16, -1
	s_waitcnt_vscnt null, 0x0
	s_barrier
	s_and_b32 vcc_lo, vcc_lo, s17
	v_add_nc_u32_e32 v3, v2, v3
	v_cndmask_b32_e64 v2, 1, v5, s0
	v_cmp_ne_u32_e64 s0, 1, v4
	buffer_gl0_inv
	v_cndmask_b32_e32 v2, v5, v2, vcc_lo
	v_cndmask_b32_e64 v6, 1, v72, s0
	v_cmp_ne_u32_e64 s0, 14, v4
	s_delay_alu instid0(VALU_DEP_3) | instskip(NEXT) | instid1(VALU_DEP_3)
	v_cmp_ne_u32_e64 s14, 0, v2
	v_cndmask_b32_e32 v11, v72, v6, vcc_lo
	s_delay_alu instid0(VALU_DEP_3) | instskip(SKIP_1) | instid1(VALU_DEP_3)
	v_cndmask_b32_e64 v7, 1, v111, s0
	v_cmp_ne_u32_e64 s0, 2, v4
	v_cmp_ne_u32_e64 s13, 0, v11
	s_delay_alu instid0(VALU_DEP_3) | instskip(NEXT) | instid1(VALU_DEP_3)
	v_cndmask_b32_e32 v10, v111, v7, vcc_lo
	v_cndmask_b32_e64 v8, 1, v69, s0
	v_cmp_ne_u32_e64 s0, 3, v4
	s_delay_alu instid0(VALU_DEP_1) | instskip(SKIP_1) | instid1(VALU_DEP_2)
	v_cndmask_b32_e64 v9, 1, v70, s0
	v_cmp_ne_u32_e64 s0, 4, v4
	v_dual_cndmask_b32 v8, v69, v8 :: v_dual_cndmask_b32 v9, v70, v9
	s_delay_alu instid0(VALU_DEP_2) | instskip(SKIP_1) | instid1(VALU_DEP_3)
	v_cndmask_b32_e64 v5, 1, v67, s0
	v_cmp_ne_u32_e64 s0, 5, v4
	v_cmp_ne_u32_e64 s12, 0, v8
	s_delay_alu instid0(VALU_DEP_4) | instskip(NEXT) | instid1(VALU_DEP_4)
	v_cmp_ne_u32_e64 s11, 0, v9
	v_cndmask_b32_e32 v16, v67, v5, vcc_lo
	s_delay_alu instid0(VALU_DEP_4) | instskip(SKIP_1) | instid1(VALU_DEP_3)
	v_cndmask_b32_e64 v6, 1, v68, s0
	v_cmp_eq_u32_e64 s0, 0, v2
	v_cmp_ne_u32_e64 s10, 0, v16
	s_delay_alu instid0(VALU_DEP_2) | instskip(SKIP_1) | instid1(VALU_DEP_1)
	v_cndmask_b32_e64 v7, 1, 2, s0
	v_cmp_eq_u32_e64 s0, 0, v11
	v_cndmask_b32_e64 v12, 1, 2, s0
	v_cmp_ne_u32_e64 s0, 6, v4
	s_delay_alu instid0(VALU_DEP_2) | instskip(NEXT) | instid1(VALU_DEP_2)
	v_and_b32_e32 v7, v12, v7
	v_cndmask_b32_e64 v13, 1, v65, s0
	v_cmp_eq_u32_e64 s0, 0, v8
	s_delay_alu instid0(VALU_DEP_2) | instskip(NEXT) | instid1(VALU_DEP_2)
	v_cndmask_b32_e32 v13, v65, v13, vcc_lo
	v_cndmask_b32_e64 v12, 1, 2, s0
	v_cmp_ne_u32_e64 s0, 7, v4
	s_delay_alu instid0(VALU_DEP_3) | instskip(NEXT) | instid1(VALU_DEP_2)
	v_cmp_ne_u32_e64 s8, 0, v13
	v_cndmask_b32_e64 v14, 1, v66, s0
	v_cmp_ne_u32_e64 s0, 8, v4
	s_delay_alu instid0(VALU_DEP_2) | instskip(NEXT) | instid1(VALU_DEP_2)
	v_dual_cndmask_b32 v14, v66, v14 :: v_dual_and_b32 v7, v7, v12
	v_cndmask_b32_e64 v15, 1, v63, s0
	v_cmp_eq_u32_e64 s0, 0, v9
	s_delay_alu instid0(VALU_DEP_3) | instskip(NEXT) | instid1(VALU_DEP_3)
	v_cmp_ne_u32_e64 s7, 0, v14
	v_cndmask_b32_e32 v15, v63, v15, vcc_lo
	s_delay_alu instid0(VALU_DEP_3) | instskip(SKIP_2) | instid1(VALU_DEP_4)
	v_cndmask_b32_e64 v12, 1, 2, s0
	v_cmp_ne_u32_e64 s0, 9, v4
	v_cndmask_b32_e32 v17, v68, v6, vcc_lo
	v_cmp_ne_u32_e64 s6, 0, v15
	s_delay_alu instid0(VALU_DEP_4) | instskip(NEXT) | instid1(VALU_DEP_4)
	v_and_b32_e32 v6, v7, v12
	v_cndmask_b32_e64 v5, 1, v64, s0
	v_cmp_eq_u32_e64 s0, 0, v16
	v_cmp_ne_u32_e64 s9, 0, v17
	s_delay_alu instid0(VALU_DEP_3) | instskip(NEXT) | instid1(VALU_DEP_3)
	v_cndmask_b32_e32 v21, v64, v5, vcc_lo
	v_cndmask_b32_e64 v7, 1, 2, s0
	v_cmp_ne_u32_e64 s0, 10, v4
	s_delay_alu instid0(VALU_DEP_3) | instskip(NEXT) | instid1(VALU_DEP_3)
	v_cmp_ne_u32_e64 s5, 0, v21
	v_and_b32_e32 v6, v6, v7
	s_delay_alu instid0(VALU_DEP_3) | instskip(SKIP_1) | instid1(VALU_DEP_2)
	v_cndmask_b32_e64 v12, 1, v61, s0
	v_cmp_ne_u32_e64 s0, 12, v4
	v_cndmask_b32_e32 v12, v61, v12, vcc_lo
	s_delay_alu instid0(VALU_DEP_2) | instskip(SKIP_1) | instid1(VALU_DEP_2)
	v_cndmask_b32_e64 v18, 1, v112, s0
	v_cmp_eq_u32_e64 s0, 0, v17
	v_cndmask_b32_e32 v18, v112, v18, vcc_lo
	s_delay_alu instid0(VALU_DEP_2) | instskip(SKIP_1) | instid1(VALU_DEP_3)
	v_cndmask_b32_e64 v7, 1, 2, s0
	v_cmp_ne_u32_e64 s0, 13, v4
	v_cmp_ne_u32_e64 s2, 0, v18
	s_delay_alu instid0(VALU_DEP_3) | instskip(NEXT) | instid1(VALU_DEP_3)
	v_and_b32_e32 v6, v6, v7
	v_cndmask_b32_e64 v19, 1, v60, s0
	v_cmp_eq_u32_e64 s0, 0, v13
	s_delay_alu instid0(VALU_DEP_1) | instskip(SKIP_1) | instid1(VALU_DEP_2)
	v_cndmask_b32_e64 v7, 1, 2, s0
	v_cmp_ne_u32_e64 s0, 11, v4
	v_and_b32_e32 v6, v6, v7
	s_delay_alu instid0(VALU_DEP_2) | instskip(SKIP_1) | instid1(VALU_DEP_2)
	v_cndmask_b32_e64 v4, 1, v62, s0
	v_cmp_eq_u32_e64 s0, 0, v14
	v_dual_cndmask_b32 v19, v60, v19 :: v_dual_cndmask_b32 v20, v62, v4
	s_delay_alu instid0(VALU_DEP_2) | instskip(SKIP_1) | instid1(VALU_DEP_3)
	v_cndmask_b32_e64 v7, 1, 2, s0
	v_cmp_eq_u32_e32 vcc_lo, 0, v15
	v_cmp_ne_u32_e64 s1, 0, v19
	v_cmp_ne_u32_e64 s0, 0, v10
	;; [unrolled: 1-line block ×3, first 2 shown]
	v_and_b32_e32 v4, v6, v7
	v_cndmask_b32_e64 v5, 1, 2, vcc_lo
	v_add_co_u32 v6, vcc_lo, s20, v31
	v_add_co_ci_u32_e32 v7, vcc_lo, s21, v32, vcc_lo
	v_cmp_eq_u32_e32 vcc_lo, 0, v21
	s_delay_alu instid0(VALU_DEP_4) | instskip(SKIP_4) | instid1(VALU_DEP_4)
	v_and_b32_e32 v22, v4, v5
	v_cndmask_b32_e64 v23, 1, 2, vcc_lo
	v_add_co_u32 v4, vcc_lo, v6, v33
	v_add_co_ci_u32_e32 v5, vcc_lo, v7, v34, vcc_lo
	v_lshlrev_b32_e32 v6, 3, v1
	v_and_b32_e32 v7, v22, v23
	v_cmp_eq_u32_e32 vcc_lo, 0, v12
	v_add_nc_u32_e32 v1, v77, v1
	v_cmp_ne_u32_e64 s4, 0, v12
	v_cndmask_b32_e64 v22, 1, 2, vcc_lo
	v_add_co_u32 v6, vcc_lo, v6, v4
	v_add_co_ci_u32_e32 v23, vcc_lo, 0, v5, vcc_lo
	v_cmp_eq_u32_e32 vcc_lo, 0, v20
	s_delay_alu instid0(VALU_DEP_4) | instskip(SKIP_4) | instid1(VALU_DEP_4)
	v_and_b32_e32 v22, v7, v22
	v_cndmask_b32_e64 v24, 1, 2, vcc_lo
	v_add_co_u32 v6, vcc_lo, v6, -8
	v_add_co_ci_u32_e32 v7, vcc_lo, -1, v23, vcc_lo
	v_cmp_eq_u32_e32 vcc_lo, 0, v18
	v_and_b32_e32 v22, v22, v24
	v_cndmask_b32_e64 v23, 1, 2, vcc_lo
	v_cmp_eq_u32_e32 vcc_lo, 0, v19
	s_delay_alu instid0(VALU_DEP_2) | instskip(SKIP_2) | instid1(VALU_DEP_2)
	v_and_b32_e32 v2, v22, v23
	v_cndmask_b32_e64 v8, 1, 2, vcc_lo
	v_cmp_eq_u32_e32 vcc_lo, 0, v10
	v_and_b32_e32 v2, v2, v8
	v_cndmask_b32_e64 v8, 1, 2, vcc_lo
	v_cmp_gt_u32_e32 vcc_lo, 0x100, v3
	s_delay_alu instid0(VALU_DEP_2) | instskip(NEXT) | instid1(VALU_DEP_1)
	v_and_b32_e32 v2, v2, v8
	v_cmp_gt_i16_e64 s15, 2, v2
	s_cbranch_vccnz .LBB67_234
; %bb.231:
	s_and_b32 vcc_lo, exec_lo, s16
	s_cbranch_vccnz .LBB67_240
.LBB67_232:
	v_cmp_eq_u32_e32 vcc_lo, 0xff, v0
	s_and_b32 s0, vcc_lo, s17
	s_delay_alu instid0(SALU_CYCLE_1)
	s_and_saveexec_b32 s1, s0
	s_cbranch_execnz .LBB67_249
.LBB67_233:
	s_nop 0
	s_sendmsg sendmsg(MSG_DEALLOC_VGPRS)
	s_endpgm
.LBB67_234:
	s_delay_alu instid0(VALU_DEP_1)
	s_and_saveexec_b32 s16, s15
	s_cbranch_execz .LBB67_239
; %bb.235:
	s_mov_b32 s18, 0
	s_mov_b32 s15, exec_lo
	v_cmpx_ne_u16_e32 1, v2
	s_xor_b32 s15, exec_lo, s15
	s_cbranch_execnz .LBB67_319
; %bb.236:
	s_and_not1_saveexec_b32 s15, s15
	s_cbranch_execnz .LBB67_335
.LBB67_237:
	s_or_b32 exec_lo, exec_lo, s15
	s_delay_alu instid0(SALU_CYCLE_1)
	s_and_b32 exec_lo, exec_lo, s18
	s_cbranch_execz .LBB67_239
.LBB67_238:
	v_sub_nc_u32_e32 v8, v35, v1
	v_mov_b32_e32 v9, 0
	s_delay_alu instid0(VALU_DEP_1) | instskip(NEXT) | instid1(VALU_DEP_1)
	v_lshlrev_b64 v[8:9], 3, v[8:9]
	v_add_co_u32 v8, vcc_lo, v6, v8
	s_delay_alu instid0(VALU_DEP_2)
	v_add_co_ci_u32_e32 v9, vcc_lo, v7, v9, vcc_lo
	global_store_b64 v[8:9], v[97:98], off
.LBB67_239:
	s_or_b32 exec_lo, exec_lo, s16
	s_branch .LBB67_232
.LBB67_240:
	s_mov_b32 s15, exec_lo
	v_cmpx_gt_i16_e32 2, v2
	s_cbranch_execz .LBB67_245
; %bb.241:
	s_mov_b32 s18, 0
	s_mov_b32 s16, exec_lo
	v_cmpx_ne_u16_e32 1, v2
	s_xor_b32 s16, exec_lo, s16
	s_cbranch_execnz .LBB67_336
; %bb.242:
	s_and_not1_saveexec_b32 s0, s16
	s_cbranch_execnz .LBB67_352
.LBB67_243:
	s_or_b32 exec_lo, exec_lo, s0
	s_delay_alu instid0(SALU_CYCLE_1)
	s_and_b32 exec_lo, exec_lo, s18
	s_cbranch_execz .LBB67_245
.LBB67_244:
	v_sub_nc_u32_e32 v1, v35, v1
	s_delay_alu instid0(VALU_DEP_1)
	v_lshlrev_b32_e32 v1, 3, v1
	ds_store_b64 v1, v[97:98]
.LBB67_245:
	s_or_b32 exec_lo, exec_lo, s15
	s_delay_alu instid0(SALU_CYCLE_1)
	s_mov_b32 s1, exec_lo
	s_waitcnt lgkmcnt(0)
	s_waitcnt_vscnt null, 0x0
	s_barrier
	buffer_gl0_inv
	v_cmpx_lt_u32_e64 v0, v3
	s_cbranch_execz .LBB67_248
; %bb.246:
	v_dual_mov_b32 v1, v0 :: v_dual_lshlrev_b32 v8, 3, v0
	v_mov_b32_e32 v2, 0
	s_mov_b32 s2, 0
	.p2align	6
.LBB67_247:                             ; =>This Inner Loop Header: Depth=1
	ds_load_b64 v[9:10], v8
	v_lshlrev_b64 v[11:12], 3, v[1:2]
	v_add_nc_u32_e32 v1, 0x100, v1
	v_add_nc_u32_e32 v8, 0x800, v8
	s_delay_alu instid0(VALU_DEP_2) | instskip(NEXT) | instid1(VALU_DEP_4)
	v_cmp_ge_u32_e32 vcc_lo, v1, v3
	v_add_co_u32 v11, s0, v6, v11
	s_delay_alu instid0(VALU_DEP_1)
	v_add_co_ci_u32_e64 v12, s0, v7, v12, s0
	s_or_b32 s2, vcc_lo, s2
	s_waitcnt lgkmcnt(0)
	global_store_b64 v[11:12], v[9:10], off
	s_and_not1_b32 exec_lo, exec_lo, s2
	s_cbranch_execnz .LBB67_247
.LBB67_248:
	s_or_b32 exec_lo, exec_lo, s1
	v_cmp_eq_u32_e32 vcc_lo, 0xff, v0
	s_and_b32 s0, vcc_lo, s17
	s_delay_alu instid0(SALU_CYCLE_1)
	s_and_saveexec_b32 s1, s0
	s_cbranch_execz .LBB67_233
.LBB67_249:
	v_add_co_u32 v0, s0, v59, v77
	s_delay_alu instid0(VALU_DEP_1) | instskip(SKIP_1) | instid1(VALU_DEP_3)
	v_add_co_ci_u32_e64 v1, null, 0, 0, s0
	v_mov_b32_e32 v60, 0
	v_add_co_u32 v0, vcc_lo, v0, v29
	s_delay_alu instid0(VALU_DEP_3)
	v_add_co_ci_u32_e32 v1, vcc_lo, v1, v30, vcc_lo
	s_cmpk_lg_i32 s28, 0xf00
	global_store_b64 v60, v[0:1], s[22:23]
	s_cbranch_scc1 .LBB67_233
; %bb.250:
	v_lshlrev_b64 v[0:1], 3, v[59:60]
	s_delay_alu instid0(VALU_DEP_1) | instskip(NEXT) | instid1(VALU_DEP_2)
	v_add_co_u32 v0, vcc_lo, v4, v0
	v_add_co_ci_u32_e32 v1, vcc_lo, v5, v1, vcc_lo
	global_store_b64 v[0:1], v[75:76], off offset:-8
	s_nop 0
	s_sendmsg sendmsg(MSG_DEALLOC_VGPRS)
	s_endpgm
.LBB67_251:
                                        ; implicit-def: $sgpr4
                                        ; implicit-def: $vgpr111
                                        ; implicit-def: $vgpr60
                                        ; implicit-def: $vgpr112
                                        ; implicit-def: $vgpr62
                                        ; implicit-def: $vgpr61
                                        ; implicit-def: $vgpr64
                                        ; implicit-def: $vgpr63
                                        ; implicit-def: $vgpr66
                                        ; implicit-def: $vgpr65
                                        ; implicit-def: $vgpr68
                                        ; implicit-def: $vgpr67
                                        ; implicit-def: $vgpr70
                                        ; implicit-def: $vgpr69
                                        ; implicit-def: $vgpr72
	s_cbranch_execz .LBB67_113
.LBB67_252:
	v_mad_u32_u24 v59, v0, 15, 14
	v_dual_mov_b32 v60, 0 :: v_dual_lshlrev_b32 v77, 3, v0
	s_waitcnt lgkmcnt(0)
	v_mul_u32_u24_e32 v75, 15, v0
	v_mov_b32_e32 v111, 0
	s_mov_b32 s4, exec_lo
	ds_store_b64 v77, v[57:58]
	v_cmpx_gt_u64_e64 s[0:1], v[59:60]
	s_cbranch_execz .LBB67_254
; %bb.253:
	v_cvt_i32_f64_e32 v59, v[3:4]
	v_cvt_i32_f64_e32 v61, v[57:58]
	s_delay_alu instid0(VALU_DEP_2) | instskip(NEXT) | instid1(VALU_DEP_2)
	v_mul_hi_i32 v59, 0x66666667, v59
	v_mul_hi_i32 v61, 0x66666667, v61
	s_delay_alu instid0(VALU_DEP_2) | instskip(SKIP_1) | instid1(VALU_DEP_3)
	v_lshrrev_b32_e32 v62, 31, v59
	v_ashrrev_i32_e32 v59, 2, v59
	v_lshrrev_b32_e32 v63, 31, v61
	v_ashrrev_i32_e32 v61, 2, v61
	s_delay_alu instid0(VALU_DEP_3) | instskip(NEXT) | instid1(VALU_DEP_2)
	v_add_nc_u32_e32 v59, v59, v62
	v_add_nc_u32_e32 v61, v61, v63
	s_delay_alu instid0(VALU_DEP_1)
	v_cmp_ne_u32_e32 vcc_lo, v59, v61
	v_cndmask_b32_e64 v111, 0, 1, vcc_lo
.LBB67_254:
	s_or_b32 exec_lo, exec_lo, s4
	v_add_nc_u32_e32 v59, 13, v75
	s_mov_b32 s4, exec_lo
	s_delay_alu instid0(VALU_DEP_1)
	v_cmpx_gt_u64_e64 s[0:1], v[59:60]
	s_cbranch_execz .LBB67_256
; %bb.255:
	v_cvt_i32_f64_e32 v59, v[1:2]
	v_cvt_i32_f64_e32 v60, v[3:4]
	s_delay_alu instid0(VALU_DEP_2) | instskip(NEXT) | instid1(VALU_DEP_2)
	v_mul_hi_i32 v59, 0x66666667, v59
	v_mul_hi_i32 v60, 0x66666667, v60
	s_delay_alu instid0(VALU_DEP_2) | instskip(SKIP_1) | instid1(VALU_DEP_3)
	v_lshrrev_b32_e32 v61, 31, v59
	v_ashrrev_i32_e32 v59, 2, v59
	v_lshrrev_b32_e32 v62, 31, v60
	v_ashrrev_i32_e32 v60, 2, v60
	s_delay_alu instid0(VALU_DEP_3) | instskip(NEXT) | instid1(VALU_DEP_2)
	v_add_nc_u32_e32 v59, v59, v61
	v_add_nc_u32_e32 v60, v60, v62
	s_delay_alu instid0(VALU_DEP_1)
	v_cmp_ne_u32_e32 vcc_lo, v59, v60
	v_cndmask_b32_e64 v60, 0, 1, vcc_lo
.LBB67_256:
	s_or_b32 exec_lo, exec_lo, s4
	v_dual_mov_b32 v62, 0 :: v_dual_add_nc_u32 v61, 12, v75
	v_mov_b32_e32 v112, 0
	s_mov_b32 s4, exec_lo
	s_delay_alu instid0(VALU_DEP_2)
	v_cmpx_gt_u64_e64 s[0:1], v[61:62]
	s_cbranch_execz .LBB67_258
; %bb.257:
	v_cvt_i32_f64_e32 v59, v[7:8]
	v_cvt_i32_f64_e32 v61, v[1:2]
	s_delay_alu instid0(VALU_DEP_2) | instskip(NEXT) | instid1(VALU_DEP_2)
	v_mul_hi_i32 v59, 0x66666667, v59
	v_mul_hi_i32 v61, 0x66666667, v61
	s_delay_alu instid0(VALU_DEP_2) | instskip(SKIP_1) | instid1(VALU_DEP_3)
	v_lshrrev_b32_e32 v63, 31, v59
	v_ashrrev_i32_e32 v59, 2, v59
	v_lshrrev_b32_e32 v64, 31, v61
	v_ashrrev_i32_e32 v61, 2, v61
	s_delay_alu instid0(VALU_DEP_3) | instskip(NEXT) | instid1(VALU_DEP_2)
	v_add_nc_u32_e32 v59, v59, v63
	v_add_nc_u32_e32 v61, v61, v64
	s_delay_alu instid0(VALU_DEP_1)
	v_cmp_ne_u32_e32 vcc_lo, v59, v61
	v_cndmask_b32_e64 v112, 0, 1, vcc_lo
.LBB67_258:
	s_or_b32 exec_lo, exec_lo, s4
	v_add_nc_u32_e32 v61, 11, v75
	s_mov_b32 s4, exec_lo
	s_delay_alu instid0(VALU_DEP_1)
	v_cmpx_gt_u64_e64 s[0:1], v[61:62]
	s_cbranch_execz .LBB67_260
; %bb.259:
	v_cvt_i32_f64_e32 v59, v[5:6]
	v_cvt_i32_f64_e32 v61, v[7:8]
	s_delay_alu instid0(VALU_DEP_2) | instskip(NEXT) | instid1(VALU_DEP_2)
	v_mul_hi_i32 v59, 0x66666667, v59
	v_mul_hi_i32 v61, 0x66666667, v61
	s_delay_alu instid0(VALU_DEP_2) | instskip(SKIP_1) | instid1(VALU_DEP_3)
	v_lshrrev_b32_e32 v62, 31, v59
	v_ashrrev_i32_e32 v59, 2, v59
	v_lshrrev_b32_e32 v63, 31, v61
	v_ashrrev_i32_e32 v61, 2, v61
	s_delay_alu instid0(VALU_DEP_3) | instskip(NEXT) | instid1(VALU_DEP_2)
	v_add_nc_u32_e32 v59, v59, v62
	v_add_nc_u32_e32 v61, v61, v63
	s_delay_alu instid0(VALU_DEP_1)
	v_cmp_ne_u32_e32 vcc_lo, v59, v61
	v_cndmask_b32_e64 v62, 0, 1, vcc_lo
.LBB67_260:
	s_or_b32 exec_lo, exec_lo, s4
	v_dual_mov_b32 v64, 0 :: v_dual_add_nc_u32 v63, 10, v75
	v_mov_b32_e32 v61, 0
	s_mov_b32 s4, exec_lo
	s_delay_alu instid0(VALU_DEP_2)
	;; [unrolled: 49-line block ×6, first 2 shown]
	v_cmpx_gt_u64_e64 s[0:1], v[71:72]
	s_cbranch_execz .LBB67_278
; %bb.277:
	v_cvt_i32_f64_e32 v59, v[27:28]
	v_cvt_i32_f64_e32 v69, v[21:22]
	s_delay_alu instid0(VALU_DEP_2) | instskip(NEXT) | instid1(VALU_DEP_2)
	v_mul_hi_i32 v59, 0x66666667, v59
	v_mul_hi_i32 v69, 0x66666667, v69
	s_delay_alu instid0(VALU_DEP_2) | instskip(SKIP_1) | instid1(VALU_DEP_3)
	v_lshrrev_b32_e32 v71, 31, v59
	v_ashrrev_i32_e32 v59, 2, v59
	v_lshrrev_b32_e32 v76, 31, v69
	v_ashrrev_i32_e32 v69, 2, v69
	s_delay_alu instid0(VALU_DEP_3) | instskip(NEXT) | instid1(VALU_DEP_2)
	v_add_nc_u32_e32 v59, v59, v71
	v_add_nc_u32_e32 v69, v69, v76
	s_delay_alu instid0(VALU_DEP_1)
	v_cmp_ne_u32_e32 vcc_lo, v59, v69
	v_cndmask_b32_e64 v69, 0, 1, vcc_lo
.LBB67_278:
	s_or_b32 exec_lo, exec_lo, s4
	v_add_nc_u32_e32 v71, 1, v75
	s_mov_b32 s4, exec_lo
	s_delay_alu instid0(VALU_DEP_1)
	v_cmpx_gt_u64_e64 s[0:1], v[71:72]
	s_cbranch_execz .LBB67_280
; %bb.279:
	v_cvt_i32_f64_e32 v59, v[25:26]
	v_cvt_i32_f64_e32 v71, v[27:28]
	s_delay_alu instid0(VALU_DEP_2) | instskip(NEXT) | instid1(VALU_DEP_2)
	v_mul_hi_i32 v59, 0x66666667, v59
	v_mul_hi_i32 v71, 0x66666667, v71
	s_delay_alu instid0(VALU_DEP_2) | instskip(SKIP_1) | instid1(VALU_DEP_3)
	v_lshrrev_b32_e32 v72, 31, v59
	v_ashrrev_i32_e32 v59, 2, v59
	v_lshrrev_b32_e32 v76, 31, v71
	v_ashrrev_i32_e32 v71, 2, v71
	s_delay_alu instid0(VALU_DEP_3) | instskip(NEXT) | instid1(VALU_DEP_2)
	v_add_nc_u32_e32 v59, v59, v72
	v_add_nc_u32_e32 v71, v71, v76
	s_delay_alu instid0(VALU_DEP_1)
	v_cmp_ne_u32_e32 vcc_lo, v59, v71
	v_cndmask_b32_e64 v72, 0, 1, vcc_lo
.LBB67_280:
	s_or_b32 exec_lo, exec_lo, s4
	s_waitcnt lgkmcnt(0)
	s_barrier
	buffer_gl0_inv
                                        ; implicit-def: $sgpr4
	s_and_saveexec_b32 s5, s3
	s_cbranch_execz .LBB67_284
; %bb.281:
	v_mov_b32_e32 v76, 0
	s_delay_alu instid0(VALU_DEP_1)
	v_cmp_gt_u64_e32 vcc_lo, s[0:1], v[75:76]
	s_mov_b32 s1, 0
	s_and_saveexec_b32 s0, vcc_lo
	s_cbranch_execz .LBB67_283
; %bb.282:
	v_add_nc_u32_e32 v59, -8, v77
	ds_load_b64 v[75:76], v59
	v_cvt_i32_f64_e32 v59, v[25:26]
	s_waitcnt lgkmcnt(0)
	v_cvt_i32_f64_e32 v71, v[75:76]
	s_delay_alu instid0(VALU_DEP_2) | instskip(NEXT) | instid1(VALU_DEP_1)
	v_mul_hi_i32 v59, 0x66666667, v59
	v_lshrrev_b32_e32 v75, 31, v59
	v_ashrrev_i32_e32 v59, 2, v59
	s_delay_alu instid0(VALU_DEP_1) | instskip(SKIP_1) | instid1(VALU_DEP_1)
	v_add_nc_u32_e32 v59, v59, v75
	v_mul_hi_i32 v71, 0x66666667, v71
	v_lshrrev_b32_e32 v76, 31, v71
	v_ashrrev_i32_e32 v71, 2, v71
	s_delay_alu instid0(VALU_DEP_1) | instskip(NEXT) | instid1(VALU_DEP_1)
	v_add_nc_u32_e32 v71, v71, v76
	v_cmp_ne_u32_e32 vcc_lo, v71, v59
	s_and_b32 s1, vcc_lo, exec_lo
.LBB67_283:
	s_or_b32 exec_lo, exec_lo, s0
	s_delay_alu instid0(SALU_CYCLE_1)
	s_and_b32 s4, s1, exec_lo
	s_or_b32 s15, s15, exec_lo
.LBB67_284:
	s_or_b32 exec_lo, exec_lo, s5
	s_mov_b32 s0, 1
	s_delay_alu instid0(SALU_CYCLE_1)
	v_mov_b32_e32 v71, s0
	s_and_saveexec_b32 s0, s15
	s_cbranch_execnz .LBB67_115
	s_branch .LBB67_116
.LBB67_285:
	s_and_saveexec_b32 s19, s13
	s_cbranch_execnz .LBB67_353
; %bb.286:
	s_or_b32 exec_lo, exec_lo, s19
	s_and_saveexec_b32 s19, s12
	s_cbranch_execnz .LBB67_354
.LBB67_287:
	s_or_b32 exec_lo, exec_lo, s19
	s_and_saveexec_b32 s19, s10
	s_cbranch_execnz .LBB67_355
.LBB67_288:
	s_or_b32 exec_lo, exec_lo, s19
	s_and_saveexec_b32 s19, s9
	s_cbranch_execnz .LBB67_356
.LBB67_289:
	s_or_b32 exec_lo, exec_lo, s19
	s_and_saveexec_b32 s19, s15
	s_cbranch_execnz .LBB67_357
.LBB67_290:
	s_or_b32 exec_lo, exec_lo, s19
	s_and_saveexec_b32 s19, s14
	s_cbranch_execnz .LBB67_358
.LBB67_291:
	s_or_b32 exec_lo, exec_lo, s19
	s_and_saveexec_b32 s19, s11
	s_cbranch_execnz .LBB67_359
.LBB67_292:
	s_or_b32 exec_lo, exec_lo, s19
	s_and_saveexec_b32 s19, s8
	s_cbranch_execnz .LBB67_360
.LBB67_293:
	s_or_b32 exec_lo, exec_lo, s19
	s_and_saveexec_b32 s19, s7
	s_cbranch_execnz .LBB67_361
.LBB67_294:
	s_or_b32 exec_lo, exec_lo, s19
	s_and_saveexec_b32 s19, s6
	s_cbranch_execnz .LBB67_362
.LBB67_295:
	s_or_b32 exec_lo, exec_lo, s19
	s_and_saveexec_b32 s19, s5
	s_cbranch_execnz .LBB67_363
.LBB67_296:
	s_or_b32 exec_lo, exec_lo, s19
	s_and_saveexec_b32 s19, s4
	s_cbranch_execnz .LBB67_364
.LBB67_297:
	s_or_b32 exec_lo, exec_lo, s19
	s_and_saveexec_b32 s19, s3
	s_cbranch_execnz .LBB67_365
.LBB67_298:
	s_or_b32 exec_lo, exec_lo, s19
	s_and_saveexec_b32 s19, s1
	s_cbranch_execz .LBB67_300
.LBB67_299:
	v_sub_nc_u32_e32 v52, v36, v77
	v_mov_b32_e32 v53, 0
	s_delay_alu instid0(VALU_DEP_1) | instskip(NEXT) | instid1(VALU_DEP_1)
	v_lshlrev_b64 v[52:53], 3, v[52:53]
	v_add_co_u32 v52, vcc_lo, v49, v52
	s_delay_alu instid0(VALU_DEP_2)
	v_add_co_ci_u32_e32 v53, vcc_lo, v50, v53, vcc_lo
	global_store_b64 v[52:53], v[3:4], off
.LBB67_300:
	s_or_b32 exec_lo, exec_lo, s19
	s_delay_alu instid0(SALU_CYCLE_1)
	s_and_b32 s19, s0, exec_lo
	s_and_not1_saveexec_b32 s16, s16
	s_cbranch_execz .LBB67_217
.LBB67_301:
	v_sub_nc_u32_e32 v52, v113, v77
	v_mov_b32_e32 v53, 0
	s_or_b32 s19, s19, exec_lo
	s_delay_alu instid0(VALU_DEP_1) | instskip(SKIP_1) | instid1(VALU_DEP_1)
	v_lshlrev_b64 v[54:55], 3, v[52:53]
	v_sub_nc_u32_e32 v52, v46, v77
	v_lshlrev_b64 v[73:74], 3, v[52:53]
	v_sub_nc_u32_e32 v52, v48, v77
	s_delay_alu instid0(VALU_DEP_4) | instskip(SKIP_1) | instid1(VALU_DEP_3)
	v_add_co_u32 v54, vcc_lo, v49, v54
	v_add_co_ci_u32_e32 v55, vcc_lo, v50, v55, vcc_lo
	v_lshlrev_b64 v[109:110], 3, v[52:53]
	v_sub_nc_u32_e32 v52, v47, v77
	v_add_co_u32 v73, vcc_lo, v49, v73
	v_add_co_ci_u32_e32 v74, vcc_lo, v50, v74, vcc_lo
	global_store_b64 v[54:55], v[25:26], off
	v_lshlrev_b64 v[54:55], 3, v[52:53]
	v_sub_nc_u32_e32 v52, v45, v77
	global_store_b64 v[73:74], v[27:28], off
	v_add_co_u32 v73, vcc_lo, v49, v109
	v_add_co_ci_u32_e32 v74, vcc_lo, v50, v110, vcc_lo
	v_lshlrev_b64 v[109:110], 3, v[52:53]
	v_sub_nc_u32_e32 v52, v44, v77
	v_add_co_u32 v54, vcc_lo, v49, v54
	v_add_co_ci_u32_e32 v55, vcc_lo, v50, v55, vcc_lo
	s_delay_alu instid0(VALU_DEP_3) | instskip(SKIP_3) | instid1(VALU_DEP_3)
	v_lshlrev_b64 v[114:115], 3, v[52:53]
	v_sub_nc_u32_e32 v52, v43, v77
	v_add_co_u32 v109, vcc_lo, v49, v109
	v_add_co_ci_u32_e32 v110, vcc_lo, v50, v110, vcc_lo
	v_lshlrev_b64 v[116:117], 3, v[52:53]
	v_sub_nc_u32_e32 v52, v42, v77
	v_add_co_u32 v114, vcc_lo, v49, v114
	v_add_co_ci_u32_e32 v115, vcc_lo, v50, v115, vcc_lo
	s_clause 0x3
	global_store_b64 v[73:74], v[21:22], off
	global_store_b64 v[54:55], v[23:24], off
	;; [unrolled: 1-line block ×4, first 2 shown]
	v_lshlrev_b64 v[54:55], 3, v[52:53]
	v_sub_nc_u32_e32 v52, v41, v77
	v_add_co_u32 v73, vcc_lo, v49, v116
	v_add_co_ci_u32_e32 v74, vcc_lo, v50, v117, vcc_lo
	s_delay_alu instid0(VALU_DEP_3) | instskip(SKIP_3) | instid1(VALU_DEP_3)
	v_lshlrev_b64 v[109:110], 3, v[52:53]
	v_sub_nc_u32_e32 v52, v40, v77
	v_add_co_u32 v54, vcc_lo, v49, v54
	v_add_co_ci_u32_e32 v55, vcc_lo, v50, v55, vcc_lo
	v_lshlrev_b64 v[114:115], 3, v[52:53]
	v_sub_nc_u32_e32 v52, v39, v77
	v_add_co_u32 v109, vcc_lo, v49, v109
	v_add_co_ci_u32_e32 v110, vcc_lo, v50, v110, vcc_lo
	s_delay_alu instid0(VALU_DEP_3)
	v_lshlrev_b64 v[116:117], 3, v[52:53]
	v_sub_nc_u32_e32 v52, v38, v77
	v_add_co_u32 v114, vcc_lo, v49, v114
	v_add_co_ci_u32_e32 v115, vcc_lo, v50, v115, vcc_lo
	s_clause 0x3
	global_store_b64 v[73:74], v[13:14], off
	global_store_b64 v[54:55], v[15:16], off
	;; [unrolled: 1-line block ×4, first 2 shown]
	v_lshlrev_b64 v[54:55], 3, v[52:53]
	v_sub_nc_u32_e32 v52, v37, v77
	v_add_co_u32 v73, vcc_lo, v49, v116
	v_add_co_ci_u32_e32 v74, vcc_lo, v50, v117, vcc_lo
	s_delay_alu instid0(VALU_DEP_3) | instskip(SKIP_3) | instid1(VALU_DEP_3)
	v_lshlrev_b64 v[109:110], 3, v[52:53]
	v_sub_nc_u32_e32 v52, v36, v77
	v_add_co_u32 v54, vcc_lo, v49, v54
	v_add_co_ci_u32_e32 v55, vcc_lo, v50, v55, vcc_lo
	v_lshlrev_b64 v[52:53], 3, v[52:53]
	v_add_co_u32 v109, vcc_lo, v49, v109
	v_add_co_ci_u32_e32 v110, vcc_lo, v50, v110, vcc_lo
	s_clause 0x2
	global_store_b64 v[73:74], v[5:6], off
	global_store_b64 v[54:55], v[7:8], off
	;; [unrolled: 1-line block ×3, first 2 shown]
	v_add_co_u32 v52, vcc_lo, v49, v52
	v_add_co_ci_u32_e32 v53, vcc_lo, v50, v53, vcc_lo
	global_store_b64 v[52:53], v[3:4], off
	s_or_b32 exec_lo, exec_lo, s16
	s_delay_alu instid0(SALU_CYCLE_1)
	s_and_b32 exec_lo, exec_lo, s19
	s_cbranch_execnz .LBB67_218
	s_branch .LBB67_219
.LBB67_302:
	s_and_saveexec_b32 s19, s13
	s_cbranch_execnz .LBB67_366
; %bb.303:
	s_or_b32 exec_lo, exec_lo, s19
	s_and_saveexec_b32 s13, s12
	s_cbranch_execnz .LBB67_367
.LBB67_304:
	s_or_b32 exec_lo, exec_lo, s13
	s_and_saveexec_b32 s12, s10
	s_cbranch_execnz .LBB67_368
.LBB67_305:
	s_or_b32 exec_lo, exec_lo, s12
	s_and_saveexec_b32 s10, s9
	s_cbranch_execnz .LBB67_369
.LBB67_306:
	s_or_b32 exec_lo, exec_lo, s10
	s_and_saveexec_b32 s9, s15
	s_cbranch_execnz .LBB67_370
.LBB67_307:
	s_or_b32 exec_lo, exec_lo, s9
	s_and_saveexec_b32 s9, s14
	s_cbranch_execnz .LBB67_371
.LBB67_308:
	s_or_b32 exec_lo, exec_lo, s9
	s_and_saveexec_b32 s9, s11
	s_cbranch_execnz .LBB67_372
.LBB67_309:
	s_or_b32 exec_lo, exec_lo, s9
	s_and_saveexec_b32 s9, s8
	s_cbranch_execnz .LBB67_373
.LBB67_310:
	s_or_b32 exec_lo, exec_lo, s9
	s_and_saveexec_b32 s8, s7
	s_cbranch_execnz .LBB67_374
.LBB67_311:
	s_or_b32 exec_lo, exec_lo, s8
	s_and_saveexec_b32 s7, s6
	s_cbranch_execnz .LBB67_375
.LBB67_312:
	s_or_b32 exec_lo, exec_lo, s7
	s_and_saveexec_b32 s6, s5
	s_cbranch_execnz .LBB67_376
.LBB67_313:
	s_or_b32 exec_lo, exec_lo, s6
	s_and_saveexec_b32 s5, s4
	s_cbranch_execnz .LBB67_377
.LBB67_314:
	s_or_b32 exec_lo, exec_lo, s5
	s_and_saveexec_b32 s4, s3
	s_cbranch_execnz .LBB67_378
.LBB67_315:
	s_or_b32 exec_lo, exec_lo, s4
	s_and_saveexec_b32 s3, s1
	s_cbranch_execz .LBB67_317
.LBB67_316:
	v_sub_nc_u32_e32 v1, v36, v77
	s_delay_alu instid0(VALU_DEP_1)
	v_lshlrev_b32_e32 v1, 3, v1
	ds_store_b64 v1, v[3:4]
.LBB67_317:
	s_or_b32 exec_lo, exec_lo, s3
	s_delay_alu instid0(SALU_CYCLE_1)
	s_and_b32 s19, s0, exec_lo
                                        ; implicit-def: $vgpr25_vgpr26
                                        ; implicit-def: $vgpr21_vgpr22
                                        ; implicit-def: $vgpr17_vgpr18
                                        ; implicit-def: $vgpr13_vgpr14
                                        ; implicit-def: $vgpr9_vgpr10
                                        ; implicit-def: $vgpr5_vgpr6
                                        ; implicit-def: $vgpr1_vgpr2
	s_and_not1_saveexec_b32 s0, s18
	s_cbranch_execz .LBB67_224
.LBB67_318:
	v_sub_nc_u32_e32 v51, v113, v77
	v_sub_nc_u32_e32 v52, v46, v77
	;; [unrolled: 1-line block ×4, first 2 shown]
	s_or_b32 s19, s19, exec_lo
	v_lshlrev_b32_e32 v51, 3, v51
	v_lshlrev_b32_e32 v52, 3, v52
	;; [unrolled: 1-line block ×4, first 2 shown]
	ds_store_b64 v51, v[25:26]
	ds_store_b64 v52, v[27:28]
	;; [unrolled: 1-line block ×3, first 2 shown]
	v_sub_nc_u32_e32 v21, v45, v77
	v_sub_nc_u32_e32 v22, v44, v77
	ds_store_b64 v54, v[23:24]
	v_sub_nc_u32_e32 v23, v43, v77
	v_sub_nc_u32_e32 v24, v42, v77
	v_lshlrev_b32_e32 v21, 3, v21
	v_sub_nc_u32_e32 v25, v41, v77
	v_lshlrev_b32_e32 v22, 3, v22
	v_lshlrev_b32_e32 v23, 3, v23
	;; [unrolled: 1-line block ×3, first 2 shown]
	ds_store_b64 v21, v[17:18]
	v_lshlrev_b32_e32 v17, 3, v25
	ds_store_b64 v22, v[19:20]
	ds_store_b64 v23, v[13:14]
	;; [unrolled: 1-line block ×3, first 2 shown]
	v_sub_nc_u32_e32 v13, v40, v77
	v_sub_nc_u32_e32 v15, v36, v77
	v_sub_nc_u32_e32 v14, v37, v77
	ds_store_b64 v17, v[9:10]
	v_sub_nc_u32_e32 v9, v39, v77
	v_lshlrev_b32_e32 v13, 3, v13
	v_sub_nc_u32_e32 v10, v38, v77
	v_lshlrev_b32_e32 v14, 3, v14
	s_delay_alu instid0(VALU_DEP_4)
	v_lshlrev_b32_e32 v9, 3, v9
	ds_store_b64 v13, v[11:12]
	v_lshlrev_b32_e32 v11, 3, v15
	v_lshlrev_b32_e32 v10, 3, v10
	ds_store_b64 v9, v[5:6]
	ds_store_b64 v10, v[7:8]
	ds_store_b64 v14, v[1:2]
	ds_store_b64 v11, v[3:4]
	s_or_b32 exec_lo, exec_lo, s0
	s_delay_alu instid0(SALU_CYCLE_1)
	s_and_b32 exec_lo, exec_lo, s19
	s_cbranch_execnz .LBB67_225
	s_branch .LBB67_226
.LBB67_319:
	s_and_saveexec_b32 s18, s14
	s_cbranch_execnz .LBB67_379
; %bb.320:
	s_or_b32 exec_lo, exec_lo, s18
	s_and_saveexec_b32 s18, s13
	s_cbranch_execnz .LBB67_380
.LBB67_321:
	s_or_b32 exec_lo, exec_lo, s18
	s_and_saveexec_b32 s18, s12
	s_cbranch_execnz .LBB67_381
.LBB67_322:
	s_or_b32 exec_lo, exec_lo, s18
	s_and_saveexec_b32 s18, s11
	s_cbranch_execnz .LBB67_382
.LBB67_323:
	s_or_b32 exec_lo, exec_lo, s18
	s_and_saveexec_b32 s18, s10
	s_cbranch_execnz .LBB67_383
.LBB67_324:
	s_or_b32 exec_lo, exec_lo, s18
	s_and_saveexec_b32 s18, s9
	s_cbranch_execnz .LBB67_384
.LBB67_325:
	s_or_b32 exec_lo, exec_lo, s18
	s_and_saveexec_b32 s18, s8
	s_cbranch_execnz .LBB67_385
.LBB67_326:
	s_or_b32 exec_lo, exec_lo, s18
	s_and_saveexec_b32 s18, s7
	s_cbranch_execnz .LBB67_386
.LBB67_327:
	s_or_b32 exec_lo, exec_lo, s18
	s_and_saveexec_b32 s18, s6
	s_cbranch_execnz .LBB67_387
.LBB67_328:
	s_or_b32 exec_lo, exec_lo, s18
	s_and_saveexec_b32 s18, s5
	s_cbranch_execnz .LBB67_388
.LBB67_329:
	s_or_b32 exec_lo, exec_lo, s18
	s_and_saveexec_b32 s18, s4
	s_cbranch_execnz .LBB67_389
.LBB67_330:
	s_or_b32 exec_lo, exec_lo, s18
	s_and_saveexec_b32 s18, s3
	s_cbranch_execnz .LBB67_390
.LBB67_331:
	s_or_b32 exec_lo, exec_lo, s18
	s_and_saveexec_b32 s18, s2
	s_cbranch_execnz .LBB67_391
.LBB67_332:
	s_or_b32 exec_lo, exec_lo, s18
	s_and_saveexec_b32 s18, s1
	s_cbranch_execz .LBB67_334
.LBB67_333:
	v_sub_nc_u32_e32 v8, v36, v1
	v_mov_b32_e32 v9, 0
	s_delay_alu instid0(VALU_DEP_1) | instskip(NEXT) | instid1(VALU_DEP_1)
	v_lshlrev_b64 v[8:9], 3, v[8:9]
	v_add_co_u32 v8, vcc_lo, v6, v8
	s_delay_alu instid0(VALU_DEP_2)
	v_add_co_ci_u32_e32 v9, vcc_lo, v7, v9, vcc_lo
	global_store_b64 v[8:9], v[107:108], off
.LBB67_334:
	s_or_b32 exec_lo, exec_lo, s18
	s_delay_alu instid0(SALU_CYCLE_1)
	s_and_b32 s18, s0, exec_lo
	s_and_not1_saveexec_b32 s15, s15
	s_cbranch_execz .LBB67_237
.LBB67_335:
	v_sub_nc_u32_e32 v8, v113, v1
	v_mov_b32_e32 v9, 0
	s_or_b32 s18, s18, exec_lo
	s_delay_alu instid0(VALU_DEP_1) | instskip(SKIP_1) | instid1(VALU_DEP_1)
	v_lshlrev_b64 v[10:11], 3, v[8:9]
	v_sub_nc_u32_e32 v8, v46, v1
	v_lshlrev_b64 v[12:13], 3, v[8:9]
	v_sub_nc_u32_e32 v8, v48, v1
	s_delay_alu instid0(VALU_DEP_4) | instskip(SKIP_1) | instid1(VALU_DEP_3)
	v_add_co_u32 v10, vcc_lo, v6, v10
	v_add_co_ci_u32_e32 v11, vcc_lo, v7, v11, vcc_lo
	v_lshlrev_b64 v[14:15], 3, v[8:9]
	v_sub_nc_u32_e32 v8, v47, v1
	v_add_co_u32 v12, vcc_lo, v6, v12
	v_add_co_ci_u32_e32 v13, vcc_lo, v7, v13, vcc_lo
	global_store_b64 v[10:11], v[99:100], off
	v_lshlrev_b64 v[10:11], 3, v[8:9]
	v_sub_nc_u32_e32 v8, v45, v1
	global_store_b64 v[12:13], v[101:102], off
	v_add_co_u32 v12, vcc_lo, v6, v14
	v_add_co_ci_u32_e32 v13, vcc_lo, v7, v15, vcc_lo
	v_lshlrev_b64 v[14:15], 3, v[8:9]
	v_sub_nc_u32_e32 v8, v44, v1
	v_add_co_u32 v10, vcc_lo, v6, v10
	v_add_co_ci_u32_e32 v11, vcc_lo, v7, v11, vcc_lo
	s_delay_alu instid0(VALU_DEP_3) | instskip(SKIP_3) | instid1(VALU_DEP_3)
	v_lshlrev_b64 v[16:17], 3, v[8:9]
	v_sub_nc_u32_e32 v8, v43, v1
	v_add_co_u32 v14, vcc_lo, v6, v14
	v_add_co_ci_u32_e32 v15, vcc_lo, v7, v15, vcc_lo
	v_lshlrev_b64 v[18:19], 3, v[8:9]
	v_sub_nc_u32_e32 v8, v42, v1
	v_add_co_u32 v16, vcc_lo, v6, v16
	v_add_co_ci_u32_e32 v17, vcc_lo, v7, v17, vcc_lo
	s_clause 0x3
	global_store_b64 v[12:13], v[105:106], off
	global_store_b64 v[10:11], v[103:104], off
	;; [unrolled: 1-line block ×4, first 2 shown]
	v_lshlrev_b64 v[10:11], 3, v[8:9]
	v_sub_nc_u32_e32 v8, v41, v1
	v_add_co_u32 v12, vcc_lo, v6, v18
	v_add_co_ci_u32_e32 v13, vcc_lo, v7, v19, vcc_lo
	s_delay_alu instid0(VALU_DEP_3) | instskip(SKIP_3) | instid1(VALU_DEP_3)
	v_lshlrev_b64 v[14:15], 3, v[8:9]
	v_sub_nc_u32_e32 v8, v40, v1
	v_add_co_u32 v10, vcc_lo, v6, v10
	v_add_co_ci_u32_e32 v11, vcc_lo, v7, v11, vcc_lo
	v_lshlrev_b64 v[16:17], 3, v[8:9]
	v_sub_nc_u32_e32 v8, v39, v1
	v_add_co_u32 v14, vcc_lo, v6, v14
	v_add_co_ci_u32_e32 v15, vcc_lo, v7, v15, vcc_lo
	s_delay_alu instid0(VALU_DEP_3)
	v_lshlrev_b64 v[18:19], 3, v[8:9]
	v_sub_nc_u32_e32 v8, v38, v1
	v_add_co_u32 v16, vcc_lo, v6, v16
	v_add_co_ci_u32_e32 v17, vcc_lo, v7, v17, vcc_lo
	s_clause 0x3
	global_store_b64 v[12:13], v[91:92], off
	global_store_b64 v[10:11], v[95:96], off
	;; [unrolled: 1-line block ×4, first 2 shown]
	v_lshlrev_b64 v[10:11], 3, v[8:9]
	v_sub_nc_u32_e32 v8, v37, v1
	v_add_co_u32 v12, vcc_lo, v6, v18
	v_add_co_ci_u32_e32 v13, vcc_lo, v7, v19, vcc_lo
	s_delay_alu instid0(VALU_DEP_3) | instskip(SKIP_3) | instid1(VALU_DEP_3)
	v_lshlrev_b64 v[14:15], 3, v[8:9]
	v_sub_nc_u32_e32 v8, v36, v1
	v_add_co_u32 v10, vcc_lo, v6, v10
	v_add_co_ci_u32_e32 v11, vcc_lo, v7, v11, vcc_lo
	v_lshlrev_b64 v[8:9], 3, v[8:9]
	v_add_co_u32 v14, vcc_lo, v6, v14
	v_add_co_ci_u32_e32 v15, vcc_lo, v7, v15, vcc_lo
	s_clause 0x2
	global_store_b64 v[12:13], v[81:82], off
	global_store_b64 v[10:11], v[83:84], off
	;; [unrolled: 1-line block ×3, first 2 shown]
	v_add_co_u32 v8, vcc_lo, v6, v8
	v_add_co_ci_u32_e32 v9, vcc_lo, v7, v9, vcc_lo
	global_store_b64 v[8:9], v[107:108], off
	s_or_b32 exec_lo, exec_lo, s15
	s_delay_alu instid0(SALU_CYCLE_1)
	s_and_b32 exec_lo, exec_lo, s18
	s_cbranch_execnz .LBB67_238
	s_branch .LBB67_239
.LBB67_336:
	s_and_saveexec_b32 s18, s14
	s_cbranch_execnz .LBB67_392
; %bb.337:
	s_or_b32 exec_lo, exec_lo, s18
	s_and_saveexec_b32 s14, s13
	s_cbranch_execnz .LBB67_393
.LBB67_338:
	s_or_b32 exec_lo, exec_lo, s14
	s_and_saveexec_b32 s13, s12
	s_cbranch_execnz .LBB67_394
.LBB67_339:
	s_or_b32 exec_lo, exec_lo, s13
	s_and_saveexec_b32 s12, s11
	s_cbranch_execnz .LBB67_395
.LBB67_340:
	s_or_b32 exec_lo, exec_lo, s12
	s_and_saveexec_b32 s11, s10
	s_cbranch_execnz .LBB67_396
.LBB67_341:
	s_or_b32 exec_lo, exec_lo, s11
	s_and_saveexec_b32 s10, s9
	s_cbranch_execnz .LBB67_397
.LBB67_342:
	s_or_b32 exec_lo, exec_lo, s10
	s_and_saveexec_b32 s9, s8
	s_cbranch_execnz .LBB67_398
.LBB67_343:
	s_or_b32 exec_lo, exec_lo, s9
	s_and_saveexec_b32 s8, s7
	s_cbranch_execnz .LBB67_399
.LBB67_344:
	s_or_b32 exec_lo, exec_lo, s8
	s_and_saveexec_b32 s7, s6
	s_cbranch_execnz .LBB67_400
.LBB67_345:
	s_or_b32 exec_lo, exec_lo, s7
	s_and_saveexec_b32 s6, s5
	s_cbranch_execnz .LBB67_401
.LBB67_346:
	s_or_b32 exec_lo, exec_lo, s6
	s_and_saveexec_b32 s5, s4
	s_cbranch_execnz .LBB67_402
.LBB67_347:
	s_or_b32 exec_lo, exec_lo, s5
	s_and_saveexec_b32 s4, s3
	s_cbranch_execnz .LBB67_403
.LBB67_348:
	s_or_b32 exec_lo, exec_lo, s4
	s_and_saveexec_b32 s3, s2
	s_cbranch_execnz .LBB67_404
.LBB67_349:
	s_or_b32 exec_lo, exec_lo, s3
	s_and_saveexec_b32 s2, s1
	s_cbranch_execz .LBB67_351
.LBB67_350:
	v_sub_nc_u32_e32 v2, v36, v1
	s_delay_alu instid0(VALU_DEP_1)
	v_lshlrev_b32_e32 v2, 3, v2
	ds_store_b64 v2, v[107:108]
.LBB67_351:
	s_or_b32 exec_lo, exec_lo, s2
	s_delay_alu instid0(SALU_CYCLE_1)
	s_and_b32 s18, s0, exec_lo
                                        ; implicit-def: $vgpr99_vgpr100
                                        ; implicit-def: $vgpr101_vgpr102
                                        ; implicit-def: $vgpr105_vgpr106
                                        ; implicit-def: $vgpr103_vgpr104
                                        ; implicit-def: $vgpr87_vgpr88
                                        ; implicit-def: $vgpr89_vgpr90
                                        ; implicit-def: $vgpr91_vgpr92
                                        ; implicit-def: $vgpr95_vgpr96
                                        ; implicit-def: $vgpr93_vgpr94
                                        ; implicit-def: $vgpr79_vgpr80
                                        ; implicit-def: $vgpr81_vgpr82
                                        ; implicit-def: $vgpr83_vgpr84
                                        ; implicit-def: $vgpr85_vgpr86
                                        ; implicit-def: $vgpr107_vgpr108
                                        ; implicit-def: $vgpr113
                                        ; implicit-def: $vgpr46
                                        ; implicit-def: $vgpr48
                                        ; implicit-def: $vgpr47
                                        ; implicit-def: $vgpr45
                                        ; implicit-def: $vgpr44
                                        ; implicit-def: $vgpr43
                                        ; implicit-def: $vgpr42
                                        ; implicit-def: $vgpr41
                                        ; implicit-def: $vgpr40
                                        ; implicit-def: $vgpr39
                                        ; implicit-def: $vgpr38
                                        ; implicit-def: $vgpr37
                                        ; implicit-def: $vgpr36
	s_and_not1_saveexec_b32 s0, s16
	s_cbranch_execz .LBB67_243
.LBB67_352:
	v_sub_nc_u32_e32 v2, v113, v1
	v_sub_nc_u32_e32 v8, v46, v1
	;; [unrolled: 1-line block ×5, first 2 shown]
	v_lshlrev_b32_e32 v2, 3, v2
	v_lshlrev_b32_e32 v8, 3, v8
	;; [unrolled: 1-line block ×4, first 2 shown]
	s_or_b32 s18, s18, exec_lo
	ds_store_b64 v2, v[99:100]
	ds_store_b64 v8, v[101:102]
	;; [unrolled: 1-line block ×3, first 2 shown]
	v_sub_nc_u32_e32 v2, v45, v1
	v_sub_nc_u32_e32 v8, v44, v1
	;; [unrolled: 1-line block ×3, first 2 shown]
	ds_store_b64 v10, v[103:104]
	v_sub_nc_u32_e32 v10, v42, v1
	v_lshlrev_b32_e32 v2, 3, v2
	v_lshlrev_b32_e32 v8, 3, v8
	;; [unrolled: 1-line block ×3, first 2 shown]
	s_delay_alu instid0(VALU_DEP_4)
	v_lshlrev_b32_e32 v10, 3, v10
	ds_store_b64 v2, v[87:88]
	v_lshlrev_b32_e32 v2, 3, v11
	ds_store_b64 v8, v[89:90]
	ds_store_b64 v9, v[91:92]
	;; [unrolled: 1-line block ×3, first 2 shown]
	v_sub_nc_u32_e32 v8, v40, v1
	v_sub_nc_u32_e32 v11, v36, v1
	;; [unrolled: 1-line block ×3, first 2 shown]
	ds_store_b64 v2, v[93:94]
	v_sub_nc_u32_e32 v2, v39, v1
	v_lshlrev_b32_e32 v8, 3, v8
	v_sub_nc_u32_e32 v10, v37, v1
	v_lshlrev_b32_e32 v9, 3, v9
	s_delay_alu instid0(VALU_DEP_4)
	v_lshlrev_b32_e32 v2, 3, v2
	ds_store_b64 v8, v[79:80]
	v_lshlrev_b32_e32 v8, 3, v11
	v_lshlrev_b32_e32 v10, 3, v10
	ds_store_b64 v2, v[81:82]
	ds_store_b64 v9, v[83:84]
	;; [unrolled: 1-line block ×4, first 2 shown]
	s_or_b32 exec_lo, exec_lo, s0
	s_delay_alu instid0(SALU_CYCLE_1)
	s_and_b32 exec_lo, exec_lo, s18
	s_cbranch_execnz .LBB67_244
	s_branch .LBB67_245
.LBB67_353:
	v_sub_nc_u32_e32 v52, v113, v77
	v_mov_b32_e32 v53, 0
	s_delay_alu instid0(VALU_DEP_1) | instskip(NEXT) | instid1(VALU_DEP_1)
	v_lshlrev_b64 v[52:53], 3, v[52:53]
	v_add_co_u32 v52, vcc_lo, v49, v52
	s_delay_alu instid0(VALU_DEP_2)
	v_add_co_ci_u32_e32 v53, vcc_lo, v50, v53, vcc_lo
	global_store_b64 v[52:53], v[25:26], off
	s_or_b32 exec_lo, exec_lo, s19
	s_and_saveexec_b32 s19, s12
	s_cbranch_execz .LBB67_287
.LBB67_354:
	v_sub_nc_u32_e32 v52, v46, v77
	v_mov_b32_e32 v53, 0
	s_delay_alu instid0(VALU_DEP_1) | instskip(NEXT) | instid1(VALU_DEP_1)
	v_lshlrev_b64 v[52:53], 3, v[52:53]
	v_add_co_u32 v52, vcc_lo, v49, v52
	s_delay_alu instid0(VALU_DEP_2)
	v_add_co_ci_u32_e32 v53, vcc_lo, v50, v53, vcc_lo
	global_store_b64 v[52:53], v[27:28], off
	s_or_b32 exec_lo, exec_lo, s19
	s_and_saveexec_b32 s19, s10
	s_cbranch_execz .LBB67_288
.LBB67_355:
	v_sub_nc_u32_e32 v52, v48, v77
	v_mov_b32_e32 v53, 0
	s_delay_alu instid0(VALU_DEP_1) | instskip(NEXT) | instid1(VALU_DEP_1)
	v_lshlrev_b64 v[52:53], 3, v[52:53]
	v_add_co_u32 v52, vcc_lo, v49, v52
	s_delay_alu instid0(VALU_DEP_2)
	v_add_co_ci_u32_e32 v53, vcc_lo, v50, v53, vcc_lo
	global_store_b64 v[52:53], v[21:22], off
	s_or_b32 exec_lo, exec_lo, s19
	s_and_saveexec_b32 s19, s9
	s_cbranch_execz .LBB67_289
.LBB67_356:
	v_sub_nc_u32_e32 v52, v47, v77
	v_mov_b32_e32 v53, 0
	s_delay_alu instid0(VALU_DEP_1) | instskip(NEXT) | instid1(VALU_DEP_1)
	v_lshlrev_b64 v[52:53], 3, v[52:53]
	v_add_co_u32 v52, vcc_lo, v49, v52
	s_delay_alu instid0(VALU_DEP_2)
	v_add_co_ci_u32_e32 v53, vcc_lo, v50, v53, vcc_lo
	global_store_b64 v[52:53], v[23:24], off
	s_or_b32 exec_lo, exec_lo, s19
	s_and_saveexec_b32 s19, s15
	s_cbranch_execz .LBB67_290
.LBB67_357:
	v_sub_nc_u32_e32 v52, v45, v77
	v_mov_b32_e32 v53, 0
	s_delay_alu instid0(VALU_DEP_1) | instskip(NEXT) | instid1(VALU_DEP_1)
	v_lshlrev_b64 v[52:53], 3, v[52:53]
	v_add_co_u32 v52, vcc_lo, v49, v52
	s_delay_alu instid0(VALU_DEP_2)
	v_add_co_ci_u32_e32 v53, vcc_lo, v50, v53, vcc_lo
	global_store_b64 v[52:53], v[17:18], off
	s_or_b32 exec_lo, exec_lo, s19
	s_and_saveexec_b32 s19, s14
	s_cbranch_execz .LBB67_291
.LBB67_358:
	v_sub_nc_u32_e32 v52, v44, v77
	v_mov_b32_e32 v53, 0
	s_delay_alu instid0(VALU_DEP_1) | instskip(NEXT) | instid1(VALU_DEP_1)
	v_lshlrev_b64 v[52:53], 3, v[52:53]
	v_add_co_u32 v52, vcc_lo, v49, v52
	s_delay_alu instid0(VALU_DEP_2)
	v_add_co_ci_u32_e32 v53, vcc_lo, v50, v53, vcc_lo
	global_store_b64 v[52:53], v[19:20], off
	s_or_b32 exec_lo, exec_lo, s19
	s_and_saveexec_b32 s19, s11
	s_cbranch_execz .LBB67_292
.LBB67_359:
	v_sub_nc_u32_e32 v52, v43, v77
	v_mov_b32_e32 v53, 0
	s_delay_alu instid0(VALU_DEP_1) | instskip(NEXT) | instid1(VALU_DEP_1)
	v_lshlrev_b64 v[52:53], 3, v[52:53]
	v_add_co_u32 v52, vcc_lo, v49, v52
	s_delay_alu instid0(VALU_DEP_2)
	v_add_co_ci_u32_e32 v53, vcc_lo, v50, v53, vcc_lo
	global_store_b64 v[52:53], v[13:14], off
	s_or_b32 exec_lo, exec_lo, s19
	s_and_saveexec_b32 s19, s8
	s_cbranch_execz .LBB67_293
.LBB67_360:
	v_sub_nc_u32_e32 v52, v42, v77
	v_mov_b32_e32 v53, 0
	s_delay_alu instid0(VALU_DEP_1) | instskip(NEXT) | instid1(VALU_DEP_1)
	v_lshlrev_b64 v[52:53], 3, v[52:53]
	v_add_co_u32 v52, vcc_lo, v49, v52
	s_delay_alu instid0(VALU_DEP_2)
	v_add_co_ci_u32_e32 v53, vcc_lo, v50, v53, vcc_lo
	global_store_b64 v[52:53], v[15:16], off
	s_or_b32 exec_lo, exec_lo, s19
	s_and_saveexec_b32 s19, s7
	s_cbranch_execz .LBB67_294
.LBB67_361:
	v_sub_nc_u32_e32 v52, v41, v77
	v_mov_b32_e32 v53, 0
	s_delay_alu instid0(VALU_DEP_1) | instskip(NEXT) | instid1(VALU_DEP_1)
	v_lshlrev_b64 v[52:53], 3, v[52:53]
	v_add_co_u32 v52, vcc_lo, v49, v52
	s_delay_alu instid0(VALU_DEP_2)
	v_add_co_ci_u32_e32 v53, vcc_lo, v50, v53, vcc_lo
	global_store_b64 v[52:53], v[9:10], off
	s_or_b32 exec_lo, exec_lo, s19
	s_and_saveexec_b32 s19, s6
	s_cbranch_execz .LBB67_295
.LBB67_362:
	v_sub_nc_u32_e32 v52, v40, v77
	v_mov_b32_e32 v53, 0
	s_delay_alu instid0(VALU_DEP_1) | instskip(NEXT) | instid1(VALU_DEP_1)
	v_lshlrev_b64 v[52:53], 3, v[52:53]
	v_add_co_u32 v52, vcc_lo, v49, v52
	s_delay_alu instid0(VALU_DEP_2)
	v_add_co_ci_u32_e32 v53, vcc_lo, v50, v53, vcc_lo
	global_store_b64 v[52:53], v[11:12], off
	s_or_b32 exec_lo, exec_lo, s19
	s_and_saveexec_b32 s19, s5
	s_cbranch_execz .LBB67_296
.LBB67_363:
	v_sub_nc_u32_e32 v52, v39, v77
	v_mov_b32_e32 v53, 0
	s_delay_alu instid0(VALU_DEP_1) | instskip(NEXT) | instid1(VALU_DEP_1)
	v_lshlrev_b64 v[52:53], 3, v[52:53]
	v_add_co_u32 v52, vcc_lo, v49, v52
	s_delay_alu instid0(VALU_DEP_2)
	v_add_co_ci_u32_e32 v53, vcc_lo, v50, v53, vcc_lo
	global_store_b64 v[52:53], v[5:6], off
	s_or_b32 exec_lo, exec_lo, s19
	s_and_saveexec_b32 s19, s4
	s_cbranch_execz .LBB67_297
.LBB67_364:
	v_sub_nc_u32_e32 v52, v38, v77
	v_mov_b32_e32 v53, 0
	s_delay_alu instid0(VALU_DEP_1) | instskip(NEXT) | instid1(VALU_DEP_1)
	v_lshlrev_b64 v[52:53], 3, v[52:53]
	v_add_co_u32 v52, vcc_lo, v49, v52
	s_delay_alu instid0(VALU_DEP_2)
	v_add_co_ci_u32_e32 v53, vcc_lo, v50, v53, vcc_lo
	global_store_b64 v[52:53], v[7:8], off
	s_or_b32 exec_lo, exec_lo, s19
	s_and_saveexec_b32 s19, s3
	s_cbranch_execz .LBB67_298
.LBB67_365:
	v_sub_nc_u32_e32 v52, v37, v77
	v_mov_b32_e32 v53, 0
	s_delay_alu instid0(VALU_DEP_1) | instskip(NEXT) | instid1(VALU_DEP_1)
	v_lshlrev_b64 v[52:53], 3, v[52:53]
	v_add_co_u32 v52, vcc_lo, v49, v52
	s_delay_alu instid0(VALU_DEP_2)
	v_add_co_ci_u32_e32 v53, vcc_lo, v50, v53, vcc_lo
	global_store_b64 v[52:53], v[1:2], off
	s_or_b32 exec_lo, exec_lo, s19
	s_and_saveexec_b32 s19, s1
	s_cbranch_execnz .LBB67_299
	s_branch .LBB67_300
.LBB67_366:
	v_sub_nc_u32_e32 v51, v113, v77
	s_delay_alu instid0(VALU_DEP_1)
	v_lshlrev_b32_e32 v51, 3, v51
	ds_store_b64 v51, v[25:26]
	s_or_b32 exec_lo, exec_lo, s19
	s_and_saveexec_b32 s13, s12
	s_cbranch_execz .LBB67_304
.LBB67_367:
	v_sub_nc_u32_e32 v25, v46, v77
	s_delay_alu instid0(VALU_DEP_1)
	v_lshlrev_b32_e32 v25, 3, v25
	ds_store_b64 v25, v[27:28]
	s_or_b32 exec_lo, exec_lo, s13
	s_and_saveexec_b32 s12, s10
	s_cbranch_execz .LBB67_305
.LBB67_368:
	v_sub_nc_u32_e32 v25, v48, v77
	s_delay_alu instid0(VALU_DEP_1)
	v_lshlrev_b32_e32 v25, 3, v25
	ds_store_b64 v25, v[21:22]
	s_or_b32 exec_lo, exec_lo, s12
	s_and_saveexec_b32 s10, s9
	s_cbranch_execz .LBB67_306
.LBB67_369:
	v_sub_nc_u32_e32 v21, v47, v77
	s_delay_alu instid0(VALU_DEP_1)
	v_lshlrev_b32_e32 v21, 3, v21
	ds_store_b64 v21, v[23:24]
	s_or_b32 exec_lo, exec_lo, s10
	s_and_saveexec_b32 s9, s15
	s_cbranch_execz .LBB67_307
.LBB67_370:
	v_sub_nc_u32_e32 v21, v45, v77
	s_delay_alu instid0(VALU_DEP_1)
	v_lshlrev_b32_e32 v21, 3, v21
	ds_store_b64 v21, v[17:18]
	s_or_b32 exec_lo, exec_lo, s9
	s_and_saveexec_b32 s9, s14
	s_cbranch_execz .LBB67_308
.LBB67_371:
	v_sub_nc_u32_e32 v17, v44, v77
	s_delay_alu instid0(VALU_DEP_1)
	v_lshlrev_b32_e32 v17, 3, v17
	ds_store_b64 v17, v[19:20]
	s_or_b32 exec_lo, exec_lo, s9
	s_and_saveexec_b32 s9, s11
	s_cbranch_execz .LBB67_309
.LBB67_372:
	v_sub_nc_u32_e32 v17, v43, v77
	s_delay_alu instid0(VALU_DEP_1)
	v_lshlrev_b32_e32 v17, 3, v17
	ds_store_b64 v17, v[13:14]
	s_or_b32 exec_lo, exec_lo, s9
	s_and_saveexec_b32 s9, s8
	s_cbranch_execz .LBB67_310
.LBB67_373:
	v_sub_nc_u32_e32 v13, v42, v77
	s_delay_alu instid0(VALU_DEP_1)
	v_lshlrev_b32_e32 v13, 3, v13
	ds_store_b64 v13, v[15:16]
	s_or_b32 exec_lo, exec_lo, s9
	s_and_saveexec_b32 s8, s7
	s_cbranch_execz .LBB67_311
.LBB67_374:
	v_sub_nc_u32_e32 v13, v41, v77
	s_delay_alu instid0(VALU_DEP_1)
	v_lshlrev_b32_e32 v13, 3, v13
	ds_store_b64 v13, v[9:10]
	s_or_b32 exec_lo, exec_lo, s8
	s_and_saveexec_b32 s7, s6
	s_cbranch_execz .LBB67_312
.LBB67_375:
	v_sub_nc_u32_e32 v9, v40, v77
	s_delay_alu instid0(VALU_DEP_1)
	v_lshlrev_b32_e32 v9, 3, v9
	ds_store_b64 v9, v[11:12]
	s_or_b32 exec_lo, exec_lo, s7
	s_and_saveexec_b32 s6, s5
	s_cbranch_execz .LBB67_313
.LBB67_376:
	v_sub_nc_u32_e32 v9, v39, v77
	s_delay_alu instid0(VALU_DEP_1)
	v_lshlrev_b32_e32 v9, 3, v9
	ds_store_b64 v9, v[5:6]
	s_or_b32 exec_lo, exec_lo, s6
	s_and_saveexec_b32 s5, s4
	s_cbranch_execz .LBB67_314
.LBB67_377:
	v_sub_nc_u32_e32 v5, v38, v77
	s_delay_alu instid0(VALU_DEP_1)
	v_lshlrev_b32_e32 v5, 3, v5
	ds_store_b64 v5, v[7:8]
	s_or_b32 exec_lo, exec_lo, s5
	s_and_saveexec_b32 s4, s3
	s_cbranch_execz .LBB67_315
.LBB67_378:
	v_sub_nc_u32_e32 v5, v37, v77
	s_delay_alu instid0(VALU_DEP_1)
	v_lshlrev_b32_e32 v5, 3, v5
	ds_store_b64 v5, v[1:2]
	s_or_b32 exec_lo, exec_lo, s4
	s_and_saveexec_b32 s3, s1
	s_cbranch_execnz .LBB67_316
	s_branch .LBB67_317
.LBB67_379:
	v_sub_nc_u32_e32 v8, v113, v1
	v_mov_b32_e32 v9, 0
	s_delay_alu instid0(VALU_DEP_1) | instskip(NEXT) | instid1(VALU_DEP_1)
	v_lshlrev_b64 v[8:9], 3, v[8:9]
	v_add_co_u32 v8, vcc_lo, v6, v8
	s_delay_alu instid0(VALU_DEP_2)
	v_add_co_ci_u32_e32 v9, vcc_lo, v7, v9, vcc_lo
	global_store_b64 v[8:9], v[99:100], off
	s_or_b32 exec_lo, exec_lo, s18
	s_and_saveexec_b32 s18, s13
	s_cbranch_execz .LBB67_321
.LBB67_380:
	v_sub_nc_u32_e32 v8, v46, v1
	v_mov_b32_e32 v9, 0
	s_delay_alu instid0(VALU_DEP_1) | instskip(NEXT) | instid1(VALU_DEP_1)
	v_lshlrev_b64 v[8:9], 3, v[8:9]
	v_add_co_u32 v8, vcc_lo, v6, v8
	s_delay_alu instid0(VALU_DEP_2)
	v_add_co_ci_u32_e32 v9, vcc_lo, v7, v9, vcc_lo
	global_store_b64 v[8:9], v[101:102], off
	s_or_b32 exec_lo, exec_lo, s18
	s_and_saveexec_b32 s18, s12
	s_cbranch_execz .LBB67_322
.LBB67_381:
	v_sub_nc_u32_e32 v8, v48, v1
	v_mov_b32_e32 v9, 0
	s_delay_alu instid0(VALU_DEP_1) | instskip(NEXT) | instid1(VALU_DEP_1)
	v_lshlrev_b64 v[8:9], 3, v[8:9]
	v_add_co_u32 v8, vcc_lo, v6, v8
	s_delay_alu instid0(VALU_DEP_2)
	v_add_co_ci_u32_e32 v9, vcc_lo, v7, v9, vcc_lo
	global_store_b64 v[8:9], v[105:106], off
	s_or_b32 exec_lo, exec_lo, s18
	s_and_saveexec_b32 s18, s11
	s_cbranch_execz .LBB67_323
.LBB67_382:
	v_sub_nc_u32_e32 v8, v47, v1
	v_mov_b32_e32 v9, 0
	s_delay_alu instid0(VALU_DEP_1) | instskip(NEXT) | instid1(VALU_DEP_1)
	v_lshlrev_b64 v[8:9], 3, v[8:9]
	v_add_co_u32 v8, vcc_lo, v6, v8
	s_delay_alu instid0(VALU_DEP_2)
	v_add_co_ci_u32_e32 v9, vcc_lo, v7, v9, vcc_lo
	global_store_b64 v[8:9], v[103:104], off
	s_or_b32 exec_lo, exec_lo, s18
	s_and_saveexec_b32 s18, s10
	s_cbranch_execz .LBB67_324
.LBB67_383:
	v_sub_nc_u32_e32 v8, v45, v1
	v_mov_b32_e32 v9, 0
	s_delay_alu instid0(VALU_DEP_1) | instskip(NEXT) | instid1(VALU_DEP_1)
	v_lshlrev_b64 v[8:9], 3, v[8:9]
	v_add_co_u32 v8, vcc_lo, v6, v8
	s_delay_alu instid0(VALU_DEP_2)
	v_add_co_ci_u32_e32 v9, vcc_lo, v7, v9, vcc_lo
	global_store_b64 v[8:9], v[87:88], off
	s_or_b32 exec_lo, exec_lo, s18
	s_and_saveexec_b32 s18, s9
	s_cbranch_execz .LBB67_325
.LBB67_384:
	v_sub_nc_u32_e32 v8, v44, v1
	v_mov_b32_e32 v9, 0
	s_delay_alu instid0(VALU_DEP_1) | instskip(NEXT) | instid1(VALU_DEP_1)
	v_lshlrev_b64 v[8:9], 3, v[8:9]
	v_add_co_u32 v8, vcc_lo, v6, v8
	s_delay_alu instid0(VALU_DEP_2)
	v_add_co_ci_u32_e32 v9, vcc_lo, v7, v9, vcc_lo
	global_store_b64 v[8:9], v[89:90], off
	s_or_b32 exec_lo, exec_lo, s18
	s_and_saveexec_b32 s18, s8
	s_cbranch_execz .LBB67_326
.LBB67_385:
	v_sub_nc_u32_e32 v8, v43, v1
	v_mov_b32_e32 v9, 0
	s_delay_alu instid0(VALU_DEP_1) | instskip(NEXT) | instid1(VALU_DEP_1)
	v_lshlrev_b64 v[8:9], 3, v[8:9]
	v_add_co_u32 v8, vcc_lo, v6, v8
	s_delay_alu instid0(VALU_DEP_2)
	v_add_co_ci_u32_e32 v9, vcc_lo, v7, v9, vcc_lo
	global_store_b64 v[8:9], v[91:92], off
	s_or_b32 exec_lo, exec_lo, s18
	s_and_saveexec_b32 s18, s7
	s_cbranch_execz .LBB67_327
.LBB67_386:
	v_sub_nc_u32_e32 v8, v42, v1
	v_mov_b32_e32 v9, 0
	s_delay_alu instid0(VALU_DEP_1) | instskip(NEXT) | instid1(VALU_DEP_1)
	v_lshlrev_b64 v[8:9], 3, v[8:9]
	v_add_co_u32 v8, vcc_lo, v6, v8
	s_delay_alu instid0(VALU_DEP_2)
	v_add_co_ci_u32_e32 v9, vcc_lo, v7, v9, vcc_lo
	global_store_b64 v[8:9], v[95:96], off
	s_or_b32 exec_lo, exec_lo, s18
	s_and_saveexec_b32 s18, s6
	s_cbranch_execz .LBB67_328
.LBB67_387:
	v_sub_nc_u32_e32 v8, v41, v1
	v_mov_b32_e32 v9, 0
	s_delay_alu instid0(VALU_DEP_1) | instskip(NEXT) | instid1(VALU_DEP_1)
	v_lshlrev_b64 v[8:9], 3, v[8:9]
	v_add_co_u32 v8, vcc_lo, v6, v8
	s_delay_alu instid0(VALU_DEP_2)
	v_add_co_ci_u32_e32 v9, vcc_lo, v7, v9, vcc_lo
	global_store_b64 v[8:9], v[93:94], off
	s_or_b32 exec_lo, exec_lo, s18
	s_and_saveexec_b32 s18, s5
	s_cbranch_execz .LBB67_329
.LBB67_388:
	v_sub_nc_u32_e32 v8, v40, v1
	v_mov_b32_e32 v9, 0
	s_delay_alu instid0(VALU_DEP_1) | instskip(NEXT) | instid1(VALU_DEP_1)
	v_lshlrev_b64 v[8:9], 3, v[8:9]
	v_add_co_u32 v8, vcc_lo, v6, v8
	s_delay_alu instid0(VALU_DEP_2)
	v_add_co_ci_u32_e32 v9, vcc_lo, v7, v9, vcc_lo
	global_store_b64 v[8:9], v[79:80], off
	s_or_b32 exec_lo, exec_lo, s18
	s_and_saveexec_b32 s18, s4
	s_cbranch_execz .LBB67_330
.LBB67_389:
	v_sub_nc_u32_e32 v8, v39, v1
	v_mov_b32_e32 v9, 0
	s_delay_alu instid0(VALU_DEP_1) | instskip(NEXT) | instid1(VALU_DEP_1)
	v_lshlrev_b64 v[8:9], 3, v[8:9]
	v_add_co_u32 v8, vcc_lo, v6, v8
	s_delay_alu instid0(VALU_DEP_2)
	v_add_co_ci_u32_e32 v9, vcc_lo, v7, v9, vcc_lo
	global_store_b64 v[8:9], v[81:82], off
	s_or_b32 exec_lo, exec_lo, s18
	s_and_saveexec_b32 s18, s3
	s_cbranch_execz .LBB67_331
.LBB67_390:
	v_sub_nc_u32_e32 v8, v38, v1
	v_mov_b32_e32 v9, 0
	s_delay_alu instid0(VALU_DEP_1) | instskip(NEXT) | instid1(VALU_DEP_1)
	v_lshlrev_b64 v[8:9], 3, v[8:9]
	v_add_co_u32 v8, vcc_lo, v6, v8
	s_delay_alu instid0(VALU_DEP_2)
	v_add_co_ci_u32_e32 v9, vcc_lo, v7, v9, vcc_lo
	global_store_b64 v[8:9], v[83:84], off
	s_or_b32 exec_lo, exec_lo, s18
	s_and_saveexec_b32 s18, s2
	s_cbranch_execz .LBB67_332
.LBB67_391:
	v_sub_nc_u32_e32 v8, v37, v1
	v_mov_b32_e32 v9, 0
	s_delay_alu instid0(VALU_DEP_1) | instskip(NEXT) | instid1(VALU_DEP_1)
	v_lshlrev_b64 v[8:9], 3, v[8:9]
	v_add_co_u32 v8, vcc_lo, v6, v8
	s_delay_alu instid0(VALU_DEP_2)
	v_add_co_ci_u32_e32 v9, vcc_lo, v7, v9, vcc_lo
	global_store_b64 v[8:9], v[85:86], off
	s_or_b32 exec_lo, exec_lo, s18
	s_and_saveexec_b32 s18, s1
	s_cbranch_execnz .LBB67_333
	s_branch .LBB67_334
.LBB67_392:
	v_sub_nc_u32_e32 v2, v113, v1
	s_delay_alu instid0(VALU_DEP_1)
	v_lshlrev_b32_e32 v2, 3, v2
	ds_store_b64 v2, v[99:100]
	s_or_b32 exec_lo, exec_lo, s18
	s_and_saveexec_b32 s14, s13
	s_cbranch_execz .LBB67_338
.LBB67_393:
	v_sub_nc_u32_e32 v2, v46, v1
	s_delay_alu instid0(VALU_DEP_1)
	v_lshlrev_b32_e32 v2, 3, v2
	ds_store_b64 v2, v[101:102]
	s_or_b32 exec_lo, exec_lo, s14
	s_and_saveexec_b32 s13, s12
	s_cbranch_execz .LBB67_339
.LBB67_394:
	v_sub_nc_u32_e32 v2, v48, v1
	s_delay_alu instid0(VALU_DEP_1)
	v_lshlrev_b32_e32 v2, 3, v2
	ds_store_b64 v2, v[105:106]
	s_or_b32 exec_lo, exec_lo, s13
	s_and_saveexec_b32 s12, s11
	s_cbranch_execz .LBB67_340
.LBB67_395:
	v_sub_nc_u32_e32 v2, v47, v1
	s_delay_alu instid0(VALU_DEP_1)
	v_lshlrev_b32_e32 v2, 3, v2
	ds_store_b64 v2, v[103:104]
	s_or_b32 exec_lo, exec_lo, s12
	s_and_saveexec_b32 s11, s10
	s_cbranch_execz .LBB67_341
.LBB67_396:
	v_sub_nc_u32_e32 v2, v45, v1
	s_delay_alu instid0(VALU_DEP_1)
	v_lshlrev_b32_e32 v2, 3, v2
	ds_store_b64 v2, v[87:88]
	s_or_b32 exec_lo, exec_lo, s11
	s_and_saveexec_b32 s10, s9
	s_cbranch_execz .LBB67_342
.LBB67_397:
	v_sub_nc_u32_e32 v2, v44, v1
	s_delay_alu instid0(VALU_DEP_1)
	v_lshlrev_b32_e32 v2, 3, v2
	ds_store_b64 v2, v[89:90]
	s_or_b32 exec_lo, exec_lo, s10
	s_and_saveexec_b32 s9, s8
	s_cbranch_execz .LBB67_343
.LBB67_398:
	v_sub_nc_u32_e32 v2, v43, v1
	s_delay_alu instid0(VALU_DEP_1)
	v_lshlrev_b32_e32 v2, 3, v2
	ds_store_b64 v2, v[91:92]
	s_or_b32 exec_lo, exec_lo, s9
	s_and_saveexec_b32 s8, s7
	s_cbranch_execz .LBB67_344
.LBB67_399:
	v_sub_nc_u32_e32 v2, v42, v1
	s_delay_alu instid0(VALU_DEP_1)
	v_lshlrev_b32_e32 v2, 3, v2
	ds_store_b64 v2, v[95:96]
	s_or_b32 exec_lo, exec_lo, s8
	s_and_saveexec_b32 s7, s6
	s_cbranch_execz .LBB67_345
.LBB67_400:
	v_sub_nc_u32_e32 v2, v41, v1
	s_delay_alu instid0(VALU_DEP_1)
	v_lshlrev_b32_e32 v2, 3, v2
	ds_store_b64 v2, v[93:94]
	s_or_b32 exec_lo, exec_lo, s7
	s_and_saveexec_b32 s6, s5
	s_cbranch_execz .LBB67_346
.LBB67_401:
	v_sub_nc_u32_e32 v2, v40, v1
	s_delay_alu instid0(VALU_DEP_1)
	v_lshlrev_b32_e32 v2, 3, v2
	ds_store_b64 v2, v[79:80]
	s_or_b32 exec_lo, exec_lo, s6
	s_and_saveexec_b32 s5, s4
	s_cbranch_execz .LBB67_347
.LBB67_402:
	v_sub_nc_u32_e32 v2, v39, v1
	s_delay_alu instid0(VALU_DEP_1)
	v_lshlrev_b32_e32 v2, 3, v2
	ds_store_b64 v2, v[81:82]
	s_or_b32 exec_lo, exec_lo, s5
	s_and_saveexec_b32 s4, s3
	s_cbranch_execz .LBB67_348
.LBB67_403:
	v_sub_nc_u32_e32 v2, v38, v1
	s_delay_alu instid0(VALU_DEP_1)
	v_lshlrev_b32_e32 v2, 3, v2
	ds_store_b64 v2, v[83:84]
	s_or_b32 exec_lo, exec_lo, s4
	s_and_saveexec_b32 s3, s2
	s_cbranch_execz .LBB67_349
.LBB67_404:
	v_sub_nc_u32_e32 v2, v37, v1
	s_delay_alu instid0(VALU_DEP_1)
	v_lshlrev_b32_e32 v2, 3, v2
	ds_store_b64 v2, v[85:86]
	s_or_b32 exec_lo, exec_lo, s3
	s_and_saveexec_b32 s2, s1
	s_cbranch_execnz .LBB67_350
	s_branch .LBB67_351
	.section	.rodata,"a",@progbits
	.p2align	6, 0x0
	.amdhsa_kernel _ZN7rocprim17ROCPRIM_400000_NS6detail17trampoline_kernelINS0_14default_configENS1_29reduce_by_key_config_selectorIddN6thrust23THRUST_200600_302600_NS4plusIdEEEEZZNS1_33reduce_by_key_impl_wrapped_configILNS1_25lookback_scan_determinismE0ES3_S9_NS6_6detail15normal_iteratorINS6_10device_ptrIdEEEESG_SG_SG_PmS8_22is_equal_div_10_reduceIdEEE10hipError_tPvRmT2_T3_mT4_T5_T6_T7_T8_P12ihipStream_tbENKUlT_T0_E_clISt17integral_constantIbLb1EES11_EEDaSW_SX_EUlSW_E_NS1_11comp_targetILNS1_3genE9ELNS1_11target_archE1100ELNS1_3gpuE3ELNS1_3repE0EEENS1_30default_config_static_selectorELNS0_4arch9wavefront6targetE0EEEvT1_
		.amdhsa_group_segment_fixed_size 30720
		.amdhsa_private_segment_fixed_size 0
		.amdhsa_kernarg_size 136
		.amdhsa_user_sgpr_count 15
		.amdhsa_user_sgpr_dispatch_ptr 0
		.amdhsa_user_sgpr_queue_ptr 0
		.amdhsa_user_sgpr_kernarg_segment_ptr 1
		.amdhsa_user_sgpr_dispatch_id 0
		.amdhsa_user_sgpr_private_segment_size 0
		.amdhsa_wavefront_size32 1
		.amdhsa_uses_dynamic_stack 0
		.amdhsa_enable_private_segment 0
		.amdhsa_system_sgpr_workgroup_id_x 1
		.amdhsa_system_sgpr_workgroup_id_y 0
		.amdhsa_system_sgpr_workgroup_id_z 0
		.amdhsa_system_sgpr_workgroup_info 0
		.amdhsa_system_vgpr_workitem_id 0
		.amdhsa_next_free_vgpr 119
		.amdhsa_next_free_sgpr 52
		.amdhsa_reserve_vcc 1
		.amdhsa_float_round_mode_32 0
		.amdhsa_float_round_mode_16_64 0
		.amdhsa_float_denorm_mode_32 3
		.amdhsa_float_denorm_mode_16_64 3
		.amdhsa_dx10_clamp 1
		.amdhsa_ieee_mode 1
		.amdhsa_fp16_overflow 0
		.amdhsa_workgroup_processor_mode 1
		.amdhsa_memory_ordered 1
		.amdhsa_forward_progress 0
		.amdhsa_shared_vgpr_count 0
		.amdhsa_exception_fp_ieee_invalid_op 0
		.amdhsa_exception_fp_denorm_src 0
		.amdhsa_exception_fp_ieee_div_zero 0
		.amdhsa_exception_fp_ieee_overflow 0
		.amdhsa_exception_fp_ieee_underflow 0
		.amdhsa_exception_fp_ieee_inexact 0
		.amdhsa_exception_int_div_zero 0
	.end_amdhsa_kernel
	.section	.text._ZN7rocprim17ROCPRIM_400000_NS6detail17trampoline_kernelINS0_14default_configENS1_29reduce_by_key_config_selectorIddN6thrust23THRUST_200600_302600_NS4plusIdEEEEZZNS1_33reduce_by_key_impl_wrapped_configILNS1_25lookback_scan_determinismE0ES3_S9_NS6_6detail15normal_iteratorINS6_10device_ptrIdEEEESG_SG_SG_PmS8_22is_equal_div_10_reduceIdEEE10hipError_tPvRmT2_T3_mT4_T5_T6_T7_T8_P12ihipStream_tbENKUlT_T0_E_clISt17integral_constantIbLb1EES11_EEDaSW_SX_EUlSW_E_NS1_11comp_targetILNS1_3genE9ELNS1_11target_archE1100ELNS1_3gpuE3ELNS1_3repE0EEENS1_30default_config_static_selectorELNS0_4arch9wavefront6targetE0EEEvT1_,"axG",@progbits,_ZN7rocprim17ROCPRIM_400000_NS6detail17trampoline_kernelINS0_14default_configENS1_29reduce_by_key_config_selectorIddN6thrust23THRUST_200600_302600_NS4plusIdEEEEZZNS1_33reduce_by_key_impl_wrapped_configILNS1_25lookback_scan_determinismE0ES3_S9_NS6_6detail15normal_iteratorINS6_10device_ptrIdEEEESG_SG_SG_PmS8_22is_equal_div_10_reduceIdEEE10hipError_tPvRmT2_T3_mT4_T5_T6_T7_T8_P12ihipStream_tbENKUlT_T0_E_clISt17integral_constantIbLb1EES11_EEDaSW_SX_EUlSW_E_NS1_11comp_targetILNS1_3genE9ELNS1_11target_archE1100ELNS1_3gpuE3ELNS1_3repE0EEENS1_30default_config_static_selectorELNS0_4arch9wavefront6targetE0EEEvT1_,comdat
.Lfunc_end67:
	.size	_ZN7rocprim17ROCPRIM_400000_NS6detail17trampoline_kernelINS0_14default_configENS1_29reduce_by_key_config_selectorIddN6thrust23THRUST_200600_302600_NS4plusIdEEEEZZNS1_33reduce_by_key_impl_wrapped_configILNS1_25lookback_scan_determinismE0ES3_S9_NS6_6detail15normal_iteratorINS6_10device_ptrIdEEEESG_SG_SG_PmS8_22is_equal_div_10_reduceIdEEE10hipError_tPvRmT2_T3_mT4_T5_T6_T7_T8_P12ihipStream_tbENKUlT_T0_E_clISt17integral_constantIbLb1EES11_EEDaSW_SX_EUlSW_E_NS1_11comp_targetILNS1_3genE9ELNS1_11target_archE1100ELNS1_3gpuE3ELNS1_3repE0EEENS1_30default_config_static_selectorELNS0_4arch9wavefront6targetE0EEEvT1_, .Lfunc_end67-_ZN7rocprim17ROCPRIM_400000_NS6detail17trampoline_kernelINS0_14default_configENS1_29reduce_by_key_config_selectorIddN6thrust23THRUST_200600_302600_NS4plusIdEEEEZZNS1_33reduce_by_key_impl_wrapped_configILNS1_25lookback_scan_determinismE0ES3_S9_NS6_6detail15normal_iteratorINS6_10device_ptrIdEEEESG_SG_SG_PmS8_22is_equal_div_10_reduceIdEEE10hipError_tPvRmT2_T3_mT4_T5_T6_T7_T8_P12ihipStream_tbENKUlT_T0_E_clISt17integral_constantIbLb1EES11_EEDaSW_SX_EUlSW_E_NS1_11comp_targetILNS1_3genE9ELNS1_11target_archE1100ELNS1_3gpuE3ELNS1_3repE0EEENS1_30default_config_static_selectorELNS0_4arch9wavefront6targetE0EEEvT1_
                                        ; -- End function
	.section	.AMDGPU.csdata,"",@progbits
; Kernel info:
; codeLenInByte = 21916
; NumSgprs: 54
; NumVgprs: 119
; ScratchSize: 0
; MemoryBound: 0
; FloatMode: 240
; IeeeMode: 1
; LDSByteSize: 30720 bytes/workgroup (compile time only)
; SGPRBlocks: 6
; VGPRBlocks: 14
; NumSGPRsForWavesPerEU: 54
; NumVGPRsForWavesPerEU: 119
; Occupancy: 8
; WaveLimiterHint : 1
; COMPUTE_PGM_RSRC2:SCRATCH_EN: 0
; COMPUTE_PGM_RSRC2:USER_SGPR: 15
; COMPUTE_PGM_RSRC2:TRAP_HANDLER: 0
; COMPUTE_PGM_RSRC2:TGID_X_EN: 1
; COMPUTE_PGM_RSRC2:TGID_Y_EN: 0
; COMPUTE_PGM_RSRC2:TGID_Z_EN: 0
; COMPUTE_PGM_RSRC2:TIDIG_COMP_CNT: 0
	.section	.text._ZN7rocprim17ROCPRIM_400000_NS6detail17trampoline_kernelINS0_14default_configENS1_29reduce_by_key_config_selectorIddN6thrust23THRUST_200600_302600_NS4plusIdEEEEZZNS1_33reduce_by_key_impl_wrapped_configILNS1_25lookback_scan_determinismE0ES3_S9_NS6_6detail15normal_iteratorINS6_10device_ptrIdEEEESG_SG_SG_PmS8_22is_equal_div_10_reduceIdEEE10hipError_tPvRmT2_T3_mT4_T5_T6_T7_T8_P12ihipStream_tbENKUlT_T0_E_clISt17integral_constantIbLb1EES11_EEDaSW_SX_EUlSW_E_NS1_11comp_targetILNS1_3genE8ELNS1_11target_archE1030ELNS1_3gpuE2ELNS1_3repE0EEENS1_30default_config_static_selectorELNS0_4arch9wavefront6targetE0EEEvT1_,"axG",@progbits,_ZN7rocprim17ROCPRIM_400000_NS6detail17trampoline_kernelINS0_14default_configENS1_29reduce_by_key_config_selectorIddN6thrust23THRUST_200600_302600_NS4plusIdEEEEZZNS1_33reduce_by_key_impl_wrapped_configILNS1_25lookback_scan_determinismE0ES3_S9_NS6_6detail15normal_iteratorINS6_10device_ptrIdEEEESG_SG_SG_PmS8_22is_equal_div_10_reduceIdEEE10hipError_tPvRmT2_T3_mT4_T5_T6_T7_T8_P12ihipStream_tbENKUlT_T0_E_clISt17integral_constantIbLb1EES11_EEDaSW_SX_EUlSW_E_NS1_11comp_targetILNS1_3genE8ELNS1_11target_archE1030ELNS1_3gpuE2ELNS1_3repE0EEENS1_30default_config_static_selectorELNS0_4arch9wavefront6targetE0EEEvT1_,comdat
	.protected	_ZN7rocprim17ROCPRIM_400000_NS6detail17trampoline_kernelINS0_14default_configENS1_29reduce_by_key_config_selectorIddN6thrust23THRUST_200600_302600_NS4plusIdEEEEZZNS1_33reduce_by_key_impl_wrapped_configILNS1_25lookback_scan_determinismE0ES3_S9_NS6_6detail15normal_iteratorINS6_10device_ptrIdEEEESG_SG_SG_PmS8_22is_equal_div_10_reduceIdEEE10hipError_tPvRmT2_T3_mT4_T5_T6_T7_T8_P12ihipStream_tbENKUlT_T0_E_clISt17integral_constantIbLb1EES11_EEDaSW_SX_EUlSW_E_NS1_11comp_targetILNS1_3genE8ELNS1_11target_archE1030ELNS1_3gpuE2ELNS1_3repE0EEENS1_30default_config_static_selectorELNS0_4arch9wavefront6targetE0EEEvT1_ ; -- Begin function _ZN7rocprim17ROCPRIM_400000_NS6detail17trampoline_kernelINS0_14default_configENS1_29reduce_by_key_config_selectorIddN6thrust23THRUST_200600_302600_NS4plusIdEEEEZZNS1_33reduce_by_key_impl_wrapped_configILNS1_25lookback_scan_determinismE0ES3_S9_NS6_6detail15normal_iteratorINS6_10device_ptrIdEEEESG_SG_SG_PmS8_22is_equal_div_10_reduceIdEEE10hipError_tPvRmT2_T3_mT4_T5_T6_T7_T8_P12ihipStream_tbENKUlT_T0_E_clISt17integral_constantIbLb1EES11_EEDaSW_SX_EUlSW_E_NS1_11comp_targetILNS1_3genE8ELNS1_11target_archE1030ELNS1_3gpuE2ELNS1_3repE0EEENS1_30default_config_static_selectorELNS0_4arch9wavefront6targetE0EEEvT1_
	.globl	_ZN7rocprim17ROCPRIM_400000_NS6detail17trampoline_kernelINS0_14default_configENS1_29reduce_by_key_config_selectorIddN6thrust23THRUST_200600_302600_NS4plusIdEEEEZZNS1_33reduce_by_key_impl_wrapped_configILNS1_25lookback_scan_determinismE0ES3_S9_NS6_6detail15normal_iteratorINS6_10device_ptrIdEEEESG_SG_SG_PmS8_22is_equal_div_10_reduceIdEEE10hipError_tPvRmT2_T3_mT4_T5_T6_T7_T8_P12ihipStream_tbENKUlT_T0_E_clISt17integral_constantIbLb1EES11_EEDaSW_SX_EUlSW_E_NS1_11comp_targetILNS1_3genE8ELNS1_11target_archE1030ELNS1_3gpuE2ELNS1_3repE0EEENS1_30default_config_static_selectorELNS0_4arch9wavefront6targetE0EEEvT1_
	.p2align	8
	.type	_ZN7rocprim17ROCPRIM_400000_NS6detail17trampoline_kernelINS0_14default_configENS1_29reduce_by_key_config_selectorIddN6thrust23THRUST_200600_302600_NS4plusIdEEEEZZNS1_33reduce_by_key_impl_wrapped_configILNS1_25lookback_scan_determinismE0ES3_S9_NS6_6detail15normal_iteratorINS6_10device_ptrIdEEEESG_SG_SG_PmS8_22is_equal_div_10_reduceIdEEE10hipError_tPvRmT2_T3_mT4_T5_T6_T7_T8_P12ihipStream_tbENKUlT_T0_E_clISt17integral_constantIbLb1EES11_EEDaSW_SX_EUlSW_E_NS1_11comp_targetILNS1_3genE8ELNS1_11target_archE1030ELNS1_3gpuE2ELNS1_3repE0EEENS1_30default_config_static_selectorELNS0_4arch9wavefront6targetE0EEEvT1_,@function
_ZN7rocprim17ROCPRIM_400000_NS6detail17trampoline_kernelINS0_14default_configENS1_29reduce_by_key_config_selectorIddN6thrust23THRUST_200600_302600_NS4plusIdEEEEZZNS1_33reduce_by_key_impl_wrapped_configILNS1_25lookback_scan_determinismE0ES3_S9_NS6_6detail15normal_iteratorINS6_10device_ptrIdEEEESG_SG_SG_PmS8_22is_equal_div_10_reduceIdEEE10hipError_tPvRmT2_T3_mT4_T5_T6_T7_T8_P12ihipStream_tbENKUlT_T0_E_clISt17integral_constantIbLb1EES11_EEDaSW_SX_EUlSW_E_NS1_11comp_targetILNS1_3genE8ELNS1_11target_archE1030ELNS1_3gpuE2ELNS1_3repE0EEENS1_30default_config_static_selectorELNS0_4arch9wavefront6targetE0EEEvT1_: ; @_ZN7rocprim17ROCPRIM_400000_NS6detail17trampoline_kernelINS0_14default_configENS1_29reduce_by_key_config_selectorIddN6thrust23THRUST_200600_302600_NS4plusIdEEEEZZNS1_33reduce_by_key_impl_wrapped_configILNS1_25lookback_scan_determinismE0ES3_S9_NS6_6detail15normal_iteratorINS6_10device_ptrIdEEEESG_SG_SG_PmS8_22is_equal_div_10_reduceIdEEE10hipError_tPvRmT2_T3_mT4_T5_T6_T7_T8_P12ihipStream_tbENKUlT_T0_E_clISt17integral_constantIbLb1EES11_EEDaSW_SX_EUlSW_E_NS1_11comp_targetILNS1_3genE8ELNS1_11target_archE1030ELNS1_3gpuE2ELNS1_3repE0EEENS1_30default_config_static_selectorELNS0_4arch9wavefront6targetE0EEEvT1_
; %bb.0:
	.section	.rodata,"a",@progbits
	.p2align	6, 0x0
	.amdhsa_kernel _ZN7rocprim17ROCPRIM_400000_NS6detail17trampoline_kernelINS0_14default_configENS1_29reduce_by_key_config_selectorIddN6thrust23THRUST_200600_302600_NS4plusIdEEEEZZNS1_33reduce_by_key_impl_wrapped_configILNS1_25lookback_scan_determinismE0ES3_S9_NS6_6detail15normal_iteratorINS6_10device_ptrIdEEEESG_SG_SG_PmS8_22is_equal_div_10_reduceIdEEE10hipError_tPvRmT2_T3_mT4_T5_T6_T7_T8_P12ihipStream_tbENKUlT_T0_E_clISt17integral_constantIbLb1EES11_EEDaSW_SX_EUlSW_E_NS1_11comp_targetILNS1_3genE8ELNS1_11target_archE1030ELNS1_3gpuE2ELNS1_3repE0EEENS1_30default_config_static_selectorELNS0_4arch9wavefront6targetE0EEEvT1_
		.amdhsa_group_segment_fixed_size 0
		.amdhsa_private_segment_fixed_size 0
		.amdhsa_kernarg_size 136
		.amdhsa_user_sgpr_count 15
		.amdhsa_user_sgpr_dispatch_ptr 0
		.amdhsa_user_sgpr_queue_ptr 0
		.amdhsa_user_sgpr_kernarg_segment_ptr 1
		.amdhsa_user_sgpr_dispatch_id 0
		.amdhsa_user_sgpr_private_segment_size 0
		.amdhsa_wavefront_size32 1
		.amdhsa_uses_dynamic_stack 0
		.amdhsa_enable_private_segment 0
		.amdhsa_system_sgpr_workgroup_id_x 1
		.amdhsa_system_sgpr_workgroup_id_y 0
		.amdhsa_system_sgpr_workgroup_id_z 0
		.amdhsa_system_sgpr_workgroup_info 0
		.amdhsa_system_vgpr_workitem_id 0
		.amdhsa_next_free_vgpr 1
		.amdhsa_next_free_sgpr 1
		.amdhsa_reserve_vcc 0
		.amdhsa_float_round_mode_32 0
		.amdhsa_float_round_mode_16_64 0
		.amdhsa_float_denorm_mode_32 3
		.amdhsa_float_denorm_mode_16_64 3
		.amdhsa_dx10_clamp 1
		.amdhsa_ieee_mode 1
		.amdhsa_fp16_overflow 0
		.amdhsa_workgroup_processor_mode 1
		.amdhsa_memory_ordered 1
		.amdhsa_forward_progress 0
		.amdhsa_shared_vgpr_count 0
		.amdhsa_exception_fp_ieee_invalid_op 0
		.amdhsa_exception_fp_denorm_src 0
		.amdhsa_exception_fp_ieee_div_zero 0
		.amdhsa_exception_fp_ieee_overflow 0
		.amdhsa_exception_fp_ieee_underflow 0
		.amdhsa_exception_fp_ieee_inexact 0
		.amdhsa_exception_int_div_zero 0
	.end_amdhsa_kernel
	.section	.text._ZN7rocprim17ROCPRIM_400000_NS6detail17trampoline_kernelINS0_14default_configENS1_29reduce_by_key_config_selectorIddN6thrust23THRUST_200600_302600_NS4plusIdEEEEZZNS1_33reduce_by_key_impl_wrapped_configILNS1_25lookback_scan_determinismE0ES3_S9_NS6_6detail15normal_iteratorINS6_10device_ptrIdEEEESG_SG_SG_PmS8_22is_equal_div_10_reduceIdEEE10hipError_tPvRmT2_T3_mT4_T5_T6_T7_T8_P12ihipStream_tbENKUlT_T0_E_clISt17integral_constantIbLb1EES11_EEDaSW_SX_EUlSW_E_NS1_11comp_targetILNS1_3genE8ELNS1_11target_archE1030ELNS1_3gpuE2ELNS1_3repE0EEENS1_30default_config_static_selectorELNS0_4arch9wavefront6targetE0EEEvT1_,"axG",@progbits,_ZN7rocprim17ROCPRIM_400000_NS6detail17trampoline_kernelINS0_14default_configENS1_29reduce_by_key_config_selectorIddN6thrust23THRUST_200600_302600_NS4plusIdEEEEZZNS1_33reduce_by_key_impl_wrapped_configILNS1_25lookback_scan_determinismE0ES3_S9_NS6_6detail15normal_iteratorINS6_10device_ptrIdEEEESG_SG_SG_PmS8_22is_equal_div_10_reduceIdEEE10hipError_tPvRmT2_T3_mT4_T5_T6_T7_T8_P12ihipStream_tbENKUlT_T0_E_clISt17integral_constantIbLb1EES11_EEDaSW_SX_EUlSW_E_NS1_11comp_targetILNS1_3genE8ELNS1_11target_archE1030ELNS1_3gpuE2ELNS1_3repE0EEENS1_30default_config_static_selectorELNS0_4arch9wavefront6targetE0EEEvT1_,comdat
.Lfunc_end68:
	.size	_ZN7rocprim17ROCPRIM_400000_NS6detail17trampoline_kernelINS0_14default_configENS1_29reduce_by_key_config_selectorIddN6thrust23THRUST_200600_302600_NS4plusIdEEEEZZNS1_33reduce_by_key_impl_wrapped_configILNS1_25lookback_scan_determinismE0ES3_S9_NS6_6detail15normal_iteratorINS6_10device_ptrIdEEEESG_SG_SG_PmS8_22is_equal_div_10_reduceIdEEE10hipError_tPvRmT2_T3_mT4_T5_T6_T7_T8_P12ihipStream_tbENKUlT_T0_E_clISt17integral_constantIbLb1EES11_EEDaSW_SX_EUlSW_E_NS1_11comp_targetILNS1_3genE8ELNS1_11target_archE1030ELNS1_3gpuE2ELNS1_3repE0EEENS1_30default_config_static_selectorELNS0_4arch9wavefront6targetE0EEEvT1_, .Lfunc_end68-_ZN7rocprim17ROCPRIM_400000_NS6detail17trampoline_kernelINS0_14default_configENS1_29reduce_by_key_config_selectorIddN6thrust23THRUST_200600_302600_NS4plusIdEEEEZZNS1_33reduce_by_key_impl_wrapped_configILNS1_25lookback_scan_determinismE0ES3_S9_NS6_6detail15normal_iteratorINS6_10device_ptrIdEEEESG_SG_SG_PmS8_22is_equal_div_10_reduceIdEEE10hipError_tPvRmT2_T3_mT4_T5_T6_T7_T8_P12ihipStream_tbENKUlT_T0_E_clISt17integral_constantIbLb1EES11_EEDaSW_SX_EUlSW_E_NS1_11comp_targetILNS1_3genE8ELNS1_11target_archE1030ELNS1_3gpuE2ELNS1_3repE0EEENS1_30default_config_static_selectorELNS0_4arch9wavefront6targetE0EEEvT1_
                                        ; -- End function
	.section	.AMDGPU.csdata,"",@progbits
; Kernel info:
; codeLenInByte = 0
; NumSgprs: 0
; NumVgprs: 0
; ScratchSize: 0
; MemoryBound: 0
; FloatMode: 240
; IeeeMode: 1
; LDSByteSize: 0 bytes/workgroup (compile time only)
; SGPRBlocks: 0
; VGPRBlocks: 0
; NumSGPRsForWavesPerEU: 1
; NumVGPRsForWavesPerEU: 1
; Occupancy: 16
; WaveLimiterHint : 0
; COMPUTE_PGM_RSRC2:SCRATCH_EN: 0
; COMPUTE_PGM_RSRC2:USER_SGPR: 15
; COMPUTE_PGM_RSRC2:TRAP_HANDLER: 0
; COMPUTE_PGM_RSRC2:TGID_X_EN: 1
; COMPUTE_PGM_RSRC2:TGID_Y_EN: 0
; COMPUTE_PGM_RSRC2:TGID_Z_EN: 0
; COMPUTE_PGM_RSRC2:TIDIG_COMP_CNT: 0
	.section	.text._ZN7rocprim17ROCPRIM_400000_NS6detail17trampoline_kernelINS0_14default_configENS1_29reduce_by_key_config_selectorIddN6thrust23THRUST_200600_302600_NS4plusIdEEEEZZNS1_33reduce_by_key_impl_wrapped_configILNS1_25lookback_scan_determinismE0ES3_S9_NS6_6detail15normal_iteratorINS6_10device_ptrIdEEEESG_SG_SG_PmS8_22is_equal_div_10_reduceIdEEE10hipError_tPvRmT2_T3_mT4_T5_T6_T7_T8_P12ihipStream_tbENKUlT_T0_E_clISt17integral_constantIbLb1EES10_IbLb0EEEEDaSW_SX_EUlSW_E_NS1_11comp_targetILNS1_3genE0ELNS1_11target_archE4294967295ELNS1_3gpuE0ELNS1_3repE0EEENS1_30default_config_static_selectorELNS0_4arch9wavefront6targetE0EEEvT1_,"axG",@progbits,_ZN7rocprim17ROCPRIM_400000_NS6detail17trampoline_kernelINS0_14default_configENS1_29reduce_by_key_config_selectorIddN6thrust23THRUST_200600_302600_NS4plusIdEEEEZZNS1_33reduce_by_key_impl_wrapped_configILNS1_25lookback_scan_determinismE0ES3_S9_NS6_6detail15normal_iteratorINS6_10device_ptrIdEEEESG_SG_SG_PmS8_22is_equal_div_10_reduceIdEEE10hipError_tPvRmT2_T3_mT4_T5_T6_T7_T8_P12ihipStream_tbENKUlT_T0_E_clISt17integral_constantIbLb1EES10_IbLb0EEEEDaSW_SX_EUlSW_E_NS1_11comp_targetILNS1_3genE0ELNS1_11target_archE4294967295ELNS1_3gpuE0ELNS1_3repE0EEENS1_30default_config_static_selectorELNS0_4arch9wavefront6targetE0EEEvT1_,comdat
	.protected	_ZN7rocprim17ROCPRIM_400000_NS6detail17trampoline_kernelINS0_14default_configENS1_29reduce_by_key_config_selectorIddN6thrust23THRUST_200600_302600_NS4plusIdEEEEZZNS1_33reduce_by_key_impl_wrapped_configILNS1_25lookback_scan_determinismE0ES3_S9_NS6_6detail15normal_iteratorINS6_10device_ptrIdEEEESG_SG_SG_PmS8_22is_equal_div_10_reduceIdEEE10hipError_tPvRmT2_T3_mT4_T5_T6_T7_T8_P12ihipStream_tbENKUlT_T0_E_clISt17integral_constantIbLb1EES10_IbLb0EEEEDaSW_SX_EUlSW_E_NS1_11comp_targetILNS1_3genE0ELNS1_11target_archE4294967295ELNS1_3gpuE0ELNS1_3repE0EEENS1_30default_config_static_selectorELNS0_4arch9wavefront6targetE0EEEvT1_ ; -- Begin function _ZN7rocprim17ROCPRIM_400000_NS6detail17trampoline_kernelINS0_14default_configENS1_29reduce_by_key_config_selectorIddN6thrust23THRUST_200600_302600_NS4plusIdEEEEZZNS1_33reduce_by_key_impl_wrapped_configILNS1_25lookback_scan_determinismE0ES3_S9_NS6_6detail15normal_iteratorINS6_10device_ptrIdEEEESG_SG_SG_PmS8_22is_equal_div_10_reduceIdEEE10hipError_tPvRmT2_T3_mT4_T5_T6_T7_T8_P12ihipStream_tbENKUlT_T0_E_clISt17integral_constantIbLb1EES10_IbLb0EEEEDaSW_SX_EUlSW_E_NS1_11comp_targetILNS1_3genE0ELNS1_11target_archE4294967295ELNS1_3gpuE0ELNS1_3repE0EEENS1_30default_config_static_selectorELNS0_4arch9wavefront6targetE0EEEvT1_
	.globl	_ZN7rocprim17ROCPRIM_400000_NS6detail17trampoline_kernelINS0_14default_configENS1_29reduce_by_key_config_selectorIddN6thrust23THRUST_200600_302600_NS4plusIdEEEEZZNS1_33reduce_by_key_impl_wrapped_configILNS1_25lookback_scan_determinismE0ES3_S9_NS6_6detail15normal_iteratorINS6_10device_ptrIdEEEESG_SG_SG_PmS8_22is_equal_div_10_reduceIdEEE10hipError_tPvRmT2_T3_mT4_T5_T6_T7_T8_P12ihipStream_tbENKUlT_T0_E_clISt17integral_constantIbLb1EES10_IbLb0EEEEDaSW_SX_EUlSW_E_NS1_11comp_targetILNS1_3genE0ELNS1_11target_archE4294967295ELNS1_3gpuE0ELNS1_3repE0EEENS1_30default_config_static_selectorELNS0_4arch9wavefront6targetE0EEEvT1_
	.p2align	8
	.type	_ZN7rocprim17ROCPRIM_400000_NS6detail17trampoline_kernelINS0_14default_configENS1_29reduce_by_key_config_selectorIddN6thrust23THRUST_200600_302600_NS4plusIdEEEEZZNS1_33reduce_by_key_impl_wrapped_configILNS1_25lookback_scan_determinismE0ES3_S9_NS6_6detail15normal_iteratorINS6_10device_ptrIdEEEESG_SG_SG_PmS8_22is_equal_div_10_reduceIdEEE10hipError_tPvRmT2_T3_mT4_T5_T6_T7_T8_P12ihipStream_tbENKUlT_T0_E_clISt17integral_constantIbLb1EES10_IbLb0EEEEDaSW_SX_EUlSW_E_NS1_11comp_targetILNS1_3genE0ELNS1_11target_archE4294967295ELNS1_3gpuE0ELNS1_3repE0EEENS1_30default_config_static_selectorELNS0_4arch9wavefront6targetE0EEEvT1_,@function
_ZN7rocprim17ROCPRIM_400000_NS6detail17trampoline_kernelINS0_14default_configENS1_29reduce_by_key_config_selectorIddN6thrust23THRUST_200600_302600_NS4plusIdEEEEZZNS1_33reduce_by_key_impl_wrapped_configILNS1_25lookback_scan_determinismE0ES3_S9_NS6_6detail15normal_iteratorINS6_10device_ptrIdEEEESG_SG_SG_PmS8_22is_equal_div_10_reduceIdEEE10hipError_tPvRmT2_T3_mT4_T5_T6_T7_T8_P12ihipStream_tbENKUlT_T0_E_clISt17integral_constantIbLb1EES10_IbLb0EEEEDaSW_SX_EUlSW_E_NS1_11comp_targetILNS1_3genE0ELNS1_11target_archE4294967295ELNS1_3gpuE0ELNS1_3repE0EEENS1_30default_config_static_selectorELNS0_4arch9wavefront6targetE0EEEvT1_: ; @_ZN7rocprim17ROCPRIM_400000_NS6detail17trampoline_kernelINS0_14default_configENS1_29reduce_by_key_config_selectorIddN6thrust23THRUST_200600_302600_NS4plusIdEEEEZZNS1_33reduce_by_key_impl_wrapped_configILNS1_25lookback_scan_determinismE0ES3_S9_NS6_6detail15normal_iteratorINS6_10device_ptrIdEEEESG_SG_SG_PmS8_22is_equal_div_10_reduceIdEEE10hipError_tPvRmT2_T3_mT4_T5_T6_T7_T8_P12ihipStream_tbENKUlT_T0_E_clISt17integral_constantIbLb1EES10_IbLb0EEEEDaSW_SX_EUlSW_E_NS1_11comp_targetILNS1_3genE0ELNS1_11target_archE4294967295ELNS1_3gpuE0ELNS1_3repE0EEENS1_30default_config_static_selectorELNS0_4arch9wavefront6targetE0EEEvT1_
; %bb.0:
	.section	.rodata,"a",@progbits
	.p2align	6, 0x0
	.amdhsa_kernel _ZN7rocprim17ROCPRIM_400000_NS6detail17trampoline_kernelINS0_14default_configENS1_29reduce_by_key_config_selectorIddN6thrust23THRUST_200600_302600_NS4plusIdEEEEZZNS1_33reduce_by_key_impl_wrapped_configILNS1_25lookback_scan_determinismE0ES3_S9_NS6_6detail15normal_iteratorINS6_10device_ptrIdEEEESG_SG_SG_PmS8_22is_equal_div_10_reduceIdEEE10hipError_tPvRmT2_T3_mT4_T5_T6_T7_T8_P12ihipStream_tbENKUlT_T0_E_clISt17integral_constantIbLb1EES10_IbLb0EEEEDaSW_SX_EUlSW_E_NS1_11comp_targetILNS1_3genE0ELNS1_11target_archE4294967295ELNS1_3gpuE0ELNS1_3repE0EEENS1_30default_config_static_selectorELNS0_4arch9wavefront6targetE0EEEvT1_
		.amdhsa_group_segment_fixed_size 0
		.amdhsa_private_segment_fixed_size 0
		.amdhsa_kernarg_size 136
		.amdhsa_user_sgpr_count 15
		.amdhsa_user_sgpr_dispatch_ptr 0
		.amdhsa_user_sgpr_queue_ptr 0
		.amdhsa_user_sgpr_kernarg_segment_ptr 1
		.amdhsa_user_sgpr_dispatch_id 0
		.amdhsa_user_sgpr_private_segment_size 0
		.amdhsa_wavefront_size32 1
		.amdhsa_uses_dynamic_stack 0
		.amdhsa_enable_private_segment 0
		.amdhsa_system_sgpr_workgroup_id_x 1
		.amdhsa_system_sgpr_workgroup_id_y 0
		.amdhsa_system_sgpr_workgroup_id_z 0
		.amdhsa_system_sgpr_workgroup_info 0
		.amdhsa_system_vgpr_workitem_id 0
		.amdhsa_next_free_vgpr 1
		.amdhsa_next_free_sgpr 1
		.amdhsa_reserve_vcc 0
		.amdhsa_float_round_mode_32 0
		.amdhsa_float_round_mode_16_64 0
		.amdhsa_float_denorm_mode_32 3
		.amdhsa_float_denorm_mode_16_64 3
		.amdhsa_dx10_clamp 1
		.amdhsa_ieee_mode 1
		.amdhsa_fp16_overflow 0
		.amdhsa_workgroup_processor_mode 1
		.amdhsa_memory_ordered 1
		.amdhsa_forward_progress 0
		.amdhsa_shared_vgpr_count 0
		.amdhsa_exception_fp_ieee_invalid_op 0
		.amdhsa_exception_fp_denorm_src 0
		.amdhsa_exception_fp_ieee_div_zero 0
		.amdhsa_exception_fp_ieee_overflow 0
		.amdhsa_exception_fp_ieee_underflow 0
		.amdhsa_exception_fp_ieee_inexact 0
		.amdhsa_exception_int_div_zero 0
	.end_amdhsa_kernel
	.section	.text._ZN7rocprim17ROCPRIM_400000_NS6detail17trampoline_kernelINS0_14default_configENS1_29reduce_by_key_config_selectorIddN6thrust23THRUST_200600_302600_NS4plusIdEEEEZZNS1_33reduce_by_key_impl_wrapped_configILNS1_25lookback_scan_determinismE0ES3_S9_NS6_6detail15normal_iteratorINS6_10device_ptrIdEEEESG_SG_SG_PmS8_22is_equal_div_10_reduceIdEEE10hipError_tPvRmT2_T3_mT4_T5_T6_T7_T8_P12ihipStream_tbENKUlT_T0_E_clISt17integral_constantIbLb1EES10_IbLb0EEEEDaSW_SX_EUlSW_E_NS1_11comp_targetILNS1_3genE0ELNS1_11target_archE4294967295ELNS1_3gpuE0ELNS1_3repE0EEENS1_30default_config_static_selectorELNS0_4arch9wavefront6targetE0EEEvT1_,"axG",@progbits,_ZN7rocprim17ROCPRIM_400000_NS6detail17trampoline_kernelINS0_14default_configENS1_29reduce_by_key_config_selectorIddN6thrust23THRUST_200600_302600_NS4plusIdEEEEZZNS1_33reduce_by_key_impl_wrapped_configILNS1_25lookback_scan_determinismE0ES3_S9_NS6_6detail15normal_iteratorINS6_10device_ptrIdEEEESG_SG_SG_PmS8_22is_equal_div_10_reduceIdEEE10hipError_tPvRmT2_T3_mT4_T5_T6_T7_T8_P12ihipStream_tbENKUlT_T0_E_clISt17integral_constantIbLb1EES10_IbLb0EEEEDaSW_SX_EUlSW_E_NS1_11comp_targetILNS1_3genE0ELNS1_11target_archE4294967295ELNS1_3gpuE0ELNS1_3repE0EEENS1_30default_config_static_selectorELNS0_4arch9wavefront6targetE0EEEvT1_,comdat
.Lfunc_end69:
	.size	_ZN7rocprim17ROCPRIM_400000_NS6detail17trampoline_kernelINS0_14default_configENS1_29reduce_by_key_config_selectorIddN6thrust23THRUST_200600_302600_NS4plusIdEEEEZZNS1_33reduce_by_key_impl_wrapped_configILNS1_25lookback_scan_determinismE0ES3_S9_NS6_6detail15normal_iteratorINS6_10device_ptrIdEEEESG_SG_SG_PmS8_22is_equal_div_10_reduceIdEEE10hipError_tPvRmT2_T3_mT4_T5_T6_T7_T8_P12ihipStream_tbENKUlT_T0_E_clISt17integral_constantIbLb1EES10_IbLb0EEEEDaSW_SX_EUlSW_E_NS1_11comp_targetILNS1_3genE0ELNS1_11target_archE4294967295ELNS1_3gpuE0ELNS1_3repE0EEENS1_30default_config_static_selectorELNS0_4arch9wavefront6targetE0EEEvT1_, .Lfunc_end69-_ZN7rocprim17ROCPRIM_400000_NS6detail17trampoline_kernelINS0_14default_configENS1_29reduce_by_key_config_selectorIddN6thrust23THRUST_200600_302600_NS4plusIdEEEEZZNS1_33reduce_by_key_impl_wrapped_configILNS1_25lookback_scan_determinismE0ES3_S9_NS6_6detail15normal_iteratorINS6_10device_ptrIdEEEESG_SG_SG_PmS8_22is_equal_div_10_reduceIdEEE10hipError_tPvRmT2_T3_mT4_T5_T6_T7_T8_P12ihipStream_tbENKUlT_T0_E_clISt17integral_constantIbLb1EES10_IbLb0EEEEDaSW_SX_EUlSW_E_NS1_11comp_targetILNS1_3genE0ELNS1_11target_archE4294967295ELNS1_3gpuE0ELNS1_3repE0EEENS1_30default_config_static_selectorELNS0_4arch9wavefront6targetE0EEEvT1_
                                        ; -- End function
	.section	.AMDGPU.csdata,"",@progbits
; Kernel info:
; codeLenInByte = 0
; NumSgprs: 0
; NumVgprs: 0
; ScratchSize: 0
; MemoryBound: 0
; FloatMode: 240
; IeeeMode: 1
; LDSByteSize: 0 bytes/workgroup (compile time only)
; SGPRBlocks: 0
; VGPRBlocks: 0
; NumSGPRsForWavesPerEU: 1
; NumVGPRsForWavesPerEU: 1
; Occupancy: 16
; WaveLimiterHint : 0
; COMPUTE_PGM_RSRC2:SCRATCH_EN: 0
; COMPUTE_PGM_RSRC2:USER_SGPR: 15
; COMPUTE_PGM_RSRC2:TRAP_HANDLER: 0
; COMPUTE_PGM_RSRC2:TGID_X_EN: 1
; COMPUTE_PGM_RSRC2:TGID_Y_EN: 0
; COMPUTE_PGM_RSRC2:TGID_Z_EN: 0
; COMPUTE_PGM_RSRC2:TIDIG_COMP_CNT: 0
	.section	.text._ZN7rocprim17ROCPRIM_400000_NS6detail17trampoline_kernelINS0_14default_configENS1_29reduce_by_key_config_selectorIddN6thrust23THRUST_200600_302600_NS4plusIdEEEEZZNS1_33reduce_by_key_impl_wrapped_configILNS1_25lookback_scan_determinismE0ES3_S9_NS6_6detail15normal_iteratorINS6_10device_ptrIdEEEESG_SG_SG_PmS8_22is_equal_div_10_reduceIdEEE10hipError_tPvRmT2_T3_mT4_T5_T6_T7_T8_P12ihipStream_tbENKUlT_T0_E_clISt17integral_constantIbLb1EES10_IbLb0EEEEDaSW_SX_EUlSW_E_NS1_11comp_targetILNS1_3genE5ELNS1_11target_archE942ELNS1_3gpuE9ELNS1_3repE0EEENS1_30default_config_static_selectorELNS0_4arch9wavefront6targetE0EEEvT1_,"axG",@progbits,_ZN7rocprim17ROCPRIM_400000_NS6detail17trampoline_kernelINS0_14default_configENS1_29reduce_by_key_config_selectorIddN6thrust23THRUST_200600_302600_NS4plusIdEEEEZZNS1_33reduce_by_key_impl_wrapped_configILNS1_25lookback_scan_determinismE0ES3_S9_NS6_6detail15normal_iteratorINS6_10device_ptrIdEEEESG_SG_SG_PmS8_22is_equal_div_10_reduceIdEEE10hipError_tPvRmT2_T3_mT4_T5_T6_T7_T8_P12ihipStream_tbENKUlT_T0_E_clISt17integral_constantIbLb1EES10_IbLb0EEEEDaSW_SX_EUlSW_E_NS1_11comp_targetILNS1_3genE5ELNS1_11target_archE942ELNS1_3gpuE9ELNS1_3repE0EEENS1_30default_config_static_selectorELNS0_4arch9wavefront6targetE0EEEvT1_,comdat
	.protected	_ZN7rocprim17ROCPRIM_400000_NS6detail17trampoline_kernelINS0_14default_configENS1_29reduce_by_key_config_selectorIddN6thrust23THRUST_200600_302600_NS4plusIdEEEEZZNS1_33reduce_by_key_impl_wrapped_configILNS1_25lookback_scan_determinismE0ES3_S9_NS6_6detail15normal_iteratorINS6_10device_ptrIdEEEESG_SG_SG_PmS8_22is_equal_div_10_reduceIdEEE10hipError_tPvRmT2_T3_mT4_T5_T6_T7_T8_P12ihipStream_tbENKUlT_T0_E_clISt17integral_constantIbLb1EES10_IbLb0EEEEDaSW_SX_EUlSW_E_NS1_11comp_targetILNS1_3genE5ELNS1_11target_archE942ELNS1_3gpuE9ELNS1_3repE0EEENS1_30default_config_static_selectorELNS0_4arch9wavefront6targetE0EEEvT1_ ; -- Begin function _ZN7rocprim17ROCPRIM_400000_NS6detail17trampoline_kernelINS0_14default_configENS1_29reduce_by_key_config_selectorIddN6thrust23THRUST_200600_302600_NS4plusIdEEEEZZNS1_33reduce_by_key_impl_wrapped_configILNS1_25lookback_scan_determinismE0ES3_S9_NS6_6detail15normal_iteratorINS6_10device_ptrIdEEEESG_SG_SG_PmS8_22is_equal_div_10_reduceIdEEE10hipError_tPvRmT2_T3_mT4_T5_T6_T7_T8_P12ihipStream_tbENKUlT_T0_E_clISt17integral_constantIbLb1EES10_IbLb0EEEEDaSW_SX_EUlSW_E_NS1_11comp_targetILNS1_3genE5ELNS1_11target_archE942ELNS1_3gpuE9ELNS1_3repE0EEENS1_30default_config_static_selectorELNS0_4arch9wavefront6targetE0EEEvT1_
	.globl	_ZN7rocprim17ROCPRIM_400000_NS6detail17trampoline_kernelINS0_14default_configENS1_29reduce_by_key_config_selectorIddN6thrust23THRUST_200600_302600_NS4plusIdEEEEZZNS1_33reduce_by_key_impl_wrapped_configILNS1_25lookback_scan_determinismE0ES3_S9_NS6_6detail15normal_iteratorINS6_10device_ptrIdEEEESG_SG_SG_PmS8_22is_equal_div_10_reduceIdEEE10hipError_tPvRmT2_T3_mT4_T5_T6_T7_T8_P12ihipStream_tbENKUlT_T0_E_clISt17integral_constantIbLb1EES10_IbLb0EEEEDaSW_SX_EUlSW_E_NS1_11comp_targetILNS1_3genE5ELNS1_11target_archE942ELNS1_3gpuE9ELNS1_3repE0EEENS1_30default_config_static_selectorELNS0_4arch9wavefront6targetE0EEEvT1_
	.p2align	8
	.type	_ZN7rocprim17ROCPRIM_400000_NS6detail17trampoline_kernelINS0_14default_configENS1_29reduce_by_key_config_selectorIddN6thrust23THRUST_200600_302600_NS4plusIdEEEEZZNS1_33reduce_by_key_impl_wrapped_configILNS1_25lookback_scan_determinismE0ES3_S9_NS6_6detail15normal_iteratorINS6_10device_ptrIdEEEESG_SG_SG_PmS8_22is_equal_div_10_reduceIdEEE10hipError_tPvRmT2_T3_mT4_T5_T6_T7_T8_P12ihipStream_tbENKUlT_T0_E_clISt17integral_constantIbLb1EES10_IbLb0EEEEDaSW_SX_EUlSW_E_NS1_11comp_targetILNS1_3genE5ELNS1_11target_archE942ELNS1_3gpuE9ELNS1_3repE0EEENS1_30default_config_static_selectorELNS0_4arch9wavefront6targetE0EEEvT1_,@function
_ZN7rocprim17ROCPRIM_400000_NS6detail17trampoline_kernelINS0_14default_configENS1_29reduce_by_key_config_selectorIddN6thrust23THRUST_200600_302600_NS4plusIdEEEEZZNS1_33reduce_by_key_impl_wrapped_configILNS1_25lookback_scan_determinismE0ES3_S9_NS6_6detail15normal_iteratorINS6_10device_ptrIdEEEESG_SG_SG_PmS8_22is_equal_div_10_reduceIdEEE10hipError_tPvRmT2_T3_mT4_T5_T6_T7_T8_P12ihipStream_tbENKUlT_T0_E_clISt17integral_constantIbLb1EES10_IbLb0EEEEDaSW_SX_EUlSW_E_NS1_11comp_targetILNS1_3genE5ELNS1_11target_archE942ELNS1_3gpuE9ELNS1_3repE0EEENS1_30default_config_static_selectorELNS0_4arch9wavefront6targetE0EEEvT1_: ; @_ZN7rocprim17ROCPRIM_400000_NS6detail17trampoline_kernelINS0_14default_configENS1_29reduce_by_key_config_selectorIddN6thrust23THRUST_200600_302600_NS4plusIdEEEEZZNS1_33reduce_by_key_impl_wrapped_configILNS1_25lookback_scan_determinismE0ES3_S9_NS6_6detail15normal_iteratorINS6_10device_ptrIdEEEESG_SG_SG_PmS8_22is_equal_div_10_reduceIdEEE10hipError_tPvRmT2_T3_mT4_T5_T6_T7_T8_P12ihipStream_tbENKUlT_T0_E_clISt17integral_constantIbLb1EES10_IbLb0EEEEDaSW_SX_EUlSW_E_NS1_11comp_targetILNS1_3genE5ELNS1_11target_archE942ELNS1_3gpuE9ELNS1_3repE0EEENS1_30default_config_static_selectorELNS0_4arch9wavefront6targetE0EEEvT1_
; %bb.0:
	.section	.rodata,"a",@progbits
	.p2align	6, 0x0
	.amdhsa_kernel _ZN7rocprim17ROCPRIM_400000_NS6detail17trampoline_kernelINS0_14default_configENS1_29reduce_by_key_config_selectorIddN6thrust23THRUST_200600_302600_NS4plusIdEEEEZZNS1_33reduce_by_key_impl_wrapped_configILNS1_25lookback_scan_determinismE0ES3_S9_NS6_6detail15normal_iteratorINS6_10device_ptrIdEEEESG_SG_SG_PmS8_22is_equal_div_10_reduceIdEEE10hipError_tPvRmT2_T3_mT4_T5_T6_T7_T8_P12ihipStream_tbENKUlT_T0_E_clISt17integral_constantIbLb1EES10_IbLb0EEEEDaSW_SX_EUlSW_E_NS1_11comp_targetILNS1_3genE5ELNS1_11target_archE942ELNS1_3gpuE9ELNS1_3repE0EEENS1_30default_config_static_selectorELNS0_4arch9wavefront6targetE0EEEvT1_
		.amdhsa_group_segment_fixed_size 0
		.amdhsa_private_segment_fixed_size 0
		.amdhsa_kernarg_size 136
		.amdhsa_user_sgpr_count 15
		.amdhsa_user_sgpr_dispatch_ptr 0
		.amdhsa_user_sgpr_queue_ptr 0
		.amdhsa_user_sgpr_kernarg_segment_ptr 1
		.amdhsa_user_sgpr_dispatch_id 0
		.amdhsa_user_sgpr_private_segment_size 0
		.amdhsa_wavefront_size32 1
		.amdhsa_uses_dynamic_stack 0
		.amdhsa_enable_private_segment 0
		.amdhsa_system_sgpr_workgroup_id_x 1
		.amdhsa_system_sgpr_workgroup_id_y 0
		.amdhsa_system_sgpr_workgroup_id_z 0
		.amdhsa_system_sgpr_workgroup_info 0
		.amdhsa_system_vgpr_workitem_id 0
		.amdhsa_next_free_vgpr 1
		.amdhsa_next_free_sgpr 1
		.amdhsa_reserve_vcc 0
		.amdhsa_float_round_mode_32 0
		.amdhsa_float_round_mode_16_64 0
		.amdhsa_float_denorm_mode_32 3
		.amdhsa_float_denorm_mode_16_64 3
		.amdhsa_dx10_clamp 1
		.amdhsa_ieee_mode 1
		.amdhsa_fp16_overflow 0
		.amdhsa_workgroup_processor_mode 1
		.amdhsa_memory_ordered 1
		.amdhsa_forward_progress 0
		.amdhsa_shared_vgpr_count 0
		.amdhsa_exception_fp_ieee_invalid_op 0
		.amdhsa_exception_fp_denorm_src 0
		.amdhsa_exception_fp_ieee_div_zero 0
		.amdhsa_exception_fp_ieee_overflow 0
		.amdhsa_exception_fp_ieee_underflow 0
		.amdhsa_exception_fp_ieee_inexact 0
		.amdhsa_exception_int_div_zero 0
	.end_amdhsa_kernel
	.section	.text._ZN7rocprim17ROCPRIM_400000_NS6detail17trampoline_kernelINS0_14default_configENS1_29reduce_by_key_config_selectorIddN6thrust23THRUST_200600_302600_NS4plusIdEEEEZZNS1_33reduce_by_key_impl_wrapped_configILNS1_25lookback_scan_determinismE0ES3_S9_NS6_6detail15normal_iteratorINS6_10device_ptrIdEEEESG_SG_SG_PmS8_22is_equal_div_10_reduceIdEEE10hipError_tPvRmT2_T3_mT4_T5_T6_T7_T8_P12ihipStream_tbENKUlT_T0_E_clISt17integral_constantIbLb1EES10_IbLb0EEEEDaSW_SX_EUlSW_E_NS1_11comp_targetILNS1_3genE5ELNS1_11target_archE942ELNS1_3gpuE9ELNS1_3repE0EEENS1_30default_config_static_selectorELNS0_4arch9wavefront6targetE0EEEvT1_,"axG",@progbits,_ZN7rocprim17ROCPRIM_400000_NS6detail17trampoline_kernelINS0_14default_configENS1_29reduce_by_key_config_selectorIddN6thrust23THRUST_200600_302600_NS4plusIdEEEEZZNS1_33reduce_by_key_impl_wrapped_configILNS1_25lookback_scan_determinismE0ES3_S9_NS6_6detail15normal_iteratorINS6_10device_ptrIdEEEESG_SG_SG_PmS8_22is_equal_div_10_reduceIdEEE10hipError_tPvRmT2_T3_mT4_T5_T6_T7_T8_P12ihipStream_tbENKUlT_T0_E_clISt17integral_constantIbLb1EES10_IbLb0EEEEDaSW_SX_EUlSW_E_NS1_11comp_targetILNS1_3genE5ELNS1_11target_archE942ELNS1_3gpuE9ELNS1_3repE0EEENS1_30default_config_static_selectorELNS0_4arch9wavefront6targetE0EEEvT1_,comdat
.Lfunc_end70:
	.size	_ZN7rocprim17ROCPRIM_400000_NS6detail17trampoline_kernelINS0_14default_configENS1_29reduce_by_key_config_selectorIddN6thrust23THRUST_200600_302600_NS4plusIdEEEEZZNS1_33reduce_by_key_impl_wrapped_configILNS1_25lookback_scan_determinismE0ES3_S9_NS6_6detail15normal_iteratorINS6_10device_ptrIdEEEESG_SG_SG_PmS8_22is_equal_div_10_reduceIdEEE10hipError_tPvRmT2_T3_mT4_T5_T6_T7_T8_P12ihipStream_tbENKUlT_T0_E_clISt17integral_constantIbLb1EES10_IbLb0EEEEDaSW_SX_EUlSW_E_NS1_11comp_targetILNS1_3genE5ELNS1_11target_archE942ELNS1_3gpuE9ELNS1_3repE0EEENS1_30default_config_static_selectorELNS0_4arch9wavefront6targetE0EEEvT1_, .Lfunc_end70-_ZN7rocprim17ROCPRIM_400000_NS6detail17trampoline_kernelINS0_14default_configENS1_29reduce_by_key_config_selectorIddN6thrust23THRUST_200600_302600_NS4plusIdEEEEZZNS1_33reduce_by_key_impl_wrapped_configILNS1_25lookback_scan_determinismE0ES3_S9_NS6_6detail15normal_iteratorINS6_10device_ptrIdEEEESG_SG_SG_PmS8_22is_equal_div_10_reduceIdEEE10hipError_tPvRmT2_T3_mT4_T5_T6_T7_T8_P12ihipStream_tbENKUlT_T0_E_clISt17integral_constantIbLb1EES10_IbLb0EEEEDaSW_SX_EUlSW_E_NS1_11comp_targetILNS1_3genE5ELNS1_11target_archE942ELNS1_3gpuE9ELNS1_3repE0EEENS1_30default_config_static_selectorELNS0_4arch9wavefront6targetE0EEEvT1_
                                        ; -- End function
	.section	.AMDGPU.csdata,"",@progbits
; Kernel info:
; codeLenInByte = 0
; NumSgprs: 0
; NumVgprs: 0
; ScratchSize: 0
; MemoryBound: 0
; FloatMode: 240
; IeeeMode: 1
; LDSByteSize: 0 bytes/workgroup (compile time only)
; SGPRBlocks: 0
; VGPRBlocks: 0
; NumSGPRsForWavesPerEU: 1
; NumVGPRsForWavesPerEU: 1
; Occupancy: 16
; WaveLimiterHint : 0
; COMPUTE_PGM_RSRC2:SCRATCH_EN: 0
; COMPUTE_PGM_RSRC2:USER_SGPR: 15
; COMPUTE_PGM_RSRC2:TRAP_HANDLER: 0
; COMPUTE_PGM_RSRC2:TGID_X_EN: 1
; COMPUTE_PGM_RSRC2:TGID_Y_EN: 0
; COMPUTE_PGM_RSRC2:TGID_Z_EN: 0
; COMPUTE_PGM_RSRC2:TIDIG_COMP_CNT: 0
	.section	.text._ZN7rocprim17ROCPRIM_400000_NS6detail17trampoline_kernelINS0_14default_configENS1_29reduce_by_key_config_selectorIddN6thrust23THRUST_200600_302600_NS4plusIdEEEEZZNS1_33reduce_by_key_impl_wrapped_configILNS1_25lookback_scan_determinismE0ES3_S9_NS6_6detail15normal_iteratorINS6_10device_ptrIdEEEESG_SG_SG_PmS8_22is_equal_div_10_reduceIdEEE10hipError_tPvRmT2_T3_mT4_T5_T6_T7_T8_P12ihipStream_tbENKUlT_T0_E_clISt17integral_constantIbLb1EES10_IbLb0EEEEDaSW_SX_EUlSW_E_NS1_11comp_targetILNS1_3genE4ELNS1_11target_archE910ELNS1_3gpuE8ELNS1_3repE0EEENS1_30default_config_static_selectorELNS0_4arch9wavefront6targetE0EEEvT1_,"axG",@progbits,_ZN7rocprim17ROCPRIM_400000_NS6detail17trampoline_kernelINS0_14default_configENS1_29reduce_by_key_config_selectorIddN6thrust23THRUST_200600_302600_NS4plusIdEEEEZZNS1_33reduce_by_key_impl_wrapped_configILNS1_25lookback_scan_determinismE0ES3_S9_NS6_6detail15normal_iteratorINS6_10device_ptrIdEEEESG_SG_SG_PmS8_22is_equal_div_10_reduceIdEEE10hipError_tPvRmT2_T3_mT4_T5_T6_T7_T8_P12ihipStream_tbENKUlT_T0_E_clISt17integral_constantIbLb1EES10_IbLb0EEEEDaSW_SX_EUlSW_E_NS1_11comp_targetILNS1_3genE4ELNS1_11target_archE910ELNS1_3gpuE8ELNS1_3repE0EEENS1_30default_config_static_selectorELNS0_4arch9wavefront6targetE0EEEvT1_,comdat
	.protected	_ZN7rocprim17ROCPRIM_400000_NS6detail17trampoline_kernelINS0_14default_configENS1_29reduce_by_key_config_selectorIddN6thrust23THRUST_200600_302600_NS4plusIdEEEEZZNS1_33reduce_by_key_impl_wrapped_configILNS1_25lookback_scan_determinismE0ES3_S9_NS6_6detail15normal_iteratorINS6_10device_ptrIdEEEESG_SG_SG_PmS8_22is_equal_div_10_reduceIdEEE10hipError_tPvRmT2_T3_mT4_T5_T6_T7_T8_P12ihipStream_tbENKUlT_T0_E_clISt17integral_constantIbLb1EES10_IbLb0EEEEDaSW_SX_EUlSW_E_NS1_11comp_targetILNS1_3genE4ELNS1_11target_archE910ELNS1_3gpuE8ELNS1_3repE0EEENS1_30default_config_static_selectorELNS0_4arch9wavefront6targetE0EEEvT1_ ; -- Begin function _ZN7rocprim17ROCPRIM_400000_NS6detail17trampoline_kernelINS0_14default_configENS1_29reduce_by_key_config_selectorIddN6thrust23THRUST_200600_302600_NS4plusIdEEEEZZNS1_33reduce_by_key_impl_wrapped_configILNS1_25lookback_scan_determinismE0ES3_S9_NS6_6detail15normal_iteratorINS6_10device_ptrIdEEEESG_SG_SG_PmS8_22is_equal_div_10_reduceIdEEE10hipError_tPvRmT2_T3_mT4_T5_T6_T7_T8_P12ihipStream_tbENKUlT_T0_E_clISt17integral_constantIbLb1EES10_IbLb0EEEEDaSW_SX_EUlSW_E_NS1_11comp_targetILNS1_3genE4ELNS1_11target_archE910ELNS1_3gpuE8ELNS1_3repE0EEENS1_30default_config_static_selectorELNS0_4arch9wavefront6targetE0EEEvT1_
	.globl	_ZN7rocprim17ROCPRIM_400000_NS6detail17trampoline_kernelINS0_14default_configENS1_29reduce_by_key_config_selectorIddN6thrust23THRUST_200600_302600_NS4plusIdEEEEZZNS1_33reduce_by_key_impl_wrapped_configILNS1_25lookback_scan_determinismE0ES3_S9_NS6_6detail15normal_iteratorINS6_10device_ptrIdEEEESG_SG_SG_PmS8_22is_equal_div_10_reduceIdEEE10hipError_tPvRmT2_T3_mT4_T5_T6_T7_T8_P12ihipStream_tbENKUlT_T0_E_clISt17integral_constantIbLb1EES10_IbLb0EEEEDaSW_SX_EUlSW_E_NS1_11comp_targetILNS1_3genE4ELNS1_11target_archE910ELNS1_3gpuE8ELNS1_3repE0EEENS1_30default_config_static_selectorELNS0_4arch9wavefront6targetE0EEEvT1_
	.p2align	8
	.type	_ZN7rocprim17ROCPRIM_400000_NS6detail17trampoline_kernelINS0_14default_configENS1_29reduce_by_key_config_selectorIddN6thrust23THRUST_200600_302600_NS4plusIdEEEEZZNS1_33reduce_by_key_impl_wrapped_configILNS1_25lookback_scan_determinismE0ES3_S9_NS6_6detail15normal_iteratorINS6_10device_ptrIdEEEESG_SG_SG_PmS8_22is_equal_div_10_reduceIdEEE10hipError_tPvRmT2_T3_mT4_T5_T6_T7_T8_P12ihipStream_tbENKUlT_T0_E_clISt17integral_constantIbLb1EES10_IbLb0EEEEDaSW_SX_EUlSW_E_NS1_11comp_targetILNS1_3genE4ELNS1_11target_archE910ELNS1_3gpuE8ELNS1_3repE0EEENS1_30default_config_static_selectorELNS0_4arch9wavefront6targetE0EEEvT1_,@function
_ZN7rocprim17ROCPRIM_400000_NS6detail17trampoline_kernelINS0_14default_configENS1_29reduce_by_key_config_selectorIddN6thrust23THRUST_200600_302600_NS4plusIdEEEEZZNS1_33reduce_by_key_impl_wrapped_configILNS1_25lookback_scan_determinismE0ES3_S9_NS6_6detail15normal_iteratorINS6_10device_ptrIdEEEESG_SG_SG_PmS8_22is_equal_div_10_reduceIdEEE10hipError_tPvRmT2_T3_mT4_T5_T6_T7_T8_P12ihipStream_tbENKUlT_T0_E_clISt17integral_constantIbLb1EES10_IbLb0EEEEDaSW_SX_EUlSW_E_NS1_11comp_targetILNS1_3genE4ELNS1_11target_archE910ELNS1_3gpuE8ELNS1_3repE0EEENS1_30default_config_static_selectorELNS0_4arch9wavefront6targetE0EEEvT1_: ; @_ZN7rocprim17ROCPRIM_400000_NS6detail17trampoline_kernelINS0_14default_configENS1_29reduce_by_key_config_selectorIddN6thrust23THRUST_200600_302600_NS4plusIdEEEEZZNS1_33reduce_by_key_impl_wrapped_configILNS1_25lookback_scan_determinismE0ES3_S9_NS6_6detail15normal_iteratorINS6_10device_ptrIdEEEESG_SG_SG_PmS8_22is_equal_div_10_reduceIdEEE10hipError_tPvRmT2_T3_mT4_T5_T6_T7_T8_P12ihipStream_tbENKUlT_T0_E_clISt17integral_constantIbLb1EES10_IbLb0EEEEDaSW_SX_EUlSW_E_NS1_11comp_targetILNS1_3genE4ELNS1_11target_archE910ELNS1_3gpuE8ELNS1_3repE0EEENS1_30default_config_static_selectorELNS0_4arch9wavefront6targetE0EEEvT1_
; %bb.0:
	.section	.rodata,"a",@progbits
	.p2align	6, 0x0
	.amdhsa_kernel _ZN7rocprim17ROCPRIM_400000_NS6detail17trampoline_kernelINS0_14default_configENS1_29reduce_by_key_config_selectorIddN6thrust23THRUST_200600_302600_NS4plusIdEEEEZZNS1_33reduce_by_key_impl_wrapped_configILNS1_25lookback_scan_determinismE0ES3_S9_NS6_6detail15normal_iteratorINS6_10device_ptrIdEEEESG_SG_SG_PmS8_22is_equal_div_10_reduceIdEEE10hipError_tPvRmT2_T3_mT4_T5_T6_T7_T8_P12ihipStream_tbENKUlT_T0_E_clISt17integral_constantIbLb1EES10_IbLb0EEEEDaSW_SX_EUlSW_E_NS1_11comp_targetILNS1_3genE4ELNS1_11target_archE910ELNS1_3gpuE8ELNS1_3repE0EEENS1_30default_config_static_selectorELNS0_4arch9wavefront6targetE0EEEvT1_
		.amdhsa_group_segment_fixed_size 0
		.amdhsa_private_segment_fixed_size 0
		.amdhsa_kernarg_size 136
		.amdhsa_user_sgpr_count 15
		.amdhsa_user_sgpr_dispatch_ptr 0
		.amdhsa_user_sgpr_queue_ptr 0
		.amdhsa_user_sgpr_kernarg_segment_ptr 1
		.amdhsa_user_sgpr_dispatch_id 0
		.amdhsa_user_sgpr_private_segment_size 0
		.amdhsa_wavefront_size32 1
		.amdhsa_uses_dynamic_stack 0
		.amdhsa_enable_private_segment 0
		.amdhsa_system_sgpr_workgroup_id_x 1
		.amdhsa_system_sgpr_workgroup_id_y 0
		.amdhsa_system_sgpr_workgroup_id_z 0
		.amdhsa_system_sgpr_workgroup_info 0
		.amdhsa_system_vgpr_workitem_id 0
		.amdhsa_next_free_vgpr 1
		.amdhsa_next_free_sgpr 1
		.amdhsa_reserve_vcc 0
		.amdhsa_float_round_mode_32 0
		.amdhsa_float_round_mode_16_64 0
		.amdhsa_float_denorm_mode_32 3
		.amdhsa_float_denorm_mode_16_64 3
		.amdhsa_dx10_clamp 1
		.amdhsa_ieee_mode 1
		.amdhsa_fp16_overflow 0
		.amdhsa_workgroup_processor_mode 1
		.amdhsa_memory_ordered 1
		.amdhsa_forward_progress 0
		.amdhsa_shared_vgpr_count 0
		.amdhsa_exception_fp_ieee_invalid_op 0
		.amdhsa_exception_fp_denorm_src 0
		.amdhsa_exception_fp_ieee_div_zero 0
		.amdhsa_exception_fp_ieee_overflow 0
		.amdhsa_exception_fp_ieee_underflow 0
		.amdhsa_exception_fp_ieee_inexact 0
		.amdhsa_exception_int_div_zero 0
	.end_amdhsa_kernel
	.section	.text._ZN7rocprim17ROCPRIM_400000_NS6detail17trampoline_kernelINS0_14default_configENS1_29reduce_by_key_config_selectorIddN6thrust23THRUST_200600_302600_NS4plusIdEEEEZZNS1_33reduce_by_key_impl_wrapped_configILNS1_25lookback_scan_determinismE0ES3_S9_NS6_6detail15normal_iteratorINS6_10device_ptrIdEEEESG_SG_SG_PmS8_22is_equal_div_10_reduceIdEEE10hipError_tPvRmT2_T3_mT4_T5_T6_T7_T8_P12ihipStream_tbENKUlT_T0_E_clISt17integral_constantIbLb1EES10_IbLb0EEEEDaSW_SX_EUlSW_E_NS1_11comp_targetILNS1_3genE4ELNS1_11target_archE910ELNS1_3gpuE8ELNS1_3repE0EEENS1_30default_config_static_selectorELNS0_4arch9wavefront6targetE0EEEvT1_,"axG",@progbits,_ZN7rocprim17ROCPRIM_400000_NS6detail17trampoline_kernelINS0_14default_configENS1_29reduce_by_key_config_selectorIddN6thrust23THRUST_200600_302600_NS4plusIdEEEEZZNS1_33reduce_by_key_impl_wrapped_configILNS1_25lookback_scan_determinismE0ES3_S9_NS6_6detail15normal_iteratorINS6_10device_ptrIdEEEESG_SG_SG_PmS8_22is_equal_div_10_reduceIdEEE10hipError_tPvRmT2_T3_mT4_T5_T6_T7_T8_P12ihipStream_tbENKUlT_T0_E_clISt17integral_constantIbLb1EES10_IbLb0EEEEDaSW_SX_EUlSW_E_NS1_11comp_targetILNS1_3genE4ELNS1_11target_archE910ELNS1_3gpuE8ELNS1_3repE0EEENS1_30default_config_static_selectorELNS0_4arch9wavefront6targetE0EEEvT1_,comdat
.Lfunc_end71:
	.size	_ZN7rocprim17ROCPRIM_400000_NS6detail17trampoline_kernelINS0_14default_configENS1_29reduce_by_key_config_selectorIddN6thrust23THRUST_200600_302600_NS4plusIdEEEEZZNS1_33reduce_by_key_impl_wrapped_configILNS1_25lookback_scan_determinismE0ES3_S9_NS6_6detail15normal_iteratorINS6_10device_ptrIdEEEESG_SG_SG_PmS8_22is_equal_div_10_reduceIdEEE10hipError_tPvRmT2_T3_mT4_T5_T6_T7_T8_P12ihipStream_tbENKUlT_T0_E_clISt17integral_constantIbLb1EES10_IbLb0EEEEDaSW_SX_EUlSW_E_NS1_11comp_targetILNS1_3genE4ELNS1_11target_archE910ELNS1_3gpuE8ELNS1_3repE0EEENS1_30default_config_static_selectorELNS0_4arch9wavefront6targetE0EEEvT1_, .Lfunc_end71-_ZN7rocprim17ROCPRIM_400000_NS6detail17trampoline_kernelINS0_14default_configENS1_29reduce_by_key_config_selectorIddN6thrust23THRUST_200600_302600_NS4plusIdEEEEZZNS1_33reduce_by_key_impl_wrapped_configILNS1_25lookback_scan_determinismE0ES3_S9_NS6_6detail15normal_iteratorINS6_10device_ptrIdEEEESG_SG_SG_PmS8_22is_equal_div_10_reduceIdEEE10hipError_tPvRmT2_T3_mT4_T5_T6_T7_T8_P12ihipStream_tbENKUlT_T0_E_clISt17integral_constantIbLb1EES10_IbLb0EEEEDaSW_SX_EUlSW_E_NS1_11comp_targetILNS1_3genE4ELNS1_11target_archE910ELNS1_3gpuE8ELNS1_3repE0EEENS1_30default_config_static_selectorELNS0_4arch9wavefront6targetE0EEEvT1_
                                        ; -- End function
	.section	.AMDGPU.csdata,"",@progbits
; Kernel info:
; codeLenInByte = 0
; NumSgprs: 0
; NumVgprs: 0
; ScratchSize: 0
; MemoryBound: 0
; FloatMode: 240
; IeeeMode: 1
; LDSByteSize: 0 bytes/workgroup (compile time only)
; SGPRBlocks: 0
; VGPRBlocks: 0
; NumSGPRsForWavesPerEU: 1
; NumVGPRsForWavesPerEU: 1
; Occupancy: 16
; WaveLimiterHint : 0
; COMPUTE_PGM_RSRC2:SCRATCH_EN: 0
; COMPUTE_PGM_RSRC2:USER_SGPR: 15
; COMPUTE_PGM_RSRC2:TRAP_HANDLER: 0
; COMPUTE_PGM_RSRC2:TGID_X_EN: 1
; COMPUTE_PGM_RSRC2:TGID_Y_EN: 0
; COMPUTE_PGM_RSRC2:TGID_Z_EN: 0
; COMPUTE_PGM_RSRC2:TIDIG_COMP_CNT: 0
	.section	.text._ZN7rocprim17ROCPRIM_400000_NS6detail17trampoline_kernelINS0_14default_configENS1_29reduce_by_key_config_selectorIddN6thrust23THRUST_200600_302600_NS4plusIdEEEEZZNS1_33reduce_by_key_impl_wrapped_configILNS1_25lookback_scan_determinismE0ES3_S9_NS6_6detail15normal_iteratorINS6_10device_ptrIdEEEESG_SG_SG_PmS8_22is_equal_div_10_reduceIdEEE10hipError_tPvRmT2_T3_mT4_T5_T6_T7_T8_P12ihipStream_tbENKUlT_T0_E_clISt17integral_constantIbLb1EES10_IbLb0EEEEDaSW_SX_EUlSW_E_NS1_11comp_targetILNS1_3genE3ELNS1_11target_archE908ELNS1_3gpuE7ELNS1_3repE0EEENS1_30default_config_static_selectorELNS0_4arch9wavefront6targetE0EEEvT1_,"axG",@progbits,_ZN7rocprim17ROCPRIM_400000_NS6detail17trampoline_kernelINS0_14default_configENS1_29reduce_by_key_config_selectorIddN6thrust23THRUST_200600_302600_NS4plusIdEEEEZZNS1_33reduce_by_key_impl_wrapped_configILNS1_25lookback_scan_determinismE0ES3_S9_NS6_6detail15normal_iteratorINS6_10device_ptrIdEEEESG_SG_SG_PmS8_22is_equal_div_10_reduceIdEEE10hipError_tPvRmT2_T3_mT4_T5_T6_T7_T8_P12ihipStream_tbENKUlT_T0_E_clISt17integral_constantIbLb1EES10_IbLb0EEEEDaSW_SX_EUlSW_E_NS1_11comp_targetILNS1_3genE3ELNS1_11target_archE908ELNS1_3gpuE7ELNS1_3repE0EEENS1_30default_config_static_selectorELNS0_4arch9wavefront6targetE0EEEvT1_,comdat
	.protected	_ZN7rocprim17ROCPRIM_400000_NS6detail17trampoline_kernelINS0_14default_configENS1_29reduce_by_key_config_selectorIddN6thrust23THRUST_200600_302600_NS4plusIdEEEEZZNS1_33reduce_by_key_impl_wrapped_configILNS1_25lookback_scan_determinismE0ES3_S9_NS6_6detail15normal_iteratorINS6_10device_ptrIdEEEESG_SG_SG_PmS8_22is_equal_div_10_reduceIdEEE10hipError_tPvRmT2_T3_mT4_T5_T6_T7_T8_P12ihipStream_tbENKUlT_T0_E_clISt17integral_constantIbLb1EES10_IbLb0EEEEDaSW_SX_EUlSW_E_NS1_11comp_targetILNS1_3genE3ELNS1_11target_archE908ELNS1_3gpuE7ELNS1_3repE0EEENS1_30default_config_static_selectorELNS0_4arch9wavefront6targetE0EEEvT1_ ; -- Begin function _ZN7rocprim17ROCPRIM_400000_NS6detail17trampoline_kernelINS0_14default_configENS1_29reduce_by_key_config_selectorIddN6thrust23THRUST_200600_302600_NS4plusIdEEEEZZNS1_33reduce_by_key_impl_wrapped_configILNS1_25lookback_scan_determinismE0ES3_S9_NS6_6detail15normal_iteratorINS6_10device_ptrIdEEEESG_SG_SG_PmS8_22is_equal_div_10_reduceIdEEE10hipError_tPvRmT2_T3_mT4_T5_T6_T7_T8_P12ihipStream_tbENKUlT_T0_E_clISt17integral_constantIbLb1EES10_IbLb0EEEEDaSW_SX_EUlSW_E_NS1_11comp_targetILNS1_3genE3ELNS1_11target_archE908ELNS1_3gpuE7ELNS1_3repE0EEENS1_30default_config_static_selectorELNS0_4arch9wavefront6targetE0EEEvT1_
	.globl	_ZN7rocprim17ROCPRIM_400000_NS6detail17trampoline_kernelINS0_14default_configENS1_29reduce_by_key_config_selectorIddN6thrust23THRUST_200600_302600_NS4plusIdEEEEZZNS1_33reduce_by_key_impl_wrapped_configILNS1_25lookback_scan_determinismE0ES3_S9_NS6_6detail15normal_iteratorINS6_10device_ptrIdEEEESG_SG_SG_PmS8_22is_equal_div_10_reduceIdEEE10hipError_tPvRmT2_T3_mT4_T5_T6_T7_T8_P12ihipStream_tbENKUlT_T0_E_clISt17integral_constantIbLb1EES10_IbLb0EEEEDaSW_SX_EUlSW_E_NS1_11comp_targetILNS1_3genE3ELNS1_11target_archE908ELNS1_3gpuE7ELNS1_3repE0EEENS1_30default_config_static_selectorELNS0_4arch9wavefront6targetE0EEEvT1_
	.p2align	8
	.type	_ZN7rocprim17ROCPRIM_400000_NS6detail17trampoline_kernelINS0_14default_configENS1_29reduce_by_key_config_selectorIddN6thrust23THRUST_200600_302600_NS4plusIdEEEEZZNS1_33reduce_by_key_impl_wrapped_configILNS1_25lookback_scan_determinismE0ES3_S9_NS6_6detail15normal_iteratorINS6_10device_ptrIdEEEESG_SG_SG_PmS8_22is_equal_div_10_reduceIdEEE10hipError_tPvRmT2_T3_mT4_T5_T6_T7_T8_P12ihipStream_tbENKUlT_T0_E_clISt17integral_constantIbLb1EES10_IbLb0EEEEDaSW_SX_EUlSW_E_NS1_11comp_targetILNS1_3genE3ELNS1_11target_archE908ELNS1_3gpuE7ELNS1_3repE0EEENS1_30default_config_static_selectorELNS0_4arch9wavefront6targetE0EEEvT1_,@function
_ZN7rocprim17ROCPRIM_400000_NS6detail17trampoline_kernelINS0_14default_configENS1_29reduce_by_key_config_selectorIddN6thrust23THRUST_200600_302600_NS4plusIdEEEEZZNS1_33reduce_by_key_impl_wrapped_configILNS1_25lookback_scan_determinismE0ES3_S9_NS6_6detail15normal_iteratorINS6_10device_ptrIdEEEESG_SG_SG_PmS8_22is_equal_div_10_reduceIdEEE10hipError_tPvRmT2_T3_mT4_T5_T6_T7_T8_P12ihipStream_tbENKUlT_T0_E_clISt17integral_constantIbLb1EES10_IbLb0EEEEDaSW_SX_EUlSW_E_NS1_11comp_targetILNS1_3genE3ELNS1_11target_archE908ELNS1_3gpuE7ELNS1_3repE0EEENS1_30default_config_static_selectorELNS0_4arch9wavefront6targetE0EEEvT1_: ; @_ZN7rocprim17ROCPRIM_400000_NS6detail17trampoline_kernelINS0_14default_configENS1_29reduce_by_key_config_selectorIddN6thrust23THRUST_200600_302600_NS4plusIdEEEEZZNS1_33reduce_by_key_impl_wrapped_configILNS1_25lookback_scan_determinismE0ES3_S9_NS6_6detail15normal_iteratorINS6_10device_ptrIdEEEESG_SG_SG_PmS8_22is_equal_div_10_reduceIdEEE10hipError_tPvRmT2_T3_mT4_T5_T6_T7_T8_P12ihipStream_tbENKUlT_T0_E_clISt17integral_constantIbLb1EES10_IbLb0EEEEDaSW_SX_EUlSW_E_NS1_11comp_targetILNS1_3genE3ELNS1_11target_archE908ELNS1_3gpuE7ELNS1_3repE0EEENS1_30default_config_static_selectorELNS0_4arch9wavefront6targetE0EEEvT1_
; %bb.0:
	.section	.rodata,"a",@progbits
	.p2align	6, 0x0
	.amdhsa_kernel _ZN7rocprim17ROCPRIM_400000_NS6detail17trampoline_kernelINS0_14default_configENS1_29reduce_by_key_config_selectorIddN6thrust23THRUST_200600_302600_NS4plusIdEEEEZZNS1_33reduce_by_key_impl_wrapped_configILNS1_25lookback_scan_determinismE0ES3_S9_NS6_6detail15normal_iteratorINS6_10device_ptrIdEEEESG_SG_SG_PmS8_22is_equal_div_10_reduceIdEEE10hipError_tPvRmT2_T3_mT4_T5_T6_T7_T8_P12ihipStream_tbENKUlT_T0_E_clISt17integral_constantIbLb1EES10_IbLb0EEEEDaSW_SX_EUlSW_E_NS1_11comp_targetILNS1_3genE3ELNS1_11target_archE908ELNS1_3gpuE7ELNS1_3repE0EEENS1_30default_config_static_selectorELNS0_4arch9wavefront6targetE0EEEvT1_
		.amdhsa_group_segment_fixed_size 0
		.amdhsa_private_segment_fixed_size 0
		.amdhsa_kernarg_size 136
		.amdhsa_user_sgpr_count 15
		.amdhsa_user_sgpr_dispatch_ptr 0
		.amdhsa_user_sgpr_queue_ptr 0
		.amdhsa_user_sgpr_kernarg_segment_ptr 1
		.amdhsa_user_sgpr_dispatch_id 0
		.amdhsa_user_sgpr_private_segment_size 0
		.amdhsa_wavefront_size32 1
		.amdhsa_uses_dynamic_stack 0
		.amdhsa_enable_private_segment 0
		.amdhsa_system_sgpr_workgroup_id_x 1
		.amdhsa_system_sgpr_workgroup_id_y 0
		.amdhsa_system_sgpr_workgroup_id_z 0
		.amdhsa_system_sgpr_workgroup_info 0
		.amdhsa_system_vgpr_workitem_id 0
		.amdhsa_next_free_vgpr 1
		.amdhsa_next_free_sgpr 1
		.amdhsa_reserve_vcc 0
		.amdhsa_float_round_mode_32 0
		.amdhsa_float_round_mode_16_64 0
		.amdhsa_float_denorm_mode_32 3
		.amdhsa_float_denorm_mode_16_64 3
		.amdhsa_dx10_clamp 1
		.amdhsa_ieee_mode 1
		.amdhsa_fp16_overflow 0
		.amdhsa_workgroup_processor_mode 1
		.amdhsa_memory_ordered 1
		.amdhsa_forward_progress 0
		.amdhsa_shared_vgpr_count 0
		.amdhsa_exception_fp_ieee_invalid_op 0
		.amdhsa_exception_fp_denorm_src 0
		.amdhsa_exception_fp_ieee_div_zero 0
		.amdhsa_exception_fp_ieee_overflow 0
		.amdhsa_exception_fp_ieee_underflow 0
		.amdhsa_exception_fp_ieee_inexact 0
		.amdhsa_exception_int_div_zero 0
	.end_amdhsa_kernel
	.section	.text._ZN7rocprim17ROCPRIM_400000_NS6detail17trampoline_kernelINS0_14default_configENS1_29reduce_by_key_config_selectorIddN6thrust23THRUST_200600_302600_NS4plusIdEEEEZZNS1_33reduce_by_key_impl_wrapped_configILNS1_25lookback_scan_determinismE0ES3_S9_NS6_6detail15normal_iteratorINS6_10device_ptrIdEEEESG_SG_SG_PmS8_22is_equal_div_10_reduceIdEEE10hipError_tPvRmT2_T3_mT4_T5_T6_T7_T8_P12ihipStream_tbENKUlT_T0_E_clISt17integral_constantIbLb1EES10_IbLb0EEEEDaSW_SX_EUlSW_E_NS1_11comp_targetILNS1_3genE3ELNS1_11target_archE908ELNS1_3gpuE7ELNS1_3repE0EEENS1_30default_config_static_selectorELNS0_4arch9wavefront6targetE0EEEvT1_,"axG",@progbits,_ZN7rocprim17ROCPRIM_400000_NS6detail17trampoline_kernelINS0_14default_configENS1_29reduce_by_key_config_selectorIddN6thrust23THRUST_200600_302600_NS4plusIdEEEEZZNS1_33reduce_by_key_impl_wrapped_configILNS1_25lookback_scan_determinismE0ES3_S9_NS6_6detail15normal_iteratorINS6_10device_ptrIdEEEESG_SG_SG_PmS8_22is_equal_div_10_reduceIdEEE10hipError_tPvRmT2_T3_mT4_T5_T6_T7_T8_P12ihipStream_tbENKUlT_T0_E_clISt17integral_constantIbLb1EES10_IbLb0EEEEDaSW_SX_EUlSW_E_NS1_11comp_targetILNS1_3genE3ELNS1_11target_archE908ELNS1_3gpuE7ELNS1_3repE0EEENS1_30default_config_static_selectorELNS0_4arch9wavefront6targetE0EEEvT1_,comdat
.Lfunc_end72:
	.size	_ZN7rocprim17ROCPRIM_400000_NS6detail17trampoline_kernelINS0_14default_configENS1_29reduce_by_key_config_selectorIddN6thrust23THRUST_200600_302600_NS4plusIdEEEEZZNS1_33reduce_by_key_impl_wrapped_configILNS1_25lookback_scan_determinismE0ES3_S9_NS6_6detail15normal_iteratorINS6_10device_ptrIdEEEESG_SG_SG_PmS8_22is_equal_div_10_reduceIdEEE10hipError_tPvRmT2_T3_mT4_T5_T6_T7_T8_P12ihipStream_tbENKUlT_T0_E_clISt17integral_constantIbLb1EES10_IbLb0EEEEDaSW_SX_EUlSW_E_NS1_11comp_targetILNS1_3genE3ELNS1_11target_archE908ELNS1_3gpuE7ELNS1_3repE0EEENS1_30default_config_static_selectorELNS0_4arch9wavefront6targetE0EEEvT1_, .Lfunc_end72-_ZN7rocprim17ROCPRIM_400000_NS6detail17trampoline_kernelINS0_14default_configENS1_29reduce_by_key_config_selectorIddN6thrust23THRUST_200600_302600_NS4plusIdEEEEZZNS1_33reduce_by_key_impl_wrapped_configILNS1_25lookback_scan_determinismE0ES3_S9_NS6_6detail15normal_iteratorINS6_10device_ptrIdEEEESG_SG_SG_PmS8_22is_equal_div_10_reduceIdEEE10hipError_tPvRmT2_T3_mT4_T5_T6_T7_T8_P12ihipStream_tbENKUlT_T0_E_clISt17integral_constantIbLb1EES10_IbLb0EEEEDaSW_SX_EUlSW_E_NS1_11comp_targetILNS1_3genE3ELNS1_11target_archE908ELNS1_3gpuE7ELNS1_3repE0EEENS1_30default_config_static_selectorELNS0_4arch9wavefront6targetE0EEEvT1_
                                        ; -- End function
	.section	.AMDGPU.csdata,"",@progbits
; Kernel info:
; codeLenInByte = 0
; NumSgprs: 0
; NumVgprs: 0
; ScratchSize: 0
; MemoryBound: 0
; FloatMode: 240
; IeeeMode: 1
; LDSByteSize: 0 bytes/workgroup (compile time only)
; SGPRBlocks: 0
; VGPRBlocks: 0
; NumSGPRsForWavesPerEU: 1
; NumVGPRsForWavesPerEU: 1
; Occupancy: 16
; WaveLimiterHint : 0
; COMPUTE_PGM_RSRC2:SCRATCH_EN: 0
; COMPUTE_PGM_RSRC2:USER_SGPR: 15
; COMPUTE_PGM_RSRC2:TRAP_HANDLER: 0
; COMPUTE_PGM_RSRC2:TGID_X_EN: 1
; COMPUTE_PGM_RSRC2:TGID_Y_EN: 0
; COMPUTE_PGM_RSRC2:TGID_Z_EN: 0
; COMPUTE_PGM_RSRC2:TIDIG_COMP_CNT: 0
	.section	.text._ZN7rocprim17ROCPRIM_400000_NS6detail17trampoline_kernelINS0_14default_configENS1_29reduce_by_key_config_selectorIddN6thrust23THRUST_200600_302600_NS4plusIdEEEEZZNS1_33reduce_by_key_impl_wrapped_configILNS1_25lookback_scan_determinismE0ES3_S9_NS6_6detail15normal_iteratorINS6_10device_ptrIdEEEESG_SG_SG_PmS8_22is_equal_div_10_reduceIdEEE10hipError_tPvRmT2_T3_mT4_T5_T6_T7_T8_P12ihipStream_tbENKUlT_T0_E_clISt17integral_constantIbLb1EES10_IbLb0EEEEDaSW_SX_EUlSW_E_NS1_11comp_targetILNS1_3genE2ELNS1_11target_archE906ELNS1_3gpuE6ELNS1_3repE0EEENS1_30default_config_static_selectorELNS0_4arch9wavefront6targetE0EEEvT1_,"axG",@progbits,_ZN7rocprim17ROCPRIM_400000_NS6detail17trampoline_kernelINS0_14default_configENS1_29reduce_by_key_config_selectorIddN6thrust23THRUST_200600_302600_NS4plusIdEEEEZZNS1_33reduce_by_key_impl_wrapped_configILNS1_25lookback_scan_determinismE0ES3_S9_NS6_6detail15normal_iteratorINS6_10device_ptrIdEEEESG_SG_SG_PmS8_22is_equal_div_10_reduceIdEEE10hipError_tPvRmT2_T3_mT4_T5_T6_T7_T8_P12ihipStream_tbENKUlT_T0_E_clISt17integral_constantIbLb1EES10_IbLb0EEEEDaSW_SX_EUlSW_E_NS1_11comp_targetILNS1_3genE2ELNS1_11target_archE906ELNS1_3gpuE6ELNS1_3repE0EEENS1_30default_config_static_selectorELNS0_4arch9wavefront6targetE0EEEvT1_,comdat
	.protected	_ZN7rocprim17ROCPRIM_400000_NS6detail17trampoline_kernelINS0_14default_configENS1_29reduce_by_key_config_selectorIddN6thrust23THRUST_200600_302600_NS4plusIdEEEEZZNS1_33reduce_by_key_impl_wrapped_configILNS1_25lookback_scan_determinismE0ES3_S9_NS6_6detail15normal_iteratorINS6_10device_ptrIdEEEESG_SG_SG_PmS8_22is_equal_div_10_reduceIdEEE10hipError_tPvRmT2_T3_mT4_T5_T6_T7_T8_P12ihipStream_tbENKUlT_T0_E_clISt17integral_constantIbLb1EES10_IbLb0EEEEDaSW_SX_EUlSW_E_NS1_11comp_targetILNS1_3genE2ELNS1_11target_archE906ELNS1_3gpuE6ELNS1_3repE0EEENS1_30default_config_static_selectorELNS0_4arch9wavefront6targetE0EEEvT1_ ; -- Begin function _ZN7rocprim17ROCPRIM_400000_NS6detail17trampoline_kernelINS0_14default_configENS1_29reduce_by_key_config_selectorIddN6thrust23THRUST_200600_302600_NS4plusIdEEEEZZNS1_33reduce_by_key_impl_wrapped_configILNS1_25lookback_scan_determinismE0ES3_S9_NS6_6detail15normal_iteratorINS6_10device_ptrIdEEEESG_SG_SG_PmS8_22is_equal_div_10_reduceIdEEE10hipError_tPvRmT2_T3_mT4_T5_T6_T7_T8_P12ihipStream_tbENKUlT_T0_E_clISt17integral_constantIbLb1EES10_IbLb0EEEEDaSW_SX_EUlSW_E_NS1_11comp_targetILNS1_3genE2ELNS1_11target_archE906ELNS1_3gpuE6ELNS1_3repE0EEENS1_30default_config_static_selectorELNS0_4arch9wavefront6targetE0EEEvT1_
	.globl	_ZN7rocprim17ROCPRIM_400000_NS6detail17trampoline_kernelINS0_14default_configENS1_29reduce_by_key_config_selectorIddN6thrust23THRUST_200600_302600_NS4plusIdEEEEZZNS1_33reduce_by_key_impl_wrapped_configILNS1_25lookback_scan_determinismE0ES3_S9_NS6_6detail15normal_iteratorINS6_10device_ptrIdEEEESG_SG_SG_PmS8_22is_equal_div_10_reduceIdEEE10hipError_tPvRmT2_T3_mT4_T5_T6_T7_T8_P12ihipStream_tbENKUlT_T0_E_clISt17integral_constantIbLb1EES10_IbLb0EEEEDaSW_SX_EUlSW_E_NS1_11comp_targetILNS1_3genE2ELNS1_11target_archE906ELNS1_3gpuE6ELNS1_3repE0EEENS1_30default_config_static_selectorELNS0_4arch9wavefront6targetE0EEEvT1_
	.p2align	8
	.type	_ZN7rocprim17ROCPRIM_400000_NS6detail17trampoline_kernelINS0_14default_configENS1_29reduce_by_key_config_selectorIddN6thrust23THRUST_200600_302600_NS4plusIdEEEEZZNS1_33reduce_by_key_impl_wrapped_configILNS1_25lookback_scan_determinismE0ES3_S9_NS6_6detail15normal_iteratorINS6_10device_ptrIdEEEESG_SG_SG_PmS8_22is_equal_div_10_reduceIdEEE10hipError_tPvRmT2_T3_mT4_T5_T6_T7_T8_P12ihipStream_tbENKUlT_T0_E_clISt17integral_constantIbLb1EES10_IbLb0EEEEDaSW_SX_EUlSW_E_NS1_11comp_targetILNS1_3genE2ELNS1_11target_archE906ELNS1_3gpuE6ELNS1_3repE0EEENS1_30default_config_static_selectorELNS0_4arch9wavefront6targetE0EEEvT1_,@function
_ZN7rocprim17ROCPRIM_400000_NS6detail17trampoline_kernelINS0_14default_configENS1_29reduce_by_key_config_selectorIddN6thrust23THRUST_200600_302600_NS4plusIdEEEEZZNS1_33reduce_by_key_impl_wrapped_configILNS1_25lookback_scan_determinismE0ES3_S9_NS6_6detail15normal_iteratorINS6_10device_ptrIdEEEESG_SG_SG_PmS8_22is_equal_div_10_reduceIdEEE10hipError_tPvRmT2_T3_mT4_T5_T6_T7_T8_P12ihipStream_tbENKUlT_T0_E_clISt17integral_constantIbLb1EES10_IbLb0EEEEDaSW_SX_EUlSW_E_NS1_11comp_targetILNS1_3genE2ELNS1_11target_archE906ELNS1_3gpuE6ELNS1_3repE0EEENS1_30default_config_static_selectorELNS0_4arch9wavefront6targetE0EEEvT1_: ; @_ZN7rocprim17ROCPRIM_400000_NS6detail17trampoline_kernelINS0_14default_configENS1_29reduce_by_key_config_selectorIddN6thrust23THRUST_200600_302600_NS4plusIdEEEEZZNS1_33reduce_by_key_impl_wrapped_configILNS1_25lookback_scan_determinismE0ES3_S9_NS6_6detail15normal_iteratorINS6_10device_ptrIdEEEESG_SG_SG_PmS8_22is_equal_div_10_reduceIdEEE10hipError_tPvRmT2_T3_mT4_T5_T6_T7_T8_P12ihipStream_tbENKUlT_T0_E_clISt17integral_constantIbLb1EES10_IbLb0EEEEDaSW_SX_EUlSW_E_NS1_11comp_targetILNS1_3genE2ELNS1_11target_archE906ELNS1_3gpuE6ELNS1_3repE0EEENS1_30default_config_static_selectorELNS0_4arch9wavefront6targetE0EEEvT1_
; %bb.0:
	.section	.rodata,"a",@progbits
	.p2align	6, 0x0
	.amdhsa_kernel _ZN7rocprim17ROCPRIM_400000_NS6detail17trampoline_kernelINS0_14default_configENS1_29reduce_by_key_config_selectorIddN6thrust23THRUST_200600_302600_NS4plusIdEEEEZZNS1_33reduce_by_key_impl_wrapped_configILNS1_25lookback_scan_determinismE0ES3_S9_NS6_6detail15normal_iteratorINS6_10device_ptrIdEEEESG_SG_SG_PmS8_22is_equal_div_10_reduceIdEEE10hipError_tPvRmT2_T3_mT4_T5_T6_T7_T8_P12ihipStream_tbENKUlT_T0_E_clISt17integral_constantIbLb1EES10_IbLb0EEEEDaSW_SX_EUlSW_E_NS1_11comp_targetILNS1_3genE2ELNS1_11target_archE906ELNS1_3gpuE6ELNS1_3repE0EEENS1_30default_config_static_selectorELNS0_4arch9wavefront6targetE0EEEvT1_
		.amdhsa_group_segment_fixed_size 0
		.amdhsa_private_segment_fixed_size 0
		.amdhsa_kernarg_size 136
		.amdhsa_user_sgpr_count 15
		.amdhsa_user_sgpr_dispatch_ptr 0
		.amdhsa_user_sgpr_queue_ptr 0
		.amdhsa_user_sgpr_kernarg_segment_ptr 1
		.amdhsa_user_sgpr_dispatch_id 0
		.amdhsa_user_sgpr_private_segment_size 0
		.amdhsa_wavefront_size32 1
		.amdhsa_uses_dynamic_stack 0
		.amdhsa_enable_private_segment 0
		.amdhsa_system_sgpr_workgroup_id_x 1
		.amdhsa_system_sgpr_workgroup_id_y 0
		.amdhsa_system_sgpr_workgroup_id_z 0
		.amdhsa_system_sgpr_workgroup_info 0
		.amdhsa_system_vgpr_workitem_id 0
		.amdhsa_next_free_vgpr 1
		.amdhsa_next_free_sgpr 1
		.amdhsa_reserve_vcc 0
		.amdhsa_float_round_mode_32 0
		.amdhsa_float_round_mode_16_64 0
		.amdhsa_float_denorm_mode_32 3
		.amdhsa_float_denorm_mode_16_64 3
		.amdhsa_dx10_clamp 1
		.amdhsa_ieee_mode 1
		.amdhsa_fp16_overflow 0
		.amdhsa_workgroup_processor_mode 1
		.amdhsa_memory_ordered 1
		.amdhsa_forward_progress 0
		.amdhsa_shared_vgpr_count 0
		.amdhsa_exception_fp_ieee_invalid_op 0
		.amdhsa_exception_fp_denorm_src 0
		.amdhsa_exception_fp_ieee_div_zero 0
		.amdhsa_exception_fp_ieee_overflow 0
		.amdhsa_exception_fp_ieee_underflow 0
		.amdhsa_exception_fp_ieee_inexact 0
		.amdhsa_exception_int_div_zero 0
	.end_amdhsa_kernel
	.section	.text._ZN7rocprim17ROCPRIM_400000_NS6detail17trampoline_kernelINS0_14default_configENS1_29reduce_by_key_config_selectorIddN6thrust23THRUST_200600_302600_NS4plusIdEEEEZZNS1_33reduce_by_key_impl_wrapped_configILNS1_25lookback_scan_determinismE0ES3_S9_NS6_6detail15normal_iteratorINS6_10device_ptrIdEEEESG_SG_SG_PmS8_22is_equal_div_10_reduceIdEEE10hipError_tPvRmT2_T3_mT4_T5_T6_T7_T8_P12ihipStream_tbENKUlT_T0_E_clISt17integral_constantIbLb1EES10_IbLb0EEEEDaSW_SX_EUlSW_E_NS1_11comp_targetILNS1_3genE2ELNS1_11target_archE906ELNS1_3gpuE6ELNS1_3repE0EEENS1_30default_config_static_selectorELNS0_4arch9wavefront6targetE0EEEvT1_,"axG",@progbits,_ZN7rocprim17ROCPRIM_400000_NS6detail17trampoline_kernelINS0_14default_configENS1_29reduce_by_key_config_selectorIddN6thrust23THRUST_200600_302600_NS4plusIdEEEEZZNS1_33reduce_by_key_impl_wrapped_configILNS1_25lookback_scan_determinismE0ES3_S9_NS6_6detail15normal_iteratorINS6_10device_ptrIdEEEESG_SG_SG_PmS8_22is_equal_div_10_reduceIdEEE10hipError_tPvRmT2_T3_mT4_T5_T6_T7_T8_P12ihipStream_tbENKUlT_T0_E_clISt17integral_constantIbLb1EES10_IbLb0EEEEDaSW_SX_EUlSW_E_NS1_11comp_targetILNS1_3genE2ELNS1_11target_archE906ELNS1_3gpuE6ELNS1_3repE0EEENS1_30default_config_static_selectorELNS0_4arch9wavefront6targetE0EEEvT1_,comdat
.Lfunc_end73:
	.size	_ZN7rocprim17ROCPRIM_400000_NS6detail17trampoline_kernelINS0_14default_configENS1_29reduce_by_key_config_selectorIddN6thrust23THRUST_200600_302600_NS4plusIdEEEEZZNS1_33reduce_by_key_impl_wrapped_configILNS1_25lookback_scan_determinismE0ES3_S9_NS6_6detail15normal_iteratorINS6_10device_ptrIdEEEESG_SG_SG_PmS8_22is_equal_div_10_reduceIdEEE10hipError_tPvRmT2_T3_mT4_T5_T6_T7_T8_P12ihipStream_tbENKUlT_T0_E_clISt17integral_constantIbLb1EES10_IbLb0EEEEDaSW_SX_EUlSW_E_NS1_11comp_targetILNS1_3genE2ELNS1_11target_archE906ELNS1_3gpuE6ELNS1_3repE0EEENS1_30default_config_static_selectorELNS0_4arch9wavefront6targetE0EEEvT1_, .Lfunc_end73-_ZN7rocprim17ROCPRIM_400000_NS6detail17trampoline_kernelINS0_14default_configENS1_29reduce_by_key_config_selectorIddN6thrust23THRUST_200600_302600_NS4plusIdEEEEZZNS1_33reduce_by_key_impl_wrapped_configILNS1_25lookback_scan_determinismE0ES3_S9_NS6_6detail15normal_iteratorINS6_10device_ptrIdEEEESG_SG_SG_PmS8_22is_equal_div_10_reduceIdEEE10hipError_tPvRmT2_T3_mT4_T5_T6_T7_T8_P12ihipStream_tbENKUlT_T0_E_clISt17integral_constantIbLb1EES10_IbLb0EEEEDaSW_SX_EUlSW_E_NS1_11comp_targetILNS1_3genE2ELNS1_11target_archE906ELNS1_3gpuE6ELNS1_3repE0EEENS1_30default_config_static_selectorELNS0_4arch9wavefront6targetE0EEEvT1_
                                        ; -- End function
	.section	.AMDGPU.csdata,"",@progbits
; Kernel info:
; codeLenInByte = 0
; NumSgprs: 0
; NumVgprs: 0
; ScratchSize: 0
; MemoryBound: 0
; FloatMode: 240
; IeeeMode: 1
; LDSByteSize: 0 bytes/workgroup (compile time only)
; SGPRBlocks: 0
; VGPRBlocks: 0
; NumSGPRsForWavesPerEU: 1
; NumVGPRsForWavesPerEU: 1
; Occupancy: 16
; WaveLimiterHint : 0
; COMPUTE_PGM_RSRC2:SCRATCH_EN: 0
; COMPUTE_PGM_RSRC2:USER_SGPR: 15
; COMPUTE_PGM_RSRC2:TRAP_HANDLER: 0
; COMPUTE_PGM_RSRC2:TGID_X_EN: 1
; COMPUTE_PGM_RSRC2:TGID_Y_EN: 0
; COMPUTE_PGM_RSRC2:TGID_Z_EN: 0
; COMPUTE_PGM_RSRC2:TIDIG_COMP_CNT: 0
	.section	.text._ZN7rocprim17ROCPRIM_400000_NS6detail17trampoline_kernelINS0_14default_configENS1_29reduce_by_key_config_selectorIddN6thrust23THRUST_200600_302600_NS4plusIdEEEEZZNS1_33reduce_by_key_impl_wrapped_configILNS1_25lookback_scan_determinismE0ES3_S9_NS6_6detail15normal_iteratorINS6_10device_ptrIdEEEESG_SG_SG_PmS8_22is_equal_div_10_reduceIdEEE10hipError_tPvRmT2_T3_mT4_T5_T6_T7_T8_P12ihipStream_tbENKUlT_T0_E_clISt17integral_constantIbLb1EES10_IbLb0EEEEDaSW_SX_EUlSW_E_NS1_11comp_targetILNS1_3genE10ELNS1_11target_archE1201ELNS1_3gpuE5ELNS1_3repE0EEENS1_30default_config_static_selectorELNS0_4arch9wavefront6targetE0EEEvT1_,"axG",@progbits,_ZN7rocprim17ROCPRIM_400000_NS6detail17trampoline_kernelINS0_14default_configENS1_29reduce_by_key_config_selectorIddN6thrust23THRUST_200600_302600_NS4plusIdEEEEZZNS1_33reduce_by_key_impl_wrapped_configILNS1_25lookback_scan_determinismE0ES3_S9_NS6_6detail15normal_iteratorINS6_10device_ptrIdEEEESG_SG_SG_PmS8_22is_equal_div_10_reduceIdEEE10hipError_tPvRmT2_T3_mT4_T5_T6_T7_T8_P12ihipStream_tbENKUlT_T0_E_clISt17integral_constantIbLb1EES10_IbLb0EEEEDaSW_SX_EUlSW_E_NS1_11comp_targetILNS1_3genE10ELNS1_11target_archE1201ELNS1_3gpuE5ELNS1_3repE0EEENS1_30default_config_static_selectorELNS0_4arch9wavefront6targetE0EEEvT1_,comdat
	.protected	_ZN7rocprim17ROCPRIM_400000_NS6detail17trampoline_kernelINS0_14default_configENS1_29reduce_by_key_config_selectorIddN6thrust23THRUST_200600_302600_NS4plusIdEEEEZZNS1_33reduce_by_key_impl_wrapped_configILNS1_25lookback_scan_determinismE0ES3_S9_NS6_6detail15normal_iteratorINS6_10device_ptrIdEEEESG_SG_SG_PmS8_22is_equal_div_10_reduceIdEEE10hipError_tPvRmT2_T3_mT4_T5_T6_T7_T8_P12ihipStream_tbENKUlT_T0_E_clISt17integral_constantIbLb1EES10_IbLb0EEEEDaSW_SX_EUlSW_E_NS1_11comp_targetILNS1_3genE10ELNS1_11target_archE1201ELNS1_3gpuE5ELNS1_3repE0EEENS1_30default_config_static_selectorELNS0_4arch9wavefront6targetE0EEEvT1_ ; -- Begin function _ZN7rocprim17ROCPRIM_400000_NS6detail17trampoline_kernelINS0_14default_configENS1_29reduce_by_key_config_selectorIddN6thrust23THRUST_200600_302600_NS4plusIdEEEEZZNS1_33reduce_by_key_impl_wrapped_configILNS1_25lookback_scan_determinismE0ES3_S9_NS6_6detail15normal_iteratorINS6_10device_ptrIdEEEESG_SG_SG_PmS8_22is_equal_div_10_reduceIdEEE10hipError_tPvRmT2_T3_mT4_T5_T6_T7_T8_P12ihipStream_tbENKUlT_T0_E_clISt17integral_constantIbLb1EES10_IbLb0EEEEDaSW_SX_EUlSW_E_NS1_11comp_targetILNS1_3genE10ELNS1_11target_archE1201ELNS1_3gpuE5ELNS1_3repE0EEENS1_30default_config_static_selectorELNS0_4arch9wavefront6targetE0EEEvT1_
	.globl	_ZN7rocprim17ROCPRIM_400000_NS6detail17trampoline_kernelINS0_14default_configENS1_29reduce_by_key_config_selectorIddN6thrust23THRUST_200600_302600_NS4plusIdEEEEZZNS1_33reduce_by_key_impl_wrapped_configILNS1_25lookback_scan_determinismE0ES3_S9_NS6_6detail15normal_iteratorINS6_10device_ptrIdEEEESG_SG_SG_PmS8_22is_equal_div_10_reduceIdEEE10hipError_tPvRmT2_T3_mT4_T5_T6_T7_T8_P12ihipStream_tbENKUlT_T0_E_clISt17integral_constantIbLb1EES10_IbLb0EEEEDaSW_SX_EUlSW_E_NS1_11comp_targetILNS1_3genE10ELNS1_11target_archE1201ELNS1_3gpuE5ELNS1_3repE0EEENS1_30default_config_static_selectorELNS0_4arch9wavefront6targetE0EEEvT1_
	.p2align	8
	.type	_ZN7rocprim17ROCPRIM_400000_NS6detail17trampoline_kernelINS0_14default_configENS1_29reduce_by_key_config_selectorIddN6thrust23THRUST_200600_302600_NS4plusIdEEEEZZNS1_33reduce_by_key_impl_wrapped_configILNS1_25lookback_scan_determinismE0ES3_S9_NS6_6detail15normal_iteratorINS6_10device_ptrIdEEEESG_SG_SG_PmS8_22is_equal_div_10_reduceIdEEE10hipError_tPvRmT2_T3_mT4_T5_T6_T7_T8_P12ihipStream_tbENKUlT_T0_E_clISt17integral_constantIbLb1EES10_IbLb0EEEEDaSW_SX_EUlSW_E_NS1_11comp_targetILNS1_3genE10ELNS1_11target_archE1201ELNS1_3gpuE5ELNS1_3repE0EEENS1_30default_config_static_selectorELNS0_4arch9wavefront6targetE0EEEvT1_,@function
_ZN7rocprim17ROCPRIM_400000_NS6detail17trampoline_kernelINS0_14default_configENS1_29reduce_by_key_config_selectorIddN6thrust23THRUST_200600_302600_NS4plusIdEEEEZZNS1_33reduce_by_key_impl_wrapped_configILNS1_25lookback_scan_determinismE0ES3_S9_NS6_6detail15normal_iteratorINS6_10device_ptrIdEEEESG_SG_SG_PmS8_22is_equal_div_10_reduceIdEEE10hipError_tPvRmT2_T3_mT4_T5_T6_T7_T8_P12ihipStream_tbENKUlT_T0_E_clISt17integral_constantIbLb1EES10_IbLb0EEEEDaSW_SX_EUlSW_E_NS1_11comp_targetILNS1_3genE10ELNS1_11target_archE1201ELNS1_3gpuE5ELNS1_3repE0EEENS1_30default_config_static_selectorELNS0_4arch9wavefront6targetE0EEEvT1_: ; @_ZN7rocprim17ROCPRIM_400000_NS6detail17trampoline_kernelINS0_14default_configENS1_29reduce_by_key_config_selectorIddN6thrust23THRUST_200600_302600_NS4plusIdEEEEZZNS1_33reduce_by_key_impl_wrapped_configILNS1_25lookback_scan_determinismE0ES3_S9_NS6_6detail15normal_iteratorINS6_10device_ptrIdEEEESG_SG_SG_PmS8_22is_equal_div_10_reduceIdEEE10hipError_tPvRmT2_T3_mT4_T5_T6_T7_T8_P12ihipStream_tbENKUlT_T0_E_clISt17integral_constantIbLb1EES10_IbLb0EEEEDaSW_SX_EUlSW_E_NS1_11comp_targetILNS1_3genE10ELNS1_11target_archE1201ELNS1_3gpuE5ELNS1_3repE0EEENS1_30default_config_static_selectorELNS0_4arch9wavefront6targetE0EEEvT1_
; %bb.0:
	.section	.rodata,"a",@progbits
	.p2align	6, 0x0
	.amdhsa_kernel _ZN7rocprim17ROCPRIM_400000_NS6detail17trampoline_kernelINS0_14default_configENS1_29reduce_by_key_config_selectorIddN6thrust23THRUST_200600_302600_NS4plusIdEEEEZZNS1_33reduce_by_key_impl_wrapped_configILNS1_25lookback_scan_determinismE0ES3_S9_NS6_6detail15normal_iteratorINS6_10device_ptrIdEEEESG_SG_SG_PmS8_22is_equal_div_10_reduceIdEEE10hipError_tPvRmT2_T3_mT4_T5_T6_T7_T8_P12ihipStream_tbENKUlT_T0_E_clISt17integral_constantIbLb1EES10_IbLb0EEEEDaSW_SX_EUlSW_E_NS1_11comp_targetILNS1_3genE10ELNS1_11target_archE1201ELNS1_3gpuE5ELNS1_3repE0EEENS1_30default_config_static_selectorELNS0_4arch9wavefront6targetE0EEEvT1_
		.amdhsa_group_segment_fixed_size 0
		.amdhsa_private_segment_fixed_size 0
		.amdhsa_kernarg_size 136
		.amdhsa_user_sgpr_count 15
		.amdhsa_user_sgpr_dispatch_ptr 0
		.amdhsa_user_sgpr_queue_ptr 0
		.amdhsa_user_sgpr_kernarg_segment_ptr 1
		.amdhsa_user_sgpr_dispatch_id 0
		.amdhsa_user_sgpr_private_segment_size 0
		.amdhsa_wavefront_size32 1
		.amdhsa_uses_dynamic_stack 0
		.amdhsa_enable_private_segment 0
		.amdhsa_system_sgpr_workgroup_id_x 1
		.amdhsa_system_sgpr_workgroup_id_y 0
		.amdhsa_system_sgpr_workgroup_id_z 0
		.amdhsa_system_sgpr_workgroup_info 0
		.amdhsa_system_vgpr_workitem_id 0
		.amdhsa_next_free_vgpr 1
		.amdhsa_next_free_sgpr 1
		.amdhsa_reserve_vcc 0
		.amdhsa_float_round_mode_32 0
		.amdhsa_float_round_mode_16_64 0
		.amdhsa_float_denorm_mode_32 3
		.amdhsa_float_denorm_mode_16_64 3
		.amdhsa_dx10_clamp 1
		.amdhsa_ieee_mode 1
		.amdhsa_fp16_overflow 0
		.amdhsa_workgroup_processor_mode 1
		.amdhsa_memory_ordered 1
		.amdhsa_forward_progress 0
		.amdhsa_shared_vgpr_count 0
		.amdhsa_exception_fp_ieee_invalid_op 0
		.amdhsa_exception_fp_denorm_src 0
		.amdhsa_exception_fp_ieee_div_zero 0
		.amdhsa_exception_fp_ieee_overflow 0
		.amdhsa_exception_fp_ieee_underflow 0
		.amdhsa_exception_fp_ieee_inexact 0
		.amdhsa_exception_int_div_zero 0
	.end_amdhsa_kernel
	.section	.text._ZN7rocprim17ROCPRIM_400000_NS6detail17trampoline_kernelINS0_14default_configENS1_29reduce_by_key_config_selectorIddN6thrust23THRUST_200600_302600_NS4plusIdEEEEZZNS1_33reduce_by_key_impl_wrapped_configILNS1_25lookback_scan_determinismE0ES3_S9_NS6_6detail15normal_iteratorINS6_10device_ptrIdEEEESG_SG_SG_PmS8_22is_equal_div_10_reduceIdEEE10hipError_tPvRmT2_T3_mT4_T5_T6_T7_T8_P12ihipStream_tbENKUlT_T0_E_clISt17integral_constantIbLb1EES10_IbLb0EEEEDaSW_SX_EUlSW_E_NS1_11comp_targetILNS1_3genE10ELNS1_11target_archE1201ELNS1_3gpuE5ELNS1_3repE0EEENS1_30default_config_static_selectorELNS0_4arch9wavefront6targetE0EEEvT1_,"axG",@progbits,_ZN7rocprim17ROCPRIM_400000_NS6detail17trampoline_kernelINS0_14default_configENS1_29reduce_by_key_config_selectorIddN6thrust23THRUST_200600_302600_NS4plusIdEEEEZZNS1_33reduce_by_key_impl_wrapped_configILNS1_25lookback_scan_determinismE0ES3_S9_NS6_6detail15normal_iteratorINS6_10device_ptrIdEEEESG_SG_SG_PmS8_22is_equal_div_10_reduceIdEEE10hipError_tPvRmT2_T3_mT4_T5_T6_T7_T8_P12ihipStream_tbENKUlT_T0_E_clISt17integral_constantIbLb1EES10_IbLb0EEEEDaSW_SX_EUlSW_E_NS1_11comp_targetILNS1_3genE10ELNS1_11target_archE1201ELNS1_3gpuE5ELNS1_3repE0EEENS1_30default_config_static_selectorELNS0_4arch9wavefront6targetE0EEEvT1_,comdat
.Lfunc_end74:
	.size	_ZN7rocprim17ROCPRIM_400000_NS6detail17trampoline_kernelINS0_14default_configENS1_29reduce_by_key_config_selectorIddN6thrust23THRUST_200600_302600_NS4plusIdEEEEZZNS1_33reduce_by_key_impl_wrapped_configILNS1_25lookback_scan_determinismE0ES3_S9_NS6_6detail15normal_iteratorINS6_10device_ptrIdEEEESG_SG_SG_PmS8_22is_equal_div_10_reduceIdEEE10hipError_tPvRmT2_T3_mT4_T5_T6_T7_T8_P12ihipStream_tbENKUlT_T0_E_clISt17integral_constantIbLb1EES10_IbLb0EEEEDaSW_SX_EUlSW_E_NS1_11comp_targetILNS1_3genE10ELNS1_11target_archE1201ELNS1_3gpuE5ELNS1_3repE0EEENS1_30default_config_static_selectorELNS0_4arch9wavefront6targetE0EEEvT1_, .Lfunc_end74-_ZN7rocprim17ROCPRIM_400000_NS6detail17trampoline_kernelINS0_14default_configENS1_29reduce_by_key_config_selectorIddN6thrust23THRUST_200600_302600_NS4plusIdEEEEZZNS1_33reduce_by_key_impl_wrapped_configILNS1_25lookback_scan_determinismE0ES3_S9_NS6_6detail15normal_iteratorINS6_10device_ptrIdEEEESG_SG_SG_PmS8_22is_equal_div_10_reduceIdEEE10hipError_tPvRmT2_T3_mT4_T5_T6_T7_T8_P12ihipStream_tbENKUlT_T0_E_clISt17integral_constantIbLb1EES10_IbLb0EEEEDaSW_SX_EUlSW_E_NS1_11comp_targetILNS1_3genE10ELNS1_11target_archE1201ELNS1_3gpuE5ELNS1_3repE0EEENS1_30default_config_static_selectorELNS0_4arch9wavefront6targetE0EEEvT1_
                                        ; -- End function
	.section	.AMDGPU.csdata,"",@progbits
; Kernel info:
; codeLenInByte = 0
; NumSgprs: 0
; NumVgprs: 0
; ScratchSize: 0
; MemoryBound: 0
; FloatMode: 240
; IeeeMode: 1
; LDSByteSize: 0 bytes/workgroup (compile time only)
; SGPRBlocks: 0
; VGPRBlocks: 0
; NumSGPRsForWavesPerEU: 1
; NumVGPRsForWavesPerEU: 1
; Occupancy: 16
; WaveLimiterHint : 0
; COMPUTE_PGM_RSRC2:SCRATCH_EN: 0
; COMPUTE_PGM_RSRC2:USER_SGPR: 15
; COMPUTE_PGM_RSRC2:TRAP_HANDLER: 0
; COMPUTE_PGM_RSRC2:TGID_X_EN: 1
; COMPUTE_PGM_RSRC2:TGID_Y_EN: 0
; COMPUTE_PGM_RSRC2:TGID_Z_EN: 0
; COMPUTE_PGM_RSRC2:TIDIG_COMP_CNT: 0
	.section	.text._ZN7rocprim17ROCPRIM_400000_NS6detail17trampoline_kernelINS0_14default_configENS1_29reduce_by_key_config_selectorIddN6thrust23THRUST_200600_302600_NS4plusIdEEEEZZNS1_33reduce_by_key_impl_wrapped_configILNS1_25lookback_scan_determinismE0ES3_S9_NS6_6detail15normal_iteratorINS6_10device_ptrIdEEEESG_SG_SG_PmS8_22is_equal_div_10_reduceIdEEE10hipError_tPvRmT2_T3_mT4_T5_T6_T7_T8_P12ihipStream_tbENKUlT_T0_E_clISt17integral_constantIbLb1EES10_IbLb0EEEEDaSW_SX_EUlSW_E_NS1_11comp_targetILNS1_3genE10ELNS1_11target_archE1200ELNS1_3gpuE4ELNS1_3repE0EEENS1_30default_config_static_selectorELNS0_4arch9wavefront6targetE0EEEvT1_,"axG",@progbits,_ZN7rocprim17ROCPRIM_400000_NS6detail17trampoline_kernelINS0_14default_configENS1_29reduce_by_key_config_selectorIddN6thrust23THRUST_200600_302600_NS4plusIdEEEEZZNS1_33reduce_by_key_impl_wrapped_configILNS1_25lookback_scan_determinismE0ES3_S9_NS6_6detail15normal_iteratorINS6_10device_ptrIdEEEESG_SG_SG_PmS8_22is_equal_div_10_reduceIdEEE10hipError_tPvRmT2_T3_mT4_T5_T6_T7_T8_P12ihipStream_tbENKUlT_T0_E_clISt17integral_constantIbLb1EES10_IbLb0EEEEDaSW_SX_EUlSW_E_NS1_11comp_targetILNS1_3genE10ELNS1_11target_archE1200ELNS1_3gpuE4ELNS1_3repE0EEENS1_30default_config_static_selectorELNS0_4arch9wavefront6targetE0EEEvT1_,comdat
	.protected	_ZN7rocprim17ROCPRIM_400000_NS6detail17trampoline_kernelINS0_14default_configENS1_29reduce_by_key_config_selectorIddN6thrust23THRUST_200600_302600_NS4plusIdEEEEZZNS1_33reduce_by_key_impl_wrapped_configILNS1_25lookback_scan_determinismE0ES3_S9_NS6_6detail15normal_iteratorINS6_10device_ptrIdEEEESG_SG_SG_PmS8_22is_equal_div_10_reduceIdEEE10hipError_tPvRmT2_T3_mT4_T5_T6_T7_T8_P12ihipStream_tbENKUlT_T0_E_clISt17integral_constantIbLb1EES10_IbLb0EEEEDaSW_SX_EUlSW_E_NS1_11comp_targetILNS1_3genE10ELNS1_11target_archE1200ELNS1_3gpuE4ELNS1_3repE0EEENS1_30default_config_static_selectorELNS0_4arch9wavefront6targetE0EEEvT1_ ; -- Begin function _ZN7rocprim17ROCPRIM_400000_NS6detail17trampoline_kernelINS0_14default_configENS1_29reduce_by_key_config_selectorIddN6thrust23THRUST_200600_302600_NS4plusIdEEEEZZNS1_33reduce_by_key_impl_wrapped_configILNS1_25lookback_scan_determinismE0ES3_S9_NS6_6detail15normal_iteratorINS6_10device_ptrIdEEEESG_SG_SG_PmS8_22is_equal_div_10_reduceIdEEE10hipError_tPvRmT2_T3_mT4_T5_T6_T7_T8_P12ihipStream_tbENKUlT_T0_E_clISt17integral_constantIbLb1EES10_IbLb0EEEEDaSW_SX_EUlSW_E_NS1_11comp_targetILNS1_3genE10ELNS1_11target_archE1200ELNS1_3gpuE4ELNS1_3repE0EEENS1_30default_config_static_selectorELNS0_4arch9wavefront6targetE0EEEvT1_
	.globl	_ZN7rocprim17ROCPRIM_400000_NS6detail17trampoline_kernelINS0_14default_configENS1_29reduce_by_key_config_selectorIddN6thrust23THRUST_200600_302600_NS4plusIdEEEEZZNS1_33reduce_by_key_impl_wrapped_configILNS1_25lookback_scan_determinismE0ES3_S9_NS6_6detail15normal_iteratorINS6_10device_ptrIdEEEESG_SG_SG_PmS8_22is_equal_div_10_reduceIdEEE10hipError_tPvRmT2_T3_mT4_T5_T6_T7_T8_P12ihipStream_tbENKUlT_T0_E_clISt17integral_constantIbLb1EES10_IbLb0EEEEDaSW_SX_EUlSW_E_NS1_11comp_targetILNS1_3genE10ELNS1_11target_archE1200ELNS1_3gpuE4ELNS1_3repE0EEENS1_30default_config_static_selectorELNS0_4arch9wavefront6targetE0EEEvT1_
	.p2align	8
	.type	_ZN7rocprim17ROCPRIM_400000_NS6detail17trampoline_kernelINS0_14default_configENS1_29reduce_by_key_config_selectorIddN6thrust23THRUST_200600_302600_NS4plusIdEEEEZZNS1_33reduce_by_key_impl_wrapped_configILNS1_25lookback_scan_determinismE0ES3_S9_NS6_6detail15normal_iteratorINS6_10device_ptrIdEEEESG_SG_SG_PmS8_22is_equal_div_10_reduceIdEEE10hipError_tPvRmT2_T3_mT4_T5_T6_T7_T8_P12ihipStream_tbENKUlT_T0_E_clISt17integral_constantIbLb1EES10_IbLb0EEEEDaSW_SX_EUlSW_E_NS1_11comp_targetILNS1_3genE10ELNS1_11target_archE1200ELNS1_3gpuE4ELNS1_3repE0EEENS1_30default_config_static_selectorELNS0_4arch9wavefront6targetE0EEEvT1_,@function
_ZN7rocprim17ROCPRIM_400000_NS6detail17trampoline_kernelINS0_14default_configENS1_29reduce_by_key_config_selectorIddN6thrust23THRUST_200600_302600_NS4plusIdEEEEZZNS1_33reduce_by_key_impl_wrapped_configILNS1_25lookback_scan_determinismE0ES3_S9_NS6_6detail15normal_iteratorINS6_10device_ptrIdEEEESG_SG_SG_PmS8_22is_equal_div_10_reduceIdEEE10hipError_tPvRmT2_T3_mT4_T5_T6_T7_T8_P12ihipStream_tbENKUlT_T0_E_clISt17integral_constantIbLb1EES10_IbLb0EEEEDaSW_SX_EUlSW_E_NS1_11comp_targetILNS1_3genE10ELNS1_11target_archE1200ELNS1_3gpuE4ELNS1_3repE0EEENS1_30default_config_static_selectorELNS0_4arch9wavefront6targetE0EEEvT1_: ; @_ZN7rocprim17ROCPRIM_400000_NS6detail17trampoline_kernelINS0_14default_configENS1_29reduce_by_key_config_selectorIddN6thrust23THRUST_200600_302600_NS4plusIdEEEEZZNS1_33reduce_by_key_impl_wrapped_configILNS1_25lookback_scan_determinismE0ES3_S9_NS6_6detail15normal_iteratorINS6_10device_ptrIdEEEESG_SG_SG_PmS8_22is_equal_div_10_reduceIdEEE10hipError_tPvRmT2_T3_mT4_T5_T6_T7_T8_P12ihipStream_tbENKUlT_T0_E_clISt17integral_constantIbLb1EES10_IbLb0EEEEDaSW_SX_EUlSW_E_NS1_11comp_targetILNS1_3genE10ELNS1_11target_archE1200ELNS1_3gpuE4ELNS1_3repE0EEENS1_30default_config_static_selectorELNS0_4arch9wavefront6targetE0EEEvT1_
; %bb.0:
	.section	.rodata,"a",@progbits
	.p2align	6, 0x0
	.amdhsa_kernel _ZN7rocprim17ROCPRIM_400000_NS6detail17trampoline_kernelINS0_14default_configENS1_29reduce_by_key_config_selectorIddN6thrust23THRUST_200600_302600_NS4plusIdEEEEZZNS1_33reduce_by_key_impl_wrapped_configILNS1_25lookback_scan_determinismE0ES3_S9_NS6_6detail15normal_iteratorINS6_10device_ptrIdEEEESG_SG_SG_PmS8_22is_equal_div_10_reduceIdEEE10hipError_tPvRmT2_T3_mT4_T5_T6_T7_T8_P12ihipStream_tbENKUlT_T0_E_clISt17integral_constantIbLb1EES10_IbLb0EEEEDaSW_SX_EUlSW_E_NS1_11comp_targetILNS1_3genE10ELNS1_11target_archE1200ELNS1_3gpuE4ELNS1_3repE0EEENS1_30default_config_static_selectorELNS0_4arch9wavefront6targetE0EEEvT1_
		.amdhsa_group_segment_fixed_size 0
		.amdhsa_private_segment_fixed_size 0
		.amdhsa_kernarg_size 136
		.amdhsa_user_sgpr_count 15
		.amdhsa_user_sgpr_dispatch_ptr 0
		.amdhsa_user_sgpr_queue_ptr 0
		.amdhsa_user_sgpr_kernarg_segment_ptr 1
		.amdhsa_user_sgpr_dispatch_id 0
		.amdhsa_user_sgpr_private_segment_size 0
		.amdhsa_wavefront_size32 1
		.amdhsa_uses_dynamic_stack 0
		.amdhsa_enable_private_segment 0
		.amdhsa_system_sgpr_workgroup_id_x 1
		.amdhsa_system_sgpr_workgroup_id_y 0
		.amdhsa_system_sgpr_workgroup_id_z 0
		.amdhsa_system_sgpr_workgroup_info 0
		.amdhsa_system_vgpr_workitem_id 0
		.amdhsa_next_free_vgpr 1
		.amdhsa_next_free_sgpr 1
		.amdhsa_reserve_vcc 0
		.amdhsa_float_round_mode_32 0
		.amdhsa_float_round_mode_16_64 0
		.amdhsa_float_denorm_mode_32 3
		.amdhsa_float_denorm_mode_16_64 3
		.amdhsa_dx10_clamp 1
		.amdhsa_ieee_mode 1
		.amdhsa_fp16_overflow 0
		.amdhsa_workgroup_processor_mode 1
		.amdhsa_memory_ordered 1
		.amdhsa_forward_progress 0
		.amdhsa_shared_vgpr_count 0
		.amdhsa_exception_fp_ieee_invalid_op 0
		.amdhsa_exception_fp_denorm_src 0
		.amdhsa_exception_fp_ieee_div_zero 0
		.amdhsa_exception_fp_ieee_overflow 0
		.amdhsa_exception_fp_ieee_underflow 0
		.amdhsa_exception_fp_ieee_inexact 0
		.amdhsa_exception_int_div_zero 0
	.end_amdhsa_kernel
	.section	.text._ZN7rocprim17ROCPRIM_400000_NS6detail17trampoline_kernelINS0_14default_configENS1_29reduce_by_key_config_selectorIddN6thrust23THRUST_200600_302600_NS4plusIdEEEEZZNS1_33reduce_by_key_impl_wrapped_configILNS1_25lookback_scan_determinismE0ES3_S9_NS6_6detail15normal_iteratorINS6_10device_ptrIdEEEESG_SG_SG_PmS8_22is_equal_div_10_reduceIdEEE10hipError_tPvRmT2_T3_mT4_T5_T6_T7_T8_P12ihipStream_tbENKUlT_T0_E_clISt17integral_constantIbLb1EES10_IbLb0EEEEDaSW_SX_EUlSW_E_NS1_11comp_targetILNS1_3genE10ELNS1_11target_archE1200ELNS1_3gpuE4ELNS1_3repE0EEENS1_30default_config_static_selectorELNS0_4arch9wavefront6targetE0EEEvT1_,"axG",@progbits,_ZN7rocprim17ROCPRIM_400000_NS6detail17trampoline_kernelINS0_14default_configENS1_29reduce_by_key_config_selectorIddN6thrust23THRUST_200600_302600_NS4plusIdEEEEZZNS1_33reduce_by_key_impl_wrapped_configILNS1_25lookback_scan_determinismE0ES3_S9_NS6_6detail15normal_iteratorINS6_10device_ptrIdEEEESG_SG_SG_PmS8_22is_equal_div_10_reduceIdEEE10hipError_tPvRmT2_T3_mT4_T5_T6_T7_T8_P12ihipStream_tbENKUlT_T0_E_clISt17integral_constantIbLb1EES10_IbLb0EEEEDaSW_SX_EUlSW_E_NS1_11comp_targetILNS1_3genE10ELNS1_11target_archE1200ELNS1_3gpuE4ELNS1_3repE0EEENS1_30default_config_static_selectorELNS0_4arch9wavefront6targetE0EEEvT1_,comdat
.Lfunc_end75:
	.size	_ZN7rocprim17ROCPRIM_400000_NS6detail17trampoline_kernelINS0_14default_configENS1_29reduce_by_key_config_selectorIddN6thrust23THRUST_200600_302600_NS4plusIdEEEEZZNS1_33reduce_by_key_impl_wrapped_configILNS1_25lookback_scan_determinismE0ES3_S9_NS6_6detail15normal_iteratorINS6_10device_ptrIdEEEESG_SG_SG_PmS8_22is_equal_div_10_reduceIdEEE10hipError_tPvRmT2_T3_mT4_T5_T6_T7_T8_P12ihipStream_tbENKUlT_T0_E_clISt17integral_constantIbLb1EES10_IbLb0EEEEDaSW_SX_EUlSW_E_NS1_11comp_targetILNS1_3genE10ELNS1_11target_archE1200ELNS1_3gpuE4ELNS1_3repE0EEENS1_30default_config_static_selectorELNS0_4arch9wavefront6targetE0EEEvT1_, .Lfunc_end75-_ZN7rocprim17ROCPRIM_400000_NS6detail17trampoline_kernelINS0_14default_configENS1_29reduce_by_key_config_selectorIddN6thrust23THRUST_200600_302600_NS4plusIdEEEEZZNS1_33reduce_by_key_impl_wrapped_configILNS1_25lookback_scan_determinismE0ES3_S9_NS6_6detail15normal_iteratorINS6_10device_ptrIdEEEESG_SG_SG_PmS8_22is_equal_div_10_reduceIdEEE10hipError_tPvRmT2_T3_mT4_T5_T6_T7_T8_P12ihipStream_tbENKUlT_T0_E_clISt17integral_constantIbLb1EES10_IbLb0EEEEDaSW_SX_EUlSW_E_NS1_11comp_targetILNS1_3genE10ELNS1_11target_archE1200ELNS1_3gpuE4ELNS1_3repE0EEENS1_30default_config_static_selectorELNS0_4arch9wavefront6targetE0EEEvT1_
                                        ; -- End function
	.section	.AMDGPU.csdata,"",@progbits
; Kernel info:
; codeLenInByte = 0
; NumSgprs: 0
; NumVgprs: 0
; ScratchSize: 0
; MemoryBound: 0
; FloatMode: 240
; IeeeMode: 1
; LDSByteSize: 0 bytes/workgroup (compile time only)
; SGPRBlocks: 0
; VGPRBlocks: 0
; NumSGPRsForWavesPerEU: 1
; NumVGPRsForWavesPerEU: 1
; Occupancy: 16
; WaveLimiterHint : 0
; COMPUTE_PGM_RSRC2:SCRATCH_EN: 0
; COMPUTE_PGM_RSRC2:USER_SGPR: 15
; COMPUTE_PGM_RSRC2:TRAP_HANDLER: 0
; COMPUTE_PGM_RSRC2:TGID_X_EN: 1
; COMPUTE_PGM_RSRC2:TGID_Y_EN: 0
; COMPUTE_PGM_RSRC2:TGID_Z_EN: 0
; COMPUTE_PGM_RSRC2:TIDIG_COMP_CNT: 0
	.section	.text._ZN7rocprim17ROCPRIM_400000_NS6detail17trampoline_kernelINS0_14default_configENS1_29reduce_by_key_config_selectorIddN6thrust23THRUST_200600_302600_NS4plusIdEEEEZZNS1_33reduce_by_key_impl_wrapped_configILNS1_25lookback_scan_determinismE0ES3_S9_NS6_6detail15normal_iteratorINS6_10device_ptrIdEEEESG_SG_SG_PmS8_22is_equal_div_10_reduceIdEEE10hipError_tPvRmT2_T3_mT4_T5_T6_T7_T8_P12ihipStream_tbENKUlT_T0_E_clISt17integral_constantIbLb1EES10_IbLb0EEEEDaSW_SX_EUlSW_E_NS1_11comp_targetILNS1_3genE9ELNS1_11target_archE1100ELNS1_3gpuE3ELNS1_3repE0EEENS1_30default_config_static_selectorELNS0_4arch9wavefront6targetE0EEEvT1_,"axG",@progbits,_ZN7rocprim17ROCPRIM_400000_NS6detail17trampoline_kernelINS0_14default_configENS1_29reduce_by_key_config_selectorIddN6thrust23THRUST_200600_302600_NS4plusIdEEEEZZNS1_33reduce_by_key_impl_wrapped_configILNS1_25lookback_scan_determinismE0ES3_S9_NS6_6detail15normal_iteratorINS6_10device_ptrIdEEEESG_SG_SG_PmS8_22is_equal_div_10_reduceIdEEE10hipError_tPvRmT2_T3_mT4_T5_T6_T7_T8_P12ihipStream_tbENKUlT_T0_E_clISt17integral_constantIbLb1EES10_IbLb0EEEEDaSW_SX_EUlSW_E_NS1_11comp_targetILNS1_3genE9ELNS1_11target_archE1100ELNS1_3gpuE3ELNS1_3repE0EEENS1_30default_config_static_selectorELNS0_4arch9wavefront6targetE0EEEvT1_,comdat
	.protected	_ZN7rocprim17ROCPRIM_400000_NS6detail17trampoline_kernelINS0_14default_configENS1_29reduce_by_key_config_selectorIddN6thrust23THRUST_200600_302600_NS4plusIdEEEEZZNS1_33reduce_by_key_impl_wrapped_configILNS1_25lookback_scan_determinismE0ES3_S9_NS6_6detail15normal_iteratorINS6_10device_ptrIdEEEESG_SG_SG_PmS8_22is_equal_div_10_reduceIdEEE10hipError_tPvRmT2_T3_mT4_T5_T6_T7_T8_P12ihipStream_tbENKUlT_T0_E_clISt17integral_constantIbLb1EES10_IbLb0EEEEDaSW_SX_EUlSW_E_NS1_11comp_targetILNS1_3genE9ELNS1_11target_archE1100ELNS1_3gpuE3ELNS1_3repE0EEENS1_30default_config_static_selectorELNS0_4arch9wavefront6targetE0EEEvT1_ ; -- Begin function _ZN7rocprim17ROCPRIM_400000_NS6detail17trampoline_kernelINS0_14default_configENS1_29reduce_by_key_config_selectorIddN6thrust23THRUST_200600_302600_NS4plusIdEEEEZZNS1_33reduce_by_key_impl_wrapped_configILNS1_25lookback_scan_determinismE0ES3_S9_NS6_6detail15normal_iteratorINS6_10device_ptrIdEEEESG_SG_SG_PmS8_22is_equal_div_10_reduceIdEEE10hipError_tPvRmT2_T3_mT4_T5_T6_T7_T8_P12ihipStream_tbENKUlT_T0_E_clISt17integral_constantIbLb1EES10_IbLb0EEEEDaSW_SX_EUlSW_E_NS1_11comp_targetILNS1_3genE9ELNS1_11target_archE1100ELNS1_3gpuE3ELNS1_3repE0EEENS1_30default_config_static_selectorELNS0_4arch9wavefront6targetE0EEEvT1_
	.globl	_ZN7rocprim17ROCPRIM_400000_NS6detail17trampoline_kernelINS0_14default_configENS1_29reduce_by_key_config_selectorIddN6thrust23THRUST_200600_302600_NS4plusIdEEEEZZNS1_33reduce_by_key_impl_wrapped_configILNS1_25lookback_scan_determinismE0ES3_S9_NS6_6detail15normal_iteratorINS6_10device_ptrIdEEEESG_SG_SG_PmS8_22is_equal_div_10_reduceIdEEE10hipError_tPvRmT2_T3_mT4_T5_T6_T7_T8_P12ihipStream_tbENKUlT_T0_E_clISt17integral_constantIbLb1EES10_IbLb0EEEEDaSW_SX_EUlSW_E_NS1_11comp_targetILNS1_3genE9ELNS1_11target_archE1100ELNS1_3gpuE3ELNS1_3repE0EEENS1_30default_config_static_selectorELNS0_4arch9wavefront6targetE0EEEvT1_
	.p2align	8
	.type	_ZN7rocprim17ROCPRIM_400000_NS6detail17trampoline_kernelINS0_14default_configENS1_29reduce_by_key_config_selectorIddN6thrust23THRUST_200600_302600_NS4plusIdEEEEZZNS1_33reduce_by_key_impl_wrapped_configILNS1_25lookback_scan_determinismE0ES3_S9_NS6_6detail15normal_iteratorINS6_10device_ptrIdEEEESG_SG_SG_PmS8_22is_equal_div_10_reduceIdEEE10hipError_tPvRmT2_T3_mT4_T5_T6_T7_T8_P12ihipStream_tbENKUlT_T0_E_clISt17integral_constantIbLb1EES10_IbLb0EEEEDaSW_SX_EUlSW_E_NS1_11comp_targetILNS1_3genE9ELNS1_11target_archE1100ELNS1_3gpuE3ELNS1_3repE0EEENS1_30default_config_static_selectorELNS0_4arch9wavefront6targetE0EEEvT1_,@function
_ZN7rocprim17ROCPRIM_400000_NS6detail17trampoline_kernelINS0_14default_configENS1_29reduce_by_key_config_selectorIddN6thrust23THRUST_200600_302600_NS4plusIdEEEEZZNS1_33reduce_by_key_impl_wrapped_configILNS1_25lookback_scan_determinismE0ES3_S9_NS6_6detail15normal_iteratorINS6_10device_ptrIdEEEESG_SG_SG_PmS8_22is_equal_div_10_reduceIdEEE10hipError_tPvRmT2_T3_mT4_T5_T6_T7_T8_P12ihipStream_tbENKUlT_T0_E_clISt17integral_constantIbLb1EES10_IbLb0EEEEDaSW_SX_EUlSW_E_NS1_11comp_targetILNS1_3genE9ELNS1_11target_archE1100ELNS1_3gpuE3ELNS1_3repE0EEENS1_30default_config_static_selectorELNS0_4arch9wavefront6targetE0EEEvT1_: ; @_ZN7rocprim17ROCPRIM_400000_NS6detail17trampoline_kernelINS0_14default_configENS1_29reduce_by_key_config_selectorIddN6thrust23THRUST_200600_302600_NS4plusIdEEEEZZNS1_33reduce_by_key_impl_wrapped_configILNS1_25lookback_scan_determinismE0ES3_S9_NS6_6detail15normal_iteratorINS6_10device_ptrIdEEEESG_SG_SG_PmS8_22is_equal_div_10_reduceIdEEE10hipError_tPvRmT2_T3_mT4_T5_T6_T7_T8_P12ihipStream_tbENKUlT_T0_E_clISt17integral_constantIbLb1EES10_IbLb0EEEEDaSW_SX_EUlSW_E_NS1_11comp_targetILNS1_3genE9ELNS1_11target_archE1100ELNS1_3gpuE3ELNS1_3repE0EEENS1_30default_config_static_selectorELNS0_4arch9wavefront6targetE0EEEvT1_
; %bb.0:
	s_clause 0x2
	s_load_b256 s[36:43], s[0:1], 0x0
	s_load_b512 s[16:31], s[0:1], 0x38
	s_load_b128 s[44:47], s[0:1], 0x20
	s_mov_b32 s3, 0
	s_mul_i32 s2, s15, 0xf00
	s_waitcnt lgkmcnt(0)
	s_lshl_b64 s[4:5], s[38:39], 3
	s_mul_i32 s6, s24, s23
	s_add_u32 s10, s36, s4
	s_mul_hi_u32 s7, s24, s22
	s_addc_u32 s11, s37, s5
	s_add_u32 s12, s40, s4
	s_mul_i32 s8, s25, s22
	s_addc_u32 s13, s41, s5
	s_add_i32 s6, s7, s6
	s_lshl_b64 s[4:5], s[2:3], 3
	s_add_i32 s6, s6, s8
	s_add_u32 s14, s10, s4
	s_addc_u32 s36, s11, s5
	s_mul_i32 s9, s24, s22
	s_add_u32 s33, s12, s4
	s_addc_u32 s38, s13, s5
	s_add_u32 s34, s9, s15
	s_addc_u32 s35, s6, 0
	s_add_u32 s4, s26, -1
	s_addc_u32 s5, s27, -1
	s_mul_i32 s27, s4, 0xfffff100
	s_cmp_eq_u64 s[34:35], s[4:5]
	s_cselect_b32 s26, -1, 0
	s_cmp_lg_u64 s[34:35], s[4:5]
	s_cselect_b32 s37, -1, 0
	s_and_b32 vcc_lo, exec_lo, s26
	s_cbranch_vccnz .LBB76_2
; %bb.1:
	v_lshlrev_b32_e32 v62, 3, v0
	s_delay_alu instid0(VALU_DEP_1) | instskip(NEXT) | instid1(VALU_DEP_1)
	v_add_co_u32 v1, s2, s14, v62
	v_add_co_ci_u32_e64 v2, null, s36, 0, s2
	v_add_co_u32 v31, s2, s33, v62
	s_delay_alu instid0(VALU_DEP_3) | instskip(NEXT) | instid1(VALU_DEP_3)
	v_add_co_u32 v3, vcc_lo, 0x1000, v1
	v_add_co_ci_u32_e32 v4, vcc_lo, 0, v2, vcc_lo
	v_add_co_u32 v5, vcc_lo, 0x2000, v1
	v_add_co_ci_u32_e32 v6, vcc_lo, 0, v2, vcc_lo
	v_add_co_u32 v7, vcc_lo, 0x3000, v1
	v_add_co_ci_u32_e32 v8, vcc_lo, 0, v2, vcc_lo
	v_add_co_u32 v19, vcc_lo, 0x4000, v1
	v_add_co_ci_u32_e32 v20, vcc_lo, 0, v2, vcc_lo
	v_add_co_u32 v21, vcc_lo, 0x5000, v1
	v_add_co_ci_u32_e32 v22, vcc_lo, 0, v2, vcc_lo
	v_add_co_u32 v23, vcc_lo, 0x6000, v1
	v_add_co_ci_u32_e32 v24, vcc_lo, 0, v2, vcc_lo
	s_clause 0x7
	flat_load_b64 v[9:10], v[1:2]
	flat_load_b64 v[11:12], v[1:2] offset:2048
	flat_load_b64 v[13:14], v[3:4]
	flat_load_b64 v[3:4], v[3:4] offset:2048
	;; [unrolled: 2-line block ×4, first 2 shown]
	v_add_co_u32 v1, vcc_lo, 0x7000, v1
	v_add_co_ci_u32_e32 v2, vcc_lo, 0, v2, vcc_lo
	s_clause 0x6
	flat_load_b64 v[25:26], v[19:20]
	flat_load_b64 v[19:20], v[19:20] offset:2048
	flat_load_b64 v[27:28], v[21:22]
	flat_load_b64 v[21:22], v[21:22] offset:2048
	;; [unrolled: 2-line block ×3, first 2 shown]
	flat_load_b64 v[1:2], v[1:2]
	v_add_co_ci_u32_e64 v32, null, s38, 0, s2
	v_add_co_u32 v33, vcc_lo, 0x1000, v31
	v_mad_u32_u24 v61, 0x70, v0, v62
	s_delay_alu instid0(VALU_DEP_3)
	v_add_co_ci_u32_e32 v34, vcc_lo, 0, v32, vcc_lo
	v_add_co_u32 v35, vcc_lo, 0x2000, v31
	v_add_co_ci_u32_e32 v36, vcc_lo, 0, v32, vcc_lo
	v_add_co_u32 v37, vcc_lo, 0x3000, v31
	;; [unrolled: 2-line block ×6, first 2 shown]
	v_add_co_ci_u32_e32 v46, vcc_lo, 0, v32, vcc_lo
	s_waitcnt vmcnt(13) lgkmcnt(13)
	ds_store_2addr_stride64_b64 v62, v[9:10], v[11:12] offset1:4
	s_waitcnt vmcnt(11) lgkmcnt(12)
	ds_store_2addr_stride64_b64 v62, v[13:14], v[3:4] offset0:8 offset1:12
	s_waitcnt vmcnt(9) lgkmcnt(11)
	ds_store_2addr_stride64_b64 v62, v[15:16], v[5:6] offset0:16 offset1:20
	s_waitcnt vmcnt(7) lgkmcnt(10)
	ds_store_2addr_stride64_b64 v62, v[17:18], v[7:8] offset0:24 offset1:28
	s_waitcnt vmcnt(5) lgkmcnt(9)
	ds_store_2addr_stride64_b64 v62, v[25:26], v[19:20] offset0:32 offset1:36
	s_waitcnt vmcnt(3) lgkmcnt(8)
	ds_store_2addr_stride64_b64 v62, v[27:28], v[21:22] offset0:40 offset1:44
	s_waitcnt vmcnt(1) lgkmcnt(7)
	ds_store_2addr_stride64_b64 v62, v[29:30], v[23:24] offset0:48 offset1:52
	s_waitcnt vmcnt(0) lgkmcnt(7)
	ds_store_b64 v62, v[1:2] offset:28672
	s_waitcnt lgkmcnt(0)
	s_barrier
	buffer_gl0_inv
	ds_load_2addr_b64 v[25:28], v61 offset1:1
	ds_load_2addr_b64 v[21:24], v61 offset0:2 offset1:3
	ds_load_2addr_b64 v[17:20], v61 offset0:4 offset1:5
	;; [unrolled: 1-line block ×6, first 2 shown]
	ds_load_b64 v[57:58], v61 offset:112
	s_waitcnt lgkmcnt(0)
	s_barrier
	buffer_gl0_inv
	s_clause 0xe
	flat_load_b64 v[29:30], v[31:32]
	flat_load_b64 v[31:32], v[31:32] offset:2048
	flat_load_b64 v[47:48], v[33:34]
	flat_load_b64 v[33:34], v[33:34] offset:2048
	;; [unrolled: 2-line block ×7, first 2 shown]
	flat_load_b64 v[45:46], v[45:46]
	s_waitcnt vmcnt(13) lgkmcnt(13)
	ds_store_2addr_stride64_b64 v62, v[29:30], v[31:32] offset1:4
	s_waitcnt vmcnt(11) lgkmcnt(12)
	ds_store_2addr_stride64_b64 v62, v[47:48], v[33:34] offset0:8 offset1:12
	s_waitcnt vmcnt(9) lgkmcnt(11)
	ds_store_2addr_stride64_b64 v62, v[49:50], v[35:36] offset0:16 offset1:20
	;; [unrolled: 2-line block ×6, first 2 shown]
	s_waitcnt vmcnt(0) lgkmcnt(7)
	ds_store_b64 v62, v[45:46] offset:28672
	s_waitcnt lgkmcnt(0)
	s_barrier
	s_load_b64 s[24:25], s[0:1], 0x78
	s_and_not1_b32 vcc_lo, exec_lo, s3
	s_add_i32 s27, s27, s28
	s_cbranch_vccz .LBB76_3
	s_branch .LBB76_50
.LBB76_2:
                                        ; implicit-def: $vgpr61
                                        ; implicit-def: $vgpr25_vgpr26
                                        ; implicit-def: $vgpr21_vgpr22
                                        ; implicit-def: $vgpr17_vgpr18
                                        ; implicit-def: $vgpr13_vgpr14
                                        ; implicit-def: $vgpr9_vgpr10
                                        ; implicit-def: $vgpr5_vgpr6
                                        ; implicit-def: $vgpr1_vgpr2
                                        ; implicit-def: $vgpr57_vgpr58
	s_load_b64 s[24:25], s[0:1], 0x78
	s_add_i32 s27, s27, s28
.LBB76_3:
	s_delay_alu instid0(SALU_CYCLE_1)
	v_cmp_gt_u32_e32 vcc_lo, s27, v0
                                        ; implicit-def: $vgpr1_vgpr2
	s_and_saveexec_b32 s0, vcc_lo
	s_cbranch_execz .LBB76_5
; %bb.4:
	v_lshlrev_b32_e32 v1, 3, v0
	s_delay_alu instid0(VALU_DEP_1) | instskip(NEXT) | instid1(VALU_DEP_1)
	v_add_co_u32 v1, s1, s14, v1
	v_add_co_ci_u32_e64 v2, null, s36, 0, s1
	flat_load_b64 v[1:2], v[1:2]
.LBB76_5:
	s_or_b32 exec_lo, exec_lo, s0
	v_or_b32_e32 v3, 0x100, v0
	s_delay_alu instid0(VALU_DEP_1) | instskip(NEXT) | instid1(VALU_DEP_1)
	v_cmp_gt_u32_e64 s0, s27, v3
                                        ; implicit-def: $vgpr3_vgpr4
	s_and_saveexec_b32 s1, s0
	s_cbranch_execz .LBB76_7
; %bb.6:
	v_lshlrev_b32_e32 v3, 3, v0
	s_delay_alu instid0(VALU_DEP_1) | instskip(NEXT) | instid1(VALU_DEP_1)
	v_add_co_u32 v3, s2, s14, v3
	v_add_co_ci_u32_e64 v4, null, s36, 0, s2
	flat_load_b64 v[3:4], v[3:4] offset:2048
.LBB76_7:
	s_or_b32 exec_lo, exec_lo, s1
	v_or_b32_e32 v35, 0x200, v0
                                        ; implicit-def: $vgpr5_vgpr6
	s_delay_alu instid0(VALU_DEP_1) | instskip(NEXT) | instid1(VALU_DEP_1)
	v_cmp_gt_u32_e64 s1, s27, v35
	s_and_saveexec_b32 s2, s1
	s_cbranch_execz .LBB76_9
; %bb.8:
	v_lshlrev_b32_e32 v5, 3, v35
	s_delay_alu instid0(VALU_DEP_1) | instskip(NEXT) | instid1(VALU_DEP_1)
	v_add_co_u32 v5, s3, s14, v5
	v_add_co_ci_u32_e64 v6, null, s36, 0, s3
	flat_load_b64 v[5:6], v[5:6]
.LBB76_9:
	s_or_b32 exec_lo, exec_lo, s2
	v_or_b32_e32 v37, 0x300, v0
                                        ; implicit-def: $vgpr7_vgpr8
	s_delay_alu instid0(VALU_DEP_1) | instskip(NEXT) | instid1(VALU_DEP_1)
	v_cmp_gt_u32_e64 s2, s27, v37
	s_and_saveexec_b32 s3, s2
	s_cbranch_execz .LBB76_11
; %bb.10:
	v_lshlrev_b32_e32 v7, 3, v37
	s_delay_alu instid0(VALU_DEP_1) | instskip(NEXT) | instid1(VALU_DEP_1)
	v_add_co_u32 v7, s4, s14, v7
	v_add_co_ci_u32_e64 v8, null, s36, 0, s4
	flat_load_b64 v[7:8], v[7:8]
.LBB76_11:
	s_or_b32 exec_lo, exec_lo, s3
	v_or_b32_e32 v39, 0x400, v0
                                        ; implicit-def: $vgpr9_vgpr10
	s_delay_alu instid0(VALU_DEP_1) | instskip(NEXT) | instid1(VALU_DEP_1)
	v_cmp_gt_u32_e64 s3, s27, v39
	s_and_saveexec_b32 s4, s3
	s_cbranch_execz .LBB76_13
; %bb.12:
	v_lshlrev_b32_e32 v9, 3, v39
	s_delay_alu instid0(VALU_DEP_1) | instskip(NEXT) | instid1(VALU_DEP_1)
	v_add_co_u32 v9, s5, s14, v9
	v_add_co_ci_u32_e64 v10, null, s36, 0, s5
	flat_load_b64 v[9:10], v[9:10]
.LBB76_13:
	s_or_b32 exec_lo, exec_lo, s4
	v_or_b32_e32 v41, 0x500, v0
                                        ; implicit-def: $vgpr11_vgpr12
	s_delay_alu instid0(VALU_DEP_1) | instskip(NEXT) | instid1(VALU_DEP_1)
	v_cmp_gt_u32_e64 s4, s27, v41
	s_and_saveexec_b32 s5, s4
	s_cbranch_execz .LBB76_15
; %bb.14:
	v_lshlrev_b32_e32 v11, 3, v41
	s_delay_alu instid0(VALU_DEP_1) | instskip(NEXT) | instid1(VALU_DEP_1)
	v_add_co_u32 v11, s6, s14, v11
	v_add_co_ci_u32_e64 v12, null, s36, 0, s6
	flat_load_b64 v[11:12], v[11:12]
.LBB76_15:
	s_or_b32 exec_lo, exec_lo, s5
	v_or_b32_e32 v43, 0x600, v0
                                        ; implicit-def: $vgpr13_vgpr14
	s_delay_alu instid0(VALU_DEP_1) | instskip(NEXT) | instid1(VALU_DEP_1)
	v_cmp_gt_u32_e64 s5, s27, v43
	s_and_saveexec_b32 s6, s5
	s_cbranch_execz .LBB76_17
; %bb.16:
	v_lshlrev_b32_e32 v13, 3, v43
	s_delay_alu instid0(VALU_DEP_1) | instskip(NEXT) | instid1(VALU_DEP_1)
	v_add_co_u32 v13, s7, s14, v13
	v_add_co_ci_u32_e64 v14, null, s36, 0, s7
	flat_load_b64 v[13:14], v[13:14]
.LBB76_17:
	s_or_b32 exec_lo, exec_lo, s6
	v_or_b32_e32 v45, 0x700, v0
                                        ; implicit-def: $vgpr15_vgpr16
	s_delay_alu instid0(VALU_DEP_1) | instskip(NEXT) | instid1(VALU_DEP_1)
	v_cmp_gt_u32_e64 s6, s27, v45
	s_and_saveexec_b32 s7, s6
	s_cbranch_execz .LBB76_19
; %bb.18:
	v_lshlrev_b32_e32 v15, 3, v45
	s_delay_alu instid0(VALU_DEP_1) | instskip(NEXT) | instid1(VALU_DEP_1)
	v_add_co_u32 v15, s8, s14, v15
	v_add_co_ci_u32_e64 v16, null, s36, 0, s8
	flat_load_b64 v[15:16], v[15:16]
.LBB76_19:
	s_or_b32 exec_lo, exec_lo, s7
	v_or_b32_e32 v47, 0x800, v0
                                        ; implicit-def: $vgpr17_vgpr18
	s_delay_alu instid0(VALU_DEP_1) | instskip(NEXT) | instid1(VALU_DEP_1)
	v_cmp_gt_u32_e64 s7, s27, v47
	s_and_saveexec_b32 s8, s7
	s_cbranch_execz .LBB76_21
; %bb.20:
	v_lshlrev_b32_e32 v17, 3, v47
	s_delay_alu instid0(VALU_DEP_1) | instskip(NEXT) | instid1(VALU_DEP_1)
	v_add_co_u32 v17, s9, s14, v17
	v_add_co_ci_u32_e64 v18, null, s36, 0, s9
	flat_load_b64 v[17:18], v[17:18]
.LBB76_21:
	s_or_b32 exec_lo, exec_lo, s8
	v_or_b32_e32 v49, 0x900, v0
                                        ; implicit-def: $vgpr19_vgpr20
	s_delay_alu instid0(VALU_DEP_1) | instskip(NEXT) | instid1(VALU_DEP_1)
	v_cmp_gt_u32_e64 s8, s27, v49
	s_and_saveexec_b32 s9, s8
	s_cbranch_execz .LBB76_23
; %bb.22:
	v_lshlrev_b32_e32 v19, 3, v49
	s_delay_alu instid0(VALU_DEP_1) | instskip(NEXT) | instid1(VALU_DEP_1)
	v_add_co_u32 v19, s10, s14, v19
	v_add_co_ci_u32_e64 v20, null, s36, 0, s10
	flat_load_b64 v[19:20], v[19:20]
.LBB76_23:
	s_or_b32 exec_lo, exec_lo, s9
	v_or_b32_e32 v51, 0xa00, v0
                                        ; implicit-def: $vgpr21_vgpr22
	s_delay_alu instid0(VALU_DEP_1) | instskip(NEXT) | instid1(VALU_DEP_1)
	v_cmp_gt_u32_e64 s9, s27, v51
	s_and_saveexec_b32 s10, s9
	s_cbranch_execz .LBB76_25
; %bb.24:
	v_lshlrev_b32_e32 v21, 3, v51
	s_delay_alu instid0(VALU_DEP_1) | instskip(NEXT) | instid1(VALU_DEP_1)
	v_add_co_u32 v21, s11, s14, v21
	v_add_co_ci_u32_e64 v22, null, s36, 0, s11
	flat_load_b64 v[21:22], v[21:22]
.LBB76_25:
	s_or_b32 exec_lo, exec_lo, s10
	v_or_b32_e32 v53, 0xb00, v0
                                        ; implicit-def: $vgpr23_vgpr24
	s_delay_alu instid0(VALU_DEP_1) | instskip(NEXT) | instid1(VALU_DEP_1)
	v_cmp_gt_u32_e64 s10, s27, v53
	s_and_saveexec_b32 s11, s10
	s_cbranch_execz .LBB76_27
; %bb.26:
	v_lshlrev_b32_e32 v23, 3, v53
	s_delay_alu instid0(VALU_DEP_1) | instskip(NEXT) | instid1(VALU_DEP_1)
	v_add_co_u32 v23, s12, s14, v23
	v_add_co_ci_u32_e64 v24, null, s36, 0, s12
	flat_load_b64 v[23:24], v[23:24]
.LBB76_27:
	s_or_b32 exec_lo, exec_lo, s11
	v_or_b32_e32 v55, 0xc00, v0
                                        ; implicit-def: $vgpr25_vgpr26
	s_delay_alu instid0(VALU_DEP_1) | instskip(NEXT) | instid1(VALU_DEP_1)
	v_cmp_gt_u32_e64 s11, s27, v55
	s_and_saveexec_b32 s12, s11
	s_cbranch_execz .LBB76_29
; %bb.28:
	v_lshlrev_b32_e32 v25, 3, v55
	s_delay_alu instid0(VALU_DEP_1) | instskip(NEXT) | instid1(VALU_DEP_1)
	v_add_co_u32 v25, s13, s14, v25
	v_add_co_ci_u32_e64 v26, null, s36, 0, s13
	flat_load_b64 v[25:26], v[25:26]
.LBB76_29:
	s_or_b32 exec_lo, exec_lo, s12
	v_or_b32_e32 v59, 0xd00, v0
                                        ; implicit-def: $vgpr27_vgpr28
	s_delay_alu instid0(VALU_DEP_1) | instskip(NEXT) | instid1(VALU_DEP_1)
	v_cmp_gt_u32_e64 s12, s27, v59
	s_and_saveexec_b32 s13, s12
	s_cbranch_execz .LBB76_31
; %bb.30:
	v_lshlrev_b32_e32 v27, 3, v59
	s_delay_alu instid0(VALU_DEP_1) | instskip(NEXT) | instid1(VALU_DEP_1)
	v_add_co_u32 v27, s39, s14, v27
	v_add_co_ci_u32_e64 v28, null, s36, 0, s39
	flat_load_b64 v[27:28], v[27:28]
.LBB76_31:
	s_or_b32 exec_lo, exec_lo, s13
	v_or_b32_e32 v63, 0xe00, v0
                                        ; implicit-def: $vgpr29_vgpr30
	s_delay_alu instid0(VALU_DEP_1) | instskip(NEXT) | instid1(VALU_DEP_1)
	v_cmp_gt_u32_e64 s13, s27, v63
	s_and_saveexec_b32 s39, s13
	s_cbranch_execz .LBB76_33
; %bb.32:
	v_lshlrev_b32_e32 v29, 3, v63
	s_delay_alu instid0(VALU_DEP_1) | instskip(NEXT) | instid1(VALU_DEP_1)
	v_add_co_u32 v29, s40, s14, v29
	v_add_co_ci_u32_e64 v30, null, s36, 0, s40
	flat_load_b64 v[29:30], v[29:30]
.LBB76_33:
	s_or_b32 exec_lo, exec_lo, s39
	v_lshlrev_b32_e32 v62, 3, v0
	s_waitcnt vmcnt(0) lgkmcnt(0)
	ds_store_2addr_stride64_b64 v62, v[1:2], v[3:4] offset1:4
	ds_store_2addr_stride64_b64 v62, v[5:6], v[7:8] offset0:8 offset1:12
	ds_store_2addr_stride64_b64 v62, v[9:10], v[11:12] offset0:16 offset1:20
	;; [unrolled: 1-line block ×6, first 2 shown]
	v_mad_u32_u24 v61, 0x70, v0, v62
	ds_store_b64 v62, v[29:30] offset:28672
	s_waitcnt lgkmcnt(0)
	s_barrier
	buffer_gl0_inv
	ds_load_2addr_b64 v[25:28], v61 offset1:1
	ds_load_2addr_b64 v[21:24], v61 offset0:2 offset1:3
	ds_load_2addr_b64 v[17:20], v61 offset0:4 offset1:5
	;; [unrolled: 1-line block ×6, first 2 shown]
	ds_load_b64 v[57:58], v61 offset:112
	s_waitcnt lgkmcnt(0)
	s_barrier
	buffer_gl0_inv
                                        ; implicit-def: $vgpr29_vgpr30
	s_and_saveexec_b32 s39, vcc_lo
	s_cbranch_execnz .LBB76_57
; %bb.34:
	s_or_b32 exec_lo, exec_lo, s39
                                        ; implicit-def: $vgpr31_vgpr32
	s_and_saveexec_b32 s39, s0
	s_cbranch_execnz .LBB76_58
.LBB76_35:
	s_or_b32 exec_lo, exec_lo, s39
                                        ; implicit-def: $vgpr33_vgpr34
	s_and_saveexec_b32 s0, s1
	s_cbranch_execnz .LBB76_59
.LBB76_36:
	s_or_b32 exec_lo, exec_lo, s0
                                        ; implicit-def: $vgpr35_vgpr36
	s_and_saveexec_b32 s0, s2
	s_cbranch_execnz .LBB76_60
.LBB76_37:
	s_or_b32 exec_lo, exec_lo, s0
                                        ; implicit-def: $vgpr37_vgpr38
	s_and_saveexec_b32 s0, s3
	s_cbranch_execnz .LBB76_61
.LBB76_38:
	s_or_b32 exec_lo, exec_lo, s0
                                        ; implicit-def: $vgpr39_vgpr40
	s_and_saveexec_b32 s0, s4
	s_cbranch_execnz .LBB76_62
.LBB76_39:
	s_or_b32 exec_lo, exec_lo, s0
                                        ; implicit-def: $vgpr41_vgpr42
	s_and_saveexec_b32 s0, s5
	s_cbranch_execnz .LBB76_63
.LBB76_40:
	s_or_b32 exec_lo, exec_lo, s0
                                        ; implicit-def: $vgpr43_vgpr44
	s_and_saveexec_b32 s0, s6
	s_cbranch_execnz .LBB76_64
.LBB76_41:
	s_or_b32 exec_lo, exec_lo, s0
                                        ; implicit-def: $vgpr45_vgpr46
	s_and_saveexec_b32 s0, s7
	s_cbranch_execnz .LBB76_65
.LBB76_42:
	s_or_b32 exec_lo, exec_lo, s0
                                        ; implicit-def: $vgpr47_vgpr48
	s_and_saveexec_b32 s0, s8
	s_cbranch_execnz .LBB76_66
.LBB76_43:
	s_or_b32 exec_lo, exec_lo, s0
                                        ; implicit-def: $vgpr49_vgpr50
	s_and_saveexec_b32 s0, s9
	s_cbranch_execnz .LBB76_67
.LBB76_44:
	s_or_b32 exec_lo, exec_lo, s0
                                        ; implicit-def: $vgpr51_vgpr52
	s_and_saveexec_b32 s0, s10
	s_cbranch_execnz .LBB76_68
.LBB76_45:
	s_or_b32 exec_lo, exec_lo, s0
                                        ; implicit-def: $vgpr53_vgpr54
	s_and_saveexec_b32 s0, s11
	s_cbranch_execnz .LBB76_69
.LBB76_46:
	s_or_b32 exec_lo, exec_lo, s0
                                        ; implicit-def: $vgpr55_vgpr56
	s_and_saveexec_b32 s0, s12
	s_cbranch_execnz .LBB76_70
.LBB76_47:
	s_or_b32 exec_lo, exec_lo, s0
                                        ; implicit-def: $vgpr59_vgpr60
	s_and_saveexec_b32 s0, s13
	s_cbranch_execz .LBB76_49
.LBB76_48:
	v_lshlrev_b32_e32 v59, 3, v63
	s_delay_alu instid0(VALU_DEP_1) | instskip(NEXT) | instid1(VALU_DEP_1)
	v_add_co_u32 v59, s1, s33, v59
	v_add_co_ci_u32_e64 v60, null, s38, 0, s1
	flat_load_b64 v[59:60], v[59:60]
.LBB76_49:
	s_or_b32 exec_lo, exec_lo, s0
	s_waitcnt vmcnt(0) lgkmcnt(0)
	ds_store_2addr_stride64_b64 v62, v[29:30], v[31:32] offset1:4
	ds_store_2addr_stride64_b64 v62, v[33:34], v[35:36] offset0:8 offset1:12
	ds_store_2addr_stride64_b64 v62, v[37:38], v[39:40] offset0:16 offset1:20
	;; [unrolled: 1-line block ×6, first 2 shown]
	ds_store_b64 v62, v[59:60] offset:28672
	s_waitcnt lgkmcnt(0)
	s_barrier
.LBB76_50:
	s_waitcnt lgkmcnt(0)
	buffer_gl0_inv
	ds_load_2addr_b64 v[53:56], v61 offset1:1
	ds_load_2addr_b64 v[49:52], v61 offset0:2 offset1:3
	ds_load_2addr_b64 v[45:48], v61 offset0:4 offset1:5
	;; [unrolled: 1-line block ×6, first 2 shown]
	ds_load_b64 v[73:74], v61 offset:112
	s_cmp_eq_u64 s[34:35], 0
	s_waitcnt lgkmcnt(0)
	s_cselect_b32 s33, -1, 0
	s_cmp_lg_u64 s[34:35], 0
	s_barrier
	s_cselect_b32 s38, -1, 0
	s_and_b32 vcc_lo, exec_lo, s37
	buffer_gl0_inv
	s_cbranch_vccz .LBB76_56
; %bb.51:
	s_and_b32 vcc_lo, exec_lo, s38
	s_cbranch_vccz .LBB76_71
; %bb.52:
	v_add_co_u32 v59, s0, -8, s14
	s_delay_alu instid0(VALU_DEP_1)
	v_add_co_ci_u32_e64 v60, null, -1, s36, s0
	v_cvt_i32_f64_e32 v62, v[3:4]
	v_cvt_i32_f64_e32 v63, v[57:58]
	;; [unrolled: 1-line block ×3, first 2 shown]
	flat_load_b64 v[59:60], v[59:60]
	v_cvt_i32_f64_e32 v65, v[7:8]
	v_cvt_i32_f64_e32 v67, v[11:12]
	;; [unrolled: 1-line block ×9, first 2 shown]
	v_lshlrev_b32_e32 v61, 3, v0
	s_mov_b32 s37, -1
	s_mov_b32 s39, 0
	s_mov_b32 s40, exec_lo
	ds_store_b64 v61, v[57:58]
	s_waitcnt vmcnt(0) lgkmcnt(0)
	s_barrier
	buffer_gl0_inv
	v_mul_hi_i32 v62, 0x66666667, v62
	v_mul_hi_i32 v63, 0x66666667, v63
	v_mul_hi_i32 v64, 0x66666667, v64
	v_mul_hi_i32 v65, 0x66666667, v65
	v_mul_hi_i32 v67, 0x66666667, v67
	v_mul_hi_i32 v66, 0x66666667, v66
	v_mul_hi_i32 v68, 0x66666667, v68
	v_lshrrev_b32_e32 v72, 31, v62
	v_ashrrev_i32_e32 v62, 2, v62
	v_lshrrev_b32_e32 v75, 31, v63
	v_ashrrev_i32_e32 v63, 2, v63
	;; [unrolled: 2-line block ×3, first 2 shown]
	v_add_nc_u32_e32 v62, v62, v72
	v_cvt_i32_f64_e32 v72, v[17:18]
	v_add_nc_u32_e32 v63, v63, v75
	v_cvt_i32_f64_e32 v75, v[23:24]
	;; [unrolled: 2-line block ×3, first 2 shown]
	v_lshrrev_b32_e32 v77, 31, v65
	v_ashrrev_i32_e32 v65, 2, v65
	v_lshrrev_b32_e32 v81, 31, v67
	v_ashrrev_i32_e32 v67, 2, v67
	v_cmp_ne_u32_e32 vcc_lo, v62, v63
	v_cmp_ne_u32_e64 s0, v64, v62
	v_add_nc_u32_e32 v62, v65, v77
	v_lshrrev_b32_e32 v80, 31, v66
	v_ashrrev_i32_e32 v66, 2, v66
	v_add_nc_u32_e32 v65, v67, v81
	v_mul_hi_i32 v67, 0x66666667, v69
	v_mul_hi_i32 v69, 0x66666667, v70
	v_cmp_ne_u32_e64 s1, v62, v64
	v_mul_hi_i32 v64, 0x66666667, v71
	v_add_nc_u32_e32 v63, v66, v80
	v_lshrrev_b32_e32 v66, 31, v68
	v_ashrrev_i32_e32 v68, 2, v68
	s_delay_alu instid0(VALU_DEP_3) | instskip(SKIP_1) | instid1(VALU_DEP_3)
	v_cmp_ne_u32_e64 s2, v63, v62
	v_cmp_ne_u32_e64 s3, v65, v63
	v_add_nc_u32_e32 v62, v68, v66
	v_lshrrev_b32_e32 v63, 31, v67
	v_ashrrev_i32_e32 v66, 2, v67
	v_lshrrev_b32_e32 v67, 31, v69
	v_ashrrev_i32_e32 v68, 2, v69
	;; [unrolled: 2-line block ×3, first 2 shown]
	v_add_nc_u32_e32 v63, v66, v63
	v_cmp_ne_u32_e64 s4, v62, v65
	v_add_nc_u32_e32 v65, v68, v67
	v_mul_hi_i32 v68, 0x66666667, v79
	v_add_nc_u32_e32 v64, v64, v69
	v_mul_hi_i32 v66, 0x66666667, v72
	v_cmp_ne_u32_e64 s5, v63, v62
	v_mul_hi_i32 v62, 0x66666667, v75
	v_cmp_ne_u32_e64 s6, v65, v63
	;; [unrolled: 2-line block ×3, first 2 shown]
	v_mul_hi_i32 v65, 0x66666667, v78
	v_lshrrev_b32_e32 v72, 31, v68
	v_lshrrev_b32_e32 v67, 31, v66
	v_ashrrev_i32_e32 v66, 2, v66
	v_lshrrev_b32_e32 v69, 31, v62
	v_ashrrev_i32_e32 v62, 2, v62
	;; [unrolled: 2-line block ×4, first 2 shown]
	v_ashrrev_i32_e32 v68, 2, v68
	v_add_nc_u32_e32 v66, v66, v67
	v_add_nc_u32_e32 v62, v62, v69
	;; [unrolled: 1-line block ×5, first 2 shown]
	v_cmp_ne_u32_e64 s12, v66, v64
	v_cmp_ne_u32_e64 s8, v62, v66
	v_cmp_ne_u32_e64 s9, v63, v62
	v_cmp_ne_u32_e64 s10, v65, v63
	v_cmp_ne_u32_e64 s11, v71, v65
	v_cmpx_ne_u32_e32 0, v0
	s_cbranch_execz .LBB76_54
; %bb.53:
	v_add_nc_u32_e32 v59, -8, v61
	ds_load_b64 v[59:60], v59
.LBB76_54:
	s_or_b32 exec_lo, exec_lo, s40
	s_waitcnt lgkmcnt(0)
	v_cvt_i32_f64_e32 v59, v[59:60]
	v_cndmask_b32_e64 v111, 0, 1, vcc_lo
	v_cndmask_b32_e64 v60, 0, 1, s0
	v_cndmask_b32_e64 v112, 0, 1, s1
	;; [unrolled: 1-line block ×12, first 2 shown]
	v_mul_hi_i32 v59, 0x66666667, v59
	s_delay_alu instid0(VALU_DEP_1) | instskip(SKIP_1) | instid1(VALU_DEP_1)
	v_lshrrev_b32_e32 v67, 31, v59
	v_ashrrev_i32_e32 v59, 2, v59
	v_add_nc_u32_e32 v59, v59, v67
	v_cndmask_b32_e64 v67, 0, 1, s8
	s_delay_alu instid0(VALU_DEP_2)
	v_cmp_ne_u32_e64 s2, v59, v71
	s_and_b32 vcc_lo, exec_lo, s39
	s_cbranch_vccnz .LBB76_72
.LBB76_55:
                                        ; implicit-def: $sgpr0
	s_branch .LBB76_110
.LBB76_56:
	s_mov_b32 s37, 0
                                        ; implicit-def: $sgpr2
                                        ; implicit-def: $vgpr111
                                        ; implicit-def: $vgpr60
                                        ; implicit-def: $vgpr112
                                        ; implicit-def: $vgpr62
                                        ; implicit-def: $vgpr61
                                        ; implicit-def: $vgpr64
                                        ; implicit-def: $vgpr63
                                        ; implicit-def: $vgpr66
                                        ; implicit-def: $vgpr65
                                        ; implicit-def: $vgpr68
                                        ; implicit-def: $vgpr67
                                        ; implicit-def: $vgpr70
                                        ; implicit-def: $vgpr69
                                        ; implicit-def: $vgpr72
                                        ; implicit-def: $sgpr0
	s_cbranch_execnz .LBB76_75
	s_branch .LBB76_110
.LBB76_57:
	v_add_co_u32 v29, s40, s33, v62
	s_delay_alu instid0(VALU_DEP_1)
	v_add_co_ci_u32_e64 v30, null, s38, 0, s40
	flat_load_b64 v[29:30], v[29:30]
	s_or_b32 exec_lo, exec_lo, s39
                                        ; implicit-def: $vgpr31_vgpr32
	s_and_saveexec_b32 s39, s0
	s_cbranch_execz .LBB76_35
.LBB76_58:
	v_add_co_u32 v31, s0, s33, v62
	s_delay_alu instid0(VALU_DEP_1)
	v_add_co_ci_u32_e64 v32, null, s38, 0, s0
	flat_load_b64 v[31:32], v[31:32] offset:2048
	s_or_b32 exec_lo, exec_lo, s39
                                        ; implicit-def: $vgpr33_vgpr34
	s_and_saveexec_b32 s0, s1
	s_cbranch_execz .LBB76_36
.LBB76_59:
	v_lshlrev_b32_e32 v33, 3, v35
	s_delay_alu instid0(VALU_DEP_1) | instskip(NEXT) | instid1(VALU_DEP_1)
	v_add_co_u32 v33, s1, s33, v33
	v_add_co_ci_u32_e64 v34, null, s38, 0, s1
	flat_load_b64 v[33:34], v[33:34]
	s_or_b32 exec_lo, exec_lo, s0
                                        ; implicit-def: $vgpr35_vgpr36
	s_and_saveexec_b32 s0, s2
	s_cbranch_execz .LBB76_37
.LBB76_60:
	v_lshlrev_b32_e32 v35, 3, v37
	s_delay_alu instid0(VALU_DEP_1) | instskip(NEXT) | instid1(VALU_DEP_1)
	v_add_co_u32 v35, s1, s33, v35
	v_add_co_ci_u32_e64 v36, null, s38, 0, s1
	flat_load_b64 v[35:36], v[35:36]
	s_or_b32 exec_lo, exec_lo, s0
                                        ; implicit-def: $vgpr37_vgpr38
	s_and_saveexec_b32 s0, s3
	s_cbranch_execz .LBB76_38
.LBB76_61:
	v_lshlrev_b32_e32 v37, 3, v39
	s_delay_alu instid0(VALU_DEP_1) | instskip(NEXT) | instid1(VALU_DEP_1)
	v_add_co_u32 v37, s1, s33, v37
	v_add_co_ci_u32_e64 v38, null, s38, 0, s1
	flat_load_b64 v[37:38], v[37:38]
	s_or_b32 exec_lo, exec_lo, s0
                                        ; implicit-def: $vgpr39_vgpr40
	s_and_saveexec_b32 s0, s4
	s_cbranch_execz .LBB76_39
.LBB76_62:
	v_lshlrev_b32_e32 v39, 3, v41
	s_delay_alu instid0(VALU_DEP_1) | instskip(NEXT) | instid1(VALU_DEP_1)
	v_add_co_u32 v39, s1, s33, v39
	v_add_co_ci_u32_e64 v40, null, s38, 0, s1
	flat_load_b64 v[39:40], v[39:40]
	s_or_b32 exec_lo, exec_lo, s0
                                        ; implicit-def: $vgpr41_vgpr42
	s_and_saveexec_b32 s0, s5
	s_cbranch_execz .LBB76_40
.LBB76_63:
	v_lshlrev_b32_e32 v41, 3, v43
	s_delay_alu instid0(VALU_DEP_1) | instskip(NEXT) | instid1(VALU_DEP_1)
	v_add_co_u32 v41, s1, s33, v41
	v_add_co_ci_u32_e64 v42, null, s38, 0, s1
	flat_load_b64 v[41:42], v[41:42]
	s_or_b32 exec_lo, exec_lo, s0
                                        ; implicit-def: $vgpr43_vgpr44
	s_and_saveexec_b32 s0, s6
	s_cbranch_execz .LBB76_41
.LBB76_64:
	v_lshlrev_b32_e32 v43, 3, v45
	s_delay_alu instid0(VALU_DEP_1) | instskip(NEXT) | instid1(VALU_DEP_1)
	v_add_co_u32 v43, s1, s33, v43
	v_add_co_ci_u32_e64 v44, null, s38, 0, s1
	flat_load_b64 v[43:44], v[43:44]
	s_or_b32 exec_lo, exec_lo, s0
                                        ; implicit-def: $vgpr45_vgpr46
	s_and_saveexec_b32 s0, s7
	s_cbranch_execz .LBB76_42
.LBB76_65:
	v_lshlrev_b32_e32 v45, 3, v47
	s_delay_alu instid0(VALU_DEP_1) | instskip(NEXT) | instid1(VALU_DEP_1)
	v_add_co_u32 v45, s1, s33, v45
	v_add_co_ci_u32_e64 v46, null, s38, 0, s1
	flat_load_b64 v[45:46], v[45:46]
	s_or_b32 exec_lo, exec_lo, s0
                                        ; implicit-def: $vgpr47_vgpr48
	s_and_saveexec_b32 s0, s8
	s_cbranch_execz .LBB76_43
.LBB76_66:
	v_lshlrev_b32_e32 v47, 3, v49
	s_delay_alu instid0(VALU_DEP_1) | instskip(NEXT) | instid1(VALU_DEP_1)
	v_add_co_u32 v47, s1, s33, v47
	v_add_co_ci_u32_e64 v48, null, s38, 0, s1
	flat_load_b64 v[47:48], v[47:48]
	s_or_b32 exec_lo, exec_lo, s0
                                        ; implicit-def: $vgpr49_vgpr50
	s_and_saveexec_b32 s0, s9
	s_cbranch_execz .LBB76_44
.LBB76_67:
	v_lshlrev_b32_e32 v49, 3, v51
	s_delay_alu instid0(VALU_DEP_1) | instskip(NEXT) | instid1(VALU_DEP_1)
	v_add_co_u32 v49, s1, s33, v49
	v_add_co_ci_u32_e64 v50, null, s38, 0, s1
	flat_load_b64 v[49:50], v[49:50]
	s_or_b32 exec_lo, exec_lo, s0
                                        ; implicit-def: $vgpr51_vgpr52
	s_and_saveexec_b32 s0, s10
	s_cbranch_execz .LBB76_45
.LBB76_68:
	v_lshlrev_b32_e32 v51, 3, v53
	s_delay_alu instid0(VALU_DEP_1) | instskip(NEXT) | instid1(VALU_DEP_1)
	v_add_co_u32 v51, s1, s33, v51
	v_add_co_ci_u32_e64 v52, null, s38, 0, s1
	flat_load_b64 v[51:52], v[51:52]
	s_or_b32 exec_lo, exec_lo, s0
                                        ; implicit-def: $vgpr53_vgpr54
	s_and_saveexec_b32 s0, s11
	s_cbranch_execz .LBB76_46
.LBB76_69:
	v_lshlrev_b32_e32 v53, 3, v55
	s_delay_alu instid0(VALU_DEP_1) | instskip(NEXT) | instid1(VALU_DEP_1)
	v_add_co_u32 v53, s1, s33, v53
	v_add_co_ci_u32_e64 v54, null, s38, 0, s1
	flat_load_b64 v[53:54], v[53:54]
	s_or_b32 exec_lo, exec_lo, s0
                                        ; implicit-def: $vgpr55_vgpr56
	s_and_saveexec_b32 s0, s12
	s_cbranch_execz .LBB76_47
.LBB76_70:
	v_lshlrev_b32_e32 v55, 3, v59
	s_delay_alu instid0(VALU_DEP_1) | instskip(NEXT) | instid1(VALU_DEP_1)
	v_add_co_u32 v55, s1, s33, v55
	v_add_co_ci_u32_e64 v56, null, s38, 0, s1
	flat_load_b64 v[55:56], v[55:56]
	s_or_b32 exec_lo, exec_lo, s0
                                        ; implicit-def: $vgpr59_vgpr60
	s_and_saveexec_b32 s0, s13
	s_cbranch_execnz .LBB76_48
	s_branch .LBB76_49
.LBB76_71:
	s_mov_b32 s37, 0
                                        ; implicit-def: $sgpr2
                                        ; implicit-def: $vgpr111
                                        ; implicit-def: $vgpr60
                                        ; implicit-def: $vgpr112
                                        ; implicit-def: $vgpr62
                                        ; implicit-def: $vgpr61
                                        ; implicit-def: $vgpr64
                                        ; implicit-def: $vgpr63
                                        ; implicit-def: $vgpr66
                                        ; implicit-def: $vgpr65
                                        ; implicit-def: $vgpr68
                                        ; implicit-def: $vgpr67
                                        ; implicit-def: $vgpr70
                                        ; implicit-def: $vgpr69
                                        ; implicit-def: $vgpr72
	s_cbranch_execz .LBB76_55
.LBB76_72:
	v_cvt_i32_f64_e32 v60, v[3:4]
	v_cvt_i32_f64_e32 v61, v[57:58]
	;; [unrolled: 1-line block ×15, first 2 shown]
	v_lshlrev_b32_e32 v59, 3, v0
	s_mov_b32 s0, exec_lo
                                        ; implicit-def: $sgpr2
	ds_store_b64 v59, v[57:58]
	s_waitcnt lgkmcnt(0)
	s_barrier
	buffer_gl0_inv
	v_mul_hi_i32 v60, 0x66666667, v60
	v_mul_hi_i32 v61, 0x66666667, v61
	;; [unrolled: 1-line block ×8, first 2 shown]
	v_lshrrev_b32_e32 v77, 31, v60
	v_ashrrev_i32_e32 v60, 2, v60
	v_lshrrev_b32_e32 v78, 31, v61
	v_ashrrev_i32_e32 v61, 2, v61
	;; [unrolled: 2-line block ×3, first 2 shown]
	v_add_nc_u32_e32 v60, v60, v77
	v_lshrrev_b32_e32 v80, 31, v63
	v_add_nc_u32_e32 v61, v61, v78
	v_ashrrev_i32_e32 v63, 2, v63
	v_add_nc_u32_e32 v62, v62, v79
	v_lshrrev_b32_e32 v81, 31, v64
	v_ashrrev_i32_e32 v64, 2, v64
	v_cmp_ne_u32_e32 vcc_lo, v60, v61
	v_add_nc_u32_e32 v63, v63, v80
	v_lshrrev_b32_e32 v82, 31, v65
	v_ashrrev_i32_e32 v65, 2, v65
	v_add_nc_u32_e32 v64, v64, v81
	v_cndmask_b32_e64 v111, 0, 1, vcc_lo
	v_cmp_ne_u32_e32 vcc_lo, v62, v60
	v_mul_hi_i32 v67, 0x66666667, v67
	v_lshrrev_b32_e32 v83, 31, v66
	v_ashrrev_i32_e32 v66, 2, v66
	v_add_nc_u32_e32 v65, v65, v82
	v_cndmask_b32_e64 v60, 0, 1, vcc_lo
	v_cmp_ne_u32_e32 vcc_lo, v63, v62
	v_lshrrev_b32_e32 v85, 31, v68
	v_add_nc_u32_e32 v66, v66, v83
	v_lshrrev_b32_e32 v84, 31, v67
	v_ashrrev_i32_e32 v67, 2, v67
	v_cndmask_b32_e64 v112, 0, 1, vcc_lo
	v_cmp_ne_u32_e32 vcc_lo, v64, v63
	v_ashrrev_i32_e32 v63, 2, v68
	v_mul_hi_i32 v68, 0x66666667, v69
	v_mul_hi_i32 v69, 0x66666667, v70
	v_cndmask_b32_e64 v62, 0, 1, vcc_lo
	v_cmp_ne_u32_e32 vcc_lo, v65, v64
	s_delay_alu instid0(VALU_DEP_4)
	v_lshrrev_b32_e32 v70, 31, v68
	v_cndmask_b32_e64 v61, 0, 1, vcc_lo
	v_cmp_ne_u32_e32 vcc_lo, v66, v65
	v_add_nc_u32_e32 v65, v67, v84
	v_ashrrev_i32_e32 v68, 2, v68
	v_add_nc_u32_e32 v67, v63, v85
	v_lshrrev_b32_e32 v77, 31, v69
	v_cndmask_b32_e64 v64, 0, 1, vcc_lo
	v_cmp_ne_u32_e32 vcc_lo, v65, v66
	v_add_nc_u32_e32 v68, v68, v70
	v_mul_hi_i32 v70, 0x66666667, v71
	v_ashrrev_i32_e32 v69, 2, v69
	v_mul_hi_i32 v71, 0x66666667, v72
	v_cndmask_b32_e64 v63, 0, 1, vcc_lo
	v_cmp_ne_u32_e32 vcc_lo, v67, v65
	v_mul_hi_i32 v72, 0x66666667, v76
	v_add_nc_u32_e32 v69, v69, v77
	v_cndmask_b32_e64 v66, 0, 1, vcc_lo
	v_cmp_ne_u32_e32 vcc_lo, v68, v67
	v_mul_hi_i32 v67, 0x66666667, v75
	v_lshrrev_b32_e32 v75, 31, v70
	v_ashrrev_i32_e32 v70, 2, v70
	v_lshrrev_b32_e32 v76, 31, v71
	v_cndmask_b32_e64 v65, 0, 1, vcc_lo
	v_cmp_ne_u32_e32 vcc_lo, v69, v68
	v_ashrrev_i32_e32 v71, 2, v71
	v_add_nc_u32_e32 v70, v70, v75
	v_lshrrev_b32_e32 v77, 31, v67
	v_ashrrev_i32_e32 v67, 2, v67
	v_cndmask_b32_e64 v68, 0, 1, vcc_lo
	v_add_nc_u32_e32 v76, v71, v76
	v_cmp_ne_u32_e32 vcc_lo, v70, v69
	v_lshrrev_b32_e32 v75, 31, v72
	v_ashrrev_i32_e32 v72, 2, v72
	v_add_nc_u32_e32 v77, v67, v77
	v_cndmask_b32_e64 v67, 0, 1, vcc_lo
	v_cmp_ne_u32_e32 vcc_lo, v76, v70
	s_delay_alu instid0(VALU_DEP_4) | instskip(SKIP_3) | instid1(VALU_DEP_4)
	v_add_nc_u32_e32 v71, v72, v75
	v_cndmask_b32_e64 v70, 0, 1, vcc_lo
	v_cmp_ne_u32_e32 vcc_lo, v77, v76
	v_cndmask_b32_e64 v69, 0, 1, vcc_lo
	v_cmp_ne_u32_e32 vcc_lo, v71, v77
	v_cndmask_b32_e64 v72, 0, 1, vcc_lo
	v_cmpx_ne_u32_e32 0, v0
	s_xor_b32 s0, exec_lo, s0
	s_cbranch_execz .LBB76_74
; %bb.73:
	v_add_nc_u32_e32 v59, -8, v59
	s_or_b32 s37, s37, exec_lo
	ds_load_b64 v[75:76], v59
	s_waitcnt lgkmcnt(0)
	v_cvt_i32_f64_e32 v59, v[75:76]
	s_delay_alu instid0(VALU_DEP_1) | instskip(NEXT) | instid1(VALU_DEP_1)
	v_mul_hi_i32 v59, 0x66666667, v59
	v_lshrrev_b32_e32 v75, 31, v59
	v_ashrrev_i32_e32 v59, 2, v59
	s_delay_alu instid0(VALU_DEP_1) | instskip(NEXT) | instid1(VALU_DEP_1)
	v_add_nc_u32_e32 v59, v59, v75
	v_cmp_ne_u32_e32 vcc_lo, v59, v71
	s_and_b32 s2, vcc_lo, exec_lo
.LBB76_74:
	s_or_b32 exec_lo, exec_lo, s0
	s_mov_b32 s0, 1
	s_branch .LBB76_110
.LBB76_75:
	s_mul_hi_u32 s0, s34, 0xfffff100
	s_mul_i32 s1, s35, 0xfffff100
	s_sub_i32 s0, s0, s34
	s_mul_i32 s2, s34, 0xfffff100
	s_add_i32 s1, s0, s1
	s_add_u32 s0, s2, s28
	s_addc_u32 s1, s1, s29
	s_and_b32 vcc_lo, exec_lo, s38
	s_cbranch_vccz .LBB76_247
; %bb.76:
	v_add_co_u32 v59, s2, -8, s14
	s_delay_alu instid0(VALU_DEP_1)
	v_add_co_ci_u32_e64 v60, null, -1, s36, s2
	v_lshlrev_b32_e32 v78, 3, v0
	v_mul_u32_u24_e32 v77, 15, v0
	s_mov_b32 s2, exec_lo
	flat_load_b64 v[75:76], v[59:60]
	v_mad_u32_u24 v59, v0, 15, 14
	v_dual_mov_b32 v60, 0 :: v_dual_mov_b32 v111, 0
	ds_store_b64 v78, v[57:58]
	v_cmpx_gt_u64_e64 s[0:1], v[59:60]
	s_cbranch_execz .LBB76_78
; %bb.77:
	v_cvt_i32_f64_e32 v59, v[3:4]
	v_cvt_i32_f64_e32 v61, v[57:58]
	s_delay_alu instid0(VALU_DEP_2) | instskip(NEXT) | instid1(VALU_DEP_2)
	v_mul_hi_i32 v59, 0x66666667, v59
	v_mul_hi_i32 v61, 0x66666667, v61
	s_delay_alu instid0(VALU_DEP_2) | instskip(SKIP_1) | instid1(VALU_DEP_3)
	v_lshrrev_b32_e32 v62, 31, v59
	v_ashrrev_i32_e32 v59, 2, v59
	v_lshrrev_b32_e32 v63, 31, v61
	v_ashrrev_i32_e32 v61, 2, v61
	s_delay_alu instid0(VALU_DEP_3) | instskip(NEXT) | instid1(VALU_DEP_2)
	v_add_nc_u32_e32 v59, v59, v62
	v_add_nc_u32_e32 v61, v61, v63
	s_delay_alu instid0(VALU_DEP_1)
	v_cmp_ne_u32_e32 vcc_lo, v59, v61
	v_cndmask_b32_e64 v111, 0, 1, vcc_lo
.LBB76_78:
	s_or_b32 exec_lo, exec_lo, s2
	v_add_nc_u32_e32 v59, 13, v77
	s_mov_b32 s2, exec_lo
	s_delay_alu instid0(VALU_DEP_1)
	v_cmpx_gt_u64_e64 s[0:1], v[59:60]
	s_cbranch_execz .LBB76_80
; %bb.79:
	v_cvt_i32_f64_e32 v59, v[1:2]
	v_cvt_i32_f64_e32 v60, v[3:4]
	s_delay_alu instid0(VALU_DEP_2) | instskip(NEXT) | instid1(VALU_DEP_2)
	v_mul_hi_i32 v59, 0x66666667, v59
	v_mul_hi_i32 v60, 0x66666667, v60
	s_delay_alu instid0(VALU_DEP_2) | instskip(SKIP_1) | instid1(VALU_DEP_3)
	v_lshrrev_b32_e32 v61, 31, v59
	v_ashrrev_i32_e32 v59, 2, v59
	v_lshrrev_b32_e32 v62, 31, v60
	v_ashrrev_i32_e32 v60, 2, v60
	s_delay_alu instid0(VALU_DEP_3) | instskip(NEXT) | instid1(VALU_DEP_2)
	v_add_nc_u32_e32 v59, v59, v61
	v_add_nc_u32_e32 v60, v60, v62
	s_delay_alu instid0(VALU_DEP_1)
	v_cmp_ne_u32_e32 vcc_lo, v59, v60
	v_cndmask_b32_e64 v60, 0, 1, vcc_lo
.LBB76_80:
	s_or_b32 exec_lo, exec_lo, s2
	v_dual_mov_b32 v62, 0 :: v_dual_add_nc_u32 v61, 12, v77
	v_mov_b32_e32 v112, 0
	s_mov_b32 s2, exec_lo
	s_delay_alu instid0(VALU_DEP_2)
	v_cmpx_gt_u64_e64 s[0:1], v[61:62]
	s_cbranch_execz .LBB76_82
; %bb.81:
	v_cvt_i32_f64_e32 v59, v[7:8]
	v_cvt_i32_f64_e32 v61, v[1:2]
	s_delay_alu instid0(VALU_DEP_2) | instskip(NEXT) | instid1(VALU_DEP_2)
	v_mul_hi_i32 v59, 0x66666667, v59
	v_mul_hi_i32 v61, 0x66666667, v61
	s_delay_alu instid0(VALU_DEP_2) | instskip(SKIP_1) | instid1(VALU_DEP_3)
	v_lshrrev_b32_e32 v63, 31, v59
	v_ashrrev_i32_e32 v59, 2, v59
	v_lshrrev_b32_e32 v64, 31, v61
	v_ashrrev_i32_e32 v61, 2, v61
	s_delay_alu instid0(VALU_DEP_3) | instskip(NEXT) | instid1(VALU_DEP_2)
	v_add_nc_u32_e32 v59, v59, v63
	v_add_nc_u32_e32 v61, v61, v64
	s_delay_alu instid0(VALU_DEP_1)
	v_cmp_ne_u32_e32 vcc_lo, v59, v61
	v_cndmask_b32_e64 v112, 0, 1, vcc_lo
.LBB76_82:
	s_or_b32 exec_lo, exec_lo, s2
	v_add_nc_u32_e32 v61, 11, v77
	s_mov_b32 s2, exec_lo
	s_delay_alu instid0(VALU_DEP_1)
	v_cmpx_gt_u64_e64 s[0:1], v[61:62]
	s_cbranch_execz .LBB76_84
; %bb.83:
	v_cvt_i32_f64_e32 v59, v[5:6]
	v_cvt_i32_f64_e32 v61, v[7:8]
	s_delay_alu instid0(VALU_DEP_2) | instskip(NEXT) | instid1(VALU_DEP_2)
	v_mul_hi_i32 v59, 0x66666667, v59
	v_mul_hi_i32 v61, 0x66666667, v61
	s_delay_alu instid0(VALU_DEP_2) | instskip(SKIP_1) | instid1(VALU_DEP_3)
	v_lshrrev_b32_e32 v62, 31, v59
	v_ashrrev_i32_e32 v59, 2, v59
	v_lshrrev_b32_e32 v63, 31, v61
	v_ashrrev_i32_e32 v61, 2, v61
	s_delay_alu instid0(VALU_DEP_3) | instskip(NEXT) | instid1(VALU_DEP_2)
	v_add_nc_u32_e32 v59, v59, v62
	v_add_nc_u32_e32 v61, v61, v63
	s_delay_alu instid0(VALU_DEP_1)
	v_cmp_ne_u32_e32 vcc_lo, v59, v61
	v_cndmask_b32_e64 v62, 0, 1, vcc_lo
.LBB76_84:
	s_or_b32 exec_lo, exec_lo, s2
	v_dual_mov_b32 v64, 0 :: v_dual_add_nc_u32 v63, 10, v77
	v_mov_b32_e32 v61, 0
	s_mov_b32 s2, exec_lo
	s_delay_alu instid0(VALU_DEP_2)
	;; [unrolled: 49-line block ×6, first 2 shown]
	v_cmpx_gt_u64_e64 s[0:1], v[71:72]
	s_cbranch_execz .LBB76_102
; %bb.101:
	v_cvt_i32_f64_e32 v59, v[27:28]
	v_cvt_i32_f64_e32 v69, v[21:22]
	s_delay_alu instid0(VALU_DEP_2) | instskip(NEXT) | instid1(VALU_DEP_2)
	v_mul_hi_i32 v59, 0x66666667, v59
	v_mul_hi_i32 v69, 0x66666667, v69
	s_delay_alu instid0(VALU_DEP_2) | instskip(SKIP_1) | instid1(VALU_DEP_3)
	v_lshrrev_b32_e32 v71, 31, v59
	v_ashrrev_i32_e32 v59, 2, v59
	v_lshrrev_b32_e32 v79, 31, v69
	v_ashrrev_i32_e32 v69, 2, v69
	s_delay_alu instid0(VALU_DEP_3) | instskip(NEXT) | instid1(VALU_DEP_2)
	v_add_nc_u32_e32 v59, v59, v71
	v_add_nc_u32_e32 v69, v69, v79
	s_delay_alu instid0(VALU_DEP_1)
	v_cmp_ne_u32_e32 vcc_lo, v59, v69
	v_cndmask_b32_e64 v69, 0, 1, vcc_lo
.LBB76_102:
	s_or_b32 exec_lo, exec_lo, s2
	v_add_nc_u32_e32 v71, 1, v77
	s_mov_b32 s2, exec_lo
	s_delay_alu instid0(VALU_DEP_1)
	v_cmpx_gt_u64_e64 s[0:1], v[71:72]
	s_cbranch_execz .LBB76_104
; %bb.103:
	v_cvt_i32_f64_e32 v59, v[25:26]
	v_cvt_i32_f64_e32 v71, v[27:28]
	s_delay_alu instid0(VALU_DEP_2) | instskip(NEXT) | instid1(VALU_DEP_2)
	v_mul_hi_i32 v59, 0x66666667, v59
	v_mul_hi_i32 v71, 0x66666667, v71
	s_delay_alu instid0(VALU_DEP_2) | instskip(SKIP_1) | instid1(VALU_DEP_3)
	v_lshrrev_b32_e32 v72, 31, v59
	v_ashrrev_i32_e32 v59, 2, v59
	v_lshrrev_b32_e32 v79, 31, v71
	v_ashrrev_i32_e32 v71, 2, v71
	s_delay_alu instid0(VALU_DEP_3) | instskip(NEXT) | instid1(VALU_DEP_2)
	v_add_nc_u32_e32 v59, v59, v72
	v_add_nc_u32_e32 v71, v71, v79
	s_delay_alu instid0(VALU_DEP_1)
	v_cmp_ne_u32_e32 vcc_lo, v59, v71
	v_cndmask_b32_e64 v72, 0, 1, vcc_lo
.LBB76_104:
	s_or_b32 exec_lo, exec_lo, s2
	s_mov_b32 s2, 0
	s_mov_b32 s3, exec_lo
	s_waitcnt vmcnt(0) lgkmcnt(0)
	s_barrier
	buffer_gl0_inv
	v_cmpx_ne_u32_e32 0, v0
	s_cbranch_execz .LBB76_106
; %bb.105:
	v_add_nc_u32_e32 v59, -8, v78
	ds_load_b64 v[75:76], v59
.LBB76_106:
	s_or_b32 exec_lo, exec_lo, s3
	v_mov_b32_e32 v78, 0
	s_mov_b32 s3, exec_lo
	s_delay_alu instid0(VALU_DEP_1)
	v_cmpx_gt_u64_e64 s[0:1], v[77:78]
	s_cbranch_execz .LBB76_108
; %bb.107:
	s_waitcnt lgkmcnt(0)
	v_cvt_i32_f64_e32 v59, v[75:76]
	v_cvt_i32_f64_e32 v71, v[25:26]
	s_delay_alu instid0(VALU_DEP_2) | instskip(NEXT) | instid1(VALU_DEP_2)
	v_mul_hi_i32 v59, 0x66666667, v59
	v_mul_hi_i32 v71, 0x66666667, v71
	s_delay_alu instid0(VALU_DEP_2) | instskip(SKIP_1) | instid1(VALU_DEP_3)
	v_lshrrev_b32_e32 v75, 31, v59
	v_ashrrev_i32_e32 v59, 2, v59
	v_lshrrev_b32_e32 v76, 31, v71
	v_ashrrev_i32_e32 v71, 2, v71
	s_delay_alu instid0(VALU_DEP_3) | instskip(NEXT) | instid1(VALU_DEP_2)
	v_add_nc_u32_e32 v59, v59, v75
	v_add_nc_u32_e32 v71, v71, v76
	s_delay_alu instid0(VALU_DEP_1)
	v_cmp_ne_u32_e32 vcc_lo, v59, v71
	s_and_b32 s2, vcc_lo, exec_lo
.LBB76_108:
	s_or_b32 exec_lo, exec_lo, s3
	s_mov_b32 s37, -1
.LBB76_109:
                                        ; implicit-def: $sgpr0
.LBB76_110:
	v_mov_b32_e32 v71, s0
	s_and_saveexec_b32 s0, s37
.LBB76_111:
	v_cndmask_b32_e64 v71, 0, 1, s2
.LBB76_112:
	s_or_b32 exec_lo, exec_lo, s0
	v_add_f64 v[109:110], v[53:54], v[55:56]
	s_delay_alu instid0(VALU_DEP_2)
	v_add3_u32 v59, v72, v71, v69
	v_cmp_eq_u32_e64 s12, 0, v72
	v_cmp_eq_u32_e64 s11, 0, v69
	;; [unrolled: 1-line block ×4, first 2 shown]
	v_add3_u32 v115, v59, v70, v67
	v_cmp_eq_u32_e64 s8, 0, v68
	v_cmp_eq_u32_e64 s7, 0, v65
	;; [unrolled: 1-line block ×9, first 2 shown]
	v_cmp_eq_u32_e32 vcc_lo, 0, v111
	v_mbcnt_lo_u32_b32 v114, -1, 0
	s_cmp_eq_u64 s[22:23], 0
	s_cselect_b32 s14, -1, 0
	s_cmp_lg_u32 s15, 0
	s_cbranch_scc0 .LBB76_179
; %bb.113:
	s_waitcnt lgkmcnt(0)
	v_cndmask_b32_e64 v76, v56, v110, s12
	v_cndmask_b32_e64 v75, v55, v109, s12
	v_add3_u32 v59, v115, v68, v65
	s_mov_b32 s13, exec_lo
	s_delay_alu instid0(VALU_DEP_2) | instskip(NEXT) | instid1(VALU_DEP_2)
	v_add_f64 v[75:76], v[49:50], v[75:76]
	v_add3_u32 v59, v59, v66, v63
	s_delay_alu instid0(VALU_DEP_1) | instskip(NEXT) | instid1(VALU_DEP_1)
	v_add3_u32 v59, v59, v64, v61
	v_add3_u32 v59, v59, v62, v112
	s_delay_alu instid0(VALU_DEP_1) | instskip(SKIP_1) | instid1(VALU_DEP_2)
	v_add3_u32 v81, v59, v60, v111
	v_and_b32_e32 v59, 15, v114
	v_mov_b32_dpp v79, v81 row_shr:1 row_mask:0xf bank_mask:0xf
	v_cndmask_b32_e64 v76, v50, v76, s11
	v_cndmask_b32_e64 v75, v49, v75, s11
	s_delay_alu instid0(VALU_DEP_1) | instskip(NEXT) | instid1(VALU_DEP_1)
	v_add_f64 v[75:76], v[51:52], v[75:76]
	v_cndmask_b32_e64 v76, v52, v76, s10
	s_delay_alu instid0(VALU_DEP_2) | instskip(NEXT) | instid1(VALU_DEP_1)
	v_cndmask_b32_e64 v75, v51, v75, s10
	v_add_f64 v[75:76], v[45:46], v[75:76]
	s_delay_alu instid0(VALU_DEP_1) | instskip(NEXT) | instid1(VALU_DEP_2)
	v_cndmask_b32_e64 v76, v46, v76, s9
	v_cndmask_b32_e64 v75, v45, v75, s9
	s_delay_alu instid0(VALU_DEP_1) | instskip(NEXT) | instid1(VALU_DEP_1)
	v_add_f64 v[75:76], v[47:48], v[75:76]
	v_cndmask_b32_e64 v76, v48, v76, s8
	s_delay_alu instid0(VALU_DEP_2) | instskip(NEXT) | instid1(VALU_DEP_1)
	v_cndmask_b32_e64 v75, v47, v75, s8
	v_add_f64 v[75:76], v[41:42], v[75:76]
	s_delay_alu instid0(VALU_DEP_1) | instskip(NEXT) | instid1(VALU_DEP_2)
	;; [unrolled: 9-line block ×5, first 2 shown]
	v_cndmask_b32_e64 v76, v30, v76, s1
	v_cndmask_b32_e64 v75, v29, v75, s1
	s_delay_alu instid0(VALU_DEP_1) | instskip(NEXT) | instid1(VALU_DEP_1)
	v_add_f64 v[75:76], v[31:32], v[75:76]
	v_cndmask_b32_e64 v76, v32, v76, s0
	s_delay_alu instid0(VALU_DEP_2) | instskip(NEXT) | instid1(VALU_DEP_1)
	v_cndmask_b32_e64 v75, v31, v75, s0
	v_add_f64 v[75:76], v[73:74], v[75:76]
	s_delay_alu instid0(VALU_DEP_1) | instskip(NEXT) | instid1(VALU_DEP_1)
	v_dual_cndmask_b32 v77, v73, v75 :: v_dual_cndmask_b32 v78, v74, v76
	v_mov_b32_dpp v75, v77 row_shr:1 row_mask:0xf bank_mask:0xf
	s_delay_alu instid0(VALU_DEP_2)
	v_mov_b32_dpp v76, v78 row_shr:1 row_mask:0xf bank_mask:0xf
	v_cmpx_ne_u32_e32 0, v59
; %bb.114:
	s_delay_alu instid0(VALU_DEP_2) | instskip(SKIP_1) | instid1(VALU_DEP_2)
	v_add_f64 v[75:76], v[77:78], v[75:76]
	v_cmp_eq_u32_e32 vcc_lo, 0, v81
	v_dual_cndmask_b32 v78, v78, v76 :: v_dual_add_nc_u32 v81, v79, v81
	s_delay_alu instid0(VALU_DEP_3)
	v_cndmask_b32_e32 v77, v77, v75, vcc_lo
; %bb.115:
	s_or_b32 exec_lo, exec_lo, s13
	s_delay_alu instid0(VALU_DEP_2) | instskip(NEXT) | instid1(VALU_DEP_2)
	v_mov_b32_dpp v79, v81 row_shr:2 row_mask:0xf bank_mask:0xf
	v_mov_b32_dpp v75, v77 row_shr:2 row_mask:0xf bank_mask:0xf
	v_mov_b32_dpp v76, v78 row_shr:2 row_mask:0xf bank_mask:0xf
	s_mov_b32 s13, exec_lo
	v_cmpx_lt_u32_e32 1, v59
; %bb.116:
	s_delay_alu instid0(VALU_DEP_2) | instskip(SKIP_1) | instid1(VALU_DEP_2)
	v_add_f64 v[75:76], v[77:78], v[75:76]
	v_cmp_eq_u32_e32 vcc_lo, 0, v81
	v_dual_cndmask_b32 v78, v78, v76 :: v_dual_add_nc_u32 v81, v79, v81
	s_delay_alu instid0(VALU_DEP_3)
	v_cndmask_b32_e32 v77, v77, v75, vcc_lo
; %bb.117:
	s_or_b32 exec_lo, exec_lo, s13
	s_delay_alu instid0(VALU_DEP_2) | instskip(NEXT) | instid1(VALU_DEP_2)
	v_mov_b32_dpp v79, v81 row_shr:4 row_mask:0xf bank_mask:0xf
	v_mov_b32_dpp v75, v77 row_shr:4 row_mask:0xf bank_mask:0xf
	v_mov_b32_dpp v76, v78 row_shr:4 row_mask:0xf bank_mask:0xf
	s_mov_b32 s13, exec_lo
	v_cmpx_lt_u32_e32 3, v59
	;; [unrolled: 15-line block ×3, first 2 shown]
; %bb.120:
	s_delay_alu instid0(VALU_DEP_2) | instskip(SKIP_1) | instid1(VALU_DEP_2)
	v_add_f64 v[75:76], v[77:78], v[75:76]
	v_cmp_eq_u32_e32 vcc_lo, 0, v81
	v_dual_cndmask_b32 v78, v78, v76 :: v_dual_add_nc_u32 v81, v79, v81
	s_delay_alu instid0(VALU_DEP_3)
	v_cndmask_b32_e32 v77, v77, v75, vcc_lo
; %bb.121:
	s_or_b32 exec_lo, exec_lo, s13
	ds_swizzle_b32 v59, v81 offset:swizzle(BROADCAST,32,15)
	ds_swizzle_b32 v75, v77 offset:swizzle(BROADCAST,32,15)
	;; [unrolled: 1-line block ×3, first 2 shown]
	v_and_b32_e32 v79, 16, v114
	s_mov_b32 s13, exec_lo
	s_delay_alu instid0(VALU_DEP_1)
	v_cmpx_ne_u32_e32 0, v79
	s_cbranch_execz .LBB76_123
; %bb.122:
	s_waitcnt lgkmcnt(0)
	v_add_f64 v[75:76], v[77:78], v[75:76]
	v_cmp_eq_u32_e32 vcc_lo, 0, v81
	s_delay_alu instid0(VALU_DEP_2) | instskip(NEXT) | instid1(VALU_DEP_3)
	v_dual_cndmask_b32 v78, v78, v76 :: v_dual_add_nc_u32 v81, v59, v81
	v_cndmask_b32_e32 v77, v77, v75, vcc_lo
.LBB76_123:
	s_or_b32 exec_lo, exec_lo, s13
	s_waitcnt lgkmcnt(1)
	v_lshrrev_b32_e32 v75, 5, v0
	v_or_b32_e32 v59, 31, v0
	s_mov_b32 s13, exec_lo
	s_delay_alu instid0(VALU_DEP_2) | instskip(NEXT) | instid1(VALU_DEP_2)
	v_lshlrev_b32_e32 v82, 4, v75
	v_cmpx_eq_u32_e64 v59, v0
	s_cbranch_execz .LBB76_125
; %bb.124:
	ds_store_b32 v82, v81 offset:4128
	ds_store_b64 v82, v[77:78] offset:4136
.LBB76_125:
	s_or_b32 exec_lo, exec_lo, s13
	s_delay_alu instid0(SALU_CYCLE_1)
	s_mov_b32 s13, exec_lo
	s_waitcnt lgkmcnt(0)
	s_barrier
	buffer_gl0_inv
	v_cmpx_gt_u32_e32 8, v0
	s_cbranch_execz .LBB76_133
; %bb.126:
	v_lshlrev_b32_e32 v59, 4, v0
	v_and_b32_e32 v84, 7, v114
	s_mov_b32 s22, exec_lo
	ds_load_b32 v83, v59 offset:4128
	ds_load_b64 v[75:76], v59 offset:4136
	s_waitcnt lgkmcnt(1)
	v_mov_b32_dpp v85, v83 row_shr:1 row_mask:0xf bank_mask:0xf
	s_waitcnt lgkmcnt(0)
	v_mov_b32_dpp v79, v75 row_shr:1 row_mask:0xf bank_mask:0xf
	v_mov_b32_dpp v80, v76 row_shr:1 row_mask:0xf bank_mask:0xf
	v_cmpx_ne_u32_e32 0, v84
; %bb.127:
	s_delay_alu instid0(VALU_DEP_2) | instskip(SKIP_1) | instid1(VALU_DEP_2)
	v_add_f64 v[79:80], v[75:76], v[79:80]
	v_cmp_eq_u32_e32 vcc_lo, 0, v83
	v_dual_cndmask_b32 v76, v76, v80 :: v_dual_add_nc_u32 v83, v85, v83
	s_delay_alu instid0(VALU_DEP_3)
	v_cndmask_b32_e32 v75, v75, v79, vcc_lo
; %bb.128:
	s_or_b32 exec_lo, exec_lo, s22
	s_delay_alu instid0(VALU_DEP_2) | instskip(NEXT) | instid1(VALU_DEP_2)
	v_mov_b32_dpp v85, v83 row_shr:2 row_mask:0xf bank_mask:0xf
	v_mov_b32_dpp v79, v75 row_shr:2 row_mask:0xf bank_mask:0xf
	;; [unrolled: 1-line block ×3, first 2 shown]
	s_mov_b32 s22, exec_lo
	v_cmpx_lt_u32_e32 1, v84
; %bb.129:
	s_delay_alu instid0(VALU_DEP_2) | instskip(SKIP_1) | instid1(VALU_DEP_2)
	v_add_f64 v[79:80], v[75:76], v[79:80]
	v_cmp_eq_u32_e32 vcc_lo, 0, v83
	v_dual_cndmask_b32 v76, v76, v80 :: v_dual_add_nc_u32 v83, v85, v83
	s_delay_alu instid0(VALU_DEP_3)
	v_cndmask_b32_e32 v75, v75, v79, vcc_lo
; %bb.130:
	s_or_b32 exec_lo, exec_lo, s22
	s_delay_alu instid0(VALU_DEP_2) | instskip(NEXT) | instid1(VALU_DEP_2)
	v_mov_b32_dpp v85, v83 row_shr:4 row_mask:0xf bank_mask:0xf
	v_mov_b32_dpp v79, v75 row_shr:4 row_mask:0xf bank_mask:0xf
	;; [unrolled: 1-line block ×3, first 2 shown]
	s_mov_b32 s22, exec_lo
	v_cmpx_lt_u32_e32 3, v84
; %bb.131:
	s_delay_alu instid0(VALU_DEP_2) | instskip(SKIP_1) | instid1(VALU_DEP_2)
	v_add_f64 v[79:80], v[75:76], v[79:80]
	v_cmp_eq_u32_e32 vcc_lo, 0, v83
	v_dual_cndmask_b32 v76, v76, v80 :: v_dual_add_nc_u32 v83, v85, v83
	s_delay_alu instid0(VALU_DEP_3)
	v_cndmask_b32_e32 v75, v75, v79, vcc_lo
; %bb.132:
	s_or_b32 exec_lo, exec_lo, s22
	ds_store_b32 v59, v83 offset:4128
	ds_store_b64 v59, v[75:76] offset:4136
.LBB76_133:
	s_or_b32 exec_lo, exec_lo, s13
	v_mov_b32_e32 v75, 0
	v_cmp_gt_u32_e32 vcc_lo, 32, v0
	v_dual_mov_b32 v76, 0 :: v_dual_mov_b32 v59, 0
	s_mov_b32 s22, exec_lo
	s_waitcnt lgkmcnt(0)
	s_barrier
	buffer_gl0_inv
	v_cmpx_lt_u32_e32 31, v0
	s_cbranch_execz .LBB76_135
; %bb.134:
	ds_load_b64 v[75:76], v82 offset:4120
	ds_load_b32 v59, v82 offset:4112
	v_cmp_eq_u32_e64 s13, 0, v81
	s_waitcnt lgkmcnt(1)
	v_add_f64 v[79:80], v[77:78], v[75:76]
	s_waitcnt lgkmcnt(0)
	v_add_nc_u32_e32 v81, v59, v81
	s_delay_alu instid0(VALU_DEP_2) | instskip(NEXT) | instid1(VALU_DEP_3)
	v_cndmask_b32_e64 v78, v78, v80, s13
	v_cndmask_b32_e64 v77, v77, v79, s13
.LBB76_135:
	s_or_b32 exec_lo, exec_lo, s22
	v_add_nc_u32_e32 v79, -1, v114
	s_delay_alu instid0(VALU_DEP_1) | instskip(NEXT) | instid1(VALU_DEP_1)
	v_cmp_gt_i32_e64 s13, 0, v79
	v_cndmask_b32_e64 v79, v79, v114, s13
	v_cmp_eq_u32_e64 s13, 0, v114
	s_delay_alu instid0(VALU_DEP_2)
	v_lshlrev_b32_e32 v79, 2, v79
	ds_bpermute_b32 v87, v79, v81
	ds_bpermute_b32 v88, v79, v77
	;; [unrolled: 1-line block ×3, first 2 shown]
	s_and_saveexec_b32 s22, vcc_lo
	s_cbranch_execz .LBB76_178
; %bb.136:
	v_mov_b32_e32 v81, 0
	ds_load_b32 v90, v81 offset:4240
	ds_load_b64 v[77:78], v81 offset:4248
	s_and_saveexec_b32 s23, s13
	s_cbranch_execz .LBB76_138
; %bb.137:
	s_add_i32 s28, s15, 32
	s_mov_b32 s29, 0
	v_dual_mov_b32 v79, s28 :: v_dual_mov_b32 v80, 1
	s_lshl_b64 s[34:35], s[28:29], 4
	s_delay_alu instid0(SALU_CYCLE_1)
	s_add_u32 s28, s16, s34
	s_addc_u32 s29, s17, s35
	s_waitcnt lgkmcnt(1)
	global_store_b32 v81, v90, s[28:29]
	s_waitcnt lgkmcnt(0)
	global_store_b64 v81, v[77:78], s[28:29] offset:8
	s_waitcnt_vscnt null, 0x0
	buffer_gl1_inv
	buffer_gl0_inv
	global_store_b8 v79, v80, s[20:21]
.LBB76_138:
	s_or_b32 exec_lo, exec_lo, s23
	v_xad_u32 v79, v114, -1, s15
	s_mov_b32 s28, 0
	s_mov_b32 s23, exec_lo
	s_delay_alu instid0(VALU_DEP_1)
	v_add_nc_u32_e32 v80, 32, v79
	global_load_u8 v91, v80, s[20:21] glc
	s_waitcnt vmcnt(0)
	v_cmpx_eq_u16_e32 0, v91
	s_cbranch_execz .LBB76_144
; %bb.139:
	v_add_co_u32 v82, s29, s20, v80
	s_delay_alu instid0(VALU_DEP_1)
	v_add_co_ci_u32_e64 v83, null, s21, 0, s29
	s_mov_b32 s29, 1
.LBB76_140:                             ; =>This Loop Header: Depth=1
                                        ;     Child Loop BB76_141 Depth 2
	s_delay_alu instid0(SALU_CYCLE_1)
	s_max_u32 s34, s29, 1
.LBB76_141:                             ;   Parent Loop BB76_140 Depth=1
                                        ; =>  This Inner Loop Header: Depth=2
	s_delay_alu instid0(SALU_CYCLE_1)
	s_add_i32 s34, s34, -1
	s_sleep 1
	s_cmp_eq_u32 s34, 0
	s_cbranch_scc0 .LBB76_141
; %bb.142:                              ;   in Loop: Header=BB76_140 Depth=1
	global_load_u8 v91, v[82:83], off glc
	s_cmp_lt_u32 s29, 32
	s_cselect_b32 s34, -1, 0
	s_delay_alu instid0(SALU_CYCLE_1) | instskip(SKIP_4) | instid1(SALU_CYCLE_1)
	s_cmp_lg_u32 s34, 0
	s_addc_u32 s29, s29, 0
	s_waitcnt vmcnt(0)
	v_cmp_ne_u16_e32 vcc_lo, 0, v91
	s_or_b32 s28, vcc_lo, s28
	s_and_not1_b32 exec_lo, exec_lo, s28
	s_cbranch_execnz .LBB76_140
; %bb.143:
	s_or_b32 exec_lo, exec_lo, s28
.LBB76_144:
	s_delay_alu instid0(SALU_CYCLE_1)
	s_or_b32 exec_lo, exec_lo, s23
	v_dual_mov_b32 v82, s17 :: v_dual_mov_b32 v83, s16
	v_cmp_eq_u16_e32 vcc_lo, 1, v91
	v_lshlrev_b64 v[80:81], 4, v[80:81]
	s_waitcnt lgkmcnt(0)
	s_waitcnt_vscnt null, 0x0
	buffer_gl1_inv
	buffer_gl0_inv
	v_lshlrev_b32_e64 v93, v114, -1
	s_mov_b32 s23, exec_lo
	v_cndmask_b32_e32 v83, s18, v83, vcc_lo
	v_cndmask_b32_e32 v82, s19, v82, vcc_lo
	s_delay_alu instid0(VALU_DEP_2) | instskip(NEXT) | instid1(VALU_DEP_2)
	v_add_co_u32 v80, vcc_lo, v83, v80
	v_add_co_ci_u32_e32 v81, vcc_lo, v82, v81, vcc_lo
	v_cmp_ne_u32_e32 vcc_lo, 31, v114
	s_clause 0x1
	global_load_b32 v85, v[80:81], off
	global_load_b64 v[83:84], v[80:81], off offset:8
	v_add_co_ci_u32_e32 v80, vcc_lo, 0, v114, vcc_lo
	v_cmp_eq_u16_e32 vcc_lo, 2, v91
	s_delay_alu instid0(VALU_DEP_2) | instskip(SKIP_1) | instid1(VALU_DEP_1)
	v_lshlrev_b32_e32 v92, 2, v80
	v_and_or_b32 v82, vcc_lo, v93, 0x80000000
	v_ctz_i32_b32_e32 v82, v82
	s_waitcnt vmcnt(1)
	ds_bpermute_b32 v86, v92, v85
	s_waitcnt vmcnt(0)
	ds_bpermute_b32 v80, v92, v83
	ds_bpermute_b32 v81, v92, v84
	v_cmpx_lt_u32_e64 v114, v82
	s_cbranch_execz .LBB76_146
; %bb.145:
	s_waitcnt lgkmcnt(0)
	v_add_f64 v[80:81], v[83:84], v[80:81]
	v_cmp_eq_u32_e32 vcc_lo, 0, v85
	v_add_nc_u32_e32 v85, v86, v85
	s_delay_alu instid0(VALU_DEP_3)
	v_dual_cndmask_b32 v84, v84, v81 :: v_dual_cndmask_b32 v83, v83, v80
.LBB76_146:
	s_or_b32 exec_lo, exec_lo, s23
	v_cmp_gt_u32_e32 vcc_lo, 30, v114
	v_add_nc_u32_e32 v95, 2, v114
	s_mov_b32 s23, exec_lo
	s_waitcnt lgkmcnt(1)
	v_cndmask_b32_e64 v80, 0, 1, vcc_lo
	s_delay_alu instid0(VALU_DEP_1) | instskip(NEXT) | instid1(VALU_DEP_1)
	v_lshlrev_b32_e32 v80, 1, v80
	v_add_lshl_u32 v94, v80, v114, 2
	ds_bpermute_b32 v86, v94, v85
	ds_bpermute_b32 v80, v94, v83
	s_waitcnt lgkmcnt(2)
	ds_bpermute_b32 v81, v94, v84
	v_cmpx_le_u32_e64 v95, v82
	s_cbranch_execz .LBB76_148
; %bb.147:
	s_waitcnt lgkmcnt(0)
	v_add_f64 v[80:81], v[83:84], v[80:81]
	v_cmp_eq_u32_e32 vcc_lo, 0, v85
	v_add_nc_u32_e32 v85, v86, v85
	s_delay_alu instid0(VALU_DEP_3)
	v_dual_cndmask_b32 v84, v84, v81 :: v_dual_cndmask_b32 v83, v83, v80
.LBB76_148:
	s_or_b32 exec_lo, exec_lo, s23
	v_cmp_gt_u32_e32 vcc_lo, 28, v114
	v_add_nc_u32_e32 v97, 4, v114
	s_mov_b32 s23, exec_lo
	s_waitcnt lgkmcnt(1)
	v_cndmask_b32_e64 v80, 0, 1, vcc_lo
	s_delay_alu instid0(VALU_DEP_1) | instskip(NEXT) | instid1(VALU_DEP_1)
	v_lshlrev_b32_e32 v80, 2, v80
	v_add_lshl_u32 v96, v80, v114, 2
	ds_bpermute_b32 v86, v96, v85
	ds_bpermute_b32 v80, v96, v83
	s_waitcnt lgkmcnt(2)
	ds_bpermute_b32 v81, v96, v84
	v_cmpx_le_u32_e64 v97, v82
	;; [unrolled: 23-line block ×4, first 2 shown]
	s_cbranch_execz .LBB76_154
; %bb.153:
	s_waitcnt lgkmcnt(0)
	v_add_f64 v[80:81], v[83:84], v[80:81]
	v_cmp_eq_u32_e32 vcc_lo, 0, v85
	v_add_nc_u32_e32 v85, v86, v85
	s_delay_alu instid0(VALU_DEP_3)
	v_dual_cndmask_b32 v84, v84, v81 :: v_dual_cndmask_b32 v83, v83, v80
.LBB76_154:
	s_or_b32 exec_lo, exec_lo, s23
	s_waitcnt lgkmcnt(1)
	v_mov_b32_e32 v80, 0
	s_branch .LBB76_156
.LBB76_155:                             ;   in Loop: Header=BB76_156 Depth=1
	s_or_b32 exec_lo, exec_lo, s23
	s_delay_alu instid0(VALU_DEP_1) | instskip(SKIP_4) | instid1(VALU_DEP_4)
	v_add_f64 v[83:84], v[81:82], v[83:84]
	v_cmp_eq_u32_e32 vcc_lo, 0, v100
	v_subrev_nc_u32_e32 v79, 32, v79
	s_waitcnt lgkmcnt(1)
	v_add_nc_u32_e32 v85, v103, v100
	v_dual_cndmask_b32 v84, v82, v84 :: v_dual_cndmask_b32 v83, v81, v83
.LBB76_156:                             ; =>This Loop Header: Depth=1
                                        ;     Child Loop BB76_159 Depth 2
                                        ;       Child Loop BB76_160 Depth 3
	s_waitcnt lgkmcnt(0)
	s_delay_alu instid0(VALU_DEP_2) | instskip(NEXT) | instid1(VALU_DEP_1)
	v_dual_mov_b32 v100, v85 :: v_dual_and_b32 v81, 0xff, v91
	v_cmp_ne_u16_e32 vcc_lo, 2, v81
	v_cndmask_b32_e64 v81, 0, 1, vcc_lo
	;;#ASMSTART
	;;#ASMEND
	s_delay_alu instid0(VALU_DEP_1)
	v_cmp_ne_u32_e32 vcc_lo, 0, v81
	v_dual_mov_b32 v81, v83 :: v_dual_mov_b32 v82, v84
	s_cmp_lg_u32 vcc_lo, exec_lo
	s_cbranch_scc1 .LBB76_173
; %bb.157:                              ;   in Loop: Header=BB76_156 Depth=1
	global_load_u8 v91, v79, s[20:21] glc
	s_mov_b32 s23, exec_lo
	s_waitcnt vmcnt(0)
	v_cmpx_eq_u16_e32 0, v91
	s_cbranch_execz .LBB76_163
; %bb.158:                              ;   in Loop: Header=BB76_156 Depth=1
	v_add_co_u32 v83, s28, s20, v79
	s_delay_alu instid0(VALU_DEP_1)
	v_add_co_ci_u32_e64 v84, null, s21, 0, s28
	s_mov_b32 s29, 1
	s_mov_b32 s28, 0
.LBB76_159:                             ;   Parent Loop BB76_156 Depth=1
                                        ; =>  This Loop Header: Depth=2
                                        ;       Child Loop BB76_160 Depth 3
	s_max_u32 s34, s29, 1
.LBB76_160:                             ;   Parent Loop BB76_156 Depth=1
                                        ;     Parent Loop BB76_159 Depth=2
                                        ; =>    This Inner Loop Header: Depth=3
	s_delay_alu instid0(SALU_CYCLE_1)
	s_add_i32 s34, s34, -1
	s_sleep 1
	s_cmp_eq_u32 s34, 0
	s_cbranch_scc0 .LBB76_160
; %bb.161:                              ;   in Loop: Header=BB76_159 Depth=2
	global_load_u8 v91, v[83:84], off glc
	s_cmp_lt_u32 s29, 32
	s_cselect_b32 s34, -1, 0
	s_delay_alu instid0(SALU_CYCLE_1) | instskip(SKIP_4) | instid1(SALU_CYCLE_1)
	s_cmp_lg_u32 s34, 0
	s_addc_u32 s29, s29, 0
	s_waitcnt vmcnt(0)
	v_cmp_ne_u16_e32 vcc_lo, 0, v91
	s_or_b32 s28, vcc_lo, s28
	s_and_not1_b32 exec_lo, exec_lo, s28
	s_cbranch_execnz .LBB76_159
; %bb.162:                              ;   in Loop: Header=BB76_156 Depth=1
	s_or_b32 exec_lo, exec_lo, s28
.LBB76_163:                             ;   in Loop: Header=BB76_156 Depth=1
	s_delay_alu instid0(SALU_CYCLE_1)
	s_or_b32 exec_lo, exec_lo, s23
	v_dual_mov_b32 v85, s17 :: v_dual_mov_b32 v86, s16
	v_cmp_eq_u16_e32 vcc_lo, 1, v91
	v_lshlrev_b64 v[83:84], 4, v[79:80]
	buffer_gl1_inv
	buffer_gl0_inv
	s_mov_b32 s23, exec_lo
	v_cndmask_b32_e32 v86, s18, v86, vcc_lo
	v_cndmask_b32_e32 v85, s19, v85, vcc_lo
	s_delay_alu instid0(VALU_DEP_2) | instskip(NEXT) | instid1(VALU_DEP_2)
	v_add_co_u32 v83, vcc_lo, v86, v83
	v_add_co_ci_u32_e32 v84, vcc_lo, v85, v84, vcc_lo
	v_cmp_eq_u16_e32 vcc_lo, 2, v91
	s_clause 0x1
	global_load_b32 v103, v[83:84], off
	global_load_b64 v[83:84], v[83:84], off offset:8
	v_and_or_b32 v104, vcc_lo, v93, 0x80000000
	s_delay_alu instid0(VALU_DEP_1)
	v_ctz_i32_b32_e32 v104, v104
	s_waitcnt vmcnt(1)
	ds_bpermute_b32 v105, v92, v103
	s_waitcnt vmcnt(0)
	ds_bpermute_b32 v85, v92, v83
	ds_bpermute_b32 v86, v92, v84
	v_cmpx_lt_u32_e64 v114, v104
	s_cbranch_execz .LBB76_165
; %bb.164:                              ;   in Loop: Header=BB76_156 Depth=1
	s_waitcnt lgkmcnt(0)
	v_add_f64 v[85:86], v[83:84], v[85:86]
	v_cmp_eq_u32_e32 vcc_lo, 0, v103
	s_delay_alu instid0(VALU_DEP_2) | instskip(NEXT) | instid1(VALU_DEP_3)
	v_dual_cndmask_b32 v84, v84, v86 :: v_dual_add_nc_u32 v103, v105, v103
	v_cndmask_b32_e32 v83, v83, v85, vcc_lo
.LBB76_165:                             ;   in Loop: Header=BB76_156 Depth=1
	s_or_b32 exec_lo, exec_lo, s23
	s_waitcnt lgkmcnt(2)
	ds_bpermute_b32 v105, v94, v103
	s_waitcnt lgkmcnt(2)
	ds_bpermute_b32 v85, v94, v83
	s_waitcnt lgkmcnt(2)
	ds_bpermute_b32 v86, v94, v84
	s_mov_b32 s23, exec_lo
	v_cmpx_le_u32_e64 v95, v104
	s_cbranch_execz .LBB76_167
; %bb.166:                              ;   in Loop: Header=BB76_156 Depth=1
	s_waitcnt lgkmcnt(0)
	v_add_f64 v[85:86], v[83:84], v[85:86]
	v_cmp_eq_u32_e32 vcc_lo, 0, v103
	s_delay_alu instid0(VALU_DEP_2) | instskip(NEXT) | instid1(VALU_DEP_3)
	v_dual_cndmask_b32 v84, v84, v86 :: v_dual_add_nc_u32 v103, v105, v103
	v_cndmask_b32_e32 v83, v83, v85, vcc_lo
.LBB76_167:                             ;   in Loop: Header=BB76_156 Depth=1
	s_or_b32 exec_lo, exec_lo, s23
	s_waitcnt lgkmcnt(2)
	ds_bpermute_b32 v105, v96, v103
	s_waitcnt lgkmcnt(2)
	ds_bpermute_b32 v85, v96, v83
	s_waitcnt lgkmcnt(2)
	ds_bpermute_b32 v86, v96, v84
	s_mov_b32 s23, exec_lo
	v_cmpx_le_u32_e64 v97, v104
	;; [unrolled: 18-line block ×4, first 2 shown]
	s_cbranch_execz .LBB76_155
; %bb.172:                              ;   in Loop: Header=BB76_156 Depth=1
	s_waitcnt lgkmcnt(0)
	v_add_f64 v[85:86], v[83:84], v[85:86]
	v_cmp_eq_u32_e32 vcc_lo, 0, v103
	s_delay_alu instid0(VALU_DEP_2) | instskip(NEXT) | instid1(VALU_DEP_3)
	v_dual_cndmask_b32 v84, v84, v86 :: v_dual_add_nc_u32 v103, v105, v103
	v_cndmask_b32_e32 v83, v83, v85, vcc_lo
	s_branch .LBB76_155
.LBB76_173:                             ;   in Loop: Header=BB76_156 Depth=1
                                        ; implicit-def: $vgpr83_vgpr84
                                        ; implicit-def: $vgpr85
                                        ; implicit-def: $vgpr91
	s_cbranch_execz .LBB76_156
; %bb.174:
	s_and_saveexec_b32 s16, s13
	s_cbranch_execz .LBB76_176
; %bb.175:
	v_add_f64 v[79:80], v[77:78], v[81:82]
	v_cmp_eq_u32_e32 vcc_lo, 0, v90
	s_mov_b32 s29, 0
	s_add_i32 s28, s15, 32
	v_dual_mov_b32 v84, 0 :: v_dual_add_nc_u32 v83, v100, v90
	s_waitcnt lgkmcnt(0)
	v_dual_mov_b32 v85, 2 :: v_dual_mov_b32 v86, s28
	s_lshl_b64 s[34:35], s[28:29], 4
	s_delay_alu instid0(SALU_CYCLE_1) | instskip(SKIP_1) | instid1(VALU_DEP_4)
	s_add_u32 s28, s18, s34
	s_addc_u32 s29, s19, s35
	v_dual_cndmask_b32 v80, v78, v80 :: v_dual_cndmask_b32 v79, v77, v79
	s_clause 0x1
	global_store_b32 v84, v83, s[28:29]
	global_store_b64 v84, v[79:80], s[28:29] offset:8
	s_waitcnt_vscnt null, 0x0
	buffer_gl1_inv
	buffer_gl0_inv
	global_store_b8 v86, v85, s[20:21]
	ds_store_b32 v84, v90 offset:4096
	ds_store_b64 v84, v[77:78] offset:4104
	ds_store_b32 v84, v100 offset:4112
	ds_store_b64 v84, v[81:82] offset:4120
.LBB76_176:
	s_or_b32 exec_lo, exec_lo, s16
	v_cmp_eq_u32_e32 vcc_lo, 0, v0
	s_and_b32 exec_lo, exec_lo, vcc_lo
	s_cbranch_execz .LBB76_178
; %bb.177:
	v_mov_b32_e32 v77, 0
	ds_store_b32 v77, v100 offset:4240
	ds_store_b64 v77, v[81:82] offset:4248
.LBB76_178:
	s_or_b32 exec_lo, exec_lo, s22
	s_waitcnt lgkmcnt(2)
	v_cndmask_b32_e64 v59, v87, v59, s13
	s_waitcnt lgkmcnt(0)
	v_cndmask_b32_e64 v76, v89, v76, s13
	s_waitcnt_vscnt null, 0x0
	s_barrier
	buffer_gl0_inv
	v_cmp_eq_u32_e32 vcc_lo, 0, v59
	v_mov_b32_e32 v113, 0
	v_cndmask_b32_e64 v75, v88, v75, s13
	ds_load_b64 v[77:78], v113 offset:4248
	s_waitcnt lgkmcnt(0)
	v_add_f64 v[79:80], v[75:76], v[77:78]
	s_delay_alu instid0(VALU_DEP_1) | instskip(SKIP_1) | instid1(VALU_DEP_2)
	v_dual_cndmask_b32 v76, v76, v80 :: v_dual_cndmask_b32 v75, v75, v79
	v_cmp_eq_u32_e32 vcc_lo, 0, v0
	v_dual_cndmask_b32 v100, v76, v78 :: v_dual_cndmask_b32 v99, v75, v77
	v_cndmask_b32_e64 v118, v59, 0, vcc_lo
	v_cmp_eq_u32_e32 vcc_lo, 0, v71
	ds_load_b32 v78, v113 offset:4240
	s_waitcnt lgkmcnt(0)
	v_add_f64 v[75:76], v[53:54], v[99:100]
	s_barrier
	buffer_gl0_inv
	ds_load_b64 v[97:98], v113 offset:4120
	ds_load_b64 v[116:117], v113 offset:4104
	ds_load_b32 v77, v113 offset:4112
	ds_load_b32 v59, v113 offset:4096
	v_dual_cndmask_b32 v102, v54, v76 :: v_dual_cndmask_b32 v101, v53, v75
	s_waitcnt lgkmcnt(0)
	v_cmp_eq_u32_e32 vcc_lo, 0, v59
	s_delay_alu instid0(VALU_DEP_2) | instskip(NEXT) | instid1(VALU_DEP_1)
	v_add_f64 v[75:76], v[55:56], v[101:102]
	v_cndmask_b32_e64 v106, v56, v76, s12
	s_delay_alu instid0(VALU_DEP_2) | instskip(NEXT) | instid1(VALU_DEP_1)
	v_cndmask_b32_e64 v105, v55, v75, s12
	v_add_f64 v[75:76], v[49:50], v[105:106]
	s_delay_alu instid0(VALU_DEP_1) | instskip(NEXT) | instid1(VALU_DEP_2)
	v_cndmask_b32_e64 v104, v50, v76, s11
	v_cndmask_b32_e64 v103, v49, v75, s11
	s_delay_alu instid0(VALU_DEP_1) | instskip(NEXT) | instid1(VALU_DEP_1)
	v_add_f64 v[75:76], v[51:52], v[103:104]
	v_cndmask_b32_e64 v88, v52, v76, s10
	s_delay_alu instid0(VALU_DEP_2) | instskip(NEXT) | instid1(VALU_DEP_1)
	v_cndmask_b32_e64 v87, v51, v75, s10
	v_add_f64 v[75:76], v[45:46], v[87:88]
	s_delay_alu instid0(VALU_DEP_1) | instskip(NEXT) | instid1(VALU_DEP_2)
	v_cndmask_b32_e64 v90, v46, v76, s9
	v_cndmask_b32_e64 v89, v45, v75, s9
	s_delay_alu instid0(VALU_DEP_1) | instskip(NEXT) | instid1(VALU_DEP_1)
	;; [unrolled: 9-line block ×5, first 2 shown]
	v_add_f64 v[75:76], v[35:36], v[83:84]
	v_cndmask_b32_e64 v86, v36, v76, s2
	s_delay_alu instid0(VALU_DEP_2) | instskip(NEXT) | instid1(VALU_DEP_1)
	v_cndmask_b32_e64 v85, v35, v75, s2
	v_add_f64 v[75:76], v[29:30], v[85:86]
	s_delay_alu instid0(VALU_DEP_1) | instskip(NEXT) | instid1(VALU_DEP_2)
	v_cndmask_b32_e64 v108, v30, v76, s1
	v_cndmask_b32_e64 v107, v29, v75, s1
	v_add_f64 v[75:76], v[97:98], v[116:117]
	v_add_nc_u32_e32 v113, v78, v118
	s_delay_alu instid0(VALU_DEP_3) | instskip(NEXT) | instid1(VALU_DEP_3)
	v_add_f64 v[97:98], v[31:32], v[107:108]
	v_dual_cndmask_b32 v76, v117, v76 :: v_dual_cndmask_b32 v75, v116, v75
	s_delay_alu instid0(VALU_DEP_2) | instskip(NEXT) | instid1(VALU_DEP_3)
	v_cndmask_b32_e64 v98, v32, v98, s0
	v_cndmask_b32_e64 v97, v31, v97, s0
	s_branch .LBB76_207
.LBB76_179:
                                        ; implicit-def: $vgpr59
                                        ; implicit-def: $vgpr75_vgpr76
                                        ; implicit-def: $vgpr77
                                        ; implicit-def: $vgpr99_vgpr100
                                        ; implicit-def: $vgpr101_vgpr102
                                        ; implicit-def: $vgpr105_vgpr106
                                        ; implicit-def: $vgpr103_vgpr104
                                        ; implicit-def: $vgpr87_vgpr88
                                        ; implicit-def: $vgpr89_vgpr90
                                        ; implicit-def: $vgpr91_vgpr92
                                        ; implicit-def: $vgpr95_vgpr96
                                        ; implicit-def: $vgpr93_vgpr94
                                        ; implicit-def: $vgpr79_vgpr80
                                        ; implicit-def: $vgpr81_vgpr82
                                        ; implicit-def: $vgpr83_vgpr84
                                        ; implicit-def: $vgpr85_vgpr86
                                        ; implicit-def: $vgpr107_vgpr108
                                        ; implicit-def: $vgpr97_vgpr98
                                        ; implicit-def: $vgpr113
	s_cbranch_execz .LBB76_207
; %bb.180:
	s_and_b32 s0, s14, exec_lo
	v_dual_mov_b32 v78, v54 :: v_dual_mov_b32 v77, v53
	s_cselect_b32 s1, 0, s25
	s_cselect_b32 s0, 0, s24
	s_delay_alu instid0(SALU_CYCLE_1)
	s_cmp_eq_u64 s[0:1], 0
	s_cbranch_scc1 .LBB76_182
; %bb.181:
	v_mov_b32_e32 v59, 0
	global_load_b64 v[77:78], v59, s[0:1]
.LBB76_182:
	v_cmp_eq_u32_e32 vcc_lo, 0, v72
	v_cmp_eq_u32_e64 s0, 0, v69
	v_cmp_eq_u32_e64 s1, 0, v70
	;; [unrolled: 1-line block ×4, first 2 shown]
	s_waitcnt lgkmcnt(0)
	v_dual_cndmask_b32 v76, v56, v110 :: v_dual_cndmask_b32 v75, v55, v109
	v_cmp_eq_u32_e64 s4, 0, v65
	v_cmp_eq_u32_e64 s5, 0, v66
	;; [unrolled: 1-line block ×4, first 2 shown]
	v_add_f64 v[75:76], v[49:50], v[75:76]
	v_cmp_eq_u32_e64 s10, 0, v61
	v_cmp_eq_u32_e64 s11, 0, v62
	;; [unrolled: 1-line block ×4, first 2 shown]
	v_add3_u32 v59, v115, v68, v65
	v_cmp_eq_u32_e64 s12, 0, v111
	v_and_b32_e32 v79, 15, v114
	s_mov_b32 s13, exec_lo
	s_delay_alu instid0(VALU_DEP_3) | instskip(NEXT) | instid1(VALU_DEP_1)
	v_add3_u32 v59, v59, v66, v63
	v_add3_u32 v59, v59, v64, v61
	s_delay_alu instid0(VALU_DEP_1) | instskip(NEXT) | instid1(VALU_DEP_1)
	v_add3_u32 v59, v59, v62, v112
	v_add3_u32 v59, v59, v60, v111
	s_delay_alu instid0(VALU_DEP_1) | instskip(SKIP_2) | instid1(VALU_DEP_1)
	v_mov_b32_dpp v80, v59 row_shr:1 row_mask:0xf bank_mask:0xf
	v_cndmask_b32_e64 v76, v50, v76, s0
	v_cndmask_b32_e64 v75, v49, v75, s0
	v_add_f64 v[75:76], v[51:52], v[75:76]
	s_delay_alu instid0(VALU_DEP_1) | instskip(NEXT) | instid1(VALU_DEP_2)
	v_cndmask_b32_e64 v76, v52, v76, s1
	v_cndmask_b32_e64 v75, v51, v75, s1
	s_delay_alu instid0(VALU_DEP_1) | instskip(NEXT) | instid1(VALU_DEP_1)
	v_add_f64 v[75:76], v[45:46], v[75:76]
	v_cndmask_b32_e64 v76, v46, v76, s2
	s_delay_alu instid0(VALU_DEP_2) | instskip(NEXT) | instid1(VALU_DEP_1)
	v_cndmask_b32_e64 v75, v45, v75, s2
	v_add_f64 v[75:76], v[47:48], v[75:76]
	s_delay_alu instid0(VALU_DEP_1) | instskip(NEXT) | instid1(VALU_DEP_2)
	v_cndmask_b32_e64 v76, v48, v76, s3
	v_cndmask_b32_e64 v75, v47, v75, s3
	s_delay_alu instid0(VALU_DEP_1) | instskip(NEXT) | instid1(VALU_DEP_1)
	v_add_f64 v[75:76], v[41:42], v[75:76]
	v_cndmask_b32_e64 v76, v42, v76, s4
	s_delay_alu instid0(VALU_DEP_2) | instskip(NEXT) | instid1(VALU_DEP_1)
	v_cndmask_b32_e64 v75, v41, v75, s4
	v_add_f64 v[75:76], v[43:44], v[75:76]
	s_delay_alu instid0(VALU_DEP_1) | instskip(NEXT) | instid1(VALU_DEP_2)
	v_cndmask_b32_e64 v76, v44, v76, s5
	v_cndmask_b32_e64 v75, v43, v75, s5
	s_delay_alu instid0(VALU_DEP_1) | instskip(NEXT) | instid1(VALU_DEP_1)
	v_add_f64 v[75:76], v[37:38], v[75:76]
	v_cndmask_b32_e64 v76, v38, v76, s6
	s_delay_alu instid0(VALU_DEP_2) | instskip(NEXT) | instid1(VALU_DEP_1)
	v_cndmask_b32_e64 v75, v37, v75, s6
	v_add_f64 v[75:76], v[39:40], v[75:76]
	s_delay_alu instid0(VALU_DEP_1) | instskip(NEXT) | instid1(VALU_DEP_2)
	v_cndmask_b32_e64 v76, v40, v76, s9
	v_cndmask_b32_e64 v75, v39, v75, s9
	s_delay_alu instid0(VALU_DEP_1) | instskip(NEXT) | instid1(VALU_DEP_1)
	v_add_f64 v[75:76], v[33:34], v[75:76]
	v_cndmask_b32_e64 v76, v34, v76, s10
	s_delay_alu instid0(VALU_DEP_2) | instskip(NEXT) | instid1(VALU_DEP_1)
	v_cndmask_b32_e64 v75, v33, v75, s10
	v_add_f64 v[75:76], v[35:36], v[75:76]
	s_delay_alu instid0(VALU_DEP_1) | instskip(NEXT) | instid1(VALU_DEP_2)
	v_cndmask_b32_e64 v76, v36, v76, s11
	v_cndmask_b32_e64 v75, v35, v75, s11
	s_delay_alu instid0(VALU_DEP_1) | instskip(NEXT) | instid1(VALU_DEP_1)
	v_add_f64 v[75:76], v[29:30], v[75:76]
	v_cndmask_b32_e64 v76, v30, v76, s8
	s_delay_alu instid0(VALU_DEP_2) | instskip(NEXT) | instid1(VALU_DEP_1)
	v_cndmask_b32_e64 v75, v29, v75, s8
	v_add_f64 v[75:76], v[31:32], v[75:76]
	s_delay_alu instid0(VALU_DEP_1) | instskip(NEXT) | instid1(VALU_DEP_2)
	v_cndmask_b32_e64 v76, v32, v76, s7
	v_cndmask_b32_e64 v75, v31, v75, s7
	s_delay_alu instid0(VALU_DEP_1) | instskip(NEXT) | instid1(VALU_DEP_1)
	v_add_f64 v[75:76], v[73:74], v[75:76]
	v_cndmask_b32_e64 v74, v74, v76, s12
	s_delay_alu instid0(VALU_DEP_2) | instskip(NEXT) | instid1(VALU_DEP_2)
	v_cndmask_b32_e64 v73, v73, v75, s12
	v_mov_b32_dpp v76, v74 row_shr:1 row_mask:0xf bank_mask:0xf
	s_delay_alu instid0(VALU_DEP_2)
	v_mov_b32_dpp v75, v73 row_shr:1 row_mask:0xf bank_mask:0xf
	v_cmpx_ne_u32_e32 0, v79
; %bb.183:
	s_delay_alu instid0(VALU_DEP_2) | instskip(SKIP_2) | instid1(VALU_DEP_2)
	v_add_f64 v[75:76], v[73:74], v[75:76]
	v_cmp_eq_u32_e64 s12, 0, v59
	v_add_nc_u32_e32 v59, v80, v59
	v_cndmask_b32_e64 v74, v74, v76, s12
	s_delay_alu instid0(VALU_DEP_4)
	v_cndmask_b32_e64 v73, v73, v75, s12
; %bb.184:
	s_or_b32 exec_lo, exec_lo, s13
	s_delay_alu instid0(VALU_DEP_3) | instskip(NEXT) | instid1(VALU_DEP_2)
	v_mov_b32_dpp v80, v59 row_shr:2 row_mask:0xf bank_mask:0xf
	v_mov_b32_dpp v75, v73 row_shr:2 row_mask:0xf bank_mask:0xf
	v_mov_b32_dpp v76, v74 row_shr:2 row_mask:0xf bank_mask:0xf
	s_mov_b32 s13, exec_lo
	v_cmpx_lt_u32_e32 1, v79
; %bb.185:
	s_delay_alu instid0(VALU_DEP_2) | instskip(SKIP_2) | instid1(VALU_DEP_2)
	v_add_f64 v[75:76], v[73:74], v[75:76]
	v_cmp_eq_u32_e64 s12, 0, v59
	v_add_nc_u32_e32 v59, v80, v59
	v_cndmask_b32_e64 v74, v74, v76, s12
	s_delay_alu instid0(VALU_DEP_4)
	v_cndmask_b32_e64 v73, v73, v75, s12
; %bb.186:
	s_or_b32 exec_lo, exec_lo, s13
	s_delay_alu instid0(VALU_DEP_3) | instskip(NEXT) | instid1(VALU_DEP_2)
	v_mov_b32_dpp v80, v59 row_shr:4 row_mask:0xf bank_mask:0xf
	v_mov_b32_dpp v75, v73 row_shr:4 row_mask:0xf bank_mask:0xf
	v_mov_b32_dpp v76, v74 row_shr:4 row_mask:0xf bank_mask:0xf
	s_mov_b32 s13, exec_lo
	v_cmpx_lt_u32_e32 3, v79
	;; [unrolled: 16-line block ×3, first 2 shown]
; %bb.189:
	s_delay_alu instid0(VALU_DEP_2) | instskip(SKIP_2) | instid1(VALU_DEP_2)
	v_add_f64 v[75:76], v[73:74], v[75:76]
	v_cmp_eq_u32_e64 s12, 0, v59
	v_add_nc_u32_e32 v59, v80, v59
	v_cndmask_b32_e64 v74, v74, v76, s12
	s_delay_alu instid0(VALU_DEP_4)
	v_cndmask_b32_e64 v73, v73, v75, s12
; %bb.190:
	s_or_b32 exec_lo, exec_lo, s13
	ds_swizzle_b32 v79, v59 offset:swizzle(BROADCAST,32,15)
	ds_swizzle_b32 v75, v73 offset:swizzle(BROADCAST,32,15)
	;; [unrolled: 1-line block ×3, first 2 shown]
	v_and_b32_e32 v80, 16, v114
	s_mov_b32 s13, exec_lo
	s_delay_alu instid0(VALU_DEP_1)
	v_cmpx_ne_u32_e32 0, v80
	s_cbranch_execz .LBB76_192
; %bb.191:
	s_waitcnt lgkmcnt(0)
	v_add_f64 v[75:76], v[73:74], v[75:76]
	v_cmp_eq_u32_e64 s12, 0, v59
	v_add_nc_u32_e32 v59, v79, v59
	s_delay_alu instid0(VALU_DEP_2) | instskip(NEXT) | instid1(VALU_DEP_4)
	v_cndmask_b32_e64 v74, v74, v76, s12
	v_cndmask_b32_e64 v73, v73, v75, s12
.LBB76_192:
	s_or_b32 exec_lo, exec_lo, s13
	s_waitcnt lgkmcnt(1)
	v_or_b32_e32 v75, 31, v0
	v_lshrrev_b32_e32 v81, 5, v0
	s_mov_b32 s13, exec_lo
	s_delay_alu instid0(VALU_DEP_2)
	v_cmpx_eq_u32_e64 v75, v0
	s_cbranch_execz .LBB76_194
; %bb.193:
	s_delay_alu instid0(VALU_DEP_2)
	v_lshlrev_b32_e32 v75, 4, v81
	ds_store_b32 v75, v59 offset:4128
	ds_store_b64 v75, v[73:74] offset:4136
.LBB76_194:
	s_or_b32 exec_lo, exec_lo, s13
	s_delay_alu instid0(SALU_CYCLE_1)
	s_mov_b32 s13, exec_lo
	s_waitcnt vmcnt(0) lgkmcnt(0)
	s_barrier
	buffer_gl0_inv
	v_cmpx_gt_u32_e32 8, v0
	s_cbranch_execz .LBB76_202
; %bb.195:
	v_lshlrev_b32_e32 v82, 4, v0
	v_and_b32_e32 v84, 7, v114
	s_mov_b32 s15, exec_lo
	ds_load_b32 v83, v82 offset:4128
	ds_load_b64 v[75:76], v82 offset:4136
	s_waitcnt lgkmcnt(1)
	v_mov_b32_dpp v85, v83 row_shr:1 row_mask:0xf bank_mask:0xf
	s_waitcnt lgkmcnt(0)
	v_mov_b32_dpp v79, v75 row_shr:1 row_mask:0xf bank_mask:0xf
	v_mov_b32_dpp v80, v76 row_shr:1 row_mask:0xf bank_mask:0xf
	v_cmpx_ne_u32_e32 0, v84
; %bb.196:
	s_delay_alu instid0(VALU_DEP_2) | instskip(SKIP_2) | instid1(VALU_DEP_2)
	v_add_f64 v[79:80], v[75:76], v[79:80]
	v_cmp_eq_u32_e64 s12, 0, v83
	v_add_nc_u32_e32 v83, v85, v83
	v_cndmask_b32_e64 v76, v76, v80, s12
	s_delay_alu instid0(VALU_DEP_4)
	v_cndmask_b32_e64 v75, v75, v79, s12
; %bb.197:
	s_or_b32 exec_lo, exec_lo, s15
	s_delay_alu instid0(VALU_DEP_3) | instskip(NEXT) | instid1(VALU_DEP_2)
	v_mov_b32_dpp v85, v83 row_shr:2 row_mask:0xf bank_mask:0xf
	v_mov_b32_dpp v79, v75 row_shr:2 row_mask:0xf bank_mask:0xf
	;; [unrolled: 1-line block ×3, first 2 shown]
	s_mov_b32 s15, exec_lo
	v_cmpx_lt_u32_e32 1, v84
; %bb.198:
	s_delay_alu instid0(VALU_DEP_2) | instskip(SKIP_2) | instid1(VALU_DEP_2)
	v_add_f64 v[79:80], v[75:76], v[79:80]
	v_cmp_eq_u32_e64 s12, 0, v83
	v_add_nc_u32_e32 v83, v85, v83
	v_cndmask_b32_e64 v76, v76, v80, s12
	s_delay_alu instid0(VALU_DEP_4)
	v_cndmask_b32_e64 v75, v75, v79, s12
; %bb.199:
	s_or_b32 exec_lo, exec_lo, s15
	s_delay_alu instid0(VALU_DEP_3) | instskip(NEXT) | instid1(VALU_DEP_2)
	v_mov_b32_dpp v85, v83 row_shr:4 row_mask:0xf bank_mask:0xf
	v_mov_b32_dpp v79, v75 row_shr:4 row_mask:0xf bank_mask:0xf
	v_mov_b32_dpp v80, v76 row_shr:4 row_mask:0xf bank_mask:0xf
	s_mov_b32 s15, exec_lo
	v_cmpx_lt_u32_e32 3, v84
; %bb.200:
	s_delay_alu instid0(VALU_DEP_2) | instskip(SKIP_2) | instid1(VALU_DEP_2)
	v_add_f64 v[79:80], v[75:76], v[79:80]
	v_cmp_eq_u32_e64 s12, 0, v83
	v_add_nc_u32_e32 v83, v85, v83
	v_cndmask_b32_e64 v76, v76, v80, s12
	s_delay_alu instid0(VALU_DEP_4)
	v_cndmask_b32_e64 v75, v75, v79, s12
; %bb.201:
	s_or_b32 exec_lo, exec_lo, s15
	ds_store_b32 v82, v83 offset:4128
	ds_store_b64 v82, v[75:76] offset:4136
.LBB76_202:
	s_or_b32 exec_lo, exec_lo, s13
	v_mov_b32_e32 v75, v77
	v_dual_mov_b32 v97, 0 :: v_dual_mov_b32 v76, v78
	v_mov_b32_e32 v79, 0
	s_mov_b32 s13, exec_lo
	s_waitcnt lgkmcnt(0)
	s_barrier
	buffer_gl0_inv
	v_cmpx_lt_u32_e32 31, v0
	s_cbranch_execz .LBB76_204
; %bb.203:
	v_lshlrev_b32_e32 v79, 4, v81
	ds_load_b64 v[75:76], v79 offset:4120
	ds_load_b32 v79, v79 offset:4112
	s_waitcnt lgkmcnt(1)
	v_add_f64 v[80:81], v[77:78], v[75:76]
	s_waitcnt lgkmcnt(0)
	v_cmp_eq_u32_e64 s12, 0, v79
	s_delay_alu instid0(VALU_DEP_1) | instskip(NEXT) | instid1(VALU_DEP_3)
	v_cndmask_b32_e64 v76, v76, v81, s12
	v_cndmask_b32_e64 v75, v75, v80, s12
.LBB76_204:
	s_or_b32 exec_lo, exec_lo, s13
	s_delay_alu instid0(VALU_DEP_1) | instskip(SKIP_2) | instid1(VALU_DEP_2)
	v_add_f64 v[80:81], v[73:74], v[75:76]
	v_add_nc_u32_e32 v82, -1, v114
	v_cmp_eq_u32_e64 s13, 0, v71
	v_cmp_gt_i32_e64 s12, 0, v82
	s_delay_alu instid0(VALU_DEP_1) | instskip(SKIP_2) | instid1(VALU_DEP_3)
	v_cndmask_b32_e64 v82, v82, v114, s12
	v_cmp_eq_u32_e64 s12, 0, v59
	v_add_nc_u32_e32 v59, v79, v59
	v_lshlrev_b32_e32 v82, 2, v82
	ds_bpermute_b32 v59, v82, v59
	v_cndmask_b32_e64 v74, v74, v81, s12
	v_cndmask_b32_e64 v73, v73, v80, s12
	v_cmp_eq_u32_e64 s12, 0, v114
	ds_bpermute_b32 v74, v82, v74
	ds_bpermute_b32 v73, v82, v73
	s_waitcnt lgkmcnt(2)
	v_cndmask_b32_e64 v113, v59, v79, s12
	ds_load_b32 v59, v97 offset:4240
	s_waitcnt lgkmcnt(2)
	v_cndmask_b32_e64 v100, v74, v76, s12
	s_waitcnt lgkmcnt(1)
	v_cndmask_b32_e64 v99, v73, v75, s12
	v_cmp_eq_u32_e64 s12, 0, v0
	s_delay_alu instid0(VALU_DEP_1) | instskip(NEXT) | instid1(VALU_DEP_3)
	v_cndmask_b32_e64 v74, v100, v78, s12
	v_cndmask_b32_e64 v73, v99, v77, s12
	s_delay_alu instid0(VALU_DEP_1) | instskip(NEXT) | instid1(VALU_DEP_1)
	v_add_f64 v[73:74], v[53:54], v[73:74]
	v_cndmask_b32_e64 v102, v54, v74, s13
	s_delay_alu instid0(VALU_DEP_2) | instskip(NEXT) | instid1(VALU_DEP_1)
	v_cndmask_b32_e64 v101, v53, v73, s13
	v_add_f64 v[53:54], v[55:56], v[101:102]
	s_delay_alu instid0(VALU_DEP_1) | instskip(SKIP_2) | instid1(VALU_DEP_2)
	v_dual_cndmask_b32 v106, v56, v54 :: v_dual_cndmask_b32 v105, v55, v53
	s_waitcnt lgkmcnt(0)
	v_cmp_eq_u32_e32 vcc_lo, 0, v59
	v_add_f64 v[53:54], v[49:50], v[105:106]
	s_delay_alu instid0(VALU_DEP_1) | instskip(NEXT) | instid1(VALU_DEP_2)
	v_cndmask_b32_e64 v104, v50, v54, s0
	v_cndmask_b32_e64 v103, v49, v53, s0
	s_delay_alu instid0(VALU_DEP_1) | instskip(NEXT) | instid1(VALU_DEP_1)
	v_add_f64 v[49:50], v[51:52], v[103:104]
	v_cndmask_b32_e64 v88, v52, v50, s1
	s_delay_alu instid0(VALU_DEP_2) | instskip(NEXT) | instid1(VALU_DEP_1)
	v_cndmask_b32_e64 v87, v51, v49, s1
	v_add_f64 v[49:50], v[45:46], v[87:88]
	s_delay_alu instid0(VALU_DEP_1) | instskip(NEXT) | instid1(VALU_DEP_2)
	v_cndmask_b32_e64 v90, v46, v50, s2
	v_cndmask_b32_e64 v89, v45, v49, s2
	s_delay_alu instid0(VALU_DEP_1) | instskip(NEXT) | instid1(VALU_DEP_1)
	v_add_f64 v[45:46], v[47:48], v[89:90]
	v_cndmask_b32_e64 v92, v48, v46, s3
	s_delay_alu instid0(VALU_DEP_2) | instskip(NEXT) | instid1(VALU_DEP_1)
	v_cndmask_b32_e64 v91, v47, v45, s3
	;; [unrolled: 9-line block ×4, first 2 shown]
	v_add_f64 v[37:38], v[33:34], v[81:82]
	s_delay_alu instid0(VALU_DEP_1) | instskip(NEXT) | instid1(VALU_DEP_2)
	v_cndmask_b32_e64 v84, v34, v38, s10
	v_cndmask_b32_e64 v83, v33, v37, s10
	s_delay_alu instid0(VALU_DEP_1) | instskip(NEXT) | instid1(VALU_DEP_1)
	v_add_f64 v[33:34], v[35:36], v[83:84]
	v_cndmask_b32_e64 v86, v36, v34, s11
	s_delay_alu instid0(VALU_DEP_2) | instskip(SKIP_2) | instid1(VALU_DEP_1)
	v_cndmask_b32_e64 v85, v35, v33, s11
	ds_load_b64 v[35:36], v97 offset:4248
	v_add_f64 v[33:34], v[29:30], v[85:86]
	v_cndmask_b32_e64 v108, v30, v34, s8
	s_delay_alu instid0(VALU_DEP_2) | instskip(SKIP_2) | instid1(VALU_DEP_2)
	v_cndmask_b32_e64 v107, v29, v33, s8
	s_waitcnt lgkmcnt(0)
	v_add_f64 v[29:30], v[77:78], v[35:36]
	v_add_f64 v[33:34], v[31:32], v[107:108]
	s_delay_alu instid0(VALU_DEP_2) | instskip(NEXT) | instid1(VALU_DEP_2)
	v_dual_cndmask_b32 v76, v36, v30 :: v_dual_cndmask_b32 v75, v35, v29
	v_cndmask_b32_e64 v98, v32, v34, s7
	s_delay_alu instid0(VALU_DEP_3)
	v_cndmask_b32_e64 v97, v31, v33, s7
	s_and_saveexec_b32 s0, s12
	s_cbranch_execz .LBB76_206
; %bb.205:
	v_dual_mov_b32 v113, 0 :: v_dual_mov_b32 v100, v78
	v_mov_b32_e32 v29, 2
	v_mov_b32_e32 v99, v77
	s_clause 0x1
	global_store_b32 v113, v59, s[18:19] offset:512
	global_store_b64 v113, v[75:76], s[18:19] offset:520
	s_waitcnt_vscnt null, 0x0
	buffer_gl1_inv
	buffer_gl0_inv
	global_store_b8 v113, v29, s[20:21] offset:32
.LBB76_206:
	s_or_b32 exec_lo, exec_lo, s0
	v_mov_b32_e32 v77, 0
.LBB76_207:
	v_mov_b32_e32 v29, 0
	s_and_b32 s0, s14, exec_lo
	v_mov_b32_e32 v30, 0
	s_cselect_b32 s1, 0, s31
	s_cselect_b32 s0, 0, s30
	s_waitcnt lgkmcnt(0)
	s_waitcnt_vscnt null, 0x0
	s_cmp_eq_u64 s[0:1], 0
	s_barrier
	buffer_gl0_inv
	s_cbranch_scc1 .LBB76_209
; %bb.208:
	v_mov_b32_e32 v29, 0
	global_load_b64 v[29:30], v29, s[0:1]
.LBB76_209:
	v_cmp_eq_u32_e32 vcc_lo, 0, v71
	v_add_nc_u32_e32 v46, v113, v71
	v_cmp_ne_u32_e64 s12, 0, v71
	v_cmp_ne_u32_e64 s11, 0, v72
	;; [unrolled: 1-line block ×3, first 2 shown]
	v_cndmask_b32_e64 v31, 1, 2, vcc_lo
	v_cmp_eq_u32_e32 vcc_lo, 0, v72
	v_add_nc_u32_e32 v48, v46, v72
	v_cmp_ne_u32_e64 s8, 0, v70
	v_cmp_ne_u32_e64 s14, 0, v67
	;; [unrolled: 1-line block ×3, first 2 shown]
	v_cndmask_b32_e64 v32, 1, 2, vcc_lo
	v_cmp_eq_u32_e32 vcc_lo, 0, v69
	v_add_nc_u32_e32 v47, v48, v69
	v_cmp_ne_u32_e64 s10, 0, v65
	s_delay_alu instid0(VALU_DEP_4)
	v_dual_mov_b32 v78, 0 :: v_dual_and_b32 v31, v32, v31
	v_cndmask_b32_e64 v33, 1, 2, vcc_lo
	v_cmp_eq_u32_e32 vcc_lo, 0, v70
	v_add_nc_u32_e32 v45, v47, v70
	v_cmp_ne_u32_e64 s7, 0, v66
	v_cmp_ne_u32_e64 s6, 0, v63
	v_and_b32_e32 v33, v31, v33
	v_cndmask_b32_e64 v34, 1, 2, vcc_lo
	v_cmp_eq_u32_e32 vcc_lo, 0, v67
	v_add_nc_u32_e32 v44, v45, v67
	s_waitcnt vmcnt(0)
	v_lshlrev_b64 v[31:32], 3, v[29:30]
	v_cmp_ne_u32_e64 s5, 0, v64
	v_and_b32_e32 v33, v33, v34
	v_cndmask_b32_e64 v35, 1, 2, vcc_lo
	v_cmp_eq_u32_e32 vcc_lo, 0, v68
	v_add_nc_u32_e32 v43, v44, v68
	v_cmp_ne_u32_e64 s4, 0, v61
	v_cmp_ne_u32_e64 s3, 0, v62
	v_and_b32_e32 v33, v33, v35
	v_cndmask_b32_e64 v34, 1, 2, vcc_lo
	v_cmp_eq_u32_e32 vcc_lo, 0, v65
	v_add_nc_u32_e32 v42, v43, v65
	v_cmp_ne_u32_e64 s2, 0, v112
	;; [unrolled: 6-line block ×3, first 2 shown]
	s_mov_b32 s16, -1
	v_and_b32_e32 v33, v33, v35
	v_cndmask_b32_e64 v34, 1, 2, vcc_lo
	v_cmp_eq_u32_e32 vcc_lo, 0, v63
	v_add_nc_u32_e32 v40, v41, v63
	s_delay_alu instid0(VALU_DEP_3) | instskip(SKIP_2) | instid1(VALU_DEP_4)
	v_and_b32_e32 v33, v33, v34
	v_cndmask_b32_e64 v35, 1, 2, vcc_lo
	v_cmp_eq_u32_e32 vcc_lo, 0, v64
	v_add_nc_u32_e32 v39, v40, v64
	s_delay_alu instid0(VALU_DEP_3) | instskip(SKIP_2) | instid1(VALU_DEP_4)
	v_and_b32_e32 v33, v33, v35
	v_cndmask_b32_e64 v34, 1, 2, vcc_lo
	v_cmp_eq_u32_e32 vcc_lo, 0, v61
	v_add_nc_u32_e32 v38, v39, v61
	s_delay_alu instid0(VALU_DEP_3) | instskip(SKIP_3) | instid1(VALU_DEP_3)
	v_and_b32_e32 v37, v33, v34
	v_cndmask_b32_e64 v35, 1, 2, vcc_lo
	v_cmp_eq_u32_e32 vcc_lo, 0, v62
	v_lshlrev_b64 v[33:34], 3, v[77:78]
	v_and_b32_e32 v35, v37, v35
	v_cndmask_b32_e64 v36, 1, 2, vcc_lo
	v_cmp_eq_u32_e32 vcc_lo, 0, v112
	v_add_nc_u32_e32 v37, v38, v62
	s_delay_alu instid0(VALU_DEP_3) | instskip(SKIP_3) | instid1(VALU_DEP_3)
	v_and_b32_e32 v52, v35, v36
	v_cndmask_b32_e64 v51, 1, 2, vcc_lo
	v_add_co_u32 v49, vcc_lo, s42, v31
	v_add_co_ci_u32_e32 v50, vcc_lo, s43, v32, vcc_lo
	v_and_b32_e32 v51, v52, v51
	s_delay_alu instid0(VALU_DEP_3) | instskip(NEXT) | instid1(VALU_DEP_3)
	v_add_co_u32 v49, vcc_lo, v49, v33
	v_add_co_ci_u32_e32 v50, vcc_lo, v50, v34, vcc_lo
	v_cmp_eq_u32_e32 vcc_lo, 0, v60
	v_add_nc_u32_e32 v36, v37, v112
	v_cndmask_b32_e64 v52, 1, 2, vcc_lo
	v_cmp_eq_u32_e32 vcc_lo, 0, v111
	s_delay_alu instid0(VALU_DEP_3) | instskip(NEXT) | instid1(VALU_DEP_3)
	v_add_nc_u32_e32 v35, v36, v60
	v_and_b32_e32 v51, v51, v52
	v_cndmask_b32_e64 v52, 1, 2, vcc_lo
	v_cmp_gt_u32_e32 vcc_lo, 0x100, v59
	s_delay_alu instid0(VALU_DEP_2) | instskip(NEXT) | instid1(VALU_DEP_1)
	v_and_b32_e32 v51, v51, v52
	v_cmp_gt_i16_e64 s15, 2, v51
	s_cbranch_vccz .LBB76_216
; %bb.210:
	s_delay_alu instid0(VALU_DEP_1)
	s_and_saveexec_b32 s16, s15
	s_cbranch_execz .LBB76_215
; %bb.211:
	s_mov_b32 s17, 0
	s_mov_b32 s15, exec_lo
	v_cmpx_ne_u16_e32 1, v51
	s_xor_b32 s15, exec_lo, s15
	s_cbranch_execnz .LBB76_281
; %bb.212:
	s_and_not1_saveexec_b32 s15, s15
	s_cbranch_execnz .LBB76_297
.LBB76_213:
	s_or_b32 exec_lo, exec_lo, s15
	s_delay_alu instid0(SALU_CYCLE_1)
	s_and_b32 exec_lo, exec_lo, s17
	s_cbranch_execz .LBB76_215
.LBB76_214:
	v_sub_nc_u32_e32 v52, v35, v77
	v_mov_b32_e32 v53, 0
	s_delay_alu instid0(VALU_DEP_1) | instskip(NEXT) | instid1(VALU_DEP_1)
	v_lshlrev_b64 v[52:53], 3, v[52:53]
	v_add_co_u32 v52, vcc_lo, v49, v52
	s_delay_alu instid0(VALU_DEP_2)
	v_add_co_ci_u32_e32 v53, vcc_lo, v50, v53, vcc_lo
	global_store_b64 v[52:53], v[57:58], off
.LBB76_215:
	s_or_b32 exec_lo, exec_lo, s16
	s_mov_b32 s16, 0
.LBB76_216:
	s_delay_alu instid0(SALU_CYCLE_1)
	s_and_b32 vcc_lo, exec_lo, s16
	s_cbranch_vccz .LBB76_226
; %bb.217:
	s_mov_b32 s15, exec_lo
	v_cmpx_gt_i16_e32 2, v51
	s_cbranch_execz .LBB76_222
; %bb.218:
	s_mov_b32 s17, 0
	s_mov_b32 s16, exec_lo
	v_cmpx_ne_u16_e32 1, v51
	s_xor_b32 s16, exec_lo, s16
	s_cbranch_execnz .LBB76_298
; %bb.219:
	s_and_not1_saveexec_b32 s0, s16
	s_cbranch_execnz .LBB76_314
.LBB76_220:
	s_or_b32 exec_lo, exec_lo, s0
	s_delay_alu instid0(SALU_CYCLE_1)
	s_and_b32 exec_lo, exec_lo, s17
	s_cbranch_execz .LBB76_222
.LBB76_221:
	v_sub_nc_u32_e32 v1, v35, v77
	s_delay_alu instid0(VALU_DEP_1)
	v_lshlrev_b32_e32 v1, 3, v1
	ds_store_b64 v1, v[57:58]
.LBB76_222:
	s_or_b32 exec_lo, exec_lo, s15
	s_delay_alu instid0(SALU_CYCLE_1)
	s_mov_b32 s1, exec_lo
	s_waitcnt lgkmcnt(0)
	s_waitcnt_vscnt null, 0x0
	s_barrier
	buffer_gl0_inv
	v_cmpx_lt_u32_e64 v0, v59
	s_cbranch_execz .LBB76_225
; %bb.223:
	v_dual_mov_b32 v2, 0 :: v_dual_lshlrev_b32 v3, 3, v0
	v_mov_b32_e32 v1, v0
	s_mov_b32 s2, 0
	.p2align	6
.LBB76_224:                             ; =>This Inner Loop Header: Depth=1
	ds_load_b64 v[4:5], v3
	v_lshlrev_b64 v[6:7], 3, v[1:2]
	v_add_nc_u32_e32 v1, 0x100, v1
	v_add_nc_u32_e32 v3, 0x800, v3
	s_delay_alu instid0(VALU_DEP_2) | instskip(NEXT) | instid1(VALU_DEP_4)
	v_cmp_ge_u32_e32 vcc_lo, v1, v59
	v_add_co_u32 v6, s0, v49, v6
	s_delay_alu instid0(VALU_DEP_1)
	v_add_co_ci_u32_e64 v7, s0, v50, v7, s0
	s_or_b32 s2, vcc_lo, s2
	s_waitcnt lgkmcnt(0)
	global_store_b64 v[6:7], v[4:5], off
	s_and_not1_b32 exec_lo, exec_lo, s2
	s_cbranch_execnz .LBB76_224
.LBB76_225:
	s_or_b32 exec_lo, exec_lo, s1
.LBB76_226:
	s_cmpk_lg_i32 s27, 0xf00
	v_cmp_eq_u32_e32 vcc_lo, 0, v0
	s_cselect_b32 s0, -1, 0
	v_cndmask_b32_e64 v1, 0, 1, s33
	s_and_b32 s0, s26, s0
	v_mad_i32_i24 v4, v0, -15, s27
	v_cndmask_b32_e64 v3, 0, 1, s0
	s_mul_hi_u32 s0, s27, 0x88888889
	s_and_b32 s1, vcc_lo, s33
	s_lshr_b32 s0, s0, 3
	v_sub_nc_u32_e32 v2, v59, v1
	v_cndmask_b32_e64 v5, v71, 0, s1
	v_cmp_eq_u32_e32 vcc_lo, s0, v0
	v_cmp_ne_u32_e64 s0, 0, v4
	s_mov_b32 s16, -1
	s_waitcnt_vscnt null, 0x0
	s_barrier
	s_and_b32 vcc_lo, s26, vcc_lo
	v_add_nc_u32_e32 v3, v2, v3
	v_cndmask_b32_e64 v2, 1, v5, s0
	v_cmp_ne_u32_e64 s0, 1, v4
	buffer_gl0_inv
	v_cndmask_b32_e32 v2, v5, v2, vcc_lo
	v_cndmask_b32_e64 v6, 1, v72, s0
	v_cmp_ne_u32_e64 s0, 14, v4
	s_delay_alu instid0(VALU_DEP_3) | instskip(NEXT) | instid1(VALU_DEP_3)
	v_cmp_ne_u32_e64 s14, 0, v2
	v_cndmask_b32_e32 v11, v72, v6, vcc_lo
	s_delay_alu instid0(VALU_DEP_3) | instskip(SKIP_1) | instid1(VALU_DEP_3)
	v_cndmask_b32_e64 v7, 1, v111, s0
	v_cmp_ne_u32_e64 s0, 2, v4
	v_cmp_ne_u32_e64 s13, 0, v11
	s_delay_alu instid0(VALU_DEP_3) | instskip(NEXT) | instid1(VALU_DEP_3)
	v_cndmask_b32_e32 v10, v111, v7, vcc_lo
	v_cndmask_b32_e64 v8, 1, v69, s0
	v_cmp_ne_u32_e64 s0, 3, v4
	s_delay_alu instid0(VALU_DEP_1) | instskip(SKIP_1) | instid1(VALU_DEP_2)
	v_cndmask_b32_e64 v9, 1, v70, s0
	v_cmp_ne_u32_e64 s0, 4, v4
	v_dual_cndmask_b32 v8, v69, v8 :: v_dual_cndmask_b32 v9, v70, v9
	s_delay_alu instid0(VALU_DEP_2) | instskip(SKIP_1) | instid1(VALU_DEP_3)
	v_cndmask_b32_e64 v5, 1, v67, s0
	v_cmp_ne_u32_e64 s0, 5, v4
	v_cmp_ne_u32_e64 s12, 0, v8
	s_delay_alu instid0(VALU_DEP_4) | instskip(NEXT) | instid1(VALU_DEP_4)
	v_cmp_ne_u32_e64 s11, 0, v9
	v_cndmask_b32_e32 v16, v67, v5, vcc_lo
	s_delay_alu instid0(VALU_DEP_4) | instskip(SKIP_1) | instid1(VALU_DEP_3)
	v_cndmask_b32_e64 v6, 1, v68, s0
	v_cmp_eq_u32_e64 s0, 0, v2
	v_cmp_ne_u32_e64 s10, 0, v16
	s_delay_alu instid0(VALU_DEP_2) | instskip(SKIP_1) | instid1(VALU_DEP_1)
	v_cndmask_b32_e64 v7, 1, 2, s0
	v_cmp_eq_u32_e64 s0, 0, v11
	v_cndmask_b32_e64 v12, 1, 2, s0
	v_cmp_ne_u32_e64 s0, 6, v4
	s_delay_alu instid0(VALU_DEP_2) | instskip(NEXT) | instid1(VALU_DEP_2)
	v_and_b32_e32 v7, v12, v7
	v_cndmask_b32_e64 v13, 1, v65, s0
	v_cmp_eq_u32_e64 s0, 0, v8
	s_delay_alu instid0(VALU_DEP_2) | instskip(NEXT) | instid1(VALU_DEP_2)
	v_cndmask_b32_e32 v13, v65, v13, vcc_lo
	v_cndmask_b32_e64 v12, 1, 2, s0
	v_cmp_ne_u32_e64 s0, 7, v4
	s_delay_alu instid0(VALU_DEP_3) | instskip(NEXT) | instid1(VALU_DEP_2)
	v_cmp_ne_u32_e64 s8, 0, v13
	v_cndmask_b32_e64 v14, 1, v66, s0
	v_cmp_ne_u32_e64 s0, 8, v4
	s_delay_alu instid0(VALU_DEP_2) | instskip(NEXT) | instid1(VALU_DEP_2)
	v_dual_cndmask_b32 v14, v66, v14 :: v_dual_and_b32 v7, v7, v12
	v_cndmask_b32_e64 v15, 1, v63, s0
	v_cmp_eq_u32_e64 s0, 0, v9
	s_delay_alu instid0(VALU_DEP_3) | instskip(NEXT) | instid1(VALU_DEP_3)
	v_cmp_ne_u32_e64 s7, 0, v14
	v_cndmask_b32_e32 v15, v63, v15, vcc_lo
	s_delay_alu instid0(VALU_DEP_3) | instskip(SKIP_2) | instid1(VALU_DEP_4)
	v_cndmask_b32_e64 v12, 1, 2, s0
	v_cmp_ne_u32_e64 s0, 9, v4
	v_cndmask_b32_e32 v17, v68, v6, vcc_lo
	v_cmp_ne_u32_e64 s6, 0, v15
	s_delay_alu instid0(VALU_DEP_4) | instskip(NEXT) | instid1(VALU_DEP_4)
	v_and_b32_e32 v6, v7, v12
	v_cndmask_b32_e64 v5, 1, v64, s0
	v_cmp_eq_u32_e64 s0, 0, v16
	v_cmp_ne_u32_e64 s9, 0, v17
	s_delay_alu instid0(VALU_DEP_3) | instskip(NEXT) | instid1(VALU_DEP_3)
	v_cndmask_b32_e32 v21, v64, v5, vcc_lo
	v_cndmask_b32_e64 v7, 1, 2, s0
	v_cmp_ne_u32_e64 s0, 10, v4
	s_delay_alu instid0(VALU_DEP_3) | instskip(NEXT) | instid1(VALU_DEP_3)
	v_cmp_ne_u32_e64 s5, 0, v21
	v_and_b32_e32 v6, v6, v7
	s_delay_alu instid0(VALU_DEP_3) | instskip(SKIP_1) | instid1(VALU_DEP_2)
	v_cndmask_b32_e64 v12, 1, v61, s0
	v_cmp_ne_u32_e64 s0, 12, v4
	v_cndmask_b32_e32 v12, v61, v12, vcc_lo
	s_delay_alu instid0(VALU_DEP_2) | instskip(SKIP_1) | instid1(VALU_DEP_2)
	v_cndmask_b32_e64 v18, 1, v112, s0
	v_cmp_eq_u32_e64 s0, 0, v17
	v_cndmask_b32_e32 v18, v112, v18, vcc_lo
	s_delay_alu instid0(VALU_DEP_2) | instskip(SKIP_1) | instid1(VALU_DEP_3)
	v_cndmask_b32_e64 v7, 1, 2, s0
	v_cmp_ne_u32_e64 s0, 13, v4
	v_cmp_ne_u32_e64 s2, 0, v18
	s_delay_alu instid0(VALU_DEP_3) | instskip(NEXT) | instid1(VALU_DEP_3)
	v_and_b32_e32 v6, v6, v7
	v_cndmask_b32_e64 v19, 1, v60, s0
	v_cmp_eq_u32_e64 s0, 0, v13
	s_delay_alu instid0(VALU_DEP_1) | instskip(SKIP_1) | instid1(VALU_DEP_2)
	v_cndmask_b32_e64 v7, 1, 2, s0
	v_cmp_ne_u32_e64 s0, 11, v4
	v_and_b32_e32 v6, v6, v7
	s_delay_alu instid0(VALU_DEP_2) | instskip(SKIP_1) | instid1(VALU_DEP_2)
	v_cndmask_b32_e64 v4, 1, v62, s0
	v_cmp_eq_u32_e64 s0, 0, v14
	v_dual_cndmask_b32 v19, v60, v19 :: v_dual_cndmask_b32 v20, v62, v4
	s_delay_alu instid0(VALU_DEP_2) | instskip(SKIP_1) | instid1(VALU_DEP_3)
	v_cndmask_b32_e64 v7, 1, 2, s0
	v_cmp_eq_u32_e32 vcc_lo, 0, v15
	v_cmp_ne_u32_e64 s1, 0, v19
	v_cmp_ne_u32_e64 s0, 0, v10
	;; [unrolled: 1-line block ×3, first 2 shown]
	v_and_b32_e32 v4, v6, v7
	v_cndmask_b32_e64 v5, 1, 2, vcc_lo
	v_add_co_u32 v6, vcc_lo, s44, v31
	v_add_co_ci_u32_e32 v7, vcc_lo, s45, v32, vcc_lo
	v_cmp_eq_u32_e32 vcc_lo, 0, v21
	s_delay_alu instid0(VALU_DEP_4) | instskip(SKIP_4) | instid1(VALU_DEP_4)
	v_and_b32_e32 v22, v4, v5
	v_cndmask_b32_e64 v23, 1, 2, vcc_lo
	v_add_co_u32 v4, vcc_lo, v6, v33
	v_add_co_ci_u32_e32 v5, vcc_lo, v7, v34, vcc_lo
	v_lshlrev_b32_e32 v6, 3, v1
	v_and_b32_e32 v7, v22, v23
	v_cmp_eq_u32_e32 vcc_lo, 0, v12
	v_add_nc_u32_e32 v1, v77, v1
	v_cmp_ne_u32_e64 s4, 0, v12
	v_cndmask_b32_e64 v22, 1, 2, vcc_lo
	v_add_co_u32 v6, vcc_lo, v6, v4
	v_add_co_ci_u32_e32 v23, vcc_lo, 0, v5, vcc_lo
	v_cmp_eq_u32_e32 vcc_lo, 0, v20
	s_delay_alu instid0(VALU_DEP_4) | instskip(SKIP_4) | instid1(VALU_DEP_4)
	v_and_b32_e32 v22, v7, v22
	v_cndmask_b32_e64 v24, 1, 2, vcc_lo
	v_add_co_u32 v6, vcc_lo, v6, -8
	v_add_co_ci_u32_e32 v7, vcc_lo, -1, v23, vcc_lo
	v_cmp_eq_u32_e32 vcc_lo, 0, v18
	v_and_b32_e32 v22, v22, v24
	v_cndmask_b32_e64 v23, 1, 2, vcc_lo
	v_cmp_eq_u32_e32 vcc_lo, 0, v19
	s_delay_alu instid0(VALU_DEP_2) | instskip(SKIP_2) | instid1(VALU_DEP_2)
	v_and_b32_e32 v2, v22, v23
	v_cndmask_b32_e64 v8, 1, 2, vcc_lo
	v_cmp_eq_u32_e32 vcc_lo, 0, v10
	v_and_b32_e32 v2, v2, v8
	v_cndmask_b32_e64 v8, 1, 2, vcc_lo
	v_cmp_gt_u32_e32 vcc_lo, 0x100, v3
	s_delay_alu instid0(VALU_DEP_2) | instskip(NEXT) | instid1(VALU_DEP_1)
	v_and_b32_e32 v2, v2, v8
	v_cmp_gt_i16_e64 s15, 2, v2
	s_cbranch_vccnz .LBB76_230
; %bb.227:
	s_and_b32 vcc_lo, exec_lo, s16
	s_cbranch_vccnz .LBB76_236
.LBB76_228:
	v_cmp_eq_u32_e32 vcc_lo, 0xff, v0
	s_and_b32 s0, vcc_lo, s26
	s_delay_alu instid0(SALU_CYCLE_1)
	s_and_saveexec_b32 s1, s0
	s_cbranch_execnz .LBB76_245
.LBB76_229:
	s_nop 0
	s_sendmsg sendmsg(MSG_DEALLOC_VGPRS)
	s_endpgm
.LBB76_230:
	s_delay_alu instid0(VALU_DEP_1)
	s_and_saveexec_b32 s16, s15
	s_cbranch_execz .LBB76_235
; %bb.231:
	s_mov_b32 s17, 0
	s_mov_b32 s15, exec_lo
	v_cmpx_ne_u16_e32 1, v2
	s_xor_b32 s15, exec_lo, s15
	s_cbranch_execnz .LBB76_315
; %bb.232:
	s_and_not1_saveexec_b32 s15, s15
	s_cbranch_execnz .LBB76_331
.LBB76_233:
	s_or_b32 exec_lo, exec_lo, s15
	s_delay_alu instid0(SALU_CYCLE_1)
	s_and_b32 exec_lo, exec_lo, s17
	s_cbranch_execz .LBB76_235
.LBB76_234:
	v_sub_nc_u32_e32 v8, v35, v1
	v_mov_b32_e32 v9, 0
	s_delay_alu instid0(VALU_DEP_1) | instskip(NEXT) | instid1(VALU_DEP_1)
	v_lshlrev_b64 v[8:9], 3, v[8:9]
	v_add_co_u32 v8, vcc_lo, v6, v8
	s_delay_alu instid0(VALU_DEP_2)
	v_add_co_ci_u32_e32 v9, vcc_lo, v7, v9, vcc_lo
	global_store_b64 v[8:9], v[97:98], off
.LBB76_235:
	s_or_b32 exec_lo, exec_lo, s16
	s_branch .LBB76_228
.LBB76_236:
	s_mov_b32 s15, exec_lo
	v_cmpx_gt_i16_e32 2, v2
	s_cbranch_execz .LBB76_241
; %bb.237:
	s_mov_b32 s17, 0
	s_mov_b32 s16, exec_lo
	v_cmpx_ne_u16_e32 1, v2
	s_xor_b32 s16, exec_lo, s16
	s_cbranch_execnz .LBB76_332
; %bb.238:
	s_and_not1_saveexec_b32 s0, s16
	s_cbranch_execnz .LBB76_348
.LBB76_239:
	s_or_b32 exec_lo, exec_lo, s0
	s_delay_alu instid0(SALU_CYCLE_1)
	s_and_b32 exec_lo, exec_lo, s17
	s_cbranch_execz .LBB76_241
.LBB76_240:
	v_sub_nc_u32_e32 v1, v35, v1
	s_delay_alu instid0(VALU_DEP_1)
	v_lshlrev_b32_e32 v1, 3, v1
	ds_store_b64 v1, v[97:98]
.LBB76_241:
	s_or_b32 exec_lo, exec_lo, s15
	s_delay_alu instid0(SALU_CYCLE_1)
	s_mov_b32 s1, exec_lo
	s_waitcnt lgkmcnt(0)
	s_waitcnt_vscnt null, 0x0
	s_barrier
	buffer_gl0_inv
	v_cmpx_lt_u32_e64 v0, v3
	s_cbranch_execz .LBB76_244
; %bb.242:
	v_dual_mov_b32 v1, v0 :: v_dual_lshlrev_b32 v8, 3, v0
	v_mov_b32_e32 v2, 0
	s_mov_b32 s2, 0
	.p2align	6
.LBB76_243:                             ; =>This Inner Loop Header: Depth=1
	ds_load_b64 v[9:10], v8
	v_lshlrev_b64 v[11:12], 3, v[1:2]
	v_add_nc_u32_e32 v1, 0x100, v1
	v_add_nc_u32_e32 v8, 0x800, v8
	s_delay_alu instid0(VALU_DEP_2) | instskip(NEXT) | instid1(VALU_DEP_4)
	v_cmp_ge_u32_e32 vcc_lo, v1, v3
	v_add_co_u32 v11, s0, v6, v11
	s_delay_alu instid0(VALU_DEP_1)
	v_add_co_ci_u32_e64 v12, s0, v7, v12, s0
	s_or_b32 s2, vcc_lo, s2
	s_waitcnt lgkmcnt(0)
	global_store_b64 v[11:12], v[9:10], off
	s_and_not1_b32 exec_lo, exec_lo, s2
	s_cbranch_execnz .LBB76_243
.LBB76_244:
	s_or_b32 exec_lo, exec_lo, s1
	v_cmp_eq_u32_e32 vcc_lo, 0xff, v0
	s_and_b32 s0, vcc_lo, s26
	s_delay_alu instid0(SALU_CYCLE_1)
	s_and_saveexec_b32 s1, s0
	s_cbranch_execz .LBB76_229
.LBB76_245:
	v_add_co_u32 v0, s0, v59, v77
	s_delay_alu instid0(VALU_DEP_1) | instskip(SKIP_1) | instid1(VALU_DEP_3)
	v_add_co_ci_u32_e64 v1, null, 0, 0, s0
	v_mov_b32_e32 v60, 0
	v_add_co_u32 v0, vcc_lo, v0, v29
	s_delay_alu instid0(VALU_DEP_3)
	v_add_co_ci_u32_e32 v1, vcc_lo, v1, v30, vcc_lo
	s_cmpk_lg_i32 s27, 0xf00
	global_store_b64 v60, v[0:1], s[46:47]
	s_cbranch_scc1 .LBB76_229
; %bb.246:
	v_lshlrev_b64 v[0:1], 3, v[59:60]
	s_delay_alu instid0(VALU_DEP_1) | instskip(NEXT) | instid1(VALU_DEP_2)
	v_add_co_u32 v0, vcc_lo, v4, v0
	v_add_co_ci_u32_e32 v1, vcc_lo, v5, v1, vcc_lo
	global_store_b64 v[0:1], v[75:76], off offset:-8
	s_nop 0
	s_sendmsg sendmsg(MSG_DEALLOC_VGPRS)
	s_endpgm
.LBB76_247:
                                        ; implicit-def: $sgpr2
                                        ; implicit-def: $vgpr111
                                        ; implicit-def: $vgpr60
                                        ; implicit-def: $vgpr112
                                        ; implicit-def: $vgpr62
                                        ; implicit-def: $vgpr61
                                        ; implicit-def: $vgpr64
                                        ; implicit-def: $vgpr63
                                        ; implicit-def: $vgpr66
                                        ; implicit-def: $vgpr65
                                        ; implicit-def: $vgpr68
                                        ; implicit-def: $vgpr67
                                        ; implicit-def: $vgpr70
                                        ; implicit-def: $vgpr69
                                        ; implicit-def: $vgpr72
	s_cbranch_execz .LBB76_109
; %bb.248:
	v_mad_u32_u24 v59, v0, 15, 14
	v_dual_mov_b32 v60, 0 :: v_dual_lshlrev_b32 v77, 3, v0
	s_waitcnt lgkmcnt(0)
	v_mul_u32_u24_e32 v75, 15, v0
	v_mov_b32_e32 v111, 0
	s_mov_b32 s2, exec_lo
	ds_store_b64 v77, v[57:58]
	v_cmpx_gt_u64_e64 s[0:1], v[59:60]
	s_cbranch_execz .LBB76_250
; %bb.249:
	v_cvt_i32_f64_e32 v59, v[3:4]
	v_cvt_i32_f64_e32 v61, v[57:58]
	s_delay_alu instid0(VALU_DEP_2) | instskip(NEXT) | instid1(VALU_DEP_2)
	v_mul_hi_i32 v59, 0x66666667, v59
	v_mul_hi_i32 v61, 0x66666667, v61
	s_delay_alu instid0(VALU_DEP_2) | instskip(SKIP_1) | instid1(VALU_DEP_3)
	v_lshrrev_b32_e32 v62, 31, v59
	v_ashrrev_i32_e32 v59, 2, v59
	v_lshrrev_b32_e32 v63, 31, v61
	v_ashrrev_i32_e32 v61, 2, v61
	s_delay_alu instid0(VALU_DEP_3) | instskip(NEXT) | instid1(VALU_DEP_2)
	v_add_nc_u32_e32 v59, v59, v62
	v_add_nc_u32_e32 v61, v61, v63
	s_delay_alu instid0(VALU_DEP_1)
	v_cmp_ne_u32_e32 vcc_lo, v59, v61
	v_cndmask_b32_e64 v111, 0, 1, vcc_lo
.LBB76_250:
	s_or_b32 exec_lo, exec_lo, s2
	v_add_nc_u32_e32 v59, 13, v75
	s_mov_b32 s2, exec_lo
	s_delay_alu instid0(VALU_DEP_1)
	v_cmpx_gt_u64_e64 s[0:1], v[59:60]
	s_cbranch_execz .LBB76_252
; %bb.251:
	v_cvt_i32_f64_e32 v59, v[1:2]
	v_cvt_i32_f64_e32 v60, v[3:4]
	s_delay_alu instid0(VALU_DEP_2) | instskip(NEXT) | instid1(VALU_DEP_2)
	v_mul_hi_i32 v59, 0x66666667, v59
	v_mul_hi_i32 v60, 0x66666667, v60
	s_delay_alu instid0(VALU_DEP_2) | instskip(SKIP_1) | instid1(VALU_DEP_3)
	v_lshrrev_b32_e32 v61, 31, v59
	v_ashrrev_i32_e32 v59, 2, v59
	v_lshrrev_b32_e32 v62, 31, v60
	v_ashrrev_i32_e32 v60, 2, v60
	s_delay_alu instid0(VALU_DEP_3) | instskip(NEXT) | instid1(VALU_DEP_2)
	v_add_nc_u32_e32 v59, v59, v61
	v_add_nc_u32_e32 v60, v60, v62
	s_delay_alu instid0(VALU_DEP_1)
	v_cmp_ne_u32_e32 vcc_lo, v59, v60
	v_cndmask_b32_e64 v60, 0, 1, vcc_lo
.LBB76_252:
	s_or_b32 exec_lo, exec_lo, s2
	v_dual_mov_b32 v62, 0 :: v_dual_add_nc_u32 v61, 12, v75
	v_mov_b32_e32 v112, 0
	s_mov_b32 s2, exec_lo
	s_delay_alu instid0(VALU_DEP_2)
	v_cmpx_gt_u64_e64 s[0:1], v[61:62]
	s_cbranch_execz .LBB76_254
; %bb.253:
	v_cvt_i32_f64_e32 v59, v[7:8]
	v_cvt_i32_f64_e32 v61, v[1:2]
	s_delay_alu instid0(VALU_DEP_2) | instskip(NEXT) | instid1(VALU_DEP_2)
	v_mul_hi_i32 v59, 0x66666667, v59
	v_mul_hi_i32 v61, 0x66666667, v61
	s_delay_alu instid0(VALU_DEP_2) | instskip(SKIP_1) | instid1(VALU_DEP_3)
	v_lshrrev_b32_e32 v63, 31, v59
	v_ashrrev_i32_e32 v59, 2, v59
	v_lshrrev_b32_e32 v64, 31, v61
	v_ashrrev_i32_e32 v61, 2, v61
	s_delay_alu instid0(VALU_DEP_3) | instskip(NEXT) | instid1(VALU_DEP_2)
	v_add_nc_u32_e32 v59, v59, v63
	v_add_nc_u32_e32 v61, v61, v64
	s_delay_alu instid0(VALU_DEP_1)
	v_cmp_ne_u32_e32 vcc_lo, v59, v61
	v_cndmask_b32_e64 v112, 0, 1, vcc_lo
.LBB76_254:
	s_or_b32 exec_lo, exec_lo, s2
	v_add_nc_u32_e32 v61, 11, v75
	s_mov_b32 s2, exec_lo
	s_delay_alu instid0(VALU_DEP_1)
	v_cmpx_gt_u64_e64 s[0:1], v[61:62]
	s_cbranch_execz .LBB76_256
; %bb.255:
	v_cvt_i32_f64_e32 v59, v[5:6]
	v_cvt_i32_f64_e32 v61, v[7:8]
	s_delay_alu instid0(VALU_DEP_2) | instskip(NEXT) | instid1(VALU_DEP_2)
	v_mul_hi_i32 v59, 0x66666667, v59
	v_mul_hi_i32 v61, 0x66666667, v61
	s_delay_alu instid0(VALU_DEP_2) | instskip(SKIP_1) | instid1(VALU_DEP_3)
	v_lshrrev_b32_e32 v62, 31, v59
	v_ashrrev_i32_e32 v59, 2, v59
	v_lshrrev_b32_e32 v63, 31, v61
	v_ashrrev_i32_e32 v61, 2, v61
	s_delay_alu instid0(VALU_DEP_3) | instskip(NEXT) | instid1(VALU_DEP_2)
	v_add_nc_u32_e32 v59, v59, v62
	v_add_nc_u32_e32 v61, v61, v63
	s_delay_alu instid0(VALU_DEP_1)
	v_cmp_ne_u32_e32 vcc_lo, v59, v61
	v_cndmask_b32_e64 v62, 0, 1, vcc_lo
.LBB76_256:
	s_or_b32 exec_lo, exec_lo, s2
	v_dual_mov_b32 v64, 0 :: v_dual_add_nc_u32 v63, 10, v75
	v_mov_b32_e32 v61, 0
	s_mov_b32 s2, exec_lo
	s_delay_alu instid0(VALU_DEP_2)
	;; [unrolled: 49-line block ×6, first 2 shown]
	v_cmpx_gt_u64_e64 s[0:1], v[71:72]
	s_cbranch_execz .LBB76_274
; %bb.273:
	v_cvt_i32_f64_e32 v59, v[27:28]
	v_cvt_i32_f64_e32 v69, v[21:22]
	s_delay_alu instid0(VALU_DEP_2) | instskip(NEXT) | instid1(VALU_DEP_2)
	v_mul_hi_i32 v59, 0x66666667, v59
	v_mul_hi_i32 v69, 0x66666667, v69
	s_delay_alu instid0(VALU_DEP_2) | instskip(SKIP_1) | instid1(VALU_DEP_3)
	v_lshrrev_b32_e32 v71, 31, v59
	v_ashrrev_i32_e32 v59, 2, v59
	v_lshrrev_b32_e32 v76, 31, v69
	v_ashrrev_i32_e32 v69, 2, v69
	s_delay_alu instid0(VALU_DEP_3) | instskip(NEXT) | instid1(VALU_DEP_2)
	v_add_nc_u32_e32 v59, v59, v71
	v_add_nc_u32_e32 v69, v69, v76
	s_delay_alu instid0(VALU_DEP_1)
	v_cmp_ne_u32_e32 vcc_lo, v59, v69
	v_cndmask_b32_e64 v69, 0, 1, vcc_lo
.LBB76_274:
	s_or_b32 exec_lo, exec_lo, s2
	v_add_nc_u32_e32 v71, 1, v75
	s_mov_b32 s2, exec_lo
	s_delay_alu instid0(VALU_DEP_1)
	v_cmpx_gt_u64_e64 s[0:1], v[71:72]
	s_cbranch_execz .LBB76_276
; %bb.275:
	v_cvt_i32_f64_e32 v59, v[25:26]
	v_cvt_i32_f64_e32 v71, v[27:28]
	s_delay_alu instid0(VALU_DEP_2) | instskip(NEXT) | instid1(VALU_DEP_2)
	v_mul_hi_i32 v59, 0x66666667, v59
	v_mul_hi_i32 v71, 0x66666667, v71
	s_delay_alu instid0(VALU_DEP_2) | instskip(SKIP_1) | instid1(VALU_DEP_3)
	v_lshrrev_b32_e32 v72, 31, v59
	v_ashrrev_i32_e32 v59, 2, v59
	v_lshrrev_b32_e32 v76, 31, v71
	v_ashrrev_i32_e32 v71, 2, v71
	s_delay_alu instid0(VALU_DEP_3) | instskip(NEXT) | instid1(VALU_DEP_2)
	v_add_nc_u32_e32 v59, v59, v72
	v_add_nc_u32_e32 v71, v71, v76
	s_delay_alu instid0(VALU_DEP_1)
	v_cmp_ne_u32_e32 vcc_lo, v59, v71
	v_cndmask_b32_e64 v72, 0, 1, vcc_lo
.LBB76_276:
	s_or_b32 exec_lo, exec_lo, s2
	s_mov_b32 s4, 0
	s_mov_b32 s3, exec_lo
	s_waitcnt lgkmcnt(0)
	s_barrier
	buffer_gl0_inv
                                        ; implicit-def: $sgpr2
	v_cmpx_ne_u32_e32 0, v0
	s_cbranch_execz .LBB76_280
; %bb.277:
	v_mov_b32_e32 v76, 0
	s_delay_alu instid0(VALU_DEP_1)
	v_cmp_gt_u64_e32 vcc_lo, s[0:1], v[75:76]
	s_and_saveexec_b32 s0, vcc_lo
	s_cbranch_execz .LBB76_279
; %bb.278:
	v_add_nc_u32_e32 v59, -8, v77
	ds_load_b64 v[75:76], v59
	v_cvt_i32_f64_e32 v59, v[25:26]
	s_waitcnt lgkmcnt(0)
	v_cvt_i32_f64_e32 v71, v[75:76]
	s_delay_alu instid0(VALU_DEP_2) | instskip(NEXT) | instid1(VALU_DEP_1)
	v_mul_hi_i32 v59, 0x66666667, v59
	v_lshrrev_b32_e32 v75, 31, v59
	v_ashrrev_i32_e32 v59, 2, v59
	s_delay_alu instid0(VALU_DEP_1) | instskip(SKIP_1) | instid1(VALU_DEP_1)
	v_add_nc_u32_e32 v59, v59, v75
	v_mul_hi_i32 v71, 0x66666667, v71
	v_lshrrev_b32_e32 v76, 31, v71
	v_ashrrev_i32_e32 v71, 2, v71
	s_delay_alu instid0(VALU_DEP_1) | instskip(NEXT) | instid1(VALU_DEP_1)
	v_add_nc_u32_e32 v71, v71, v76
	v_cmp_ne_u32_e32 vcc_lo, v71, v59
	s_and_b32 s4, vcc_lo, exec_lo
.LBB76_279:
	s_or_b32 exec_lo, exec_lo, s0
	s_delay_alu instid0(SALU_CYCLE_1)
	s_and_b32 s2, s4, exec_lo
	s_or_b32 s37, s37, exec_lo
.LBB76_280:
	s_or_b32 exec_lo, exec_lo, s3
	s_mov_b32 s0, 1
	s_delay_alu instid0(SALU_CYCLE_1)
	v_mov_b32_e32 v71, s0
	s_and_saveexec_b32 s0, s37
	s_cbranch_execnz .LBB76_111
	s_branch .LBB76_112
.LBB76_281:
	s_and_saveexec_b32 s17, s12
	s_cbranch_execnz .LBB76_349
; %bb.282:
	s_or_b32 exec_lo, exec_lo, s17
	s_and_saveexec_b32 s17, s11
	s_cbranch_execnz .LBB76_350
.LBB76_283:
	s_or_b32 exec_lo, exec_lo, s17
	s_and_saveexec_b32 s17, s9
	s_cbranch_execnz .LBB76_351
.LBB76_284:
	s_or_b32 exec_lo, exec_lo, s17
	s_and_saveexec_b32 s17, s8
	s_cbranch_execnz .LBB76_352
.LBB76_285:
	s_or_b32 exec_lo, exec_lo, s17
	s_and_saveexec_b32 s17, s14
	s_cbranch_execnz .LBB76_353
.LBB76_286:
	s_or_b32 exec_lo, exec_lo, s17
	s_and_saveexec_b32 s17, s13
	s_cbranch_execnz .LBB76_354
.LBB76_287:
	s_or_b32 exec_lo, exec_lo, s17
	s_and_saveexec_b32 s17, s10
	s_cbranch_execnz .LBB76_355
.LBB76_288:
	s_or_b32 exec_lo, exec_lo, s17
	s_and_saveexec_b32 s17, s7
	s_cbranch_execnz .LBB76_356
.LBB76_289:
	s_or_b32 exec_lo, exec_lo, s17
	s_and_saveexec_b32 s17, s6
	s_cbranch_execnz .LBB76_357
.LBB76_290:
	s_or_b32 exec_lo, exec_lo, s17
	s_and_saveexec_b32 s17, s5
	s_cbranch_execnz .LBB76_358
.LBB76_291:
	s_or_b32 exec_lo, exec_lo, s17
	s_and_saveexec_b32 s17, s4
	s_cbranch_execnz .LBB76_359
.LBB76_292:
	s_or_b32 exec_lo, exec_lo, s17
	s_and_saveexec_b32 s17, s3
	s_cbranch_execnz .LBB76_360
.LBB76_293:
	s_or_b32 exec_lo, exec_lo, s17
	s_and_saveexec_b32 s17, s2
	s_cbranch_execnz .LBB76_361
.LBB76_294:
	s_or_b32 exec_lo, exec_lo, s17
	s_and_saveexec_b32 s17, s1
	s_cbranch_execz .LBB76_296
.LBB76_295:
	v_sub_nc_u32_e32 v52, v36, v77
	v_mov_b32_e32 v53, 0
	s_delay_alu instid0(VALU_DEP_1) | instskip(NEXT) | instid1(VALU_DEP_1)
	v_lshlrev_b64 v[52:53], 3, v[52:53]
	v_add_co_u32 v52, vcc_lo, v49, v52
	s_delay_alu instid0(VALU_DEP_2)
	v_add_co_ci_u32_e32 v53, vcc_lo, v50, v53, vcc_lo
	global_store_b64 v[52:53], v[3:4], off
.LBB76_296:
	s_or_b32 exec_lo, exec_lo, s17
	s_delay_alu instid0(SALU_CYCLE_1)
	s_and_b32 s17, s0, exec_lo
	s_and_not1_saveexec_b32 s15, s15
	s_cbranch_execz .LBB76_213
.LBB76_297:
	v_sub_nc_u32_e32 v52, v113, v77
	v_mov_b32_e32 v53, 0
	s_or_b32 s17, s17, exec_lo
	s_delay_alu instid0(VALU_DEP_1) | instskip(SKIP_1) | instid1(VALU_DEP_1)
	v_lshlrev_b64 v[54:55], 3, v[52:53]
	v_sub_nc_u32_e32 v52, v46, v77
	v_lshlrev_b64 v[73:74], 3, v[52:53]
	v_sub_nc_u32_e32 v52, v48, v77
	s_delay_alu instid0(VALU_DEP_4) | instskip(SKIP_1) | instid1(VALU_DEP_3)
	v_add_co_u32 v54, vcc_lo, v49, v54
	v_add_co_ci_u32_e32 v55, vcc_lo, v50, v55, vcc_lo
	v_lshlrev_b64 v[109:110], 3, v[52:53]
	v_sub_nc_u32_e32 v52, v47, v77
	v_add_co_u32 v73, vcc_lo, v49, v73
	v_add_co_ci_u32_e32 v74, vcc_lo, v50, v74, vcc_lo
	global_store_b64 v[54:55], v[25:26], off
	v_lshlrev_b64 v[54:55], 3, v[52:53]
	v_sub_nc_u32_e32 v52, v45, v77
	global_store_b64 v[73:74], v[27:28], off
	v_add_co_u32 v73, vcc_lo, v49, v109
	v_add_co_ci_u32_e32 v74, vcc_lo, v50, v110, vcc_lo
	v_lshlrev_b64 v[109:110], 3, v[52:53]
	v_sub_nc_u32_e32 v52, v44, v77
	v_add_co_u32 v54, vcc_lo, v49, v54
	v_add_co_ci_u32_e32 v55, vcc_lo, v50, v55, vcc_lo
	s_delay_alu instid0(VALU_DEP_3) | instskip(SKIP_3) | instid1(VALU_DEP_3)
	v_lshlrev_b64 v[114:115], 3, v[52:53]
	v_sub_nc_u32_e32 v52, v43, v77
	v_add_co_u32 v109, vcc_lo, v49, v109
	v_add_co_ci_u32_e32 v110, vcc_lo, v50, v110, vcc_lo
	v_lshlrev_b64 v[116:117], 3, v[52:53]
	v_sub_nc_u32_e32 v52, v42, v77
	v_add_co_u32 v114, vcc_lo, v49, v114
	v_add_co_ci_u32_e32 v115, vcc_lo, v50, v115, vcc_lo
	s_clause 0x3
	global_store_b64 v[73:74], v[21:22], off
	global_store_b64 v[54:55], v[23:24], off
	;; [unrolled: 1-line block ×4, first 2 shown]
	v_lshlrev_b64 v[54:55], 3, v[52:53]
	v_sub_nc_u32_e32 v52, v41, v77
	v_add_co_u32 v73, vcc_lo, v49, v116
	v_add_co_ci_u32_e32 v74, vcc_lo, v50, v117, vcc_lo
	s_delay_alu instid0(VALU_DEP_3) | instskip(SKIP_3) | instid1(VALU_DEP_3)
	v_lshlrev_b64 v[109:110], 3, v[52:53]
	v_sub_nc_u32_e32 v52, v40, v77
	v_add_co_u32 v54, vcc_lo, v49, v54
	v_add_co_ci_u32_e32 v55, vcc_lo, v50, v55, vcc_lo
	v_lshlrev_b64 v[114:115], 3, v[52:53]
	v_sub_nc_u32_e32 v52, v39, v77
	v_add_co_u32 v109, vcc_lo, v49, v109
	v_add_co_ci_u32_e32 v110, vcc_lo, v50, v110, vcc_lo
	s_delay_alu instid0(VALU_DEP_3)
	v_lshlrev_b64 v[116:117], 3, v[52:53]
	v_sub_nc_u32_e32 v52, v38, v77
	v_add_co_u32 v114, vcc_lo, v49, v114
	v_add_co_ci_u32_e32 v115, vcc_lo, v50, v115, vcc_lo
	s_clause 0x3
	global_store_b64 v[73:74], v[13:14], off
	global_store_b64 v[54:55], v[15:16], off
	;; [unrolled: 1-line block ×4, first 2 shown]
	v_lshlrev_b64 v[54:55], 3, v[52:53]
	v_sub_nc_u32_e32 v52, v37, v77
	v_add_co_u32 v73, vcc_lo, v49, v116
	v_add_co_ci_u32_e32 v74, vcc_lo, v50, v117, vcc_lo
	s_delay_alu instid0(VALU_DEP_3) | instskip(SKIP_3) | instid1(VALU_DEP_3)
	v_lshlrev_b64 v[109:110], 3, v[52:53]
	v_sub_nc_u32_e32 v52, v36, v77
	v_add_co_u32 v54, vcc_lo, v49, v54
	v_add_co_ci_u32_e32 v55, vcc_lo, v50, v55, vcc_lo
	v_lshlrev_b64 v[52:53], 3, v[52:53]
	v_add_co_u32 v109, vcc_lo, v49, v109
	v_add_co_ci_u32_e32 v110, vcc_lo, v50, v110, vcc_lo
	s_clause 0x2
	global_store_b64 v[73:74], v[5:6], off
	global_store_b64 v[54:55], v[7:8], off
	;; [unrolled: 1-line block ×3, first 2 shown]
	v_add_co_u32 v52, vcc_lo, v49, v52
	v_add_co_ci_u32_e32 v53, vcc_lo, v50, v53, vcc_lo
	global_store_b64 v[52:53], v[3:4], off
	s_or_b32 exec_lo, exec_lo, s15
	s_delay_alu instid0(SALU_CYCLE_1)
	s_and_b32 exec_lo, exec_lo, s17
	s_cbranch_execnz .LBB76_214
	s_branch .LBB76_215
.LBB76_298:
	s_and_saveexec_b32 s17, s12
	s_cbranch_execnz .LBB76_362
; %bb.299:
	s_or_b32 exec_lo, exec_lo, s17
	s_and_saveexec_b32 s12, s11
	s_cbranch_execnz .LBB76_363
.LBB76_300:
	s_or_b32 exec_lo, exec_lo, s12
	s_and_saveexec_b32 s11, s9
	s_cbranch_execnz .LBB76_364
.LBB76_301:
	s_or_b32 exec_lo, exec_lo, s11
	s_and_saveexec_b32 s9, s8
	s_cbranch_execnz .LBB76_365
.LBB76_302:
	s_or_b32 exec_lo, exec_lo, s9
	s_and_saveexec_b32 s8, s14
	s_cbranch_execnz .LBB76_366
.LBB76_303:
	s_or_b32 exec_lo, exec_lo, s8
	s_and_saveexec_b32 s8, s13
	s_cbranch_execnz .LBB76_367
.LBB76_304:
	s_or_b32 exec_lo, exec_lo, s8
	s_and_saveexec_b32 s8, s10
	s_cbranch_execnz .LBB76_368
.LBB76_305:
	s_or_b32 exec_lo, exec_lo, s8
	s_and_saveexec_b32 s8, s7
	s_cbranch_execnz .LBB76_369
.LBB76_306:
	s_or_b32 exec_lo, exec_lo, s8
	s_and_saveexec_b32 s7, s6
	s_cbranch_execnz .LBB76_370
.LBB76_307:
	s_or_b32 exec_lo, exec_lo, s7
	s_and_saveexec_b32 s6, s5
	s_cbranch_execnz .LBB76_371
.LBB76_308:
	s_or_b32 exec_lo, exec_lo, s6
	s_and_saveexec_b32 s5, s4
	s_cbranch_execnz .LBB76_372
.LBB76_309:
	s_or_b32 exec_lo, exec_lo, s5
	s_and_saveexec_b32 s4, s3
	s_cbranch_execnz .LBB76_373
.LBB76_310:
	s_or_b32 exec_lo, exec_lo, s4
	s_and_saveexec_b32 s3, s2
	s_cbranch_execnz .LBB76_374
.LBB76_311:
	s_or_b32 exec_lo, exec_lo, s3
	s_and_saveexec_b32 s2, s1
	s_cbranch_execz .LBB76_313
.LBB76_312:
	v_sub_nc_u32_e32 v1, v36, v77
	s_delay_alu instid0(VALU_DEP_1)
	v_lshlrev_b32_e32 v1, 3, v1
	ds_store_b64 v1, v[3:4]
.LBB76_313:
	s_or_b32 exec_lo, exec_lo, s2
	s_delay_alu instid0(SALU_CYCLE_1)
	s_and_b32 s17, s0, exec_lo
                                        ; implicit-def: $vgpr25_vgpr26
                                        ; implicit-def: $vgpr21_vgpr22
                                        ; implicit-def: $vgpr17_vgpr18
                                        ; implicit-def: $vgpr13_vgpr14
                                        ; implicit-def: $vgpr9_vgpr10
                                        ; implicit-def: $vgpr5_vgpr6
                                        ; implicit-def: $vgpr1_vgpr2
	s_and_not1_saveexec_b32 s0, s16
	s_cbranch_execz .LBB76_220
.LBB76_314:
	v_sub_nc_u32_e32 v51, v113, v77
	v_sub_nc_u32_e32 v52, v46, v77
	v_sub_nc_u32_e32 v54, v47, v77
	v_sub_nc_u32_e32 v53, v48, v77
	s_or_b32 s17, s17, exec_lo
	v_lshlrev_b32_e32 v51, 3, v51
	v_lshlrev_b32_e32 v52, 3, v52
	;; [unrolled: 1-line block ×4, first 2 shown]
	ds_store_b64 v51, v[25:26]
	ds_store_b64 v52, v[27:28]
	;; [unrolled: 1-line block ×3, first 2 shown]
	v_sub_nc_u32_e32 v21, v45, v77
	v_sub_nc_u32_e32 v22, v44, v77
	ds_store_b64 v54, v[23:24]
	v_sub_nc_u32_e32 v23, v43, v77
	v_sub_nc_u32_e32 v24, v42, v77
	v_lshlrev_b32_e32 v21, 3, v21
	v_sub_nc_u32_e32 v25, v41, v77
	v_lshlrev_b32_e32 v22, 3, v22
	v_lshlrev_b32_e32 v23, 3, v23
	;; [unrolled: 1-line block ×3, first 2 shown]
	ds_store_b64 v21, v[17:18]
	v_lshlrev_b32_e32 v17, 3, v25
	ds_store_b64 v22, v[19:20]
	ds_store_b64 v23, v[13:14]
	;; [unrolled: 1-line block ×3, first 2 shown]
	v_sub_nc_u32_e32 v13, v40, v77
	v_sub_nc_u32_e32 v15, v36, v77
	;; [unrolled: 1-line block ×3, first 2 shown]
	ds_store_b64 v17, v[9:10]
	v_sub_nc_u32_e32 v9, v39, v77
	v_lshlrev_b32_e32 v13, 3, v13
	v_sub_nc_u32_e32 v10, v38, v77
	v_lshlrev_b32_e32 v14, 3, v14
	s_delay_alu instid0(VALU_DEP_4)
	v_lshlrev_b32_e32 v9, 3, v9
	ds_store_b64 v13, v[11:12]
	v_lshlrev_b32_e32 v11, 3, v15
	v_lshlrev_b32_e32 v10, 3, v10
	ds_store_b64 v9, v[5:6]
	ds_store_b64 v10, v[7:8]
	;; [unrolled: 1-line block ×4, first 2 shown]
	s_or_b32 exec_lo, exec_lo, s0
	s_delay_alu instid0(SALU_CYCLE_1)
	s_and_b32 exec_lo, exec_lo, s17
	s_cbranch_execnz .LBB76_221
	s_branch .LBB76_222
.LBB76_315:
	s_and_saveexec_b32 s17, s14
	s_cbranch_execnz .LBB76_375
; %bb.316:
	s_or_b32 exec_lo, exec_lo, s17
	s_and_saveexec_b32 s17, s13
	s_cbranch_execnz .LBB76_376
.LBB76_317:
	s_or_b32 exec_lo, exec_lo, s17
	s_and_saveexec_b32 s17, s12
	s_cbranch_execnz .LBB76_377
.LBB76_318:
	s_or_b32 exec_lo, exec_lo, s17
	s_and_saveexec_b32 s17, s11
	s_cbranch_execnz .LBB76_378
.LBB76_319:
	s_or_b32 exec_lo, exec_lo, s17
	s_and_saveexec_b32 s17, s10
	s_cbranch_execnz .LBB76_379
.LBB76_320:
	s_or_b32 exec_lo, exec_lo, s17
	s_and_saveexec_b32 s17, s9
	s_cbranch_execnz .LBB76_380
.LBB76_321:
	s_or_b32 exec_lo, exec_lo, s17
	s_and_saveexec_b32 s17, s8
	s_cbranch_execnz .LBB76_381
.LBB76_322:
	s_or_b32 exec_lo, exec_lo, s17
	s_and_saveexec_b32 s17, s7
	s_cbranch_execnz .LBB76_382
.LBB76_323:
	s_or_b32 exec_lo, exec_lo, s17
	s_and_saveexec_b32 s17, s6
	s_cbranch_execnz .LBB76_383
.LBB76_324:
	s_or_b32 exec_lo, exec_lo, s17
	s_and_saveexec_b32 s17, s5
	s_cbranch_execnz .LBB76_384
.LBB76_325:
	s_or_b32 exec_lo, exec_lo, s17
	s_and_saveexec_b32 s17, s4
	s_cbranch_execnz .LBB76_385
.LBB76_326:
	s_or_b32 exec_lo, exec_lo, s17
	s_and_saveexec_b32 s17, s3
	s_cbranch_execnz .LBB76_386
.LBB76_327:
	s_or_b32 exec_lo, exec_lo, s17
	s_and_saveexec_b32 s17, s2
	s_cbranch_execnz .LBB76_387
.LBB76_328:
	s_or_b32 exec_lo, exec_lo, s17
	s_and_saveexec_b32 s17, s1
	s_cbranch_execz .LBB76_330
.LBB76_329:
	v_sub_nc_u32_e32 v8, v36, v1
	v_mov_b32_e32 v9, 0
	s_delay_alu instid0(VALU_DEP_1) | instskip(NEXT) | instid1(VALU_DEP_1)
	v_lshlrev_b64 v[8:9], 3, v[8:9]
	v_add_co_u32 v8, vcc_lo, v6, v8
	s_delay_alu instid0(VALU_DEP_2)
	v_add_co_ci_u32_e32 v9, vcc_lo, v7, v9, vcc_lo
	global_store_b64 v[8:9], v[107:108], off
.LBB76_330:
	s_or_b32 exec_lo, exec_lo, s17
	s_delay_alu instid0(SALU_CYCLE_1)
	s_and_b32 s17, s0, exec_lo
	s_and_not1_saveexec_b32 s15, s15
	s_cbranch_execz .LBB76_233
.LBB76_331:
	v_sub_nc_u32_e32 v8, v113, v1
	v_mov_b32_e32 v9, 0
	s_or_b32 s17, s17, exec_lo
	s_delay_alu instid0(VALU_DEP_1) | instskip(SKIP_1) | instid1(VALU_DEP_1)
	v_lshlrev_b64 v[10:11], 3, v[8:9]
	v_sub_nc_u32_e32 v8, v46, v1
	v_lshlrev_b64 v[12:13], 3, v[8:9]
	v_sub_nc_u32_e32 v8, v48, v1
	s_delay_alu instid0(VALU_DEP_4) | instskip(SKIP_1) | instid1(VALU_DEP_3)
	v_add_co_u32 v10, vcc_lo, v6, v10
	v_add_co_ci_u32_e32 v11, vcc_lo, v7, v11, vcc_lo
	v_lshlrev_b64 v[14:15], 3, v[8:9]
	v_sub_nc_u32_e32 v8, v47, v1
	v_add_co_u32 v12, vcc_lo, v6, v12
	v_add_co_ci_u32_e32 v13, vcc_lo, v7, v13, vcc_lo
	global_store_b64 v[10:11], v[99:100], off
	v_lshlrev_b64 v[10:11], 3, v[8:9]
	v_sub_nc_u32_e32 v8, v45, v1
	global_store_b64 v[12:13], v[101:102], off
	v_add_co_u32 v12, vcc_lo, v6, v14
	v_add_co_ci_u32_e32 v13, vcc_lo, v7, v15, vcc_lo
	v_lshlrev_b64 v[14:15], 3, v[8:9]
	v_sub_nc_u32_e32 v8, v44, v1
	v_add_co_u32 v10, vcc_lo, v6, v10
	v_add_co_ci_u32_e32 v11, vcc_lo, v7, v11, vcc_lo
	s_delay_alu instid0(VALU_DEP_3) | instskip(SKIP_3) | instid1(VALU_DEP_3)
	v_lshlrev_b64 v[16:17], 3, v[8:9]
	v_sub_nc_u32_e32 v8, v43, v1
	v_add_co_u32 v14, vcc_lo, v6, v14
	v_add_co_ci_u32_e32 v15, vcc_lo, v7, v15, vcc_lo
	v_lshlrev_b64 v[18:19], 3, v[8:9]
	v_sub_nc_u32_e32 v8, v42, v1
	v_add_co_u32 v16, vcc_lo, v6, v16
	v_add_co_ci_u32_e32 v17, vcc_lo, v7, v17, vcc_lo
	s_clause 0x3
	global_store_b64 v[12:13], v[105:106], off
	global_store_b64 v[10:11], v[103:104], off
	;; [unrolled: 1-line block ×4, first 2 shown]
	v_lshlrev_b64 v[10:11], 3, v[8:9]
	v_sub_nc_u32_e32 v8, v41, v1
	v_add_co_u32 v12, vcc_lo, v6, v18
	v_add_co_ci_u32_e32 v13, vcc_lo, v7, v19, vcc_lo
	s_delay_alu instid0(VALU_DEP_3) | instskip(SKIP_3) | instid1(VALU_DEP_3)
	v_lshlrev_b64 v[14:15], 3, v[8:9]
	v_sub_nc_u32_e32 v8, v40, v1
	v_add_co_u32 v10, vcc_lo, v6, v10
	v_add_co_ci_u32_e32 v11, vcc_lo, v7, v11, vcc_lo
	v_lshlrev_b64 v[16:17], 3, v[8:9]
	v_sub_nc_u32_e32 v8, v39, v1
	v_add_co_u32 v14, vcc_lo, v6, v14
	v_add_co_ci_u32_e32 v15, vcc_lo, v7, v15, vcc_lo
	s_delay_alu instid0(VALU_DEP_3)
	v_lshlrev_b64 v[18:19], 3, v[8:9]
	v_sub_nc_u32_e32 v8, v38, v1
	v_add_co_u32 v16, vcc_lo, v6, v16
	v_add_co_ci_u32_e32 v17, vcc_lo, v7, v17, vcc_lo
	s_clause 0x3
	global_store_b64 v[12:13], v[91:92], off
	global_store_b64 v[10:11], v[95:96], off
	;; [unrolled: 1-line block ×4, first 2 shown]
	v_lshlrev_b64 v[10:11], 3, v[8:9]
	v_sub_nc_u32_e32 v8, v37, v1
	v_add_co_u32 v12, vcc_lo, v6, v18
	v_add_co_ci_u32_e32 v13, vcc_lo, v7, v19, vcc_lo
	s_delay_alu instid0(VALU_DEP_3) | instskip(SKIP_3) | instid1(VALU_DEP_3)
	v_lshlrev_b64 v[14:15], 3, v[8:9]
	v_sub_nc_u32_e32 v8, v36, v1
	v_add_co_u32 v10, vcc_lo, v6, v10
	v_add_co_ci_u32_e32 v11, vcc_lo, v7, v11, vcc_lo
	v_lshlrev_b64 v[8:9], 3, v[8:9]
	v_add_co_u32 v14, vcc_lo, v6, v14
	v_add_co_ci_u32_e32 v15, vcc_lo, v7, v15, vcc_lo
	s_clause 0x2
	global_store_b64 v[12:13], v[81:82], off
	global_store_b64 v[10:11], v[83:84], off
	;; [unrolled: 1-line block ×3, first 2 shown]
	v_add_co_u32 v8, vcc_lo, v6, v8
	v_add_co_ci_u32_e32 v9, vcc_lo, v7, v9, vcc_lo
	global_store_b64 v[8:9], v[107:108], off
	s_or_b32 exec_lo, exec_lo, s15
	s_delay_alu instid0(SALU_CYCLE_1)
	s_and_b32 exec_lo, exec_lo, s17
	s_cbranch_execnz .LBB76_234
	s_branch .LBB76_235
.LBB76_332:
	s_and_saveexec_b32 s17, s14
	s_cbranch_execnz .LBB76_388
; %bb.333:
	s_or_b32 exec_lo, exec_lo, s17
	s_and_saveexec_b32 s14, s13
	s_cbranch_execnz .LBB76_389
.LBB76_334:
	s_or_b32 exec_lo, exec_lo, s14
	s_and_saveexec_b32 s13, s12
	s_cbranch_execnz .LBB76_390
.LBB76_335:
	s_or_b32 exec_lo, exec_lo, s13
	s_and_saveexec_b32 s12, s11
	s_cbranch_execnz .LBB76_391
.LBB76_336:
	s_or_b32 exec_lo, exec_lo, s12
	s_and_saveexec_b32 s11, s10
	s_cbranch_execnz .LBB76_392
.LBB76_337:
	s_or_b32 exec_lo, exec_lo, s11
	s_and_saveexec_b32 s10, s9
	s_cbranch_execnz .LBB76_393
.LBB76_338:
	s_or_b32 exec_lo, exec_lo, s10
	s_and_saveexec_b32 s9, s8
	s_cbranch_execnz .LBB76_394
.LBB76_339:
	s_or_b32 exec_lo, exec_lo, s9
	s_and_saveexec_b32 s8, s7
	s_cbranch_execnz .LBB76_395
.LBB76_340:
	s_or_b32 exec_lo, exec_lo, s8
	s_and_saveexec_b32 s7, s6
	s_cbranch_execnz .LBB76_396
.LBB76_341:
	s_or_b32 exec_lo, exec_lo, s7
	s_and_saveexec_b32 s6, s5
	s_cbranch_execnz .LBB76_397
.LBB76_342:
	s_or_b32 exec_lo, exec_lo, s6
	s_and_saveexec_b32 s5, s4
	s_cbranch_execnz .LBB76_398
.LBB76_343:
	s_or_b32 exec_lo, exec_lo, s5
	s_and_saveexec_b32 s4, s3
	s_cbranch_execnz .LBB76_399
.LBB76_344:
	s_or_b32 exec_lo, exec_lo, s4
	s_and_saveexec_b32 s3, s2
	s_cbranch_execnz .LBB76_400
.LBB76_345:
	s_or_b32 exec_lo, exec_lo, s3
	s_and_saveexec_b32 s2, s1
	s_cbranch_execz .LBB76_347
.LBB76_346:
	v_sub_nc_u32_e32 v2, v36, v1
	s_delay_alu instid0(VALU_DEP_1)
	v_lshlrev_b32_e32 v2, 3, v2
	ds_store_b64 v2, v[107:108]
.LBB76_347:
	s_or_b32 exec_lo, exec_lo, s2
	s_delay_alu instid0(SALU_CYCLE_1)
	s_and_b32 s17, s0, exec_lo
                                        ; implicit-def: $vgpr99_vgpr100
                                        ; implicit-def: $vgpr101_vgpr102
                                        ; implicit-def: $vgpr105_vgpr106
                                        ; implicit-def: $vgpr103_vgpr104
                                        ; implicit-def: $vgpr87_vgpr88
                                        ; implicit-def: $vgpr89_vgpr90
                                        ; implicit-def: $vgpr91_vgpr92
                                        ; implicit-def: $vgpr95_vgpr96
                                        ; implicit-def: $vgpr93_vgpr94
                                        ; implicit-def: $vgpr79_vgpr80
                                        ; implicit-def: $vgpr81_vgpr82
                                        ; implicit-def: $vgpr83_vgpr84
                                        ; implicit-def: $vgpr85_vgpr86
                                        ; implicit-def: $vgpr107_vgpr108
                                        ; implicit-def: $vgpr113
                                        ; implicit-def: $vgpr46
                                        ; implicit-def: $vgpr48
                                        ; implicit-def: $vgpr47
                                        ; implicit-def: $vgpr45
                                        ; implicit-def: $vgpr44
                                        ; implicit-def: $vgpr43
                                        ; implicit-def: $vgpr42
                                        ; implicit-def: $vgpr41
                                        ; implicit-def: $vgpr40
                                        ; implicit-def: $vgpr39
                                        ; implicit-def: $vgpr38
                                        ; implicit-def: $vgpr37
                                        ; implicit-def: $vgpr36
	s_and_not1_saveexec_b32 s0, s16
	s_cbranch_execz .LBB76_239
.LBB76_348:
	v_sub_nc_u32_e32 v2, v113, v1
	v_sub_nc_u32_e32 v8, v46, v1
	;; [unrolled: 1-line block ×5, first 2 shown]
	v_lshlrev_b32_e32 v2, 3, v2
	v_lshlrev_b32_e32 v8, 3, v8
	;; [unrolled: 1-line block ×4, first 2 shown]
	s_or_b32 s17, s17, exec_lo
	ds_store_b64 v2, v[99:100]
	ds_store_b64 v8, v[101:102]
	;; [unrolled: 1-line block ×3, first 2 shown]
	v_sub_nc_u32_e32 v2, v45, v1
	v_sub_nc_u32_e32 v8, v44, v1
	;; [unrolled: 1-line block ×3, first 2 shown]
	ds_store_b64 v10, v[103:104]
	v_sub_nc_u32_e32 v10, v42, v1
	v_lshlrev_b32_e32 v2, 3, v2
	v_lshlrev_b32_e32 v8, 3, v8
	;; [unrolled: 1-line block ×3, first 2 shown]
	s_delay_alu instid0(VALU_DEP_4)
	v_lshlrev_b32_e32 v10, 3, v10
	ds_store_b64 v2, v[87:88]
	v_lshlrev_b32_e32 v2, 3, v11
	ds_store_b64 v8, v[89:90]
	ds_store_b64 v9, v[91:92]
	;; [unrolled: 1-line block ×3, first 2 shown]
	v_sub_nc_u32_e32 v8, v40, v1
	v_sub_nc_u32_e32 v11, v36, v1
	;; [unrolled: 1-line block ×3, first 2 shown]
	ds_store_b64 v2, v[93:94]
	v_sub_nc_u32_e32 v2, v39, v1
	v_lshlrev_b32_e32 v8, 3, v8
	v_sub_nc_u32_e32 v10, v37, v1
	v_lshlrev_b32_e32 v9, 3, v9
	s_delay_alu instid0(VALU_DEP_4)
	v_lshlrev_b32_e32 v2, 3, v2
	ds_store_b64 v8, v[79:80]
	v_lshlrev_b32_e32 v8, 3, v11
	v_lshlrev_b32_e32 v10, 3, v10
	ds_store_b64 v2, v[81:82]
	ds_store_b64 v9, v[83:84]
	;; [unrolled: 1-line block ×4, first 2 shown]
	s_or_b32 exec_lo, exec_lo, s0
	s_delay_alu instid0(SALU_CYCLE_1)
	s_and_b32 exec_lo, exec_lo, s17
	s_cbranch_execnz .LBB76_240
	s_branch .LBB76_241
.LBB76_349:
	v_sub_nc_u32_e32 v52, v113, v77
	v_mov_b32_e32 v53, 0
	s_delay_alu instid0(VALU_DEP_1) | instskip(NEXT) | instid1(VALU_DEP_1)
	v_lshlrev_b64 v[52:53], 3, v[52:53]
	v_add_co_u32 v52, vcc_lo, v49, v52
	s_delay_alu instid0(VALU_DEP_2)
	v_add_co_ci_u32_e32 v53, vcc_lo, v50, v53, vcc_lo
	global_store_b64 v[52:53], v[25:26], off
	s_or_b32 exec_lo, exec_lo, s17
	s_and_saveexec_b32 s17, s11
	s_cbranch_execz .LBB76_283
.LBB76_350:
	v_sub_nc_u32_e32 v52, v46, v77
	v_mov_b32_e32 v53, 0
	s_delay_alu instid0(VALU_DEP_1) | instskip(NEXT) | instid1(VALU_DEP_1)
	v_lshlrev_b64 v[52:53], 3, v[52:53]
	v_add_co_u32 v52, vcc_lo, v49, v52
	s_delay_alu instid0(VALU_DEP_2)
	v_add_co_ci_u32_e32 v53, vcc_lo, v50, v53, vcc_lo
	global_store_b64 v[52:53], v[27:28], off
	s_or_b32 exec_lo, exec_lo, s17
	s_and_saveexec_b32 s17, s9
	s_cbranch_execz .LBB76_284
.LBB76_351:
	v_sub_nc_u32_e32 v52, v48, v77
	v_mov_b32_e32 v53, 0
	s_delay_alu instid0(VALU_DEP_1) | instskip(NEXT) | instid1(VALU_DEP_1)
	v_lshlrev_b64 v[52:53], 3, v[52:53]
	v_add_co_u32 v52, vcc_lo, v49, v52
	s_delay_alu instid0(VALU_DEP_2)
	v_add_co_ci_u32_e32 v53, vcc_lo, v50, v53, vcc_lo
	global_store_b64 v[52:53], v[21:22], off
	s_or_b32 exec_lo, exec_lo, s17
	s_and_saveexec_b32 s17, s8
	s_cbranch_execz .LBB76_285
.LBB76_352:
	v_sub_nc_u32_e32 v52, v47, v77
	v_mov_b32_e32 v53, 0
	s_delay_alu instid0(VALU_DEP_1) | instskip(NEXT) | instid1(VALU_DEP_1)
	v_lshlrev_b64 v[52:53], 3, v[52:53]
	v_add_co_u32 v52, vcc_lo, v49, v52
	s_delay_alu instid0(VALU_DEP_2)
	v_add_co_ci_u32_e32 v53, vcc_lo, v50, v53, vcc_lo
	global_store_b64 v[52:53], v[23:24], off
	s_or_b32 exec_lo, exec_lo, s17
	s_and_saveexec_b32 s17, s14
	s_cbranch_execz .LBB76_286
.LBB76_353:
	v_sub_nc_u32_e32 v52, v45, v77
	v_mov_b32_e32 v53, 0
	s_delay_alu instid0(VALU_DEP_1) | instskip(NEXT) | instid1(VALU_DEP_1)
	v_lshlrev_b64 v[52:53], 3, v[52:53]
	v_add_co_u32 v52, vcc_lo, v49, v52
	s_delay_alu instid0(VALU_DEP_2)
	v_add_co_ci_u32_e32 v53, vcc_lo, v50, v53, vcc_lo
	global_store_b64 v[52:53], v[17:18], off
	s_or_b32 exec_lo, exec_lo, s17
	s_and_saveexec_b32 s17, s13
	s_cbranch_execz .LBB76_287
.LBB76_354:
	v_sub_nc_u32_e32 v52, v44, v77
	v_mov_b32_e32 v53, 0
	s_delay_alu instid0(VALU_DEP_1) | instskip(NEXT) | instid1(VALU_DEP_1)
	v_lshlrev_b64 v[52:53], 3, v[52:53]
	v_add_co_u32 v52, vcc_lo, v49, v52
	s_delay_alu instid0(VALU_DEP_2)
	v_add_co_ci_u32_e32 v53, vcc_lo, v50, v53, vcc_lo
	global_store_b64 v[52:53], v[19:20], off
	s_or_b32 exec_lo, exec_lo, s17
	s_and_saveexec_b32 s17, s10
	s_cbranch_execz .LBB76_288
.LBB76_355:
	v_sub_nc_u32_e32 v52, v43, v77
	v_mov_b32_e32 v53, 0
	s_delay_alu instid0(VALU_DEP_1) | instskip(NEXT) | instid1(VALU_DEP_1)
	v_lshlrev_b64 v[52:53], 3, v[52:53]
	v_add_co_u32 v52, vcc_lo, v49, v52
	s_delay_alu instid0(VALU_DEP_2)
	v_add_co_ci_u32_e32 v53, vcc_lo, v50, v53, vcc_lo
	global_store_b64 v[52:53], v[13:14], off
	s_or_b32 exec_lo, exec_lo, s17
	s_and_saveexec_b32 s17, s7
	s_cbranch_execz .LBB76_289
.LBB76_356:
	v_sub_nc_u32_e32 v52, v42, v77
	v_mov_b32_e32 v53, 0
	s_delay_alu instid0(VALU_DEP_1) | instskip(NEXT) | instid1(VALU_DEP_1)
	v_lshlrev_b64 v[52:53], 3, v[52:53]
	v_add_co_u32 v52, vcc_lo, v49, v52
	s_delay_alu instid0(VALU_DEP_2)
	v_add_co_ci_u32_e32 v53, vcc_lo, v50, v53, vcc_lo
	global_store_b64 v[52:53], v[15:16], off
	s_or_b32 exec_lo, exec_lo, s17
	s_and_saveexec_b32 s17, s6
	s_cbranch_execz .LBB76_290
.LBB76_357:
	v_sub_nc_u32_e32 v52, v41, v77
	v_mov_b32_e32 v53, 0
	s_delay_alu instid0(VALU_DEP_1) | instskip(NEXT) | instid1(VALU_DEP_1)
	v_lshlrev_b64 v[52:53], 3, v[52:53]
	v_add_co_u32 v52, vcc_lo, v49, v52
	s_delay_alu instid0(VALU_DEP_2)
	v_add_co_ci_u32_e32 v53, vcc_lo, v50, v53, vcc_lo
	global_store_b64 v[52:53], v[9:10], off
	s_or_b32 exec_lo, exec_lo, s17
	s_and_saveexec_b32 s17, s5
	s_cbranch_execz .LBB76_291
.LBB76_358:
	v_sub_nc_u32_e32 v52, v40, v77
	v_mov_b32_e32 v53, 0
	s_delay_alu instid0(VALU_DEP_1) | instskip(NEXT) | instid1(VALU_DEP_1)
	v_lshlrev_b64 v[52:53], 3, v[52:53]
	v_add_co_u32 v52, vcc_lo, v49, v52
	s_delay_alu instid0(VALU_DEP_2)
	v_add_co_ci_u32_e32 v53, vcc_lo, v50, v53, vcc_lo
	global_store_b64 v[52:53], v[11:12], off
	s_or_b32 exec_lo, exec_lo, s17
	s_and_saveexec_b32 s17, s4
	s_cbranch_execz .LBB76_292
.LBB76_359:
	v_sub_nc_u32_e32 v52, v39, v77
	v_mov_b32_e32 v53, 0
	s_delay_alu instid0(VALU_DEP_1) | instskip(NEXT) | instid1(VALU_DEP_1)
	v_lshlrev_b64 v[52:53], 3, v[52:53]
	v_add_co_u32 v52, vcc_lo, v49, v52
	s_delay_alu instid0(VALU_DEP_2)
	v_add_co_ci_u32_e32 v53, vcc_lo, v50, v53, vcc_lo
	global_store_b64 v[52:53], v[5:6], off
	s_or_b32 exec_lo, exec_lo, s17
	s_and_saveexec_b32 s17, s3
	s_cbranch_execz .LBB76_293
.LBB76_360:
	v_sub_nc_u32_e32 v52, v38, v77
	v_mov_b32_e32 v53, 0
	s_delay_alu instid0(VALU_DEP_1) | instskip(NEXT) | instid1(VALU_DEP_1)
	v_lshlrev_b64 v[52:53], 3, v[52:53]
	v_add_co_u32 v52, vcc_lo, v49, v52
	s_delay_alu instid0(VALU_DEP_2)
	v_add_co_ci_u32_e32 v53, vcc_lo, v50, v53, vcc_lo
	global_store_b64 v[52:53], v[7:8], off
	s_or_b32 exec_lo, exec_lo, s17
	s_and_saveexec_b32 s17, s2
	s_cbranch_execz .LBB76_294
.LBB76_361:
	v_sub_nc_u32_e32 v52, v37, v77
	v_mov_b32_e32 v53, 0
	s_delay_alu instid0(VALU_DEP_1) | instskip(NEXT) | instid1(VALU_DEP_1)
	v_lshlrev_b64 v[52:53], 3, v[52:53]
	v_add_co_u32 v52, vcc_lo, v49, v52
	s_delay_alu instid0(VALU_DEP_2)
	v_add_co_ci_u32_e32 v53, vcc_lo, v50, v53, vcc_lo
	global_store_b64 v[52:53], v[1:2], off
	s_or_b32 exec_lo, exec_lo, s17
	s_and_saveexec_b32 s17, s1
	s_cbranch_execnz .LBB76_295
	s_branch .LBB76_296
.LBB76_362:
	v_sub_nc_u32_e32 v51, v113, v77
	s_delay_alu instid0(VALU_DEP_1)
	v_lshlrev_b32_e32 v51, 3, v51
	ds_store_b64 v51, v[25:26]
	s_or_b32 exec_lo, exec_lo, s17
	s_and_saveexec_b32 s12, s11
	s_cbranch_execz .LBB76_300
.LBB76_363:
	v_sub_nc_u32_e32 v25, v46, v77
	s_delay_alu instid0(VALU_DEP_1)
	v_lshlrev_b32_e32 v25, 3, v25
	ds_store_b64 v25, v[27:28]
	s_or_b32 exec_lo, exec_lo, s12
	s_and_saveexec_b32 s11, s9
	s_cbranch_execz .LBB76_301
.LBB76_364:
	v_sub_nc_u32_e32 v25, v48, v77
	s_delay_alu instid0(VALU_DEP_1)
	v_lshlrev_b32_e32 v25, 3, v25
	ds_store_b64 v25, v[21:22]
	s_or_b32 exec_lo, exec_lo, s11
	s_and_saveexec_b32 s9, s8
	s_cbranch_execz .LBB76_302
.LBB76_365:
	v_sub_nc_u32_e32 v21, v47, v77
	s_delay_alu instid0(VALU_DEP_1)
	v_lshlrev_b32_e32 v21, 3, v21
	ds_store_b64 v21, v[23:24]
	s_or_b32 exec_lo, exec_lo, s9
	s_and_saveexec_b32 s8, s14
	s_cbranch_execz .LBB76_303
.LBB76_366:
	v_sub_nc_u32_e32 v21, v45, v77
	s_delay_alu instid0(VALU_DEP_1)
	v_lshlrev_b32_e32 v21, 3, v21
	ds_store_b64 v21, v[17:18]
	s_or_b32 exec_lo, exec_lo, s8
	s_and_saveexec_b32 s8, s13
	s_cbranch_execz .LBB76_304
.LBB76_367:
	v_sub_nc_u32_e32 v17, v44, v77
	s_delay_alu instid0(VALU_DEP_1)
	v_lshlrev_b32_e32 v17, 3, v17
	ds_store_b64 v17, v[19:20]
	s_or_b32 exec_lo, exec_lo, s8
	s_and_saveexec_b32 s8, s10
	s_cbranch_execz .LBB76_305
.LBB76_368:
	v_sub_nc_u32_e32 v17, v43, v77
	s_delay_alu instid0(VALU_DEP_1)
	v_lshlrev_b32_e32 v17, 3, v17
	ds_store_b64 v17, v[13:14]
	s_or_b32 exec_lo, exec_lo, s8
	s_and_saveexec_b32 s8, s7
	s_cbranch_execz .LBB76_306
.LBB76_369:
	v_sub_nc_u32_e32 v13, v42, v77
	s_delay_alu instid0(VALU_DEP_1)
	v_lshlrev_b32_e32 v13, 3, v13
	ds_store_b64 v13, v[15:16]
	s_or_b32 exec_lo, exec_lo, s8
	s_and_saveexec_b32 s7, s6
	s_cbranch_execz .LBB76_307
.LBB76_370:
	v_sub_nc_u32_e32 v13, v41, v77
	s_delay_alu instid0(VALU_DEP_1)
	v_lshlrev_b32_e32 v13, 3, v13
	ds_store_b64 v13, v[9:10]
	s_or_b32 exec_lo, exec_lo, s7
	s_and_saveexec_b32 s6, s5
	s_cbranch_execz .LBB76_308
.LBB76_371:
	v_sub_nc_u32_e32 v9, v40, v77
	s_delay_alu instid0(VALU_DEP_1)
	v_lshlrev_b32_e32 v9, 3, v9
	ds_store_b64 v9, v[11:12]
	s_or_b32 exec_lo, exec_lo, s6
	s_and_saveexec_b32 s5, s4
	s_cbranch_execz .LBB76_309
.LBB76_372:
	v_sub_nc_u32_e32 v9, v39, v77
	s_delay_alu instid0(VALU_DEP_1)
	v_lshlrev_b32_e32 v9, 3, v9
	ds_store_b64 v9, v[5:6]
	s_or_b32 exec_lo, exec_lo, s5
	s_and_saveexec_b32 s4, s3
	s_cbranch_execz .LBB76_310
.LBB76_373:
	v_sub_nc_u32_e32 v5, v38, v77
	s_delay_alu instid0(VALU_DEP_1)
	v_lshlrev_b32_e32 v5, 3, v5
	ds_store_b64 v5, v[7:8]
	s_or_b32 exec_lo, exec_lo, s4
	s_and_saveexec_b32 s3, s2
	s_cbranch_execz .LBB76_311
.LBB76_374:
	v_sub_nc_u32_e32 v5, v37, v77
	s_delay_alu instid0(VALU_DEP_1)
	v_lshlrev_b32_e32 v5, 3, v5
	ds_store_b64 v5, v[1:2]
	s_or_b32 exec_lo, exec_lo, s3
	s_and_saveexec_b32 s2, s1
	s_cbranch_execnz .LBB76_312
	s_branch .LBB76_313
.LBB76_375:
	v_sub_nc_u32_e32 v8, v113, v1
	v_mov_b32_e32 v9, 0
	s_delay_alu instid0(VALU_DEP_1) | instskip(NEXT) | instid1(VALU_DEP_1)
	v_lshlrev_b64 v[8:9], 3, v[8:9]
	v_add_co_u32 v8, vcc_lo, v6, v8
	s_delay_alu instid0(VALU_DEP_2)
	v_add_co_ci_u32_e32 v9, vcc_lo, v7, v9, vcc_lo
	global_store_b64 v[8:9], v[99:100], off
	s_or_b32 exec_lo, exec_lo, s17
	s_and_saveexec_b32 s17, s13
	s_cbranch_execz .LBB76_317
.LBB76_376:
	v_sub_nc_u32_e32 v8, v46, v1
	v_mov_b32_e32 v9, 0
	s_delay_alu instid0(VALU_DEP_1) | instskip(NEXT) | instid1(VALU_DEP_1)
	v_lshlrev_b64 v[8:9], 3, v[8:9]
	v_add_co_u32 v8, vcc_lo, v6, v8
	s_delay_alu instid0(VALU_DEP_2)
	v_add_co_ci_u32_e32 v9, vcc_lo, v7, v9, vcc_lo
	global_store_b64 v[8:9], v[101:102], off
	s_or_b32 exec_lo, exec_lo, s17
	s_and_saveexec_b32 s17, s12
	s_cbranch_execz .LBB76_318
.LBB76_377:
	v_sub_nc_u32_e32 v8, v48, v1
	v_mov_b32_e32 v9, 0
	s_delay_alu instid0(VALU_DEP_1) | instskip(NEXT) | instid1(VALU_DEP_1)
	v_lshlrev_b64 v[8:9], 3, v[8:9]
	v_add_co_u32 v8, vcc_lo, v6, v8
	s_delay_alu instid0(VALU_DEP_2)
	v_add_co_ci_u32_e32 v9, vcc_lo, v7, v9, vcc_lo
	global_store_b64 v[8:9], v[105:106], off
	s_or_b32 exec_lo, exec_lo, s17
	s_and_saveexec_b32 s17, s11
	s_cbranch_execz .LBB76_319
.LBB76_378:
	v_sub_nc_u32_e32 v8, v47, v1
	v_mov_b32_e32 v9, 0
	s_delay_alu instid0(VALU_DEP_1) | instskip(NEXT) | instid1(VALU_DEP_1)
	v_lshlrev_b64 v[8:9], 3, v[8:9]
	v_add_co_u32 v8, vcc_lo, v6, v8
	s_delay_alu instid0(VALU_DEP_2)
	v_add_co_ci_u32_e32 v9, vcc_lo, v7, v9, vcc_lo
	global_store_b64 v[8:9], v[103:104], off
	s_or_b32 exec_lo, exec_lo, s17
	s_and_saveexec_b32 s17, s10
	s_cbranch_execz .LBB76_320
.LBB76_379:
	v_sub_nc_u32_e32 v8, v45, v1
	v_mov_b32_e32 v9, 0
	s_delay_alu instid0(VALU_DEP_1) | instskip(NEXT) | instid1(VALU_DEP_1)
	v_lshlrev_b64 v[8:9], 3, v[8:9]
	v_add_co_u32 v8, vcc_lo, v6, v8
	s_delay_alu instid0(VALU_DEP_2)
	v_add_co_ci_u32_e32 v9, vcc_lo, v7, v9, vcc_lo
	global_store_b64 v[8:9], v[87:88], off
	s_or_b32 exec_lo, exec_lo, s17
	s_and_saveexec_b32 s17, s9
	s_cbranch_execz .LBB76_321
.LBB76_380:
	v_sub_nc_u32_e32 v8, v44, v1
	v_mov_b32_e32 v9, 0
	s_delay_alu instid0(VALU_DEP_1) | instskip(NEXT) | instid1(VALU_DEP_1)
	v_lshlrev_b64 v[8:9], 3, v[8:9]
	v_add_co_u32 v8, vcc_lo, v6, v8
	s_delay_alu instid0(VALU_DEP_2)
	v_add_co_ci_u32_e32 v9, vcc_lo, v7, v9, vcc_lo
	global_store_b64 v[8:9], v[89:90], off
	s_or_b32 exec_lo, exec_lo, s17
	s_and_saveexec_b32 s17, s8
	s_cbranch_execz .LBB76_322
.LBB76_381:
	v_sub_nc_u32_e32 v8, v43, v1
	v_mov_b32_e32 v9, 0
	s_delay_alu instid0(VALU_DEP_1) | instskip(NEXT) | instid1(VALU_DEP_1)
	v_lshlrev_b64 v[8:9], 3, v[8:9]
	v_add_co_u32 v8, vcc_lo, v6, v8
	s_delay_alu instid0(VALU_DEP_2)
	v_add_co_ci_u32_e32 v9, vcc_lo, v7, v9, vcc_lo
	global_store_b64 v[8:9], v[91:92], off
	s_or_b32 exec_lo, exec_lo, s17
	s_and_saveexec_b32 s17, s7
	s_cbranch_execz .LBB76_323
.LBB76_382:
	v_sub_nc_u32_e32 v8, v42, v1
	v_mov_b32_e32 v9, 0
	s_delay_alu instid0(VALU_DEP_1) | instskip(NEXT) | instid1(VALU_DEP_1)
	v_lshlrev_b64 v[8:9], 3, v[8:9]
	v_add_co_u32 v8, vcc_lo, v6, v8
	s_delay_alu instid0(VALU_DEP_2)
	v_add_co_ci_u32_e32 v9, vcc_lo, v7, v9, vcc_lo
	global_store_b64 v[8:9], v[95:96], off
	s_or_b32 exec_lo, exec_lo, s17
	s_and_saveexec_b32 s17, s6
	s_cbranch_execz .LBB76_324
.LBB76_383:
	v_sub_nc_u32_e32 v8, v41, v1
	v_mov_b32_e32 v9, 0
	s_delay_alu instid0(VALU_DEP_1) | instskip(NEXT) | instid1(VALU_DEP_1)
	v_lshlrev_b64 v[8:9], 3, v[8:9]
	v_add_co_u32 v8, vcc_lo, v6, v8
	s_delay_alu instid0(VALU_DEP_2)
	v_add_co_ci_u32_e32 v9, vcc_lo, v7, v9, vcc_lo
	global_store_b64 v[8:9], v[93:94], off
	s_or_b32 exec_lo, exec_lo, s17
	s_and_saveexec_b32 s17, s5
	s_cbranch_execz .LBB76_325
.LBB76_384:
	v_sub_nc_u32_e32 v8, v40, v1
	v_mov_b32_e32 v9, 0
	s_delay_alu instid0(VALU_DEP_1) | instskip(NEXT) | instid1(VALU_DEP_1)
	v_lshlrev_b64 v[8:9], 3, v[8:9]
	v_add_co_u32 v8, vcc_lo, v6, v8
	s_delay_alu instid0(VALU_DEP_2)
	v_add_co_ci_u32_e32 v9, vcc_lo, v7, v9, vcc_lo
	global_store_b64 v[8:9], v[79:80], off
	s_or_b32 exec_lo, exec_lo, s17
	s_and_saveexec_b32 s17, s4
	s_cbranch_execz .LBB76_326
.LBB76_385:
	v_sub_nc_u32_e32 v8, v39, v1
	v_mov_b32_e32 v9, 0
	s_delay_alu instid0(VALU_DEP_1) | instskip(NEXT) | instid1(VALU_DEP_1)
	v_lshlrev_b64 v[8:9], 3, v[8:9]
	v_add_co_u32 v8, vcc_lo, v6, v8
	s_delay_alu instid0(VALU_DEP_2)
	v_add_co_ci_u32_e32 v9, vcc_lo, v7, v9, vcc_lo
	global_store_b64 v[8:9], v[81:82], off
	s_or_b32 exec_lo, exec_lo, s17
	s_and_saveexec_b32 s17, s3
	s_cbranch_execz .LBB76_327
.LBB76_386:
	v_sub_nc_u32_e32 v8, v38, v1
	v_mov_b32_e32 v9, 0
	s_delay_alu instid0(VALU_DEP_1) | instskip(NEXT) | instid1(VALU_DEP_1)
	v_lshlrev_b64 v[8:9], 3, v[8:9]
	v_add_co_u32 v8, vcc_lo, v6, v8
	s_delay_alu instid0(VALU_DEP_2)
	v_add_co_ci_u32_e32 v9, vcc_lo, v7, v9, vcc_lo
	global_store_b64 v[8:9], v[83:84], off
	s_or_b32 exec_lo, exec_lo, s17
	s_and_saveexec_b32 s17, s2
	s_cbranch_execz .LBB76_328
.LBB76_387:
	v_sub_nc_u32_e32 v8, v37, v1
	v_mov_b32_e32 v9, 0
	s_delay_alu instid0(VALU_DEP_1) | instskip(NEXT) | instid1(VALU_DEP_1)
	v_lshlrev_b64 v[8:9], 3, v[8:9]
	v_add_co_u32 v8, vcc_lo, v6, v8
	s_delay_alu instid0(VALU_DEP_2)
	v_add_co_ci_u32_e32 v9, vcc_lo, v7, v9, vcc_lo
	global_store_b64 v[8:9], v[85:86], off
	s_or_b32 exec_lo, exec_lo, s17
	s_and_saveexec_b32 s17, s1
	s_cbranch_execnz .LBB76_329
	s_branch .LBB76_330
.LBB76_388:
	v_sub_nc_u32_e32 v2, v113, v1
	s_delay_alu instid0(VALU_DEP_1)
	v_lshlrev_b32_e32 v2, 3, v2
	ds_store_b64 v2, v[99:100]
	s_or_b32 exec_lo, exec_lo, s17
	s_and_saveexec_b32 s14, s13
	s_cbranch_execz .LBB76_334
.LBB76_389:
	v_sub_nc_u32_e32 v2, v46, v1
	s_delay_alu instid0(VALU_DEP_1)
	v_lshlrev_b32_e32 v2, 3, v2
	ds_store_b64 v2, v[101:102]
	s_or_b32 exec_lo, exec_lo, s14
	s_and_saveexec_b32 s13, s12
	s_cbranch_execz .LBB76_335
.LBB76_390:
	v_sub_nc_u32_e32 v2, v48, v1
	s_delay_alu instid0(VALU_DEP_1)
	v_lshlrev_b32_e32 v2, 3, v2
	ds_store_b64 v2, v[105:106]
	s_or_b32 exec_lo, exec_lo, s13
	s_and_saveexec_b32 s12, s11
	s_cbranch_execz .LBB76_336
.LBB76_391:
	v_sub_nc_u32_e32 v2, v47, v1
	s_delay_alu instid0(VALU_DEP_1)
	v_lshlrev_b32_e32 v2, 3, v2
	ds_store_b64 v2, v[103:104]
	s_or_b32 exec_lo, exec_lo, s12
	s_and_saveexec_b32 s11, s10
	s_cbranch_execz .LBB76_337
.LBB76_392:
	v_sub_nc_u32_e32 v2, v45, v1
	s_delay_alu instid0(VALU_DEP_1)
	v_lshlrev_b32_e32 v2, 3, v2
	ds_store_b64 v2, v[87:88]
	s_or_b32 exec_lo, exec_lo, s11
	s_and_saveexec_b32 s10, s9
	s_cbranch_execz .LBB76_338
.LBB76_393:
	v_sub_nc_u32_e32 v2, v44, v1
	s_delay_alu instid0(VALU_DEP_1)
	v_lshlrev_b32_e32 v2, 3, v2
	ds_store_b64 v2, v[89:90]
	s_or_b32 exec_lo, exec_lo, s10
	s_and_saveexec_b32 s9, s8
	s_cbranch_execz .LBB76_339
.LBB76_394:
	v_sub_nc_u32_e32 v2, v43, v1
	s_delay_alu instid0(VALU_DEP_1)
	v_lshlrev_b32_e32 v2, 3, v2
	ds_store_b64 v2, v[91:92]
	s_or_b32 exec_lo, exec_lo, s9
	s_and_saveexec_b32 s8, s7
	s_cbranch_execz .LBB76_340
.LBB76_395:
	v_sub_nc_u32_e32 v2, v42, v1
	s_delay_alu instid0(VALU_DEP_1)
	v_lshlrev_b32_e32 v2, 3, v2
	ds_store_b64 v2, v[95:96]
	s_or_b32 exec_lo, exec_lo, s8
	s_and_saveexec_b32 s7, s6
	s_cbranch_execz .LBB76_341
.LBB76_396:
	v_sub_nc_u32_e32 v2, v41, v1
	s_delay_alu instid0(VALU_DEP_1)
	v_lshlrev_b32_e32 v2, 3, v2
	ds_store_b64 v2, v[93:94]
	s_or_b32 exec_lo, exec_lo, s7
	s_and_saveexec_b32 s6, s5
	s_cbranch_execz .LBB76_342
.LBB76_397:
	v_sub_nc_u32_e32 v2, v40, v1
	s_delay_alu instid0(VALU_DEP_1)
	v_lshlrev_b32_e32 v2, 3, v2
	ds_store_b64 v2, v[79:80]
	s_or_b32 exec_lo, exec_lo, s6
	s_and_saveexec_b32 s5, s4
	s_cbranch_execz .LBB76_343
.LBB76_398:
	v_sub_nc_u32_e32 v2, v39, v1
	s_delay_alu instid0(VALU_DEP_1)
	v_lshlrev_b32_e32 v2, 3, v2
	ds_store_b64 v2, v[81:82]
	s_or_b32 exec_lo, exec_lo, s5
	s_and_saveexec_b32 s4, s3
	s_cbranch_execz .LBB76_344
.LBB76_399:
	v_sub_nc_u32_e32 v2, v38, v1
	s_delay_alu instid0(VALU_DEP_1)
	v_lshlrev_b32_e32 v2, 3, v2
	ds_store_b64 v2, v[83:84]
	s_or_b32 exec_lo, exec_lo, s4
	s_and_saveexec_b32 s3, s2
	s_cbranch_execz .LBB76_345
.LBB76_400:
	v_sub_nc_u32_e32 v2, v37, v1
	s_delay_alu instid0(VALU_DEP_1)
	v_lshlrev_b32_e32 v2, 3, v2
	ds_store_b64 v2, v[85:86]
	s_or_b32 exec_lo, exec_lo, s3
	s_and_saveexec_b32 s2, s1
	s_cbranch_execnz .LBB76_346
	s_branch .LBB76_347
	.section	.rodata,"a",@progbits
	.p2align	6, 0x0
	.amdhsa_kernel _ZN7rocprim17ROCPRIM_400000_NS6detail17trampoline_kernelINS0_14default_configENS1_29reduce_by_key_config_selectorIddN6thrust23THRUST_200600_302600_NS4plusIdEEEEZZNS1_33reduce_by_key_impl_wrapped_configILNS1_25lookback_scan_determinismE0ES3_S9_NS6_6detail15normal_iteratorINS6_10device_ptrIdEEEESG_SG_SG_PmS8_22is_equal_div_10_reduceIdEEE10hipError_tPvRmT2_T3_mT4_T5_T6_T7_T8_P12ihipStream_tbENKUlT_T0_E_clISt17integral_constantIbLb1EES10_IbLb0EEEEDaSW_SX_EUlSW_E_NS1_11comp_targetILNS1_3genE9ELNS1_11target_archE1100ELNS1_3gpuE3ELNS1_3repE0EEENS1_30default_config_static_selectorELNS0_4arch9wavefront6targetE0EEEvT1_
		.amdhsa_group_segment_fixed_size 30720
		.amdhsa_private_segment_fixed_size 0
		.amdhsa_kernarg_size 136
		.amdhsa_user_sgpr_count 15
		.amdhsa_user_sgpr_dispatch_ptr 0
		.amdhsa_user_sgpr_queue_ptr 0
		.amdhsa_user_sgpr_kernarg_segment_ptr 1
		.amdhsa_user_sgpr_dispatch_id 0
		.amdhsa_user_sgpr_private_segment_size 0
		.amdhsa_wavefront_size32 1
		.amdhsa_uses_dynamic_stack 0
		.amdhsa_enable_private_segment 0
		.amdhsa_system_sgpr_workgroup_id_x 1
		.amdhsa_system_sgpr_workgroup_id_y 0
		.amdhsa_system_sgpr_workgroup_id_z 0
		.amdhsa_system_sgpr_workgroup_info 0
		.amdhsa_system_vgpr_workitem_id 0
		.amdhsa_next_free_vgpr 119
		.amdhsa_next_free_sgpr 48
		.amdhsa_reserve_vcc 1
		.amdhsa_float_round_mode_32 0
		.amdhsa_float_round_mode_16_64 0
		.amdhsa_float_denorm_mode_32 3
		.amdhsa_float_denorm_mode_16_64 3
		.amdhsa_dx10_clamp 1
		.amdhsa_ieee_mode 1
		.amdhsa_fp16_overflow 0
		.amdhsa_workgroup_processor_mode 1
		.amdhsa_memory_ordered 1
		.amdhsa_forward_progress 0
		.amdhsa_shared_vgpr_count 0
		.amdhsa_exception_fp_ieee_invalid_op 0
		.amdhsa_exception_fp_denorm_src 0
		.amdhsa_exception_fp_ieee_div_zero 0
		.amdhsa_exception_fp_ieee_overflow 0
		.amdhsa_exception_fp_ieee_underflow 0
		.amdhsa_exception_fp_ieee_inexact 0
		.amdhsa_exception_int_div_zero 0
	.end_amdhsa_kernel
	.section	.text._ZN7rocprim17ROCPRIM_400000_NS6detail17trampoline_kernelINS0_14default_configENS1_29reduce_by_key_config_selectorIddN6thrust23THRUST_200600_302600_NS4plusIdEEEEZZNS1_33reduce_by_key_impl_wrapped_configILNS1_25lookback_scan_determinismE0ES3_S9_NS6_6detail15normal_iteratorINS6_10device_ptrIdEEEESG_SG_SG_PmS8_22is_equal_div_10_reduceIdEEE10hipError_tPvRmT2_T3_mT4_T5_T6_T7_T8_P12ihipStream_tbENKUlT_T0_E_clISt17integral_constantIbLb1EES10_IbLb0EEEEDaSW_SX_EUlSW_E_NS1_11comp_targetILNS1_3genE9ELNS1_11target_archE1100ELNS1_3gpuE3ELNS1_3repE0EEENS1_30default_config_static_selectorELNS0_4arch9wavefront6targetE0EEEvT1_,"axG",@progbits,_ZN7rocprim17ROCPRIM_400000_NS6detail17trampoline_kernelINS0_14default_configENS1_29reduce_by_key_config_selectorIddN6thrust23THRUST_200600_302600_NS4plusIdEEEEZZNS1_33reduce_by_key_impl_wrapped_configILNS1_25lookback_scan_determinismE0ES3_S9_NS6_6detail15normal_iteratorINS6_10device_ptrIdEEEESG_SG_SG_PmS8_22is_equal_div_10_reduceIdEEE10hipError_tPvRmT2_T3_mT4_T5_T6_T7_T8_P12ihipStream_tbENKUlT_T0_E_clISt17integral_constantIbLb1EES10_IbLb0EEEEDaSW_SX_EUlSW_E_NS1_11comp_targetILNS1_3genE9ELNS1_11target_archE1100ELNS1_3gpuE3ELNS1_3repE0EEENS1_30default_config_static_selectorELNS0_4arch9wavefront6targetE0EEEvT1_,comdat
.Lfunc_end76:
	.size	_ZN7rocprim17ROCPRIM_400000_NS6detail17trampoline_kernelINS0_14default_configENS1_29reduce_by_key_config_selectorIddN6thrust23THRUST_200600_302600_NS4plusIdEEEEZZNS1_33reduce_by_key_impl_wrapped_configILNS1_25lookback_scan_determinismE0ES3_S9_NS6_6detail15normal_iteratorINS6_10device_ptrIdEEEESG_SG_SG_PmS8_22is_equal_div_10_reduceIdEEE10hipError_tPvRmT2_T3_mT4_T5_T6_T7_T8_P12ihipStream_tbENKUlT_T0_E_clISt17integral_constantIbLb1EES10_IbLb0EEEEDaSW_SX_EUlSW_E_NS1_11comp_targetILNS1_3genE9ELNS1_11target_archE1100ELNS1_3gpuE3ELNS1_3repE0EEENS1_30default_config_static_selectorELNS0_4arch9wavefront6targetE0EEEvT1_, .Lfunc_end76-_ZN7rocprim17ROCPRIM_400000_NS6detail17trampoline_kernelINS0_14default_configENS1_29reduce_by_key_config_selectorIddN6thrust23THRUST_200600_302600_NS4plusIdEEEEZZNS1_33reduce_by_key_impl_wrapped_configILNS1_25lookback_scan_determinismE0ES3_S9_NS6_6detail15normal_iteratorINS6_10device_ptrIdEEEESG_SG_SG_PmS8_22is_equal_div_10_reduceIdEEE10hipError_tPvRmT2_T3_mT4_T5_T6_T7_T8_P12ihipStream_tbENKUlT_T0_E_clISt17integral_constantIbLb1EES10_IbLb0EEEEDaSW_SX_EUlSW_E_NS1_11comp_targetILNS1_3genE9ELNS1_11target_archE1100ELNS1_3gpuE3ELNS1_3repE0EEENS1_30default_config_static_selectorELNS0_4arch9wavefront6targetE0EEEvT1_
                                        ; -- End function
	.section	.AMDGPU.csdata,"",@progbits
; Kernel info:
; codeLenInByte = 21844
; NumSgprs: 50
; NumVgprs: 119
; ScratchSize: 0
; MemoryBound: 0
; FloatMode: 240
; IeeeMode: 1
; LDSByteSize: 30720 bytes/workgroup (compile time only)
; SGPRBlocks: 6
; VGPRBlocks: 14
; NumSGPRsForWavesPerEU: 50
; NumVGPRsForWavesPerEU: 119
; Occupancy: 8
; WaveLimiterHint : 1
; COMPUTE_PGM_RSRC2:SCRATCH_EN: 0
; COMPUTE_PGM_RSRC2:USER_SGPR: 15
; COMPUTE_PGM_RSRC2:TRAP_HANDLER: 0
; COMPUTE_PGM_RSRC2:TGID_X_EN: 1
; COMPUTE_PGM_RSRC2:TGID_Y_EN: 0
; COMPUTE_PGM_RSRC2:TGID_Z_EN: 0
; COMPUTE_PGM_RSRC2:TIDIG_COMP_CNT: 0
	.section	.text._ZN7rocprim17ROCPRIM_400000_NS6detail17trampoline_kernelINS0_14default_configENS1_29reduce_by_key_config_selectorIddN6thrust23THRUST_200600_302600_NS4plusIdEEEEZZNS1_33reduce_by_key_impl_wrapped_configILNS1_25lookback_scan_determinismE0ES3_S9_NS6_6detail15normal_iteratorINS6_10device_ptrIdEEEESG_SG_SG_PmS8_22is_equal_div_10_reduceIdEEE10hipError_tPvRmT2_T3_mT4_T5_T6_T7_T8_P12ihipStream_tbENKUlT_T0_E_clISt17integral_constantIbLb1EES10_IbLb0EEEEDaSW_SX_EUlSW_E_NS1_11comp_targetILNS1_3genE8ELNS1_11target_archE1030ELNS1_3gpuE2ELNS1_3repE0EEENS1_30default_config_static_selectorELNS0_4arch9wavefront6targetE0EEEvT1_,"axG",@progbits,_ZN7rocprim17ROCPRIM_400000_NS6detail17trampoline_kernelINS0_14default_configENS1_29reduce_by_key_config_selectorIddN6thrust23THRUST_200600_302600_NS4plusIdEEEEZZNS1_33reduce_by_key_impl_wrapped_configILNS1_25lookback_scan_determinismE0ES3_S9_NS6_6detail15normal_iteratorINS6_10device_ptrIdEEEESG_SG_SG_PmS8_22is_equal_div_10_reduceIdEEE10hipError_tPvRmT2_T3_mT4_T5_T6_T7_T8_P12ihipStream_tbENKUlT_T0_E_clISt17integral_constantIbLb1EES10_IbLb0EEEEDaSW_SX_EUlSW_E_NS1_11comp_targetILNS1_3genE8ELNS1_11target_archE1030ELNS1_3gpuE2ELNS1_3repE0EEENS1_30default_config_static_selectorELNS0_4arch9wavefront6targetE0EEEvT1_,comdat
	.protected	_ZN7rocprim17ROCPRIM_400000_NS6detail17trampoline_kernelINS0_14default_configENS1_29reduce_by_key_config_selectorIddN6thrust23THRUST_200600_302600_NS4plusIdEEEEZZNS1_33reduce_by_key_impl_wrapped_configILNS1_25lookback_scan_determinismE0ES3_S9_NS6_6detail15normal_iteratorINS6_10device_ptrIdEEEESG_SG_SG_PmS8_22is_equal_div_10_reduceIdEEE10hipError_tPvRmT2_T3_mT4_T5_T6_T7_T8_P12ihipStream_tbENKUlT_T0_E_clISt17integral_constantIbLb1EES10_IbLb0EEEEDaSW_SX_EUlSW_E_NS1_11comp_targetILNS1_3genE8ELNS1_11target_archE1030ELNS1_3gpuE2ELNS1_3repE0EEENS1_30default_config_static_selectorELNS0_4arch9wavefront6targetE0EEEvT1_ ; -- Begin function _ZN7rocprim17ROCPRIM_400000_NS6detail17trampoline_kernelINS0_14default_configENS1_29reduce_by_key_config_selectorIddN6thrust23THRUST_200600_302600_NS4plusIdEEEEZZNS1_33reduce_by_key_impl_wrapped_configILNS1_25lookback_scan_determinismE0ES3_S9_NS6_6detail15normal_iteratorINS6_10device_ptrIdEEEESG_SG_SG_PmS8_22is_equal_div_10_reduceIdEEE10hipError_tPvRmT2_T3_mT4_T5_T6_T7_T8_P12ihipStream_tbENKUlT_T0_E_clISt17integral_constantIbLb1EES10_IbLb0EEEEDaSW_SX_EUlSW_E_NS1_11comp_targetILNS1_3genE8ELNS1_11target_archE1030ELNS1_3gpuE2ELNS1_3repE0EEENS1_30default_config_static_selectorELNS0_4arch9wavefront6targetE0EEEvT1_
	.globl	_ZN7rocprim17ROCPRIM_400000_NS6detail17trampoline_kernelINS0_14default_configENS1_29reduce_by_key_config_selectorIddN6thrust23THRUST_200600_302600_NS4plusIdEEEEZZNS1_33reduce_by_key_impl_wrapped_configILNS1_25lookback_scan_determinismE0ES3_S9_NS6_6detail15normal_iteratorINS6_10device_ptrIdEEEESG_SG_SG_PmS8_22is_equal_div_10_reduceIdEEE10hipError_tPvRmT2_T3_mT4_T5_T6_T7_T8_P12ihipStream_tbENKUlT_T0_E_clISt17integral_constantIbLb1EES10_IbLb0EEEEDaSW_SX_EUlSW_E_NS1_11comp_targetILNS1_3genE8ELNS1_11target_archE1030ELNS1_3gpuE2ELNS1_3repE0EEENS1_30default_config_static_selectorELNS0_4arch9wavefront6targetE0EEEvT1_
	.p2align	8
	.type	_ZN7rocprim17ROCPRIM_400000_NS6detail17trampoline_kernelINS0_14default_configENS1_29reduce_by_key_config_selectorIddN6thrust23THRUST_200600_302600_NS4plusIdEEEEZZNS1_33reduce_by_key_impl_wrapped_configILNS1_25lookback_scan_determinismE0ES3_S9_NS6_6detail15normal_iteratorINS6_10device_ptrIdEEEESG_SG_SG_PmS8_22is_equal_div_10_reduceIdEEE10hipError_tPvRmT2_T3_mT4_T5_T6_T7_T8_P12ihipStream_tbENKUlT_T0_E_clISt17integral_constantIbLb1EES10_IbLb0EEEEDaSW_SX_EUlSW_E_NS1_11comp_targetILNS1_3genE8ELNS1_11target_archE1030ELNS1_3gpuE2ELNS1_3repE0EEENS1_30default_config_static_selectorELNS0_4arch9wavefront6targetE0EEEvT1_,@function
_ZN7rocprim17ROCPRIM_400000_NS6detail17trampoline_kernelINS0_14default_configENS1_29reduce_by_key_config_selectorIddN6thrust23THRUST_200600_302600_NS4plusIdEEEEZZNS1_33reduce_by_key_impl_wrapped_configILNS1_25lookback_scan_determinismE0ES3_S9_NS6_6detail15normal_iteratorINS6_10device_ptrIdEEEESG_SG_SG_PmS8_22is_equal_div_10_reduceIdEEE10hipError_tPvRmT2_T3_mT4_T5_T6_T7_T8_P12ihipStream_tbENKUlT_T0_E_clISt17integral_constantIbLb1EES10_IbLb0EEEEDaSW_SX_EUlSW_E_NS1_11comp_targetILNS1_3genE8ELNS1_11target_archE1030ELNS1_3gpuE2ELNS1_3repE0EEENS1_30default_config_static_selectorELNS0_4arch9wavefront6targetE0EEEvT1_: ; @_ZN7rocprim17ROCPRIM_400000_NS6detail17trampoline_kernelINS0_14default_configENS1_29reduce_by_key_config_selectorIddN6thrust23THRUST_200600_302600_NS4plusIdEEEEZZNS1_33reduce_by_key_impl_wrapped_configILNS1_25lookback_scan_determinismE0ES3_S9_NS6_6detail15normal_iteratorINS6_10device_ptrIdEEEESG_SG_SG_PmS8_22is_equal_div_10_reduceIdEEE10hipError_tPvRmT2_T3_mT4_T5_T6_T7_T8_P12ihipStream_tbENKUlT_T0_E_clISt17integral_constantIbLb1EES10_IbLb0EEEEDaSW_SX_EUlSW_E_NS1_11comp_targetILNS1_3genE8ELNS1_11target_archE1030ELNS1_3gpuE2ELNS1_3repE0EEENS1_30default_config_static_selectorELNS0_4arch9wavefront6targetE0EEEvT1_
; %bb.0:
	.section	.rodata,"a",@progbits
	.p2align	6, 0x0
	.amdhsa_kernel _ZN7rocprim17ROCPRIM_400000_NS6detail17trampoline_kernelINS0_14default_configENS1_29reduce_by_key_config_selectorIddN6thrust23THRUST_200600_302600_NS4plusIdEEEEZZNS1_33reduce_by_key_impl_wrapped_configILNS1_25lookback_scan_determinismE0ES3_S9_NS6_6detail15normal_iteratorINS6_10device_ptrIdEEEESG_SG_SG_PmS8_22is_equal_div_10_reduceIdEEE10hipError_tPvRmT2_T3_mT4_T5_T6_T7_T8_P12ihipStream_tbENKUlT_T0_E_clISt17integral_constantIbLb1EES10_IbLb0EEEEDaSW_SX_EUlSW_E_NS1_11comp_targetILNS1_3genE8ELNS1_11target_archE1030ELNS1_3gpuE2ELNS1_3repE0EEENS1_30default_config_static_selectorELNS0_4arch9wavefront6targetE0EEEvT1_
		.amdhsa_group_segment_fixed_size 0
		.amdhsa_private_segment_fixed_size 0
		.amdhsa_kernarg_size 136
		.amdhsa_user_sgpr_count 15
		.amdhsa_user_sgpr_dispatch_ptr 0
		.amdhsa_user_sgpr_queue_ptr 0
		.amdhsa_user_sgpr_kernarg_segment_ptr 1
		.amdhsa_user_sgpr_dispatch_id 0
		.amdhsa_user_sgpr_private_segment_size 0
		.amdhsa_wavefront_size32 1
		.amdhsa_uses_dynamic_stack 0
		.amdhsa_enable_private_segment 0
		.amdhsa_system_sgpr_workgroup_id_x 1
		.amdhsa_system_sgpr_workgroup_id_y 0
		.amdhsa_system_sgpr_workgroup_id_z 0
		.amdhsa_system_sgpr_workgroup_info 0
		.amdhsa_system_vgpr_workitem_id 0
		.amdhsa_next_free_vgpr 1
		.amdhsa_next_free_sgpr 1
		.amdhsa_reserve_vcc 0
		.amdhsa_float_round_mode_32 0
		.amdhsa_float_round_mode_16_64 0
		.amdhsa_float_denorm_mode_32 3
		.amdhsa_float_denorm_mode_16_64 3
		.amdhsa_dx10_clamp 1
		.amdhsa_ieee_mode 1
		.amdhsa_fp16_overflow 0
		.amdhsa_workgroup_processor_mode 1
		.amdhsa_memory_ordered 1
		.amdhsa_forward_progress 0
		.amdhsa_shared_vgpr_count 0
		.amdhsa_exception_fp_ieee_invalid_op 0
		.amdhsa_exception_fp_denorm_src 0
		.amdhsa_exception_fp_ieee_div_zero 0
		.amdhsa_exception_fp_ieee_overflow 0
		.amdhsa_exception_fp_ieee_underflow 0
		.amdhsa_exception_fp_ieee_inexact 0
		.amdhsa_exception_int_div_zero 0
	.end_amdhsa_kernel
	.section	.text._ZN7rocprim17ROCPRIM_400000_NS6detail17trampoline_kernelINS0_14default_configENS1_29reduce_by_key_config_selectorIddN6thrust23THRUST_200600_302600_NS4plusIdEEEEZZNS1_33reduce_by_key_impl_wrapped_configILNS1_25lookback_scan_determinismE0ES3_S9_NS6_6detail15normal_iteratorINS6_10device_ptrIdEEEESG_SG_SG_PmS8_22is_equal_div_10_reduceIdEEE10hipError_tPvRmT2_T3_mT4_T5_T6_T7_T8_P12ihipStream_tbENKUlT_T0_E_clISt17integral_constantIbLb1EES10_IbLb0EEEEDaSW_SX_EUlSW_E_NS1_11comp_targetILNS1_3genE8ELNS1_11target_archE1030ELNS1_3gpuE2ELNS1_3repE0EEENS1_30default_config_static_selectorELNS0_4arch9wavefront6targetE0EEEvT1_,"axG",@progbits,_ZN7rocprim17ROCPRIM_400000_NS6detail17trampoline_kernelINS0_14default_configENS1_29reduce_by_key_config_selectorIddN6thrust23THRUST_200600_302600_NS4plusIdEEEEZZNS1_33reduce_by_key_impl_wrapped_configILNS1_25lookback_scan_determinismE0ES3_S9_NS6_6detail15normal_iteratorINS6_10device_ptrIdEEEESG_SG_SG_PmS8_22is_equal_div_10_reduceIdEEE10hipError_tPvRmT2_T3_mT4_T5_T6_T7_T8_P12ihipStream_tbENKUlT_T0_E_clISt17integral_constantIbLb1EES10_IbLb0EEEEDaSW_SX_EUlSW_E_NS1_11comp_targetILNS1_3genE8ELNS1_11target_archE1030ELNS1_3gpuE2ELNS1_3repE0EEENS1_30default_config_static_selectorELNS0_4arch9wavefront6targetE0EEEvT1_,comdat
.Lfunc_end77:
	.size	_ZN7rocprim17ROCPRIM_400000_NS6detail17trampoline_kernelINS0_14default_configENS1_29reduce_by_key_config_selectorIddN6thrust23THRUST_200600_302600_NS4plusIdEEEEZZNS1_33reduce_by_key_impl_wrapped_configILNS1_25lookback_scan_determinismE0ES3_S9_NS6_6detail15normal_iteratorINS6_10device_ptrIdEEEESG_SG_SG_PmS8_22is_equal_div_10_reduceIdEEE10hipError_tPvRmT2_T3_mT4_T5_T6_T7_T8_P12ihipStream_tbENKUlT_T0_E_clISt17integral_constantIbLb1EES10_IbLb0EEEEDaSW_SX_EUlSW_E_NS1_11comp_targetILNS1_3genE8ELNS1_11target_archE1030ELNS1_3gpuE2ELNS1_3repE0EEENS1_30default_config_static_selectorELNS0_4arch9wavefront6targetE0EEEvT1_, .Lfunc_end77-_ZN7rocprim17ROCPRIM_400000_NS6detail17trampoline_kernelINS0_14default_configENS1_29reduce_by_key_config_selectorIddN6thrust23THRUST_200600_302600_NS4plusIdEEEEZZNS1_33reduce_by_key_impl_wrapped_configILNS1_25lookback_scan_determinismE0ES3_S9_NS6_6detail15normal_iteratorINS6_10device_ptrIdEEEESG_SG_SG_PmS8_22is_equal_div_10_reduceIdEEE10hipError_tPvRmT2_T3_mT4_T5_T6_T7_T8_P12ihipStream_tbENKUlT_T0_E_clISt17integral_constantIbLb1EES10_IbLb0EEEEDaSW_SX_EUlSW_E_NS1_11comp_targetILNS1_3genE8ELNS1_11target_archE1030ELNS1_3gpuE2ELNS1_3repE0EEENS1_30default_config_static_selectorELNS0_4arch9wavefront6targetE0EEEvT1_
                                        ; -- End function
	.section	.AMDGPU.csdata,"",@progbits
; Kernel info:
; codeLenInByte = 0
; NumSgprs: 0
; NumVgprs: 0
; ScratchSize: 0
; MemoryBound: 0
; FloatMode: 240
; IeeeMode: 1
; LDSByteSize: 0 bytes/workgroup (compile time only)
; SGPRBlocks: 0
; VGPRBlocks: 0
; NumSGPRsForWavesPerEU: 1
; NumVGPRsForWavesPerEU: 1
; Occupancy: 16
; WaveLimiterHint : 0
; COMPUTE_PGM_RSRC2:SCRATCH_EN: 0
; COMPUTE_PGM_RSRC2:USER_SGPR: 15
; COMPUTE_PGM_RSRC2:TRAP_HANDLER: 0
; COMPUTE_PGM_RSRC2:TGID_X_EN: 1
; COMPUTE_PGM_RSRC2:TGID_Y_EN: 0
; COMPUTE_PGM_RSRC2:TGID_Z_EN: 0
; COMPUTE_PGM_RSRC2:TIDIG_COMP_CNT: 0
	.section	.text._ZN7rocprim17ROCPRIM_400000_NS6detail17trampoline_kernelINS0_14default_configENS1_29reduce_by_key_config_selectorIddN6thrust23THRUST_200600_302600_NS4plusIdEEEEZZNS1_33reduce_by_key_impl_wrapped_configILNS1_25lookback_scan_determinismE0ES3_S9_NS6_6detail15normal_iteratorINS6_10device_ptrIdEEEESG_SG_SG_PmS8_22is_equal_div_10_reduceIdEEE10hipError_tPvRmT2_T3_mT4_T5_T6_T7_T8_P12ihipStream_tbENKUlT_T0_E_clISt17integral_constantIbLb0EES10_IbLb1EEEEDaSW_SX_EUlSW_E_NS1_11comp_targetILNS1_3genE0ELNS1_11target_archE4294967295ELNS1_3gpuE0ELNS1_3repE0EEENS1_30default_config_static_selectorELNS0_4arch9wavefront6targetE0EEEvT1_,"axG",@progbits,_ZN7rocprim17ROCPRIM_400000_NS6detail17trampoline_kernelINS0_14default_configENS1_29reduce_by_key_config_selectorIddN6thrust23THRUST_200600_302600_NS4plusIdEEEEZZNS1_33reduce_by_key_impl_wrapped_configILNS1_25lookback_scan_determinismE0ES3_S9_NS6_6detail15normal_iteratorINS6_10device_ptrIdEEEESG_SG_SG_PmS8_22is_equal_div_10_reduceIdEEE10hipError_tPvRmT2_T3_mT4_T5_T6_T7_T8_P12ihipStream_tbENKUlT_T0_E_clISt17integral_constantIbLb0EES10_IbLb1EEEEDaSW_SX_EUlSW_E_NS1_11comp_targetILNS1_3genE0ELNS1_11target_archE4294967295ELNS1_3gpuE0ELNS1_3repE0EEENS1_30default_config_static_selectorELNS0_4arch9wavefront6targetE0EEEvT1_,comdat
	.protected	_ZN7rocprim17ROCPRIM_400000_NS6detail17trampoline_kernelINS0_14default_configENS1_29reduce_by_key_config_selectorIddN6thrust23THRUST_200600_302600_NS4plusIdEEEEZZNS1_33reduce_by_key_impl_wrapped_configILNS1_25lookback_scan_determinismE0ES3_S9_NS6_6detail15normal_iteratorINS6_10device_ptrIdEEEESG_SG_SG_PmS8_22is_equal_div_10_reduceIdEEE10hipError_tPvRmT2_T3_mT4_T5_T6_T7_T8_P12ihipStream_tbENKUlT_T0_E_clISt17integral_constantIbLb0EES10_IbLb1EEEEDaSW_SX_EUlSW_E_NS1_11comp_targetILNS1_3genE0ELNS1_11target_archE4294967295ELNS1_3gpuE0ELNS1_3repE0EEENS1_30default_config_static_selectorELNS0_4arch9wavefront6targetE0EEEvT1_ ; -- Begin function _ZN7rocprim17ROCPRIM_400000_NS6detail17trampoline_kernelINS0_14default_configENS1_29reduce_by_key_config_selectorIddN6thrust23THRUST_200600_302600_NS4plusIdEEEEZZNS1_33reduce_by_key_impl_wrapped_configILNS1_25lookback_scan_determinismE0ES3_S9_NS6_6detail15normal_iteratorINS6_10device_ptrIdEEEESG_SG_SG_PmS8_22is_equal_div_10_reduceIdEEE10hipError_tPvRmT2_T3_mT4_T5_T6_T7_T8_P12ihipStream_tbENKUlT_T0_E_clISt17integral_constantIbLb0EES10_IbLb1EEEEDaSW_SX_EUlSW_E_NS1_11comp_targetILNS1_3genE0ELNS1_11target_archE4294967295ELNS1_3gpuE0ELNS1_3repE0EEENS1_30default_config_static_selectorELNS0_4arch9wavefront6targetE0EEEvT1_
	.globl	_ZN7rocprim17ROCPRIM_400000_NS6detail17trampoline_kernelINS0_14default_configENS1_29reduce_by_key_config_selectorIddN6thrust23THRUST_200600_302600_NS4plusIdEEEEZZNS1_33reduce_by_key_impl_wrapped_configILNS1_25lookback_scan_determinismE0ES3_S9_NS6_6detail15normal_iteratorINS6_10device_ptrIdEEEESG_SG_SG_PmS8_22is_equal_div_10_reduceIdEEE10hipError_tPvRmT2_T3_mT4_T5_T6_T7_T8_P12ihipStream_tbENKUlT_T0_E_clISt17integral_constantIbLb0EES10_IbLb1EEEEDaSW_SX_EUlSW_E_NS1_11comp_targetILNS1_3genE0ELNS1_11target_archE4294967295ELNS1_3gpuE0ELNS1_3repE0EEENS1_30default_config_static_selectorELNS0_4arch9wavefront6targetE0EEEvT1_
	.p2align	8
	.type	_ZN7rocprim17ROCPRIM_400000_NS6detail17trampoline_kernelINS0_14default_configENS1_29reduce_by_key_config_selectorIddN6thrust23THRUST_200600_302600_NS4plusIdEEEEZZNS1_33reduce_by_key_impl_wrapped_configILNS1_25lookback_scan_determinismE0ES3_S9_NS6_6detail15normal_iteratorINS6_10device_ptrIdEEEESG_SG_SG_PmS8_22is_equal_div_10_reduceIdEEE10hipError_tPvRmT2_T3_mT4_T5_T6_T7_T8_P12ihipStream_tbENKUlT_T0_E_clISt17integral_constantIbLb0EES10_IbLb1EEEEDaSW_SX_EUlSW_E_NS1_11comp_targetILNS1_3genE0ELNS1_11target_archE4294967295ELNS1_3gpuE0ELNS1_3repE0EEENS1_30default_config_static_selectorELNS0_4arch9wavefront6targetE0EEEvT1_,@function
_ZN7rocprim17ROCPRIM_400000_NS6detail17trampoline_kernelINS0_14default_configENS1_29reduce_by_key_config_selectorIddN6thrust23THRUST_200600_302600_NS4plusIdEEEEZZNS1_33reduce_by_key_impl_wrapped_configILNS1_25lookback_scan_determinismE0ES3_S9_NS6_6detail15normal_iteratorINS6_10device_ptrIdEEEESG_SG_SG_PmS8_22is_equal_div_10_reduceIdEEE10hipError_tPvRmT2_T3_mT4_T5_T6_T7_T8_P12ihipStream_tbENKUlT_T0_E_clISt17integral_constantIbLb0EES10_IbLb1EEEEDaSW_SX_EUlSW_E_NS1_11comp_targetILNS1_3genE0ELNS1_11target_archE4294967295ELNS1_3gpuE0ELNS1_3repE0EEENS1_30default_config_static_selectorELNS0_4arch9wavefront6targetE0EEEvT1_: ; @_ZN7rocprim17ROCPRIM_400000_NS6detail17trampoline_kernelINS0_14default_configENS1_29reduce_by_key_config_selectorIddN6thrust23THRUST_200600_302600_NS4plusIdEEEEZZNS1_33reduce_by_key_impl_wrapped_configILNS1_25lookback_scan_determinismE0ES3_S9_NS6_6detail15normal_iteratorINS6_10device_ptrIdEEEESG_SG_SG_PmS8_22is_equal_div_10_reduceIdEEE10hipError_tPvRmT2_T3_mT4_T5_T6_T7_T8_P12ihipStream_tbENKUlT_T0_E_clISt17integral_constantIbLb0EES10_IbLb1EEEEDaSW_SX_EUlSW_E_NS1_11comp_targetILNS1_3genE0ELNS1_11target_archE4294967295ELNS1_3gpuE0ELNS1_3repE0EEENS1_30default_config_static_selectorELNS0_4arch9wavefront6targetE0EEEvT1_
; %bb.0:
	.section	.rodata,"a",@progbits
	.p2align	6, 0x0
	.amdhsa_kernel _ZN7rocprim17ROCPRIM_400000_NS6detail17trampoline_kernelINS0_14default_configENS1_29reduce_by_key_config_selectorIddN6thrust23THRUST_200600_302600_NS4plusIdEEEEZZNS1_33reduce_by_key_impl_wrapped_configILNS1_25lookback_scan_determinismE0ES3_S9_NS6_6detail15normal_iteratorINS6_10device_ptrIdEEEESG_SG_SG_PmS8_22is_equal_div_10_reduceIdEEE10hipError_tPvRmT2_T3_mT4_T5_T6_T7_T8_P12ihipStream_tbENKUlT_T0_E_clISt17integral_constantIbLb0EES10_IbLb1EEEEDaSW_SX_EUlSW_E_NS1_11comp_targetILNS1_3genE0ELNS1_11target_archE4294967295ELNS1_3gpuE0ELNS1_3repE0EEENS1_30default_config_static_selectorELNS0_4arch9wavefront6targetE0EEEvT1_
		.amdhsa_group_segment_fixed_size 0
		.amdhsa_private_segment_fixed_size 0
		.amdhsa_kernarg_size 136
		.amdhsa_user_sgpr_count 15
		.amdhsa_user_sgpr_dispatch_ptr 0
		.amdhsa_user_sgpr_queue_ptr 0
		.amdhsa_user_sgpr_kernarg_segment_ptr 1
		.amdhsa_user_sgpr_dispatch_id 0
		.amdhsa_user_sgpr_private_segment_size 0
		.amdhsa_wavefront_size32 1
		.amdhsa_uses_dynamic_stack 0
		.amdhsa_enable_private_segment 0
		.amdhsa_system_sgpr_workgroup_id_x 1
		.amdhsa_system_sgpr_workgroup_id_y 0
		.amdhsa_system_sgpr_workgroup_id_z 0
		.amdhsa_system_sgpr_workgroup_info 0
		.amdhsa_system_vgpr_workitem_id 0
		.amdhsa_next_free_vgpr 1
		.amdhsa_next_free_sgpr 1
		.amdhsa_reserve_vcc 0
		.amdhsa_float_round_mode_32 0
		.amdhsa_float_round_mode_16_64 0
		.amdhsa_float_denorm_mode_32 3
		.amdhsa_float_denorm_mode_16_64 3
		.amdhsa_dx10_clamp 1
		.amdhsa_ieee_mode 1
		.amdhsa_fp16_overflow 0
		.amdhsa_workgroup_processor_mode 1
		.amdhsa_memory_ordered 1
		.amdhsa_forward_progress 0
		.amdhsa_shared_vgpr_count 0
		.amdhsa_exception_fp_ieee_invalid_op 0
		.amdhsa_exception_fp_denorm_src 0
		.amdhsa_exception_fp_ieee_div_zero 0
		.amdhsa_exception_fp_ieee_overflow 0
		.amdhsa_exception_fp_ieee_underflow 0
		.amdhsa_exception_fp_ieee_inexact 0
		.amdhsa_exception_int_div_zero 0
	.end_amdhsa_kernel
	.section	.text._ZN7rocprim17ROCPRIM_400000_NS6detail17trampoline_kernelINS0_14default_configENS1_29reduce_by_key_config_selectorIddN6thrust23THRUST_200600_302600_NS4plusIdEEEEZZNS1_33reduce_by_key_impl_wrapped_configILNS1_25lookback_scan_determinismE0ES3_S9_NS6_6detail15normal_iteratorINS6_10device_ptrIdEEEESG_SG_SG_PmS8_22is_equal_div_10_reduceIdEEE10hipError_tPvRmT2_T3_mT4_T5_T6_T7_T8_P12ihipStream_tbENKUlT_T0_E_clISt17integral_constantIbLb0EES10_IbLb1EEEEDaSW_SX_EUlSW_E_NS1_11comp_targetILNS1_3genE0ELNS1_11target_archE4294967295ELNS1_3gpuE0ELNS1_3repE0EEENS1_30default_config_static_selectorELNS0_4arch9wavefront6targetE0EEEvT1_,"axG",@progbits,_ZN7rocprim17ROCPRIM_400000_NS6detail17trampoline_kernelINS0_14default_configENS1_29reduce_by_key_config_selectorIddN6thrust23THRUST_200600_302600_NS4plusIdEEEEZZNS1_33reduce_by_key_impl_wrapped_configILNS1_25lookback_scan_determinismE0ES3_S9_NS6_6detail15normal_iteratorINS6_10device_ptrIdEEEESG_SG_SG_PmS8_22is_equal_div_10_reduceIdEEE10hipError_tPvRmT2_T3_mT4_T5_T6_T7_T8_P12ihipStream_tbENKUlT_T0_E_clISt17integral_constantIbLb0EES10_IbLb1EEEEDaSW_SX_EUlSW_E_NS1_11comp_targetILNS1_3genE0ELNS1_11target_archE4294967295ELNS1_3gpuE0ELNS1_3repE0EEENS1_30default_config_static_selectorELNS0_4arch9wavefront6targetE0EEEvT1_,comdat
.Lfunc_end78:
	.size	_ZN7rocprim17ROCPRIM_400000_NS6detail17trampoline_kernelINS0_14default_configENS1_29reduce_by_key_config_selectorIddN6thrust23THRUST_200600_302600_NS4plusIdEEEEZZNS1_33reduce_by_key_impl_wrapped_configILNS1_25lookback_scan_determinismE0ES3_S9_NS6_6detail15normal_iteratorINS6_10device_ptrIdEEEESG_SG_SG_PmS8_22is_equal_div_10_reduceIdEEE10hipError_tPvRmT2_T3_mT4_T5_T6_T7_T8_P12ihipStream_tbENKUlT_T0_E_clISt17integral_constantIbLb0EES10_IbLb1EEEEDaSW_SX_EUlSW_E_NS1_11comp_targetILNS1_3genE0ELNS1_11target_archE4294967295ELNS1_3gpuE0ELNS1_3repE0EEENS1_30default_config_static_selectorELNS0_4arch9wavefront6targetE0EEEvT1_, .Lfunc_end78-_ZN7rocprim17ROCPRIM_400000_NS6detail17trampoline_kernelINS0_14default_configENS1_29reduce_by_key_config_selectorIddN6thrust23THRUST_200600_302600_NS4plusIdEEEEZZNS1_33reduce_by_key_impl_wrapped_configILNS1_25lookback_scan_determinismE0ES3_S9_NS6_6detail15normal_iteratorINS6_10device_ptrIdEEEESG_SG_SG_PmS8_22is_equal_div_10_reduceIdEEE10hipError_tPvRmT2_T3_mT4_T5_T6_T7_T8_P12ihipStream_tbENKUlT_T0_E_clISt17integral_constantIbLb0EES10_IbLb1EEEEDaSW_SX_EUlSW_E_NS1_11comp_targetILNS1_3genE0ELNS1_11target_archE4294967295ELNS1_3gpuE0ELNS1_3repE0EEENS1_30default_config_static_selectorELNS0_4arch9wavefront6targetE0EEEvT1_
                                        ; -- End function
	.section	.AMDGPU.csdata,"",@progbits
; Kernel info:
; codeLenInByte = 0
; NumSgprs: 0
; NumVgprs: 0
; ScratchSize: 0
; MemoryBound: 0
; FloatMode: 240
; IeeeMode: 1
; LDSByteSize: 0 bytes/workgroup (compile time only)
; SGPRBlocks: 0
; VGPRBlocks: 0
; NumSGPRsForWavesPerEU: 1
; NumVGPRsForWavesPerEU: 1
; Occupancy: 16
; WaveLimiterHint : 0
; COMPUTE_PGM_RSRC2:SCRATCH_EN: 0
; COMPUTE_PGM_RSRC2:USER_SGPR: 15
; COMPUTE_PGM_RSRC2:TRAP_HANDLER: 0
; COMPUTE_PGM_RSRC2:TGID_X_EN: 1
; COMPUTE_PGM_RSRC2:TGID_Y_EN: 0
; COMPUTE_PGM_RSRC2:TGID_Z_EN: 0
; COMPUTE_PGM_RSRC2:TIDIG_COMP_CNT: 0
	.section	.text._ZN7rocprim17ROCPRIM_400000_NS6detail17trampoline_kernelINS0_14default_configENS1_29reduce_by_key_config_selectorIddN6thrust23THRUST_200600_302600_NS4plusIdEEEEZZNS1_33reduce_by_key_impl_wrapped_configILNS1_25lookback_scan_determinismE0ES3_S9_NS6_6detail15normal_iteratorINS6_10device_ptrIdEEEESG_SG_SG_PmS8_22is_equal_div_10_reduceIdEEE10hipError_tPvRmT2_T3_mT4_T5_T6_T7_T8_P12ihipStream_tbENKUlT_T0_E_clISt17integral_constantIbLb0EES10_IbLb1EEEEDaSW_SX_EUlSW_E_NS1_11comp_targetILNS1_3genE5ELNS1_11target_archE942ELNS1_3gpuE9ELNS1_3repE0EEENS1_30default_config_static_selectorELNS0_4arch9wavefront6targetE0EEEvT1_,"axG",@progbits,_ZN7rocprim17ROCPRIM_400000_NS6detail17trampoline_kernelINS0_14default_configENS1_29reduce_by_key_config_selectorIddN6thrust23THRUST_200600_302600_NS4plusIdEEEEZZNS1_33reduce_by_key_impl_wrapped_configILNS1_25lookback_scan_determinismE0ES3_S9_NS6_6detail15normal_iteratorINS6_10device_ptrIdEEEESG_SG_SG_PmS8_22is_equal_div_10_reduceIdEEE10hipError_tPvRmT2_T3_mT4_T5_T6_T7_T8_P12ihipStream_tbENKUlT_T0_E_clISt17integral_constantIbLb0EES10_IbLb1EEEEDaSW_SX_EUlSW_E_NS1_11comp_targetILNS1_3genE5ELNS1_11target_archE942ELNS1_3gpuE9ELNS1_3repE0EEENS1_30default_config_static_selectorELNS0_4arch9wavefront6targetE0EEEvT1_,comdat
	.protected	_ZN7rocprim17ROCPRIM_400000_NS6detail17trampoline_kernelINS0_14default_configENS1_29reduce_by_key_config_selectorIddN6thrust23THRUST_200600_302600_NS4plusIdEEEEZZNS1_33reduce_by_key_impl_wrapped_configILNS1_25lookback_scan_determinismE0ES3_S9_NS6_6detail15normal_iteratorINS6_10device_ptrIdEEEESG_SG_SG_PmS8_22is_equal_div_10_reduceIdEEE10hipError_tPvRmT2_T3_mT4_T5_T6_T7_T8_P12ihipStream_tbENKUlT_T0_E_clISt17integral_constantIbLb0EES10_IbLb1EEEEDaSW_SX_EUlSW_E_NS1_11comp_targetILNS1_3genE5ELNS1_11target_archE942ELNS1_3gpuE9ELNS1_3repE0EEENS1_30default_config_static_selectorELNS0_4arch9wavefront6targetE0EEEvT1_ ; -- Begin function _ZN7rocprim17ROCPRIM_400000_NS6detail17trampoline_kernelINS0_14default_configENS1_29reduce_by_key_config_selectorIddN6thrust23THRUST_200600_302600_NS4plusIdEEEEZZNS1_33reduce_by_key_impl_wrapped_configILNS1_25lookback_scan_determinismE0ES3_S9_NS6_6detail15normal_iteratorINS6_10device_ptrIdEEEESG_SG_SG_PmS8_22is_equal_div_10_reduceIdEEE10hipError_tPvRmT2_T3_mT4_T5_T6_T7_T8_P12ihipStream_tbENKUlT_T0_E_clISt17integral_constantIbLb0EES10_IbLb1EEEEDaSW_SX_EUlSW_E_NS1_11comp_targetILNS1_3genE5ELNS1_11target_archE942ELNS1_3gpuE9ELNS1_3repE0EEENS1_30default_config_static_selectorELNS0_4arch9wavefront6targetE0EEEvT1_
	.globl	_ZN7rocprim17ROCPRIM_400000_NS6detail17trampoline_kernelINS0_14default_configENS1_29reduce_by_key_config_selectorIddN6thrust23THRUST_200600_302600_NS4plusIdEEEEZZNS1_33reduce_by_key_impl_wrapped_configILNS1_25lookback_scan_determinismE0ES3_S9_NS6_6detail15normal_iteratorINS6_10device_ptrIdEEEESG_SG_SG_PmS8_22is_equal_div_10_reduceIdEEE10hipError_tPvRmT2_T3_mT4_T5_T6_T7_T8_P12ihipStream_tbENKUlT_T0_E_clISt17integral_constantIbLb0EES10_IbLb1EEEEDaSW_SX_EUlSW_E_NS1_11comp_targetILNS1_3genE5ELNS1_11target_archE942ELNS1_3gpuE9ELNS1_3repE0EEENS1_30default_config_static_selectorELNS0_4arch9wavefront6targetE0EEEvT1_
	.p2align	8
	.type	_ZN7rocprim17ROCPRIM_400000_NS6detail17trampoline_kernelINS0_14default_configENS1_29reduce_by_key_config_selectorIddN6thrust23THRUST_200600_302600_NS4plusIdEEEEZZNS1_33reduce_by_key_impl_wrapped_configILNS1_25lookback_scan_determinismE0ES3_S9_NS6_6detail15normal_iteratorINS6_10device_ptrIdEEEESG_SG_SG_PmS8_22is_equal_div_10_reduceIdEEE10hipError_tPvRmT2_T3_mT4_T5_T6_T7_T8_P12ihipStream_tbENKUlT_T0_E_clISt17integral_constantIbLb0EES10_IbLb1EEEEDaSW_SX_EUlSW_E_NS1_11comp_targetILNS1_3genE5ELNS1_11target_archE942ELNS1_3gpuE9ELNS1_3repE0EEENS1_30default_config_static_selectorELNS0_4arch9wavefront6targetE0EEEvT1_,@function
_ZN7rocprim17ROCPRIM_400000_NS6detail17trampoline_kernelINS0_14default_configENS1_29reduce_by_key_config_selectorIddN6thrust23THRUST_200600_302600_NS4plusIdEEEEZZNS1_33reduce_by_key_impl_wrapped_configILNS1_25lookback_scan_determinismE0ES3_S9_NS6_6detail15normal_iteratorINS6_10device_ptrIdEEEESG_SG_SG_PmS8_22is_equal_div_10_reduceIdEEE10hipError_tPvRmT2_T3_mT4_T5_T6_T7_T8_P12ihipStream_tbENKUlT_T0_E_clISt17integral_constantIbLb0EES10_IbLb1EEEEDaSW_SX_EUlSW_E_NS1_11comp_targetILNS1_3genE5ELNS1_11target_archE942ELNS1_3gpuE9ELNS1_3repE0EEENS1_30default_config_static_selectorELNS0_4arch9wavefront6targetE0EEEvT1_: ; @_ZN7rocprim17ROCPRIM_400000_NS6detail17trampoline_kernelINS0_14default_configENS1_29reduce_by_key_config_selectorIddN6thrust23THRUST_200600_302600_NS4plusIdEEEEZZNS1_33reduce_by_key_impl_wrapped_configILNS1_25lookback_scan_determinismE0ES3_S9_NS6_6detail15normal_iteratorINS6_10device_ptrIdEEEESG_SG_SG_PmS8_22is_equal_div_10_reduceIdEEE10hipError_tPvRmT2_T3_mT4_T5_T6_T7_T8_P12ihipStream_tbENKUlT_T0_E_clISt17integral_constantIbLb0EES10_IbLb1EEEEDaSW_SX_EUlSW_E_NS1_11comp_targetILNS1_3genE5ELNS1_11target_archE942ELNS1_3gpuE9ELNS1_3repE0EEENS1_30default_config_static_selectorELNS0_4arch9wavefront6targetE0EEEvT1_
; %bb.0:
	.section	.rodata,"a",@progbits
	.p2align	6, 0x0
	.amdhsa_kernel _ZN7rocprim17ROCPRIM_400000_NS6detail17trampoline_kernelINS0_14default_configENS1_29reduce_by_key_config_selectorIddN6thrust23THRUST_200600_302600_NS4plusIdEEEEZZNS1_33reduce_by_key_impl_wrapped_configILNS1_25lookback_scan_determinismE0ES3_S9_NS6_6detail15normal_iteratorINS6_10device_ptrIdEEEESG_SG_SG_PmS8_22is_equal_div_10_reduceIdEEE10hipError_tPvRmT2_T3_mT4_T5_T6_T7_T8_P12ihipStream_tbENKUlT_T0_E_clISt17integral_constantIbLb0EES10_IbLb1EEEEDaSW_SX_EUlSW_E_NS1_11comp_targetILNS1_3genE5ELNS1_11target_archE942ELNS1_3gpuE9ELNS1_3repE0EEENS1_30default_config_static_selectorELNS0_4arch9wavefront6targetE0EEEvT1_
		.amdhsa_group_segment_fixed_size 0
		.amdhsa_private_segment_fixed_size 0
		.amdhsa_kernarg_size 136
		.amdhsa_user_sgpr_count 15
		.amdhsa_user_sgpr_dispatch_ptr 0
		.amdhsa_user_sgpr_queue_ptr 0
		.amdhsa_user_sgpr_kernarg_segment_ptr 1
		.amdhsa_user_sgpr_dispatch_id 0
		.amdhsa_user_sgpr_private_segment_size 0
		.amdhsa_wavefront_size32 1
		.amdhsa_uses_dynamic_stack 0
		.amdhsa_enable_private_segment 0
		.amdhsa_system_sgpr_workgroup_id_x 1
		.amdhsa_system_sgpr_workgroup_id_y 0
		.amdhsa_system_sgpr_workgroup_id_z 0
		.amdhsa_system_sgpr_workgroup_info 0
		.amdhsa_system_vgpr_workitem_id 0
		.amdhsa_next_free_vgpr 1
		.amdhsa_next_free_sgpr 1
		.amdhsa_reserve_vcc 0
		.amdhsa_float_round_mode_32 0
		.amdhsa_float_round_mode_16_64 0
		.amdhsa_float_denorm_mode_32 3
		.amdhsa_float_denorm_mode_16_64 3
		.amdhsa_dx10_clamp 1
		.amdhsa_ieee_mode 1
		.amdhsa_fp16_overflow 0
		.amdhsa_workgroup_processor_mode 1
		.amdhsa_memory_ordered 1
		.amdhsa_forward_progress 0
		.amdhsa_shared_vgpr_count 0
		.amdhsa_exception_fp_ieee_invalid_op 0
		.amdhsa_exception_fp_denorm_src 0
		.amdhsa_exception_fp_ieee_div_zero 0
		.amdhsa_exception_fp_ieee_overflow 0
		.amdhsa_exception_fp_ieee_underflow 0
		.amdhsa_exception_fp_ieee_inexact 0
		.amdhsa_exception_int_div_zero 0
	.end_amdhsa_kernel
	.section	.text._ZN7rocprim17ROCPRIM_400000_NS6detail17trampoline_kernelINS0_14default_configENS1_29reduce_by_key_config_selectorIddN6thrust23THRUST_200600_302600_NS4plusIdEEEEZZNS1_33reduce_by_key_impl_wrapped_configILNS1_25lookback_scan_determinismE0ES3_S9_NS6_6detail15normal_iteratorINS6_10device_ptrIdEEEESG_SG_SG_PmS8_22is_equal_div_10_reduceIdEEE10hipError_tPvRmT2_T3_mT4_T5_T6_T7_T8_P12ihipStream_tbENKUlT_T0_E_clISt17integral_constantIbLb0EES10_IbLb1EEEEDaSW_SX_EUlSW_E_NS1_11comp_targetILNS1_3genE5ELNS1_11target_archE942ELNS1_3gpuE9ELNS1_3repE0EEENS1_30default_config_static_selectorELNS0_4arch9wavefront6targetE0EEEvT1_,"axG",@progbits,_ZN7rocprim17ROCPRIM_400000_NS6detail17trampoline_kernelINS0_14default_configENS1_29reduce_by_key_config_selectorIddN6thrust23THRUST_200600_302600_NS4plusIdEEEEZZNS1_33reduce_by_key_impl_wrapped_configILNS1_25lookback_scan_determinismE0ES3_S9_NS6_6detail15normal_iteratorINS6_10device_ptrIdEEEESG_SG_SG_PmS8_22is_equal_div_10_reduceIdEEE10hipError_tPvRmT2_T3_mT4_T5_T6_T7_T8_P12ihipStream_tbENKUlT_T0_E_clISt17integral_constantIbLb0EES10_IbLb1EEEEDaSW_SX_EUlSW_E_NS1_11comp_targetILNS1_3genE5ELNS1_11target_archE942ELNS1_3gpuE9ELNS1_3repE0EEENS1_30default_config_static_selectorELNS0_4arch9wavefront6targetE0EEEvT1_,comdat
.Lfunc_end79:
	.size	_ZN7rocprim17ROCPRIM_400000_NS6detail17trampoline_kernelINS0_14default_configENS1_29reduce_by_key_config_selectorIddN6thrust23THRUST_200600_302600_NS4plusIdEEEEZZNS1_33reduce_by_key_impl_wrapped_configILNS1_25lookback_scan_determinismE0ES3_S9_NS6_6detail15normal_iteratorINS6_10device_ptrIdEEEESG_SG_SG_PmS8_22is_equal_div_10_reduceIdEEE10hipError_tPvRmT2_T3_mT4_T5_T6_T7_T8_P12ihipStream_tbENKUlT_T0_E_clISt17integral_constantIbLb0EES10_IbLb1EEEEDaSW_SX_EUlSW_E_NS1_11comp_targetILNS1_3genE5ELNS1_11target_archE942ELNS1_3gpuE9ELNS1_3repE0EEENS1_30default_config_static_selectorELNS0_4arch9wavefront6targetE0EEEvT1_, .Lfunc_end79-_ZN7rocprim17ROCPRIM_400000_NS6detail17trampoline_kernelINS0_14default_configENS1_29reduce_by_key_config_selectorIddN6thrust23THRUST_200600_302600_NS4plusIdEEEEZZNS1_33reduce_by_key_impl_wrapped_configILNS1_25lookback_scan_determinismE0ES3_S9_NS6_6detail15normal_iteratorINS6_10device_ptrIdEEEESG_SG_SG_PmS8_22is_equal_div_10_reduceIdEEE10hipError_tPvRmT2_T3_mT4_T5_T6_T7_T8_P12ihipStream_tbENKUlT_T0_E_clISt17integral_constantIbLb0EES10_IbLb1EEEEDaSW_SX_EUlSW_E_NS1_11comp_targetILNS1_3genE5ELNS1_11target_archE942ELNS1_3gpuE9ELNS1_3repE0EEENS1_30default_config_static_selectorELNS0_4arch9wavefront6targetE0EEEvT1_
                                        ; -- End function
	.section	.AMDGPU.csdata,"",@progbits
; Kernel info:
; codeLenInByte = 0
; NumSgprs: 0
; NumVgprs: 0
; ScratchSize: 0
; MemoryBound: 0
; FloatMode: 240
; IeeeMode: 1
; LDSByteSize: 0 bytes/workgroup (compile time only)
; SGPRBlocks: 0
; VGPRBlocks: 0
; NumSGPRsForWavesPerEU: 1
; NumVGPRsForWavesPerEU: 1
; Occupancy: 16
; WaveLimiterHint : 0
; COMPUTE_PGM_RSRC2:SCRATCH_EN: 0
; COMPUTE_PGM_RSRC2:USER_SGPR: 15
; COMPUTE_PGM_RSRC2:TRAP_HANDLER: 0
; COMPUTE_PGM_RSRC2:TGID_X_EN: 1
; COMPUTE_PGM_RSRC2:TGID_Y_EN: 0
; COMPUTE_PGM_RSRC2:TGID_Z_EN: 0
; COMPUTE_PGM_RSRC2:TIDIG_COMP_CNT: 0
	.section	.text._ZN7rocprim17ROCPRIM_400000_NS6detail17trampoline_kernelINS0_14default_configENS1_29reduce_by_key_config_selectorIddN6thrust23THRUST_200600_302600_NS4plusIdEEEEZZNS1_33reduce_by_key_impl_wrapped_configILNS1_25lookback_scan_determinismE0ES3_S9_NS6_6detail15normal_iteratorINS6_10device_ptrIdEEEESG_SG_SG_PmS8_22is_equal_div_10_reduceIdEEE10hipError_tPvRmT2_T3_mT4_T5_T6_T7_T8_P12ihipStream_tbENKUlT_T0_E_clISt17integral_constantIbLb0EES10_IbLb1EEEEDaSW_SX_EUlSW_E_NS1_11comp_targetILNS1_3genE4ELNS1_11target_archE910ELNS1_3gpuE8ELNS1_3repE0EEENS1_30default_config_static_selectorELNS0_4arch9wavefront6targetE0EEEvT1_,"axG",@progbits,_ZN7rocprim17ROCPRIM_400000_NS6detail17trampoline_kernelINS0_14default_configENS1_29reduce_by_key_config_selectorIddN6thrust23THRUST_200600_302600_NS4plusIdEEEEZZNS1_33reduce_by_key_impl_wrapped_configILNS1_25lookback_scan_determinismE0ES3_S9_NS6_6detail15normal_iteratorINS6_10device_ptrIdEEEESG_SG_SG_PmS8_22is_equal_div_10_reduceIdEEE10hipError_tPvRmT2_T3_mT4_T5_T6_T7_T8_P12ihipStream_tbENKUlT_T0_E_clISt17integral_constantIbLb0EES10_IbLb1EEEEDaSW_SX_EUlSW_E_NS1_11comp_targetILNS1_3genE4ELNS1_11target_archE910ELNS1_3gpuE8ELNS1_3repE0EEENS1_30default_config_static_selectorELNS0_4arch9wavefront6targetE0EEEvT1_,comdat
	.protected	_ZN7rocprim17ROCPRIM_400000_NS6detail17trampoline_kernelINS0_14default_configENS1_29reduce_by_key_config_selectorIddN6thrust23THRUST_200600_302600_NS4plusIdEEEEZZNS1_33reduce_by_key_impl_wrapped_configILNS1_25lookback_scan_determinismE0ES3_S9_NS6_6detail15normal_iteratorINS6_10device_ptrIdEEEESG_SG_SG_PmS8_22is_equal_div_10_reduceIdEEE10hipError_tPvRmT2_T3_mT4_T5_T6_T7_T8_P12ihipStream_tbENKUlT_T0_E_clISt17integral_constantIbLb0EES10_IbLb1EEEEDaSW_SX_EUlSW_E_NS1_11comp_targetILNS1_3genE4ELNS1_11target_archE910ELNS1_3gpuE8ELNS1_3repE0EEENS1_30default_config_static_selectorELNS0_4arch9wavefront6targetE0EEEvT1_ ; -- Begin function _ZN7rocprim17ROCPRIM_400000_NS6detail17trampoline_kernelINS0_14default_configENS1_29reduce_by_key_config_selectorIddN6thrust23THRUST_200600_302600_NS4plusIdEEEEZZNS1_33reduce_by_key_impl_wrapped_configILNS1_25lookback_scan_determinismE0ES3_S9_NS6_6detail15normal_iteratorINS6_10device_ptrIdEEEESG_SG_SG_PmS8_22is_equal_div_10_reduceIdEEE10hipError_tPvRmT2_T3_mT4_T5_T6_T7_T8_P12ihipStream_tbENKUlT_T0_E_clISt17integral_constantIbLb0EES10_IbLb1EEEEDaSW_SX_EUlSW_E_NS1_11comp_targetILNS1_3genE4ELNS1_11target_archE910ELNS1_3gpuE8ELNS1_3repE0EEENS1_30default_config_static_selectorELNS0_4arch9wavefront6targetE0EEEvT1_
	.globl	_ZN7rocprim17ROCPRIM_400000_NS6detail17trampoline_kernelINS0_14default_configENS1_29reduce_by_key_config_selectorIddN6thrust23THRUST_200600_302600_NS4plusIdEEEEZZNS1_33reduce_by_key_impl_wrapped_configILNS1_25lookback_scan_determinismE0ES3_S9_NS6_6detail15normal_iteratorINS6_10device_ptrIdEEEESG_SG_SG_PmS8_22is_equal_div_10_reduceIdEEE10hipError_tPvRmT2_T3_mT4_T5_T6_T7_T8_P12ihipStream_tbENKUlT_T0_E_clISt17integral_constantIbLb0EES10_IbLb1EEEEDaSW_SX_EUlSW_E_NS1_11comp_targetILNS1_3genE4ELNS1_11target_archE910ELNS1_3gpuE8ELNS1_3repE0EEENS1_30default_config_static_selectorELNS0_4arch9wavefront6targetE0EEEvT1_
	.p2align	8
	.type	_ZN7rocprim17ROCPRIM_400000_NS6detail17trampoline_kernelINS0_14default_configENS1_29reduce_by_key_config_selectorIddN6thrust23THRUST_200600_302600_NS4plusIdEEEEZZNS1_33reduce_by_key_impl_wrapped_configILNS1_25lookback_scan_determinismE0ES3_S9_NS6_6detail15normal_iteratorINS6_10device_ptrIdEEEESG_SG_SG_PmS8_22is_equal_div_10_reduceIdEEE10hipError_tPvRmT2_T3_mT4_T5_T6_T7_T8_P12ihipStream_tbENKUlT_T0_E_clISt17integral_constantIbLb0EES10_IbLb1EEEEDaSW_SX_EUlSW_E_NS1_11comp_targetILNS1_3genE4ELNS1_11target_archE910ELNS1_3gpuE8ELNS1_3repE0EEENS1_30default_config_static_selectorELNS0_4arch9wavefront6targetE0EEEvT1_,@function
_ZN7rocprim17ROCPRIM_400000_NS6detail17trampoline_kernelINS0_14default_configENS1_29reduce_by_key_config_selectorIddN6thrust23THRUST_200600_302600_NS4plusIdEEEEZZNS1_33reduce_by_key_impl_wrapped_configILNS1_25lookback_scan_determinismE0ES3_S9_NS6_6detail15normal_iteratorINS6_10device_ptrIdEEEESG_SG_SG_PmS8_22is_equal_div_10_reduceIdEEE10hipError_tPvRmT2_T3_mT4_T5_T6_T7_T8_P12ihipStream_tbENKUlT_T0_E_clISt17integral_constantIbLb0EES10_IbLb1EEEEDaSW_SX_EUlSW_E_NS1_11comp_targetILNS1_3genE4ELNS1_11target_archE910ELNS1_3gpuE8ELNS1_3repE0EEENS1_30default_config_static_selectorELNS0_4arch9wavefront6targetE0EEEvT1_: ; @_ZN7rocprim17ROCPRIM_400000_NS6detail17trampoline_kernelINS0_14default_configENS1_29reduce_by_key_config_selectorIddN6thrust23THRUST_200600_302600_NS4plusIdEEEEZZNS1_33reduce_by_key_impl_wrapped_configILNS1_25lookback_scan_determinismE0ES3_S9_NS6_6detail15normal_iteratorINS6_10device_ptrIdEEEESG_SG_SG_PmS8_22is_equal_div_10_reduceIdEEE10hipError_tPvRmT2_T3_mT4_T5_T6_T7_T8_P12ihipStream_tbENKUlT_T0_E_clISt17integral_constantIbLb0EES10_IbLb1EEEEDaSW_SX_EUlSW_E_NS1_11comp_targetILNS1_3genE4ELNS1_11target_archE910ELNS1_3gpuE8ELNS1_3repE0EEENS1_30default_config_static_selectorELNS0_4arch9wavefront6targetE0EEEvT1_
; %bb.0:
	.section	.rodata,"a",@progbits
	.p2align	6, 0x0
	.amdhsa_kernel _ZN7rocprim17ROCPRIM_400000_NS6detail17trampoline_kernelINS0_14default_configENS1_29reduce_by_key_config_selectorIddN6thrust23THRUST_200600_302600_NS4plusIdEEEEZZNS1_33reduce_by_key_impl_wrapped_configILNS1_25lookback_scan_determinismE0ES3_S9_NS6_6detail15normal_iteratorINS6_10device_ptrIdEEEESG_SG_SG_PmS8_22is_equal_div_10_reduceIdEEE10hipError_tPvRmT2_T3_mT4_T5_T6_T7_T8_P12ihipStream_tbENKUlT_T0_E_clISt17integral_constantIbLb0EES10_IbLb1EEEEDaSW_SX_EUlSW_E_NS1_11comp_targetILNS1_3genE4ELNS1_11target_archE910ELNS1_3gpuE8ELNS1_3repE0EEENS1_30default_config_static_selectorELNS0_4arch9wavefront6targetE0EEEvT1_
		.amdhsa_group_segment_fixed_size 0
		.amdhsa_private_segment_fixed_size 0
		.amdhsa_kernarg_size 136
		.amdhsa_user_sgpr_count 15
		.amdhsa_user_sgpr_dispatch_ptr 0
		.amdhsa_user_sgpr_queue_ptr 0
		.amdhsa_user_sgpr_kernarg_segment_ptr 1
		.amdhsa_user_sgpr_dispatch_id 0
		.amdhsa_user_sgpr_private_segment_size 0
		.amdhsa_wavefront_size32 1
		.amdhsa_uses_dynamic_stack 0
		.amdhsa_enable_private_segment 0
		.amdhsa_system_sgpr_workgroup_id_x 1
		.amdhsa_system_sgpr_workgroup_id_y 0
		.amdhsa_system_sgpr_workgroup_id_z 0
		.amdhsa_system_sgpr_workgroup_info 0
		.amdhsa_system_vgpr_workitem_id 0
		.amdhsa_next_free_vgpr 1
		.amdhsa_next_free_sgpr 1
		.amdhsa_reserve_vcc 0
		.amdhsa_float_round_mode_32 0
		.amdhsa_float_round_mode_16_64 0
		.amdhsa_float_denorm_mode_32 3
		.amdhsa_float_denorm_mode_16_64 3
		.amdhsa_dx10_clamp 1
		.amdhsa_ieee_mode 1
		.amdhsa_fp16_overflow 0
		.amdhsa_workgroup_processor_mode 1
		.amdhsa_memory_ordered 1
		.amdhsa_forward_progress 0
		.amdhsa_shared_vgpr_count 0
		.amdhsa_exception_fp_ieee_invalid_op 0
		.amdhsa_exception_fp_denorm_src 0
		.amdhsa_exception_fp_ieee_div_zero 0
		.amdhsa_exception_fp_ieee_overflow 0
		.amdhsa_exception_fp_ieee_underflow 0
		.amdhsa_exception_fp_ieee_inexact 0
		.amdhsa_exception_int_div_zero 0
	.end_amdhsa_kernel
	.section	.text._ZN7rocprim17ROCPRIM_400000_NS6detail17trampoline_kernelINS0_14default_configENS1_29reduce_by_key_config_selectorIddN6thrust23THRUST_200600_302600_NS4plusIdEEEEZZNS1_33reduce_by_key_impl_wrapped_configILNS1_25lookback_scan_determinismE0ES3_S9_NS6_6detail15normal_iteratorINS6_10device_ptrIdEEEESG_SG_SG_PmS8_22is_equal_div_10_reduceIdEEE10hipError_tPvRmT2_T3_mT4_T5_T6_T7_T8_P12ihipStream_tbENKUlT_T0_E_clISt17integral_constantIbLb0EES10_IbLb1EEEEDaSW_SX_EUlSW_E_NS1_11comp_targetILNS1_3genE4ELNS1_11target_archE910ELNS1_3gpuE8ELNS1_3repE0EEENS1_30default_config_static_selectorELNS0_4arch9wavefront6targetE0EEEvT1_,"axG",@progbits,_ZN7rocprim17ROCPRIM_400000_NS6detail17trampoline_kernelINS0_14default_configENS1_29reduce_by_key_config_selectorIddN6thrust23THRUST_200600_302600_NS4plusIdEEEEZZNS1_33reduce_by_key_impl_wrapped_configILNS1_25lookback_scan_determinismE0ES3_S9_NS6_6detail15normal_iteratorINS6_10device_ptrIdEEEESG_SG_SG_PmS8_22is_equal_div_10_reduceIdEEE10hipError_tPvRmT2_T3_mT4_T5_T6_T7_T8_P12ihipStream_tbENKUlT_T0_E_clISt17integral_constantIbLb0EES10_IbLb1EEEEDaSW_SX_EUlSW_E_NS1_11comp_targetILNS1_3genE4ELNS1_11target_archE910ELNS1_3gpuE8ELNS1_3repE0EEENS1_30default_config_static_selectorELNS0_4arch9wavefront6targetE0EEEvT1_,comdat
.Lfunc_end80:
	.size	_ZN7rocprim17ROCPRIM_400000_NS6detail17trampoline_kernelINS0_14default_configENS1_29reduce_by_key_config_selectorIddN6thrust23THRUST_200600_302600_NS4plusIdEEEEZZNS1_33reduce_by_key_impl_wrapped_configILNS1_25lookback_scan_determinismE0ES3_S9_NS6_6detail15normal_iteratorINS6_10device_ptrIdEEEESG_SG_SG_PmS8_22is_equal_div_10_reduceIdEEE10hipError_tPvRmT2_T3_mT4_T5_T6_T7_T8_P12ihipStream_tbENKUlT_T0_E_clISt17integral_constantIbLb0EES10_IbLb1EEEEDaSW_SX_EUlSW_E_NS1_11comp_targetILNS1_3genE4ELNS1_11target_archE910ELNS1_3gpuE8ELNS1_3repE0EEENS1_30default_config_static_selectorELNS0_4arch9wavefront6targetE0EEEvT1_, .Lfunc_end80-_ZN7rocprim17ROCPRIM_400000_NS6detail17trampoline_kernelINS0_14default_configENS1_29reduce_by_key_config_selectorIddN6thrust23THRUST_200600_302600_NS4plusIdEEEEZZNS1_33reduce_by_key_impl_wrapped_configILNS1_25lookback_scan_determinismE0ES3_S9_NS6_6detail15normal_iteratorINS6_10device_ptrIdEEEESG_SG_SG_PmS8_22is_equal_div_10_reduceIdEEE10hipError_tPvRmT2_T3_mT4_T5_T6_T7_T8_P12ihipStream_tbENKUlT_T0_E_clISt17integral_constantIbLb0EES10_IbLb1EEEEDaSW_SX_EUlSW_E_NS1_11comp_targetILNS1_3genE4ELNS1_11target_archE910ELNS1_3gpuE8ELNS1_3repE0EEENS1_30default_config_static_selectorELNS0_4arch9wavefront6targetE0EEEvT1_
                                        ; -- End function
	.section	.AMDGPU.csdata,"",@progbits
; Kernel info:
; codeLenInByte = 0
; NumSgprs: 0
; NumVgprs: 0
; ScratchSize: 0
; MemoryBound: 0
; FloatMode: 240
; IeeeMode: 1
; LDSByteSize: 0 bytes/workgroup (compile time only)
; SGPRBlocks: 0
; VGPRBlocks: 0
; NumSGPRsForWavesPerEU: 1
; NumVGPRsForWavesPerEU: 1
; Occupancy: 16
; WaveLimiterHint : 0
; COMPUTE_PGM_RSRC2:SCRATCH_EN: 0
; COMPUTE_PGM_RSRC2:USER_SGPR: 15
; COMPUTE_PGM_RSRC2:TRAP_HANDLER: 0
; COMPUTE_PGM_RSRC2:TGID_X_EN: 1
; COMPUTE_PGM_RSRC2:TGID_Y_EN: 0
; COMPUTE_PGM_RSRC2:TGID_Z_EN: 0
; COMPUTE_PGM_RSRC2:TIDIG_COMP_CNT: 0
	.section	.text._ZN7rocprim17ROCPRIM_400000_NS6detail17trampoline_kernelINS0_14default_configENS1_29reduce_by_key_config_selectorIddN6thrust23THRUST_200600_302600_NS4plusIdEEEEZZNS1_33reduce_by_key_impl_wrapped_configILNS1_25lookback_scan_determinismE0ES3_S9_NS6_6detail15normal_iteratorINS6_10device_ptrIdEEEESG_SG_SG_PmS8_22is_equal_div_10_reduceIdEEE10hipError_tPvRmT2_T3_mT4_T5_T6_T7_T8_P12ihipStream_tbENKUlT_T0_E_clISt17integral_constantIbLb0EES10_IbLb1EEEEDaSW_SX_EUlSW_E_NS1_11comp_targetILNS1_3genE3ELNS1_11target_archE908ELNS1_3gpuE7ELNS1_3repE0EEENS1_30default_config_static_selectorELNS0_4arch9wavefront6targetE0EEEvT1_,"axG",@progbits,_ZN7rocprim17ROCPRIM_400000_NS6detail17trampoline_kernelINS0_14default_configENS1_29reduce_by_key_config_selectorIddN6thrust23THRUST_200600_302600_NS4plusIdEEEEZZNS1_33reduce_by_key_impl_wrapped_configILNS1_25lookback_scan_determinismE0ES3_S9_NS6_6detail15normal_iteratorINS6_10device_ptrIdEEEESG_SG_SG_PmS8_22is_equal_div_10_reduceIdEEE10hipError_tPvRmT2_T3_mT4_T5_T6_T7_T8_P12ihipStream_tbENKUlT_T0_E_clISt17integral_constantIbLb0EES10_IbLb1EEEEDaSW_SX_EUlSW_E_NS1_11comp_targetILNS1_3genE3ELNS1_11target_archE908ELNS1_3gpuE7ELNS1_3repE0EEENS1_30default_config_static_selectorELNS0_4arch9wavefront6targetE0EEEvT1_,comdat
	.protected	_ZN7rocprim17ROCPRIM_400000_NS6detail17trampoline_kernelINS0_14default_configENS1_29reduce_by_key_config_selectorIddN6thrust23THRUST_200600_302600_NS4plusIdEEEEZZNS1_33reduce_by_key_impl_wrapped_configILNS1_25lookback_scan_determinismE0ES3_S9_NS6_6detail15normal_iteratorINS6_10device_ptrIdEEEESG_SG_SG_PmS8_22is_equal_div_10_reduceIdEEE10hipError_tPvRmT2_T3_mT4_T5_T6_T7_T8_P12ihipStream_tbENKUlT_T0_E_clISt17integral_constantIbLb0EES10_IbLb1EEEEDaSW_SX_EUlSW_E_NS1_11comp_targetILNS1_3genE3ELNS1_11target_archE908ELNS1_3gpuE7ELNS1_3repE0EEENS1_30default_config_static_selectorELNS0_4arch9wavefront6targetE0EEEvT1_ ; -- Begin function _ZN7rocprim17ROCPRIM_400000_NS6detail17trampoline_kernelINS0_14default_configENS1_29reduce_by_key_config_selectorIddN6thrust23THRUST_200600_302600_NS4plusIdEEEEZZNS1_33reduce_by_key_impl_wrapped_configILNS1_25lookback_scan_determinismE0ES3_S9_NS6_6detail15normal_iteratorINS6_10device_ptrIdEEEESG_SG_SG_PmS8_22is_equal_div_10_reduceIdEEE10hipError_tPvRmT2_T3_mT4_T5_T6_T7_T8_P12ihipStream_tbENKUlT_T0_E_clISt17integral_constantIbLb0EES10_IbLb1EEEEDaSW_SX_EUlSW_E_NS1_11comp_targetILNS1_3genE3ELNS1_11target_archE908ELNS1_3gpuE7ELNS1_3repE0EEENS1_30default_config_static_selectorELNS0_4arch9wavefront6targetE0EEEvT1_
	.globl	_ZN7rocprim17ROCPRIM_400000_NS6detail17trampoline_kernelINS0_14default_configENS1_29reduce_by_key_config_selectorIddN6thrust23THRUST_200600_302600_NS4plusIdEEEEZZNS1_33reduce_by_key_impl_wrapped_configILNS1_25lookback_scan_determinismE0ES3_S9_NS6_6detail15normal_iteratorINS6_10device_ptrIdEEEESG_SG_SG_PmS8_22is_equal_div_10_reduceIdEEE10hipError_tPvRmT2_T3_mT4_T5_T6_T7_T8_P12ihipStream_tbENKUlT_T0_E_clISt17integral_constantIbLb0EES10_IbLb1EEEEDaSW_SX_EUlSW_E_NS1_11comp_targetILNS1_3genE3ELNS1_11target_archE908ELNS1_3gpuE7ELNS1_3repE0EEENS1_30default_config_static_selectorELNS0_4arch9wavefront6targetE0EEEvT1_
	.p2align	8
	.type	_ZN7rocprim17ROCPRIM_400000_NS6detail17trampoline_kernelINS0_14default_configENS1_29reduce_by_key_config_selectorIddN6thrust23THRUST_200600_302600_NS4plusIdEEEEZZNS1_33reduce_by_key_impl_wrapped_configILNS1_25lookback_scan_determinismE0ES3_S9_NS6_6detail15normal_iteratorINS6_10device_ptrIdEEEESG_SG_SG_PmS8_22is_equal_div_10_reduceIdEEE10hipError_tPvRmT2_T3_mT4_T5_T6_T7_T8_P12ihipStream_tbENKUlT_T0_E_clISt17integral_constantIbLb0EES10_IbLb1EEEEDaSW_SX_EUlSW_E_NS1_11comp_targetILNS1_3genE3ELNS1_11target_archE908ELNS1_3gpuE7ELNS1_3repE0EEENS1_30default_config_static_selectorELNS0_4arch9wavefront6targetE0EEEvT1_,@function
_ZN7rocprim17ROCPRIM_400000_NS6detail17trampoline_kernelINS0_14default_configENS1_29reduce_by_key_config_selectorIddN6thrust23THRUST_200600_302600_NS4plusIdEEEEZZNS1_33reduce_by_key_impl_wrapped_configILNS1_25lookback_scan_determinismE0ES3_S9_NS6_6detail15normal_iteratorINS6_10device_ptrIdEEEESG_SG_SG_PmS8_22is_equal_div_10_reduceIdEEE10hipError_tPvRmT2_T3_mT4_T5_T6_T7_T8_P12ihipStream_tbENKUlT_T0_E_clISt17integral_constantIbLb0EES10_IbLb1EEEEDaSW_SX_EUlSW_E_NS1_11comp_targetILNS1_3genE3ELNS1_11target_archE908ELNS1_3gpuE7ELNS1_3repE0EEENS1_30default_config_static_selectorELNS0_4arch9wavefront6targetE0EEEvT1_: ; @_ZN7rocprim17ROCPRIM_400000_NS6detail17trampoline_kernelINS0_14default_configENS1_29reduce_by_key_config_selectorIddN6thrust23THRUST_200600_302600_NS4plusIdEEEEZZNS1_33reduce_by_key_impl_wrapped_configILNS1_25lookback_scan_determinismE0ES3_S9_NS6_6detail15normal_iteratorINS6_10device_ptrIdEEEESG_SG_SG_PmS8_22is_equal_div_10_reduceIdEEE10hipError_tPvRmT2_T3_mT4_T5_T6_T7_T8_P12ihipStream_tbENKUlT_T0_E_clISt17integral_constantIbLb0EES10_IbLb1EEEEDaSW_SX_EUlSW_E_NS1_11comp_targetILNS1_3genE3ELNS1_11target_archE908ELNS1_3gpuE7ELNS1_3repE0EEENS1_30default_config_static_selectorELNS0_4arch9wavefront6targetE0EEEvT1_
; %bb.0:
	.section	.rodata,"a",@progbits
	.p2align	6, 0x0
	.amdhsa_kernel _ZN7rocprim17ROCPRIM_400000_NS6detail17trampoline_kernelINS0_14default_configENS1_29reduce_by_key_config_selectorIddN6thrust23THRUST_200600_302600_NS4plusIdEEEEZZNS1_33reduce_by_key_impl_wrapped_configILNS1_25lookback_scan_determinismE0ES3_S9_NS6_6detail15normal_iteratorINS6_10device_ptrIdEEEESG_SG_SG_PmS8_22is_equal_div_10_reduceIdEEE10hipError_tPvRmT2_T3_mT4_T5_T6_T7_T8_P12ihipStream_tbENKUlT_T0_E_clISt17integral_constantIbLb0EES10_IbLb1EEEEDaSW_SX_EUlSW_E_NS1_11comp_targetILNS1_3genE3ELNS1_11target_archE908ELNS1_3gpuE7ELNS1_3repE0EEENS1_30default_config_static_selectorELNS0_4arch9wavefront6targetE0EEEvT1_
		.amdhsa_group_segment_fixed_size 0
		.amdhsa_private_segment_fixed_size 0
		.amdhsa_kernarg_size 136
		.amdhsa_user_sgpr_count 15
		.amdhsa_user_sgpr_dispatch_ptr 0
		.amdhsa_user_sgpr_queue_ptr 0
		.amdhsa_user_sgpr_kernarg_segment_ptr 1
		.amdhsa_user_sgpr_dispatch_id 0
		.amdhsa_user_sgpr_private_segment_size 0
		.amdhsa_wavefront_size32 1
		.amdhsa_uses_dynamic_stack 0
		.amdhsa_enable_private_segment 0
		.amdhsa_system_sgpr_workgroup_id_x 1
		.amdhsa_system_sgpr_workgroup_id_y 0
		.amdhsa_system_sgpr_workgroup_id_z 0
		.amdhsa_system_sgpr_workgroup_info 0
		.amdhsa_system_vgpr_workitem_id 0
		.amdhsa_next_free_vgpr 1
		.amdhsa_next_free_sgpr 1
		.amdhsa_reserve_vcc 0
		.amdhsa_float_round_mode_32 0
		.amdhsa_float_round_mode_16_64 0
		.amdhsa_float_denorm_mode_32 3
		.amdhsa_float_denorm_mode_16_64 3
		.amdhsa_dx10_clamp 1
		.amdhsa_ieee_mode 1
		.amdhsa_fp16_overflow 0
		.amdhsa_workgroup_processor_mode 1
		.amdhsa_memory_ordered 1
		.amdhsa_forward_progress 0
		.amdhsa_shared_vgpr_count 0
		.amdhsa_exception_fp_ieee_invalid_op 0
		.amdhsa_exception_fp_denorm_src 0
		.amdhsa_exception_fp_ieee_div_zero 0
		.amdhsa_exception_fp_ieee_overflow 0
		.amdhsa_exception_fp_ieee_underflow 0
		.amdhsa_exception_fp_ieee_inexact 0
		.amdhsa_exception_int_div_zero 0
	.end_amdhsa_kernel
	.section	.text._ZN7rocprim17ROCPRIM_400000_NS6detail17trampoline_kernelINS0_14default_configENS1_29reduce_by_key_config_selectorIddN6thrust23THRUST_200600_302600_NS4plusIdEEEEZZNS1_33reduce_by_key_impl_wrapped_configILNS1_25lookback_scan_determinismE0ES3_S9_NS6_6detail15normal_iteratorINS6_10device_ptrIdEEEESG_SG_SG_PmS8_22is_equal_div_10_reduceIdEEE10hipError_tPvRmT2_T3_mT4_T5_T6_T7_T8_P12ihipStream_tbENKUlT_T0_E_clISt17integral_constantIbLb0EES10_IbLb1EEEEDaSW_SX_EUlSW_E_NS1_11comp_targetILNS1_3genE3ELNS1_11target_archE908ELNS1_3gpuE7ELNS1_3repE0EEENS1_30default_config_static_selectorELNS0_4arch9wavefront6targetE0EEEvT1_,"axG",@progbits,_ZN7rocprim17ROCPRIM_400000_NS6detail17trampoline_kernelINS0_14default_configENS1_29reduce_by_key_config_selectorIddN6thrust23THRUST_200600_302600_NS4plusIdEEEEZZNS1_33reduce_by_key_impl_wrapped_configILNS1_25lookback_scan_determinismE0ES3_S9_NS6_6detail15normal_iteratorINS6_10device_ptrIdEEEESG_SG_SG_PmS8_22is_equal_div_10_reduceIdEEE10hipError_tPvRmT2_T3_mT4_T5_T6_T7_T8_P12ihipStream_tbENKUlT_T0_E_clISt17integral_constantIbLb0EES10_IbLb1EEEEDaSW_SX_EUlSW_E_NS1_11comp_targetILNS1_3genE3ELNS1_11target_archE908ELNS1_3gpuE7ELNS1_3repE0EEENS1_30default_config_static_selectorELNS0_4arch9wavefront6targetE0EEEvT1_,comdat
.Lfunc_end81:
	.size	_ZN7rocprim17ROCPRIM_400000_NS6detail17trampoline_kernelINS0_14default_configENS1_29reduce_by_key_config_selectorIddN6thrust23THRUST_200600_302600_NS4plusIdEEEEZZNS1_33reduce_by_key_impl_wrapped_configILNS1_25lookback_scan_determinismE0ES3_S9_NS6_6detail15normal_iteratorINS6_10device_ptrIdEEEESG_SG_SG_PmS8_22is_equal_div_10_reduceIdEEE10hipError_tPvRmT2_T3_mT4_T5_T6_T7_T8_P12ihipStream_tbENKUlT_T0_E_clISt17integral_constantIbLb0EES10_IbLb1EEEEDaSW_SX_EUlSW_E_NS1_11comp_targetILNS1_3genE3ELNS1_11target_archE908ELNS1_3gpuE7ELNS1_3repE0EEENS1_30default_config_static_selectorELNS0_4arch9wavefront6targetE0EEEvT1_, .Lfunc_end81-_ZN7rocprim17ROCPRIM_400000_NS6detail17trampoline_kernelINS0_14default_configENS1_29reduce_by_key_config_selectorIddN6thrust23THRUST_200600_302600_NS4plusIdEEEEZZNS1_33reduce_by_key_impl_wrapped_configILNS1_25lookback_scan_determinismE0ES3_S9_NS6_6detail15normal_iteratorINS6_10device_ptrIdEEEESG_SG_SG_PmS8_22is_equal_div_10_reduceIdEEE10hipError_tPvRmT2_T3_mT4_T5_T6_T7_T8_P12ihipStream_tbENKUlT_T0_E_clISt17integral_constantIbLb0EES10_IbLb1EEEEDaSW_SX_EUlSW_E_NS1_11comp_targetILNS1_3genE3ELNS1_11target_archE908ELNS1_3gpuE7ELNS1_3repE0EEENS1_30default_config_static_selectorELNS0_4arch9wavefront6targetE0EEEvT1_
                                        ; -- End function
	.section	.AMDGPU.csdata,"",@progbits
; Kernel info:
; codeLenInByte = 0
; NumSgprs: 0
; NumVgprs: 0
; ScratchSize: 0
; MemoryBound: 0
; FloatMode: 240
; IeeeMode: 1
; LDSByteSize: 0 bytes/workgroup (compile time only)
; SGPRBlocks: 0
; VGPRBlocks: 0
; NumSGPRsForWavesPerEU: 1
; NumVGPRsForWavesPerEU: 1
; Occupancy: 16
; WaveLimiterHint : 0
; COMPUTE_PGM_RSRC2:SCRATCH_EN: 0
; COMPUTE_PGM_RSRC2:USER_SGPR: 15
; COMPUTE_PGM_RSRC2:TRAP_HANDLER: 0
; COMPUTE_PGM_RSRC2:TGID_X_EN: 1
; COMPUTE_PGM_RSRC2:TGID_Y_EN: 0
; COMPUTE_PGM_RSRC2:TGID_Z_EN: 0
; COMPUTE_PGM_RSRC2:TIDIG_COMP_CNT: 0
	.section	.text._ZN7rocprim17ROCPRIM_400000_NS6detail17trampoline_kernelINS0_14default_configENS1_29reduce_by_key_config_selectorIddN6thrust23THRUST_200600_302600_NS4plusIdEEEEZZNS1_33reduce_by_key_impl_wrapped_configILNS1_25lookback_scan_determinismE0ES3_S9_NS6_6detail15normal_iteratorINS6_10device_ptrIdEEEESG_SG_SG_PmS8_22is_equal_div_10_reduceIdEEE10hipError_tPvRmT2_T3_mT4_T5_T6_T7_T8_P12ihipStream_tbENKUlT_T0_E_clISt17integral_constantIbLb0EES10_IbLb1EEEEDaSW_SX_EUlSW_E_NS1_11comp_targetILNS1_3genE2ELNS1_11target_archE906ELNS1_3gpuE6ELNS1_3repE0EEENS1_30default_config_static_selectorELNS0_4arch9wavefront6targetE0EEEvT1_,"axG",@progbits,_ZN7rocprim17ROCPRIM_400000_NS6detail17trampoline_kernelINS0_14default_configENS1_29reduce_by_key_config_selectorIddN6thrust23THRUST_200600_302600_NS4plusIdEEEEZZNS1_33reduce_by_key_impl_wrapped_configILNS1_25lookback_scan_determinismE0ES3_S9_NS6_6detail15normal_iteratorINS6_10device_ptrIdEEEESG_SG_SG_PmS8_22is_equal_div_10_reduceIdEEE10hipError_tPvRmT2_T3_mT4_T5_T6_T7_T8_P12ihipStream_tbENKUlT_T0_E_clISt17integral_constantIbLb0EES10_IbLb1EEEEDaSW_SX_EUlSW_E_NS1_11comp_targetILNS1_3genE2ELNS1_11target_archE906ELNS1_3gpuE6ELNS1_3repE0EEENS1_30default_config_static_selectorELNS0_4arch9wavefront6targetE0EEEvT1_,comdat
	.protected	_ZN7rocprim17ROCPRIM_400000_NS6detail17trampoline_kernelINS0_14default_configENS1_29reduce_by_key_config_selectorIddN6thrust23THRUST_200600_302600_NS4plusIdEEEEZZNS1_33reduce_by_key_impl_wrapped_configILNS1_25lookback_scan_determinismE0ES3_S9_NS6_6detail15normal_iteratorINS6_10device_ptrIdEEEESG_SG_SG_PmS8_22is_equal_div_10_reduceIdEEE10hipError_tPvRmT2_T3_mT4_T5_T6_T7_T8_P12ihipStream_tbENKUlT_T0_E_clISt17integral_constantIbLb0EES10_IbLb1EEEEDaSW_SX_EUlSW_E_NS1_11comp_targetILNS1_3genE2ELNS1_11target_archE906ELNS1_3gpuE6ELNS1_3repE0EEENS1_30default_config_static_selectorELNS0_4arch9wavefront6targetE0EEEvT1_ ; -- Begin function _ZN7rocprim17ROCPRIM_400000_NS6detail17trampoline_kernelINS0_14default_configENS1_29reduce_by_key_config_selectorIddN6thrust23THRUST_200600_302600_NS4plusIdEEEEZZNS1_33reduce_by_key_impl_wrapped_configILNS1_25lookback_scan_determinismE0ES3_S9_NS6_6detail15normal_iteratorINS6_10device_ptrIdEEEESG_SG_SG_PmS8_22is_equal_div_10_reduceIdEEE10hipError_tPvRmT2_T3_mT4_T5_T6_T7_T8_P12ihipStream_tbENKUlT_T0_E_clISt17integral_constantIbLb0EES10_IbLb1EEEEDaSW_SX_EUlSW_E_NS1_11comp_targetILNS1_3genE2ELNS1_11target_archE906ELNS1_3gpuE6ELNS1_3repE0EEENS1_30default_config_static_selectorELNS0_4arch9wavefront6targetE0EEEvT1_
	.globl	_ZN7rocprim17ROCPRIM_400000_NS6detail17trampoline_kernelINS0_14default_configENS1_29reduce_by_key_config_selectorIddN6thrust23THRUST_200600_302600_NS4plusIdEEEEZZNS1_33reduce_by_key_impl_wrapped_configILNS1_25lookback_scan_determinismE0ES3_S9_NS6_6detail15normal_iteratorINS6_10device_ptrIdEEEESG_SG_SG_PmS8_22is_equal_div_10_reduceIdEEE10hipError_tPvRmT2_T3_mT4_T5_T6_T7_T8_P12ihipStream_tbENKUlT_T0_E_clISt17integral_constantIbLb0EES10_IbLb1EEEEDaSW_SX_EUlSW_E_NS1_11comp_targetILNS1_3genE2ELNS1_11target_archE906ELNS1_3gpuE6ELNS1_3repE0EEENS1_30default_config_static_selectorELNS0_4arch9wavefront6targetE0EEEvT1_
	.p2align	8
	.type	_ZN7rocprim17ROCPRIM_400000_NS6detail17trampoline_kernelINS0_14default_configENS1_29reduce_by_key_config_selectorIddN6thrust23THRUST_200600_302600_NS4plusIdEEEEZZNS1_33reduce_by_key_impl_wrapped_configILNS1_25lookback_scan_determinismE0ES3_S9_NS6_6detail15normal_iteratorINS6_10device_ptrIdEEEESG_SG_SG_PmS8_22is_equal_div_10_reduceIdEEE10hipError_tPvRmT2_T3_mT4_T5_T6_T7_T8_P12ihipStream_tbENKUlT_T0_E_clISt17integral_constantIbLb0EES10_IbLb1EEEEDaSW_SX_EUlSW_E_NS1_11comp_targetILNS1_3genE2ELNS1_11target_archE906ELNS1_3gpuE6ELNS1_3repE0EEENS1_30default_config_static_selectorELNS0_4arch9wavefront6targetE0EEEvT1_,@function
_ZN7rocprim17ROCPRIM_400000_NS6detail17trampoline_kernelINS0_14default_configENS1_29reduce_by_key_config_selectorIddN6thrust23THRUST_200600_302600_NS4plusIdEEEEZZNS1_33reduce_by_key_impl_wrapped_configILNS1_25lookback_scan_determinismE0ES3_S9_NS6_6detail15normal_iteratorINS6_10device_ptrIdEEEESG_SG_SG_PmS8_22is_equal_div_10_reduceIdEEE10hipError_tPvRmT2_T3_mT4_T5_T6_T7_T8_P12ihipStream_tbENKUlT_T0_E_clISt17integral_constantIbLb0EES10_IbLb1EEEEDaSW_SX_EUlSW_E_NS1_11comp_targetILNS1_3genE2ELNS1_11target_archE906ELNS1_3gpuE6ELNS1_3repE0EEENS1_30default_config_static_selectorELNS0_4arch9wavefront6targetE0EEEvT1_: ; @_ZN7rocprim17ROCPRIM_400000_NS6detail17trampoline_kernelINS0_14default_configENS1_29reduce_by_key_config_selectorIddN6thrust23THRUST_200600_302600_NS4plusIdEEEEZZNS1_33reduce_by_key_impl_wrapped_configILNS1_25lookback_scan_determinismE0ES3_S9_NS6_6detail15normal_iteratorINS6_10device_ptrIdEEEESG_SG_SG_PmS8_22is_equal_div_10_reduceIdEEE10hipError_tPvRmT2_T3_mT4_T5_T6_T7_T8_P12ihipStream_tbENKUlT_T0_E_clISt17integral_constantIbLb0EES10_IbLb1EEEEDaSW_SX_EUlSW_E_NS1_11comp_targetILNS1_3genE2ELNS1_11target_archE906ELNS1_3gpuE6ELNS1_3repE0EEENS1_30default_config_static_selectorELNS0_4arch9wavefront6targetE0EEEvT1_
; %bb.0:
	.section	.rodata,"a",@progbits
	.p2align	6, 0x0
	.amdhsa_kernel _ZN7rocprim17ROCPRIM_400000_NS6detail17trampoline_kernelINS0_14default_configENS1_29reduce_by_key_config_selectorIddN6thrust23THRUST_200600_302600_NS4plusIdEEEEZZNS1_33reduce_by_key_impl_wrapped_configILNS1_25lookback_scan_determinismE0ES3_S9_NS6_6detail15normal_iteratorINS6_10device_ptrIdEEEESG_SG_SG_PmS8_22is_equal_div_10_reduceIdEEE10hipError_tPvRmT2_T3_mT4_T5_T6_T7_T8_P12ihipStream_tbENKUlT_T0_E_clISt17integral_constantIbLb0EES10_IbLb1EEEEDaSW_SX_EUlSW_E_NS1_11comp_targetILNS1_3genE2ELNS1_11target_archE906ELNS1_3gpuE6ELNS1_3repE0EEENS1_30default_config_static_selectorELNS0_4arch9wavefront6targetE0EEEvT1_
		.amdhsa_group_segment_fixed_size 0
		.amdhsa_private_segment_fixed_size 0
		.amdhsa_kernarg_size 136
		.amdhsa_user_sgpr_count 15
		.amdhsa_user_sgpr_dispatch_ptr 0
		.amdhsa_user_sgpr_queue_ptr 0
		.amdhsa_user_sgpr_kernarg_segment_ptr 1
		.amdhsa_user_sgpr_dispatch_id 0
		.amdhsa_user_sgpr_private_segment_size 0
		.amdhsa_wavefront_size32 1
		.amdhsa_uses_dynamic_stack 0
		.amdhsa_enable_private_segment 0
		.amdhsa_system_sgpr_workgroup_id_x 1
		.amdhsa_system_sgpr_workgroup_id_y 0
		.amdhsa_system_sgpr_workgroup_id_z 0
		.amdhsa_system_sgpr_workgroup_info 0
		.amdhsa_system_vgpr_workitem_id 0
		.amdhsa_next_free_vgpr 1
		.amdhsa_next_free_sgpr 1
		.amdhsa_reserve_vcc 0
		.amdhsa_float_round_mode_32 0
		.amdhsa_float_round_mode_16_64 0
		.amdhsa_float_denorm_mode_32 3
		.amdhsa_float_denorm_mode_16_64 3
		.amdhsa_dx10_clamp 1
		.amdhsa_ieee_mode 1
		.amdhsa_fp16_overflow 0
		.amdhsa_workgroup_processor_mode 1
		.amdhsa_memory_ordered 1
		.amdhsa_forward_progress 0
		.amdhsa_shared_vgpr_count 0
		.amdhsa_exception_fp_ieee_invalid_op 0
		.amdhsa_exception_fp_denorm_src 0
		.amdhsa_exception_fp_ieee_div_zero 0
		.amdhsa_exception_fp_ieee_overflow 0
		.amdhsa_exception_fp_ieee_underflow 0
		.amdhsa_exception_fp_ieee_inexact 0
		.amdhsa_exception_int_div_zero 0
	.end_amdhsa_kernel
	.section	.text._ZN7rocprim17ROCPRIM_400000_NS6detail17trampoline_kernelINS0_14default_configENS1_29reduce_by_key_config_selectorIddN6thrust23THRUST_200600_302600_NS4plusIdEEEEZZNS1_33reduce_by_key_impl_wrapped_configILNS1_25lookback_scan_determinismE0ES3_S9_NS6_6detail15normal_iteratorINS6_10device_ptrIdEEEESG_SG_SG_PmS8_22is_equal_div_10_reduceIdEEE10hipError_tPvRmT2_T3_mT4_T5_T6_T7_T8_P12ihipStream_tbENKUlT_T0_E_clISt17integral_constantIbLb0EES10_IbLb1EEEEDaSW_SX_EUlSW_E_NS1_11comp_targetILNS1_3genE2ELNS1_11target_archE906ELNS1_3gpuE6ELNS1_3repE0EEENS1_30default_config_static_selectorELNS0_4arch9wavefront6targetE0EEEvT1_,"axG",@progbits,_ZN7rocprim17ROCPRIM_400000_NS6detail17trampoline_kernelINS0_14default_configENS1_29reduce_by_key_config_selectorIddN6thrust23THRUST_200600_302600_NS4plusIdEEEEZZNS1_33reduce_by_key_impl_wrapped_configILNS1_25lookback_scan_determinismE0ES3_S9_NS6_6detail15normal_iteratorINS6_10device_ptrIdEEEESG_SG_SG_PmS8_22is_equal_div_10_reduceIdEEE10hipError_tPvRmT2_T3_mT4_T5_T6_T7_T8_P12ihipStream_tbENKUlT_T0_E_clISt17integral_constantIbLb0EES10_IbLb1EEEEDaSW_SX_EUlSW_E_NS1_11comp_targetILNS1_3genE2ELNS1_11target_archE906ELNS1_3gpuE6ELNS1_3repE0EEENS1_30default_config_static_selectorELNS0_4arch9wavefront6targetE0EEEvT1_,comdat
.Lfunc_end82:
	.size	_ZN7rocprim17ROCPRIM_400000_NS6detail17trampoline_kernelINS0_14default_configENS1_29reduce_by_key_config_selectorIddN6thrust23THRUST_200600_302600_NS4plusIdEEEEZZNS1_33reduce_by_key_impl_wrapped_configILNS1_25lookback_scan_determinismE0ES3_S9_NS6_6detail15normal_iteratorINS6_10device_ptrIdEEEESG_SG_SG_PmS8_22is_equal_div_10_reduceIdEEE10hipError_tPvRmT2_T3_mT4_T5_T6_T7_T8_P12ihipStream_tbENKUlT_T0_E_clISt17integral_constantIbLb0EES10_IbLb1EEEEDaSW_SX_EUlSW_E_NS1_11comp_targetILNS1_3genE2ELNS1_11target_archE906ELNS1_3gpuE6ELNS1_3repE0EEENS1_30default_config_static_selectorELNS0_4arch9wavefront6targetE0EEEvT1_, .Lfunc_end82-_ZN7rocprim17ROCPRIM_400000_NS6detail17trampoline_kernelINS0_14default_configENS1_29reduce_by_key_config_selectorIddN6thrust23THRUST_200600_302600_NS4plusIdEEEEZZNS1_33reduce_by_key_impl_wrapped_configILNS1_25lookback_scan_determinismE0ES3_S9_NS6_6detail15normal_iteratorINS6_10device_ptrIdEEEESG_SG_SG_PmS8_22is_equal_div_10_reduceIdEEE10hipError_tPvRmT2_T3_mT4_T5_T6_T7_T8_P12ihipStream_tbENKUlT_T0_E_clISt17integral_constantIbLb0EES10_IbLb1EEEEDaSW_SX_EUlSW_E_NS1_11comp_targetILNS1_3genE2ELNS1_11target_archE906ELNS1_3gpuE6ELNS1_3repE0EEENS1_30default_config_static_selectorELNS0_4arch9wavefront6targetE0EEEvT1_
                                        ; -- End function
	.section	.AMDGPU.csdata,"",@progbits
; Kernel info:
; codeLenInByte = 0
; NumSgprs: 0
; NumVgprs: 0
; ScratchSize: 0
; MemoryBound: 0
; FloatMode: 240
; IeeeMode: 1
; LDSByteSize: 0 bytes/workgroup (compile time only)
; SGPRBlocks: 0
; VGPRBlocks: 0
; NumSGPRsForWavesPerEU: 1
; NumVGPRsForWavesPerEU: 1
; Occupancy: 16
; WaveLimiterHint : 0
; COMPUTE_PGM_RSRC2:SCRATCH_EN: 0
; COMPUTE_PGM_RSRC2:USER_SGPR: 15
; COMPUTE_PGM_RSRC2:TRAP_HANDLER: 0
; COMPUTE_PGM_RSRC2:TGID_X_EN: 1
; COMPUTE_PGM_RSRC2:TGID_Y_EN: 0
; COMPUTE_PGM_RSRC2:TGID_Z_EN: 0
; COMPUTE_PGM_RSRC2:TIDIG_COMP_CNT: 0
	.section	.text._ZN7rocprim17ROCPRIM_400000_NS6detail17trampoline_kernelINS0_14default_configENS1_29reduce_by_key_config_selectorIddN6thrust23THRUST_200600_302600_NS4plusIdEEEEZZNS1_33reduce_by_key_impl_wrapped_configILNS1_25lookback_scan_determinismE0ES3_S9_NS6_6detail15normal_iteratorINS6_10device_ptrIdEEEESG_SG_SG_PmS8_22is_equal_div_10_reduceIdEEE10hipError_tPvRmT2_T3_mT4_T5_T6_T7_T8_P12ihipStream_tbENKUlT_T0_E_clISt17integral_constantIbLb0EES10_IbLb1EEEEDaSW_SX_EUlSW_E_NS1_11comp_targetILNS1_3genE10ELNS1_11target_archE1201ELNS1_3gpuE5ELNS1_3repE0EEENS1_30default_config_static_selectorELNS0_4arch9wavefront6targetE0EEEvT1_,"axG",@progbits,_ZN7rocprim17ROCPRIM_400000_NS6detail17trampoline_kernelINS0_14default_configENS1_29reduce_by_key_config_selectorIddN6thrust23THRUST_200600_302600_NS4plusIdEEEEZZNS1_33reduce_by_key_impl_wrapped_configILNS1_25lookback_scan_determinismE0ES3_S9_NS6_6detail15normal_iteratorINS6_10device_ptrIdEEEESG_SG_SG_PmS8_22is_equal_div_10_reduceIdEEE10hipError_tPvRmT2_T3_mT4_T5_T6_T7_T8_P12ihipStream_tbENKUlT_T0_E_clISt17integral_constantIbLb0EES10_IbLb1EEEEDaSW_SX_EUlSW_E_NS1_11comp_targetILNS1_3genE10ELNS1_11target_archE1201ELNS1_3gpuE5ELNS1_3repE0EEENS1_30default_config_static_selectorELNS0_4arch9wavefront6targetE0EEEvT1_,comdat
	.protected	_ZN7rocprim17ROCPRIM_400000_NS6detail17trampoline_kernelINS0_14default_configENS1_29reduce_by_key_config_selectorIddN6thrust23THRUST_200600_302600_NS4plusIdEEEEZZNS1_33reduce_by_key_impl_wrapped_configILNS1_25lookback_scan_determinismE0ES3_S9_NS6_6detail15normal_iteratorINS6_10device_ptrIdEEEESG_SG_SG_PmS8_22is_equal_div_10_reduceIdEEE10hipError_tPvRmT2_T3_mT4_T5_T6_T7_T8_P12ihipStream_tbENKUlT_T0_E_clISt17integral_constantIbLb0EES10_IbLb1EEEEDaSW_SX_EUlSW_E_NS1_11comp_targetILNS1_3genE10ELNS1_11target_archE1201ELNS1_3gpuE5ELNS1_3repE0EEENS1_30default_config_static_selectorELNS0_4arch9wavefront6targetE0EEEvT1_ ; -- Begin function _ZN7rocprim17ROCPRIM_400000_NS6detail17trampoline_kernelINS0_14default_configENS1_29reduce_by_key_config_selectorIddN6thrust23THRUST_200600_302600_NS4plusIdEEEEZZNS1_33reduce_by_key_impl_wrapped_configILNS1_25lookback_scan_determinismE0ES3_S9_NS6_6detail15normal_iteratorINS6_10device_ptrIdEEEESG_SG_SG_PmS8_22is_equal_div_10_reduceIdEEE10hipError_tPvRmT2_T3_mT4_T5_T6_T7_T8_P12ihipStream_tbENKUlT_T0_E_clISt17integral_constantIbLb0EES10_IbLb1EEEEDaSW_SX_EUlSW_E_NS1_11comp_targetILNS1_3genE10ELNS1_11target_archE1201ELNS1_3gpuE5ELNS1_3repE0EEENS1_30default_config_static_selectorELNS0_4arch9wavefront6targetE0EEEvT1_
	.globl	_ZN7rocprim17ROCPRIM_400000_NS6detail17trampoline_kernelINS0_14default_configENS1_29reduce_by_key_config_selectorIddN6thrust23THRUST_200600_302600_NS4plusIdEEEEZZNS1_33reduce_by_key_impl_wrapped_configILNS1_25lookback_scan_determinismE0ES3_S9_NS6_6detail15normal_iteratorINS6_10device_ptrIdEEEESG_SG_SG_PmS8_22is_equal_div_10_reduceIdEEE10hipError_tPvRmT2_T3_mT4_T5_T6_T7_T8_P12ihipStream_tbENKUlT_T0_E_clISt17integral_constantIbLb0EES10_IbLb1EEEEDaSW_SX_EUlSW_E_NS1_11comp_targetILNS1_3genE10ELNS1_11target_archE1201ELNS1_3gpuE5ELNS1_3repE0EEENS1_30default_config_static_selectorELNS0_4arch9wavefront6targetE0EEEvT1_
	.p2align	8
	.type	_ZN7rocprim17ROCPRIM_400000_NS6detail17trampoline_kernelINS0_14default_configENS1_29reduce_by_key_config_selectorIddN6thrust23THRUST_200600_302600_NS4plusIdEEEEZZNS1_33reduce_by_key_impl_wrapped_configILNS1_25lookback_scan_determinismE0ES3_S9_NS6_6detail15normal_iteratorINS6_10device_ptrIdEEEESG_SG_SG_PmS8_22is_equal_div_10_reduceIdEEE10hipError_tPvRmT2_T3_mT4_T5_T6_T7_T8_P12ihipStream_tbENKUlT_T0_E_clISt17integral_constantIbLb0EES10_IbLb1EEEEDaSW_SX_EUlSW_E_NS1_11comp_targetILNS1_3genE10ELNS1_11target_archE1201ELNS1_3gpuE5ELNS1_3repE0EEENS1_30default_config_static_selectorELNS0_4arch9wavefront6targetE0EEEvT1_,@function
_ZN7rocprim17ROCPRIM_400000_NS6detail17trampoline_kernelINS0_14default_configENS1_29reduce_by_key_config_selectorIddN6thrust23THRUST_200600_302600_NS4plusIdEEEEZZNS1_33reduce_by_key_impl_wrapped_configILNS1_25lookback_scan_determinismE0ES3_S9_NS6_6detail15normal_iteratorINS6_10device_ptrIdEEEESG_SG_SG_PmS8_22is_equal_div_10_reduceIdEEE10hipError_tPvRmT2_T3_mT4_T5_T6_T7_T8_P12ihipStream_tbENKUlT_T0_E_clISt17integral_constantIbLb0EES10_IbLb1EEEEDaSW_SX_EUlSW_E_NS1_11comp_targetILNS1_3genE10ELNS1_11target_archE1201ELNS1_3gpuE5ELNS1_3repE0EEENS1_30default_config_static_selectorELNS0_4arch9wavefront6targetE0EEEvT1_: ; @_ZN7rocprim17ROCPRIM_400000_NS6detail17trampoline_kernelINS0_14default_configENS1_29reduce_by_key_config_selectorIddN6thrust23THRUST_200600_302600_NS4plusIdEEEEZZNS1_33reduce_by_key_impl_wrapped_configILNS1_25lookback_scan_determinismE0ES3_S9_NS6_6detail15normal_iteratorINS6_10device_ptrIdEEEESG_SG_SG_PmS8_22is_equal_div_10_reduceIdEEE10hipError_tPvRmT2_T3_mT4_T5_T6_T7_T8_P12ihipStream_tbENKUlT_T0_E_clISt17integral_constantIbLb0EES10_IbLb1EEEEDaSW_SX_EUlSW_E_NS1_11comp_targetILNS1_3genE10ELNS1_11target_archE1201ELNS1_3gpuE5ELNS1_3repE0EEENS1_30default_config_static_selectorELNS0_4arch9wavefront6targetE0EEEvT1_
; %bb.0:
	.section	.rodata,"a",@progbits
	.p2align	6, 0x0
	.amdhsa_kernel _ZN7rocprim17ROCPRIM_400000_NS6detail17trampoline_kernelINS0_14default_configENS1_29reduce_by_key_config_selectorIddN6thrust23THRUST_200600_302600_NS4plusIdEEEEZZNS1_33reduce_by_key_impl_wrapped_configILNS1_25lookback_scan_determinismE0ES3_S9_NS6_6detail15normal_iteratorINS6_10device_ptrIdEEEESG_SG_SG_PmS8_22is_equal_div_10_reduceIdEEE10hipError_tPvRmT2_T3_mT4_T5_T6_T7_T8_P12ihipStream_tbENKUlT_T0_E_clISt17integral_constantIbLb0EES10_IbLb1EEEEDaSW_SX_EUlSW_E_NS1_11comp_targetILNS1_3genE10ELNS1_11target_archE1201ELNS1_3gpuE5ELNS1_3repE0EEENS1_30default_config_static_selectorELNS0_4arch9wavefront6targetE0EEEvT1_
		.amdhsa_group_segment_fixed_size 0
		.amdhsa_private_segment_fixed_size 0
		.amdhsa_kernarg_size 136
		.amdhsa_user_sgpr_count 15
		.amdhsa_user_sgpr_dispatch_ptr 0
		.amdhsa_user_sgpr_queue_ptr 0
		.amdhsa_user_sgpr_kernarg_segment_ptr 1
		.amdhsa_user_sgpr_dispatch_id 0
		.amdhsa_user_sgpr_private_segment_size 0
		.amdhsa_wavefront_size32 1
		.amdhsa_uses_dynamic_stack 0
		.amdhsa_enable_private_segment 0
		.amdhsa_system_sgpr_workgroup_id_x 1
		.amdhsa_system_sgpr_workgroup_id_y 0
		.amdhsa_system_sgpr_workgroup_id_z 0
		.amdhsa_system_sgpr_workgroup_info 0
		.amdhsa_system_vgpr_workitem_id 0
		.amdhsa_next_free_vgpr 1
		.amdhsa_next_free_sgpr 1
		.amdhsa_reserve_vcc 0
		.amdhsa_float_round_mode_32 0
		.amdhsa_float_round_mode_16_64 0
		.amdhsa_float_denorm_mode_32 3
		.amdhsa_float_denorm_mode_16_64 3
		.amdhsa_dx10_clamp 1
		.amdhsa_ieee_mode 1
		.amdhsa_fp16_overflow 0
		.amdhsa_workgroup_processor_mode 1
		.amdhsa_memory_ordered 1
		.amdhsa_forward_progress 0
		.amdhsa_shared_vgpr_count 0
		.amdhsa_exception_fp_ieee_invalid_op 0
		.amdhsa_exception_fp_denorm_src 0
		.amdhsa_exception_fp_ieee_div_zero 0
		.amdhsa_exception_fp_ieee_overflow 0
		.amdhsa_exception_fp_ieee_underflow 0
		.amdhsa_exception_fp_ieee_inexact 0
		.amdhsa_exception_int_div_zero 0
	.end_amdhsa_kernel
	.section	.text._ZN7rocprim17ROCPRIM_400000_NS6detail17trampoline_kernelINS0_14default_configENS1_29reduce_by_key_config_selectorIddN6thrust23THRUST_200600_302600_NS4plusIdEEEEZZNS1_33reduce_by_key_impl_wrapped_configILNS1_25lookback_scan_determinismE0ES3_S9_NS6_6detail15normal_iteratorINS6_10device_ptrIdEEEESG_SG_SG_PmS8_22is_equal_div_10_reduceIdEEE10hipError_tPvRmT2_T3_mT4_T5_T6_T7_T8_P12ihipStream_tbENKUlT_T0_E_clISt17integral_constantIbLb0EES10_IbLb1EEEEDaSW_SX_EUlSW_E_NS1_11comp_targetILNS1_3genE10ELNS1_11target_archE1201ELNS1_3gpuE5ELNS1_3repE0EEENS1_30default_config_static_selectorELNS0_4arch9wavefront6targetE0EEEvT1_,"axG",@progbits,_ZN7rocprim17ROCPRIM_400000_NS6detail17trampoline_kernelINS0_14default_configENS1_29reduce_by_key_config_selectorIddN6thrust23THRUST_200600_302600_NS4plusIdEEEEZZNS1_33reduce_by_key_impl_wrapped_configILNS1_25lookback_scan_determinismE0ES3_S9_NS6_6detail15normal_iteratorINS6_10device_ptrIdEEEESG_SG_SG_PmS8_22is_equal_div_10_reduceIdEEE10hipError_tPvRmT2_T3_mT4_T5_T6_T7_T8_P12ihipStream_tbENKUlT_T0_E_clISt17integral_constantIbLb0EES10_IbLb1EEEEDaSW_SX_EUlSW_E_NS1_11comp_targetILNS1_3genE10ELNS1_11target_archE1201ELNS1_3gpuE5ELNS1_3repE0EEENS1_30default_config_static_selectorELNS0_4arch9wavefront6targetE0EEEvT1_,comdat
.Lfunc_end83:
	.size	_ZN7rocprim17ROCPRIM_400000_NS6detail17trampoline_kernelINS0_14default_configENS1_29reduce_by_key_config_selectorIddN6thrust23THRUST_200600_302600_NS4plusIdEEEEZZNS1_33reduce_by_key_impl_wrapped_configILNS1_25lookback_scan_determinismE0ES3_S9_NS6_6detail15normal_iteratorINS6_10device_ptrIdEEEESG_SG_SG_PmS8_22is_equal_div_10_reduceIdEEE10hipError_tPvRmT2_T3_mT4_T5_T6_T7_T8_P12ihipStream_tbENKUlT_T0_E_clISt17integral_constantIbLb0EES10_IbLb1EEEEDaSW_SX_EUlSW_E_NS1_11comp_targetILNS1_3genE10ELNS1_11target_archE1201ELNS1_3gpuE5ELNS1_3repE0EEENS1_30default_config_static_selectorELNS0_4arch9wavefront6targetE0EEEvT1_, .Lfunc_end83-_ZN7rocprim17ROCPRIM_400000_NS6detail17trampoline_kernelINS0_14default_configENS1_29reduce_by_key_config_selectorIddN6thrust23THRUST_200600_302600_NS4plusIdEEEEZZNS1_33reduce_by_key_impl_wrapped_configILNS1_25lookback_scan_determinismE0ES3_S9_NS6_6detail15normal_iteratorINS6_10device_ptrIdEEEESG_SG_SG_PmS8_22is_equal_div_10_reduceIdEEE10hipError_tPvRmT2_T3_mT4_T5_T6_T7_T8_P12ihipStream_tbENKUlT_T0_E_clISt17integral_constantIbLb0EES10_IbLb1EEEEDaSW_SX_EUlSW_E_NS1_11comp_targetILNS1_3genE10ELNS1_11target_archE1201ELNS1_3gpuE5ELNS1_3repE0EEENS1_30default_config_static_selectorELNS0_4arch9wavefront6targetE0EEEvT1_
                                        ; -- End function
	.section	.AMDGPU.csdata,"",@progbits
; Kernel info:
; codeLenInByte = 0
; NumSgprs: 0
; NumVgprs: 0
; ScratchSize: 0
; MemoryBound: 0
; FloatMode: 240
; IeeeMode: 1
; LDSByteSize: 0 bytes/workgroup (compile time only)
; SGPRBlocks: 0
; VGPRBlocks: 0
; NumSGPRsForWavesPerEU: 1
; NumVGPRsForWavesPerEU: 1
; Occupancy: 16
; WaveLimiterHint : 0
; COMPUTE_PGM_RSRC2:SCRATCH_EN: 0
; COMPUTE_PGM_RSRC2:USER_SGPR: 15
; COMPUTE_PGM_RSRC2:TRAP_HANDLER: 0
; COMPUTE_PGM_RSRC2:TGID_X_EN: 1
; COMPUTE_PGM_RSRC2:TGID_Y_EN: 0
; COMPUTE_PGM_RSRC2:TGID_Z_EN: 0
; COMPUTE_PGM_RSRC2:TIDIG_COMP_CNT: 0
	.section	.text._ZN7rocprim17ROCPRIM_400000_NS6detail17trampoline_kernelINS0_14default_configENS1_29reduce_by_key_config_selectorIddN6thrust23THRUST_200600_302600_NS4plusIdEEEEZZNS1_33reduce_by_key_impl_wrapped_configILNS1_25lookback_scan_determinismE0ES3_S9_NS6_6detail15normal_iteratorINS6_10device_ptrIdEEEESG_SG_SG_PmS8_22is_equal_div_10_reduceIdEEE10hipError_tPvRmT2_T3_mT4_T5_T6_T7_T8_P12ihipStream_tbENKUlT_T0_E_clISt17integral_constantIbLb0EES10_IbLb1EEEEDaSW_SX_EUlSW_E_NS1_11comp_targetILNS1_3genE10ELNS1_11target_archE1200ELNS1_3gpuE4ELNS1_3repE0EEENS1_30default_config_static_selectorELNS0_4arch9wavefront6targetE0EEEvT1_,"axG",@progbits,_ZN7rocprim17ROCPRIM_400000_NS6detail17trampoline_kernelINS0_14default_configENS1_29reduce_by_key_config_selectorIddN6thrust23THRUST_200600_302600_NS4plusIdEEEEZZNS1_33reduce_by_key_impl_wrapped_configILNS1_25lookback_scan_determinismE0ES3_S9_NS6_6detail15normal_iteratorINS6_10device_ptrIdEEEESG_SG_SG_PmS8_22is_equal_div_10_reduceIdEEE10hipError_tPvRmT2_T3_mT4_T5_T6_T7_T8_P12ihipStream_tbENKUlT_T0_E_clISt17integral_constantIbLb0EES10_IbLb1EEEEDaSW_SX_EUlSW_E_NS1_11comp_targetILNS1_3genE10ELNS1_11target_archE1200ELNS1_3gpuE4ELNS1_3repE0EEENS1_30default_config_static_selectorELNS0_4arch9wavefront6targetE0EEEvT1_,comdat
	.protected	_ZN7rocprim17ROCPRIM_400000_NS6detail17trampoline_kernelINS0_14default_configENS1_29reduce_by_key_config_selectorIddN6thrust23THRUST_200600_302600_NS4plusIdEEEEZZNS1_33reduce_by_key_impl_wrapped_configILNS1_25lookback_scan_determinismE0ES3_S9_NS6_6detail15normal_iteratorINS6_10device_ptrIdEEEESG_SG_SG_PmS8_22is_equal_div_10_reduceIdEEE10hipError_tPvRmT2_T3_mT4_T5_T6_T7_T8_P12ihipStream_tbENKUlT_T0_E_clISt17integral_constantIbLb0EES10_IbLb1EEEEDaSW_SX_EUlSW_E_NS1_11comp_targetILNS1_3genE10ELNS1_11target_archE1200ELNS1_3gpuE4ELNS1_3repE0EEENS1_30default_config_static_selectorELNS0_4arch9wavefront6targetE0EEEvT1_ ; -- Begin function _ZN7rocprim17ROCPRIM_400000_NS6detail17trampoline_kernelINS0_14default_configENS1_29reduce_by_key_config_selectorIddN6thrust23THRUST_200600_302600_NS4plusIdEEEEZZNS1_33reduce_by_key_impl_wrapped_configILNS1_25lookback_scan_determinismE0ES3_S9_NS6_6detail15normal_iteratorINS6_10device_ptrIdEEEESG_SG_SG_PmS8_22is_equal_div_10_reduceIdEEE10hipError_tPvRmT2_T3_mT4_T5_T6_T7_T8_P12ihipStream_tbENKUlT_T0_E_clISt17integral_constantIbLb0EES10_IbLb1EEEEDaSW_SX_EUlSW_E_NS1_11comp_targetILNS1_3genE10ELNS1_11target_archE1200ELNS1_3gpuE4ELNS1_3repE0EEENS1_30default_config_static_selectorELNS0_4arch9wavefront6targetE0EEEvT1_
	.globl	_ZN7rocprim17ROCPRIM_400000_NS6detail17trampoline_kernelINS0_14default_configENS1_29reduce_by_key_config_selectorIddN6thrust23THRUST_200600_302600_NS4plusIdEEEEZZNS1_33reduce_by_key_impl_wrapped_configILNS1_25lookback_scan_determinismE0ES3_S9_NS6_6detail15normal_iteratorINS6_10device_ptrIdEEEESG_SG_SG_PmS8_22is_equal_div_10_reduceIdEEE10hipError_tPvRmT2_T3_mT4_T5_T6_T7_T8_P12ihipStream_tbENKUlT_T0_E_clISt17integral_constantIbLb0EES10_IbLb1EEEEDaSW_SX_EUlSW_E_NS1_11comp_targetILNS1_3genE10ELNS1_11target_archE1200ELNS1_3gpuE4ELNS1_3repE0EEENS1_30default_config_static_selectorELNS0_4arch9wavefront6targetE0EEEvT1_
	.p2align	8
	.type	_ZN7rocprim17ROCPRIM_400000_NS6detail17trampoline_kernelINS0_14default_configENS1_29reduce_by_key_config_selectorIddN6thrust23THRUST_200600_302600_NS4plusIdEEEEZZNS1_33reduce_by_key_impl_wrapped_configILNS1_25lookback_scan_determinismE0ES3_S9_NS6_6detail15normal_iteratorINS6_10device_ptrIdEEEESG_SG_SG_PmS8_22is_equal_div_10_reduceIdEEE10hipError_tPvRmT2_T3_mT4_T5_T6_T7_T8_P12ihipStream_tbENKUlT_T0_E_clISt17integral_constantIbLb0EES10_IbLb1EEEEDaSW_SX_EUlSW_E_NS1_11comp_targetILNS1_3genE10ELNS1_11target_archE1200ELNS1_3gpuE4ELNS1_3repE0EEENS1_30default_config_static_selectorELNS0_4arch9wavefront6targetE0EEEvT1_,@function
_ZN7rocprim17ROCPRIM_400000_NS6detail17trampoline_kernelINS0_14default_configENS1_29reduce_by_key_config_selectorIddN6thrust23THRUST_200600_302600_NS4plusIdEEEEZZNS1_33reduce_by_key_impl_wrapped_configILNS1_25lookback_scan_determinismE0ES3_S9_NS6_6detail15normal_iteratorINS6_10device_ptrIdEEEESG_SG_SG_PmS8_22is_equal_div_10_reduceIdEEE10hipError_tPvRmT2_T3_mT4_T5_T6_T7_T8_P12ihipStream_tbENKUlT_T0_E_clISt17integral_constantIbLb0EES10_IbLb1EEEEDaSW_SX_EUlSW_E_NS1_11comp_targetILNS1_3genE10ELNS1_11target_archE1200ELNS1_3gpuE4ELNS1_3repE0EEENS1_30default_config_static_selectorELNS0_4arch9wavefront6targetE0EEEvT1_: ; @_ZN7rocprim17ROCPRIM_400000_NS6detail17trampoline_kernelINS0_14default_configENS1_29reduce_by_key_config_selectorIddN6thrust23THRUST_200600_302600_NS4plusIdEEEEZZNS1_33reduce_by_key_impl_wrapped_configILNS1_25lookback_scan_determinismE0ES3_S9_NS6_6detail15normal_iteratorINS6_10device_ptrIdEEEESG_SG_SG_PmS8_22is_equal_div_10_reduceIdEEE10hipError_tPvRmT2_T3_mT4_T5_T6_T7_T8_P12ihipStream_tbENKUlT_T0_E_clISt17integral_constantIbLb0EES10_IbLb1EEEEDaSW_SX_EUlSW_E_NS1_11comp_targetILNS1_3genE10ELNS1_11target_archE1200ELNS1_3gpuE4ELNS1_3repE0EEENS1_30default_config_static_selectorELNS0_4arch9wavefront6targetE0EEEvT1_
; %bb.0:
	.section	.rodata,"a",@progbits
	.p2align	6, 0x0
	.amdhsa_kernel _ZN7rocprim17ROCPRIM_400000_NS6detail17trampoline_kernelINS0_14default_configENS1_29reduce_by_key_config_selectorIddN6thrust23THRUST_200600_302600_NS4plusIdEEEEZZNS1_33reduce_by_key_impl_wrapped_configILNS1_25lookback_scan_determinismE0ES3_S9_NS6_6detail15normal_iteratorINS6_10device_ptrIdEEEESG_SG_SG_PmS8_22is_equal_div_10_reduceIdEEE10hipError_tPvRmT2_T3_mT4_T5_T6_T7_T8_P12ihipStream_tbENKUlT_T0_E_clISt17integral_constantIbLb0EES10_IbLb1EEEEDaSW_SX_EUlSW_E_NS1_11comp_targetILNS1_3genE10ELNS1_11target_archE1200ELNS1_3gpuE4ELNS1_3repE0EEENS1_30default_config_static_selectorELNS0_4arch9wavefront6targetE0EEEvT1_
		.amdhsa_group_segment_fixed_size 0
		.amdhsa_private_segment_fixed_size 0
		.amdhsa_kernarg_size 136
		.amdhsa_user_sgpr_count 15
		.amdhsa_user_sgpr_dispatch_ptr 0
		.amdhsa_user_sgpr_queue_ptr 0
		.amdhsa_user_sgpr_kernarg_segment_ptr 1
		.amdhsa_user_sgpr_dispatch_id 0
		.amdhsa_user_sgpr_private_segment_size 0
		.amdhsa_wavefront_size32 1
		.amdhsa_uses_dynamic_stack 0
		.amdhsa_enable_private_segment 0
		.amdhsa_system_sgpr_workgroup_id_x 1
		.amdhsa_system_sgpr_workgroup_id_y 0
		.amdhsa_system_sgpr_workgroup_id_z 0
		.amdhsa_system_sgpr_workgroup_info 0
		.amdhsa_system_vgpr_workitem_id 0
		.amdhsa_next_free_vgpr 1
		.amdhsa_next_free_sgpr 1
		.amdhsa_reserve_vcc 0
		.amdhsa_float_round_mode_32 0
		.amdhsa_float_round_mode_16_64 0
		.amdhsa_float_denorm_mode_32 3
		.amdhsa_float_denorm_mode_16_64 3
		.amdhsa_dx10_clamp 1
		.amdhsa_ieee_mode 1
		.amdhsa_fp16_overflow 0
		.amdhsa_workgroup_processor_mode 1
		.amdhsa_memory_ordered 1
		.amdhsa_forward_progress 0
		.amdhsa_shared_vgpr_count 0
		.amdhsa_exception_fp_ieee_invalid_op 0
		.amdhsa_exception_fp_denorm_src 0
		.amdhsa_exception_fp_ieee_div_zero 0
		.amdhsa_exception_fp_ieee_overflow 0
		.amdhsa_exception_fp_ieee_underflow 0
		.amdhsa_exception_fp_ieee_inexact 0
		.amdhsa_exception_int_div_zero 0
	.end_amdhsa_kernel
	.section	.text._ZN7rocprim17ROCPRIM_400000_NS6detail17trampoline_kernelINS0_14default_configENS1_29reduce_by_key_config_selectorIddN6thrust23THRUST_200600_302600_NS4plusIdEEEEZZNS1_33reduce_by_key_impl_wrapped_configILNS1_25lookback_scan_determinismE0ES3_S9_NS6_6detail15normal_iteratorINS6_10device_ptrIdEEEESG_SG_SG_PmS8_22is_equal_div_10_reduceIdEEE10hipError_tPvRmT2_T3_mT4_T5_T6_T7_T8_P12ihipStream_tbENKUlT_T0_E_clISt17integral_constantIbLb0EES10_IbLb1EEEEDaSW_SX_EUlSW_E_NS1_11comp_targetILNS1_3genE10ELNS1_11target_archE1200ELNS1_3gpuE4ELNS1_3repE0EEENS1_30default_config_static_selectorELNS0_4arch9wavefront6targetE0EEEvT1_,"axG",@progbits,_ZN7rocprim17ROCPRIM_400000_NS6detail17trampoline_kernelINS0_14default_configENS1_29reduce_by_key_config_selectorIddN6thrust23THRUST_200600_302600_NS4plusIdEEEEZZNS1_33reduce_by_key_impl_wrapped_configILNS1_25lookback_scan_determinismE0ES3_S9_NS6_6detail15normal_iteratorINS6_10device_ptrIdEEEESG_SG_SG_PmS8_22is_equal_div_10_reduceIdEEE10hipError_tPvRmT2_T3_mT4_T5_T6_T7_T8_P12ihipStream_tbENKUlT_T0_E_clISt17integral_constantIbLb0EES10_IbLb1EEEEDaSW_SX_EUlSW_E_NS1_11comp_targetILNS1_3genE10ELNS1_11target_archE1200ELNS1_3gpuE4ELNS1_3repE0EEENS1_30default_config_static_selectorELNS0_4arch9wavefront6targetE0EEEvT1_,comdat
.Lfunc_end84:
	.size	_ZN7rocprim17ROCPRIM_400000_NS6detail17trampoline_kernelINS0_14default_configENS1_29reduce_by_key_config_selectorIddN6thrust23THRUST_200600_302600_NS4plusIdEEEEZZNS1_33reduce_by_key_impl_wrapped_configILNS1_25lookback_scan_determinismE0ES3_S9_NS6_6detail15normal_iteratorINS6_10device_ptrIdEEEESG_SG_SG_PmS8_22is_equal_div_10_reduceIdEEE10hipError_tPvRmT2_T3_mT4_T5_T6_T7_T8_P12ihipStream_tbENKUlT_T0_E_clISt17integral_constantIbLb0EES10_IbLb1EEEEDaSW_SX_EUlSW_E_NS1_11comp_targetILNS1_3genE10ELNS1_11target_archE1200ELNS1_3gpuE4ELNS1_3repE0EEENS1_30default_config_static_selectorELNS0_4arch9wavefront6targetE0EEEvT1_, .Lfunc_end84-_ZN7rocprim17ROCPRIM_400000_NS6detail17trampoline_kernelINS0_14default_configENS1_29reduce_by_key_config_selectorIddN6thrust23THRUST_200600_302600_NS4plusIdEEEEZZNS1_33reduce_by_key_impl_wrapped_configILNS1_25lookback_scan_determinismE0ES3_S9_NS6_6detail15normal_iteratorINS6_10device_ptrIdEEEESG_SG_SG_PmS8_22is_equal_div_10_reduceIdEEE10hipError_tPvRmT2_T3_mT4_T5_T6_T7_T8_P12ihipStream_tbENKUlT_T0_E_clISt17integral_constantIbLb0EES10_IbLb1EEEEDaSW_SX_EUlSW_E_NS1_11comp_targetILNS1_3genE10ELNS1_11target_archE1200ELNS1_3gpuE4ELNS1_3repE0EEENS1_30default_config_static_selectorELNS0_4arch9wavefront6targetE0EEEvT1_
                                        ; -- End function
	.section	.AMDGPU.csdata,"",@progbits
; Kernel info:
; codeLenInByte = 0
; NumSgprs: 0
; NumVgprs: 0
; ScratchSize: 0
; MemoryBound: 0
; FloatMode: 240
; IeeeMode: 1
; LDSByteSize: 0 bytes/workgroup (compile time only)
; SGPRBlocks: 0
; VGPRBlocks: 0
; NumSGPRsForWavesPerEU: 1
; NumVGPRsForWavesPerEU: 1
; Occupancy: 16
; WaveLimiterHint : 0
; COMPUTE_PGM_RSRC2:SCRATCH_EN: 0
; COMPUTE_PGM_RSRC2:USER_SGPR: 15
; COMPUTE_PGM_RSRC2:TRAP_HANDLER: 0
; COMPUTE_PGM_RSRC2:TGID_X_EN: 1
; COMPUTE_PGM_RSRC2:TGID_Y_EN: 0
; COMPUTE_PGM_RSRC2:TGID_Z_EN: 0
; COMPUTE_PGM_RSRC2:TIDIG_COMP_CNT: 0
	.section	.text._ZN7rocprim17ROCPRIM_400000_NS6detail17trampoline_kernelINS0_14default_configENS1_29reduce_by_key_config_selectorIddN6thrust23THRUST_200600_302600_NS4plusIdEEEEZZNS1_33reduce_by_key_impl_wrapped_configILNS1_25lookback_scan_determinismE0ES3_S9_NS6_6detail15normal_iteratorINS6_10device_ptrIdEEEESG_SG_SG_PmS8_22is_equal_div_10_reduceIdEEE10hipError_tPvRmT2_T3_mT4_T5_T6_T7_T8_P12ihipStream_tbENKUlT_T0_E_clISt17integral_constantIbLb0EES10_IbLb1EEEEDaSW_SX_EUlSW_E_NS1_11comp_targetILNS1_3genE9ELNS1_11target_archE1100ELNS1_3gpuE3ELNS1_3repE0EEENS1_30default_config_static_selectorELNS0_4arch9wavefront6targetE0EEEvT1_,"axG",@progbits,_ZN7rocprim17ROCPRIM_400000_NS6detail17trampoline_kernelINS0_14default_configENS1_29reduce_by_key_config_selectorIddN6thrust23THRUST_200600_302600_NS4plusIdEEEEZZNS1_33reduce_by_key_impl_wrapped_configILNS1_25lookback_scan_determinismE0ES3_S9_NS6_6detail15normal_iteratorINS6_10device_ptrIdEEEESG_SG_SG_PmS8_22is_equal_div_10_reduceIdEEE10hipError_tPvRmT2_T3_mT4_T5_T6_T7_T8_P12ihipStream_tbENKUlT_T0_E_clISt17integral_constantIbLb0EES10_IbLb1EEEEDaSW_SX_EUlSW_E_NS1_11comp_targetILNS1_3genE9ELNS1_11target_archE1100ELNS1_3gpuE3ELNS1_3repE0EEENS1_30default_config_static_selectorELNS0_4arch9wavefront6targetE0EEEvT1_,comdat
	.protected	_ZN7rocprim17ROCPRIM_400000_NS6detail17trampoline_kernelINS0_14default_configENS1_29reduce_by_key_config_selectorIddN6thrust23THRUST_200600_302600_NS4plusIdEEEEZZNS1_33reduce_by_key_impl_wrapped_configILNS1_25lookback_scan_determinismE0ES3_S9_NS6_6detail15normal_iteratorINS6_10device_ptrIdEEEESG_SG_SG_PmS8_22is_equal_div_10_reduceIdEEE10hipError_tPvRmT2_T3_mT4_T5_T6_T7_T8_P12ihipStream_tbENKUlT_T0_E_clISt17integral_constantIbLb0EES10_IbLb1EEEEDaSW_SX_EUlSW_E_NS1_11comp_targetILNS1_3genE9ELNS1_11target_archE1100ELNS1_3gpuE3ELNS1_3repE0EEENS1_30default_config_static_selectorELNS0_4arch9wavefront6targetE0EEEvT1_ ; -- Begin function _ZN7rocprim17ROCPRIM_400000_NS6detail17trampoline_kernelINS0_14default_configENS1_29reduce_by_key_config_selectorIddN6thrust23THRUST_200600_302600_NS4plusIdEEEEZZNS1_33reduce_by_key_impl_wrapped_configILNS1_25lookback_scan_determinismE0ES3_S9_NS6_6detail15normal_iteratorINS6_10device_ptrIdEEEESG_SG_SG_PmS8_22is_equal_div_10_reduceIdEEE10hipError_tPvRmT2_T3_mT4_T5_T6_T7_T8_P12ihipStream_tbENKUlT_T0_E_clISt17integral_constantIbLb0EES10_IbLb1EEEEDaSW_SX_EUlSW_E_NS1_11comp_targetILNS1_3genE9ELNS1_11target_archE1100ELNS1_3gpuE3ELNS1_3repE0EEENS1_30default_config_static_selectorELNS0_4arch9wavefront6targetE0EEEvT1_
	.globl	_ZN7rocprim17ROCPRIM_400000_NS6detail17trampoline_kernelINS0_14default_configENS1_29reduce_by_key_config_selectorIddN6thrust23THRUST_200600_302600_NS4plusIdEEEEZZNS1_33reduce_by_key_impl_wrapped_configILNS1_25lookback_scan_determinismE0ES3_S9_NS6_6detail15normal_iteratorINS6_10device_ptrIdEEEESG_SG_SG_PmS8_22is_equal_div_10_reduceIdEEE10hipError_tPvRmT2_T3_mT4_T5_T6_T7_T8_P12ihipStream_tbENKUlT_T0_E_clISt17integral_constantIbLb0EES10_IbLb1EEEEDaSW_SX_EUlSW_E_NS1_11comp_targetILNS1_3genE9ELNS1_11target_archE1100ELNS1_3gpuE3ELNS1_3repE0EEENS1_30default_config_static_selectorELNS0_4arch9wavefront6targetE0EEEvT1_
	.p2align	8
	.type	_ZN7rocprim17ROCPRIM_400000_NS6detail17trampoline_kernelINS0_14default_configENS1_29reduce_by_key_config_selectorIddN6thrust23THRUST_200600_302600_NS4plusIdEEEEZZNS1_33reduce_by_key_impl_wrapped_configILNS1_25lookback_scan_determinismE0ES3_S9_NS6_6detail15normal_iteratorINS6_10device_ptrIdEEEESG_SG_SG_PmS8_22is_equal_div_10_reduceIdEEE10hipError_tPvRmT2_T3_mT4_T5_T6_T7_T8_P12ihipStream_tbENKUlT_T0_E_clISt17integral_constantIbLb0EES10_IbLb1EEEEDaSW_SX_EUlSW_E_NS1_11comp_targetILNS1_3genE9ELNS1_11target_archE1100ELNS1_3gpuE3ELNS1_3repE0EEENS1_30default_config_static_selectorELNS0_4arch9wavefront6targetE0EEEvT1_,@function
_ZN7rocprim17ROCPRIM_400000_NS6detail17trampoline_kernelINS0_14default_configENS1_29reduce_by_key_config_selectorIddN6thrust23THRUST_200600_302600_NS4plusIdEEEEZZNS1_33reduce_by_key_impl_wrapped_configILNS1_25lookback_scan_determinismE0ES3_S9_NS6_6detail15normal_iteratorINS6_10device_ptrIdEEEESG_SG_SG_PmS8_22is_equal_div_10_reduceIdEEE10hipError_tPvRmT2_T3_mT4_T5_T6_T7_T8_P12ihipStream_tbENKUlT_T0_E_clISt17integral_constantIbLb0EES10_IbLb1EEEEDaSW_SX_EUlSW_E_NS1_11comp_targetILNS1_3genE9ELNS1_11target_archE1100ELNS1_3gpuE3ELNS1_3repE0EEENS1_30default_config_static_selectorELNS0_4arch9wavefront6targetE0EEEvT1_: ; @_ZN7rocprim17ROCPRIM_400000_NS6detail17trampoline_kernelINS0_14default_configENS1_29reduce_by_key_config_selectorIddN6thrust23THRUST_200600_302600_NS4plusIdEEEEZZNS1_33reduce_by_key_impl_wrapped_configILNS1_25lookback_scan_determinismE0ES3_S9_NS6_6detail15normal_iteratorINS6_10device_ptrIdEEEESG_SG_SG_PmS8_22is_equal_div_10_reduceIdEEE10hipError_tPvRmT2_T3_mT4_T5_T6_T7_T8_P12ihipStream_tbENKUlT_T0_E_clISt17integral_constantIbLb0EES10_IbLb1EEEEDaSW_SX_EUlSW_E_NS1_11comp_targetILNS1_3genE9ELNS1_11target_archE1100ELNS1_3gpuE3ELNS1_3repE0EEENS1_30default_config_static_selectorELNS0_4arch9wavefront6targetE0EEEvT1_
; %bb.0:
	s_clause 0x2
	s_load_b256 s[12:19], s[0:1], 0x0
	s_load_b128 s[20:23], s[0:1], 0x20
	s_load_b64 s[24:25], s[0:1], 0x78
	v_cmp_ne_u32_e64 s3, 0, v0
	v_cmp_eq_u32_e64 s2, 0, v0
	s_delay_alu instid0(VALU_DEP_1)
	s_and_saveexec_b32 s4, s2
	s_cbranch_execz .LBB85_4
; %bb.1:
	s_mov_b32 s6, exec_lo
	s_mov_b32 s5, exec_lo
	v_mbcnt_lo_u32_b32 v1, s6, 0
                                        ; implicit-def: $vgpr2
	s_delay_alu instid0(VALU_DEP_1)
	v_cmpx_eq_u32_e32 0, v1
	s_cbranch_execz .LBB85_3
; %bb.2:
	s_load_b64 s[8:9], s[0:1], 0x80
	s_bcnt1_i32_b32 s6, s6
	s_delay_alu instid0(SALU_CYCLE_1)
	v_dual_mov_b32 v2, 0 :: v_dual_mov_b32 v3, s6
	s_waitcnt lgkmcnt(0)
	global_atomic_add_u32 v2, v2, v3, s[8:9] glc
.LBB85_3:
	s_or_b32 exec_lo, exec_lo, s5
	s_waitcnt vmcnt(0)
	v_readfirstlane_b32 s5, v2
	s_delay_alu instid0(VALU_DEP_1)
	v_dual_mov_b32 v2, 0 :: v_dual_add_nc_u32 v1, s5, v1
	ds_store_b32 v2, v1
.LBB85_4:
	s_or_b32 exec_lo, exec_lo, s4
	v_mov_b32_e32 v2, 0
	s_waitcnt lgkmcnt(0)
	s_barrier
	buffer_gl0_inv
	s_load_b512 s[36:51], s[0:1], 0x38
	ds_load_b32 v1, v2
	s_lshl_b64 s[4:5], s[14:15], 3
	s_mov_b32 s0, 0
	s_add_u32 s9, s12, s4
	s_addc_u32 s10, s13, s5
	s_add_u32 s11, s16, s4
	s_addc_u32 s12, s17, s5
	s_waitcnt lgkmcnt(0)
	s_barrier
	buffer_gl0_inv
	s_mul_i32 s1, s44, s43
	v_readfirstlane_b32 s30, v1
	v_mul_lo_u32 v1, 0xf00, v1
	s_mul_hi_u32 s6, s44, s42
	s_mul_i32 s7, s45, s42
	s_add_i32 s1, s6, s1
	s_mul_i32 s8, s44, s42
	s_add_i32 s1, s1, s7
	s_add_u32 s26, s8, s30
	s_addc_u32 s27, s1, 0
	v_lshlrev_b64 v[1:2], 3, v[1:2]
	s_add_u32 s4, s46, -1
	s_addc_u32 s5, s47, -1
	s_mul_i32 s28, s4, 0xfffff100
	s_cmp_eq_u64 s[26:27], s[4:5]
	s_delay_alu instid0(VALU_DEP_1)
	v_add_co_u32 v71, vcc_lo, s9, v1
	v_add_co_ci_u32_e32 v75, vcc_lo, s10, v2, vcc_lo
	v_add_co_u32 v61, vcc_lo, s11, v1
	v_add_co_ci_u32_e32 v62, vcc_lo, s12, v2, vcc_lo
	s_cselect_b32 s17, -1, 0
	s_cmp_lg_u64 s[26:27], s[4:5]
	s_cselect_b32 s31, -1, 0
	s_and_b32 vcc_lo, exec_lo, s17
	s_cbranch_vccnz .LBB85_6
; %bb.5:
	v_lshlrev_b32_e32 v64, 3, v0
	s_delay_alu instid0(VALU_DEP_1) | instskip(SKIP_2) | instid1(VALU_DEP_3)
	v_add_co_u32 v1, vcc_lo, v71, v64
	v_add_co_ci_u32_e32 v2, vcc_lo, 0, v75, vcc_lo
	v_mad_u32_u24 v63, 0x70, v0, v64
	v_add_co_u32 v3, vcc_lo, 0x1000, v1
	s_delay_alu instid0(VALU_DEP_3)
	v_add_co_ci_u32_e32 v4, vcc_lo, 0, v2, vcc_lo
	v_add_co_u32 v5, vcc_lo, 0x2000, v1
	v_add_co_ci_u32_e32 v6, vcc_lo, 0, v2, vcc_lo
	v_add_co_u32 v7, vcc_lo, 0x3000, v1
	;; [unrolled: 2-line block ×5, first 2 shown]
	v_add_co_ci_u32_e32 v24, vcc_lo, 0, v2, vcc_lo
	s_clause 0x7
	flat_load_b64 v[9:10], v[1:2]
	flat_load_b64 v[11:12], v[1:2] offset:2048
	flat_load_b64 v[13:14], v[3:4]
	flat_load_b64 v[3:4], v[3:4] offset:2048
	;; [unrolled: 2-line block ×4, first 2 shown]
	v_add_co_u32 v1, vcc_lo, 0x7000, v1
	v_add_co_ci_u32_e32 v2, vcc_lo, 0, v2, vcc_lo
	s_clause 0x6
	flat_load_b64 v[25:26], v[19:20]
	flat_load_b64 v[19:20], v[19:20] offset:2048
	flat_load_b64 v[27:28], v[21:22]
	flat_load_b64 v[21:22], v[21:22] offset:2048
	;; [unrolled: 2-line block ×3, first 2 shown]
	flat_load_b64 v[1:2], v[1:2]
	v_add_co_u32 v31, vcc_lo, v61, v64
	v_add_co_ci_u32_e32 v32, vcc_lo, 0, v62, vcc_lo
	s_waitcnt vmcnt(13) lgkmcnt(13)
	ds_store_2addr_stride64_b64 v64, v[9:10], v[11:12] offset1:4
	s_waitcnt vmcnt(11) lgkmcnt(12)
	ds_store_2addr_stride64_b64 v64, v[13:14], v[3:4] offset0:8 offset1:12
	s_waitcnt vmcnt(9) lgkmcnt(11)
	ds_store_2addr_stride64_b64 v64, v[15:16], v[5:6] offset0:16 offset1:20
	;; [unrolled: 2-line block ×6, first 2 shown]
	s_waitcnt vmcnt(0) lgkmcnt(7)
	ds_store_b64 v64, v[1:2] offset:28672
	v_add_co_u32 v33, vcc_lo, 0x1000, v31
	v_add_co_ci_u32_e32 v34, vcc_lo, 0, v32, vcc_lo
	v_add_co_u32 v35, vcc_lo, 0x2000, v31
	v_add_co_ci_u32_e32 v36, vcc_lo, 0, v32, vcc_lo
	v_add_co_u32 v37, vcc_lo, 0x3000, v31
	v_add_co_ci_u32_e32 v38, vcc_lo, 0, v32, vcc_lo
	v_add_co_u32 v39, vcc_lo, 0x4000, v31
	v_add_co_ci_u32_e32 v40, vcc_lo, 0, v32, vcc_lo
	v_add_co_u32 v41, vcc_lo, 0x5000, v31
	v_add_co_ci_u32_e32 v42, vcc_lo, 0, v32, vcc_lo
	v_add_co_u32 v43, vcc_lo, 0x6000, v31
	v_add_co_ci_u32_e32 v44, vcc_lo, 0, v32, vcc_lo
	v_add_co_u32 v45, vcc_lo, 0x7000, v31
	v_add_co_ci_u32_e32 v46, vcc_lo, 0, v32, vcc_lo
	s_waitcnt lgkmcnt(0)
	s_barrier
	buffer_gl0_inv
	ds_load_2addr_b64 v[25:28], v63 offset1:1
	ds_load_2addr_b64 v[21:24], v63 offset0:2 offset1:3
	ds_load_2addr_b64 v[17:20], v63 offset0:4 offset1:5
	;; [unrolled: 1-line block ×6, first 2 shown]
	ds_load_b64 v[57:58], v63 offset:112
	s_waitcnt lgkmcnt(0)
	s_barrier
	buffer_gl0_inv
	s_clause 0xe
	flat_load_b64 v[29:30], v[31:32]
	flat_load_b64 v[31:32], v[31:32] offset:2048
	flat_load_b64 v[47:48], v[33:34]
	flat_load_b64 v[33:34], v[33:34] offset:2048
	;; [unrolled: 2-line block ×7, first 2 shown]
	flat_load_b64 v[45:46], v[45:46]
	s_waitcnt vmcnt(13) lgkmcnt(13)
	ds_store_2addr_stride64_b64 v64, v[29:30], v[31:32] offset1:4
	s_waitcnt vmcnt(11) lgkmcnt(12)
	ds_store_2addr_stride64_b64 v64, v[47:48], v[33:34] offset0:8 offset1:12
	s_waitcnt vmcnt(9) lgkmcnt(11)
	ds_store_2addr_stride64_b64 v64, v[49:50], v[35:36] offset0:16 offset1:20
	;; [unrolled: 2-line block ×6, first 2 shown]
	s_waitcnt vmcnt(0) lgkmcnt(7)
	ds_store_b64 v64, v[45:46] offset:28672
	s_waitcnt lgkmcnt(0)
	s_barrier
	s_and_not1_b32 vcc_lo, exec_lo, s0
	s_add_i32 s28, s28, s48
	s_cbranch_vccz .LBB85_7
	s_branch .LBB85_54
.LBB85_6:
                                        ; implicit-def: $vgpr63
                                        ; implicit-def: $vgpr25_vgpr26
                                        ; implicit-def: $vgpr21_vgpr22
                                        ; implicit-def: $vgpr17_vgpr18
                                        ; implicit-def: $vgpr13_vgpr14
                                        ; implicit-def: $vgpr9_vgpr10
                                        ; implicit-def: $vgpr5_vgpr6
                                        ; implicit-def: $vgpr1_vgpr2
                                        ; implicit-def: $vgpr57_vgpr58
	s_add_i32 s28, s28, s48
.LBB85_7:
	s_delay_alu instid0(SALU_CYCLE_1)
	v_cmp_gt_u32_e32 vcc_lo, s28, v0
                                        ; implicit-def: $vgpr1_vgpr2
	s_and_saveexec_b32 s1, vcc_lo
	s_cbranch_execz .LBB85_9
; %bb.8:
	v_lshlrev_b32_e32 v1, 3, v0
	s_delay_alu instid0(VALU_DEP_1) | instskip(NEXT) | instid1(VALU_DEP_1)
	v_add_co_u32 v1, s0, v71, v1
	v_add_co_ci_u32_e64 v2, s0, 0, v75, s0
	flat_load_b64 v[1:2], v[1:2]
.LBB85_9:
	s_or_b32 exec_lo, exec_lo, s1
	v_or_b32_e32 v3, 0x100, v0
	s_delay_alu instid0(VALU_DEP_1) | instskip(NEXT) | instid1(VALU_DEP_1)
	v_cmp_gt_u32_e64 s0, s28, v3
                                        ; implicit-def: $vgpr3_vgpr4
	s_and_saveexec_b32 s4, s0
	s_cbranch_execz .LBB85_11
; %bb.10:
	v_lshlrev_b32_e32 v3, 3, v0
	s_delay_alu instid0(VALU_DEP_1) | instskip(NEXT) | instid1(VALU_DEP_1)
	v_add_co_u32 v3, s1, v71, v3
	v_add_co_ci_u32_e64 v4, s1, 0, v75, s1
	flat_load_b64 v[3:4], v[3:4] offset:2048
.LBB85_11:
	s_or_b32 exec_lo, exec_lo, s4
	v_or_b32_e32 v5, 0x200, v0
	s_delay_alu instid0(VALU_DEP_1) | instskip(SKIP_1) | instid1(VALU_DEP_2)
	v_cmp_gt_u32_e64 s1, s28, v5
	v_lshlrev_b32_e32 v35, 3, v5
                                        ; implicit-def: $vgpr5_vgpr6
	s_and_saveexec_b32 s5, s1
	s_cbranch_execz .LBB85_13
; %bb.12:
	s_delay_alu instid0(VALU_DEP_1) | instskip(NEXT) | instid1(VALU_DEP_1)
	v_add_co_u32 v5, s4, v71, v35
	v_add_co_ci_u32_e64 v6, s4, 0, v75, s4
	flat_load_b64 v[5:6], v[5:6]
.LBB85_13:
	s_or_b32 exec_lo, exec_lo, s5
	v_or_b32_e32 v7, 0x300, v0
	s_delay_alu instid0(VALU_DEP_1) | instskip(SKIP_1) | instid1(VALU_DEP_2)
	v_cmp_gt_u32_e64 s4, s28, v7
	v_lshlrev_b32_e32 v37, 3, v7
                                        ; implicit-def: $vgpr7_vgpr8
	s_and_saveexec_b32 s6, s4
	s_cbranch_execz .LBB85_15
; %bb.14:
	s_delay_alu instid0(VALU_DEP_1) | instskip(NEXT) | instid1(VALU_DEP_1)
	v_add_co_u32 v7, s5, v71, v37
	v_add_co_ci_u32_e64 v8, s5, 0, v75, s5
	flat_load_b64 v[7:8], v[7:8]
.LBB85_15:
	s_or_b32 exec_lo, exec_lo, s6
	v_or_b32_e32 v9, 0x400, v0
	s_delay_alu instid0(VALU_DEP_1) | instskip(SKIP_1) | instid1(VALU_DEP_2)
	v_cmp_gt_u32_e64 s5, s28, v9
	v_lshlrev_b32_e32 v39, 3, v9
                                        ; implicit-def: $vgpr9_vgpr10
	s_and_saveexec_b32 s7, s5
	s_cbranch_execz .LBB85_17
; %bb.16:
	s_delay_alu instid0(VALU_DEP_1) | instskip(NEXT) | instid1(VALU_DEP_1)
	v_add_co_u32 v9, s6, v71, v39
	v_add_co_ci_u32_e64 v10, s6, 0, v75, s6
	flat_load_b64 v[9:10], v[9:10]
.LBB85_17:
	s_or_b32 exec_lo, exec_lo, s7
	v_or_b32_e32 v11, 0x500, v0
	s_delay_alu instid0(VALU_DEP_1) | instskip(SKIP_1) | instid1(VALU_DEP_2)
	v_cmp_gt_u32_e64 s6, s28, v11
	v_lshlrev_b32_e32 v41, 3, v11
                                        ; implicit-def: $vgpr11_vgpr12
	s_and_saveexec_b32 s8, s6
	s_cbranch_execz .LBB85_19
; %bb.18:
	s_delay_alu instid0(VALU_DEP_1) | instskip(NEXT) | instid1(VALU_DEP_1)
	v_add_co_u32 v11, s7, v71, v41
	v_add_co_ci_u32_e64 v12, s7, 0, v75, s7
	flat_load_b64 v[11:12], v[11:12]
.LBB85_19:
	s_or_b32 exec_lo, exec_lo, s8
	v_or_b32_e32 v13, 0x600, v0
	s_delay_alu instid0(VALU_DEP_1) | instskip(SKIP_1) | instid1(VALU_DEP_2)
	v_cmp_gt_u32_e64 s7, s28, v13
	v_lshlrev_b32_e32 v43, 3, v13
                                        ; implicit-def: $vgpr13_vgpr14
	s_and_saveexec_b32 s9, s7
	s_cbranch_execz .LBB85_21
; %bb.20:
	s_delay_alu instid0(VALU_DEP_1) | instskip(NEXT) | instid1(VALU_DEP_1)
	v_add_co_u32 v13, s8, v71, v43
	v_add_co_ci_u32_e64 v14, s8, 0, v75, s8
	flat_load_b64 v[13:14], v[13:14]
.LBB85_21:
	s_or_b32 exec_lo, exec_lo, s9
	v_or_b32_e32 v15, 0x700, v0
	s_delay_alu instid0(VALU_DEP_1) | instskip(SKIP_1) | instid1(VALU_DEP_2)
	v_cmp_gt_u32_e64 s8, s28, v15
	v_lshlrev_b32_e32 v45, 3, v15
                                        ; implicit-def: $vgpr15_vgpr16
	s_and_saveexec_b32 s10, s8
	s_cbranch_execz .LBB85_23
; %bb.22:
	s_delay_alu instid0(VALU_DEP_1) | instskip(NEXT) | instid1(VALU_DEP_1)
	v_add_co_u32 v15, s9, v71, v45
	v_add_co_ci_u32_e64 v16, s9, 0, v75, s9
	flat_load_b64 v[15:16], v[15:16]
.LBB85_23:
	s_or_b32 exec_lo, exec_lo, s10
	v_or_b32_e32 v17, 0x800, v0
	s_delay_alu instid0(VALU_DEP_1) | instskip(SKIP_1) | instid1(VALU_DEP_2)
	v_cmp_gt_u32_e64 s9, s28, v17
	v_lshlrev_b32_e32 v47, 3, v17
                                        ; implicit-def: $vgpr17_vgpr18
	s_and_saveexec_b32 s11, s9
	s_cbranch_execz .LBB85_25
; %bb.24:
	s_delay_alu instid0(VALU_DEP_1) | instskip(NEXT) | instid1(VALU_DEP_1)
	v_add_co_u32 v17, s10, v71, v47
	v_add_co_ci_u32_e64 v18, s10, 0, v75, s10
	flat_load_b64 v[17:18], v[17:18]
.LBB85_25:
	s_or_b32 exec_lo, exec_lo, s11
	v_or_b32_e32 v19, 0x900, v0
	s_delay_alu instid0(VALU_DEP_1) | instskip(SKIP_1) | instid1(VALU_DEP_2)
	v_cmp_gt_u32_e64 s10, s28, v19
	v_lshlrev_b32_e32 v49, 3, v19
                                        ; implicit-def: $vgpr19_vgpr20
	s_and_saveexec_b32 s12, s10
	s_cbranch_execz .LBB85_27
; %bb.26:
	s_delay_alu instid0(VALU_DEP_1) | instskip(NEXT) | instid1(VALU_DEP_1)
	v_add_co_u32 v19, s11, v71, v49
	v_add_co_ci_u32_e64 v20, s11, 0, v75, s11
	flat_load_b64 v[19:20], v[19:20]
.LBB85_27:
	s_or_b32 exec_lo, exec_lo, s12
	v_or_b32_e32 v21, 0xa00, v0
	s_delay_alu instid0(VALU_DEP_1) | instskip(SKIP_1) | instid1(VALU_DEP_2)
	v_cmp_gt_u32_e64 s11, s28, v21
	v_lshlrev_b32_e32 v51, 3, v21
                                        ; implicit-def: $vgpr21_vgpr22
	s_and_saveexec_b32 s13, s11
	s_cbranch_execz .LBB85_29
; %bb.28:
	s_delay_alu instid0(VALU_DEP_1) | instskip(NEXT) | instid1(VALU_DEP_1)
	v_add_co_u32 v21, s12, v71, v51
	v_add_co_ci_u32_e64 v22, s12, 0, v75, s12
	flat_load_b64 v[21:22], v[21:22]
.LBB85_29:
	s_or_b32 exec_lo, exec_lo, s13
	v_or_b32_e32 v23, 0xb00, v0
	s_delay_alu instid0(VALU_DEP_1) | instskip(SKIP_1) | instid1(VALU_DEP_2)
	v_cmp_gt_u32_e64 s12, s28, v23
	v_lshlrev_b32_e32 v53, 3, v23
                                        ; implicit-def: $vgpr23_vgpr24
	s_and_saveexec_b32 s14, s12
	s_cbranch_execz .LBB85_31
; %bb.30:
	s_delay_alu instid0(VALU_DEP_1) | instskip(NEXT) | instid1(VALU_DEP_1)
	v_add_co_u32 v23, s13, v71, v53
	v_add_co_ci_u32_e64 v24, s13, 0, v75, s13
	flat_load_b64 v[23:24], v[23:24]
.LBB85_31:
	s_or_b32 exec_lo, exec_lo, s14
	v_or_b32_e32 v25, 0xc00, v0
	s_delay_alu instid0(VALU_DEP_1) | instskip(SKIP_1) | instid1(VALU_DEP_2)
	v_cmp_gt_u32_e64 s13, s28, v25
	v_lshlrev_b32_e32 v55, 3, v25
                                        ; implicit-def: $vgpr25_vgpr26
	s_and_saveexec_b32 s15, s13
	s_cbranch_execz .LBB85_33
; %bb.32:
	s_delay_alu instid0(VALU_DEP_1) | instskip(NEXT) | instid1(VALU_DEP_1)
	v_add_co_u32 v25, s14, v71, v55
	v_add_co_ci_u32_e64 v26, s14, 0, v75, s14
	flat_load_b64 v[25:26], v[25:26]
.LBB85_33:
	s_or_b32 exec_lo, exec_lo, s15
	v_or_b32_e32 v27, 0xd00, v0
	s_delay_alu instid0(VALU_DEP_1) | instskip(SKIP_1) | instid1(VALU_DEP_2)
	v_cmp_gt_u32_e64 s14, s28, v27
	v_lshlrev_b32_e32 v59, 3, v27
                                        ; implicit-def: $vgpr27_vgpr28
	s_and_saveexec_b32 s16, s14
	s_cbranch_execz .LBB85_35
; %bb.34:
	s_delay_alu instid0(VALU_DEP_1) | instskip(NEXT) | instid1(VALU_DEP_1)
	v_add_co_u32 v27, s15, v71, v59
	v_add_co_ci_u32_e64 v28, s15, 0, v75, s15
	flat_load_b64 v[27:28], v[27:28]
.LBB85_35:
	s_or_b32 exec_lo, exec_lo, s16
	v_or_b32_e32 v29, 0xe00, v0
	s_delay_alu instid0(VALU_DEP_1) | instskip(SKIP_1) | instid1(VALU_DEP_2)
	v_cmp_gt_u32_e64 s15, s28, v29
	v_lshlrev_b32_e32 v65, 3, v29
                                        ; implicit-def: $vgpr29_vgpr30
	s_and_saveexec_b32 s29, s15
	s_cbranch_execz .LBB85_37
; %bb.36:
	s_delay_alu instid0(VALU_DEP_1) | instskip(NEXT) | instid1(VALU_DEP_1)
	v_add_co_u32 v29, s16, v71, v65
	v_add_co_ci_u32_e64 v30, s16, 0, v75, s16
	flat_load_b64 v[29:30], v[29:30]
.LBB85_37:
	s_or_b32 exec_lo, exec_lo, s29
	v_lshlrev_b32_e32 v64, 3, v0
	s_waitcnt vmcnt(0) lgkmcnt(0)
	ds_store_2addr_stride64_b64 v64, v[1:2], v[3:4] offset1:4
	ds_store_2addr_stride64_b64 v64, v[5:6], v[7:8] offset0:8 offset1:12
	ds_store_2addr_stride64_b64 v64, v[9:10], v[11:12] offset0:16 offset1:20
	;; [unrolled: 1-line block ×6, first 2 shown]
	v_mad_u32_u24 v63, 0x70, v0, v64
	ds_store_b64 v64, v[29:30] offset:28672
	s_waitcnt lgkmcnt(0)
	s_barrier
	buffer_gl0_inv
	ds_load_2addr_b64 v[25:28], v63 offset1:1
	ds_load_2addr_b64 v[21:24], v63 offset0:2 offset1:3
	ds_load_2addr_b64 v[17:20], v63 offset0:4 offset1:5
	ds_load_2addr_b64 v[13:16], v63 offset0:6 offset1:7
	ds_load_2addr_b64 v[9:12], v63 offset0:8 offset1:9
	ds_load_2addr_b64 v[5:8], v63 offset0:10 offset1:11
	ds_load_2addr_b64 v[1:4], v63 offset0:12 offset1:13
	ds_load_b64 v[57:58], v63 offset:112
	s_waitcnt lgkmcnt(0)
	s_barrier
	buffer_gl0_inv
                                        ; implicit-def: $vgpr29_vgpr30
	s_and_saveexec_b32 s16, vcc_lo
	s_cbranch_execnz .LBB85_61
; %bb.38:
	s_or_b32 exec_lo, exec_lo, s16
                                        ; implicit-def: $vgpr31_vgpr32
	s_and_saveexec_b32 s16, s0
	s_cbranch_execnz .LBB85_62
.LBB85_39:
	s_or_b32 exec_lo, exec_lo, s16
                                        ; implicit-def: $vgpr33_vgpr34
	s_and_saveexec_b32 s0, s1
	s_cbranch_execnz .LBB85_63
.LBB85_40:
	s_or_b32 exec_lo, exec_lo, s0
                                        ; implicit-def: $vgpr35_vgpr36
	s_and_saveexec_b32 s0, s4
	s_cbranch_execnz .LBB85_64
.LBB85_41:
	s_or_b32 exec_lo, exec_lo, s0
                                        ; implicit-def: $vgpr37_vgpr38
	s_and_saveexec_b32 s0, s5
	s_cbranch_execnz .LBB85_65
.LBB85_42:
	s_or_b32 exec_lo, exec_lo, s0
                                        ; implicit-def: $vgpr39_vgpr40
	s_and_saveexec_b32 s0, s6
	s_cbranch_execnz .LBB85_66
.LBB85_43:
	s_or_b32 exec_lo, exec_lo, s0
                                        ; implicit-def: $vgpr41_vgpr42
	s_and_saveexec_b32 s0, s7
	s_cbranch_execnz .LBB85_67
.LBB85_44:
	s_or_b32 exec_lo, exec_lo, s0
                                        ; implicit-def: $vgpr43_vgpr44
	s_and_saveexec_b32 s0, s8
	s_cbranch_execnz .LBB85_68
.LBB85_45:
	s_or_b32 exec_lo, exec_lo, s0
                                        ; implicit-def: $vgpr45_vgpr46
	s_and_saveexec_b32 s0, s9
	s_cbranch_execnz .LBB85_69
.LBB85_46:
	s_or_b32 exec_lo, exec_lo, s0
                                        ; implicit-def: $vgpr47_vgpr48
	s_and_saveexec_b32 s0, s10
	s_cbranch_execnz .LBB85_70
.LBB85_47:
	s_or_b32 exec_lo, exec_lo, s0
                                        ; implicit-def: $vgpr49_vgpr50
	s_and_saveexec_b32 s0, s11
	s_cbranch_execnz .LBB85_71
.LBB85_48:
	s_or_b32 exec_lo, exec_lo, s0
                                        ; implicit-def: $vgpr51_vgpr52
	s_and_saveexec_b32 s0, s12
	s_cbranch_execnz .LBB85_72
.LBB85_49:
	s_or_b32 exec_lo, exec_lo, s0
                                        ; implicit-def: $vgpr53_vgpr54
	s_and_saveexec_b32 s0, s13
	s_cbranch_execnz .LBB85_73
.LBB85_50:
	s_or_b32 exec_lo, exec_lo, s0
                                        ; implicit-def: $vgpr55_vgpr56
	s_and_saveexec_b32 s0, s14
	s_cbranch_execnz .LBB85_74
.LBB85_51:
	s_or_b32 exec_lo, exec_lo, s0
                                        ; implicit-def: $vgpr59_vgpr60
	s_and_saveexec_b32 s0, s15
	s_cbranch_execz .LBB85_53
.LBB85_52:
	v_add_co_u32 v59, vcc_lo, v61, v65
	v_add_co_ci_u32_e32 v60, vcc_lo, 0, v62, vcc_lo
	flat_load_b64 v[59:60], v[59:60]
.LBB85_53:
	s_or_b32 exec_lo, exec_lo, s0
	s_waitcnt vmcnt(0) lgkmcnt(0)
	ds_store_2addr_stride64_b64 v64, v[29:30], v[31:32] offset1:4
	ds_store_2addr_stride64_b64 v64, v[33:34], v[35:36] offset0:8 offset1:12
	ds_store_2addr_stride64_b64 v64, v[37:38], v[39:40] offset0:16 offset1:20
	ds_store_2addr_stride64_b64 v64, v[41:42], v[43:44] offset0:24 offset1:28
	ds_store_2addr_stride64_b64 v64, v[45:46], v[47:48] offset0:32 offset1:36
	ds_store_2addr_stride64_b64 v64, v[49:50], v[51:52] offset0:40 offset1:44
	ds_store_2addr_stride64_b64 v64, v[53:54], v[55:56] offset0:48 offset1:52
	ds_store_b64 v64, v[59:60] offset:28672
	s_waitcnt lgkmcnt(0)
	s_barrier
.LBB85_54:
	buffer_gl0_inv
	ds_load_2addr_b64 v[53:56], v63 offset1:1
	ds_load_2addr_b64 v[49:52], v63 offset0:2 offset1:3
	ds_load_2addr_b64 v[45:48], v63 offset0:4 offset1:5
	ds_load_2addr_b64 v[41:44], v63 offset0:6 offset1:7
	ds_load_2addr_b64 v[37:40], v63 offset0:8 offset1:9
	ds_load_2addr_b64 v[33:36], v63 offset0:10 offset1:11
	ds_load_2addr_b64 v[29:32], v63 offset0:12 offset1:13
	ds_load_b64 v[73:74], v63 offset:112
	s_cmp_eq_u64 s[26:27], 0
	s_waitcnt lgkmcnt(0)
	s_cselect_b32 s29, -1, 0
	s_cmp_lg_u64 s[26:27], 0
	s_barrier
	s_cselect_b32 s16, -1, 0
	s_and_b32 vcc_lo, exec_lo, s31
	buffer_gl0_inv
	s_cbranch_vccz .LBB85_60
; %bb.55:
	s_and_b32 vcc_lo, exec_lo, s16
	s_cbranch_vccz .LBB85_75
; %bb.56:
	v_add_co_u32 v59, vcc_lo, -8, v71
	v_add_co_ci_u32_e32 v60, vcc_lo, -1, v75, vcc_lo
	v_cvt_i32_f64_e32 v61, v[3:4]
	v_cvt_i32_f64_e32 v62, v[57:58]
	;; [unrolled: 1-line block ×3, first 2 shown]
	flat_load_b64 v[59:60], v[59:60]
	v_cvt_i32_f64_e32 v64, v[7:8]
	v_cvt_i32_f64_e32 v65, v[5:6]
	;; [unrolled: 1-line block ×9, first 2 shown]
	s_mov_b32 s15, -1
	v_mul_hi_i32 v68, 0x66666667, v61
	v_mul_hi_i32 v62, 0x66666667, v62
	;; [unrolled: 1-line block ×3, first 2 shown]
	v_lshlrev_b32_e32 v61, 3, v0
	v_mul_hi_i32 v64, 0x66666667, v64
	v_mul_hi_i32 v65, 0x66666667, v65
	;; [unrolled: 1-line block ×4, first 2 shown]
	v_lshrrev_b32_e32 v76, 31, v68
	v_ashrrev_i32_e32 v68, 2, v68
	v_lshrrev_b32_e32 v77, 31, v62
	v_ashrrev_i32_e32 v62, 2, v62
	;; [unrolled: 2-line block ×3, first 2 shown]
	v_add_nc_u32_e32 v68, v68, v76
	v_cvt_i32_f64_e32 v76, v[17:18]
	v_add_nc_u32_e32 v62, v62, v77
	v_cvt_i32_f64_e32 v77, v[23:24]
	;; [unrolled: 2-line block ×3, first 2 shown]
	v_lshrrev_b32_e32 v79, 31, v64
	v_ashrrev_i32_e32 v64, 2, v64
	v_lshrrev_b32_e32 v82, 31, v65
	v_ashrrev_i32_e32 v65, 2, v65
	;; [unrolled: 2-line block ×3, first 2 shown]
	v_cmp_ne_u32_e32 vcc_lo, v68, v62
	v_cmp_ne_u32_e64 s0, v63, v68
	v_add_nc_u32_e32 v62, v64, v79
	v_mul_hi_i32 v68, 0x66666667, v69
	v_mul_hi_i32 v69, 0x66666667, v70
	v_add_nc_u32_e32 v64, v65, v82
	v_add_nc_u32_e32 v65, v66, v83
	v_lshrrev_b32_e32 v66, 31, v67
	v_ashrrev_i32_e32 v67, 2, v67
	v_cmp_ne_u32_e64 s1, v62, v63
	v_mul_hi_i32 v63, 0x66666667, v72
	v_cmp_ne_u32_e64 s4, v64, v62
	v_cmp_ne_u32_e64 s5, v65, v64
	v_add_nc_u32_e32 v62, v67, v66
	v_lshrrev_b32_e32 v64, 31, v68
	v_ashrrev_i32_e32 v66, 2, v68
	v_lshrrev_b32_e32 v67, 31, v69
	v_ashrrev_i32_e32 v68, 2, v69
	;; [unrolled: 2-line block ×3, first 2 shown]
	v_add_nc_u32_e32 v64, v66, v64
	v_cmp_ne_u32_e64 s6, v62, v65
	v_add_nc_u32_e32 v65, v68, v67
	v_mul_hi_i32 v68, 0x66666667, v81
	v_add_nc_u32_e32 v67, v63, v69
	v_cmp_ne_u32_e64 s7, v64, v62
	ds_store_b64 v61, v[57:58]
	v_mul_hi_i32 v66, 0x66666667, v76
	v_cmp_ne_u32_e64 s8, v65, v64
	v_mul_hi_i32 v62, 0x66666667, v77
	v_mul_hi_i32 v64, 0x66666667, v80
	;; [unrolled: 1-line block ×3, first 2 shown]
	v_cmp_ne_u32_e64 s9, v67, v65
	v_lshrrev_b32_e32 v76, 31, v68
	v_ashrrev_i32_e32 v68, 2, v68
	v_lshrrev_b32_e32 v65, 31, v66
	v_ashrrev_i32_e32 v66, 2, v66
	;; [unrolled: 2-line block ×5, first 2 shown]
	v_add_nc_u32_e32 v65, v66, v65
	v_add_nc_u32_e32 v62, v62, v69
	;; [unrolled: 1-line block ×5, first 2 shown]
	v_cmp_ne_u32_e64 s14, v65, v67
	v_cmp_ne_u32_e64 s10, v62, v65
	;; [unrolled: 1-line block ×3, first 2 shown]
	s_waitcnt vmcnt(0) lgkmcnt(0)
	v_cmp_ne_u32_e64 s12, v64, v66
	v_cmp_ne_u32_e64 s13, v63, v64
	s_barrier
	buffer_gl0_inv
	s_and_saveexec_b32 s31, s3
	s_cbranch_execz .LBB85_58
; %bb.57:
	v_add_nc_u32_e32 v59, -8, v61
	ds_load_b64 v[59:60], v59
.LBB85_58:
	s_or_b32 exec_lo, exec_lo, s31
	s_waitcnt lgkmcnt(0)
	v_cvt_i32_f64_e32 v59, v[59:60]
	v_cndmask_b32_e64 v111, 0, 1, vcc_lo
	v_cndmask_b32_e64 v76, 0, 1, s0
	v_cndmask_b32_e64 v112, 0, 1, s1
	;; [unrolled: 1-line block ×13, first 2 shown]
	v_mul_hi_i32 v59, 0x66666667, v59
	s_delay_alu instid0(VALU_DEP_1) | instskip(SKIP_1) | instid1(VALU_DEP_1)
	v_lshrrev_b32_e32 v64, 31, v59
	v_ashrrev_i32_e32 v59, 2, v59
	v_add_nc_u32_e32 v59, v59, v64
	s_delay_alu instid0(VALU_DEP_1)
	v_cmp_ne_u32_e64 s4, v59, v63
.LBB85_59:
                                        ; implicit-def: $sgpr0
	s_branch .LBB85_79
.LBB85_60:
	s_mov_b32 s15, 0
                                        ; implicit-def: $sgpr4
                                        ; implicit-def: $vgpr111
                                        ; implicit-def: $vgpr76
                                        ; implicit-def: $vgpr112
                                        ; implicit-def: $vgpr60
                                        ; implicit-def: $vgpr113
                                        ; implicit-def: $vgpr62
                                        ; implicit-def: $vgpr61
                                        ; implicit-def: $vgpr66
                                        ; implicit-def: $vgpr65
                                        ; implicit-def: $vgpr68
                                        ; implicit-def: $vgpr67
                                        ; implicit-def: $vgpr70
                                        ; implicit-def: $vgpr69
                                        ; implicit-def: $vgpr72
                                        ; implicit-def: $vgpr64
                                        ; implicit-def: $sgpr0
	s_cbranch_execnz .LBB85_80
	s_branch .LBB85_115
.LBB85_61:
	v_add_co_u32 v29, vcc_lo, v61, v64
	v_add_co_ci_u32_e32 v30, vcc_lo, 0, v62, vcc_lo
	flat_load_b64 v[29:30], v[29:30]
	s_or_b32 exec_lo, exec_lo, s16
                                        ; implicit-def: $vgpr31_vgpr32
	s_and_saveexec_b32 s16, s0
	s_cbranch_execz .LBB85_39
.LBB85_62:
	v_add_co_u32 v31, vcc_lo, v61, v64
	v_add_co_ci_u32_e32 v32, vcc_lo, 0, v62, vcc_lo
	flat_load_b64 v[31:32], v[31:32] offset:2048
	s_or_b32 exec_lo, exec_lo, s16
                                        ; implicit-def: $vgpr33_vgpr34
	s_and_saveexec_b32 s0, s1
	s_cbranch_execz .LBB85_40
.LBB85_63:
	v_add_co_u32 v33, vcc_lo, v61, v35
	v_add_co_ci_u32_e32 v34, vcc_lo, 0, v62, vcc_lo
	flat_load_b64 v[33:34], v[33:34]
	s_or_b32 exec_lo, exec_lo, s0
                                        ; implicit-def: $vgpr35_vgpr36
	s_and_saveexec_b32 s0, s4
	s_cbranch_execz .LBB85_41
.LBB85_64:
	v_add_co_u32 v35, vcc_lo, v61, v37
	v_add_co_ci_u32_e32 v36, vcc_lo, 0, v62, vcc_lo
	flat_load_b64 v[35:36], v[35:36]
	s_or_b32 exec_lo, exec_lo, s0
                                        ; implicit-def: $vgpr37_vgpr38
	s_and_saveexec_b32 s0, s5
	s_cbranch_execz .LBB85_42
.LBB85_65:
	v_add_co_u32 v37, vcc_lo, v61, v39
	v_add_co_ci_u32_e32 v38, vcc_lo, 0, v62, vcc_lo
	flat_load_b64 v[37:38], v[37:38]
	s_or_b32 exec_lo, exec_lo, s0
                                        ; implicit-def: $vgpr39_vgpr40
	s_and_saveexec_b32 s0, s6
	s_cbranch_execz .LBB85_43
.LBB85_66:
	v_add_co_u32 v39, vcc_lo, v61, v41
	v_add_co_ci_u32_e32 v40, vcc_lo, 0, v62, vcc_lo
	flat_load_b64 v[39:40], v[39:40]
	s_or_b32 exec_lo, exec_lo, s0
                                        ; implicit-def: $vgpr41_vgpr42
	s_and_saveexec_b32 s0, s7
	s_cbranch_execz .LBB85_44
.LBB85_67:
	v_add_co_u32 v41, vcc_lo, v61, v43
	v_add_co_ci_u32_e32 v42, vcc_lo, 0, v62, vcc_lo
	flat_load_b64 v[41:42], v[41:42]
	s_or_b32 exec_lo, exec_lo, s0
                                        ; implicit-def: $vgpr43_vgpr44
	s_and_saveexec_b32 s0, s8
	s_cbranch_execz .LBB85_45
.LBB85_68:
	v_add_co_u32 v43, vcc_lo, v61, v45
	v_add_co_ci_u32_e32 v44, vcc_lo, 0, v62, vcc_lo
	flat_load_b64 v[43:44], v[43:44]
	s_or_b32 exec_lo, exec_lo, s0
                                        ; implicit-def: $vgpr45_vgpr46
	s_and_saveexec_b32 s0, s9
	s_cbranch_execz .LBB85_46
.LBB85_69:
	v_add_co_u32 v45, vcc_lo, v61, v47
	v_add_co_ci_u32_e32 v46, vcc_lo, 0, v62, vcc_lo
	flat_load_b64 v[45:46], v[45:46]
	s_or_b32 exec_lo, exec_lo, s0
                                        ; implicit-def: $vgpr47_vgpr48
	s_and_saveexec_b32 s0, s10
	s_cbranch_execz .LBB85_47
.LBB85_70:
	v_add_co_u32 v47, vcc_lo, v61, v49
	v_add_co_ci_u32_e32 v48, vcc_lo, 0, v62, vcc_lo
	flat_load_b64 v[47:48], v[47:48]
	s_or_b32 exec_lo, exec_lo, s0
                                        ; implicit-def: $vgpr49_vgpr50
	s_and_saveexec_b32 s0, s11
	s_cbranch_execz .LBB85_48
.LBB85_71:
	v_add_co_u32 v49, vcc_lo, v61, v51
	v_add_co_ci_u32_e32 v50, vcc_lo, 0, v62, vcc_lo
	flat_load_b64 v[49:50], v[49:50]
	s_or_b32 exec_lo, exec_lo, s0
                                        ; implicit-def: $vgpr51_vgpr52
	s_and_saveexec_b32 s0, s12
	s_cbranch_execz .LBB85_49
.LBB85_72:
	v_add_co_u32 v51, vcc_lo, v61, v53
	v_add_co_ci_u32_e32 v52, vcc_lo, 0, v62, vcc_lo
	flat_load_b64 v[51:52], v[51:52]
	s_or_b32 exec_lo, exec_lo, s0
                                        ; implicit-def: $vgpr53_vgpr54
	s_and_saveexec_b32 s0, s13
	s_cbranch_execz .LBB85_50
.LBB85_73:
	v_add_co_u32 v53, vcc_lo, v61, v55
	v_add_co_ci_u32_e32 v54, vcc_lo, 0, v62, vcc_lo
	flat_load_b64 v[53:54], v[53:54]
	s_or_b32 exec_lo, exec_lo, s0
                                        ; implicit-def: $vgpr55_vgpr56
	s_and_saveexec_b32 s0, s14
	s_cbranch_execz .LBB85_51
.LBB85_74:
	v_add_co_u32 v55, vcc_lo, v61, v59
	v_add_co_ci_u32_e32 v56, vcc_lo, 0, v62, vcc_lo
	flat_load_b64 v[55:56], v[55:56]
	s_or_b32 exec_lo, exec_lo, s0
                                        ; implicit-def: $vgpr59_vgpr60
	s_and_saveexec_b32 s0, s15
	s_cbranch_execnz .LBB85_52
	s_branch .LBB85_53
.LBB85_75:
	s_mov_b32 s15, 0
                                        ; implicit-def: $sgpr4
                                        ; implicit-def: $vgpr111
                                        ; implicit-def: $vgpr76
                                        ; implicit-def: $vgpr112
                                        ; implicit-def: $vgpr60
                                        ; implicit-def: $vgpr113
                                        ; implicit-def: $vgpr62
                                        ; implicit-def: $vgpr61
                                        ; implicit-def: $vgpr66
                                        ; implicit-def: $vgpr65
                                        ; implicit-def: $vgpr68
                                        ; implicit-def: $vgpr67
                                        ; implicit-def: $vgpr70
                                        ; implicit-def: $vgpr69
                                        ; implicit-def: $vgpr72
	s_cbranch_execz .LBB85_59
; %bb.76:
	v_cvt_i32_f64_e32 v60, v[3:4]
	v_cvt_i32_f64_e32 v61, v[57:58]
	;; [unrolled: 1-line block ×15, first 2 shown]
	v_lshlrev_b32_e32 v59, 3, v0
                                        ; implicit-def: $sgpr4
	ds_store_b64 v59, v[57:58]
	s_waitcnt lgkmcnt(0)
	s_barrier
	buffer_gl0_inv
	v_mul_hi_i32 v60, 0x66666667, v60
	v_mul_hi_i32 v61, 0x66666667, v61
	;; [unrolled: 1-line block ×8, first 2 shown]
	v_lshrrev_b32_e32 v76, 31, v60
	v_ashrrev_i32_e32 v60, 2, v60
	v_lshrrev_b32_e32 v80, 31, v61
	v_ashrrev_i32_e32 v61, 2, v61
	v_lshrrev_b32_e32 v81, 31, v62
	v_ashrrev_i32_e32 v62, 2, v62
	v_add_nc_u32_e32 v60, v60, v76
	v_lshrrev_b32_e32 v82, 31, v63
	v_add_nc_u32_e32 v61, v61, v80
	v_ashrrev_i32_e32 v63, 2, v63
	v_add_nc_u32_e32 v62, v62, v81
	v_lshrrev_b32_e32 v83, 31, v64
	v_ashrrev_i32_e32 v64, 2, v64
	v_cmp_ne_u32_e32 vcc_lo, v60, v61
	v_add_nc_u32_e32 v63, v63, v82
	v_lshrrev_b32_e32 v84, 31, v65
	v_ashrrev_i32_e32 v65, 2, v65
	v_add_nc_u32_e32 v64, v64, v83
	v_cndmask_b32_e64 v111, 0, 1, vcc_lo
	v_cmp_ne_u32_e32 vcc_lo, v62, v60
	v_lshrrev_b32_e32 v85, 31, v66
	v_ashrrev_i32_e32 v66, 2, v66
	v_add_nc_u32_e32 v65, v65, v84
	v_mul_hi_i32 v68, 0x66666667, v68
	v_cndmask_b32_e64 v76, 0, 1, vcc_lo
	v_cmp_ne_u32_e32 vcc_lo, v63, v62
	v_lshrrev_b32_e32 v86, 31, v67
	v_ashrrev_i32_e32 v67, 2, v67
	v_add_nc_u32_e32 v66, v66, v85
	v_cndmask_b32_e64 v112, 0, 1, vcc_lo
	v_cmp_ne_u32_e32 vcc_lo, v64, v63
	v_mul_hi_i32 v63, 0x66666667, v69
	v_lshrrev_b32_e32 v87, 31, v68
	v_ashrrev_i32_e32 v61, 2, v68
	v_mul_hi_i32 v68, 0x66666667, v70
	v_cndmask_b32_e64 v60, 0, 1, vcc_lo
	v_cmp_ne_u32_e32 vcc_lo, v65, v64
	v_add_nc_u32_e32 v64, v67, v86
	v_mul_hi_i32 v70, 0x66666667, v78
	v_lshrrev_b32_e32 v67, 31, v63
	v_ashrrev_i32_e32 v63, 2, v63
	v_cndmask_b32_e64 v113, 0, 1, vcc_lo
	v_cmp_ne_u32_e32 vcc_lo, v66, v65
	v_add_nc_u32_e32 v65, v61, v87
	v_lshrrev_b32_e32 v69, 31, v68
	v_ashrrev_i32_e32 v68, 2, v68
	v_add_nc_u32_e32 v63, v63, v67
	v_cndmask_b32_e64 v62, 0, 1, vcc_lo
	v_cmp_ne_u32_e32 vcc_lo, v64, v66
	v_mul_hi_i32 v67, 0x66666667, v72
	v_lshrrev_b32_e32 v78, 31, v70
	v_ashrrev_i32_e32 v70, 2, v70
	v_cndmask_b32_e64 v61, 0, 1, vcc_lo
	v_cmp_ne_u32_e32 vcc_lo, v65, v64
	v_add_nc_u32_e32 v64, v68, v69
	v_mul_hi_i32 v69, 0x66666667, v77
	v_lshrrev_b32_e32 v72, 31, v67
	v_ashrrev_i32_e32 v67, 2, v67
	v_cndmask_b32_e64 v66, 0, 1, vcc_lo
	v_cmp_ne_u32_e32 vcc_lo, v63, v65
	s_delay_alu instid0(VALU_DEP_3)
	v_add_nc_u32_e32 v72, v67, v72
	v_lshrrev_b32_e32 v77, 31, v69
	v_cndmask_b32_e64 v65, 0, 1, vcc_lo
	v_cmp_ne_u32_e32 vcc_lo, v64, v63
	v_ashrrev_i32_e32 v69, 2, v69
	v_mul_hi_i32 v63, 0x66666667, v79
	v_cndmask_b32_e64 v68, 0, 1, vcc_lo
	s_delay_alu instid0(VALU_DEP_3)
	v_add_nc_u32_e32 v69, v69, v77
	v_cmp_ne_u32_e32 vcc_lo, v72, v64
	v_add_nc_u32_e32 v77, v70, v78
	v_lshrrev_b32_e32 v79, 31, v63
	v_ashrrev_i32_e32 v63, 2, v63
	v_cndmask_b32_e64 v67, 0, 1, vcc_lo
	v_cmp_ne_u32_e32 vcc_lo, v69, v72
	s_delay_alu instid0(VALU_DEP_3) | instskip(SKIP_3) | instid1(VALU_DEP_4)
	v_add_nc_u32_e32 v63, v63, v79
	v_cndmask_b32_e64 v70, 0, 1, vcc_lo
	v_cmp_ne_u32_e32 vcc_lo, v77, v69
	v_cndmask_b32_e64 v69, 0, 1, vcc_lo
	v_cmp_ne_u32_e32 vcc_lo, v63, v77
	v_cndmask_b32_e64 v72, 0, 1, vcc_lo
	s_and_saveexec_b32 s0, s3
	s_delay_alu instid0(SALU_CYCLE_1)
	s_xor_b32 s0, exec_lo, s0
	s_cbranch_execz .LBB85_78
; %bb.77:
	v_add_nc_u32_e32 v59, -8, v59
	s_or_b32 s15, s15, exec_lo
	ds_load_b64 v[77:78], v59
	s_waitcnt lgkmcnt(0)
	v_cvt_i32_f64_e32 v59, v[77:78]
	s_delay_alu instid0(VALU_DEP_1) | instskip(NEXT) | instid1(VALU_DEP_1)
	v_mul_hi_i32 v59, 0x66666667, v59
	v_lshrrev_b32_e32 v64, 31, v59
	v_ashrrev_i32_e32 v59, 2, v59
	s_delay_alu instid0(VALU_DEP_1) | instskip(NEXT) | instid1(VALU_DEP_1)
	v_add_nc_u32_e32 v59, v59, v64
	v_cmp_ne_u32_e32 vcc_lo, v59, v63
	s_and_b32 s4, vcc_lo, exec_lo
.LBB85_78:
	s_or_b32 exec_lo, exec_lo, s0
	s_mov_b32 s0, 1
.LBB85_79:
	v_mov_b32_e32 v64, v76
	s_branch .LBB85_115
.LBB85_80:
	s_mul_hi_u32 s0, s26, 0xfffff100
	s_mul_i32 s1, s27, 0xfffff100
	s_sub_i32 s0, s0, s26
	s_mul_i32 s4, s26, 0xfffff100
	v_mul_u32_u24_e32 v77, 15, v0
	v_mad_u32_u24 v63, v0, 15, 14
	s_add_i32 s1, s0, s1
	s_add_u32 s0, s4, s48
	s_addc_u32 s1, s1, s49
	s_and_b32 vcc_lo, exec_lo, s16
	s_cbranch_vccz .LBB85_248
; %bb.81:
	v_add_co_u32 v59, vcc_lo, -8, v71
	v_add_co_ci_u32_e32 v60, vcc_lo, -1, v75, vcc_lo
	v_dual_mov_b32 v76, 0 :: v_dual_mov_b32 v111, 0
	v_lshlrev_b32_e32 v78, 3, v0
	flat_load_b64 v[79:80], v[59:60]
	s_mov_b32 s4, exec_lo
	v_mov_b32_e32 v64, v76
	ds_store_b64 v78, v[57:58]
	v_cmpx_gt_u64_e64 s[0:1], v[63:64]
	s_cbranch_execz .LBB85_83
; %bb.82:
	v_cvt_i32_f64_e32 v59, v[3:4]
	v_cvt_i32_f64_e32 v60, v[57:58]
	s_delay_alu instid0(VALU_DEP_2) | instskip(NEXT) | instid1(VALU_DEP_2)
	v_mul_hi_i32 v59, 0x66666667, v59
	v_mul_hi_i32 v60, 0x66666667, v60
	s_delay_alu instid0(VALU_DEP_2) | instskip(SKIP_1) | instid1(VALU_DEP_3)
	v_lshrrev_b32_e32 v61, 31, v59
	v_ashrrev_i32_e32 v59, 2, v59
	v_lshrrev_b32_e32 v62, 31, v60
	v_ashrrev_i32_e32 v60, 2, v60
	s_delay_alu instid0(VALU_DEP_3) | instskip(NEXT) | instid1(VALU_DEP_2)
	v_add_nc_u32_e32 v59, v59, v61
	v_add_nc_u32_e32 v60, v60, v62
	s_delay_alu instid0(VALU_DEP_1)
	v_cmp_ne_u32_e32 vcc_lo, v59, v60
	v_cndmask_b32_e64 v111, 0, 1, vcc_lo
.LBB85_83:
	s_or_b32 exec_lo, exec_lo, s4
	v_add_nc_u32_e32 v75, 13, v77
	s_mov_b32 s4, exec_lo
	s_delay_alu instid0(VALU_DEP_1)
	v_cmpx_gt_u64_e64 s[0:1], v[75:76]
	s_cbranch_execz .LBB85_85
; %bb.84:
	v_cvt_i32_f64_e32 v59, v[1:2]
	v_cvt_i32_f64_e32 v60, v[3:4]
	s_delay_alu instid0(VALU_DEP_2) | instskip(NEXT) | instid1(VALU_DEP_2)
	v_mul_hi_i32 v59, 0x66666667, v59
	v_mul_hi_i32 v60, 0x66666667, v60
	s_delay_alu instid0(VALU_DEP_2) | instskip(SKIP_1) | instid1(VALU_DEP_3)
	v_lshrrev_b32_e32 v61, 31, v59
	v_ashrrev_i32_e32 v59, 2, v59
	v_lshrrev_b32_e32 v62, 31, v60
	v_ashrrev_i32_e32 v60, 2, v60
	s_delay_alu instid0(VALU_DEP_3) | instskip(NEXT) | instid1(VALU_DEP_2)
	v_add_nc_u32_e32 v59, v59, v61
	v_add_nc_u32_e32 v60, v60, v62
	s_delay_alu instid0(VALU_DEP_1)
	v_cmp_ne_u32_e32 vcc_lo, v59, v60
	v_cndmask_b32_e64 v76, 0, 1, vcc_lo
.LBB85_85:
	s_or_b32 exec_lo, exec_lo, s4
	v_dual_mov_b32 v60, 0 :: v_dual_add_nc_u32 v59, 12, v77
	v_mov_b32_e32 v112, 0
	s_mov_b32 s4, exec_lo
	s_delay_alu instid0(VALU_DEP_2)
	v_cmpx_gt_u64_e64 s[0:1], v[59:60]
	s_cbranch_execz .LBB85_87
; %bb.86:
	v_cvt_i32_f64_e32 v59, v[7:8]
	v_cvt_i32_f64_e32 v61, v[1:2]
	s_delay_alu instid0(VALU_DEP_2) | instskip(NEXT) | instid1(VALU_DEP_2)
	v_mul_hi_i32 v59, 0x66666667, v59
	v_mul_hi_i32 v61, 0x66666667, v61
	s_delay_alu instid0(VALU_DEP_2) | instskip(SKIP_1) | instid1(VALU_DEP_3)
	v_lshrrev_b32_e32 v62, 31, v59
	v_ashrrev_i32_e32 v59, 2, v59
	v_lshrrev_b32_e32 v64, 31, v61
	v_ashrrev_i32_e32 v61, 2, v61
	s_delay_alu instid0(VALU_DEP_3) | instskip(NEXT) | instid1(VALU_DEP_2)
	v_add_nc_u32_e32 v59, v59, v62
	v_add_nc_u32_e32 v61, v61, v64
	s_delay_alu instid0(VALU_DEP_1)
	v_cmp_ne_u32_e32 vcc_lo, v59, v61
	v_cndmask_b32_e64 v112, 0, 1, vcc_lo
.LBB85_87:
	s_or_b32 exec_lo, exec_lo, s4
	v_add_nc_u32_e32 v59, 11, v77
	s_mov_b32 s4, exec_lo
	s_delay_alu instid0(VALU_DEP_1)
	v_cmpx_gt_u64_e64 s[0:1], v[59:60]
	s_cbranch_execz .LBB85_89
; %bb.88:
	v_cvt_i32_f64_e32 v59, v[5:6]
	v_cvt_i32_f64_e32 v60, v[7:8]
	s_delay_alu instid0(VALU_DEP_2) | instskip(NEXT) | instid1(VALU_DEP_2)
	v_mul_hi_i32 v59, 0x66666667, v59
	v_mul_hi_i32 v60, 0x66666667, v60
	s_delay_alu instid0(VALU_DEP_2) | instskip(SKIP_1) | instid1(VALU_DEP_3)
	v_lshrrev_b32_e32 v61, 31, v59
	v_ashrrev_i32_e32 v59, 2, v59
	v_lshrrev_b32_e32 v62, 31, v60
	v_ashrrev_i32_e32 v60, 2, v60
	s_delay_alu instid0(VALU_DEP_3) | instskip(NEXT) | instid1(VALU_DEP_2)
	v_add_nc_u32_e32 v59, v59, v61
	v_add_nc_u32_e32 v60, v60, v62
	s_delay_alu instid0(VALU_DEP_1)
	v_cmp_ne_u32_e32 vcc_lo, v59, v60
	v_cndmask_b32_e64 v60, 0, 1, vcc_lo
.LBB85_89:
	s_or_b32 exec_lo, exec_lo, s4
	v_dual_mov_b32 v62, 0 :: v_dual_add_nc_u32 v61, 10, v77
	v_mov_b32_e32 v113, 0
	s_mov_b32 s4, exec_lo
	s_delay_alu instid0(VALU_DEP_2)
	v_cmpx_gt_u64_e64 s[0:1], v[61:62]
	s_cbranch_execz .LBB85_91
; %bb.90:
	v_cvt_i32_f64_e32 v59, v[11:12]
	v_cvt_i32_f64_e32 v61, v[5:6]
	s_delay_alu instid0(VALU_DEP_2) | instskip(NEXT) | instid1(VALU_DEP_2)
	v_mul_hi_i32 v59, 0x66666667, v59
	v_mul_hi_i32 v61, 0x66666667, v61
	s_delay_alu instid0(VALU_DEP_2) | instskip(SKIP_1) | instid1(VALU_DEP_3)
	v_lshrrev_b32_e32 v64, 31, v59
	v_ashrrev_i32_e32 v59, 2, v59
	v_lshrrev_b32_e32 v65, 31, v61
	v_ashrrev_i32_e32 v61, 2, v61
	s_delay_alu instid0(VALU_DEP_3) | instskip(NEXT) | instid1(VALU_DEP_2)
	v_add_nc_u32_e32 v59, v59, v64
	v_add_nc_u32_e32 v61, v61, v65
	s_delay_alu instid0(VALU_DEP_1)
	v_cmp_ne_u32_e32 vcc_lo, v59, v61
	v_cndmask_b32_e64 v113, 0, 1, vcc_lo
.LBB85_91:
	s_or_b32 exec_lo, exec_lo, s4
	v_add_nc_u32_e32 v61, 9, v77
	s_mov_b32 s4, exec_lo
	s_delay_alu instid0(VALU_DEP_1)
	v_cmpx_gt_u64_e64 s[0:1], v[61:62]
	s_cbranch_execz .LBB85_93
; %bb.92:
	v_cvt_i32_f64_e32 v59, v[9:10]
	v_cvt_i32_f64_e32 v61, v[11:12]
	s_delay_alu instid0(VALU_DEP_2) | instskip(NEXT) | instid1(VALU_DEP_2)
	v_mul_hi_i32 v59, 0x66666667, v59
	v_mul_hi_i32 v61, 0x66666667, v61
	s_delay_alu instid0(VALU_DEP_2) | instskip(SKIP_1) | instid1(VALU_DEP_3)
	v_lshrrev_b32_e32 v62, 31, v59
	v_ashrrev_i32_e32 v59, 2, v59
	v_lshrrev_b32_e32 v64, 31, v61
	v_ashrrev_i32_e32 v61, 2, v61
	s_delay_alu instid0(VALU_DEP_3) | instskip(NEXT) | instid1(VALU_DEP_2)
	v_add_nc_u32_e32 v59, v59, v62
	v_add_nc_u32_e32 v61, v61, v64
	s_delay_alu instid0(VALU_DEP_1)
	v_cmp_ne_u32_e32 vcc_lo, v59, v61
	v_cndmask_b32_e64 v62, 0, 1, vcc_lo
.LBB85_93:
	s_or_b32 exec_lo, exec_lo, s4
	v_dual_mov_b32 v66, 0 :: v_dual_add_nc_u32 v65, 8, v77
	v_mov_b32_e32 v61, 0
	s_mov_b32 s4, exec_lo
	s_delay_alu instid0(VALU_DEP_2)
	v_cmpx_gt_u64_e64 s[0:1], v[65:66]
	s_cbranch_execz .LBB85_95
; %bb.94:
	v_cvt_i32_f64_e32 v59, v[15:16]
	v_cvt_i32_f64_e32 v61, v[9:10]
	s_delay_alu instid0(VALU_DEP_2) | instskip(NEXT) | instid1(VALU_DEP_2)
	v_mul_hi_i32 v59, 0x66666667, v59
	v_mul_hi_i32 v61, 0x66666667, v61
	s_delay_alu instid0(VALU_DEP_2) | instskip(SKIP_1) | instid1(VALU_DEP_3)
	v_lshrrev_b32_e32 v64, 31, v59
	v_ashrrev_i32_e32 v59, 2, v59
	v_lshrrev_b32_e32 v65, 31, v61
	v_ashrrev_i32_e32 v61, 2, v61
	s_delay_alu instid0(VALU_DEP_3) | instskip(NEXT) | instid1(VALU_DEP_2)
	v_add_nc_u32_e32 v59, v59, v64
	v_add_nc_u32_e32 v61, v61, v65
	s_delay_alu instid0(VALU_DEP_1)
	v_cmp_ne_u32_e32 vcc_lo, v59, v61
	v_cndmask_b32_e64 v61, 0, 1, vcc_lo
.LBB85_95:
	s_or_b32 exec_lo, exec_lo, s4
	v_add_nc_u32_e32 v65, 7, v77
	s_mov_b32 s4, exec_lo
	s_delay_alu instid0(VALU_DEP_1)
	v_cmpx_gt_u64_e64 s[0:1], v[65:66]
	s_cbranch_execz .LBB85_97
; %bb.96:
	v_cvt_i32_f64_e32 v59, v[13:14]
	v_cvt_i32_f64_e32 v64, v[15:16]
	s_delay_alu instid0(VALU_DEP_2) | instskip(NEXT) | instid1(VALU_DEP_2)
	v_mul_hi_i32 v59, 0x66666667, v59
	v_mul_hi_i32 v64, 0x66666667, v64
	s_delay_alu instid0(VALU_DEP_2) | instskip(SKIP_1) | instid1(VALU_DEP_3)
	v_lshrrev_b32_e32 v65, 31, v59
	v_ashrrev_i32_e32 v59, 2, v59
	v_lshrrev_b32_e32 v66, 31, v64
	v_ashrrev_i32_e32 v64, 2, v64
	s_delay_alu instid0(VALU_DEP_3) | instskip(NEXT) | instid1(VALU_DEP_2)
	v_add_nc_u32_e32 v59, v59, v65
	v_add_nc_u32_e32 v64, v64, v66
	s_delay_alu instid0(VALU_DEP_1)
	v_cmp_ne_u32_e32 vcc_lo, v59, v64
	v_cndmask_b32_e64 v66, 0, 1, vcc_lo
.LBB85_97:
	s_or_b32 exec_lo, exec_lo, s4
	v_dual_mov_b32 v68, 0 :: v_dual_add_nc_u32 v67, 6, v77
	v_mov_b32_e32 v65, 0
	s_mov_b32 s4, exec_lo
	s_delay_alu instid0(VALU_DEP_2)
	v_cmpx_gt_u64_e64 s[0:1], v[67:68]
	s_cbranch_execz .LBB85_99
; %bb.98:
	v_cvt_i32_f64_e32 v59, v[19:20]
	v_cvt_i32_f64_e32 v64, v[13:14]
	s_delay_alu instid0(VALU_DEP_2) | instskip(NEXT) | instid1(VALU_DEP_2)
	v_mul_hi_i32 v59, 0x66666667, v59
	v_mul_hi_i32 v64, 0x66666667, v64
	s_delay_alu instid0(VALU_DEP_2) | instskip(SKIP_1) | instid1(VALU_DEP_3)
	v_lshrrev_b32_e32 v65, 31, v59
	v_ashrrev_i32_e32 v59, 2, v59
	v_lshrrev_b32_e32 v67, 31, v64
	v_ashrrev_i32_e32 v64, 2, v64
	s_delay_alu instid0(VALU_DEP_3) | instskip(NEXT) | instid1(VALU_DEP_2)
	v_add_nc_u32_e32 v59, v59, v65
	v_add_nc_u32_e32 v64, v64, v67
	s_delay_alu instid0(VALU_DEP_1)
	v_cmp_ne_u32_e32 vcc_lo, v59, v64
	v_cndmask_b32_e64 v65, 0, 1, vcc_lo
.LBB85_99:
	s_or_b32 exec_lo, exec_lo, s4
	v_add_nc_u32_e32 v67, 5, v77
	s_mov_b32 s4, exec_lo
	s_delay_alu instid0(VALU_DEP_1)
	v_cmpx_gt_u64_e64 s[0:1], v[67:68]
	s_cbranch_execz .LBB85_101
; %bb.100:
	v_cvt_i32_f64_e32 v59, v[17:18]
	v_cvt_i32_f64_e32 v64, v[19:20]
	s_delay_alu instid0(VALU_DEP_2) | instskip(NEXT) | instid1(VALU_DEP_2)
	v_mul_hi_i32 v59, 0x66666667, v59
	v_mul_hi_i32 v64, 0x66666667, v64
	s_delay_alu instid0(VALU_DEP_2) | instskip(SKIP_1) | instid1(VALU_DEP_3)
	v_lshrrev_b32_e32 v67, 31, v59
	v_ashrrev_i32_e32 v59, 2, v59
	v_lshrrev_b32_e32 v68, 31, v64
	v_ashrrev_i32_e32 v64, 2, v64
	s_delay_alu instid0(VALU_DEP_3) | instskip(NEXT) | instid1(VALU_DEP_2)
	v_add_nc_u32_e32 v59, v59, v67
	v_add_nc_u32_e32 v64, v64, v68
	s_delay_alu instid0(VALU_DEP_1)
	v_cmp_ne_u32_e32 vcc_lo, v59, v64
	v_cndmask_b32_e64 v68, 0, 1, vcc_lo
.LBB85_101:
	s_or_b32 exec_lo, exec_lo, s4
	v_dual_mov_b32 v70, 0 :: v_dual_add_nc_u32 v69, 4, v77
	v_mov_b32_e32 v67, 0
	s_mov_b32 s4, exec_lo
	s_delay_alu instid0(VALU_DEP_2)
	v_cmpx_gt_u64_e64 s[0:1], v[69:70]
	s_cbranch_execz .LBB85_103
; %bb.102:
	v_cvt_i32_f64_e32 v59, v[23:24]
	v_cvt_i32_f64_e32 v64, v[17:18]
	s_delay_alu instid0(VALU_DEP_2) | instskip(NEXT) | instid1(VALU_DEP_2)
	v_mul_hi_i32 v59, 0x66666667, v59
	v_mul_hi_i32 v64, 0x66666667, v64
	s_delay_alu instid0(VALU_DEP_2) | instskip(SKIP_1) | instid1(VALU_DEP_3)
	v_lshrrev_b32_e32 v67, 31, v59
	v_ashrrev_i32_e32 v59, 2, v59
	v_lshrrev_b32_e32 v69, 31, v64
	v_ashrrev_i32_e32 v64, 2, v64
	s_delay_alu instid0(VALU_DEP_3) | instskip(NEXT) | instid1(VALU_DEP_2)
	v_add_nc_u32_e32 v59, v59, v67
	v_add_nc_u32_e32 v64, v64, v69
	s_delay_alu instid0(VALU_DEP_1)
	v_cmp_ne_u32_e32 vcc_lo, v59, v64
	v_cndmask_b32_e64 v67, 0, 1, vcc_lo
.LBB85_103:
	s_or_b32 exec_lo, exec_lo, s4
	v_add_nc_u32_e32 v69, 3, v77
	s_mov_b32 s4, exec_lo
	s_delay_alu instid0(VALU_DEP_1)
	v_cmpx_gt_u64_e64 s[0:1], v[69:70]
	s_cbranch_execz .LBB85_105
; %bb.104:
	v_cvt_i32_f64_e32 v59, v[21:22]
	v_cvt_i32_f64_e32 v64, v[23:24]
	s_delay_alu instid0(VALU_DEP_2) | instskip(NEXT) | instid1(VALU_DEP_2)
	v_mul_hi_i32 v59, 0x66666667, v59
	v_mul_hi_i32 v64, 0x66666667, v64
	s_delay_alu instid0(VALU_DEP_2) | instskip(SKIP_1) | instid1(VALU_DEP_3)
	v_lshrrev_b32_e32 v69, 31, v59
	v_ashrrev_i32_e32 v59, 2, v59
	v_lshrrev_b32_e32 v70, 31, v64
	v_ashrrev_i32_e32 v64, 2, v64
	s_delay_alu instid0(VALU_DEP_3) | instskip(NEXT) | instid1(VALU_DEP_2)
	v_add_nc_u32_e32 v59, v59, v69
	v_add_nc_u32_e32 v64, v64, v70
	s_delay_alu instid0(VALU_DEP_1)
	v_cmp_ne_u32_e32 vcc_lo, v59, v64
	v_cndmask_b32_e64 v70, 0, 1, vcc_lo
.LBB85_105:
	s_or_b32 exec_lo, exec_lo, s4
	v_dual_mov_b32 v72, 0 :: v_dual_add_nc_u32 v71, 2, v77
	v_mov_b32_e32 v69, 0
	s_mov_b32 s4, exec_lo
	s_delay_alu instid0(VALU_DEP_2)
	v_cmpx_gt_u64_e64 s[0:1], v[71:72]
	s_cbranch_execz .LBB85_107
; %bb.106:
	v_cvt_i32_f64_e32 v59, v[27:28]
	v_cvt_i32_f64_e32 v64, v[21:22]
	s_delay_alu instid0(VALU_DEP_2) | instskip(NEXT) | instid1(VALU_DEP_2)
	v_mul_hi_i32 v59, 0x66666667, v59
	v_mul_hi_i32 v64, 0x66666667, v64
	s_delay_alu instid0(VALU_DEP_2) | instskip(SKIP_1) | instid1(VALU_DEP_3)
	v_lshrrev_b32_e32 v69, 31, v59
	v_ashrrev_i32_e32 v59, 2, v59
	v_lshrrev_b32_e32 v71, 31, v64
	v_ashrrev_i32_e32 v64, 2, v64
	s_delay_alu instid0(VALU_DEP_3) | instskip(NEXT) | instid1(VALU_DEP_2)
	v_add_nc_u32_e32 v59, v59, v69
	v_add_nc_u32_e32 v64, v64, v71
	s_delay_alu instid0(VALU_DEP_1)
	v_cmp_ne_u32_e32 vcc_lo, v59, v64
	v_cndmask_b32_e64 v69, 0, 1, vcc_lo
.LBB85_107:
	s_or_b32 exec_lo, exec_lo, s4
	v_add_nc_u32_e32 v71, 1, v77
	s_mov_b32 s4, exec_lo
	s_delay_alu instid0(VALU_DEP_1)
	v_cmpx_gt_u64_e64 s[0:1], v[71:72]
	s_cbranch_execz .LBB85_109
; %bb.108:
	v_cvt_i32_f64_e32 v59, v[25:26]
	v_cvt_i32_f64_e32 v64, v[27:28]
	s_delay_alu instid0(VALU_DEP_2) | instskip(NEXT) | instid1(VALU_DEP_2)
	v_mul_hi_i32 v59, 0x66666667, v59
	v_mul_hi_i32 v64, 0x66666667, v64
	s_delay_alu instid0(VALU_DEP_2) | instskip(SKIP_1) | instid1(VALU_DEP_3)
	v_lshrrev_b32_e32 v71, 31, v59
	v_ashrrev_i32_e32 v59, 2, v59
	v_lshrrev_b32_e32 v72, 31, v64
	v_ashrrev_i32_e32 v64, 2, v64
	s_delay_alu instid0(VALU_DEP_3) | instskip(NEXT) | instid1(VALU_DEP_2)
	v_add_nc_u32_e32 v59, v59, v71
	v_add_nc_u32_e32 v64, v64, v72
	s_delay_alu instid0(VALU_DEP_1)
	v_cmp_ne_u32_e32 vcc_lo, v59, v64
	v_cndmask_b32_e64 v72, 0, 1, vcc_lo
.LBB85_109:
	s_or_b32 exec_lo, exec_lo, s4
	s_waitcnt vmcnt(0) lgkmcnt(0)
	s_barrier
	buffer_gl0_inv
	s_and_saveexec_b32 s4, s3
	s_cbranch_execz .LBB85_111
; %bb.110:
	v_add_nc_u32_e32 v59, -8, v78
	ds_load_b64 v[79:80], v59
.LBB85_111:
	s_or_b32 exec_lo, exec_lo, s4
	v_mov_b32_e32 v78, 0
	s_mov_b32 s5, 0
	s_mov_b32 s4, 0
	s_mov_b32 s6, exec_lo
	s_delay_alu instid0(VALU_DEP_1)
	v_cmpx_gt_u64_e64 s[0:1], v[77:78]
	s_cbranch_execz .LBB85_113
; %bb.112:
	s_waitcnt lgkmcnt(0)
	v_cvt_i32_f64_e32 v59, v[79:80]
	v_cvt_i32_f64_e32 v64, v[25:26]
	s_delay_alu instid0(VALU_DEP_2) | instskip(NEXT) | instid1(VALU_DEP_2)
	v_mul_hi_i32 v59, 0x66666667, v59
	v_mul_hi_i32 v64, 0x66666667, v64
	s_delay_alu instid0(VALU_DEP_2) | instskip(SKIP_1) | instid1(VALU_DEP_3)
	v_lshrrev_b32_e32 v71, 31, v59
	v_ashrrev_i32_e32 v59, 2, v59
	v_lshrrev_b32_e32 v75, 31, v64
	v_ashrrev_i32_e32 v64, 2, v64
	s_delay_alu instid0(VALU_DEP_3) | instskip(NEXT) | instid1(VALU_DEP_2)
	v_add_nc_u32_e32 v59, v59, v71
	v_add_nc_u32_e32 v64, v64, v75
	s_delay_alu instid0(VALU_DEP_1)
	v_cmp_ne_u32_e32 vcc_lo, v59, v64
	s_and_b32 s4, vcc_lo, exec_lo
.LBB85_113:
	s_or_b32 exec_lo, exec_lo, s6
	s_mov_b32 s15, -1
	s_and_b32 vcc_lo, exec_lo, s5
	s_cbranch_vccnz .LBB85_249
.LBB85_114:
                                        ; implicit-def: $vgpr64
                                        ; implicit-def: $sgpr0
.LBB85_115:
	v_mov_b32_e32 v63, s0
	s_and_saveexec_b32 s0, s15
.LBB85_116:
	v_cndmask_b32_e64 v63, 0, 1, s4
	v_mov_b32_e32 v64, v76
.LBB85_117:
	s_or_b32 exec_lo, exec_lo, s0
	v_add_f64 v[109:110], v[53:54], v[55:56]
	s_delay_alu instid0(VALU_DEP_2)
	v_add3_u32 v59, v72, v63, v69
	v_cmp_eq_u32_e64 s13, 0, v72
	v_cmp_eq_u32_e64 s12, 0, v69
	;; [unrolled: 1-line block ×4, first 2 shown]
	v_add3_u32 v115, v59, v70, v67
	v_cmp_eq_u32_e64 s9, 0, v68
	v_cmp_eq_u32_e64 s8, 0, v65
	;; [unrolled: 1-line block ×9, first 2 shown]
	v_cmp_eq_u32_e32 vcc_lo, 0, v111
	v_mbcnt_lo_u32_b32 v114, -1, 0
	s_cmp_eq_u64 s[42:43], 0
	s_cselect_b32 s15, -1, 0
	s_cmp_lg_u32 s30, 0
	s_cbranch_scc0 .LBB85_180
; %bb.118:
	v_cndmask_b32_e64 v76, v56, v110, s13
	v_cndmask_b32_e64 v75, v55, v109, s13
	v_add3_u32 v59, v115, v68, v65
	s_mov_b32 s14, exec_lo
	s_delay_alu instid0(VALU_DEP_2) | instskip(NEXT) | instid1(VALU_DEP_2)
	v_add_f64 v[75:76], v[49:50], v[75:76]
	v_add3_u32 v59, v59, v66, v61
	s_delay_alu instid0(VALU_DEP_1) | instskip(NEXT) | instid1(VALU_DEP_1)
	v_add3_u32 v59, v59, v62, v113
	v_add3_u32 v59, v59, v60, v112
	s_delay_alu instid0(VALU_DEP_1) | instskip(SKIP_2) | instid1(VALU_DEP_2)
	v_add3_u32 v71, v59, v64, v111
	v_and_b32_e32 v59, 15, v114
	s_waitcnt lgkmcnt(0)
	v_mov_b32_dpp v79, v71 row_shr:1 row_mask:0xf bank_mask:0xf
	v_cndmask_b32_e64 v76, v50, v76, s12
	v_cndmask_b32_e64 v75, v49, v75, s12
	s_delay_alu instid0(VALU_DEP_1) | instskip(NEXT) | instid1(VALU_DEP_1)
	v_add_f64 v[75:76], v[51:52], v[75:76]
	v_cndmask_b32_e64 v76, v52, v76, s11
	s_delay_alu instid0(VALU_DEP_2) | instskip(NEXT) | instid1(VALU_DEP_1)
	v_cndmask_b32_e64 v75, v51, v75, s11
	v_add_f64 v[75:76], v[45:46], v[75:76]
	s_delay_alu instid0(VALU_DEP_1) | instskip(NEXT) | instid1(VALU_DEP_2)
	v_cndmask_b32_e64 v76, v46, v76, s10
	v_cndmask_b32_e64 v75, v45, v75, s10
	s_delay_alu instid0(VALU_DEP_1) | instskip(NEXT) | instid1(VALU_DEP_1)
	v_add_f64 v[75:76], v[47:48], v[75:76]
	v_cndmask_b32_e64 v76, v48, v76, s9
	s_delay_alu instid0(VALU_DEP_2) | instskip(NEXT) | instid1(VALU_DEP_1)
	v_cndmask_b32_e64 v75, v47, v75, s9
	v_add_f64 v[75:76], v[41:42], v[75:76]
	s_delay_alu instid0(VALU_DEP_1) | instskip(NEXT) | instid1(VALU_DEP_2)
	;; [unrolled: 9-line block ×5, first 2 shown]
	v_cndmask_b32_e64 v76, v30, v76, s1
	v_cndmask_b32_e64 v75, v29, v75, s1
	s_delay_alu instid0(VALU_DEP_1) | instskip(NEXT) | instid1(VALU_DEP_1)
	v_add_f64 v[75:76], v[31:32], v[75:76]
	v_cndmask_b32_e64 v76, v32, v76, s0
	s_delay_alu instid0(VALU_DEP_2) | instskip(NEXT) | instid1(VALU_DEP_1)
	v_cndmask_b32_e64 v75, v31, v75, s0
	v_add_f64 v[75:76], v[73:74], v[75:76]
	s_delay_alu instid0(VALU_DEP_1) | instskip(NEXT) | instid1(VALU_DEP_1)
	v_dual_cndmask_b32 v77, v73, v75 :: v_dual_cndmask_b32 v78, v74, v76
	v_mov_b32_dpp v75, v77 row_shr:1 row_mask:0xf bank_mask:0xf
	s_delay_alu instid0(VALU_DEP_2)
	v_mov_b32_dpp v76, v78 row_shr:1 row_mask:0xf bank_mask:0xf
	v_cmpx_ne_u32_e32 0, v59
; %bb.119:
	s_delay_alu instid0(VALU_DEP_2) | instskip(SKIP_1) | instid1(VALU_DEP_2)
	v_add_f64 v[75:76], v[77:78], v[75:76]
	v_cmp_eq_u32_e32 vcc_lo, 0, v71
	v_dual_cndmask_b32 v78, v78, v76 :: v_dual_add_nc_u32 v71, v79, v71
	s_delay_alu instid0(VALU_DEP_3)
	v_cndmask_b32_e32 v77, v77, v75, vcc_lo
; %bb.120:
	s_or_b32 exec_lo, exec_lo, s14
	s_delay_alu instid0(VALU_DEP_2) | instskip(NEXT) | instid1(VALU_DEP_2)
	v_mov_b32_dpp v79, v71 row_shr:2 row_mask:0xf bank_mask:0xf
	v_mov_b32_dpp v75, v77 row_shr:2 row_mask:0xf bank_mask:0xf
	v_mov_b32_dpp v76, v78 row_shr:2 row_mask:0xf bank_mask:0xf
	s_mov_b32 s14, exec_lo
	v_cmpx_lt_u32_e32 1, v59
; %bb.121:
	s_delay_alu instid0(VALU_DEP_2) | instskip(SKIP_1) | instid1(VALU_DEP_2)
	v_add_f64 v[75:76], v[77:78], v[75:76]
	v_cmp_eq_u32_e32 vcc_lo, 0, v71
	v_dual_cndmask_b32 v78, v78, v76 :: v_dual_add_nc_u32 v71, v79, v71
	s_delay_alu instid0(VALU_DEP_3)
	v_cndmask_b32_e32 v77, v77, v75, vcc_lo
; %bb.122:
	s_or_b32 exec_lo, exec_lo, s14
	s_delay_alu instid0(VALU_DEP_2) | instskip(NEXT) | instid1(VALU_DEP_2)
	v_mov_b32_dpp v79, v71 row_shr:4 row_mask:0xf bank_mask:0xf
	v_mov_b32_dpp v75, v77 row_shr:4 row_mask:0xf bank_mask:0xf
	v_mov_b32_dpp v76, v78 row_shr:4 row_mask:0xf bank_mask:0xf
	s_mov_b32 s14, exec_lo
	v_cmpx_lt_u32_e32 3, v59
	;; [unrolled: 15-line block ×3, first 2 shown]
; %bb.125:
	s_delay_alu instid0(VALU_DEP_2) | instskip(SKIP_1) | instid1(VALU_DEP_2)
	v_add_f64 v[75:76], v[77:78], v[75:76]
	v_cmp_eq_u32_e32 vcc_lo, 0, v71
	v_dual_cndmask_b32 v78, v78, v76 :: v_dual_add_nc_u32 v71, v79, v71
	s_delay_alu instid0(VALU_DEP_3)
	v_cndmask_b32_e32 v77, v77, v75, vcc_lo
; %bb.126:
	s_or_b32 exec_lo, exec_lo, s14
	ds_swizzle_b32 v59, v71 offset:swizzle(BROADCAST,32,15)
	ds_swizzle_b32 v75, v77 offset:swizzle(BROADCAST,32,15)
	;; [unrolled: 1-line block ×3, first 2 shown]
	v_and_b32_e32 v79, 16, v114
	s_mov_b32 s14, exec_lo
	s_delay_alu instid0(VALU_DEP_1)
	v_cmpx_ne_u32_e32 0, v79
	s_cbranch_execz .LBB85_128
; %bb.127:
	s_waitcnt lgkmcnt(0)
	v_add_f64 v[75:76], v[77:78], v[75:76]
	v_cmp_eq_u32_e32 vcc_lo, 0, v71
	s_delay_alu instid0(VALU_DEP_2) | instskip(NEXT) | instid1(VALU_DEP_3)
	v_dual_cndmask_b32 v78, v78, v76 :: v_dual_add_nc_u32 v71, v59, v71
	v_cndmask_b32_e32 v77, v77, v75, vcc_lo
.LBB85_128:
	s_or_b32 exec_lo, exec_lo, s14
	s_waitcnt lgkmcnt(1)
	v_lshrrev_b32_e32 v75, 5, v0
	v_or_b32_e32 v59, 31, v0
	s_mov_b32 s14, exec_lo
	s_delay_alu instid0(VALU_DEP_2) | instskip(NEXT) | instid1(VALU_DEP_2)
	v_lshlrev_b32_e32 v81, 4, v75
	v_cmpx_eq_u32_e64 v59, v0
	s_cbranch_execz .LBB85_130
; %bb.129:
	ds_store_b32 v81, v71 offset:4128
	ds_store_b64 v81, v[77:78] offset:4136
.LBB85_130:
	s_or_b32 exec_lo, exec_lo, s14
	s_delay_alu instid0(SALU_CYCLE_1)
	s_mov_b32 s14, exec_lo
	s_waitcnt lgkmcnt(0)
	s_barrier
	buffer_gl0_inv
	v_cmpx_gt_u32_e32 8, v0
	s_cbranch_execz .LBB85_138
; %bb.131:
	v_lshlrev_b32_e32 v59, 4, v0
	v_and_b32_e32 v83, 7, v114
	s_mov_b32 s16, exec_lo
	ds_load_b32 v82, v59 offset:4128
	ds_load_b64 v[75:76], v59 offset:4136
	s_waitcnt lgkmcnt(1)
	v_mov_b32_dpp v84, v82 row_shr:1 row_mask:0xf bank_mask:0xf
	s_waitcnt lgkmcnt(0)
	v_mov_b32_dpp v79, v75 row_shr:1 row_mask:0xf bank_mask:0xf
	v_mov_b32_dpp v80, v76 row_shr:1 row_mask:0xf bank_mask:0xf
	v_cmpx_ne_u32_e32 0, v83
; %bb.132:
	s_delay_alu instid0(VALU_DEP_2) | instskip(SKIP_1) | instid1(VALU_DEP_2)
	v_add_f64 v[79:80], v[75:76], v[79:80]
	v_cmp_eq_u32_e32 vcc_lo, 0, v82
	v_dual_cndmask_b32 v75, v75, v79 :: v_dual_add_nc_u32 v82, v84, v82
	s_delay_alu instid0(VALU_DEP_3)
	v_cndmask_b32_e32 v76, v76, v80, vcc_lo
; %bb.133:
	s_or_b32 exec_lo, exec_lo, s16
	s_delay_alu instid0(VALU_DEP_2) | instskip(NEXT) | instid1(VALU_DEP_3)
	v_mov_b32_dpp v84, v82 row_shr:2 row_mask:0xf bank_mask:0xf
	v_mov_b32_dpp v79, v75 row_shr:2 row_mask:0xf bank_mask:0xf
	s_delay_alu instid0(VALU_DEP_3)
	v_mov_b32_dpp v80, v76 row_shr:2 row_mask:0xf bank_mask:0xf
	s_mov_b32 s16, exec_lo
	v_cmpx_lt_u32_e32 1, v83
; %bb.134:
	s_delay_alu instid0(VALU_DEP_2) | instskip(SKIP_1) | instid1(VALU_DEP_2)
	v_add_f64 v[79:80], v[75:76], v[79:80]
	v_cmp_eq_u32_e32 vcc_lo, 0, v82
	v_dual_cndmask_b32 v75, v75, v79 :: v_dual_add_nc_u32 v82, v84, v82
	s_delay_alu instid0(VALU_DEP_3)
	v_cndmask_b32_e32 v76, v76, v80, vcc_lo
; %bb.135:
	s_or_b32 exec_lo, exec_lo, s16
	s_delay_alu instid0(VALU_DEP_2) | instskip(NEXT) | instid1(VALU_DEP_3)
	v_mov_b32_dpp v84, v82 row_shr:4 row_mask:0xf bank_mask:0xf
	v_mov_b32_dpp v79, v75 row_shr:4 row_mask:0xf bank_mask:0xf
	s_delay_alu instid0(VALU_DEP_3)
	v_mov_b32_dpp v80, v76 row_shr:4 row_mask:0xf bank_mask:0xf
	s_mov_b32 s16, exec_lo
	v_cmpx_lt_u32_e32 3, v83
; %bb.136:
	s_delay_alu instid0(VALU_DEP_2) | instskip(SKIP_1) | instid1(VALU_DEP_2)
	v_add_f64 v[79:80], v[75:76], v[79:80]
	v_cmp_eq_u32_e32 vcc_lo, 0, v82
	v_dual_cndmask_b32 v75, v75, v79 :: v_dual_add_nc_u32 v82, v84, v82
	s_delay_alu instid0(VALU_DEP_3)
	v_cndmask_b32_e32 v76, v76, v80, vcc_lo
; %bb.137:
	s_or_b32 exec_lo, exec_lo, s16
	ds_store_b32 v59, v82 offset:4128
	ds_store_b64 v59, v[75:76] offset:4136
.LBB85_138:
	s_or_b32 exec_lo, exec_lo, s14
	v_mov_b32_e32 v75, 0
	v_cmp_gt_u32_e32 vcc_lo, 32, v0
	v_dual_mov_b32 v76, 0 :: v_dual_mov_b32 v59, 0
	s_mov_b32 s16, exec_lo
	s_waitcnt lgkmcnt(0)
	s_barrier
	buffer_gl0_inv
	v_cmpx_lt_u32_e32 31, v0
	s_cbranch_execz .LBB85_140
; %bb.139:
	ds_load_b64 v[75:76], v81 offset:4120
	ds_load_b32 v59, v81 offset:4112
	v_cmp_eq_u32_e64 s14, 0, v71
	s_waitcnt lgkmcnt(1)
	v_add_f64 v[79:80], v[77:78], v[75:76]
	s_waitcnt lgkmcnt(0)
	v_add_nc_u32_e32 v71, v59, v71
	s_delay_alu instid0(VALU_DEP_2) | instskip(NEXT) | instid1(VALU_DEP_3)
	v_cndmask_b32_e64 v78, v78, v80, s14
	v_cndmask_b32_e64 v77, v77, v79, s14
.LBB85_140:
	s_or_b32 exec_lo, exec_lo, s16
	v_add_nc_u32_e32 v79, -1, v114
	s_delay_alu instid0(VALU_DEP_1) | instskip(NEXT) | instid1(VALU_DEP_1)
	v_cmp_gt_i32_e64 s14, 0, v79
	v_cndmask_b32_e64 v79, v79, v114, s14
	v_cmp_eq_u32_e64 s14, 0, v114
	s_delay_alu instid0(VALU_DEP_2)
	v_lshlrev_b32_e32 v79, 2, v79
	ds_bpermute_b32 v71, v79, v71
	ds_bpermute_b32 v87, v79, v77
	;; [unrolled: 1-line block ×3, first 2 shown]
	s_and_saveexec_b32 s16, vcc_lo
	s_cbranch_execz .LBB85_179
; %bb.141:
	v_mov_b32_e32 v81, 0
	ds_load_b32 v89, v81 offset:4240
	ds_load_b64 v[77:78], v81 offset:4248
	s_and_saveexec_b32 s26, s14
	s_cbranch_execz .LBB85_143
; %bb.142:
	s_add_i32 s34, s30, 32
	s_mov_b32 s35, 0
	v_dual_mov_b32 v79, s34 :: v_dual_mov_b32 v80, 1
	s_lshl_b64 s[42:43], s[34:35], 4
	s_delay_alu instid0(SALU_CYCLE_1)
	s_add_u32 s34, s36, s42
	s_addc_u32 s35, s37, s43
	s_waitcnt lgkmcnt(1)
	global_store_b32 v81, v89, s[34:35]
	s_waitcnt lgkmcnt(0)
	global_store_b64 v81, v[77:78], s[34:35] offset:8
	s_waitcnt_vscnt null, 0x0
	buffer_gl1_inv
	buffer_gl0_inv
	global_store_b8 v79, v80, s[40:41]
.LBB85_143:
	s_or_b32 exec_lo, exec_lo, s26
	v_xad_u32 v79, v114, -1, s30
	s_mov_b32 s27, 0
	s_mov_b32 s26, exec_lo
	s_delay_alu instid0(VALU_DEP_1)
	v_add_nc_u32_e32 v80, 32, v79
	global_load_u8 v90, v80, s[40:41] glc
	s_waitcnt vmcnt(0)
	v_cmpx_eq_u16_e32 0, v90
	s_cbranch_execz .LBB85_147
; %bb.144:
	v_add_co_u32 v82, s31, s40, v80
	s_delay_alu instid0(VALU_DEP_1)
	v_add_co_ci_u32_e64 v83, null, s41, 0, s31
.LBB85_145:                             ; =>This Inner Loop Header: Depth=1
	global_load_u8 v90, v[82:83], off glc
	s_waitcnt vmcnt(0)
	v_cmp_ne_u16_e32 vcc_lo, 0, v90
	s_or_b32 s27, vcc_lo, s27
	s_delay_alu instid0(SALU_CYCLE_1)
	s_and_not1_b32 exec_lo, exec_lo, s27
	s_cbranch_execnz .LBB85_145
; %bb.146:
	s_or_b32 exec_lo, exec_lo, s27
.LBB85_147:
	s_delay_alu instid0(SALU_CYCLE_1)
	s_or_b32 exec_lo, exec_lo, s26
	v_dual_mov_b32 v82, s37 :: v_dual_mov_b32 v83, s36
	v_cmp_eq_u16_e32 vcc_lo, 1, v90
	v_lshlrev_b64 v[80:81], 4, v[80:81]
	s_waitcnt lgkmcnt(0)
	s_waitcnt_vscnt null, 0x0
	buffer_gl1_inv
	buffer_gl0_inv
	v_lshlrev_b32_e64 v92, v114, -1
	s_mov_b32 s26, exec_lo
	v_cndmask_b32_e32 v83, s38, v83, vcc_lo
	v_cndmask_b32_e32 v82, s39, v82, vcc_lo
	s_delay_alu instid0(VALU_DEP_2) | instskip(NEXT) | instid1(VALU_DEP_2)
	v_add_co_u32 v80, vcc_lo, v83, v80
	v_add_co_ci_u32_e32 v81, vcc_lo, v82, v81, vcc_lo
	v_cmp_ne_u32_e32 vcc_lo, 31, v114
	s_clause 0x1
	global_load_b32 v85, v[80:81], off
	global_load_b64 v[83:84], v[80:81], off offset:8
	v_add_co_ci_u32_e32 v80, vcc_lo, 0, v114, vcc_lo
	v_cmp_eq_u16_e32 vcc_lo, 2, v90
	s_delay_alu instid0(VALU_DEP_2) | instskip(SKIP_1) | instid1(VALU_DEP_1)
	v_lshlrev_b32_e32 v91, 2, v80
	v_and_or_b32 v82, vcc_lo, v92, 0x80000000
	v_ctz_i32_b32_e32 v82, v82
	s_waitcnt vmcnt(1)
	ds_bpermute_b32 v86, v91, v85
	s_waitcnt vmcnt(0)
	ds_bpermute_b32 v80, v91, v83
	ds_bpermute_b32 v81, v91, v84
	v_cmpx_lt_u32_e64 v114, v82
	s_cbranch_execz .LBB85_149
; %bb.148:
	s_waitcnt lgkmcnt(0)
	v_add_f64 v[80:81], v[83:84], v[80:81]
	v_cmp_eq_u32_e32 vcc_lo, 0, v85
	v_add_nc_u32_e32 v85, v86, v85
	s_delay_alu instid0(VALU_DEP_3)
	v_dual_cndmask_b32 v84, v84, v81 :: v_dual_cndmask_b32 v83, v83, v80
.LBB85_149:
	s_or_b32 exec_lo, exec_lo, s26
	v_cmp_gt_u32_e32 vcc_lo, 30, v114
	v_add_nc_u32_e32 v94, 2, v114
	s_mov_b32 s26, exec_lo
	s_waitcnt lgkmcnt(1)
	v_cndmask_b32_e64 v80, 0, 1, vcc_lo
	s_delay_alu instid0(VALU_DEP_1) | instskip(NEXT) | instid1(VALU_DEP_1)
	v_lshlrev_b32_e32 v80, 1, v80
	v_add_lshl_u32 v93, v80, v114, 2
	ds_bpermute_b32 v86, v93, v85
	ds_bpermute_b32 v80, v93, v83
	s_waitcnt lgkmcnt(2)
	ds_bpermute_b32 v81, v93, v84
	v_cmpx_le_u32_e64 v94, v82
	s_cbranch_execz .LBB85_151
; %bb.150:
	s_waitcnt lgkmcnt(0)
	v_add_f64 v[80:81], v[83:84], v[80:81]
	v_cmp_eq_u32_e32 vcc_lo, 0, v85
	v_add_nc_u32_e32 v85, v86, v85
	s_delay_alu instid0(VALU_DEP_3)
	v_dual_cndmask_b32 v84, v84, v81 :: v_dual_cndmask_b32 v83, v83, v80
.LBB85_151:
	s_or_b32 exec_lo, exec_lo, s26
	v_cmp_gt_u32_e32 vcc_lo, 28, v114
	v_add_nc_u32_e32 v96, 4, v114
	s_mov_b32 s26, exec_lo
	s_waitcnt lgkmcnt(1)
	v_cndmask_b32_e64 v80, 0, 1, vcc_lo
	s_delay_alu instid0(VALU_DEP_1) | instskip(NEXT) | instid1(VALU_DEP_1)
	v_lshlrev_b32_e32 v80, 2, v80
	v_add_lshl_u32 v95, v80, v114, 2
	ds_bpermute_b32 v86, v95, v85
	ds_bpermute_b32 v80, v95, v83
	s_waitcnt lgkmcnt(2)
	ds_bpermute_b32 v81, v95, v84
	v_cmpx_le_u32_e64 v96, v82
	;; [unrolled: 23-line block ×4, first 2 shown]
	s_cbranch_execz .LBB85_157
; %bb.156:
	s_waitcnt lgkmcnt(0)
	v_add_f64 v[80:81], v[83:84], v[80:81]
	v_cmp_eq_u32_e32 vcc_lo, 0, v85
	v_add_nc_u32_e32 v85, v86, v85
	s_delay_alu instid0(VALU_DEP_3)
	v_dual_cndmask_b32 v84, v84, v81 :: v_dual_cndmask_b32 v83, v83, v80
.LBB85_157:
	s_or_b32 exec_lo, exec_lo, s26
	s_waitcnt lgkmcnt(1)
	v_mov_b32_e32 v80, 0
	s_branch .LBB85_159
.LBB85_158:                             ;   in Loop: Header=BB85_159 Depth=1
	s_or_b32 exec_lo, exec_lo, s26
	s_delay_alu instid0(VALU_DEP_1) | instskip(SKIP_4) | instid1(VALU_DEP_4)
	v_add_f64 v[83:84], v[81:82], v[83:84]
	v_cmp_eq_u32_e32 vcc_lo, 0, v99
	v_subrev_nc_u32_e32 v79, 32, v79
	s_waitcnt lgkmcnt(1)
	v_add_nc_u32_e32 v85, v102, v99
	v_dual_cndmask_b32 v84, v82, v84 :: v_dual_cndmask_b32 v83, v81, v83
.LBB85_159:                             ; =>This Loop Header: Depth=1
                                        ;     Child Loop BB85_162 Depth 2
	s_waitcnt lgkmcnt(0)
	v_and_b32_e32 v81, 0xff, v90
	s_delay_alu instid0(VALU_DEP_3) | instskip(NEXT) | instid1(VALU_DEP_2)
	v_mov_b32_e32 v99, v85
	v_cmp_ne_u16_e32 vcc_lo, 2, v81
	v_cndmask_b32_e64 v81, 0, 1, vcc_lo
	;;#ASMSTART
	;;#ASMEND
	s_delay_alu instid0(VALU_DEP_1)
	v_cmp_ne_u32_e32 vcc_lo, 0, v81
	v_dual_mov_b32 v81, v83 :: v_dual_mov_b32 v82, v84
	s_cmp_lg_u32 vcc_lo, exec_lo
	s_cbranch_scc1 .LBB85_174
; %bb.160:                              ;   in Loop: Header=BB85_159 Depth=1
	global_load_u8 v90, v79, s[40:41] glc
	s_mov_b32 s26, exec_lo
	s_waitcnt vmcnt(0)
	v_cmpx_eq_u16_e32 0, v90
	s_cbranch_execz .LBB85_164
; %bb.161:                              ;   in Loop: Header=BB85_159 Depth=1
	v_add_co_u32 v83, s27, s40, v79
	s_delay_alu instid0(VALU_DEP_1)
	v_add_co_ci_u32_e64 v84, null, s41, 0, s27
	s_mov_b32 s27, 0
.LBB85_162:                             ;   Parent Loop BB85_159 Depth=1
                                        ; =>  This Inner Loop Header: Depth=2
	global_load_u8 v90, v[83:84], off glc
	s_waitcnt vmcnt(0)
	v_cmp_ne_u16_e32 vcc_lo, 0, v90
	s_or_b32 s27, vcc_lo, s27
	s_delay_alu instid0(SALU_CYCLE_1)
	s_and_not1_b32 exec_lo, exec_lo, s27
	s_cbranch_execnz .LBB85_162
; %bb.163:                              ;   in Loop: Header=BB85_159 Depth=1
	s_or_b32 exec_lo, exec_lo, s27
.LBB85_164:                             ;   in Loop: Header=BB85_159 Depth=1
	s_delay_alu instid0(SALU_CYCLE_1)
	s_or_b32 exec_lo, exec_lo, s26
	v_dual_mov_b32 v85, s37 :: v_dual_mov_b32 v86, s36
	v_cmp_eq_u16_e32 vcc_lo, 1, v90
	v_lshlrev_b64 v[83:84], 4, v[79:80]
	buffer_gl1_inv
	buffer_gl0_inv
	s_mov_b32 s26, exec_lo
	v_cndmask_b32_e32 v86, s38, v86, vcc_lo
	v_cndmask_b32_e32 v85, s39, v85, vcc_lo
	s_delay_alu instid0(VALU_DEP_2) | instskip(NEXT) | instid1(VALU_DEP_2)
	v_add_co_u32 v83, vcc_lo, v86, v83
	v_add_co_ci_u32_e32 v84, vcc_lo, v85, v84, vcc_lo
	v_cmp_eq_u16_e32 vcc_lo, 2, v90
	s_clause 0x1
	global_load_b32 v102, v[83:84], off
	global_load_b64 v[83:84], v[83:84], off offset:8
	v_and_or_b32 v103, vcc_lo, v92, 0x80000000
	s_delay_alu instid0(VALU_DEP_1)
	v_ctz_i32_b32_e32 v103, v103
	s_waitcnt vmcnt(1)
	ds_bpermute_b32 v104, v91, v102
	s_waitcnt vmcnt(0)
	ds_bpermute_b32 v85, v91, v83
	ds_bpermute_b32 v86, v91, v84
	v_cmpx_lt_u32_e64 v114, v103
	s_cbranch_execz .LBB85_166
; %bb.165:                              ;   in Loop: Header=BB85_159 Depth=1
	s_waitcnt lgkmcnt(0)
	v_add_f64 v[85:86], v[83:84], v[85:86]
	v_cmp_eq_u32_e32 vcc_lo, 0, v102
	s_delay_alu instid0(VALU_DEP_2) | instskip(NEXT) | instid1(VALU_DEP_3)
	v_dual_cndmask_b32 v83, v83, v85 :: v_dual_add_nc_u32 v102, v104, v102
	v_cndmask_b32_e32 v84, v84, v86, vcc_lo
.LBB85_166:                             ;   in Loop: Header=BB85_159 Depth=1
	s_or_b32 exec_lo, exec_lo, s26
	s_waitcnt lgkmcnt(2)
	ds_bpermute_b32 v104, v93, v102
	s_waitcnt lgkmcnt(2)
	ds_bpermute_b32 v85, v93, v83
	s_waitcnt lgkmcnt(2)
	ds_bpermute_b32 v86, v93, v84
	s_mov_b32 s26, exec_lo
	v_cmpx_le_u32_e64 v94, v103
	s_cbranch_execz .LBB85_168
; %bb.167:                              ;   in Loop: Header=BB85_159 Depth=1
	s_waitcnt lgkmcnt(0)
	v_add_f64 v[85:86], v[83:84], v[85:86]
	v_cmp_eq_u32_e32 vcc_lo, 0, v102
	s_delay_alu instid0(VALU_DEP_2) | instskip(NEXT) | instid1(VALU_DEP_3)
	v_dual_cndmask_b32 v83, v83, v85 :: v_dual_add_nc_u32 v102, v104, v102
	v_cndmask_b32_e32 v84, v84, v86, vcc_lo
.LBB85_168:                             ;   in Loop: Header=BB85_159 Depth=1
	s_or_b32 exec_lo, exec_lo, s26
	s_waitcnt lgkmcnt(2)
	ds_bpermute_b32 v104, v95, v102
	s_waitcnt lgkmcnt(2)
	ds_bpermute_b32 v85, v95, v83
	s_waitcnt lgkmcnt(2)
	ds_bpermute_b32 v86, v95, v84
	s_mov_b32 s26, exec_lo
	v_cmpx_le_u32_e64 v96, v103
	;; [unrolled: 18-line block ×4, first 2 shown]
	s_cbranch_execz .LBB85_158
; %bb.173:                              ;   in Loop: Header=BB85_159 Depth=1
	s_waitcnt lgkmcnt(0)
	v_add_f64 v[85:86], v[83:84], v[85:86]
	v_cmp_eq_u32_e32 vcc_lo, 0, v102
	s_delay_alu instid0(VALU_DEP_2) | instskip(NEXT) | instid1(VALU_DEP_3)
	v_dual_cndmask_b32 v83, v83, v85 :: v_dual_add_nc_u32 v102, v104, v102
	v_cndmask_b32_e32 v84, v84, v86, vcc_lo
	s_branch .LBB85_158
.LBB85_174:                             ;   in Loop: Header=BB85_159 Depth=1
                                        ; implicit-def: $vgpr83_vgpr84
                                        ; implicit-def: $vgpr85
                                        ; implicit-def: $vgpr90
	s_cbranch_execz .LBB85_159
; %bb.175:
	s_and_saveexec_b32 s26, s14
	s_cbranch_execz .LBB85_177
; %bb.176:
	v_add_f64 v[79:80], v[77:78], v[81:82]
	v_cmp_eq_u32_e32 vcc_lo, 0, v89
	s_mov_b32 s31, 0
	s_add_i32 s30, s30, 32
	v_dual_mov_b32 v84, 0 :: v_dual_add_nc_u32 v83, v99, v89
	s_waitcnt lgkmcnt(0)
	v_dual_mov_b32 v85, 2 :: v_dual_mov_b32 v86, s30
	s_lshl_b64 s[34:35], s[30:31], 4
	s_delay_alu instid0(SALU_CYCLE_1) | instskip(SKIP_1) | instid1(VALU_DEP_4)
	s_add_u32 s30, s38, s34
	s_addc_u32 s31, s39, s35
	v_dual_cndmask_b32 v80, v78, v80 :: v_dual_cndmask_b32 v79, v77, v79
	s_clause 0x1
	global_store_b32 v84, v83, s[30:31]
	global_store_b64 v84, v[79:80], s[30:31] offset:8
	s_waitcnt_vscnt null, 0x0
	buffer_gl1_inv
	buffer_gl0_inv
	global_store_b8 v86, v85, s[40:41]
	ds_store_b32 v84, v89 offset:4096
	ds_store_b64 v84, v[77:78] offset:4104
	ds_store_b32 v84, v99 offset:4112
	ds_store_b64 v84, v[81:82] offset:4120
.LBB85_177:
	s_or_b32 exec_lo, exec_lo, s26
	s_delay_alu instid0(SALU_CYCLE_1)
	s_and_b32 exec_lo, exec_lo, s2
	s_cbranch_execz .LBB85_179
; %bb.178:
	v_mov_b32_e32 v77, 0
	ds_store_b32 v77, v99 offset:4240
	ds_store_b64 v77, v[81:82] offset:4248
.LBB85_179:
	s_or_b32 exec_lo, exec_lo, s16
	s_waitcnt lgkmcnt(2)
	v_cndmask_b32_e64 v71, v71, v59, s14
	s_waitcnt lgkmcnt(1)
	v_cndmask_b32_e64 v75, v87, v75, s14
	s_waitcnt lgkmcnt(0)
	s_waitcnt_vscnt null, 0x0
	s_barrier
	buffer_gl0_inv
	v_cmp_eq_u32_e32 vcc_lo, 0, v71
	v_mov_b32_e32 v118, 0
	v_cndmask_b32_e64 v76, v88, v76, s14
	v_cndmask_b32_e64 v71, v71, 0, s2
	ds_load_b64 v[77:78], v118 offset:4248
	s_waitcnt lgkmcnt(0)
	v_add_f64 v[79:80], v[75:76], v[77:78]
	s_delay_alu instid0(VALU_DEP_1) | instskip(NEXT) | instid1(VALU_DEP_2)
	v_cndmask_b32_e32 v59, v75, v79, vcc_lo
	v_cndmask_b32_e32 v75, v76, v80, vcc_lo
	v_cmp_eq_u32_e32 vcc_lo, 0, v63
	s_delay_alu instid0(VALU_DEP_3) | instskip(NEXT) | instid1(VALU_DEP_3)
	v_cndmask_b32_e64 v99, v59, v77, s2
	v_cndmask_b32_e64 v100, v75, v78, s2
	ds_load_b32 v78, v118 offset:4240
	s_waitcnt lgkmcnt(0)
	s_barrier
	buffer_gl0_inv
	v_add_f64 v[75:76], v[53:54], v[99:100]
	ds_load_b64 v[97:98], v118 offset:4120
	ds_load_b64 v[116:117], v118 offset:4104
	ds_load_b32 v77, v118 offset:4112
	ds_load_b32 v59, v118 offset:4096
	v_dual_cndmask_b32 v102, v54, v76 :: v_dual_cndmask_b32 v101, v53, v75
	s_waitcnt lgkmcnt(0)
	v_cmp_eq_u32_e32 vcc_lo, 0, v59
	s_delay_alu instid0(VALU_DEP_2) | instskip(NEXT) | instid1(VALU_DEP_1)
	v_add_f64 v[75:76], v[55:56], v[101:102]
	v_cndmask_b32_e64 v106, v56, v76, s13
	s_delay_alu instid0(VALU_DEP_2) | instskip(NEXT) | instid1(VALU_DEP_1)
	v_cndmask_b32_e64 v105, v55, v75, s13
	v_add_f64 v[75:76], v[49:50], v[105:106]
	s_delay_alu instid0(VALU_DEP_1) | instskip(NEXT) | instid1(VALU_DEP_2)
	v_cndmask_b32_e64 v104, v50, v76, s12
	v_cndmask_b32_e64 v103, v49, v75, s12
	s_delay_alu instid0(VALU_DEP_1) | instskip(NEXT) | instid1(VALU_DEP_1)
	v_add_f64 v[75:76], v[51:52], v[103:104]
	v_cndmask_b32_e64 v88, v52, v76, s11
	s_delay_alu instid0(VALU_DEP_2) | instskip(NEXT) | instid1(VALU_DEP_1)
	v_cndmask_b32_e64 v87, v51, v75, s11
	v_add_f64 v[75:76], v[45:46], v[87:88]
	s_delay_alu instid0(VALU_DEP_1) | instskip(NEXT) | instid1(VALU_DEP_2)
	v_cndmask_b32_e64 v90, v46, v76, s10
	v_cndmask_b32_e64 v89, v45, v75, s10
	s_delay_alu instid0(VALU_DEP_1) | instskip(NEXT) | instid1(VALU_DEP_1)
	;; [unrolled: 9-line block ×5, first 2 shown]
	v_add_f64 v[75:76], v[35:36], v[83:84]
	v_cndmask_b32_e64 v86, v36, v76, s3
	s_delay_alu instid0(VALU_DEP_2) | instskip(NEXT) | instid1(VALU_DEP_1)
	v_cndmask_b32_e64 v85, v35, v75, s3
	v_add_f64 v[75:76], v[29:30], v[85:86]
	s_delay_alu instid0(VALU_DEP_1) | instskip(NEXT) | instid1(VALU_DEP_2)
	v_cndmask_b32_e64 v108, v30, v76, s1
	v_cndmask_b32_e64 v107, v29, v75, s1
	v_add_f64 v[75:76], v[97:98], v[116:117]
	v_add_nc_u32_e32 v71, v78, v71
	s_delay_alu instid0(VALU_DEP_3) | instskip(NEXT) | instid1(VALU_DEP_3)
	v_add_f64 v[97:98], v[31:32], v[107:108]
	v_dual_cndmask_b32 v76, v117, v76 :: v_dual_cndmask_b32 v75, v116, v75
	s_delay_alu instid0(VALU_DEP_2) | instskip(NEXT) | instid1(VALU_DEP_3)
	v_cndmask_b32_e64 v98, v32, v98, s0
	v_cndmask_b32_e64 v97, v31, v97, s0
	s_branch .LBB85_208
.LBB85_180:
                                        ; implicit-def: $vgpr59
                                        ; implicit-def: $vgpr75_vgpr76
                                        ; implicit-def: $vgpr77
                                        ; implicit-def: $vgpr99_vgpr100
                                        ; implicit-def: $vgpr101_vgpr102
                                        ; implicit-def: $vgpr105_vgpr106
                                        ; implicit-def: $vgpr103_vgpr104
                                        ; implicit-def: $vgpr87_vgpr88
                                        ; implicit-def: $vgpr89_vgpr90
                                        ; implicit-def: $vgpr91_vgpr92
                                        ; implicit-def: $vgpr95_vgpr96
                                        ; implicit-def: $vgpr93_vgpr94
                                        ; implicit-def: $vgpr79_vgpr80
                                        ; implicit-def: $vgpr81_vgpr82
                                        ; implicit-def: $vgpr83_vgpr84
                                        ; implicit-def: $vgpr85_vgpr86
                                        ; implicit-def: $vgpr107_vgpr108
                                        ; implicit-def: $vgpr97_vgpr98
                                        ; implicit-def: $vgpr71
	s_cbranch_execz .LBB85_208
; %bb.181:
	s_and_b32 s0, s15, exec_lo
	v_dual_mov_b32 v78, v54 :: v_dual_mov_b32 v77, v53
	s_cselect_b32 s1, 0, s25
	s_cselect_b32 s0, 0, s24
	s_delay_alu instid0(SALU_CYCLE_1)
	s_cmp_eq_u64 s[0:1], 0
	s_cbranch_scc1 .LBB85_183
; %bb.182:
	v_mov_b32_e32 v59, 0
	global_load_b64 v[77:78], v59, s[0:1]
.LBB85_183:
	v_cmp_eq_u32_e32 vcc_lo, 0, v72
	v_cmp_eq_u32_e64 s0, 0, v69
	v_cmp_eq_u32_e64 s1, 0, v70
	;; [unrolled: 1-line block ×4, first 2 shown]
	v_dual_cndmask_b32 v76, v56, v110 :: v_dual_cndmask_b32 v75, v55, v109
	v_cmp_eq_u32_e64 s5, 0, v65
	v_cmp_eq_u32_e64 s6, 0, v66
	;; [unrolled: 1-line block ×4, first 2 shown]
	v_add_f64 v[75:76], v[49:50], v[75:76]
	v_cmp_eq_u32_e64 s11, 0, v113
	v_cmp_eq_u32_e64 s12, 0, v60
	;; [unrolled: 1-line block ×4, first 2 shown]
	v_add3_u32 v59, v115, v68, v65
	v_cmp_eq_u32_e64 s13, 0, v111
	v_and_b32_e32 v71, 15, v114
	s_mov_b32 s14, exec_lo
	s_delay_alu instid0(VALU_DEP_3) | instskip(NEXT) | instid1(VALU_DEP_1)
	v_add3_u32 v59, v59, v66, v61
	v_add3_u32 v59, v59, v62, v113
	s_delay_alu instid0(VALU_DEP_1) | instskip(NEXT) | instid1(VALU_DEP_1)
	v_add3_u32 v59, v59, v60, v112
	v_add3_u32 v59, v59, v64, v111
	s_waitcnt lgkmcnt(0)
	s_delay_alu instid0(VALU_DEP_1) | instskip(SKIP_2) | instid1(VALU_DEP_1)
	v_mov_b32_dpp v79, v59 row_shr:1 row_mask:0xf bank_mask:0xf
	v_cndmask_b32_e64 v76, v50, v76, s0
	v_cndmask_b32_e64 v75, v49, v75, s0
	v_add_f64 v[75:76], v[51:52], v[75:76]
	s_delay_alu instid0(VALU_DEP_1) | instskip(NEXT) | instid1(VALU_DEP_2)
	v_cndmask_b32_e64 v76, v52, v76, s1
	v_cndmask_b32_e64 v75, v51, v75, s1
	s_delay_alu instid0(VALU_DEP_1) | instskip(NEXT) | instid1(VALU_DEP_1)
	v_add_f64 v[75:76], v[45:46], v[75:76]
	v_cndmask_b32_e64 v76, v46, v76, s3
	s_delay_alu instid0(VALU_DEP_2) | instskip(NEXT) | instid1(VALU_DEP_1)
	v_cndmask_b32_e64 v75, v45, v75, s3
	v_add_f64 v[75:76], v[47:48], v[75:76]
	s_delay_alu instid0(VALU_DEP_1) | instskip(NEXT) | instid1(VALU_DEP_2)
	v_cndmask_b32_e64 v76, v48, v76, s4
	v_cndmask_b32_e64 v75, v47, v75, s4
	s_delay_alu instid0(VALU_DEP_1) | instskip(NEXT) | instid1(VALU_DEP_1)
	v_add_f64 v[75:76], v[41:42], v[75:76]
	v_cndmask_b32_e64 v76, v42, v76, s5
	s_delay_alu instid0(VALU_DEP_2) | instskip(NEXT) | instid1(VALU_DEP_1)
	;; [unrolled: 9-line block ×5, first 2 shown]
	v_cndmask_b32_e64 v75, v29, v75, s9
	v_add_f64 v[75:76], v[31:32], v[75:76]
	s_delay_alu instid0(VALU_DEP_1) | instskip(NEXT) | instid1(VALU_DEP_2)
	v_cndmask_b32_e64 v76, v32, v76, s8
	v_cndmask_b32_e64 v75, v31, v75, s8
	s_delay_alu instid0(VALU_DEP_1) | instskip(NEXT) | instid1(VALU_DEP_1)
	v_add_f64 v[75:76], v[73:74], v[75:76]
	v_cndmask_b32_e64 v74, v74, v76, s13
	s_delay_alu instid0(VALU_DEP_2) | instskip(NEXT) | instid1(VALU_DEP_2)
	v_cndmask_b32_e64 v73, v73, v75, s13
	v_mov_b32_dpp v76, v74 row_shr:1 row_mask:0xf bank_mask:0xf
	s_delay_alu instid0(VALU_DEP_2)
	v_mov_b32_dpp v75, v73 row_shr:1 row_mask:0xf bank_mask:0xf
	v_cmpx_ne_u32_e32 0, v71
; %bb.184:
	s_delay_alu instid0(VALU_DEP_2) | instskip(SKIP_2) | instid1(VALU_DEP_2)
	v_add_f64 v[75:76], v[73:74], v[75:76]
	v_cmp_eq_u32_e64 s13, 0, v59
	v_add_nc_u32_e32 v59, v79, v59
	v_cndmask_b32_e64 v74, v74, v76, s13
	s_delay_alu instid0(VALU_DEP_4)
	v_cndmask_b32_e64 v73, v73, v75, s13
; %bb.185:
	s_or_b32 exec_lo, exec_lo, s14
	s_delay_alu instid0(VALU_DEP_3) | instskip(NEXT) | instid1(VALU_DEP_2)
	v_mov_b32_dpp v79, v59 row_shr:2 row_mask:0xf bank_mask:0xf
	v_mov_b32_dpp v75, v73 row_shr:2 row_mask:0xf bank_mask:0xf
	v_mov_b32_dpp v76, v74 row_shr:2 row_mask:0xf bank_mask:0xf
	s_mov_b32 s14, exec_lo
	v_cmpx_lt_u32_e32 1, v71
; %bb.186:
	s_delay_alu instid0(VALU_DEP_2) | instskip(SKIP_2) | instid1(VALU_DEP_2)
	v_add_f64 v[75:76], v[73:74], v[75:76]
	v_cmp_eq_u32_e64 s13, 0, v59
	v_add_nc_u32_e32 v59, v79, v59
	v_cndmask_b32_e64 v74, v74, v76, s13
	s_delay_alu instid0(VALU_DEP_4)
	v_cndmask_b32_e64 v73, v73, v75, s13
; %bb.187:
	s_or_b32 exec_lo, exec_lo, s14
	s_delay_alu instid0(VALU_DEP_3) | instskip(NEXT) | instid1(VALU_DEP_2)
	v_mov_b32_dpp v79, v59 row_shr:4 row_mask:0xf bank_mask:0xf
	v_mov_b32_dpp v75, v73 row_shr:4 row_mask:0xf bank_mask:0xf
	v_mov_b32_dpp v76, v74 row_shr:4 row_mask:0xf bank_mask:0xf
	s_mov_b32 s14, exec_lo
	v_cmpx_lt_u32_e32 3, v71
	;; [unrolled: 16-line block ×3, first 2 shown]
; %bb.190:
	s_delay_alu instid0(VALU_DEP_2) | instskip(SKIP_2) | instid1(VALU_DEP_2)
	v_add_f64 v[75:76], v[73:74], v[75:76]
	v_cmp_eq_u32_e64 s13, 0, v59
	v_add_nc_u32_e32 v59, v79, v59
	v_cndmask_b32_e64 v74, v74, v76, s13
	s_delay_alu instid0(VALU_DEP_4)
	v_cndmask_b32_e64 v73, v73, v75, s13
; %bb.191:
	s_or_b32 exec_lo, exec_lo, s14
	ds_swizzle_b32 v71, v59 offset:swizzle(BROADCAST,32,15)
	ds_swizzle_b32 v75, v73 offset:swizzle(BROADCAST,32,15)
	;; [unrolled: 1-line block ×3, first 2 shown]
	v_and_b32_e32 v79, 16, v114
	s_mov_b32 s14, exec_lo
	s_delay_alu instid0(VALU_DEP_1)
	v_cmpx_ne_u32_e32 0, v79
	s_cbranch_execz .LBB85_193
; %bb.192:
	s_waitcnt lgkmcnt(0)
	v_add_f64 v[75:76], v[73:74], v[75:76]
	v_cmp_eq_u32_e64 s13, 0, v59
	v_add_nc_u32_e32 v59, v71, v59
	s_delay_alu instid0(VALU_DEP_2) | instskip(NEXT) | instid1(VALU_DEP_4)
	v_cndmask_b32_e64 v74, v74, v76, s13
	v_cndmask_b32_e64 v73, v73, v75, s13
.LBB85_193:
	s_or_b32 exec_lo, exec_lo, s14
	s_waitcnt lgkmcnt(2)
	v_or_b32_e32 v71, 31, v0
	s_waitcnt lgkmcnt(1)
	v_lshrrev_b32_e32 v75, 5, v0
	s_delay_alu instid0(VALU_DEP_2) | instskip(NEXT) | instid1(VALU_DEP_2)
	v_cmp_eq_u32_e64 s13, v71, v0
	v_lshlrev_b32_e32 v71, 4, v75
	s_delay_alu instid0(VALU_DEP_2)
	s_and_saveexec_b32 s14, s13
	s_cbranch_execz .LBB85_195
; %bb.194:
	ds_store_b32 v71, v59 offset:4128
	ds_store_b64 v71, v[73:74] offset:4136
.LBB85_195:
	s_or_b32 exec_lo, exec_lo, s14
	s_delay_alu instid0(SALU_CYCLE_1)
	s_mov_b32 s14, exec_lo
	s_waitcnt vmcnt(0) lgkmcnt(0)
	s_barrier
	buffer_gl0_inv
	v_cmpx_gt_u32_e32 8, v0
	s_cbranch_execz .LBB85_203
; %bb.196:
	v_lshlrev_b32_e32 v81, 4, v0
	v_and_b32_e32 v83, 7, v114
	s_mov_b32 s16, exec_lo
	ds_load_b32 v82, v81 offset:4128
	ds_load_b64 v[75:76], v81 offset:4136
	s_waitcnt lgkmcnt(1)
	v_mov_b32_dpp v84, v82 row_shr:1 row_mask:0xf bank_mask:0xf
	s_waitcnt lgkmcnt(0)
	v_mov_b32_dpp v79, v75 row_shr:1 row_mask:0xf bank_mask:0xf
	v_mov_b32_dpp v80, v76 row_shr:1 row_mask:0xf bank_mask:0xf
	v_cmpx_ne_u32_e32 0, v83
; %bb.197:
	s_delay_alu instid0(VALU_DEP_2) | instskip(SKIP_2) | instid1(VALU_DEP_2)
	v_add_f64 v[79:80], v[75:76], v[79:80]
	v_cmp_eq_u32_e64 s13, 0, v82
	v_add_nc_u32_e32 v82, v84, v82
	v_cndmask_b32_e64 v76, v76, v80, s13
	s_delay_alu instid0(VALU_DEP_4)
	v_cndmask_b32_e64 v75, v75, v79, s13
; %bb.198:
	s_or_b32 exec_lo, exec_lo, s16
	s_delay_alu instid0(VALU_DEP_3) | instskip(NEXT) | instid1(VALU_DEP_2)
	v_mov_b32_dpp v84, v82 row_shr:2 row_mask:0xf bank_mask:0xf
	v_mov_b32_dpp v79, v75 row_shr:2 row_mask:0xf bank_mask:0xf
	;; [unrolled: 1-line block ×3, first 2 shown]
	s_mov_b32 s16, exec_lo
	v_cmpx_lt_u32_e32 1, v83
; %bb.199:
	s_delay_alu instid0(VALU_DEP_2) | instskip(SKIP_2) | instid1(VALU_DEP_2)
	v_add_f64 v[79:80], v[75:76], v[79:80]
	v_cmp_eq_u32_e64 s13, 0, v82
	v_add_nc_u32_e32 v82, v84, v82
	v_cndmask_b32_e64 v76, v76, v80, s13
	s_delay_alu instid0(VALU_DEP_4)
	v_cndmask_b32_e64 v75, v75, v79, s13
; %bb.200:
	s_or_b32 exec_lo, exec_lo, s16
	s_delay_alu instid0(VALU_DEP_3) | instskip(NEXT) | instid1(VALU_DEP_2)
	v_mov_b32_dpp v84, v82 row_shr:4 row_mask:0xf bank_mask:0xf
	v_mov_b32_dpp v79, v75 row_shr:4 row_mask:0xf bank_mask:0xf
	;; [unrolled: 1-line block ×3, first 2 shown]
	s_mov_b32 s16, exec_lo
	v_cmpx_lt_u32_e32 3, v83
; %bb.201:
	s_delay_alu instid0(VALU_DEP_2) | instskip(SKIP_2) | instid1(VALU_DEP_2)
	v_add_f64 v[79:80], v[75:76], v[79:80]
	v_cmp_eq_u32_e64 s13, 0, v82
	v_add_nc_u32_e32 v82, v84, v82
	v_cndmask_b32_e64 v76, v76, v80, s13
	s_delay_alu instid0(VALU_DEP_4)
	v_cndmask_b32_e64 v75, v75, v79, s13
; %bb.202:
	s_or_b32 exec_lo, exec_lo, s16
	ds_store_b32 v81, v82 offset:4128
	ds_store_b64 v81, v[75:76] offset:4136
.LBB85_203:
	s_or_b32 exec_lo, exec_lo, s14
	v_mov_b32_e32 v75, v77
	v_dual_mov_b32 v97, 0 :: v_dual_mov_b32 v76, v78
	v_mov_b32_e32 v79, 0
	s_mov_b32 s14, exec_lo
	s_waitcnt lgkmcnt(0)
	s_barrier
	buffer_gl0_inv
	v_cmpx_lt_u32_e32 31, v0
	s_cbranch_execz .LBB85_205
; %bb.204:
	ds_load_b64 v[75:76], v71 offset:4120
	ds_load_b32 v79, v71 offset:4112
	s_waitcnt lgkmcnt(1)
	v_add_f64 v[80:81], v[77:78], v[75:76]
	s_waitcnt lgkmcnt(0)
	v_cmp_eq_u32_e64 s13, 0, v79
	s_delay_alu instid0(VALU_DEP_1) | instskip(NEXT) | instid1(VALU_DEP_3)
	v_cndmask_b32_e64 v76, v76, v81, s13
	v_cndmask_b32_e64 v75, v75, v80, s13
.LBB85_205:
	s_or_b32 exec_lo, exec_lo, s14
	s_delay_alu instid0(VALU_DEP_1) | instskip(SKIP_1) | instid1(VALU_DEP_1)
	v_add_f64 v[80:81], v[73:74], v[75:76]
	v_add_nc_u32_e32 v71, -1, v114
	v_cmp_gt_i32_e64 s13, 0, v71
	s_delay_alu instid0(VALU_DEP_1) | instskip(SKIP_2) | instid1(VALU_DEP_3)
	v_cndmask_b32_e64 v71, v71, v114, s13
	v_cmp_eq_u32_e64 s13, 0, v59
	v_add_nc_u32_e32 v59, v79, v59
	v_lshlrev_b32_e32 v71, 2, v71
	ds_bpermute_b32 v59, v71, v59
	v_cndmask_b32_e64 v74, v74, v81, s13
	v_cndmask_b32_e64 v73, v73, v80, s13
	v_cmp_eq_u32_e64 s13, 0, v114
	ds_bpermute_b32 v74, v71, v74
	ds_bpermute_b32 v73, v71, v73
	s_waitcnt lgkmcnt(2)
	v_cndmask_b32_e64 v71, v59, v79, s13
	ds_load_b32 v59, v97 offset:4240
	s_waitcnt lgkmcnt(2)
	v_cndmask_b32_e64 v100, v74, v76, s13
	s_waitcnt lgkmcnt(1)
	v_cndmask_b32_e64 v99, v73, v75, s13
	v_cmp_eq_u32_e64 s13, 0, v63
	s_delay_alu instid0(VALU_DEP_3) | instskip(NEXT) | instid1(VALU_DEP_3)
	v_cndmask_b32_e64 v74, v100, v78, s2
	v_cndmask_b32_e64 v73, v99, v77, s2
	s_delay_alu instid0(VALU_DEP_1) | instskip(NEXT) | instid1(VALU_DEP_1)
	v_add_f64 v[73:74], v[53:54], v[73:74]
	v_cndmask_b32_e64 v102, v54, v74, s13
	s_delay_alu instid0(VALU_DEP_2) | instskip(NEXT) | instid1(VALU_DEP_1)
	v_cndmask_b32_e64 v101, v53, v73, s13
	v_add_f64 v[53:54], v[55:56], v[101:102]
	s_delay_alu instid0(VALU_DEP_1) | instskip(SKIP_2) | instid1(VALU_DEP_2)
	v_dual_cndmask_b32 v106, v56, v54 :: v_dual_cndmask_b32 v105, v55, v53
	s_waitcnt lgkmcnt(0)
	v_cmp_eq_u32_e32 vcc_lo, 0, v59
	v_add_f64 v[53:54], v[49:50], v[105:106]
	s_delay_alu instid0(VALU_DEP_1) | instskip(NEXT) | instid1(VALU_DEP_2)
	v_cndmask_b32_e64 v104, v50, v54, s0
	v_cndmask_b32_e64 v103, v49, v53, s0
	s_delay_alu instid0(VALU_DEP_1) | instskip(NEXT) | instid1(VALU_DEP_1)
	v_add_f64 v[49:50], v[51:52], v[103:104]
	v_cndmask_b32_e64 v88, v52, v50, s1
	s_delay_alu instid0(VALU_DEP_2) | instskip(NEXT) | instid1(VALU_DEP_1)
	v_cndmask_b32_e64 v87, v51, v49, s1
	v_add_f64 v[49:50], v[45:46], v[87:88]
	s_delay_alu instid0(VALU_DEP_1) | instskip(NEXT) | instid1(VALU_DEP_2)
	v_cndmask_b32_e64 v90, v46, v50, s3
	v_cndmask_b32_e64 v89, v45, v49, s3
	s_delay_alu instid0(VALU_DEP_1) | instskip(NEXT) | instid1(VALU_DEP_1)
	v_add_f64 v[45:46], v[47:48], v[89:90]
	v_cndmask_b32_e64 v92, v48, v46, s4
	s_delay_alu instid0(VALU_DEP_2) | instskip(NEXT) | instid1(VALU_DEP_1)
	v_cndmask_b32_e64 v91, v47, v45, s4
	;; [unrolled: 9-line block ×4, first 2 shown]
	v_add_f64 v[37:38], v[33:34], v[81:82]
	s_delay_alu instid0(VALU_DEP_1) | instskip(NEXT) | instid1(VALU_DEP_2)
	v_cndmask_b32_e64 v84, v34, v38, s11
	v_cndmask_b32_e64 v83, v33, v37, s11
	s_delay_alu instid0(VALU_DEP_1) | instskip(NEXT) | instid1(VALU_DEP_1)
	v_add_f64 v[33:34], v[35:36], v[83:84]
	v_cndmask_b32_e64 v86, v36, v34, s12
	s_delay_alu instid0(VALU_DEP_2) | instskip(SKIP_2) | instid1(VALU_DEP_1)
	v_cndmask_b32_e64 v85, v35, v33, s12
	ds_load_b64 v[35:36], v97 offset:4248
	v_add_f64 v[33:34], v[29:30], v[85:86]
	v_cndmask_b32_e64 v108, v30, v34, s9
	s_delay_alu instid0(VALU_DEP_2) | instskip(SKIP_2) | instid1(VALU_DEP_2)
	v_cndmask_b32_e64 v107, v29, v33, s9
	s_waitcnt lgkmcnt(0)
	v_add_f64 v[29:30], v[77:78], v[35:36]
	v_add_f64 v[33:34], v[31:32], v[107:108]
	s_delay_alu instid0(VALU_DEP_2) | instskip(NEXT) | instid1(VALU_DEP_2)
	v_dual_cndmask_b32 v76, v36, v30 :: v_dual_cndmask_b32 v75, v35, v29
	v_cndmask_b32_e64 v98, v32, v34, s8
	s_delay_alu instid0(VALU_DEP_3)
	v_cndmask_b32_e64 v97, v31, v33, s8
	s_and_saveexec_b32 s0, s2
	s_cbranch_execz .LBB85_207
; %bb.206:
	v_dual_mov_b32 v71, 0 :: v_dual_mov_b32 v100, v78
	v_mov_b32_e32 v29, 2
	v_mov_b32_e32 v99, v77
	s_clause 0x1
	global_store_b32 v71, v59, s[38:39] offset:512
	global_store_b64 v71, v[75:76], s[38:39] offset:520
	s_waitcnt_vscnt null, 0x0
	buffer_gl1_inv
	buffer_gl0_inv
	global_store_b8 v71, v29, s[40:41] offset:32
.LBB85_207:
	s_or_b32 exec_lo, exec_lo, s0
	v_mov_b32_e32 v77, 0
.LBB85_208:
	v_mov_b32_e32 v29, 0
	s_and_b32 s0, s15, exec_lo
	v_mov_b32_e32 v30, 0
	s_cselect_b32 s1, 0, s51
	s_cselect_b32 s0, 0, s50
	s_waitcnt lgkmcnt(0)
	s_waitcnt_vscnt null, 0x0
	s_cmp_eq_u64 s[0:1], 0
	s_barrier
	buffer_gl0_inv
	s_cbranch_scc1 .LBB85_210
; %bb.209:
	v_mov_b32_e32 v29, 0
	global_load_b64 v[29:30], v29, s[0:1]
.LBB85_210:
	v_cmp_eq_u32_e32 vcc_lo, 0, v63
	v_add_nc_u32_e32 v46, v71, v63
	v_cmp_ne_u32_e64 s13, 0, v63
	v_cmp_ne_u32_e64 s12, 0, v72
	;; [unrolled: 1-line block ×3, first 2 shown]
	v_cndmask_b32_e64 v31, 1, 2, vcc_lo
	v_cmp_eq_u32_e32 vcc_lo, 0, v72
	v_add_nc_u32_e32 v48, v46, v72
	v_cmp_ne_u32_e64 s9, 0, v70
	v_cmp_ne_u32_e64 s15, 0, v67
	;; [unrolled: 1-line block ×3, first 2 shown]
	v_cndmask_b32_e64 v32, 1, 2, vcc_lo
	v_cmp_eq_u32_e32 vcc_lo, 0, v69
	v_add_nc_u32_e32 v47, v48, v69
	v_cmp_ne_u32_e64 s11, 0, v65
	s_delay_alu instid0(VALU_DEP_4)
	v_dual_mov_b32 v78, 0 :: v_dual_and_b32 v31, v32, v31
	v_cndmask_b32_e64 v33, 1, 2, vcc_lo
	v_cmp_eq_u32_e32 vcc_lo, 0, v70
	v_add_nc_u32_e32 v45, v47, v70
	v_cmp_ne_u32_e64 s8, 0, v66
	v_cmp_ne_u32_e64 s7, 0, v61
	v_and_b32_e32 v33, v31, v33
	v_cndmask_b32_e64 v34, 1, 2, vcc_lo
	v_cmp_eq_u32_e32 vcc_lo, 0, v67
	v_add_nc_u32_e32 v44, v45, v67
	s_waitcnt vmcnt(0)
	v_lshlrev_b64 v[31:32], 3, v[29:30]
	v_cmp_ne_u32_e64 s6, 0, v62
	v_and_b32_e32 v33, v33, v34
	v_cndmask_b32_e64 v35, 1, 2, vcc_lo
	v_cmp_eq_u32_e32 vcc_lo, 0, v68
	v_add_nc_u32_e32 v43, v44, v68
	v_cmp_ne_u32_e64 s5, 0, v113
	v_cmp_ne_u32_e64 s4, 0, v60
	v_and_b32_e32 v33, v33, v35
	v_cndmask_b32_e64 v34, 1, 2, vcc_lo
	v_cmp_eq_u32_e32 vcc_lo, 0, v65
	v_add_nc_u32_e32 v42, v43, v65
	v_cmp_ne_u32_e64 s3, 0, v112
	;; [unrolled: 6-line block ×3, first 2 shown]
	s_delay_alu instid0(VALU_DEP_4) | instskip(SKIP_3) | instid1(VALU_DEP_3)
	v_and_b32_e32 v33, v33, v35
	v_cndmask_b32_e64 v34, 1, 2, vcc_lo
	v_cmp_eq_u32_e32 vcc_lo, 0, v61
	v_add_nc_u32_e32 v40, v41, v61
	v_and_b32_e32 v33, v33, v34
	v_cndmask_b32_e64 v35, 1, 2, vcc_lo
	v_cmp_eq_u32_e32 vcc_lo, 0, v62
	s_delay_alu instid0(VALU_DEP_4) | instskip(NEXT) | instid1(VALU_DEP_3)
	v_add_nc_u32_e32 v39, v40, v62
	v_and_b32_e32 v33, v33, v35
	v_cndmask_b32_e64 v34, 1, 2, vcc_lo
	v_cmp_eq_u32_e32 vcc_lo, 0, v113
	s_delay_alu instid0(VALU_DEP_4) | instskip(NEXT) | instid1(VALU_DEP_3)
	v_add_nc_u32_e32 v38, v39, v113
	v_and_b32_e32 v37, v33, v34
	v_cndmask_b32_e64 v35, 1, 2, vcc_lo
	v_cmp_eq_u32_e32 vcc_lo, 0, v60
	v_lshlrev_b64 v[33:34], 3, v[77:78]
	s_delay_alu instid0(VALU_DEP_3) | instskip(SKIP_3) | instid1(VALU_DEP_3)
	v_and_b32_e32 v35, v37, v35
	v_cndmask_b32_e64 v36, 1, 2, vcc_lo
	v_cmp_eq_u32_e32 vcc_lo, 0, v112
	v_add_nc_u32_e32 v37, v38, v60
	v_and_b32_e32 v52, v35, v36
	v_cndmask_b32_e64 v51, 1, 2, vcc_lo
	v_add_co_u32 v49, vcc_lo, s18, v31
	v_add_co_ci_u32_e32 v50, vcc_lo, s19, v32, vcc_lo
	s_delay_alu instid0(VALU_DEP_3) | instskip(NEXT) | instid1(VALU_DEP_3)
	v_and_b32_e32 v51, v52, v51
	v_add_co_u32 v49, vcc_lo, v49, v33
	s_delay_alu instid0(VALU_DEP_3)
	v_add_co_ci_u32_e32 v50, vcc_lo, v50, v34, vcc_lo
	v_cmp_eq_u32_e32 vcc_lo, 0, v64
	v_add_nc_u32_e32 v36, v37, v112
	s_mov_b32 s18, -1
	v_cndmask_b32_e64 v52, 1, 2, vcc_lo
	v_cmp_eq_u32_e32 vcc_lo, 0, v111
	s_delay_alu instid0(VALU_DEP_3) | instskip(NEXT) | instid1(VALU_DEP_3)
	v_add_nc_u32_e32 v35, v36, v64
	v_and_b32_e32 v51, v51, v52
	v_cndmask_b32_e64 v52, 1, 2, vcc_lo
	v_cmp_gt_u32_e32 vcc_lo, 0x100, v59
	s_delay_alu instid0(VALU_DEP_2) | instskip(NEXT) | instid1(VALU_DEP_1)
	v_and_b32_e32 v51, v51, v52
	v_cmp_gt_i16_e64 s16, 2, v51
	s_cbranch_vccz .LBB85_217
; %bb.211:
	s_delay_alu instid0(VALU_DEP_1)
	s_and_saveexec_b32 s18, s16
	s_cbranch_execz .LBB85_216
; %bb.212:
	s_mov_b32 s19, 0
	s_mov_b32 s16, exec_lo
	v_cmpx_ne_u16_e32 1, v51
	s_xor_b32 s16, exec_lo, s16
	s_cbranch_execnz .LBB85_282
; %bb.213:
	s_and_not1_saveexec_b32 s16, s16
	s_cbranch_execnz .LBB85_298
.LBB85_214:
	s_or_b32 exec_lo, exec_lo, s16
	s_delay_alu instid0(SALU_CYCLE_1)
	s_and_b32 exec_lo, exec_lo, s19
	s_cbranch_execz .LBB85_216
.LBB85_215:
	v_sub_nc_u32_e32 v52, v35, v77
	v_mov_b32_e32 v53, 0
	s_delay_alu instid0(VALU_DEP_1) | instskip(NEXT) | instid1(VALU_DEP_1)
	v_lshlrev_b64 v[52:53], 3, v[52:53]
	v_add_co_u32 v52, vcc_lo, v49, v52
	s_delay_alu instid0(VALU_DEP_2)
	v_add_co_ci_u32_e32 v53, vcc_lo, v50, v53, vcc_lo
	global_store_b64 v[52:53], v[57:58], off
.LBB85_216:
	s_or_b32 exec_lo, exec_lo, s18
	s_mov_b32 s18, 0
.LBB85_217:
	s_delay_alu instid0(SALU_CYCLE_1)
	s_and_b32 vcc_lo, exec_lo, s18
	s_cbranch_vccz .LBB85_227
; %bb.218:
	s_mov_b32 s16, exec_lo
	v_cmpx_gt_i16_e32 2, v51
	s_cbranch_execz .LBB85_223
; %bb.219:
	s_mov_b32 s19, 0
	s_mov_b32 s18, exec_lo
	v_cmpx_ne_u16_e32 1, v51
	s_xor_b32 s18, exec_lo, s18
	s_cbranch_execnz .LBB85_299
; %bb.220:
	s_and_not1_saveexec_b32 s0, s18
	s_cbranch_execnz .LBB85_315
.LBB85_221:
	s_or_b32 exec_lo, exec_lo, s0
	s_delay_alu instid0(SALU_CYCLE_1)
	s_and_b32 exec_lo, exec_lo, s19
	s_cbranch_execz .LBB85_223
.LBB85_222:
	v_sub_nc_u32_e32 v1, v35, v77
	s_delay_alu instid0(VALU_DEP_1)
	v_lshlrev_b32_e32 v1, 3, v1
	ds_store_b64 v1, v[57:58]
.LBB85_223:
	s_or_b32 exec_lo, exec_lo, s16
	s_delay_alu instid0(SALU_CYCLE_1)
	s_mov_b32 s1, exec_lo
	s_waitcnt lgkmcnt(0)
	s_waitcnt_vscnt null, 0x0
	s_barrier
	buffer_gl0_inv
	v_cmpx_lt_u32_e64 v0, v59
	s_cbranch_execz .LBB85_226
; %bb.224:
	v_dual_mov_b32 v2, 0 :: v_dual_lshlrev_b32 v3, 3, v0
	v_mov_b32_e32 v1, v0
	s_mov_b32 s3, 0
	.p2align	6
.LBB85_225:                             ; =>This Inner Loop Header: Depth=1
	ds_load_b64 v[4:5], v3
	v_lshlrev_b64 v[6:7], 3, v[1:2]
	v_add_nc_u32_e32 v1, 0x100, v1
	v_add_nc_u32_e32 v3, 0x800, v3
	s_delay_alu instid0(VALU_DEP_2) | instskip(NEXT) | instid1(VALU_DEP_4)
	v_cmp_ge_u32_e32 vcc_lo, v1, v59
	v_add_co_u32 v6, s0, v49, v6
	s_delay_alu instid0(VALU_DEP_1)
	v_add_co_ci_u32_e64 v7, s0, v50, v7, s0
	s_or_b32 s3, vcc_lo, s3
	s_waitcnt lgkmcnt(0)
	global_store_b64 v[6:7], v[4:5], off
	s_and_not1_b32 exec_lo, exec_lo, s3
	s_cbranch_execnz .LBB85_225
.LBB85_226:
	s_or_b32 exec_lo, exec_lo, s1
.LBB85_227:
	s_cmpk_lg_i32 s28, 0xf00
	v_cndmask_b32_e64 v1, 0, 1, s29
	s_cselect_b32 s0, -1, 0
	v_mad_i32_i24 v4, v0, -15, s28
	s_and_b32 s0, s0, s17
	s_and_b32 s1, s2, s29
	v_cndmask_b32_e64 v3, 0, 1, s0
	s_mul_hi_u32 s0, s28, 0x88888889
	v_sub_nc_u32_e32 v2, v59, v1
	s_lshr_b32 s0, s0, 3
	v_cndmask_b32_e64 v5, v63, 0, s1
	v_cmp_eq_u32_e32 vcc_lo, s0, v0
	v_cmp_ne_u32_e64 s0, 0, v4
	s_mov_b32 s16, -1
	s_waitcnt_vscnt null, 0x0
	s_barrier
	s_and_b32 vcc_lo, vcc_lo, s17
	v_add_nc_u32_e32 v3, v2, v3
	v_cndmask_b32_e64 v2, 1, v5, s0
	v_cmp_ne_u32_e64 s0, 1, v4
	buffer_gl0_inv
	v_cndmask_b32_e32 v2, v5, v2, vcc_lo
	v_cndmask_b32_e64 v6, 1, v72, s0
	v_cmp_ne_u32_e64 s0, 14, v4
	s_delay_alu instid0(VALU_DEP_3) | instskip(NEXT) | instid1(VALU_DEP_3)
	v_cmp_ne_u32_e64 s14, 0, v2
	v_cndmask_b32_e32 v11, v72, v6, vcc_lo
	s_delay_alu instid0(VALU_DEP_3) | instskip(SKIP_1) | instid1(VALU_DEP_3)
	v_cndmask_b32_e64 v7, 1, v111, s0
	v_cmp_ne_u32_e64 s0, 2, v4
	v_cmp_ne_u32_e64 s13, 0, v11
	s_delay_alu instid0(VALU_DEP_3) | instskip(NEXT) | instid1(VALU_DEP_3)
	v_cndmask_b32_e32 v10, v111, v7, vcc_lo
	v_cndmask_b32_e64 v8, 1, v69, s0
	v_cmp_ne_u32_e64 s0, 3, v4
	s_delay_alu instid0(VALU_DEP_1) | instskip(SKIP_1) | instid1(VALU_DEP_2)
	v_cndmask_b32_e64 v9, 1, v70, s0
	v_cmp_ne_u32_e64 s0, 4, v4
	v_dual_cndmask_b32 v8, v69, v8 :: v_dual_cndmask_b32 v9, v70, v9
	s_delay_alu instid0(VALU_DEP_2) | instskip(SKIP_1) | instid1(VALU_DEP_3)
	v_cndmask_b32_e64 v5, 1, v67, s0
	v_cmp_ne_u32_e64 s0, 5, v4
	v_cmp_ne_u32_e64 s12, 0, v8
	s_delay_alu instid0(VALU_DEP_4) | instskip(NEXT) | instid1(VALU_DEP_4)
	v_cmp_ne_u32_e64 s11, 0, v9
	v_cndmask_b32_e32 v16, v67, v5, vcc_lo
	s_delay_alu instid0(VALU_DEP_4) | instskip(SKIP_1) | instid1(VALU_DEP_3)
	v_cndmask_b32_e64 v6, 1, v68, s0
	v_cmp_eq_u32_e64 s0, 0, v2
	v_cmp_ne_u32_e64 s10, 0, v16
	s_delay_alu instid0(VALU_DEP_2) | instskip(SKIP_1) | instid1(VALU_DEP_1)
	v_cndmask_b32_e64 v7, 1, 2, s0
	v_cmp_eq_u32_e64 s0, 0, v11
	v_cndmask_b32_e64 v12, 1, 2, s0
	v_cmp_ne_u32_e64 s0, 6, v4
	s_delay_alu instid0(VALU_DEP_2) | instskip(NEXT) | instid1(VALU_DEP_2)
	v_and_b32_e32 v7, v12, v7
	v_cndmask_b32_e64 v13, 1, v65, s0
	v_cmp_eq_u32_e64 s0, 0, v8
	s_delay_alu instid0(VALU_DEP_2) | instskip(NEXT) | instid1(VALU_DEP_2)
	v_cndmask_b32_e32 v13, v65, v13, vcc_lo
	v_cndmask_b32_e64 v12, 1, 2, s0
	v_cmp_ne_u32_e64 s0, 7, v4
	s_delay_alu instid0(VALU_DEP_3) | instskip(NEXT) | instid1(VALU_DEP_2)
	v_cmp_ne_u32_e64 s8, 0, v13
	v_cndmask_b32_e64 v14, 1, v66, s0
	v_cmp_ne_u32_e64 s0, 8, v4
	s_delay_alu instid0(VALU_DEP_2) | instskip(NEXT) | instid1(VALU_DEP_2)
	v_dual_cndmask_b32 v14, v66, v14 :: v_dual_and_b32 v7, v7, v12
	v_cndmask_b32_e64 v15, 1, v61, s0
	v_cmp_eq_u32_e64 s0, 0, v9
	s_delay_alu instid0(VALU_DEP_3) | instskip(NEXT) | instid1(VALU_DEP_3)
	v_cmp_ne_u32_e64 s7, 0, v14
	v_cndmask_b32_e32 v15, v61, v15, vcc_lo
	s_delay_alu instid0(VALU_DEP_3) | instskip(SKIP_2) | instid1(VALU_DEP_4)
	v_cndmask_b32_e64 v12, 1, 2, s0
	v_cmp_ne_u32_e64 s0, 9, v4
	v_cndmask_b32_e32 v17, v68, v6, vcc_lo
	v_cmp_ne_u32_e64 s6, 0, v15
	s_delay_alu instid0(VALU_DEP_4) | instskip(NEXT) | instid1(VALU_DEP_4)
	v_and_b32_e32 v6, v7, v12
	v_cndmask_b32_e64 v5, 1, v62, s0
	v_cmp_eq_u32_e64 s0, 0, v16
	v_cmp_ne_u32_e64 s9, 0, v17
	s_delay_alu instid0(VALU_DEP_3) | instskip(NEXT) | instid1(VALU_DEP_3)
	v_cndmask_b32_e32 v21, v62, v5, vcc_lo
	v_cndmask_b32_e64 v7, 1, 2, s0
	v_cmp_ne_u32_e64 s0, 10, v4
	s_delay_alu instid0(VALU_DEP_3) | instskip(NEXT) | instid1(VALU_DEP_3)
	v_cmp_ne_u32_e64 s5, 0, v21
	v_and_b32_e32 v6, v6, v7
	s_delay_alu instid0(VALU_DEP_3) | instskip(SKIP_1) | instid1(VALU_DEP_2)
	v_cndmask_b32_e64 v12, 1, v113, s0
	v_cmp_ne_u32_e64 s0, 12, v4
	v_cndmask_b32_e32 v12, v113, v12, vcc_lo
	s_delay_alu instid0(VALU_DEP_2) | instskip(SKIP_1) | instid1(VALU_DEP_3)
	v_cndmask_b32_e64 v18, 1, v112, s0
	v_cmp_eq_u32_e64 s0, 0, v17
	v_cmp_ne_u32_e64 s4, 0, v12
	s_delay_alu instid0(VALU_DEP_3) | instskip(NEXT) | instid1(VALU_DEP_3)
	v_cndmask_b32_e32 v18, v112, v18, vcc_lo
	v_cndmask_b32_e64 v7, 1, 2, s0
	v_cmp_ne_u32_e64 s0, 13, v4
	s_delay_alu instid0(VALU_DEP_3) | instskip(NEXT) | instid1(VALU_DEP_3)
	v_cmp_ne_u32_e64 s2, 0, v18
	v_and_b32_e32 v6, v6, v7
	s_delay_alu instid0(VALU_DEP_3) | instskip(SKIP_1) | instid1(VALU_DEP_2)
	v_cndmask_b32_e64 v19, 1, v64, s0
	v_cmp_eq_u32_e64 s0, 0, v13
	v_cndmask_b32_e32 v19, v64, v19, vcc_lo
	s_delay_alu instid0(VALU_DEP_2) | instskip(SKIP_1) | instid1(VALU_DEP_3)
	v_cndmask_b32_e64 v7, 1, 2, s0
	v_cmp_ne_u32_e64 s0, 11, v4
	v_cmp_ne_u32_e64 s1, 0, v19
	s_delay_alu instid0(VALU_DEP_3) | instskip(NEXT) | instid1(VALU_DEP_3)
	v_and_b32_e32 v6, v6, v7
	v_cndmask_b32_e64 v4, 1, v60, s0
	v_cmp_eq_u32_e64 s0, 0, v14
	s_delay_alu instid0(VALU_DEP_2) | instskip(NEXT) | instid1(VALU_DEP_2)
	v_cndmask_b32_e32 v20, v60, v4, vcc_lo
	v_cndmask_b32_e64 v7, 1, 2, s0
	v_cmp_eq_u32_e32 vcc_lo, 0, v15
	v_cmp_ne_u32_e64 s0, 0, v10
	s_delay_alu instid0(VALU_DEP_4) | instskip(NEXT) | instid1(VALU_DEP_4)
	v_cmp_ne_u32_e64 s3, 0, v20
	v_and_b32_e32 v4, v6, v7
	v_cndmask_b32_e64 v5, 1, 2, vcc_lo
	v_add_co_u32 v6, vcc_lo, s20, v31
	v_add_co_ci_u32_e32 v7, vcc_lo, s21, v32, vcc_lo
	v_cmp_eq_u32_e32 vcc_lo, 0, v21
	s_delay_alu instid0(VALU_DEP_4)
	v_and_b32_e32 v22, v4, v5
	v_cndmask_b32_e64 v23, 1, 2, vcc_lo
	v_add_co_u32 v4, vcc_lo, v6, v33
	v_add_co_ci_u32_e32 v5, vcc_lo, v7, v34, vcc_lo
	v_lshlrev_b32_e32 v6, 3, v1
	v_cmp_eq_u32_e32 vcc_lo, 0, v12
	v_and_b32_e32 v7, v22, v23
	v_add_nc_u32_e32 v1, v77, v1
	v_cndmask_b32_e64 v22, 1, 2, vcc_lo
	v_add_co_u32 v6, vcc_lo, v6, v4
	v_add_co_ci_u32_e32 v23, vcc_lo, 0, v5, vcc_lo
	v_cmp_eq_u32_e32 vcc_lo, 0, v20
	s_delay_alu instid0(VALU_DEP_4) | instskip(SKIP_4) | instid1(VALU_DEP_4)
	v_and_b32_e32 v22, v7, v22
	v_cndmask_b32_e64 v24, 1, 2, vcc_lo
	v_add_co_u32 v6, vcc_lo, v6, -8
	v_add_co_ci_u32_e32 v7, vcc_lo, -1, v23, vcc_lo
	v_cmp_eq_u32_e32 vcc_lo, 0, v18
	v_and_b32_e32 v22, v22, v24
	v_cndmask_b32_e64 v23, 1, 2, vcc_lo
	v_cmp_eq_u32_e32 vcc_lo, 0, v19
	s_delay_alu instid0(VALU_DEP_2) | instskip(SKIP_2) | instid1(VALU_DEP_2)
	v_and_b32_e32 v2, v22, v23
	v_cndmask_b32_e64 v8, 1, 2, vcc_lo
	v_cmp_eq_u32_e32 vcc_lo, 0, v10
	v_and_b32_e32 v2, v2, v8
	v_cndmask_b32_e64 v8, 1, 2, vcc_lo
	v_cmp_gt_u32_e32 vcc_lo, 0x100, v3
	s_delay_alu instid0(VALU_DEP_2) | instskip(NEXT) | instid1(VALU_DEP_1)
	v_and_b32_e32 v2, v2, v8
	v_cmp_gt_i16_e64 s15, 2, v2
	s_cbranch_vccnz .LBB85_231
; %bb.228:
	s_and_b32 vcc_lo, exec_lo, s16
	s_cbranch_vccnz .LBB85_237
.LBB85_229:
	v_cmp_eq_u32_e32 vcc_lo, 0xff, v0
	s_and_b32 s0, vcc_lo, s17
	s_delay_alu instid0(SALU_CYCLE_1)
	s_and_saveexec_b32 s1, s0
	s_cbranch_execnz .LBB85_246
.LBB85_230:
	s_nop 0
	s_sendmsg sendmsg(MSG_DEALLOC_VGPRS)
	s_endpgm
.LBB85_231:
	s_delay_alu instid0(VALU_DEP_1)
	s_and_saveexec_b32 s16, s15
	s_cbranch_execz .LBB85_236
; %bb.232:
	s_mov_b32 s18, 0
	s_mov_b32 s15, exec_lo
	v_cmpx_ne_u16_e32 1, v2
	s_xor_b32 s15, exec_lo, s15
	s_cbranch_execnz .LBB85_316
; %bb.233:
	s_and_not1_saveexec_b32 s15, s15
	s_cbranch_execnz .LBB85_332
.LBB85_234:
	s_or_b32 exec_lo, exec_lo, s15
	s_delay_alu instid0(SALU_CYCLE_1)
	s_and_b32 exec_lo, exec_lo, s18
	s_cbranch_execz .LBB85_236
.LBB85_235:
	v_sub_nc_u32_e32 v8, v35, v1
	v_mov_b32_e32 v9, 0
	s_delay_alu instid0(VALU_DEP_1) | instskip(NEXT) | instid1(VALU_DEP_1)
	v_lshlrev_b64 v[8:9], 3, v[8:9]
	v_add_co_u32 v8, vcc_lo, v6, v8
	s_delay_alu instid0(VALU_DEP_2)
	v_add_co_ci_u32_e32 v9, vcc_lo, v7, v9, vcc_lo
	global_store_b64 v[8:9], v[97:98], off
.LBB85_236:
	s_or_b32 exec_lo, exec_lo, s16
	s_branch .LBB85_229
.LBB85_237:
	s_mov_b32 s15, exec_lo
	v_cmpx_gt_i16_e32 2, v2
	s_cbranch_execz .LBB85_242
; %bb.238:
	s_mov_b32 s18, 0
	s_mov_b32 s16, exec_lo
	v_cmpx_ne_u16_e32 1, v2
	s_xor_b32 s16, exec_lo, s16
	s_cbranch_execnz .LBB85_333
; %bb.239:
	s_and_not1_saveexec_b32 s0, s16
	s_cbranch_execnz .LBB85_349
.LBB85_240:
	s_or_b32 exec_lo, exec_lo, s0
	s_delay_alu instid0(SALU_CYCLE_1)
	s_and_b32 exec_lo, exec_lo, s18
	s_cbranch_execz .LBB85_242
.LBB85_241:
	v_sub_nc_u32_e32 v1, v35, v1
	s_delay_alu instid0(VALU_DEP_1)
	v_lshlrev_b32_e32 v1, 3, v1
	ds_store_b64 v1, v[97:98]
.LBB85_242:
	s_or_b32 exec_lo, exec_lo, s15
	s_delay_alu instid0(SALU_CYCLE_1)
	s_mov_b32 s1, exec_lo
	s_waitcnt lgkmcnt(0)
	s_waitcnt_vscnt null, 0x0
	s_barrier
	buffer_gl0_inv
	v_cmpx_lt_u32_e64 v0, v3
	s_cbranch_execz .LBB85_245
; %bb.243:
	v_dual_mov_b32 v1, v0 :: v_dual_lshlrev_b32 v8, 3, v0
	v_mov_b32_e32 v2, 0
	s_mov_b32 s2, 0
	.p2align	6
.LBB85_244:                             ; =>This Inner Loop Header: Depth=1
	ds_load_b64 v[9:10], v8
	v_lshlrev_b64 v[11:12], 3, v[1:2]
	v_add_nc_u32_e32 v1, 0x100, v1
	v_add_nc_u32_e32 v8, 0x800, v8
	s_delay_alu instid0(VALU_DEP_2) | instskip(NEXT) | instid1(VALU_DEP_4)
	v_cmp_ge_u32_e32 vcc_lo, v1, v3
	v_add_co_u32 v11, s0, v6, v11
	s_delay_alu instid0(VALU_DEP_1)
	v_add_co_ci_u32_e64 v12, s0, v7, v12, s0
	s_or_b32 s2, vcc_lo, s2
	s_waitcnt lgkmcnt(0)
	global_store_b64 v[11:12], v[9:10], off
	s_and_not1_b32 exec_lo, exec_lo, s2
	s_cbranch_execnz .LBB85_244
.LBB85_245:
	s_or_b32 exec_lo, exec_lo, s1
	v_cmp_eq_u32_e32 vcc_lo, 0xff, v0
	s_and_b32 s0, vcc_lo, s17
	s_delay_alu instid0(SALU_CYCLE_1)
	s_and_saveexec_b32 s1, s0
	s_cbranch_execz .LBB85_230
.LBB85_246:
	v_add_co_u32 v0, s0, v59, v77
	s_delay_alu instid0(VALU_DEP_1) | instskip(SKIP_1) | instid1(VALU_DEP_3)
	v_add_co_ci_u32_e64 v1, null, 0, 0, s0
	v_mov_b32_e32 v60, 0
	v_add_co_u32 v0, vcc_lo, v0, v29
	s_delay_alu instid0(VALU_DEP_3)
	v_add_co_ci_u32_e32 v1, vcc_lo, v1, v30, vcc_lo
	s_cmpk_lg_i32 s28, 0xf00
	global_store_b64 v60, v[0:1], s[22:23]
	s_cbranch_scc1 .LBB85_230
; %bb.247:
	v_lshlrev_b64 v[0:1], 3, v[59:60]
	s_delay_alu instid0(VALU_DEP_1) | instskip(NEXT) | instid1(VALU_DEP_2)
	v_add_co_u32 v0, vcc_lo, v4, v0
	v_add_co_ci_u32_e32 v1, vcc_lo, v5, v1, vcc_lo
	global_store_b64 v[0:1], v[75:76], off offset:-8
	s_nop 0
	s_sendmsg sendmsg(MSG_DEALLOC_VGPRS)
	s_endpgm
.LBB85_248:
                                        ; implicit-def: $sgpr4
                                        ; implicit-def: $vgpr111
                                        ; implicit-def: $vgpr76
                                        ; implicit-def: $vgpr112
                                        ; implicit-def: $vgpr60
                                        ; implicit-def: $vgpr113
                                        ; implicit-def: $vgpr62
                                        ; implicit-def: $vgpr61
                                        ; implicit-def: $vgpr66
                                        ; implicit-def: $vgpr65
                                        ; implicit-def: $vgpr68
                                        ; implicit-def: $vgpr67
                                        ; implicit-def: $vgpr70
                                        ; implicit-def: $vgpr69
                                        ; implicit-def: $vgpr72
	s_cbranch_execz .LBB85_114
.LBB85_249:
	v_dual_mov_b32 v64, 0 :: v_dual_lshlrev_b32 v75, 3, v0
	v_mov_b32_e32 v111, 0
	s_mov_b32 s4, exec_lo
	ds_store_b64 v75, v[57:58]
	v_cmpx_gt_u64_e64 s[0:1], v[63:64]
	s_cbranch_execz .LBB85_251
; %bb.250:
	v_cvt_i32_f64_e32 v59, v[3:4]
	v_cvt_i32_f64_e32 v60, v[57:58]
	s_delay_alu instid0(VALU_DEP_2) | instskip(NEXT) | instid1(VALU_DEP_2)
	v_mul_hi_i32 v59, 0x66666667, v59
	v_mul_hi_i32 v60, 0x66666667, v60
	s_delay_alu instid0(VALU_DEP_2) | instskip(SKIP_1) | instid1(VALU_DEP_3)
	v_lshrrev_b32_e32 v61, 31, v59
	v_ashrrev_i32_e32 v59, 2, v59
	v_lshrrev_b32_e32 v62, 31, v60
	v_ashrrev_i32_e32 v60, 2, v60
	s_delay_alu instid0(VALU_DEP_3) | instskip(NEXT) | instid1(VALU_DEP_2)
	v_add_nc_u32_e32 v59, v59, v61
	v_add_nc_u32_e32 v60, v60, v62
	s_delay_alu instid0(VALU_DEP_1)
	v_cmp_ne_u32_e32 vcc_lo, v59, v60
	v_cndmask_b32_e64 v111, 0, 1, vcc_lo
.LBB85_251:
	s_or_b32 exec_lo, exec_lo, s4
	v_add_nc_u32_e32 v63, 13, v77
	s_mov_b32 s4, exec_lo
	s_delay_alu instid0(VALU_DEP_1)
	v_cmpx_gt_u64_e64 s[0:1], v[63:64]
	s_cbranch_execz .LBB85_253
; %bb.252:
	v_cvt_i32_f64_e32 v59, v[1:2]
	v_cvt_i32_f64_e32 v60, v[3:4]
	s_delay_alu instid0(VALU_DEP_2) | instskip(NEXT) | instid1(VALU_DEP_2)
	v_mul_hi_i32 v59, 0x66666667, v59
	v_mul_hi_i32 v60, 0x66666667, v60
	s_delay_alu instid0(VALU_DEP_2) | instskip(SKIP_1) | instid1(VALU_DEP_3)
	v_lshrrev_b32_e32 v61, 31, v59
	v_ashrrev_i32_e32 v59, 2, v59
	v_lshrrev_b32_e32 v62, 31, v60
	v_ashrrev_i32_e32 v60, 2, v60
	s_delay_alu instid0(VALU_DEP_3) | instskip(NEXT) | instid1(VALU_DEP_2)
	v_add_nc_u32_e32 v59, v59, v61
	v_add_nc_u32_e32 v60, v60, v62
	s_delay_alu instid0(VALU_DEP_1)
	v_cmp_ne_u32_e32 vcc_lo, v59, v60
	v_cndmask_b32_e64 v64, 0, 1, vcc_lo
.LBB85_253:
	s_or_b32 exec_lo, exec_lo, s4
	v_dual_mov_b32 v60, 0 :: v_dual_add_nc_u32 v59, 12, v77
	v_mov_b32_e32 v112, 0
	s_mov_b32 s4, exec_lo
	s_delay_alu instid0(VALU_DEP_2)
	v_cmpx_gt_u64_e64 s[0:1], v[59:60]
	s_cbranch_execz .LBB85_255
; %bb.254:
	v_cvt_i32_f64_e32 v59, v[7:8]
	v_cvt_i32_f64_e32 v61, v[1:2]
	s_delay_alu instid0(VALU_DEP_2) | instskip(NEXT) | instid1(VALU_DEP_2)
	v_mul_hi_i32 v59, 0x66666667, v59
	v_mul_hi_i32 v61, 0x66666667, v61
	s_delay_alu instid0(VALU_DEP_2) | instskip(SKIP_1) | instid1(VALU_DEP_3)
	v_lshrrev_b32_e32 v62, 31, v59
	v_ashrrev_i32_e32 v59, 2, v59
	v_lshrrev_b32_e32 v63, 31, v61
	v_ashrrev_i32_e32 v61, 2, v61
	s_delay_alu instid0(VALU_DEP_3) | instskip(NEXT) | instid1(VALU_DEP_2)
	v_add_nc_u32_e32 v59, v59, v62
	v_add_nc_u32_e32 v61, v61, v63
	s_delay_alu instid0(VALU_DEP_1)
	v_cmp_ne_u32_e32 vcc_lo, v59, v61
	v_cndmask_b32_e64 v112, 0, 1, vcc_lo
.LBB85_255:
	s_or_b32 exec_lo, exec_lo, s4
	v_add_nc_u32_e32 v59, 11, v77
	s_mov_b32 s4, exec_lo
	s_delay_alu instid0(VALU_DEP_1)
	v_cmpx_gt_u64_e64 s[0:1], v[59:60]
	s_cbranch_execz .LBB85_257
; %bb.256:
	v_cvt_i32_f64_e32 v59, v[5:6]
	v_cvt_i32_f64_e32 v60, v[7:8]
	s_delay_alu instid0(VALU_DEP_2) | instskip(NEXT) | instid1(VALU_DEP_2)
	v_mul_hi_i32 v59, 0x66666667, v59
	v_mul_hi_i32 v60, 0x66666667, v60
	s_delay_alu instid0(VALU_DEP_2) | instskip(SKIP_1) | instid1(VALU_DEP_3)
	v_lshrrev_b32_e32 v61, 31, v59
	v_ashrrev_i32_e32 v59, 2, v59
	v_lshrrev_b32_e32 v62, 31, v60
	v_ashrrev_i32_e32 v60, 2, v60
	s_delay_alu instid0(VALU_DEP_3) | instskip(NEXT) | instid1(VALU_DEP_2)
	v_add_nc_u32_e32 v59, v59, v61
	v_add_nc_u32_e32 v60, v60, v62
	s_delay_alu instid0(VALU_DEP_1)
	v_cmp_ne_u32_e32 vcc_lo, v59, v60
	v_cndmask_b32_e64 v60, 0, 1, vcc_lo
.LBB85_257:
	s_or_b32 exec_lo, exec_lo, s4
	v_dual_mov_b32 v62, 0 :: v_dual_add_nc_u32 v61, 10, v77
	v_mov_b32_e32 v113, 0
	s_mov_b32 s4, exec_lo
	s_delay_alu instid0(VALU_DEP_2)
	;; [unrolled: 49-line block ×6, first 2 shown]
	v_cmpx_gt_u64_e64 s[0:1], v[71:72]
	s_cbranch_execz .LBB85_275
; %bb.274:
	v_cvt_i32_f64_e32 v59, v[27:28]
	v_cvt_i32_f64_e32 v63, v[21:22]
	s_delay_alu instid0(VALU_DEP_2) | instskip(NEXT) | instid1(VALU_DEP_2)
	v_mul_hi_i32 v59, 0x66666667, v59
	v_mul_hi_i32 v63, 0x66666667, v63
	s_delay_alu instid0(VALU_DEP_2) | instskip(SKIP_1) | instid1(VALU_DEP_3)
	v_lshrrev_b32_e32 v69, 31, v59
	v_ashrrev_i32_e32 v59, 2, v59
	v_lshrrev_b32_e32 v71, 31, v63
	v_ashrrev_i32_e32 v63, 2, v63
	s_delay_alu instid0(VALU_DEP_3) | instskip(NEXT) | instid1(VALU_DEP_2)
	v_add_nc_u32_e32 v59, v59, v69
	v_add_nc_u32_e32 v63, v63, v71
	s_delay_alu instid0(VALU_DEP_1)
	v_cmp_ne_u32_e32 vcc_lo, v59, v63
	v_cndmask_b32_e64 v69, 0, 1, vcc_lo
.LBB85_275:
	s_or_b32 exec_lo, exec_lo, s4
	v_add_nc_u32_e32 v71, 1, v77
	s_mov_b32 s4, exec_lo
	s_delay_alu instid0(VALU_DEP_1)
	v_cmpx_gt_u64_e64 s[0:1], v[71:72]
	s_cbranch_execz .LBB85_277
; %bb.276:
	v_cvt_i32_f64_e32 v59, v[25:26]
	v_cvt_i32_f64_e32 v63, v[27:28]
	s_delay_alu instid0(VALU_DEP_2) | instskip(NEXT) | instid1(VALU_DEP_2)
	v_mul_hi_i32 v59, 0x66666667, v59
	v_mul_hi_i32 v63, 0x66666667, v63
	s_delay_alu instid0(VALU_DEP_2) | instskip(SKIP_1) | instid1(VALU_DEP_3)
	v_lshrrev_b32_e32 v71, 31, v59
	v_ashrrev_i32_e32 v59, 2, v59
	v_lshrrev_b32_e32 v72, 31, v63
	v_ashrrev_i32_e32 v63, 2, v63
	s_delay_alu instid0(VALU_DEP_3) | instskip(NEXT) | instid1(VALU_DEP_2)
	v_add_nc_u32_e32 v59, v59, v71
	v_add_nc_u32_e32 v63, v63, v72
	s_delay_alu instid0(VALU_DEP_1)
	v_cmp_ne_u32_e32 vcc_lo, v59, v63
	v_cndmask_b32_e64 v72, 0, 1, vcc_lo
.LBB85_277:
	s_or_b32 exec_lo, exec_lo, s4
	s_waitcnt lgkmcnt(0)
	s_barrier
	buffer_gl0_inv
                                        ; implicit-def: $sgpr4
	s_and_saveexec_b32 s5, s3
	s_cbranch_execz .LBB85_281
; %bb.278:
	v_mov_b32_e32 v78, 0
	s_delay_alu instid0(VALU_DEP_1)
	v_cmp_gt_u64_e32 vcc_lo, s[0:1], v[77:78]
	s_mov_b32 s1, 0
	s_and_saveexec_b32 s0, vcc_lo
	s_cbranch_execz .LBB85_280
; %bb.279:
	v_add_nc_u32_e32 v59, -8, v75
	ds_load_b64 v[75:76], v59
	v_cvt_i32_f64_e32 v59, v[25:26]
	s_waitcnt lgkmcnt(0)
	v_cvt_i32_f64_e32 v63, v[75:76]
	s_delay_alu instid0(VALU_DEP_2) | instskip(NEXT) | instid1(VALU_DEP_1)
	v_mul_hi_i32 v59, 0x66666667, v59
	v_lshrrev_b32_e32 v71, 31, v59
	v_ashrrev_i32_e32 v59, 2, v59
	s_delay_alu instid0(VALU_DEP_1) | instskip(SKIP_1) | instid1(VALU_DEP_1)
	v_add_nc_u32_e32 v59, v59, v71
	v_mul_hi_i32 v63, 0x66666667, v63
	v_lshrrev_b32_e32 v75, 31, v63
	v_ashrrev_i32_e32 v63, 2, v63
	s_delay_alu instid0(VALU_DEP_1) | instskip(NEXT) | instid1(VALU_DEP_1)
	v_add_nc_u32_e32 v63, v63, v75
	v_cmp_ne_u32_e32 vcc_lo, v63, v59
	s_and_b32 s1, vcc_lo, exec_lo
.LBB85_280:
	s_or_b32 exec_lo, exec_lo, s0
	s_delay_alu instid0(SALU_CYCLE_1)
	s_and_b32 s4, s1, exec_lo
	s_or_b32 s15, s15, exec_lo
.LBB85_281:
	s_or_b32 exec_lo, exec_lo, s5
	v_mov_b32_e32 v76, v64
	s_mov_b32 s0, 1
	s_delay_alu instid0(SALU_CYCLE_1)
	v_mov_b32_e32 v63, s0
	s_and_saveexec_b32 s0, s15
	s_cbranch_execnz .LBB85_116
	s_branch .LBB85_117
.LBB85_282:
	s_and_saveexec_b32 s19, s13
	s_cbranch_execnz .LBB85_350
; %bb.283:
	s_or_b32 exec_lo, exec_lo, s19
	s_and_saveexec_b32 s19, s12
	s_cbranch_execnz .LBB85_351
.LBB85_284:
	s_or_b32 exec_lo, exec_lo, s19
	s_and_saveexec_b32 s19, s10
	s_cbranch_execnz .LBB85_352
.LBB85_285:
	s_or_b32 exec_lo, exec_lo, s19
	s_and_saveexec_b32 s19, s9
	s_cbranch_execnz .LBB85_353
.LBB85_286:
	s_or_b32 exec_lo, exec_lo, s19
	s_and_saveexec_b32 s19, s15
	s_cbranch_execnz .LBB85_354
.LBB85_287:
	s_or_b32 exec_lo, exec_lo, s19
	s_and_saveexec_b32 s19, s14
	s_cbranch_execnz .LBB85_355
.LBB85_288:
	s_or_b32 exec_lo, exec_lo, s19
	s_and_saveexec_b32 s19, s11
	s_cbranch_execnz .LBB85_356
.LBB85_289:
	s_or_b32 exec_lo, exec_lo, s19
	s_and_saveexec_b32 s19, s8
	s_cbranch_execnz .LBB85_357
.LBB85_290:
	s_or_b32 exec_lo, exec_lo, s19
	s_and_saveexec_b32 s19, s7
	s_cbranch_execnz .LBB85_358
.LBB85_291:
	s_or_b32 exec_lo, exec_lo, s19
	s_and_saveexec_b32 s19, s6
	s_cbranch_execnz .LBB85_359
.LBB85_292:
	s_or_b32 exec_lo, exec_lo, s19
	s_and_saveexec_b32 s19, s5
	s_cbranch_execnz .LBB85_360
.LBB85_293:
	s_or_b32 exec_lo, exec_lo, s19
	s_and_saveexec_b32 s19, s4
	s_cbranch_execnz .LBB85_361
.LBB85_294:
	s_or_b32 exec_lo, exec_lo, s19
	s_and_saveexec_b32 s19, s3
	s_cbranch_execnz .LBB85_362
.LBB85_295:
	s_or_b32 exec_lo, exec_lo, s19
	s_and_saveexec_b32 s19, s1
	s_cbranch_execz .LBB85_297
.LBB85_296:
	v_sub_nc_u32_e32 v52, v36, v77
	v_mov_b32_e32 v53, 0
	s_delay_alu instid0(VALU_DEP_1) | instskip(NEXT) | instid1(VALU_DEP_1)
	v_lshlrev_b64 v[52:53], 3, v[52:53]
	v_add_co_u32 v52, vcc_lo, v49, v52
	s_delay_alu instid0(VALU_DEP_2)
	v_add_co_ci_u32_e32 v53, vcc_lo, v50, v53, vcc_lo
	global_store_b64 v[52:53], v[3:4], off
.LBB85_297:
	s_or_b32 exec_lo, exec_lo, s19
	s_delay_alu instid0(SALU_CYCLE_1)
	s_and_b32 s19, s0, exec_lo
	s_and_not1_saveexec_b32 s16, s16
	s_cbranch_execz .LBB85_214
.LBB85_298:
	v_sub_nc_u32_e32 v52, v71, v77
	v_mov_b32_e32 v53, 0
	s_or_b32 s19, s19, exec_lo
	s_delay_alu instid0(VALU_DEP_1) | instskip(SKIP_1) | instid1(VALU_DEP_1)
	v_lshlrev_b64 v[54:55], 3, v[52:53]
	v_sub_nc_u32_e32 v52, v46, v77
	v_lshlrev_b64 v[73:74], 3, v[52:53]
	v_sub_nc_u32_e32 v52, v48, v77
	s_delay_alu instid0(VALU_DEP_4) | instskip(SKIP_1) | instid1(VALU_DEP_3)
	v_add_co_u32 v54, vcc_lo, v49, v54
	v_add_co_ci_u32_e32 v55, vcc_lo, v50, v55, vcc_lo
	v_lshlrev_b64 v[109:110], 3, v[52:53]
	v_sub_nc_u32_e32 v52, v47, v77
	v_add_co_u32 v73, vcc_lo, v49, v73
	v_add_co_ci_u32_e32 v74, vcc_lo, v50, v74, vcc_lo
	global_store_b64 v[54:55], v[25:26], off
	v_lshlrev_b64 v[54:55], 3, v[52:53]
	v_sub_nc_u32_e32 v52, v45, v77
	global_store_b64 v[73:74], v[27:28], off
	v_add_co_u32 v73, vcc_lo, v49, v109
	v_add_co_ci_u32_e32 v74, vcc_lo, v50, v110, vcc_lo
	v_lshlrev_b64 v[109:110], 3, v[52:53]
	v_sub_nc_u32_e32 v52, v44, v77
	v_add_co_u32 v54, vcc_lo, v49, v54
	v_add_co_ci_u32_e32 v55, vcc_lo, v50, v55, vcc_lo
	s_delay_alu instid0(VALU_DEP_3) | instskip(SKIP_3) | instid1(VALU_DEP_3)
	v_lshlrev_b64 v[114:115], 3, v[52:53]
	v_sub_nc_u32_e32 v52, v43, v77
	v_add_co_u32 v109, vcc_lo, v49, v109
	v_add_co_ci_u32_e32 v110, vcc_lo, v50, v110, vcc_lo
	v_lshlrev_b64 v[116:117], 3, v[52:53]
	v_sub_nc_u32_e32 v52, v42, v77
	v_add_co_u32 v114, vcc_lo, v49, v114
	v_add_co_ci_u32_e32 v115, vcc_lo, v50, v115, vcc_lo
	s_clause 0x3
	global_store_b64 v[73:74], v[21:22], off
	global_store_b64 v[54:55], v[23:24], off
	global_store_b64 v[109:110], v[17:18], off
	global_store_b64 v[114:115], v[19:20], off
	v_lshlrev_b64 v[54:55], 3, v[52:53]
	v_sub_nc_u32_e32 v52, v41, v77
	v_add_co_u32 v73, vcc_lo, v49, v116
	v_add_co_ci_u32_e32 v74, vcc_lo, v50, v117, vcc_lo
	s_delay_alu instid0(VALU_DEP_3) | instskip(SKIP_3) | instid1(VALU_DEP_3)
	v_lshlrev_b64 v[109:110], 3, v[52:53]
	v_sub_nc_u32_e32 v52, v40, v77
	v_add_co_u32 v54, vcc_lo, v49, v54
	v_add_co_ci_u32_e32 v55, vcc_lo, v50, v55, vcc_lo
	v_lshlrev_b64 v[114:115], 3, v[52:53]
	v_sub_nc_u32_e32 v52, v39, v77
	v_add_co_u32 v109, vcc_lo, v49, v109
	v_add_co_ci_u32_e32 v110, vcc_lo, v50, v110, vcc_lo
	s_delay_alu instid0(VALU_DEP_3)
	v_lshlrev_b64 v[116:117], 3, v[52:53]
	v_sub_nc_u32_e32 v52, v38, v77
	v_add_co_u32 v114, vcc_lo, v49, v114
	v_add_co_ci_u32_e32 v115, vcc_lo, v50, v115, vcc_lo
	s_clause 0x3
	global_store_b64 v[73:74], v[13:14], off
	global_store_b64 v[54:55], v[15:16], off
	;; [unrolled: 1-line block ×4, first 2 shown]
	v_lshlrev_b64 v[54:55], 3, v[52:53]
	v_sub_nc_u32_e32 v52, v37, v77
	v_add_co_u32 v73, vcc_lo, v49, v116
	v_add_co_ci_u32_e32 v74, vcc_lo, v50, v117, vcc_lo
	s_delay_alu instid0(VALU_DEP_3) | instskip(SKIP_3) | instid1(VALU_DEP_3)
	v_lshlrev_b64 v[109:110], 3, v[52:53]
	v_sub_nc_u32_e32 v52, v36, v77
	v_add_co_u32 v54, vcc_lo, v49, v54
	v_add_co_ci_u32_e32 v55, vcc_lo, v50, v55, vcc_lo
	v_lshlrev_b64 v[52:53], 3, v[52:53]
	v_add_co_u32 v109, vcc_lo, v49, v109
	v_add_co_ci_u32_e32 v110, vcc_lo, v50, v110, vcc_lo
	s_clause 0x2
	global_store_b64 v[73:74], v[5:6], off
	global_store_b64 v[54:55], v[7:8], off
	;; [unrolled: 1-line block ×3, first 2 shown]
	v_add_co_u32 v52, vcc_lo, v49, v52
	v_add_co_ci_u32_e32 v53, vcc_lo, v50, v53, vcc_lo
	global_store_b64 v[52:53], v[3:4], off
	s_or_b32 exec_lo, exec_lo, s16
	s_delay_alu instid0(SALU_CYCLE_1)
	s_and_b32 exec_lo, exec_lo, s19
	s_cbranch_execnz .LBB85_215
	s_branch .LBB85_216
.LBB85_299:
	s_and_saveexec_b32 s19, s13
	s_cbranch_execnz .LBB85_363
; %bb.300:
	s_or_b32 exec_lo, exec_lo, s19
	s_and_saveexec_b32 s13, s12
	s_cbranch_execnz .LBB85_364
.LBB85_301:
	s_or_b32 exec_lo, exec_lo, s13
	s_and_saveexec_b32 s12, s10
	s_cbranch_execnz .LBB85_365
.LBB85_302:
	s_or_b32 exec_lo, exec_lo, s12
	s_and_saveexec_b32 s10, s9
	s_cbranch_execnz .LBB85_366
.LBB85_303:
	s_or_b32 exec_lo, exec_lo, s10
	s_and_saveexec_b32 s9, s15
	s_cbranch_execnz .LBB85_367
.LBB85_304:
	s_or_b32 exec_lo, exec_lo, s9
	s_and_saveexec_b32 s9, s14
	s_cbranch_execnz .LBB85_368
.LBB85_305:
	s_or_b32 exec_lo, exec_lo, s9
	s_and_saveexec_b32 s9, s11
	s_cbranch_execnz .LBB85_369
.LBB85_306:
	s_or_b32 exec_lo, exec_lo, s9
	s_and_saveexec_b32 s9, s8
	s_cbranch_execnz .LBB85_370
.LBB85_307:
	s_or_b32 exec_lo, exec_lo, s9
	s_and_saveexec_b32 s8, s7
	s_cbranch_execnz .LBB85_371
.LBB85_308:
	s_or_b32 exec_lo, exec_lo, s8
	s_and_saveexec_b32 s7, s6
	s_cbranch_execnz .LBB85_372
.LBB85_309:
	s_or_b32 exec_lo, exec_lo, s7
	s_and_saveexec_b32 s6, s5
	s_cbranch_execnz .LBB85_373
.LBB85_310:
	s_or_b32 exec_lo, exec_lo, s6
	s_and_saveexec_b32 s5, s4
	s_cbranch_execnz .LBB85_374
.LBB85_311:
	s_or_b32 exec_lo, exec_lo, s5
	s_and_saveexec_b32 s4, s3
	s_cbranch_execnz .LBB85_375
.LBB85_312:
	s_or_b32 exec_lo, exec_lo, s4
	s_and_saveexec_b32 s3, s1
	s_cbranch_execz .LBB85_314
.LBB85_313:
	v_sub_nc_u32_e32 v1, v36, v77
	s_delay_alu instid0(VALU_DEP_1)
	v_lshlrev_b32_e32 v1, 3, v1
	ds_store_b64 v1, v[3:4]
.LBB85_314:
	s_or_b32 exec_lo, exec_lo, s3
	s_delay_alu instid0(SALU_CYCLE_1)
	s_and_b32 s19, s0, exec_lo
                                        ; implicit-def: $vgpr25_vgpr26
                                        ; implicit-def: $vgpr21_vgpr22
                                        ; implicit-def: $vgpr17_vgpr18
                                        ; implicit-def: $vgpr13_vgpr14
                                        ; implicit-def: $vgpr9_vgpr10
                                        ; implicit-def: $vgpr5_vgpr6
                                        ; implicit-def: $vgpr1_vgpr2
	s_and_not1_saveexec_b32 s0, s18
	s_cbranch_execz .LBB85_221
.LBB85_315:
	v_sub_nc_u32_e32 v51, v71, v77
	v_sub_nc_u32_e32 v52, v46, v77
	;; [unrolled: 1-line block ×4, first 2 shown]
	s_or_b32 s19, s19, exec_lo
	v_lshlrev_b32_e32 v51, 3, v51
	v_lshlrev_b32_e32 v52, 3, v52
	;; [unrolled: 1-line block ×4, first 2 shown]
	ds_store_b64 v51, v[25:26]
	ds_store_b64 v52, v[27:28]
	;; [unrolled: 1-line block ×3, first 2 shown]
	v_sub_nc_u32_e32 v21, v45, v77
	v_sub_nc_u32_e32 v22, v44, v77
	ds_store_b64 v54, v[23:24]
	v_sub_nc_u32_e32 v23, v43, v77
	v_sub_nc_u32_e32 v24, v42, v77
	v_lshlrev_b32_e32 v21, 3, v21
	v_sub_nc_u32_e32 v25, v41, v77
	v_lshlrev_b32_e32 v22, 3, v22
	v_lshlrev_b32_e32 v23, 3, v23
	;; [unrolled: 1-line block ×3, first 2 shown]
	ds_store_b64 v21, v[17:18]
	v_lshlrev_b32_e32 v17, 3, v25
	ds_store_b64 v22, v[19:20]
	ds_store_b64 v23, v[13:14]
	;; [unrolled: 1-line block ×3, first 2 shown]
	v_sub_nc_u32_e32 v13, v40, v77
	v_sub_nc_u32_e32 v15, v36, v77
	;; [unrolled: 1-line block ×3, first 2 shown]
	ds_store_b64 v17, v[9:10]
	v_sub_nc_u32_e32 v9, v39, v77
	v_lshlrev_b32_e32 v13, 3, v13
	v_sub_nc_u32_e32 v10, v38, v77
	v_lshlrev_b32_e32 v14, 3, v14
	s_delay_alu instid0(VALU_DEP_4)
	v_lshlrev_b32_e32 v9, 3, v9
	ds_store_b64 v13, v[11:12]
	v_lshlrev_b32_e32 v11, 3, v15
	v_lshlrev_b32_e32 v10, 3, v10
	ds_store_b64 v9, v[5:6]
	ds_store_b64 v10, v[7:8]
	;; [unrolled: 1-line block ×4, first 2 shown]
	s_or_b32 exec_lo, exec_lo, s0
	s_delay_alu instid0(SALU_CYCLE_1)
	s_and_b32 exec_lo, exec_lo, s19
	s_cbranch_execnz .LBB85_222
	s_branch .LBB85_223
.LBB85_316:
	s_and_saveexec_b32 s18, s14
	s_cbranch_execnz .LBB85_376
; %bb.317:
	s_or_b32 exec_lo, exec_lo, s18
	s_and_saveexec_b32 s18, s13
	s_cbranch_execnz .LBB85_377
.LBB85_318:
	s_or_b32 exec_lo, exec_lo, s18
	s_and_saveexec_b32 s18, s12
	s_cbranch_execnz .LBB85_378
.LBB85_319:
	s_or_b32 exec_lo, exec_lo, s18
	s_and_saveexec_b32 s18, s11
	s_cbranch_execnz .LBB85_379
.LBB85_320:
	s_or_b32 exec_lo, exec_lo, s18
	s_and_saveexec_b32 s18, s10
	s_cbranch_execnz .LBB85_380
.LBB85_321:
	s_or_b32 exec_lo, exec_lo, s18
	s_and_saveexec_b32 s18, s9
	s_cbranch_execnz .LBB85_381
.LBB85_322:
	s_or_b32 exec_lo, exec_lo, s18
	s_and_saveexec_b32 s18, s8
	s_cbranch_execnz .LBB85_382
.LBB85_323:
	s_or_b32 exec_lo, exec_lo, s18
	s_and_saveexec_b32 s18, s7
	s_cbranch_execnz .LBB85_383
.LBB85_324:
	s_or_b32 exec_lo, exec_lo, s18
	s_and_saveexec_b32 s18, s6
	s_cbranch_execnz .LBB85_384
.LBB85_325:
	s_or_b32 exec_lo, exec_lo, s18
	s_and_saveexec_b32 s18, s5
	s_cbranch_execnz .LBB85_385
.LBB85_326:
	s_or_b32 exec_lo, exec_lo, s18
	s_and_saveexec_b32 s18, s4
	s_cbranch_execnz .LBB85_386
.LBB85_327:
	s_or_b32 exec_lo, exec_lo, s18
	s_and_saveexec_b32 s18, s3
	s_cbranch_execnz .LBB85_387
.LBB85_328:
	s_or_b32 exec_lo, exec_lo, s18
	s_and_saveexec_b32 s18, s2
	s_cbranch_execnz .LBB85_388
.LBB85_329:
	s_or_b32 exec_lo, exec_lo, s18
	s_and_saveexec_b32 s18, s1
	s_cbranch_execz .LBB85_331
.LBB85_330:
	v_sub_nc_u32_e32 v8, v36, v1
	v_mov_b32_e32 v9, 0
	s_delay_alu instid0(VALU_DEP_1) | instskip(NEXT) | instid1(VALU_DEP_1)
	v_lshlrev_b64 v[8:9], 3, v[8:9]
	v_add_co_u32 v8, vcc_lo, v6, v8
	s_delay_alu instid0(VALU_DEP_2)
	v_add_co_ci_u32_e32 v9, vcc_lo, v7, v9, vcc_lo
	global_store_b64 v[8:9], v[107:108], off
.LBB85_331:
	s_or_b32 exec_lo, exec_lo, s18
	s_delay_alu instid0(SALU_CYCLE_1)
	s_and_b32 s18, s0, exec_lo
	s_and_not1_saveexec_b32 s15, s15
	s_cbranch_execz .LBB85_234
.LBB85_332:
	v_sub_nc_u32_e32 v8, v71, v1
	v_mov_b32_e32 v9, 0
	s_or_b32 s18, s18, exec_lo
	s_delay_alu instid0(VALU_DEP_1) | instskip(SKIP_1) | instid1(VALU_DEP_1)
	v_lshlrev_b64 v[10:11], 3, v[8:9]
	v_sub_nc_u32_e32 v8, v46, v1
	v_lshlrev_b64 v[12:13], 3, v[8:9]
	v_sub_nc_u32_e32 v8, v48, v1
	s_delay_alu instid0(VALU_DEP_4) | instskip(SKIP_1) | instid1(VALU_DEP_3)
	v_add_co_u32 v10, vcc_lo, v6, v10
	v_add_co_ci_u32_e32 v11, vcc_lo, v7, v11, vcc_lo
	v_lshlrev_b64 v[14:15], 3, v[8:9]
	v_sub_nc_u32_e32 v8, v47, v1
	v_add_co_u32 v12, vcc_lo, v6, v12
	v_add_co_ci_u32_e32 v13, vcc_lo, v7, v13, vcc_lo
	global_store_b64 v[10:11], v[99:100], off
	v_lshlrev_b64 v[10:11], 3, v[8:9]
	v_sub_nc_u32_e32 v8, v45, v1
	global_store_b64 v[12:13], v[101:102], off
	v_add_co_u32 v12, vcc_lo, v6, v14
	v_add_co_ci_u32_e32 v13, vcc_lo, v7, v15, vcc_lo
	v_lshlrev_b64 v[14:15], 3, v[8:9]
	v_sub_nc_u32_e32 v8, v44, v1
	v_add_co_u32 v10, vcc_lo, v6, v10
	v_add_co_ci_u32_e32 v11, vcc_lo, v7, v11, vcc_lo
	s_delay_alu instid0(VALU_DEP_3) | instskip(SKIP_3) | instid1(VALU_DEP_3)
	v_lshlrev_b64 v[16:17], 3, v[8:9]
	v_sub_nc_u32_e32 v8, v43, v1
	v_add_co_u32 v14, vcc_lo, v6, v14
	v_add_co_ci_u32_e32 v15, vcc_lo, v7, v15, vcc_lo
	v_lshlrev_b64 v[18:19], 3, v[8:9]
	v_sub_nc_u32_e32 v8, v42, v1
	v_add_co_u32 v16, vcc_lo, v6, v16
	v_add_co_ci_u32_e32 v17, vcc_lo, v7, v17, vcc_lo
	s_clause 0x3
	global_store_b64 v[12:13], v[105:106], off
	global_store_b64 v[10:11], v[103:104], off
	;; [unrolled: 1-line block ×4, first 2 shown]
	v_lshlrev_b64 v[10:11], 3, v[8:9]
	v_sub_nc_u32_e32 v8, v41, v1
	v_add_co_u32 v12, vcc_lo, v6, v18
	v_add_co_ci_u32_e32 v13, vcc_lo, v7, v19, vcc_lo
	s_delay_alu instid0(VALU_DEP_3) | instskip(SKIP_3) | instid1(VALU_DEP_3)
	v_lshlrev_b64 v[14:15], 3, v[8:9]
	v_sub_nc_u32_e32 v8, v40, v1
	v_add_co_u32 v10, vcc_lo, v6, v10
	v_add_co_ci_u32_e32 v11, vcc_lo, v7, v11, vcc_lo
	v_lshlrev_b64 v[16:17], 3, v[8:9]
	v_sub_nc_u32_e32 v8, v39, v1
	v_add_co_u32 v14, vcc_lo, v6, v14
	v_add_co_ci_u32_e32 v15, vcc_lo, v7, v15, vcc_lo
	s_delay_alu instid0(VALU_DEP_3)
	v_lshlrev_b64 v[18:19], 3, v[8:9]
	v_sub_nc_u32_e32 v8, v38, v1
	v_add_co_u32 v16, vcc_lo, v6, v16
	v_add_co_ci_u32_e32 v17, vcc_lo, v7, v17, vcc_lo
	s_clause 0x3
	global_store_b64 v[12:13], v[91:92], off
	global_store_b64 v[10:11], v[95:96], off
	;; [unrolled: 1-line block ×4, first 2 shown]
	v_lshlrev_b64 v[10:11], 3, v[8:9]
	v_sub_nc_u32_e32 v8, v37, v1
	v_add_co_u32 v12, vcc_lo, v6, v18
	v_add_co_ci_u32_e32 v13, vcc_lo, v7, v19, vcc_lo
	s_delay_alu instid0(VALU_DEP_3) | instskip(SKIP_3) | instid1(VALU_DEP_3)
	v_lshlrev_b64 v[14:15], 3, v[8:9]
	v_sub_nc_u32_e32 v8, v36, v1
	v_add_co_u32 v10, vcc_lo, v6, v10
	v_add_co_ci_u32_e32 v11, vcc_lo, v7, v11, vcc_lo
	v_lshlrev_b64 v[8:9], 3, v[8:9]
	v_add_co_u32 v14, vcc_lo, v6, v14
	v_add_co_ci_u32_e32 v15, vcc_lo, v7, v15, vcc_lo
	s_clause 0x2
	global_store_b64 v[12:13], v[81:82], off
	global_store_b64 v[10:11], v[83:84], off
	;; [unrolled: 1-line block ×3, first 2 shown]
	v_add_co_u32 v8, vcc_lo, v6, v8
	v_add_co_ci_u32_e32 v9, vcc_lo, v7, v9, vcc_lo
	global_store_b64 v[8:9], v[107:108], off
	s_or_b32 exec_lo, exec_lo, s15
	s_delay_alu instid0(SALU_CYCLE_1)
	s_and_b32 exec_lo, exec_lo, s18
	s_cbranch_execnz .LBB85_235
	s_branch .LBB85_236
.LBB85_333:
	s_and_saveexec_b32 s18, s14
	s_cbranch_execnz .LBB85_389
; %bb.334:
	s_or_b32 exec_lo, exec_lo, s18
	s_and_saveexec_b32 s14, s13
	s_cbranch_execnz .LBB85_390
.LBB85_335:
	s_or_b32 exec_lo, exec_lo, s14
	s_and_saveexec_b32 s13, s12
	s_cbranch_execnz .LBB85_391
.LBB85_336:
	s_or_b32 exec_lo, exec_lo, s13
	s_and_saveexec_b32 s12, s11
	s_cbranch_execnz .LBB85_392
.LBB85_337:
	s_or_b32 exec_lo, exec_lo, s12
	s_and_saveexec_b32 s11, s10
	s_cbranch_execnz .LBB85_393
.LBB85_338:
	s_or_b32 exec_lo, exec_lo, s11
	s_and_saveexec_b32 s10, s9
	s_cbranch_execnz .LBB85_394
.LBB85_339:
	s_or_b32 exec_lo, exec_lo, s10
	s_and_saveexec_b32 s9, s8
	s_cbranch_execnz .LBB85_395
.LBB85_340:
	s_or_b32 exec_lo, exec_lo, s9
	s_and_saveexec_b32 s8, s7
	s_cbranch_execnz .LBB85_396
.LBB85_341:
	s_or_b32 exec_lo, exec_lo, s8
	s_and_saveexec_b32 s7, s6
	s_cbranch_execnz .LBB85_397
.LBB85_342:
	s_or_b32 exec_lo, exec_lo, s7
	s_and_saveexec_b32 s6, s5
	s_cbranch_execnz .LBB85_398
.LBB85_343:
	s_or_b32 exec_lo, exec_lo, s6
	s_and_saveexec_b32 s5, s4
	s_cbranch_execnz .LBB85_399
.LBB85_344:
	s_or_b32 exec_lo, exec_lo, s5
	s_and_saveexec_b32 s4, s3
	s_cbranch_execnz .LBB85_400
.LBB85_345:
	s_or_b32 exec_lo, exec_lo, s4
	s_and_saveexec_b32 s3, s2
	s_cbranch_execnz .LBB85_401
.LBB85_346:
	s_or_b32 exec_lo, exec_lo, s3
	s_and_saveexec_b32 s2, s1
	s_cbranch_execz .LBB85_348
.LBB85_347:
	v_sub_nc_u32_e32 v2, v36, v1
	s_delay_alu instid0(VALU_DEP_1)
	v_lshlrev_b32_e32 v2, 3, v2
	ds_store_b64 v2, v[107:108]
.LBB85_348:
	s_or_b32 exec_lo, exec_lo, s2
	s_delay_alu instid0(SALU_CYCLE_1)
	s_and_b32 s18, s0, exec_lo
                                        ; implicit-def: $vgpr99_vgpr100
                                        ; implicit-def: $vgpr101_vgpr102
                                        ; implicit-def: $vgpr105_vgpr106
                                        ; implicit-def: $vgpr103_vgpr104
                                        ; implicit-def: $vgpr87_vgpr88
                                        ; implicit-def: $vgpr89_vgpr90
                                        ; implicit-def: $vgpr91_vgpr92
                                        ; implicit-def: $vgpr95_vgpr96
                                        ; implicit-def: $vgpr93_vgpr94
                                        ; implicit-def: $vgpr79_vgpr80
                                        ; implicit-def: $vgpr81_vgpr82
                                        ; implicit-def: $vgpr83_vgpr84
                                        ; implicit-def: $vgpr85_vgpr86
                                        ; implicit-def: $vgpr107_vgpr108
                                        ; implicit-def: $vgpr71
                                        ; implicit-def: $vgpr46
                                        ; implicit-def: $vgpr48
                                        ; implicit-def: $vgpr47
                                        ; implicit-def: $vgpr45
                                        ; implicit-def: $vgpr44
                                        ; implicit-def: $vgpr43
                                        ; implicit-def: $vgpr42
                                        ; implicit-def: $vgpr41
                                        ; implicit-def: $vgpr40
                                        ; implicit-def: $vgpr39
                                        ; implicit-def: $vgpr38
                                        ; implicit-def: $vgpr37
                                        ; implicit-def: $vgpr36
	s_and_not1_saveexec_b32 s0, s16
	s_cbranch_execz .LBB85_240
.LBB85_349:
	v_sub_nc_u32_e32 v2, v71, v1
	v_sub_nc_u32_e32 v8, v46, v1
	;; [unrolled: 1-line block ×5, first 2 shown]
	v_lshlrev_b32_e32 v2, 3, v2
	v_lshlrev_b32_e32 v8, 3, v8
	;; [unrolled: 1-line block ×4, first 2 shown]
	s_or_b32 s18, s18, exec_lo
	ds_store_b64 v2, v[99:100]
	ds_store_b64 v8, v[101:102]
	;; [unrolled: 1-line block ×3, first 2 shown]
	v_sub_nc_u32_e32 v2, v45, v1
	v_sub_nc_u32_e32 v8, v44, v1
	;; [unrolled: 1-line block ×3, first 2 shown]
	ds_store_b64 v10, v[103:104]
	v_sub_nc_u32_e32 v10, v42, v1
	v_lshlrev_b32_e32 v2, 3, v2
	v_lshlrev_b32_e32 v8, 3, v8
	v_lshlrev_b32_e32 v9, 3, v9
	s_delay_alu instid0(VALU_DEP_4)
	v_lshlrev_b32_e32 v10, 3, v10
	ds_store_b64 v2, v[87:88]
	v_lshlrev_b32_e32 v2, 3, v11
	ds_store_b64 v8, v[89:90]
	ds_store_b64 v9, v[91:92]
	;; [unrolled: 1-line block ×3, first 2 shown]
	v_sub_nc_u32_e32 v8, v40, v1
	v_sub_nc_u32_e32 v11, v36, v1
	;; [unrolled: 1-line block ×3, first 2 shown]
	ds_store_b64 v2, v[93:94]
	v_sub_nc_u32_e32 v2, v39, v1
	v_lshlrev_b32_e32 v8, 3, v8
	v_sub_nc_u32_e32 v10, v37, v1
	v_lshlrev_b32_e32 v9, 3, v9
	s_delay_alu instid0(VALU_DEP_4)
	v_lshlrev_b32_e32 v2, 3, v2
	ds_store_b64 v8, v[79:80]
	v_lshlrev_b32_e32 v8, 3, v11
	v_lshlrev_b32_e32 v10, 3, v10
	ds_store_b64 v2, v[81:82]
	ds_store_b64 v9, v[83:84]
	;; [unrolled: 1-line block ×4, first 2 shown]
	s_or_b32 exec_lo, exec_lo, s0
	s_delay_alu instid0(SALU_CYCLE_1)
	s_and_b32 exec_lo, exec_lo, s18
	s_cbranch_execnz .LBB85_241
	s_branch .LBB85_242
.LBB85_350:
	v_sub_nc_u32_e32 v52, v71, v77
	v_mov_b32_e32 v53, 0
	s_delay_alu instid0(VALU_DEP_1) | instskip(NEXT) | instid1(VALU_DEP_1)
	v_lshlrev_b64 v[52:53], 3, v[52:53]
	v_add_co_u32 v52, vcc_lo, v49, v52
	s_delay_alu instid0(VALU_DEP_2)
	v_add_co_ci_u32_e32 v53, vcc_lo, v50, v53, vcc_lo
	global_store_b64 v[52:53], v[25:26], off
	s_or_b32 exec_lo, exec_lo, s19
	s_and_saveexec_b32 s19, s12
	s_cbranch_execz .LBB85_284
.LBB85_351:
	v_sub_nc_u32_e32 v52, v46, v77
	v_mov_b32_e32 v53, 0
	s_delay_alu instid0(VALU_DEP_1) | instskip(NEXT) | instid1(VALU_DEP_1)
	v_lshlrev_b64 v[52:53], 3, v[52:53]
	v_add_co_u32 v52, vcc_lo, v49, v52
	s_delay_alu instid0(VALU_DEP_2)
	v_add_co_ci_u32_e32 v53, vcc_lo, v50, v53, vcc_lo
	global_store_b64 v[52:53], v[27:28], off
	s_or_b32 exec_lo, exec_lo, s19
	s_and_saveexec_b32 s19, s10
	s_cbranch_execz .LBB85_285
.LBB85_352:
	v_sub_nc_u32_e32 v52, v48, v77
	v_mov_b32_e32 v53, 0
	s_delay_alu instid0(VALU_DEP_1) | instskip(NEXT) | instid1(VALU_DEP_1)
	v_lshlrev_b64 v[52:53], 3, v[52:53]
	v_add_co_u32 v52, vcc_lo, v49, v52
	s_delay_alu instid0(VALU_DEP_2)
	v_add_co_ci_u32_e32 v53, vcc_lo, v50, v53, vcc_lo
	global_store_b64 v[52:53], v[21:22], off
	s_or_b32 exec_lo, exec_lo, s19
	s_and_saveexec_b32 s19, s9
	s_cbranch_execz .LBB85_286
.LBB85_353:
	v_sub_nc_u32_e32 v52, v47, v77
	v_mov_b32_e32 v53, 0
	s_delay_alu instid0(VALU_DEP_1) | instskip(NEXT) | instid1(VALU_DEP_1)
	v_lshlrev_b64 v[52:53], 3, v[52:53]
	v_add_co_u32 v52, vcc_lo, v49, v52
	s_delay_alu instid0(VALU_DEP_2)
	v_add_co_ci_u32_e32 v53, vcc_lo, v50, v53, vcc_lo
	global_store_b64 v[52:53], v[23:24], off
	s_or_b32 exec_lo, exec_lo, s19
	s_and_saveexec_b32 s19, s15
	s_cbranch_execz .LBB85_287
.LBB85_354:
	v_sub_nc_u32_e32 v52, v45, v77
	v_mov_b32_e32 v53, 0
	s_delay_alu instid0(VALU_DEP_1) | instskip(NEXT) | instid1(VALU_DEP_1)
	v_lshlrev_b64 v[52:53], 3, v[52:53]
	v_add_co_u32 v52, vcc_lo, v49, v52
	s_delay_alu instid0(VALU_DEP_2)
	v_add_co_ci_u32_e32 v53, vcc_lo, v50, v53, vcc_lo
	global_store_b64 v[52:53], v[17:18], off
	s_or_b32 exec_lo, exec_lo, s19
	s_and_saveexec_b32 s19, s14
	s_cbranch_execz .LBB85_288
.LBB85_355:
	v_sub_nc_u32_e32 v52, v44, v77
	v_mov_b32_e32 v53, 0
	s_delay_alu instid0(VALU_DEP_1) | instskip(NEXT) | instid1(VALU_DEP_1)
	v_lshlrev_b64 v[52:53], 3, v[52:53]
	v_add_co_u32 v52, vcc_lo, v49, v52
	s_delay_alu instid0(VALU_DEP_2)
	v_add_co_ci_u32_e32 v53, vcc_lo, v50, v53, vcc_lo
	global_store_b64 v[52:53], v[19:20], off
	s_or_b32 exec_lo, exec_lo, s19
	s_and_saveexec_b32 s19, s11
	s_cbranch_execz .LBB85_289
.LBB85_356:
	v_sub_nc_u32_e32 v52, v43, v77
	v_mov_b32_e32 v53, 0
	s_delay_alu instid0(VALU_DEP_1) | instskip(NEXT) | instid1(VALU_DEP_1)
	v_lshlrev_b64 v[52:53], 3, v[52:53]
	v_add_co_u32 v52, vcc_lo, v49, v52
	s_delay_alu instid0(VALU_DEP_2)
	v_add_co_ci_u32_e32 v53, vcc_lo, v50, v53, vcc_lo
	global_store_b64 v[52:53], v[13:14], off
	s_or_b32 exec_lo, exec_lo, s19
	s_and_saveexec_b32 s19, s8
	s_cbranch_execz .LBB85_290
.LBB85_357:
	v_sub_nc_u32_e32 v52, v42, v77
	v_mov_b32_e32 v53, 0
	s_delay_alu instid0(VALU_DEP_1) | instskip(NEXT) | instid1(VALU_DEP_1)
	v_lshlrev_b64 v[52:53], 3, v[52:53]
	v_add_co_u32 v52, vcc_lo, v49, v52
	s_delay_alu instid0(VALU_DEP_2)
	v_add_co_ci_u32_e32 v53, vcc_lo, v50, v53, vcc_lo
	global_store_b64 v[52:53], v[15:16], off
	s_or_b32 exec_lo, exec_lo, s19
	s_and_saveexec_b32 s19, s7
	s_cbranch_execz .LBB85_291
.LBB85_358:
	v_sub_nc_u32_e32 v52, v41, v77
	v_mov_b32_e32 v53, 0
	s_delay_alu instid0(VALU_DEP_1) | instskip(NEXT) | instid1(VALU_DEP_1)
	v_lshlrev_b64 v[52:53], 3, v[52:53]
	v_add_co_u32 v52, vcc_lo, v49, v52
	s_delay_alu instid0(VALU_DEP_2)
	v_add_co_ci_u32_e32 v53, vcc_lo, v50, v53, vcc_lo
	global_store_b64 v[52:53], v[9:10], off
	s_or_b32 exec_lo, exec_lo, s19
	s_and_saveexec_b32 s19, s6
	s_cbranch_execz .LBB85_292
.LBB85_359:
	v_sub_nc_u32_e32 v52, v40, v77
	v_mov_b32_e32 v53, 0
	s_delay_alu instid0(VALU_DEP_1) | instskip(NEXT) | instid1(VALU_DEP_1)
	v_lshlrev_b64 v[52:53], 3, v[52:53]
	v_add_co_u32 v52, vcc_lo, v49, v52
	s_delay_alu instid0(VALU_DEP_2)
	v_add_co_ci_u32_e32 v53, vcc_lo, v50, v53, vcc_lo
	global_store_b64 v[52:53], v[11:12], off
	s_or_b32 exec_lo, exec_lo, s19
	s_and_saveexec_b32 s19, s5
	s_cbranch_execz .LBB85_293
.LBB85_360:
	v_sub_nc_u32_e32 v52, v39, v77
	v_mov_b32_e32 v53, 0
	s_delay_alu instid0(VALU_DEP_1) | instskip(NEXT) | instid1(VALU_DEP_1)
	v_lshlrev_b64 v[52:53], 3, v[52:53]
	v_add_co_u32 v52, vcc_lo, v49, v52
	s_delay_alu instid0(VALU_DEP_2)
	v_add_co_ci_u32_e32 v53, vcc_lo, v50, v53, vcc_lo
	global_store_b64 v[52:53], v[5:6], off
	s_or_b32 exec_lo, exec_lo, s19
	s_and_saveexec_b32 s19, s4
	s_cbranch_execz .LBB85_294
.LBB85_361:
	v_sub_nc_u32_e32 v52, v38, v77
	v_mov_b32_e32 v53, 0
	s_delay_alu instid0(VALU_DEP_1) | instskip(NEXT) | instid1(VALU_DEP_1)
	v_lshlrev_b64 v[52:53], 3, v[52:53]
	v_add_co_u32 v52, vcc_lo, v49, v52
	s_delay_alu instid0(VALU_DEP_2)
	v_add_co_ci_u32_e32 v53, vcc_lo, v50, v53, vcc_lo
	global_store_b64 v[52:53], v[7:8], off
	s_or_b32 exec_lo, exec_lo, s19
	s_and_saveexec_b32 s19, s3
	s_cbranch_execz .LBB85_295
.LBB85_362:
	v_sub_nc_u32_e32 v52, v37, v77
	v_mov_b32_e32 v53, 0
	s_delay_alu instid0(VALU_DEP_1) | instskip(NEXT) | instid1(VALU_DEP_1)
	v_lshlrev_b64 v[52:53], 3, v[52:53]
	v_add_co_u32 v52, vcc_lo, v49, v52
	s_delay_alu instid0(VALU_DEP_2)
	v_add_co_ci_u32_e32 v53, vcc_lo, v50, v53, vcc_lo
	global_store_b64 v[52:53], v[1:2], off
	s_or_b32 exec_lo, exec_lo, s19
	s_and_saveexec_b32 s19, s1
	s_cbranch_execnz .LBB85_296
	s_branch .LBB85_297
.LBB85_363:
	v_sub_nc_u32_e32 v51, v71, v77
	s_delay_alu instid0(VALU_DEP_1)
	v_lshlrev_b32_e32 v51, 3, v51
	ds_store_b64 v51, v[25:26]
	s_or_b32 exec_lo, exec_lo, s19
	s_and_saveexec_b32 s13, s12
	s_cbranch_execz .LBB85_301
.LBB85_364:
	v_sub_nc_u32_e32 v25, v46, v77
	s_delay_alu instid0(VALU_DEP_1)
	v_lshlrev_b32_e32 v25, 3, v25
	ds_store_b64 v25, v[27:28]
	s_or_b32 exec_lo, exec_lo, s13
	s_and_saveexec_b32 s12, s10
	s_cbranch_execz .LBB85_302
.LBB85_365:
	v_sub_nc_u32_e32 v25, v48, v77
	s_delay_alu instid0(VALU_DEP_1)
	v_lshlrev_b32_e32 v25, 3, v25
	ds_store_b64 v25, v[21:22]
	s_or_b32 exec_lo, exec_lo, s12
	s_and_saveexec_b32 s10, s9
	s_cbranch_execz .LBB85_303
.LBB85_366:
	v_sub_nc_u32_e32 v21, v47, v77
	s_delay_alu instid0(VALU_DEP_1)
	v_lshlrev_b32_e32 v21, 3, v21
	ds_store_b64 v21, v[23:24]
	s_or_b32 exec_lo, exec_lo, s10
	s_and_saveexec_b32 s9, s15
	s_cbranch_execz .LBB85_304
.LBB85_367:
	v_sub_nc_u32_e32 v21, v45, v77
	s_delay_alu instid0(VALU_DEP_1)
	v_lshlrev_b32_e32 v21, 3, v21
	ds_store_b64 v21, v[17:18]
	s_or_b32 exec_lo, exec_lo, s9
	s_and_saveexec_b32 s9, s14
	s_cbranch_execz .LBB85_305
.LBB85_368:
	v_sub_nc_u32_e32 v17, v44, v77
	s_delay_alu instid0(VALU_DEP_1)
	v_lshlrev_b32_e32 v17, 3, v17
	ds_store_b64 v17, v[19:20]
	s_or_b32 exec_lo, exec_lo, s9
	s_and_saveexec_b32 s9, s11
	s_cbranch_execz .LBB85_306
.LBB85_369:
	v_sub_nc_u32_e32 v17, v43, v77
	s_delay_alu instid0(VALU_DEP_1)
	v_lshlrev_b32_e32 v17, 3, v17
	ds_store_b64 v17, v[13:14]
	s_or_b32 exec_lo, exec_lo, s9
	s_and_saveexec_b32 s9, s8
	s_cbranch_execz .LBB85_307
.LBB85_370:
	v_sub_nc_u32_e32 v13, v42, v77
	s_delay_alu instid0(VALU_DEP_1)
	v_lshlrev_b32_e32 v13, 3, v13
	ds_store_b64 v13, v[15:16]
	s_or_b32 exec_lo, exec_lo, s9
	s_and_saveexec_b32 s8, s7
	s_cbranch_execz .LBB85_308
.LBB85_371:
	v_sub_nc_u32_e32 v13, v41, v77
	s_delay_alu instid0(VALU_DEP_1)
	v_lshlrev_b32_e32 v13, 3, v13
	ds_store_b64 v13, v[9:10]
	s_or_b32 exec_lo, exec_lo, s8
	s_and_saveexec_b32 s7, s6
	s_cbranch_execz .LBB85_309
.LBB85_372:
	v_sub_nc_u32_e32 v9, v40, v77
	s_delay_alu instid0(VALU_DEP_1)
	v_lshlrev_b32_e32 v9, 3, v9
	ds_store_b64 v9, v[11:12]
	s_or_b32 exec_lo, exec_lo, s7
	s_and_saveexec_b32 s6, s5
	s_cbranch_execz .LBB85_310
.LBB85_373:
	v_sub_nc_u32_e32 v9, v39, v77
	s_delay_alu instid0(VALU_DEP_1)
	v_lshlrev_b32_e32 v9, 3, v9
	ds_store_b64 v9, v[5:6]
	s_or_b32 exec_lo, exec_lo, s6
	s_and_saveexec_b32 s5, s4
	s_cbranch_execz .LBB85_311
.LBB85_374:
	v_sub_nc_u32_e32 v5, v38, v77
	s_delay_alu instid0(VALU_DEP_1)
	v_lshlrev_b32_e32 v5, 3, v5
	ds_store_b64 v5, v[7:8]
	s_or_b32 exec_lo, exec_lo, s5
	s_and_saveexec_b32 s4, s3
	s_cbranch_execz .LBB85_312
.LBB85_375:
	v_sub_nc_u32_e32 v5, v37, v77
	s_delay_alu instid0(VALU_DEP_1)
	v_lshlrev_b32_e32 v5, 3, v5
	ds_store_b64 v5, v[1:2]
	s_or_b32 exec_lo, exec_lo, s4
	s_and_saveexec_b32 s3, s1
	s_cbranch_execnz .LBB85_313
	s_branch .LBB85_314
.LBB85_376:
	v_sub_nc_u32_e32 v8, v71, v1
	v_mov_b32_e32 v9, 0
	s_delay_alu instid0(VALU_DEP_1) | instskip(NEXT) | instid1(VALU_DEP_1)
	v_lshlrev_b64 v[8:9], 3, v[8:9]
	v_add_co_u32 v8, vcc_lo, v6, v8
	s_delay_alu instid0(VALU_DEP_2)
	v_add_co_ci_u32_e32 v9, vcc_lo, v7, v9, vcc_lo
	global_store_b64 v[8:9], v[99:100], off
	s_or_b32 exec_lo, exec_lo, s18
	s_and_saveexec_b32 s18, s13
	s_cbranch_execz .LBB85_318
.LBB85_377:
	v_sub_nc_u32_e32 v8, v46, v1
	v_mov_b32_e32 v9, 0
	s_delay_alu instid0(VALU_DEP_1) | instskip(NEXT) | instid1(VALU_DEP_1)
	v_lshlrev_b64 v[8:9], 3, v[8:9]
	v_add_co_u32 v8, vcc_lo, v6, v8
	s_delay_alu instid0(VALU_DEP_2)
	v_add_co_ci_u32_e32 v9, vcc_lo, v7, v9, vcc_lo
	global_store_b64 v[8:9], v[101:102], off
	s_or_b32 exec_lo, exec_lo, s18
	s_and_saveexec_b32 s18, s12
	s_cbranch_execz .LBB85_319
.LBB85_378:
	v_sub_nc_u32_e32 v8, v48, v1
	v_mov_b32_e32 v9, 0
	s_delay_alu instid0(VALU_DEP_1) | instskip(NEXT) | instid1(VALU_DEP_1)
	v_lshlrev_b64 v[8:9], 3, v[8:9]
	v_add_co_u32 v8, vcc_lo, v6, v8
	s_delay_alu instid0(VALU_DEP_2)
	v_add_co_ci_u32_e32 v9, vcc_lo, v7, v9, vcc_lo
	global_store_b64 v[8:9], v[105:106], off
	s_or_b32 exec_lo, exec_lo, s18
	s_and_saveexec_b32 s18, s11
	s_cbranch_execz .LBB85_320
.LBB85_379:
	v_sub_nc_u32_e32 v8, v47, v1
	v_mov_b32_e32 v9, 0
	s_delay_alu instid0(VALU_DEP_1) | instskip(NEXT) | instid1(VALU_DEP_1)
	v_lshlrev_b64 v[8:9], 3, v[8:9]
	v_add_co_u32 v8, vcc_lo, v6, v8
	s_delay_alu instid0(VALU_DEP_2)
	v_add_co_ci_u32_e32 v9, vcc_lo, v7, v9, vcc_lo
	global_store_b64 v[8:9], v[103:104], off
	s_or_b32 exec_lo, exec_lo, s18
	s_and_saveexec_b32 s18, s10
	s_cbranch_execz .LBB85_321
.LBB85_380:
	v_sub_nc_u32_e32 v8, v45, v1
	v_mov_b32_e32 v9, 0
	s_delay_alu instid0(VALU_DEP_1) | instskip(NEXT) | instid1(VALU_DEP_1)
	v_lshlrev_b64 v[8:9], 3, v[8:9]
	v_add_co_u32 v8, vcc_lo, v6, v8
	s_delay_alu instid0(VALU_DEP_2)
	v_add_co_ci_u32_e32 v9, vcc_lo, v7, v9, vcc_lo
	global_store_b64 v[8:9], v[87:88], off
	s_or_b32 exec_lo, exec_lo, s18
	s_and_saveexec_b32 s18, s9
	s_cbranch_execz .LBB85_322
.LBB85_381:
	v_sub_nc_u32_e32 v8, v44, v1
	v_mov_b32_e32 v9, 0
	s_delay_alu instid0(VALU_DEP_1) | instskip(NEXT) | instid1(VALU_DEP_1)
	v_lshlrev_b64 v[8:9], 3, v[8:9]
	v_add_co_u32 v8, vcc_lo, v6, v8
	s_delay_alu instid0(VALU_DEP_2)
	v_add_co_ci_u32_e32 v9, vcc_lo, v7, v9, vcc_lo
	global_store_b64 v[8:9], v[89:90], off
	s_or_b32 exec_lo, exec_lo, s18
	s_and_saveexec_b32 s18, s8
	s_cbranch_execz .LBB85_323
.LBB85_382:
	v_sub_nc_u32_e32 v8, v43, v1
	v_mov_b32_e32 v9, 0
	s_delay_alu instid0(VALU_DEP_1) | instskip(NEXT) | instid1(VALU_DEP_1)
	v_lshlrev_b64 v[8:9], 3, v[8:9]
	v_add_co_u32 v8, vcc_lo, v6, v8
	s_delay_alu instid0(VALU_DEP_2)
	v_add_co_ci_u32_e32 v9, vcc_lo, v7, v9, vcc_lo
	global_store_b64 v[8:9], v[91:92], off
	s_or_b32 exec_lo, exec_lo, s18
	s_and_saveexec_b32 s18, s7
	s_cbranch_execz .LBB85_324
.LBB85_383:
	v_sub_nc_u32_e32 v8, v42, v1
	v_mov_b32_e32 v9, 0
	s_delay_alu instid0(VALU_DEP_1) | instskip(NEXT) | instid1(VALU_DEP_1)
	v_lshlrev_b64 v[8:9], 3, v[8:9]
	v_add_co_u32 v8, vcc_lo, v6, v8
	s_delay_alu instid0(VALU_DEP_2)
	v_add_co_ci_u32_e32 v9, vcc_lo, v7, v9, vcc_lo
	global_store_b64 v[8:9], v[95:96], off
	s_or_b32 exec_lo, exec_lo, s18
	s_and_saveexec_b32 s18, s6
	s_cbranch_execz .LBB85_325
.LBB85_384:
	v_sub_nc_u32_e32 v8, v41, v1
	v_mov_b32_e32 v9, 0
	s_delay_alu instid0(VALU_DEP_1) | instskip(NEXT) | instid1(VALU_DEP_1)
	v_lshlrev_b64 v[8:9], 3, v[8:9]
	v_add_co_u32 v8, vcc_lo, v6, v8
	s_delay_alu instid0(VALU_DEP_2)
	v_add_co_ci_u32_e32 v9, vcc_lo, v7, v9, vcc_lo
	global_store_b64 v[8:9], v[93:94], off
	s_or_b32 exec_lo, exec_lo, s18
	s_and_saveexec_b32 s18, s5
	s_cbranch_execz .LBB85_326
.LBB85_385:
	v_sub_nc_u32_e32 v8, v40, v1
	v_mov_b32_e32 v9, 0
	s_delay_alu instid0(VALU_DEP_1) | instskip(NEXT) | instid1(VALU_DEP_1)
	v_lshlrev_b64 v[8:9], 3, v[8:9]
	v_add_co_u32 v8, vcc_lo, v6, v8
	s_delay_alu instid0(VALU_DEP_2)
	v_add_co_ci_u32_e32 v9, vcc_lo, v7, v9, vcc_lo
	global_store_b64 v[8:9], v[79:80], off
	s_or_b32 exec_lo, exec_lo, s18
	s_and_saveexec_b32 s18, s4
	s_cbranch_execz .LBB85_327
.LBB85_386:
	v_sub_nc_u32_e32 v8, v39, v1
	v_mov_b32_e32 v9, 0
	s_delay_alu instid0(VALU_DEP_1) | instskip(NEXT) | instid1(VALU_DEP_1)
	v_lshlrev_b64 v[8:9], 3, v[8:9]
	v_add_co_u32 v8, vcc_lo, v6, v8
	s_delay_alu instid0(VALU_DEP_2)
	v_add_co_ci_u32_e32 v9, vcc_lo, v7, v9, vcc_lo
	global_store_b64 v[8:9], v[81:82], off
	s_or_b32 exec_lo, exec_lo, s18
	s_and_saveexec_b32 s18, s3
	s_cbranch_execz .LBB85_328
.LBB85_387:
	v_sub_nc_u32_e32 v8, v38, v1
	v_mov_b32_e32 v9, 0
	s_delay_alu instid0(VALU_DEP_1) | instskip(NEXT) | instid1(VALU_DEP_1)
	v_lshlrev_b64 v[8:9], 3, v[8:9]
	v_add_co_u32 v8, vcc_lo, v6, v8
	s_delay_alu instid0(VALU_DEP_2)
	v_add_co_ci_u32_e32 v9, vcc_lo, v7, v9, vcc_lo
	global_store_b64 v[8:9], v[83:84], off
	s_or_b32 exec_lo, exec_lo, s18
	s_and_saveexec_b32 s18, s2
	s_cbranch_execz .LBB85_329
.LBB85_388:
	v_sub_nc_u32_e32 v8, v37, v1
	v_mov_b32_e32 v9, 0
	s_delay_alu instid0(VALU_DEP_1) | instskip(NEXT) | instid1(VALU_DEP_1)
	v_lshlrev_b64 v[8:9], 3, v[8:9]
	v_add_co_u32 v8, vcc_lo, v6, v8
	s_delay_alu instid0(VALU_DEP_2)
	v_add_co_ci_u32_e32 v9, vcc_lo, v7, v9, vcc_lo
	global_store_b64 v[8:9], v[85:86], off
	s_or_b32 exec_lo, exec_lo, s18
	s_and_saveexec_b32 s18, s1
	s_cbranch_execnz .LBB85_330
	s_branch .LBB85_331
.LBB85_389:
	v_sub_nc_u32_e32 v2, v71, v1
	s_delay_alu instid0(VALU_DEP_1)
	v_lshlrev_b32_e32 v2, 3, v2
	ds_store_b64 v2, v[99:100]
	s_or_b32 exec_lo, exec_lo, s18
	s_and_saveexec_b32 s14, s13
	s_cbranch_execz .LBB85_335
.LBB85_390:
	v_sub_nc_u32_e32 v2, v46, v1
	s_delay_alu instid0(VALU_DEP_1)
	v_lshlrev_b32_e32 v2, 3, v2
	ds_store_b64 v2, v[101:102]
	s_or_b32 exec_lo, exec_lo, s14
	s_and_saveexec_b32 s13, s12
	s_cbranch_execz .LBB85_336
.LBB85_391:
	v_sub_nc_u32_e32 v2, v48, v1
	s_delay_alu instid0(VALU_DEP_1)
	v_lshlrev_b32_e32 v2, 3, v2
	ds_store_b64 v2, v[105:106]
	s_or_b32 exec_lo, exec_lo, s13
	s_and_saveexec_b32 s12, s11
	s_cbranch_execz .LBB85_337
.LBB85_392:
	v_sub_nc_u32_e32 v2, v47, v1
	s_delay_alu instid0(VALU_DEP_1)
	v_lshlrev_b32_e32 v2, 3, v2
	ds_store_b64 v2, v[103:104]
	s_or_b32 exec_lo, exec_lo, s12
	s_and_saveexec_b32 s11, s10
	s_cbranch_execz .LBB85_338
.LBB85_393:
	v_sub_nc_u32_e32 v2, v45, v1
	s_delay_alu instid0(VALU_DEP_1)
	v_lshlrev_b32_e32 v2, 3, v2
	ds_store_b64 v2, v[87:88]
	s_or_b32 exec_lo, exec_lo, s11
	s_and_saveexec_b32 s10, s9
	s_cbranch_execz .LBB85_339
.LBB85_394:
	v_sub_nc_u32_e32 v2, v44, v1
	s_delay_alu instid0(VALU_DEP_1)
	v_lshlrev_b32_e32 v2, 3, v2
	ds_store_b64 v2, v[89:90]
	s_or_b32 exec_lo, exec_lo, s10
	s_and_saveexec_b32 s9, s8
	s_cbranch_execz .LBB85_340
.LBB85_395:
	v_sub_nc_u32_e32 v2, v43, v1
	s_delay_alu instid0(VALU_DEP_1)
	v_lshlrev_b32_e32 v2, 3, v2
	ds_store_b64 v2, v[91:92]
	s_or_b32 exec_lo, exec_lo, s9
	s_and_saveexec_b32 s8, s7
	s_cbranch_execz .LBB85_341
.LBB85_396:
	v_sub_nc_u32_e32 v2, v42, v1
	s_delay_alu instid0(VALU_DEP_1)
	v_lshlrev_b32_e32 v2, 3, v2
	ds_store_b64 v2, v[95:96]
	s_or_b32 exec_lo, exec_lo, s8
	s_and_saveexec_b32 s7, s6
	s_cbranch_execz .LBB85_342
.LBB85_397:
	v_sub_nc_u32_e32 v2, v41, v1
	s_delay_alu instid0(VALU_DEP_1)
	v_lshlrev_b32_e32 v2, 3, v2
	ds_store_b64 v2, v[93:94]
	s_or_b32 exec_lo, exec_lo, s7
	s_and_saveexec_b32 s6, s5
	s_cbranch_execz .LBB85_343
.LBB85_398:
	v_sub_nc_u32_e32 v2, v40, v1
	s_delay_alu instid0(VALU_DEP_1)
	v_lshlrev_b32_e32 v2, 3, v2
	ds_store_b64 v2, v[79:80]
	s_or_b32 exec_lo, exec_lo, s6
	s_and_saveexec_b32 s5, s4
	s_cbranch_execz .LBB85_344
.LBB85_399:
	v_sub_nc_u32_e32 v2, v39, v1
	s_delay_alu instid0(VALU_DEP_1)
	v_lshlrev_b32_e32 v2, 3, v2
	ds_store_b64 v2, v[81:82]
	s_or_b32 exec_lo, exec_lo, s5
	s_and_saveexec_b32 s4, s3
	s_cbranch_execz .LBB85_345
.LBB85_400:
	v_sub_nc_u32_e32 v2, v38, v1
	s_delay_alu instid0(VALU_DEP_1)
	v_lshlrev_b32_e32 v2, 3, v2
	ds_store_b64 v2, v[83:84]
	s_or_b32 exec_lo, exec_lo, s4
	s_and_saveexec_b32 s3, s2
	s_cbranch_execz .LBB85_346
.LBB85_401:
	v_sub_nc_u32_e32 v2, v37, v1
	s_delay_alu instid0(VALU_DEP_1)
	v_lshlrev_b32_e32 v2, 3, v2
	ds_store_b64 v2, v[85:86]
	s_or_b32 exec_lo, exec_lo, s3
	s_and_saveexec_b32 s2, s1
	s_cbranch_execnz .LBB85_347
	s_branch .LBB85_348
	.section	.rodata,"a",@progbits
	.p2align	6, 0x0
	.amdhsa_kernel _ZN7rocprim17ROCPRIM_400000_NS6detail17trampoline_kernelINS0_14default_configENS1_29reduce_by_key_config_selectorIddN6thrust23THRUST_200600_302600_NS4plusIdEEEEZZNS1_33reduce_by_key_impl_wrapped_configILNS1_25lookback_scan_determinismE0ES3_S9_NS6_6detail15normal_iteratorINS6_10device_ptrIdEEEESG_SG_SG_PmS8_22is_equal_div_10_reduceIdEEE10hipError_tPvRmT2_T3_mT4_T5_T6_T7_T8_P12ihipStream_tbENKUlT_T0_E_clISt17integral_constantIbLb0EES10_IbLb1EEEEDaSW_SX_EUlSW_E_NS1_11comp_targetILNS1_3genE9ELNS1_11target_archE1100ELNS1_3gpuE3ELNS1_3repE0EEENS1_30default_config_static_selectorELNS0_4arch9wavefront6targetE0EEEvT1_
		.amdhsa_group_segment_fixed_size 30720
		.amdhsa_private_segment_fixed_size 0
		.amdhsa_kernarg_size 136
		.amdhsa_user_sgpr_count 15
		.amdhsa_user_sgpr_dispatch_ptr 0
		.amdhsa_user_sgpr_queue_ptr 0
		.amdhsa_user_sgpr_kernarg_segment_ptr 1
		.amdhsa_user_sgpr_dispatch_id 0
		.amdhsa_user_sgpr_private_segment_size 0
		.amdhsa_wavefront_size32 1
		.amdhsa_uses_dynamic_stack 0
		.amdhsa_enable_private_segment 0
		.amdhsa_system_sgpr_workgroup_id_x 1
		.amdhsa_system_sgpr_workgroup_id_y 0
		.amdhsa_system_sgpr_workgroup_id_z 0
		.amdhsa_system_sgpr_workgroup_info 0
		.amdhsa_system_vgpr_workitem_id 0
		.amdhsa_next_free_vgpr 119
		.amdhsa_next_free_sgpr 52
		.amdhsa_reserve_vcc 1
		.amdhsa_float_round_mode_32 0
		.amdhsa_float_round_mode_16_64 0
		.amdhsa_float_denorm_mode_32 3
		.amdhsa_float_denorm_mode_16_64 3
		.amdhsa_dx10_clamp 1
		.amdhsa_ieee_mode 1
		.amdhsa_fp16_overflow 0
		.amdhsa_workgroup_processor_mode 1
		.amdhsa_memory_ordered 1
		.amdhsa_forward_progress 0
		.amdhsa_shared_vgpr_count 0
		.amdhsa_exception_fp_ieee_invalid_op 0
		.amdhsa_exception_fp_denorm_src 0
		.amdhsa_exception_fp_ieee_div_zero 0
		.amdhsa_exception_fp_ieee_overflow 0
		.amdhsa_exception_fp_ieee_underflow 0
		.amdhsa_exception_fp_ieee_inexact 0
		.amdhsa_exception_int_div_zero 0
	.end_amdhsa_kernel
	.section	.text._ZN7rocprim17ROCPRIM_400000_NS6detail17trampoline_kernelINS0_14default_configENS1_29reduce_by_key_config_selectorIddN6thrust23THRUST_200600_302600_NS4plusIdEEEEZZNS1_33reduce_by_key_impl_wrapped_configILNS1_25lookback_scan_determinismE0ES3_S9_NS6_6detail15normal_iteratorINS6_10device_ptrIdEEEESG_SG_SG_PmS8_22is_equal_div_10_reduceIdEEE10hipError_tPvRmT2_T3_mT4_T5_T6_T7_T8_P12ihipStream_tbENKUlT_T0_E_clISt17integral_constantIbLb0EES10_IbLb1EEEEDaSW_SX_EUlSW_E_NS1_11comp_targetILNS1_3genE9ELNS1_11target_archE1100ELNS1_3gpuE3ELNS1_3repE0EEENS1_30default_config_static_selectorELNS0_4arch9wavefront6targetE0EEEvT1_,"axG",@progbits,_ZN7rocprim17ROCPRIM_400000_NS6detail17trampoline_kernelINS0_14default_configENS1_29reduce_by_key_config_selectorIddN6thrust23THRUST_200600_302600_NS4plusIdEEEEZZNS1_33reduce_by_key_impl_wrapped_configILNS1_25lookback_scan_determinismE0ES3_S9_NS6_6detail15normal_iteratorINS6_10device_ptrIdEEEESG_SG_SG_PmS8_22is_equal_div_10_reduceIdEEE10hipError_tPvRmT2_T3_mT4_T5_T6_T7_T8_P12ihipStream_tbENKUlT_T0_E_clISt17integral_constantIbLb0EES10_IbLb1EEEEDaSW_SX_EUlSW_E_NS1_11comp_targetILNS1_3genE9ELNS1_11target_archE1100ELNS1_3gpuE3ELNS1_3repE0EEENS1_30default_config_static_selectorELNS0_4arch9wavefront6targetE0EEEvT1_,comdat
.Lfunc_end85:
	.size	_ZN7rocprim17ROCPRIM_400000_NS6detail17trampoline_kernelINS0_14default_configENS1_29reduce_by_key_config_selectorIddN6thrust23THRUST_200600_302600_NS4plusIdEEEEZZNS1_33reduce_by_key_impl_wrapped_configILNS1_25lookback_scan_determinismE0ES3_S9_NS6_6detail15normal_iteratorINS6_10device_ptrIdEEEESG_SG_SG_PmS8_22is_equal_div_10_reduceIdEEE10hipError_tPvRmT2_T3_mT4_T5_T6_T7_T8_P12ihipStream_tbENKUlT_T0_E_clISt17integral_constantIbLb0EES10_IbLb1EEEEDaSW_SX_EUlSW_E_NS1_11comp_targetILNS1_3genE9ELNS1_11target_archE1100ELNS1_3gpuE3ELNS1_3repE0EEENS1_30default_config_static_selectorELNS0_4arch9wavefront6targetE0EEEvT1_, .Lfunc_end85-_ZN7rocprim17ROCPRIM_400000_NS6detail17trampoline_kernelINS0_14default_configENS1_29reduce_by_key_config_selectorIddN6thrust23THRUST_200600_302600_NS4plusIdEEEEZZNS1_33reduce_by_key_impl_wrapped_configILNS1_25lookback_scan_determinismE0ES3_S9_NS6_6detail15normal_iteratorINS6_10device_ptrIdEEEESG_SG_SG_PmS8_22is_equal_div_10_reduceIdEEE10hipError_tPvRmT2_T3_mT4_T5_T6_T7_T8_P12ihipStream_tbENKUlT_T0_E_clISt17integral_constantIbLb0EES10_IbLb1EEEEDaSW_SX_EUlSW_E_NS1_11comp_targetILNS1_3genE9ELNS1_11target_archE1100ELNS1_3gpuE3ELNS1_3repE0EEENS1_30default_config_static_selectorELNS0_4arch9wavefront6targetE0EEEvT1_
                                        ; -- End function
	.section	.AMDGPU.csdata,"",@progbits
; Kernel info:
; codeLenInByte = 21740
; NumSgprs: 54
; NumVgprs: 119
; ScratchSize: 0
; MemoryBound: 0
; FloatMode: 240
; IeeeMode: 1
; LDSByteSize: 30720 bytes/workgroup (compile time only)
; SGPRBlocks: 6
; VGPRBlocks: 14
; NumSGPRsForWavesPerEU: 54
; NumVGPRsForWavesPerEU: 119
; Occupancy: 8
; WaveLimiterHint : 1
; COMPUTE_PGM_RSRC2:SCRATCH_EN: 0
; COMPUTE_PGM_RSRC2:USER_SGPR: 15
; COMPUTE_PGM_RSRC2:TRAP_HANDLER: 0
; COMPUTE_PGM_RSRC2:TGID_X_EN: 1
; COMPUTE_PGM_RSRC2:TGID_Y_EN: 0
; COMPUTE_PGM_RSRC2:TGID_Z_EN: 0
; COMPUTE_PGM_RSRC2:TIDIG_COMP_CNT: 0
	.section	.text._ZN7rocprim17ROCPRIM_400000_NS6detail17trampoline_kernelINS0_14default_configENS1_29reduce_by_key_config_selectorIddN6thrust23THRUST_200600_302600_NS4plusIdEEEEZZNS1_33reduce_by_key_impl_wrapped_configILNS1_25lookback_scan_determinismE0ES3_S9_NS6_6detail15normal_iteratorINS6_10device_ptrIdEEEESG_SG_SG_PmS8_22is_equal_div_10_reduceIdEEE10hipError_tPvRmT2_T3_mT4_T5_T6_T7_T8_P12ihipStream_tbENKUlT_T0_E_clISt17integral_constantIbLb0EES10_IbLb1EEEEDaSW_SX_EUlSW_E_NS1_11comp_targetILNS1_3genE8ELNS1_11target_archE1030ELNS1_3gpuE2ELNS1_3repE0EEENS1_30default_config_static_selectorELNS0_4arch9wavefront6targetE0EEEvT1_,"axG",@progbits,_ZN7rocprim17ROCPRIM_400000_NS6detail17trampoline_kernelINS0_14default_configENS1_29reduce_by_key_config_selectorIddN6thrust23THRUST_200600_302600_NS4plusIdEEEEZZNS1_33reduce_by_key_impl_wrapped_configILNS1_25lookback_scan_determinismE0ES3_S9_NS6_6detail15normal_iteratorINS6_10device_ptrIdEEEESG_SG_SG_PmS8_22is_equal_div_10_reduceIdEEE10hipError_tPvRmT2_T3_mT4_T5_T6_T7_T8_P12ihipStream_tbENKUlT_T0_E_clISt17integral_constantIbLb0EES10_IbLb1EEEEDaSW_SX_EUlSW_E_NS1_11comp_targetILNS1_3genE8ELNS1_11target_archE1030ELNS1_3gpuE2ELNS1_3repE0EEENS1_30default_config_static_selectorELNS0_4arch9wavefront6targetE0EEEvT1_,comdat
	.protected	_ZN7rocprim17ROCPRIM_400000_NS6detail17trampoline_kernelINS0_14default_configENS1_29reduce_by_key_config_selectorIddN6thrust23THRUST_200600_302600_NS4plusIdEEEEZZNS1_33reduce_by_key_impl_wrapped_configILNS1_25lookback_scan_determinismE0ES3_S9_NS6_6detail15normal_iteratorINS6_10device_ptrIdEEEESG_SG_SG_PmS8_22is_equal_div_10_reduceIdEEE10hipError_tPvRmT2_T3_mT4_T5_T6_T7_T8_P12ihipStream_tbENKUlT_T0_E_clISt17integral_constantIbLb0EES10_IbLb1EEEEDaSW_SX_EUlSW_E_NS1_11comp_targetILNS1_3genE8ELNS1_11target_archE1030ELNS1_3gpuE2ELNS1_3repE0EEENS1_30default_config_static_selectorELNS0_4arch9wavefront6targetE0EEEvT1_ ; -- Begin function _ZN7rocprim17ROCPRIM_400000_NS6detail17trampoline_kernelINS0_14default_configENS1_29reduce_by_key_config_selectorIddN6thrust23THRUST_200600_302600_NS4plusIdEEEEZZNS1_33reduce_by_key_impl_wrapped_configILNS1_25lookback_scan_determinismE0ES3_S9_NS6_6detail15normal_iteratorINS6_10device_ptrIdEEEESG_SG_SG_PmS8_22is_equal_div_10_reduceIdEEE10hipError_tPvRmT2_T3_mT4_T5_T6_T7_T8_P12ihipStream_tbENKUlT_T0_E_clISt17integral_constantIbLb0EES10_IbLb1EEEEDaSW_SX_EUlSW_E_NS1_11comp_targetILNS1_3genE8ELNS1_11target_archE1030ELNS1_3gpuE2ELNS1_3repE0EEENS1_30default_config_static_selectorELNS0_4arch9wavefront6targetE0EEEvT1_
	.globl	_ZN7rocprim17ROCPRIM_400000_NS6detail17trampoline_kernelINS0_14default_configENS1_29reduce_by_key_config_selectorIddN6thrust23THRUST_200600_302600_NS4plusIdEEEEZZNS1_33reduce_by_key_impl_wrapped_configILNS1_25lookback_scan_determinismE0ES3_S9_NS6_6detail15normal_iteratorINS6_10device_ptrIdEEEESG_SG_SG_PmS8_22is_equal_div_10_reduceIdEEE10hipError_tPvRmT2_T3_mT4_T5_T6_T7_T8_P12ihipStream_tbENKUlT_T0_E_clISt17integral_constantIbLb0EES10_IbLb1EEEEDaSW_SX_EUlSW_E_NS1_11comp_targetILNS1_3genE8ELNS1_11target_archE1030ELNS1_3gpuE2ELNS1_3repE0EEENS1_30default_config_static_selectorELNS0_4arch9wavefront6targetE0EEEvT1_
	.p2align	8
	.type	_ZN7rocprim17ROCPRIM_400000_NS6detail17trampoline_kernelINS0_14default_configENS1_29reduce_by_key_config_selectorIddN6thrust23THRUST_200600_302600_NS4plusIdEEEEZZNS1_33reduce_by_key_impl_wrapped_configILNS1_25lookback_scan_determinismE0ES3_S9_NS6_6detail15normal_iteratorINS6_10device_ptrIdEEEESG_SG_SG_PmS8_22is_equal_div_10_reduceIdEEE10hipError_tPvRmT2_T3_mT4_T5_T6_T7_T8_P12ihipStream_tbENKUlT_T0_E_clISt17integral_constantIbLb0EES10_IbLb1EEEEDaSW_SX_EUlSW_E_NS1_11comp_targetILNS1_3genE8ELNS1_11target_archE1030ELNS1_3gpuE2ELNS1_3repE0EEENS1_30default_config_static_selectorELNS0_4arch9wavefront6targetE0EEEvT1_,@function
_ZN7rocprim17ROCPRIM_400000_NS6detail17trampoline_kernelINS0_14default_configENS1_29reduce_by_key_config_selectorIddN6thrust23THRUST_200600_302600_NS4plusIdEEEEZZNS1_33reduce_by_key_impl_wrapped_configILNS1_25lookback_scan_determinismE0ES3_S9_NS6_6detail15normal_iteratorINS6_10device_ptrIdEEEESG_SG_SG_PmS8_22is_equal_div_10_reduceIdEEE10hipError_tPvRmT2_T3_mT4_T5_T6_T7_T8_P12ihipStream_tbENKUlT_T0_E_clISt17integral_constantIbLb0EES10_IbLb1EEEEDaSW_SX_EUlSW_E_NS1_11comp_targetILNS1_3genE8ELNS1_11target_archE1030ELNS1_3gpuE2ELNS1_3repE0EEENS1_30default_config_static_selectorELNS0_4arch9wavefront6targetE0EEEvT1_: ; @_ZN7rocprim17ROCPRIM_400000_NS6detail17trampoline_kernelINS0_14default_configENS1_29reduce_by_key_config_selectorIddN6thrust23THRUST_200600_302600_NS4plusIdEEEEZZNS1_33reduce_by_key_impl_wrapped_configILNS1_25lookback_scan_determinismE0ES3_S9_NS6_6detail15normal_iteratorINS6_10device_ptrIdEEEESG_SG_SG_PmS8_22is_equal_div_10_reduceIdEEE10hipError_tPvRmT2_T3_mT4_T5_T6_T7_T8_P12ihipStream_tbENKUlT_T0_E_clISt17integral_constantIbLb0EES10_IbLb1EEEEDaSW_SX_EUlSW_E_NS1_11comp_targetILNS1_3genE8ELNS1_11target_archE1030ELNS1_3gpuE2ELNS1_3repE0EEENS1_30default_config_static_selectorELNS0_4arch9wavefront6targetE0EEEvT1_
; %bb.0:
	.section	.rodata,"a",@progbits
	.p2align	6, 0x0
	.amdhsa_kernel _ZN7rocprim17ROCPRIM_400000_NS6detail17trampoline_kernelINS0_14default_configENS1_29reduce_by_key_config_selectorIddN6thrust23THRUST_200600_302600_NS4plusIdEEEEZZNS1_33reduce_by_key_impl_wrapped_configILNS1_25lookback_scan_determinismE0ES3_S9_NS6_6detail15normal_iteratorINS6_10device_ptrIdEEEESG_SG_SG_PmS8_22is_equal_div_10_reduceIdEEE10hipError_tPvRmT2_T3_mT4_T5_T6_T7_T8_P12ihipStream_tbENKUlT_T0_E_clISt17integral_constantIbLb0EES10_IbLb1EEEEDaSW_SX_EUlSW_E_NS1_11comp_targetILNS1_3genE8ELNS1_11target_archE1030ELNS1_3gpuE2ELNS1_3repE0EEENS1_30default_config_static_selectorELNS0_4arch9wavefront6targetE0EEEvT1_
		.amdhsa_group_segment_fixed_size 0
		.amdhsa_private_segment_fixed_size 0
		.amdhsa_kernarg_size 136
		.amdhsa_user_sgpr_count 15
		.amdhsa_user_sgpr_dispatch_ptr 0
		.amdhsa_user_sgpr_queue_ptr 0
		.amdhsa_user_sgpr_kernarg_segment_ptr 1
		.amdhsa_user_sgpr_dispatch_id 0
		.amdhsa_user_sgpr_private_segment_size 0
		.amdhsa_wavefront_size32 1
		.amdhsa_uses_dynamic_stack 0
		.amdhsa_enable_private_segment 0
		.amdhsa_system_sgpr_workgroup_id_x 1
		.amdhsa_system_sgpr_workgroup_id_y 0
		.amdhsa_system_sgpr_workgroup_id_z 0
		.amdhsa_system_sgpr_workgroup_info 0
		.amdhsa_system_vgpr_workitem_id 0
		.amdhsa_next_free_vgpr 1
		.amdhsa_next_free_sgpr 1
		.amdhsa_reserve_vcc 0
		.amdhsa_float_round_mode_32 0
		.amdhsa_float_round_mode_16_64 0
		.amdhsa_float_denorm_mode_32 3
		.amdhsa_float_denorm_mode_16_64 3
		.amdhsa_dx10_clamp 1
		.amdhsa_ieee_mode 1
		.amdhsa_fp16_overflow 0
		.amdhsa_workgroup_processor_mode 1
		.amdhsa_memory_ordered 1
		.amdhsa_forward_progress 0
		.amdhsa_shared_vgpr_count 0
		.amdhsa_exception_fp_ieee_invalid_op 0
		.amdhsa_exception_fp_denorm_src 0
		.amdhsa_exception_fp_ieee_div_zero 0
		.amdhsa_exception_fp_ieee_overflow 0
		.amdhsa_exception_fp_ieee_underflow 0
		.amdhsa_exception_fp_ieee_inexact 0
		.amdhsa_exception_int_div_zero 0
	.end_amdhsa_kernel
	.section	.text._ZN7rocprim17ROCPRIM_400000_NS6detail17trampoline_kernelINS0_14default_configENS1_29reduce_by_key_config_selectorIddN6thrust23THRUST_200600_302600_NS4plusIdEEEEZZNS1_33reduce_by_key_impl_wrapped_configILNS1_25lookback_scan_determinismE0ES3_S9_NS6_6detail15normal_iteratorINS6_10device_ptrIdEEEESG_SG_SG_PmS8_22is_equal_div_10_reduceIdEEE10hipError_tPvRmT2_T3_mT4_T5_T6_T7_T8_P12ihipStream_tbENKUlT_T0_E_clISt17integral_constantIbLb0EES10_IbLb1EEEEDaSW_SX_EUlSW_E_NS1_11comp_targetILNS1_3genE8ELNS1_11target_archE1030ELNS1_3gpuE2ELNS1_3repE0EEENS1_30default_config_static_selectorELNS0_4arch9wavefront6targetE0EEEvT1_,"axG",@progbits,_ZN7rocprim17ROCPRIM_400000_NS6detail17trampoline_kernelINS0_14default_configENS1_29reduce_by_key_config_selectorIddN6thrust23THRUST_200600_302600_NS4plusIdEEEEZZNS1_33reduce_by_key_impl_wrapped_configILNS1_25lookback_scan_determinismE0ES3_S9_NS6_6detail15normal_iteratorINS6_10device_ptrIdEEEESG_SG_SG_PmS8_22is_equal_div_10_reduceIdEEE10hipError_tPvRmT2_T3_mT4_T5_T6_T7_T8_P12ihipStream_tbENKUlT_T0_E_clISt17integral_constantIbLb0EES10_IbLb1EEEEDaSW_SX_EUlSW_E_NS1_11comp_targetILNS1_3genE8ELNS1_11target_archE1030ELNS1_3gpuE2ELNS1_3repE0EEENS1_30default_config_static_selectorELNS0_4arch9wavefront6targetE0EEEvT1_,comdat
.Lfunc_end86:
	.size	_ZN7rocprim17ROCPRIM_400000_NS6detail17trampoline_kernelINS0_14default_configENS1_29reduce_by_key_config_selectorIddN6thrust23THRUST_200600_302600_NS4plusIdEEEEZZNS1_33reduce_by_key_impl_wrapped_configILNS1_25lookback_scan_determinismE0ES3_S9_NS6_6detail15normal_iteratorINS6_10device_ptrIdEEEESG_SG_SG_PmS8_22is_equal_div_10_reduceIdEEE10hipError_tPvRmT2_T3_mT4_T5_T6_T7_T8_P12ihipStream_tbENKUlT_T0_E_clISt17integral_constantIbLb0EES10_IbLb1EEEEDaSW_SX_EUlSW_E_NS1_11comp_targetILNS1_3genE8ELNS1_11target_archE1030ELNS1_3gpuE2ELNS1_3repE0EEENS1_30default_config_static_selectorELNS0_4arch9wavefront6targetE0EEEvT1_, .Lfunc_end86-_ZN7rocprim17ROCPRIM_400000_NS6detail17trampoline_kernelINS0_14default_configENS1_29reduce_by_key_config_selectorIddN6thrust23THRUST_200600_302600_NS4plusIdEEEEZZNS1_33reduce_by_key_impl_wrapped_configILNS1_25lookback_scan_determinismE0ES3_S9_NS6_6detail15normal_iteratorINS6_10device_ptrIdEEEESG_SG_SG_PmS8_22is_equal_div_10_reduceIdEEE10hipError_tPvRmT2_T3_mT4_T5_T6_T7_T8_P12ihipStream_tbENKUlT_T0_E_clISt17integral_constantIbLb0EES10_IbLb1EEEEDaSW_SX_EUlSW_E_NS1_11comp_targetILNS1_3genE8ELNS1_11target_archE1030ELNS1_3gpuE2ELNS1_3repE0EEENS1_30default_config_static_selectorELNS0_4arch9wavefront6targetE0EEEvT1_
                                        ; -- End function
	.section	.AMDGPU.csdata,"",@progbits
; Kernel info:
; codeLenInByte = 0
; NumSgprs: 0
; NumVgprs: 0
; ScratchSize: 0
; MemoryBound: 0
; FloatMode: 240
; IeeeMode: 1
; LDSByteSize: 0 bytes/workgroup (compile time only)
; SGPRBlocks: 0
; VGPRBlocks: 0
; NumSGPRsForWavesPerEU: 1
; NumVGPRsForWavesPerEU: 1
; Occupancy: 16
; WaveLimiterHint : 0
; COMPUTE_PGM_RSRC2:SCRATCH_EN: 0
; COMPUTE_PGM_RSRC2:USER_SGPR: 15
; COMPUTE_PGM_RSRC2:TRAP_HANDLER: 0
; COMPUTE_PGM_RSRC2:TGID_X_EN: 1
; COMPUTE_PGM_RSRC2:TGID_Y_EN: 0
; COMPUTE_PGM_RSRC2:TGID_Z_EN: 0
; COMPUTE_PGM_RSRC2:TIDIG_COMP_CNT: 0
	.section	.text._ZN6thrust23THRUST_200600_302600_NS11hip_rocprim14__parallel_for6kernelILj256ENS1_20__uninitialized_fill7functorINS0_10device_ptrIfEEfEEmLj1EEEvT0_T1_SA_,"axG",@progbits,_ZN6thrust23THRUST_200600_302600_NS11hip_rocprim14__parallel_for6kernelILj256ENS1_20__uninitialized_fill7functorINS0_10device_ptrIfEEfEEmLj1EEEvT0_T1_SA_,comdat
	.protected	_ZN6thrust23THRUST_200600_302600_NS11hip_rocprim14__parallel_for6kernelILj256ENS1_20__uninitialized_fill7functorINS0_10device_ptrIfEEfEEmLj1EEEvT0_T1_SA_ ; -- Begin function _ZN6thrust23THRUST_200600_302600_NS11hip_rocprim14__parallel_for6kernelILj256ENS1_20__uninitialized_fill7functorINS0_10device_ptrIfEEfEEmLj1EEEvT0_T1_SA_
	.globl	_ZN6thrust23THRUST_200600_302600_NS11hip_rocprim14__parallel_for6kernelILj256ENS1_20__uninitialized_fill7functorINS0_10device_ptrIfEEfEEmLj1EEEvT0_T1_SA_
	.p2align	8
	.type	_ZN6thrust23THRUST_200600_302600_NS11hip_rocprim14__parallel_for6kernelILj256ENS1_20__uninitialized_fill7functorINS0_10device_ptrIfEEfEEmLj1EEEvT0_T1_SA_,@function
_ZN6thrust23THRUST_200600_302600_NS11hip_rocprim14__parallel_for6kernelILj256ENS1_20__uninitialized_fill7functorINS0_10device_ptrIfEEfEEmLj1EEEvT0_T1_SA_: ; @_ZN6thrust23THRUST_200600_302600_NS11hip_rocprim14__parallel_for6kernelILj256ENS1_20__uninitialized_fill7functorINS0_10device_ptrIfEEfEEmLj1EEEvT0_T1_SA_
; %bb.0:
	s_load_b128 s[4:7], s[0:1], 0x10
	s_lshl_b32 s2, s15, 8
	s_waitcnt lgkmcnt(0)
	s_add_u32 s2, s2, s6
	s_addc_u32 s3, 0, s7
	s_sub_u32 s4, s4, s2
	s_subb_u32 s5, s5, s3
	s_delay_alu instid0(SALU_CYCLE_1) | instskip(NEXT) | instid1(VALU_DEP_1)
	v_cmp_gt_u64_e64 s5, 0x100, s[4:5]
	s_and_b32 vcc_lo, exec_lo, s5
	s_mov_b32 s5, 0
	s_cbranch_vccz .LBB87_2
; %bb.1:
	v_cmp_gt_u32_e32 vcc_lo, s4, v0
	s_and_b32 s5, vcc_lo, exec_lo
	s_cbranch_execz .LBB87_3
	s_branch .LBB87_4
.LBB87_2:
.LBB87_3:
	s_or_b32 s5, s5, exec_lo
.LBB87_4:
	s_delay_alu instid0(SALU_CYCLE_1)
	s_and_saveexec_b32 s4, s5
	s_cbranch_execnz .LBB87_6
; %bb.5:
	s_endpgm
.LBB87_6:
	s_clause 0x1
	s_load_b64 s[4:5], s[0:1], 0x0
	s_load_b32 s6, s[0:1], 0x8
	v_mov_b32_e32 v1, 0
	s_lshl_b64 s[0:1], s[2:3], 2
	s_waitcnt lgkmcnt(0)
	s_add_u32 s0, s4, s0
	v_mov_b32_e32 v2, s6
	v_lshlrev_b64 v[0:1], 2, v[0:1]
	s_addc_u32 s1, s5, s1
	s_delay_alu instid0(VALU_DEP_1) | instskip(NEXT) | instid1(VALU_DEP_2)
	v_add_co_u32 v0, vcc_lo, s0, v0
	v_add_co_ci_u32_e32 v1, vcc_lo, s1, v1, vcc_lo
	flat_store_b32 v[0:1], v2
	s_endpgm
	.section	.rodata,"a",@progbits
	.p2align	6, 0x0
	.amdhsa_kernel _ZN6thrust23THRUST_200600_302600_NS11hip_rocprim14__parallel_for6kernelILj256ENS1_20__uninitialized_fill7functorINS0_10device_ptrIfEEfEEmLj1EEEvT0_T1_SA_
		.amdhsa_group_segment_fixed_size 0
		.amdhsa_private_segment_fixed_size 0
		.amdhsa_kernarg_size 32
		.amdhsa_user_sgpr_count 15
		.amdhsa_user_sgpr_dispatch_ptr 0
		.amdhsa_user_sgpr_queue_ptr 0
		.amdhsa_user_sgpr_kernarg_segment_ptr 1
		.amdhsa_user_sgpr_dispatch_id 0
		.amdhsa_user_sgpr_private_segment_size 0
		.amdhsa_wavefront_size32 1
		.amdhsa_uses_dynamic_stack 0
		.amdhsa_enable_private_segment 0
		.amdhsa_system_sgpr_workgroup_id_x 1
		.amdhsa_system_sgpr_workgroup_id_y 0
		.amdhsa_system_sgpr_workgroup_id_z 0
		.amdhsa_system_sgpr_workgroup_info 0
		.amdhsa_system_vgpr_workitem_id 0
		.amdhsa_next_free_vgpr 3
		.amdhsa_next_free_sgpr 16
		.amdhsa_reserve_vcc 1
		.amdhsa_float_round_mode_32 0
		.amdhsa_float_round_mode_16_64 0
		.amdhsa_float_denorm_mode_32 3
		.amdhsa_float_denorm_mode_16_64 3
		.amdhsa_dx10_clamp 1
		.amdhsa_ieee_mode 1
		.amdhsa_fp16_overflow 0
		.amdhsa_workgroup_processor_mode 1
		.amdhsa_memory_ordered 1
		.amdhsa_forward_progress 0
		.amdhsa_shared_vgpr_count 0
		.amdhsa_exception_fp_ieee_invalid_op 0
		.amdhsa_exception_fp_denorm_src 0
		.amdhsa_exception_fp_ieee_div_zero 0
		.amdhsa_exception_fp_ieee_overflow 0
		.amdhsa_exception_fp_ieee_underflow 0
		.amdhsa_exception_fp_ieee_inexact 0
		.amdhsa_exception_int_div_zero 0
	.end_amdhsa_kernel
	.section	.text._ZN6thrust23THRUST_200600_302600_NS11hip_rocprim14__parallel_for6kernelILj256ENS1_20__uninitialized_fill7functorINS0_10device_ptrIfEEfEEmLj1EEEvT0_T1_SA_,"axG",@progbits,_ZN6thrust23THRUST_200600_302600_NS11hip_rocprim14__parallel_for6kernelILj256ENS1_20__uninitialized_fill7functorINS0_10device_ptrIfEEfEEmLj1EEEvT0_T1_SA_,comdat
.Lfunc_end87:
	.size	_ZN6thrust23THRUST_200600_302600_NS11hip_rocprim14__parallel_for6kernelILj256ENS1_20__uninitialized_fill7functorINS0_10device_ptrIfEEfEEmLj1EEEvT0_T1_SA_, .Lfunc_end87-_ZN6thrust23THRUST_200600_302600_NS11hip_rocprim14__parallel_for6kernelILj256ENS1_20__uninitialized_fill7functorINS0_10device_ptrIfEEfEEmLj1EEEvT0_T1_SA_
                                        ; -- End function
	.section	.AMDGPU.csdata,"",@progbits
; Kernel info:
; codeLenInByte = 176
; NumSgprs: 18
; NumVgprs: 3
; ScratchSize: 0
; MemoryBound: 0
; FloatMode: 240
; IeeeMode: 1
; LDSByteSize: 0 bytes/workgroup (compile time only)
; SGPRBlocks: 2
; VGPRBlocks: 0
; NumSGPRsForWavesPerEU: 18
; NumVGPRsForWavesPerEU: 3
; Occupancy: 16
; WaveLimiterHint : 0
; COMPUTE_PGM_RSRC2:SCRATCH_EN: 0
; COMPUTE_PGM_RSRC2:USER_SGPR: 15
; COMPUTE_PGM_RSRC2:TRAP_HANDLER: 0
; COMPUTE_PGM_RSRC2:TGID_X_EN: 1
; COMPUTE_PGM_RSRC2:TGID_Y_EN: 0
; COMPUTE_PGM_RSRC2:TGID_Z_EN: 0
; COMPUTE_PGM_RSRC2:TIDIG_COMP_CNT: 0
	.section	.text._ZN7rocprim17ROCPRIM_400000_NS6detail25reduce_by_key_init_kernelINS1_19lookback_scan_stateINS0_5tupleIJjfEEELb0ELb1EEEfNS1_16block_id_wrapperIjLb0EEEEEvT_jbjPmPT0_T1_,"axG",@progbits,_ZN7rocprim17ROCPRIM_400000_NS6detail25reduce_by_key_init_kernelINS1_19lookback_scan_stateINS0_5tupleIJjfEEELb0ELb1EEEfNS1_16block_id_wrapperIjLb0EEEEEvT_jbjPmPT0_T1_,comdat
	.protected	_ZN7rocprim17ROCPRIM_400000_NS6detail25reduce_by_key_init_kernelINS1_19lookback_scan_stateINS0_5tupleIJjfEEELb0ELb1EEEfNS1_16block_id_wrapperIjLb0EEEEEvT_jbjPmPT0_T1_ ; -- Begin function _ZN7rocprim17ROCPRIM_400000_NS6detail25reduce_by_key_init_kernelINS1_19lookback_scan_stateINS0_5tupleIJjfEEELb0ELb1EEEfNS1_16block_id_wrapperIjLb0EEEEEvT_jbjPmPT0_T1_
	.globl	_ZN7rocprim17ROCPRIM_400000_NS6detail25reduce_by_key_init_kernelINS1_19lookback_scan_stateINS0_5tupleIJjfEEELb0ELb1EEEfNS1_16block_id_wrapperIjLb0EEEEEvT_jbjPmPT0_T1_
	.p2align	8
	.type	_ZN7rocprim17ROCPRIM_400000_NS6detail25reduce_by_key_init_kernelINS1_19lookback_scan_stateINS0_5tupleIJjfEEELb0ELb1EEEfNS1_16block_id_wrapperIjLb0EEEEEvT_jbjPmPT0_T1_,@function
_ZN7rocprim17ROCPRIM_400000_NS6detail25reduce_by_key_init_kernelINS1_19lookback_scan_stateINS0_5tupleIJjfEEELb0ELb1EEEfNS1_16block_id_wrapperIjLb0EEEEEvT_jbjPmPT0_T1_: ; @_ZN7rocprim17ROCPRIM_400000_NS6detail25reduce_by_key_init_kernelINS1_19lookback_scan_stateINS0_5tupleIJjfEEELb0ELb1EEEfNS1_16block_id_wrapperIjLb0EEEEEvT_jbjPmPT0_T1_
; %bb.0:
	s_clause 0x2
	s_load_b32 s2, s[0:1], 0x3c
	s_load_b256 s[4:11], s[0:1], 0x8
	s_load_b64 s[0:1], s[0:1], 0x0
	s_waitcnt lgkmcnt(0)
	s_and_b32 s2, s2, 0xffff
	s_delay_alu instid0(SALU_CYCLE_1) | instskip(SKIP_1) | instid1(SALU_CYCLE_1)
	v_mad_u64_u32 v[1:2], null, s15, s2, v[0:1]
	s_and_b32 s2, s5, 1
	s_cmp_eq_u32 s2, 0
	s_mov_b32 s2, -1
	s_cbranch_scc1 .LBB88_7
; %bb.1:
	s_and_not1_b32 vcc_lo, exec_lo, s2
	s_cbranch_vccz .LBB88_14
.LBB88_2:
	s_mov_b32 s2, exec_lo
	v_cmpx_gt_u32_e64 s4, v1
	s_cbranch_execz .LBB88_4
.LBB88_3:
	v_dual_mov_b32 v3, 0 :: v_dual_add_nc_u32 v2, 32, v1
	s_delay_alu instid0(VALU_DEP_1) | instskip(SKIP_2) | instid1(VALU_DEP_3)
	v_lshlrev_b64 v[5:6], 4, v[2:3]
	v_mov_b32_e32 v2, v3
	v_mov_b32_e32 v4, v3
	v_add_co_u32 v7, vcc_lo, s0, v5
	s_delay_alu instid0(VALU_DEP_4)
	v_add_co_ci_u32_e32 v8, vcc_lo, s1, v6, vcc_lo
	v_mov_b32_e32 v5, v3
	global_store_b128 v[7:8], v[2:5], off
.LBB88_4:
	s_or_b32 exec_lo, exec_lo, s2
	s_delay_alu instid0(SALU_CYCLE_1)
	s_mov_b32 s2, exec_lo
	v_cmpx_gt_u32_e32 32, v1
	s_cbranch_execz .LBB88_6
; %bb.5:
	v_dual_mov_b32 v2, 0 :: v_dual_mov_b32 v3, 0xff
	s_delay_alu instid0(VALU_DEP_1) | instskip(SKIP_1) | instid1(VALU_DEP_2)
	v_lshlrev_b64 v[4:5], 4, v[1:2]
	v_mov_b32_e32 v1, v2
	v_add_co_u32 v6, vcc_lo, s0, v4
	s_delay_alu instid0(VALU_DEP_3)
	v_add_co_ci_u32_e32 v7, vcc_lo, s1, v5, vcc_lo
	v_mov_b32_e32 v4, v2
	global_store_b128 v[6:7], v[1:4], off
.LBB88_6:
	s_nop 0
	s_sendmsg sendmsg(MSG_DEALLOC_VGPRS)
	s_endpgm
.LBB88_7:
	s_cmp_lt_u32 s6, s4
	s_mov_b32 s5, exec_lo
	s_cselect_b32 s2, s6, 0
	s_delay_alu instid0(SALU_CYCLE_1)
	v_cmpx_eq_u32_e64 s2, v1
	s_cbranch_execz .LBB88_13
; %bb.8:
	s_add_i32 s2, s6, 32
	s_mov_b32 s3, 0
	s_delay_alu instid0(SALU_CYCLE_1) | instskip(SKIP_3) | instid1(SALU_CYCLE_1)
	s_lshl_b64 s[6:7], s[2:3], 4
	s_mov_b32 s2, exec_lo
	s_add_u32 s6, s0, s6
	s_addc_u32 s7, s1, s7
	v_dual_mov_b32 v2, s6 :: v_dual_mov_b32 v3, s7
	;;#ASMSTART
	global_load_dwordx4 v[2:5], v[2:3] off glc	
s_waitcnt vmcnt(0)
	;;#ASMEND
	v_dual_mov_b32 v11, 0 :: v_dual_and_b32 v10, 0xff, v4
	s_delay_alu instid0(VALU_DEP_2) | instskip(SKIP_2) | instid1(VALU_DEP_4)
	v_lshrrev_b64 v[8:9], 8, v[2:3]
	v_lshrrev_b64 v[6:7], 16, v[2:3]
	;; [unrolled: 1-line block ×3, first 2 shown]
	v_cmpx_eq_u64_e32 0, v[10:11]
	s_cbranch_execz .LBB88_12
; %bb.9:
	v_dual_mov_b32 v6, s6 :: v_dual_mov_b32 v7, s7
.LBB88_10:                              ; =>This Inner Loop Header: Depth=1
	;;#ASMSTART
	global_load_dwordx4 v[2:5], v[6:7] off glc	
s_waitcnt vmcnt(0)
	;;#ASMEND
	s_delay_alu instid0(VALU_DEP_3) | instskip(NEXT) | instid1(VALU_DEP_1)
	v_and_b32_e32 v10, 0xff, v4
	v_cmp_ne_u64_e32 vcc_lo, 0, v[10:11]
	s_or_b32 s3, vcc_lo, s3
	s_delay_alu instid0(SALU_CYCLE_1)
	s_and_not1_b32 exec_lo, exec_lo, s3
	s_cbranch_execnz .LBB88_10
; %bb.11:
	s_or_b32 exec_lo, exec_lo, s3
	v_lshrrev_b64 v[4:5], 24, v[2:3]
	v_lshrrev_b64 v[6:7], 16, v[2:3]
	;; [unrolled: 1-line block ×3, first 2 shown]
.LBB88_12:
	s_or_b32 exec_lo, exec_lo, s2
	s_delay_alu instid0(VALU_DEP_1) | instskip(NEXT) | instid1(VALU_DEP_3)
	v_dual_mov_b32 v0, 0 :: v_dual_lshlrev_b32 v5, 8, v8
	v_lshlrev_b32_e32 v6, 16, v6
	v_lshlrev_b32_e32 v4, 24, v4
	global_load_b64 v[9:10], v0, s[8:9]
	v_perm_b32 v2, v5, v2, 0xc0c0500
	s_delay_alu instid0(VALU_DEP_1) | instskip(SKIP_1) | instid1(VALU_DEP_1)
	v_and_or_b32 v2, 0xff0000, v6, v2
	s_waitcnt vmcnt(0)
	v_add_co_u32 v2, vcc_lo, v2, v9
	v_add_co_ci_u32_e32 v5, vcc_lo, 0, v10, vcc_lo
	s_delay_alu instid0(VALU_DEP_2) | instskip(NEXT) | instid1(VALU_DEP_2)
	v_add_co_u32 v4, vcc_lo, v2, v4
	v_add_co_ci_u32_e32 v5, vcc_lo, 0, v5, vcc_lo
	s_clause 0x1
	global_store_b64 v0, v[4:5], s[8:9]
	global_store_b32 v0, v3, s[10:11]
.LBB88_13:
	s_or_b32 exec_lo, exec_lo, s5
	s_cbranch_execnz .LBB88_2
.LBB88_14:
	s_delay_alu instid0(VALU_DEP_1) | instskip(SKIP_2) | instid1(SALU_CYCLE_1)
	v_cmp_eq_u32_e32 vcc_lo, 0, v1
	s_cmp_lg_u64 s[8:9], 0
	s_cselect_b32 s2, -1, 0
	s_and_b32 s3, s2, vcc_lo
	s_delay_alu instid0(SALU_CYCLE_1)
	s_and_saveexec_b32 s2, s3
	s_cbranch_execz .LBB88_16
; %bb.15:
	v_mov_b32_e32 v2, 0
	s_delay_alu instid0(VALU_DEP_1)
	v_mov_b32_e32 v3, v2
	global_store_b64 v2, v[2:3], s[8:9]
.LBB88_16:
	s_or_b32 exec_lo, exec_lo, s2
	s_delay_alu instid0(SALU_CYCLE_1)
	s_mov_b32 s2, exec_lo
	v_cmpx_gt_u32_e64 s4, v1
	s_cbranch_execnz .LBB88_3
	s_branch .LBB88_4
	.section	.rodata,"a",@progbits
	.p2align	6, 0x0
	.amdhsa_kernel _ZN7rocprim17ROCPRIM_400000_NS6detail25reduce_by_key_init_kernelINS1_19lookback_scan_stateINS0_5tupleIJjfEEELb0ELb1EEEfNS1_16block_id_wrapperIjLb0EEEEEvT_jbjPmPT0_T1_
		.amdhsa_group_segment_fixed_size 0
		.amdhsa_private_segment_fixed_size 0
		.amdhsa_kernarg_size 304
		.amdhsa_user_sgpr_count 15
		.amdhsa_user_sgpr_dispatch_ptr 0
		.amdhsa_user_sgpr_queue_ptr 0
		.amdhsa_user_sgpr_kernarg_segment_ptr 1
		.amdhsa_user_sgpr_dispatch_id 0
		.amdhsa_user_sgpr_private_segment_size 0
		.amdhsa_wavefront_size32 1
		.amdhsa_uses_dynamic_stack 0
		.amdhsa_enable_private_segment 0
		.amdhsa_system_sgpr_workgroup_id_x 1
		.amdhsa_system_sgpr_workgroup_id_y 0
		.amdhsa_system_sgpr_workgroup_id_z 0
		.amdhsa_system_sgpr_workgroup_info 0
		.amdhsa_system_vgpr_workitem_id 0
		.amdhsa_next_free_vgpr 12
		.amdhsa_next_free_sgpr 16
		.amdhsa_reserve_vcc 1
		.amdhsa_float_round_mode_32 0
		.amdhsa_float_round_mode_16_64 0
		.amdhsa_float_denorm_mode_32 3
		.amdhsa_float_denorm_mode_16_64 3
		.amdhsa_dx10_clamp 1
		.amdhsa_ieee_mode 1
		.amdhsa_fp16_overflow 0
		.amdhsa_workgroup_processor_mode 1
		.amdhsa_memory_ordered 1
		.amdhsa_forward_progress 0
		.amdhsa_shared_vgpr_count 0
		.amdhsa_exception_fp_ieee_invalid_op 0
		.amdhsa_exception_fp_denorm_src 0
		.amdhsa_exception_fp_ieee_div_zero 0
		.amdhsa_exception_fp_ieee_overflow 0
		.amdhsa_exception_fp_ieee_underflow 0
		.amdhsa_exception_fp_ieee_inexact 0
		.amdhsa_exception_int_div_zero 0
	.end_amdhsa_kernel
	.section	.text._ZN7rocprim17ROCPRIM_400000_NS6detail25reduce_by_key_init_kernelINS1_19lookback_scan_stateINS0_5tupleIJjfEEELb0ELb1EEEfNS1_16block_id_wrapperIjLb0EEEEEvT_jbjPmPT0_T1_,"axG",@progbits,_ZN7rocprim17ROCPRIM_400000_NS6detail25reduce_by_key_init_kernelINS1_19lookback_scan_stateINS0_5tupleIJjfEEELb0ELb1EEEfNS1_16block_id_wrapperIjLb0EEEEEvT_jbjPmPT0_T1_,comdat
.Lfunc_end88:
	.size	_ZN7rocprim17ROCPRIM_400000_NS6detail25reduce_by_key_init_kernelINS1_19lookback_scan_stateINS0_5tupleIJjfEEELb0ELb1EEEfNS1_16block_id_wrapperIjLb0EEEEEvT_jbjPmPT0_T1_, .Lfunc_end88-_ZN7rocprim17ROCPRIM_400000_NS6detail25reduce_by_key_init_kernelINS1_19lookback_scan_stateINS0_5tupleIJjfEEELb0ELb1EEEfNS1_16block_id_wrapperIjLb0EEEEEvT_jbjPmPT0_T1_
                                        ; -- End function
	.section	.AMDGPU.csdata,"",@progbits
; Kernel info:
; codeLenInByte = 696
; NumSgprs: 18
; NumVgprs: 12
; ScratchSize: 0
; MemoryBound: 0
; FloatMode: 240
; IeeeMode: 1
; LDSByteSize: 0 bytes/workgroup (compile time only)
; SGPRBlocks: 2
; VGPRBlocks: 1
; NumSGPRsForWavesPerEU: 18
; NumVGPRsForWavesPerEU: 12
; Occupancy: 16
; WaveLimiterHint : 0
; COMPUTE_PGM_RSRC2:SCRATCH_EN: 0
; COMPUTE_PGM_RSRC2:USER_SGPR: 15
; COMPUTE_PGM_RSRC2:TRAP_HANDLER: 0
; COMPUTE_PGM_RSRC2:TGID_X_EN: 1
; COMPUTE_PGM_RSRC2:TGID_Y_EN: 0
; COMPUTE_PGM_RSRC2:TGID_Z_EN: 0
; COMPUTE_PGM_RSRC2:TIDIG_COMP_CNT: 0
	.section	.text._ZN7rocprim17ROCPRIM_400000_NS6detail17trampoline_kernelINS0_14default_configENS1_29reduce_by_key_config_selectorIffN6thrust23THRUST_200600_302600_NS4plusIfEEEEZZNS1_33reduce_by_key_impl_wrapped_configILNS1_25lookback_scan_determinismE1ES3_S9_NS6_6detail15normal_iteratorINS6_10device_ptrIfEEEESG_SG_SG_PmS8_NS6_8equal_toIfEEEE10hipError_tPvRmT2_T3_mT4_T5_T6_T7_T8_P12ihipStream_tbENKUlT_T0_E_clISt17integral_constantIbLb0EES11_EEDaSW_SX_EUlSW_E_NS1_11comp_targetILNS1_3genE0ELNS1_11target_archE4294967295ELNS1_3gpuE0ELNS1_3repE0EEENS1_30default_config_static_selectorELNS0_4arch9wavefront6targetE0EEEvT1_,"axG",@progbits,_ZN7rocprim17ROCPRIM_400000_NS6detail17trampoline_kernelINS0_14default_configENS1_29reduce_by_key_config_selectorIffN6thrust23THRUST_200600_302600_NS4plusIfEEEEZZNS1_33reduce_by_key_impl_wrapped_configILNS1_25lookback_scan_determinismE1ES3_S9_NS6_6detail15normal_iteratorINS6_10device_ptrIfEEEESG_SG_SG_PmS8_NS6_8equal_toIfEEEE10hipError_tPvRmT2_T3_mT4_T5_T6_T7_T8_P12ihipStream_tbENKUlT_T0_E_clISt17integral_constantIbLb0EES11_EEDaSW_SX_EUlSW_E_NS1_11comp_targetILNS1_3genE0ELNS1_11target_archE4294967295ELNS1_3gpuE0ELNS1_3repE0EEENS1_30default_config_static_selectorELNS0_4arch9wavefront6targetE0EEEvT1_,comdat
	.protected	_ZN7rocprim17ROCPRIM_400000_NS6detail17trampoline_kernelINS0_14default_configENS1_29reduce_by_key_config_selectorIffN6thrust23THRUST_200600_302600_NS4plusIfEEEEZZNS1_33reduce_by_key_impl_wrapped_configILNS1_25lookback_scan_determinismE1ES3_S9_NS6_6detail15normal_iteratorINS6_10device_ptrIfEEEESG_SG_SG_PmS8_NS6_8equal_toIfEEEE10hipError_tPvRmT2_T3_mT4_T5_T6_T7_T8_P12ihipStream_tbENKUlT_T0_E_clISt17integral_constantIbLb0EES11_EEDaSW_SX_EUlSW_E_NS1_11comp_targetILNS1_3genE0ELNS1_11target_archE4294967295ELNS1_3gpuE0ELNS1_3repE0EEENS1_30default_config_static_selectorELNS0_4arch9wavefront6targetE0EEEvT1_ ; -- Begin function _ZN7rocprim17ROCPRIM_400000_NS6detail17trampoline_kernelINS0_14default_configENS1_29reduce_by_key_config_selectorIffN6thrust23THRUST_200600_302600_NS4plusIfEEEEZZNS1_33reduce_by_key_impl_wrapped_configILNS1_25lookback_scan_determinismE1ES3_S9_NS6_6detail15normal_iteratorINS6_10device_ptrIfEEEESG_SG_SG_PmS8_NS6_8equal_toIfEEEE10hipError_tPvRmT2_T3_mT4_T5_T6_T7_T8_P12ihipStream_tbENKUlT_T0_E_clISt17integral_constantIbLb0EES11_EEDaSW_SX_EUlSW_E_NS1_11comp_targetILNS1_3genE0ELNS1_11target_archE4294967295ELNS1_3gpuE0ELNS1_3repE0EEENS1_30default_config_static_selectorELNS0_4arch9wavefront6targetE0EEEvT1_
	.globl	_ZN7rocprim17ROCPRIM_400000_NS6detail17trampoline_kernelINS0_14default_configENS1_29reduce_by_key_config_selectorIffN6thrust23THRUST_200600_302600_NS4plusIfEEEEZZNS1_33reduce_by_key_impl_wrapped_configILNS1_25lookback_scan_determinismE1ES3_S9_NS6_6detail15normal_iteratorINS6_10device_ptrIfEEEESG_SG_SG_PmS8_NS6_8equal_toIfEEEE10hipError_tPvRmT2_T3_mT4_T5_T6_T7_T8_P12ihipStream_tbENKUlT_T0_E_clISt17integral_constantIbLb0EES11_EEDaSW_SX_EUlSW_E_NS1_11comp_targetILNS1_3genE0ELNS1_11target_archE4294967295ELNS1_3gpuE0ELNS1_3repE0EEENS1_30default_config_static_selectorELNS0_4arch9wavefront6targetE0EEEvT1_
	.p2align	8
	.type	_ZN7rocprim17ROCPRIM_400000_NS6detail17trampoline_kernelINS0_14default_configENS1_29reduce_by_key_config_selectorIffN6thrust23THRUST_200600_302600_NS4plusIfEEEEZZNS1_33reduce_by_key_impl_wrapped_configILNS1_25lookback_scan_determinismE1ES3_S9_NS6_6detail15normal_iteratorINS6_10device_ptrIfEEEESG_SG_SG_PmS8_NS6_8equal_toIfEEEE10hipError_tPvRmT2_T3_mT4_T5_T6_T7_T8_P12ihipStream_tbENKUlT_T0_E_clISt17integral_constantIbLb0EES11_EEDaSW_SX_EUlSW_E_NS1_11comp_targetILNS1_3genE0ELNS1_11target_archE4294967295ELNS1_3gpuE0ELNS1_3repE0EEENS1_30default_config_static_selectorELNS0_4arch9wavefront6targetE0EEEvT1_,@function
_ZN7rocprim17ROCPRIM_400000_NS6detail17trampoline_kernelINS0_14default_configENS1_29reduce_by_key_config_selectorIffN6thrust23THRUST_200600_302600_NS4plusIfEEEEZZNS1_33reduce_by_key_impl_wrapped_configILNS1_25lookback_scan_determinismE1ES3_S9_NS6_6detail15normal_iteratorINS6_10device_ptrIfEEEESG_SG_SG_PmS8_NS6_8equal_toIfEEEE10hipError_tPvRmT2_T3_mT4_T5_T6_T7_T8_P12ihipStream_tbENKUlT_T0_E_clISt17integral_constantIbLb0EES11_EEDaSW_SX_EUlSW_E_NS1_11comp_targetILNS1_3genE0ELNS1_11target_archE4294967295ELNS1_3gpuE0ELNS1_3repE0EEENS1_30default_config_static_selectorELNS0_4arch9wavefront6targetE0EEEvT1_: ; @_ZN7rocprim17ROCPRIM_400000_NS6detail17trampoline_kernelINS0_14default_configENS1_29reduce_by_key_config_selectorIffN6thrust23THRUST_200600_302600_NS4plusIfEEEEZZNS1_33reduce_by_key_impl_wrapped_configILNS1_25lookback_scan_determinismE1ES3_S9_NS6_6detail15normal_iteratorINS6_10device_ptrIfEEEESG_SG_SG_PmS8_NS6_8equal_toIfEEEE10hipError_tPvRmT2_T3_mT4_T5_T6_T7_T8_P12ihipStream_tbENKUlT_T0_E_clISt17integral_constantIbLb0EES11_EEDaSW_SX_EUlSW_E_NS1_11comp_targetILNS1_3genE0ELNS1_11target_archE4294967295ELNS1_3gpuE0ELNS1_3repE0EEENS1_30default_config_static_selectorELNS0_4arch9wavefront6targetE0EEEvT1_
; %bb.0:
	.section	.rodata,"a",@progbits
	.p2align	6, 0x0
	.amdhsa_kernel _ZN7rocprim17ROCPRIM_400000_NS6detail17trampoline_kernelINS0_14default_configENS1_29reduce_by_key_config_selectorIffN6thrust23THRUST_200600_302600_NS4plusIfEEEEZZNS1_33reduce_by_key_impl_wrapped_configILNS1_25lookback_scan_determinismE1ES3_S9_NS6_6detail15normal_iteratorINS6_10device_ptrIfEEEESG_SG_SG_PmS8_NS6_8equal_toIfEEEE10hipError_tPvRmT2_T3_mT4_T5_T6_T7_T8_P12ihipStream_tbENKUlT_T0_E_clISt17integral_constantIbLb0EES11_EEDaSW_SX_EUlSW_E_NS1_11comp_targetILNS1_3genE0ELNS1_11target_archE4294967295ELNS1_3gpuE0ELNS1_3repE0EEENS1_30default_config_static_selectorELNS0_4arch9wavefront6targetE0EEEvT1_
		.amdhsa_group_segment_fixed_size 0
		.amdhsa_private_segment_fixed_size 0
		.amdhsa_kernarg_size 120
		.amdhsa_user_sgpr_count 15
		.amdhsa_user_sgpr_dispatch_ptr 0
		.amdhsa_user_sgpr_queue_ptr 0
		.amdhsa_user_sgpr_kernarg_segment_ptr 1
		.amdhsa_user_sgpr_dispatch_id 0
		.amdhsa_user_sgpr_private_segment_size 0
		.amdhsa_wavefront_size32 1
		.amdhsa_uses_dynamic_stack 0
		.amdhsa_enable_private_segment 0
		.amdhsa_system_sgpr_workgroup_id_x 1
		.amdhsa_system_sgpr_workgroup_id_y 0
		.amdhsa_system_sgpr_workgroup_id_z 0
		.amdhsa_system_sgpr_workgroup_info 0
		.amdhsa_system_vgpr_workitem_id 0
		.amdhsa_next_free_vgpr 1
		.amdhsa_next_free_sgpr 1
		.amdhsa_reserve_vcc 0
		.amdhsa_float_round_mode_32 0
		.amdhsa_float_round_mode_16_64 0
		.amdhsa_float_denorm_mode_32 3
		.amdhsa_float_denorm_mode_16_64 3
		.amdhsa_dx10_clamp 1
		.amdhsa_ieee_mode 1
		.amdhsa_fp16_overflow 0
		.amdhsa_workgroup_processor_mode 1
		.amdhsa_memory_ordered 1
		.amdhsa_forward_progress 0
		.amdhsa_shared_vgpr_count 0
		.amdhsa_exception_fp_ieee_invalid_op 0
		.amdhsa_exception_fp_denorm_src 0
		.amdhsa_exception_fp_ieee_div_zero 0
		.amdhsa_exception_fp_ieee_overflow 0
		.amdhsa_exception_fp_ieee_underflow 0
		.amdhsa_exception_fp_ieee_inexact 0
		.amdhsa_exception_int_div_zero 0
	.end_amdhsa_kernel
	.section	.text._ZN7rocprim17ROCPRIM_400000_NS6detail17trampoline_kernelINS0_14default_configENS1_29reduce_by_key_config_selectorIffN6thrust23THRUST_200600_302600_NS4plusIfEEEEZZNS1_33reduce_by_key_impl_wrapped_configILNS1_25lookback_scan_determinismE1ES3_S9_NS6_6detail15normal_iteratorINS6_10device_ptrIfEEEESG_SG_SG_PmS8_NS6_8equal_toIfEEEE10hipError_tPvRmT2_T3_mT4_T5_T6_T7_T8_P12ihipStream_tbENKUlT_T0_E_clISt17integral_constantIbLb0EES11_EEDaSW_SX_EUlSW_E_NS1_11comp_targetILNS1_3genE0ELNS1_11target_archE4294967295ELNS1_3gpuE0ELNS1_3repE0EEENS1_30default_config_static_selectorELNS0_4arch9wavefront6targetE0EEEvT1_,"axG",@progbits,_ZN7rocprim17ROCPRIM_400000_NS6detail17trampoline_kernelINS0_14default_configENS1_29reduce_by_key_config_selectorIffN6thrust23THRUST_200600_302600_NS4plusIfEEEEZZNS1_33reduce_by_key_impl_wrapped_configILNS1_25lookback_scan_determinismE1ES3_S9_NS6_6detail15normal_iteratorINS6_10device_ptrIfEEEESG_SG_SG_PmS8_NS6_8equal_toIfEEEE10hipError_tPvRmT2_T3_mT4_T5_T6_T7_T8_P12ihipStream_tbENKUlT_T0_E_clISt17integral_constantIbLb0EES11_EEDaSW_SX_EUlSW_E_NS1_11comp_targetILNS1_3genE0ELNS1_11target_archE4294967295ELNS1_3gpuE0ELNS1_3repE0EEENS1_30default_config_static_selectorELNS0_4arch9wavefront6targetE0EEEvT1_,comdat
.Lfunc_end89:
	.size	_ZN7rocprim17ROCPRIM_400000_NS6detail17trampoline_kernelINS0_14default_configENS1_29reduce_by_key_config_selectorIffN6thrust23THRUST_200600_302600_NS4plusIfEEEEZZNS1_33reduce_by_key_impl_wrapped_configILNS1_25lookback_scan_determinismE1ES3_S9_NS6_6detail15normal_iteratorINS6_10device_ptrIfEEEESG_SG_SG_PmS8_NS6_8equal_toIfEEEE10hipError_tPvRmT2_T3_mT4_T5_T6_T7_T8_P12ihipStream_tbENKUlT_T0_E_clISt17integral_constantIbLb0EES11_EEDaSW_SX_EUlSW_E_NS1_11comp_targetILNS1_3genE0ELNS1_11target_archE4294967295ELNS1_3gpuE0ELNS1_3repE0EEENS1_30default_config_static_selectorELNS0_4arch9wavefront6targetE0EEEvT1_, .Lfunc_end89-_ZN7rocprim17ROCPRIM_400000_NS6detail17trampoline_kernelINS0_14default_configENS1_29reduce_by_key_config_selectorIffN6thrust23THRUST_200600_302600_NS4plusIfEEEEZZNS1_33reduce_by_key_impl_wrapped_configILNS1_25lookback_scan_determinismE1ES3_S9_NS6_6detail15normal_iteratorINS6_10device_ptrIfEEEESG_SG_SG_PmS8_NS6_8equal_toIfEEEE10hipError_tPvRmT2_T3_mT4_T5_T6_T7_T8_P12ihipStream_tbENKUlT_T0_E_clISt17integral_constantIbLb0EES11_EEDaSW_SX_EUlSW_E_NS1_11comp_targetILNS1_3genE0ELNS1_11target_archE4294967295ELNS1_3gpuE0ELNS1_3repE0EEENS1_30default_config_static_selectorELNS0_4arch9wavefront6targetE0EEEvT1_
                                        ; -- End function
	.section	.AMDGPU.csdata,"",@progbits
; Kernel info:
; codeLenInByte = 0
; NumSgprs: 0
; NumVgprs: 0
; ScratchSize: 0
; MemoryBound: 0
; FloatMode: 240
; IeeeMode: 1
; LDSByteSize: 0 bytes/workgroup (compile time only)
; SGPRBlocks: 0
; VGPRBlocks: 0
; NumSGPRsForWavesPerEU: 1
; NumVGPRsForWavesPerEU: 1
; Occupancy: 16
; WaveLimiterHint : 0
; COMPUTE_PGM_RSRC2:SCRATCH_EN: 0
; COMPUTE_PGM_RSRC2:USER_SGPR: 15
; COMPUTE_PGM_RSRC2:TRAP_HANDLER: 0
; COMPUTE_PGM_RSRC2:TGID_X_EN: 1
; COMPUTE_PGM_RSRC2:TGID_Y_EN: 0
; COMPUTE_PGM_RSRC2:TGID_Z_EN: 0
; COMPUTE_PGM_RSRC2:TIDIG_COMP_CNT: 0
	.section	.text._ZN7rocprim17ROCPRIM_400000_NS6detail17trampoline_kernelINS0_14default_configENS1_29reduce_by_key_config_selectorIffN6thrust23THRUST_200600_302600_NS4plusIfEEEEZZNS1_33reduce_by_key_impl_wrapped_configILNS1_25lookback_scan_determinismE1ES3_S9_NS6_6detail15normal_iteratorINS6_10device_ptrIfEEEESG_SG_SG_PmS8_NS6_8equal_toIfEEEE10hipError_tPvRmT2_T3_mT4_T5_T6_T7_T8_P12ihipStream_tbENKUlT_T0_E_clISt17integral_constantIbLb0EES11_EEDaSW_SX_EUlSW_E_NS1_11comp_targetILNS1_3genE5ELNS1_11target_archE942ELNS1_3gpuE9ELNS1_3repE0EEENS1_30default_config_static_selectorELNS0_4arch9wavefront6targetE0EEEvT1_,"axG",@progbits,_ZN7rocprim17ROCPRIM_400000_NS6detail17trampoline_kernelINS0_14default_configENS1_29reduce_by_key_config_selectorIffN6thrust23THRUST_200600_302600_NS4plusIfEEEEZZNS1_33reduce_by_key_impl_wrapped_configILNS1_25lookback_scan_determinismE1ES3_S9_NS6_6detail15normal_iteratorINS6_10device_ptrIfEEEESG_SG_SG_PmS8_NS6_8equal_toIfEEEE10hipError_tPvRmT2_T3_mT4_T5_T6_T7_T8_P12ihipStream_tbENKUlT_T0_E_clISt17integral_constantIbLb0EES11_EEDaSW_SX_EUlSW_E_NS1_11comp_targetILNS1_3genE5ELNS1_11target_archE942ELNS1_3gpuE9ELNS1_3repE0EEENS1_30default_config_static_selectorELNS0_4arch9wavefront6targetE0EEEvT1_,comdat
	.protected	_ZN7rocprim17ROCPRIM_400000_NS6detail17trampoline_kernelINS0_14default_configENS1_29reduce_by_key_config_selectorIffN6thrust23THRUST_200600_302600_NS4plusIfEEEEZZNS1_33reduce_by_key_impl_wrapped_configILNS1_25lookback_scan_determinismE1ES3_S9_NS6_6detail15normal_iteratorINS6_10device_ptrIfEEEESG_SG_SG_PmS8_NS6_8equal_toIfEEEE10hipError_tPvRmT2_T3_mT4_T5_T6_T7_T8_P12ihipStream_tbENKUlT_T0_E_clISt17integral_constantIbLb0EES11_EEDaSW_SX_EUlSW_E_NS1_11comp_targetILNS1_3genE5ELNS1_11target_archE942ELNS1_3gpuE9ELNS1_3repE0EEENS1_30default_config_static_selectorELNS0_4arch9wavefront6targetE0EEEvT1_ ; -- Begin function _ZN7rocprim17ROCPRIM_400000_NS6detail17trampoline_kernelINS0_14default_configENS1_29reduce_by_key_config_selectorIffN6thrust23THRUST_200600_302600_NS4plusIfEEEEZZNS1_33reduce_by_key_impl_wrapped_configILNS1_25lookback_scan_determinismE1ES3_S9_NS6_6detail15normal_iteratorINS6_10device_ptrIfEEEESG_SG_SG_PmS8_NS6_8equal_toIfEEEE10hipError_tPvRmT2_T3_mT4_T5_T6_T7_T8_P12ihipStream_tbENKUlT_T0_E_clISt17integral_constantIbLb0EES11_EEDaSW_SX_EUlSW_E_NS1_11comp_targetILNS1_3genE5ELNS1_11target_archE942ELNS1_3gpuE9ELNS1_3repE0EEENS1_30default_config_static_selectorELNS0_4arch9wavefront6targetE0EEEvT1_
	.globl	_ZN7rocprim17ROCPRIM_400000_NS6detail17trampoline_kernelINS0_14default_configENS1_29reduce_by_key_config_selectorIffN6thrust23THRUST_200600_302600_NS4plusIfEEEEZZNS1_33reduce_by_key_impl_wrapped_configILNS1_25lookback_scan_determinismE1ES3_S9_NS6_6detail15normal_iteratorINS6_10device_ptrIfEEEESG_SG_SG_PmS8_NS6_8equal_toIfEEEE10hipError_tPvRmT2_T3_mT4_T5_T6_T7_T8_P12ihipStream_tbENKUlT_T0_E_clISt17integral_constantIbLb0EES11_EEDaSW_SX_EUlSW_E_NS1_11comp_targetILNS1_3genE5ELNS1_11target_archE942ELNS1_3gpuE9ELNS1_3repE0EEENS1_30default_config_static_selectorELNS0_4arch9wavefront6targetE0EEEvT1_
	.p2align	8
	.type	_ZN7rocprim17ROCPRIM_400000_NS6detail17trampoline_kernelINS0_14default_configENS1_29reduce_by_key_config_selectorIffN6thrust23THRUST_200600_302600_NS4plusIfEEEEZZNS1_33reduce_by_key_impl_wrapped_configILNS1_25lookback_scan_determinismE1ES3_S9_NS6_6detail15normal_iteratorINS6_10device_ptrIfEEEESG_SG_SG_PmS8_NS6_8equal_toIfEEEE10hipError_tPvRmT2_T3_mT4_T5_T6_T7_T8_P12ihipStream_tbENKUlT_T0_E_clISt17integral_constantIbLb0EES11_EEDaSW_SX_EUlSW_E_NS1_11comp_targetILNS1_3genE5ELNS1_11target_archE942ELNS1_3gpuE9ELNS1_3repE0EEENS1_30default_config_static_selectorELNS0_4arch9wavefront6targetE0EEEvT1_,@function
_ZN7rocprim17ROCPRIM_400000_NS6detail17trampoline_kernelINS0_14default_configENS1_29reduce_by_key_config_selectorIffN6thrust23THRUST_200600_302600_NS4plusIfEEEEZZNS1_33reduce_by_key_impl_wrapped_configILNS1_25lookback_scan_determinismE1ES3_S9_NS6_6detail15normal_iteratorINS6_10device_ptrIfEEEESG_SG_SG_PmS8_NS6_8equal_toIfEEEE10hipError_tPvRmT2_T3_mT4_T5_T6_T7_T8_P12ihipStream_tbENKUlT_T0_E_clISt17integral_constantIbLb0EES11_EEDaSW_SX_EUlSW_E_NS1_11comp_targetILNS1_3genE5ELNS1_11target_archE942ELNS1_3gpuE9ELNS1_3repE0EEENS1_30default_config_static_selectorELNS0_4arch9wavefront6targetE0EEEvT1_: ; @_ZN7rocprim17ROCPRIM_400000_NS6detail17trampoline_kernelINS0_14default_configENS1_29reduce_by_key_config_selectorIffN6thrust23THRUST_200600_302600_NS4plusIfEEEEZZNS1_33reduce_by_key_impl_wrapped_configILNS1_25lookback_scan_determinismE1ES3_S9_NS6_6detail15normal_iteratorINS6_10device_ptrIfEEEESG_SG_SG_PmS8_NS6_8equal_toIfEEEE10hipError_tPvRmT2_T3_mT4_T5_T6_T7_T8_P12ihipStream_tbENKUlT_T0_E_clISt17integral_constantIbLb0EES11_EEDaSW_SX_EUlSW_E_NS1_11comp_targetILNS1_3genE5ELNS1_11target_archE942ELNS1_3gpuE9ELNS1_3repE0EEENS1_30default_config_static_selectorELNS0_4arch9wavefront6targetE0EEEvT1_
; %bb.0:
	.section	.rodata,"a",@progbits
	.p2align	6, 0x0
	.amdhsa_kernel _ZN7rocprim17ROCPRIM_400000_NS6detail17trampoline_kernelINS0_14default_configENS1_29reduce_by_key_config_selectorIffN6thrust23THRUST_200600_302600_NS4plusIfEEEEZZNS1_33reduce_by_key_impl_wrapped_configILNS1_25lookback_scan_determinismE1ES3_S9_NS6_6detail15normal_iteratorINS6_10device_ptrIfEEEESG_SG_SG_PmS8_NS6_8equal_toIfEEEE10hipError_tPvRmT2_T3_mT4_T5_T6_T7_T8_P12ihipStream_tbENKUlT_T0_E_clISt17integral_constantIbLb0EES11_EEDaSW_SX_EUlSW_E_NS1_11comp_targetILNS1_3genE5ELNS1_11target_archE942ELNS1_3gpuE9ELNS1_3repE0EEENS1_30default_config_static_selectorELNS0_4arch9wavefront6targetE0EEEvT1_
		.amdhsa_group_segment_fixed_size 0
		.amdhsa_private_segment_fixed_size 0
		.amdhsa_kernarg_size 120
		.amdhsa_user_sgpr_count 15
		.amdhsa_user_sgpr_dispatch_ptr 0
		.amdhsa_user_sgpr_queue_ptr 0
		.amdhsa_user_sgpr_kernarg_segment_ptr 1
		.amdhsa_user_sgpr_dispatch_id 0
		.amdhsa_user_sgpr_private_segment_size 0
		.amdhsa_wavefront_size32 1
		.amdhsa_uses_dynamic_stack 0
		.amdhsa_enable_private_segment 0
		.amdhsa_system_sgpr_workgroup_id_x 1
		.amdhsa_system_sgpr_workgroup_id_y 0
		.amdhsa_system_sgpr_workgroup_id_z 0
		.amdhsa_system_sgpr_workgroup_info 0
		.amdhsa_system_vgpr_workitem_id 0
		.amdhsa_next_free_vgpr 1
		.amdhsa_next_free_sgpr 1
		.amdhsa_reserve_vcc 0
		.amdhsa_float_round_mode_32 0
		.amdhsa_float_round_mode_16_64 0
		.amdhsa_float_denorm_mode_32 3
		.amdhsa_float_denorm_mode_16_64 3
		.amdhsa_dx10_clamp 1
		.amdhsa_ieee_mode 1
		.amdhsa_fp16_overflow 0
		.amdhsa_workgroup_processor_mode 1
		.amdhsa_memory_ordered 1
		.amdhsa_forward_progress 0
		.amdhsa_shared_vgpr_count 0
		.amdhsa_exception_fp_ieee_invalid_op 0
		.amdhsa_exception_fp_denorm_src 0
		.amdhsa_exception_fp_ieee_div_zero 0
		.amdhsa_exception_fp_ieee_overflow 0
		.amdhsa_exception_fp_ieee_underflow 0
		.amdhsa_exception_fp_ieee_inexact 0
		.amdhsa_exception_int_div_zero 0
	.end_amdhsa_kernel
	.section	.text._ZN7rocprim17ROCPRIM_400000_NS6detail17trampoline_kernelINS0_14default_configENS1_29reduce_by_key_config_selectorIffN6thrust23THRUST_200600_302600_NS4plusIfEEEEZZNS1_33reduce_by_key_impl_wrapped_configILNS1_25lookback_scan_determinismE1ES3_S9_NS6_6detail15normal_iteratorINS6_10device_ptrIfEEEESG_SG_SG_PmS8_NS6_8equal_toIfEEEE10hipError_tPvRmT2_T3_mT4_T5_T6_T7_T8_P12ihipStream_tbENKUlT_T0_E_clISt17integral_constantIbLb0EES11_EEDaSW_SX_EUlSW_E_NS1_11comp_targetILNS1_3genE5ELNS1_11target_archE942ELNS1_3gpuE9ELNS1_3repE0EEENS1_30default_config_static_selectorELNS0_4arch9wavefront6targetE0EEEvT1_,"axG",@progbits,_ZN7rocprim17ROCPRIM_400000_NS6detail17trampoline_kernelINS0_14default_configENS1_29reduce_by_key_config_selectorIffN6thrust23THRUST_200600_302600_NS4plusIfEEEEZZNS1_33reduce_by_key_impl_wrapped_configILNS1_25lookback_scan_determinismE1ES3_S9_NS6_6detail15normal_iteratorINS6_10device_ptrIfEEEESG_SG_SG_PmS8_NS6_8equal_toIfEEEE10hipError_tPvRmT2_T3_mT4_T5_T6_T7_T8_P12ihipStream_tbENKUlT_T0_E_clISt17integral_constantIbLb0EES11_EEDaSW_SX_EUlSW_E_NS1_11comp_targetILNS1_3genE5ELNS1_11target_archE942ELNS1_3gpuE9ELNS1_3repE0EEENS1_30default_config_static_selectorELNS0_4arch9wavefront6targetE0EEEvT1_,comdat
.Lfunc_end90:
	.size	_ZN7rocprim17ROCPRIM_400000_NS6detail17trampoline_kernelINS0_14default_configENS1_29reduce_by_key_config_selectorIffN6thrust23THRUST_200600_302600_NS4plusIfEEEEZZNS1_33reduce_by_key_impl_wrapped_configILNS1_25lookback_scan_determinismE1ES3_S9_NS6_6detail15normal_iteratorINS6_10device_ptrIfEEEESG_SG_SG_PmS8_NS6_8equal_toIfEEEE10hipError_tPvRmT2_T3_mT4_T5_T6_T7_T8_P12ihipStream_tbENKUlT_T0_E_clISt17integral_constantIbLb0EES11_EEDaSW_SX_EUlSW_E_NS1_11comp_targetILNS1_3genE5ELNS1_11target_archE942ELNS1_3gpuE9ELNS1_3repE0EEENS1_30default_config_static_selectorELNS0_4arch9wavefront6targetE0EEEvT1_, .Lfunc_end90-_ZN7rocprim17ROCPRIM_400000_NS6detail17trampoline_kernelINS0_14default_configENS1_29reduce_by_key_config_selectorIffN6thrust23THRUST_200600_302600_NS4plusIfEEEEZZNS1_33reduce_by_key_impl_wrapped_configILNS1_25lookback_scan_determinismE1ES3_S9_NS6_6detail15normal_iteratorINS6_10device_ptrIfEEEESG_SG_SG_PmS8_NS6_8equal_toIfEEEE10hipError_tPvRmT2_T3_mT4_T5_T6_T7_T8_P12ihipStream_tbENKUlT_T0_E_clISt17integral_constantIbLb0EES11_EEDaSW_SX_EUlSW_E_NS1_11comp_targetILNS1_3genE5ELNS1_11target_archE942ELNS1_3gpuE9ELNS1_3repE0EEENS1_30default_config_static_selectorELNS0_4arch9wavefront6targetE0EEEvT1_
                                        ; -- End function
	.section	.AMDGPU.csdata,"",@progbits
; Kernel info:
; codeLenInByte = 0
; NumSgprs: 0
; NumVgprs: 0
; ScratchSize: 0
; MemoryBound: 0
; FloatMode: 240
; IeeeMode: 1
; LDSByteSize: 0 bytes/workgroup (compile time only)
; SGPRBlocks: 0
; VGPRBlocks: 0
; NumSGPRsForWavesPerEU: 1
; NumVGPRsForWavesPerEU: 1
; Occupancy: 16
; WaveLimiterHint : 0
; COMPUTE_PGM_RSRC2:SCRATCH_EN: 0
; COMPUTE_PGM_RSRC2:USER_SGPR: 15
; COMPUTE_PGM_RSRC2:TRAP_HANDLER: 0
; COMPUTE_PGM_RSRC2:TGID_X_EN: 1
; COMPUTE_PGM_RSRC2:TGID_Y_EN: 0
; COMPUTE_PGM_RSRC2:TGID_Z_EN: 0
; COMPUTE_PGM_RSRC2:TIDIG_COMP_CNT: 0
	.section	.text._ZN7rocprim17ROCPRIM_400000_NS6detail17trampoline_kernelINS0_14default_configENS1_29reduce_by_key_config_selectorIffN6thrust23THRUST_200600_302600_NS4plusIfEEEEZZNS1_33reduce_by_key_impl_wrapped_configILNS1_25lookback_scan_determinismE1ES3_S9_NS6_6detail15normal_iteratorINS6_10device_ptrIfEEEESG_SG_SG_PmS8_NS6_8equal_toIfEEEE10hipError_tPvRmT2_T3_mT4_T5_T6_T7_T8_P12ihipStream_tbENKUlT_T0_E_clISt17integral_constantIbLb0EES11_EEDaSW_SX_EUlSW_E_NS1_11comp_targetILNS1_3genE4ELNS1_11target_archE910ELNS1_3gpuE8ELNS1_3repE0EEENS1_30default_config_static_selectorELNS0_4arch9wavefront6targetE0EEEvT1_,"axG",@progbits,_ZN7rocprim17ROCPRIM_400000_NS6detail17trampoline_kernelINS0_14default_configENS1_29reduce_by_key_config_selectorIffN6thrust23THRUST_200600_302600_NS4plusIfEEEEZZNS1_33reduce_by_key_impl_wrapped_configILNS1_25lookback_scan_determinismE1ES3_S9_NS6_6detail15normal_iteratorINS6_10device_ptrIfEEEESG_SG_SG_PmS8_NS6_8equal_toIfEEEE10hipError_tPvRmT2_T3_mT4_T5_T6_T7_T8_P12ihipStream_tbENKUlT_T0_E_clISt17integral_constantIbLb0EES11_EEDaSW_SX_EUlSW_E_NS1_11comp_targetILNS1_3genE4ELNS1_11target_archE910ELNS1_3gpuE8ELNS1_3repE0EEENS1_30default_config_static_selectorELNS0_4arch9wavefront6targetE0EEEvT1_,comdat
	.protected	_ZN7rocprim17ROCPRIM_400000_NS6detail17trampoline_kernelINS0_14default_configENS1_29reduce_by_key_config_selectorIffN6thrust23THRUST_200600_302600_NS4plusIfEEEEZZNS1_33reduce_by_key_impl_wrapped_configILNS1_25lookback_scan_determinismE1ES3_S9_NS6_6detail15normal_iteratorINS6_10device_ptrIfEEEESG_SG_SG_PmS8_NS6_8equal_toIfEEEE10hipError_tPvRmT2_T3_mT4_T5_T6_T7_T8_P12ihipStream_tbENKUlT_T0_E_clISt17integral_constantIbLb0EES11_EEDaSW_SX_EUlSW_E_NS1_11comp_targetILNS1_3genE4ELNS1_11target_archE910ELNS1_3gpuE8ELNS1_3repE0EEENS1_30default_config_static_selectorELNS0_4arch9wavefront6targetE0EEEvT1_ ; -- Begin function _ZN7rocprim17ROCPRIM_400000_NS6detail17trampoline_kernelINS0_14default_configENS1_29reduce_by_key_config_selectorIffN6thrust23THRUST_200600_302600_NS4plusIfEEEEZZNS1_33reduce_by_key_impl_wrapped_configILNS1_25lookback_scan_determinismE1ES3_S9_NS6_6detail15normal_iteratorINS6_10device_ptrIfEEEESG_SG_SG_PmS8_NS6_8equal_toIfEEEE10hipError_tPvRmT2_T3_mT4_T5_T6_T7_T8_P12ihipStream_tbENKUlT_T0_E_clISt17integral_constantIbLb0EES11_EEDaSW_SX_EUlSW_E_NS1_11comp_targetILNS1_3genE4ELNS1_11target_archE910ELNS1_3gpuE8ELNS1_3repE0EEENS1_30default_config_static_selectorELNS0_4arch9wavefront6targetE0EEEvT1_
	.globl	_ZN7rocprim17ROCPRIM_400000_NS6detail17trampoline_kernelINS0_14default_configENS1_29reduce_by_key_config_selectorIffN6thrust23THRUST_200600_302600_NS4plusIfEEEEZZNS1_33reduce_by_key_impl_wrapped_configILNS1_25lookback_scan_determinismE1ES3_S9_NS6_6detail15normal_iteratorINS6_10device_ptrIfEEEESG_SG_SG_PmS8_NS6_8equal_toIfEEEE10hipError_tPvRmT2_T3_mT4_T5_T6_T7_T8_P12ihipStream_tbENKUlT_T0_E_clISt17integral_constantIbLb0EES11_EEDaSW_SX_EUlSW_E_NS1_11comp_targetILNS1_3genE4ELNS1_11target_archE910ELNS1_3gpuE8ELNS1_3repE0EEENS1_30default_config_static_selectorELNS0_4arch9wavefront6targetE0EEEvT1_
	.p2align	8
	.type	_ZN7rocprim17ROCPRIM_400000_NS6detail17trampoline_kernelINS0_14default_configENS1_29reduce_by_key_config_selectorIffN6thrust23THRUST_200600_302600_NS4plusIfEEEEZZNS1_33reduce_by_key_impl_wrapped_configILNS1_25lookback_scan_determinismE1ES3_S9_NS6_6detail15normal_iteratorINS6_10device_ptrIfEEEESG_SG_SG_PmS8_NS6_8equal_toIfEEEE10hipError_tPvRmT2_T3_mT4_T5_T6_T7_T8_P12ihipStream_tbENKUlT_T0_E_clISt17integral_constantIbLb0EES11_EEDaSW_SX_EUlSW_E_NS1_11comp_targetILNS1_3genE4ELNS1_11target_archE910ELNS1_3gpuE8ELNS1_3repE0EEENS1_30default_config_static_selectorELNS0_4arch9wavefront6targetE0EEEvT1_,@function
_ZN7rocprim17ROCPRIM_400000_NS6detail17trampoline_kernelINS0_14default_configENS1_29reduce_by_key_config_selectorIffN6thrust23THRUST_200600_302600_NS4plusIfEEEEZZNS1_33reduce_by_key_impl_wrapped_configILNS1_25lookback_scan_determinismE1ES3_S9_NS6_6detail15normal_iteratorINS6_10device_ptrIfEEEESG_SG_SG_PmS8_NS6_8equal_toIfEEEE10hipError_tPvRmT2_T3_mT4_T5_T6_T7_T8_P12ihipStream_tbENKUlT_T0_E_clISt17integral_constantIbLb0EES11_EEDaSW_SX_EUlSW_E_NS1_11comp_targetILNS1_3genE4ELNS1_11target_archE910ELNS1_3gpuE8ELNS1_3repE0EEENS1_30default_config_static_selectorELNS0_4arch9wavefront6targetE0EEEvT1_: ; @_ZN7rocprim17ROCPRIM_400000_NS6detail17trampoline_kernelINS0_14default_configENS1_29reduce_by_key_config_selectorIffN6thrust23THRUST_200600_302600_NS4plusIfEEEEZZNS1_33reduce_by_key_impl_wrapped_configILNS1_25lookback_scan_determinismE1ES3_S9_NS6_6detail15normal_iteratorINS6_10device_ptrIfEEEESG_SG_SG_PmS8_NS6_8equal_toIfEEEE10hipError_tPvRmT2_T3_mT4_T5_T6_T7_T8_P12ihipStream_tbENKUlT_T0_E_clISt17integral_constantIbLb0EES11_EEDaSW_SX_EUlSW_E_NS1_11comp_targetILNS1_3genE4ELNS1_11target_archE910ELNS1_3gpuE8ELNS1_3repE0EEENS1_30default_config_static_selectorELNS0_4arch9wavefront6targetE0EEEvT1_
; %bb.0:
	.section	.rodata,"a",@progbits
	.p2align	6, 0x0
	.amdhsa_kernel _ZN7rocprim17ROCPRIM_400000_NS6detail17trampoline_kernelINS0_14default_configENS1_29reduce_by_key_config_selectorIffN6thrust23THRUST_200600_302600_NS4plusIfEEEEZZNS1_33reduce_by_key_impl_wrapped_configILNS1_25lookback_scan_determinismE1ES3_S9_NS6_6detail15normal_iteratorINS6_10device_ptrIfEEEESG_SG_SG_PmS8_NS6_8equal_toIfEEEE10hipError_tPvRmT2_T3_mT4_T5_T6_T7_T8_P12ihipStream_tbENKUlT_T0_E_clISt17integral_constantIbLb0EES11_EEDaSW_SX_EUlSW_E_NS1_11comp_targetILNS1_3genE4ELNS1_11target_archE910ELNS1_3gpuE8ELNS1_3repE0EEENS1_30default_config_static_selectorELNS0_4arch9wavefront6targetE0EEEvT1_
		.amdhsa_group_segment_fixed_size 0
		.amdhsa_private_segment_fixed_size 0
		.amdhsa_kernarg_size 120
		.amdhsa_user_sgpr_count 15
		.amdhsa_user_sgpr_dispatch_ptr 0
		.amdhsa_user_sgpr_queue_ptr 0
		.amdhsa_user_sgpr_kernarg_segment_ptr 1
		.amdhsa_user_sgpr_dispatch_id 0
		.amdhsa_user_sgpr_private_segment_size 0
		.amdhsa_wavefront_size32 1
		.amdhsa_uses_dynamic_stack 0
		.amdhsa_enable_private_segment 0
		.amdhsa_system_sgpr_workgroup_id_x 1
		.amdhsa_system_sgpr_workgroup_id_y 0
		.amdhsa_system_sgpr_workgroup_id_z 0
		.amdhsa_system_sgpr_workgroup_info 0
		.amdhsa_system_vgpr_workitem_id 0
		.amdhsa_next_free_vgpr 1
		.amdhsa_next_free_sgpr 1
		.amdhsa_reserve_vcc 0
		.amdhsa_float_round_mode_32 0
		.amdhsa_float_round_mode_16_64 0
		.amdhsa_float_denorm_mode_32 3
		.amdhsa_float_denorm_mode_16_64 3
		.amdhsa_dx10_clamp 1
		.amdhsa_ieee_mode 1
		.amdhsa_fp16_overflow 0
		.amdhsa_workgroup_processor_mode 1
		.amdhsa_memory_ordered 1
		.amdhsa_forward_progress 0
		.amdhsa_shared_vgpr_count 0
		.amdhsa_exception_fp_ieee_invalid_op 0
		.amdhsa_exception_fp_denorm_src 0
		.amdhsa_exception_fp_ieee_div_zero 0
		.amdhsa_exception_fp_ieee_overflow 0
		.amdhsa_exception_fp_ieee_underflow 0
		.amdhsa_exception_fp_ieee_inexact 0
		.amdhsa_exception_int_div_zero 0
	.end_amdhsa_kernel
	.section	.text._ZN7rocprim17ROCPRIM_400000_NS6detail17trampoline_kernelINS0_14default_configENS1_29reduce_by_key_config_selectorIffN6thrust23THRUST_200600_302600_NS4plusIfEEEEZZNS1_33reduce_by_key_impl_wrapped_configILNS1_25lookback_scan_determinismE1ES3_S9_NS6_6detail15normal_iteratorINS6_10device_ptrIfEEEESG_SG_SG_PmS8_NS6_8equal_toIfEEEE10hipError_tPvRmT2_T3_mT4_T5_T6_T7_T8_P12ihipStream_tbENKUlT_T0_E_clISt17integral_constantIbLb0EES11_EEDaSW_SX_EUlSW_E_NS1_11comp_targetILNS1_3genE4ELNS1_11target_archE910ELNS1_3gpuE8ELNS1_3repE0EEENS1_30default_config_static_selectorELNS0_4arch9wavefront6targetE0EEEvT1_,"axG",@progbits,_ZN7rocprim17ROCPRIM_400000_NS6detail17trampoline_kernelINS0_14default_configENS1_29reduce_by_key_config_selectorIffN6thrust23THRUST_200600_302600_NS4plusIfEEEEZZNS1_33reduce_by_key_impl_wrapped_configILNS1_25lookback_scan_determinismE1ES3_S9_NS6_6detail15normal_iteratorINS6_10device_ptrIfEEEESG_SG_SG_PmS8_NS6_8equal_toIfEEEE10hipError_tPvRmT2_T3_mT4_T5_T6_T7_T8_P12ihipStream_tbENKUlT_T0_E_clISt17integral_constantIbLb0EES11_EEDaSW_SX_EUlSW_E_NS1_11comp_targetILNS1_3genE4ELNS1_11target_archE910ELNS1_3gpuE8ELNS1_3repE0EEENS1_30default_config_static_selectorELNS0_4arch9wavefront6targetE0EEEvT1_,comdat
.Lfunc_end91:
	.size	_ZN7rocprim17ROCPRIM_400000_NS6detail17trampoline_kernelINS0_14default_configENS1_29reduce_by_key_config_selectorIffN6thrust23THRUST_200600_302600_NS4plusIfEEEEZZNS1_33reduce_by_key_impl_wrapped_configILNS1_25lookback_scan_determinismE1ES3_S9_NS6_6detail15normal_iteratorINS6_10device_ptrIfEEEESG_SG_SG_PmS8_NS6_8equal_toIfEEEE10hipError_tPvRmT2_T3_mT4_T5_T6_T7_T8_P12ihipStream_tbENKUlT_T0_E_clISt17integral_constantIbLb0EES11_EEDaSW_SX_EUlSW_E_NS1_11comp_targetILNS1_3genE4ELNS1_11target_archE910ELNS1_3gpuE8ELNS1_3repE0EEENS1_30default_config_static_selectorELNS0_4arch9wavefront6targetE0EEEvT1_, .Lfunc_end91-_ZN7rocprim17ROCPRIM_400000_NS6detail17trampoline_kernelINS0_14default_configENS1_29reduce_by_key_config_selectorIffN6thrust23THRUST_200600_302600_NS4plusIfEEEEZZNS1_33reduce_by_key_impl_wrapped_configILNS1_25lookback_scan_determinismE1ES3_S9_NS6_6detail15normal_iteratorINS6_10device_ptrIfEEEESG_SG_SG_PmS8_NS6_8equal_toIfEEEE10hipError_tPvRmT2_T3_mT4_T5_T6_T7_T8_P12ihipStream_tbENKUlT_T0_E_clISt17integral_constantIbLb0EES11_EEDaSW_SX_EUlSW_E_NS1_11comp_targetILNS1_3genE4ELNS1_11target_archE910ELNS1_3gpuE8ELNS1_3repE0EEENS1_30default_config_static_selectorELNS0_4arch9wavefront6targetE0EEEvT1_
                                        ; -- End function
	.section	.AMDGPU.csdata,"",@progbits
; Kernel info:
; codeLenInByte = 0
; NumSgprs: 0
; NumVgprs: 0
; ScratchSize: 0
; MemoryBound: 0
; FloatMode: 240
; IeeeMode: 1
; LDSByteSize: 0 bytes/workgroup (compile time only)
; SGPRBlocks: 0
; VGPRBlocks: 0
; NumSGPRsForWavesPerEU: 1
; NumVGPRsForWavesPerEU: 1
; Occupancy: 16
; WaveLimiterHint : 0
; COMPUTE_PGM_RSRC2:SCRATCH_EN: 0
; COMPUTE_PGM_RSRC2:USER_SGPR: 15
; COMPUTE_PGM_RSRC2:TRAP_HANDLER: 0
; COMPUTE_PGM_RSRC2:TGID_X_EN: 1
; COMPUTE_PGM_RSRC2:TGID_Y_EN: 0
; COMPUTE_PGM_RSRC2:TGID_Z_EN: 0
; COMPUTE_PGM_RSRC2:TIDIG_COMP_CNT: 0
	.section	.text._ZN7rocprim17ROCPRIM_400000_NS6detail17trampoline_kernelINS0_14default_configENS1_29reduce_by_key_config_selectorIffN6thrust23THRUST_200600_302600_NS4plusIfEEEEZZNS1_33reduce_by_key_impl_wrapped_configILNS1_25lookback_scan_determinismE1ES3_S9_NS6_6detail15normal_iteratorINS6_10device_ptrIfEEEESG_SG_SG_PmS8_NS6_8equal_toIfEEEE10hipError_tPvRmT2_T3_mT4_T5_T6_T7_T8_P12ihipStream_tbENKUlT_T0_E_clISt17integral_constantIbLb0EES11_EEDaSW_SX_EUlSW_E_NS1_11comp_targetILNS1_3genE3ELNS1_11target_archE908ELNS1_3gpuE7ELNS1_3repE0EEENS1_30default_config_static_selectorELNS0_4arch9wavefront6targetE0EEEvT1_,"axG",@progbits,_ZN7rocprim17ROCPRIM_400000_NS6detail17trampoline_kernelINS0_14default_configENS1_29reduce_by_key_config_selectorIffN6thrust23THRUST_200600_302600_NS4plusIfEEEEZZNS1_33reduce_by_key_impl_wrapped_configILNS1_25lookback_scan_determinismE1ES3_S9_NS6_6detail15normal_iteratorINS6_10device_ptrIfEEEESG_SG_SG_PmS8_NS6_8equal_toIfEEEE10hipError_tPvRmT2_T3_mT4_T5_T6_T7_T8_P12ihipStream_tbENKUlT_T0_E_clISt17integral_constantIbLb0EES11_EEDaSW_SX_EUlSW_E_NS1_11comp_targetILNS1_3genE3ELNS1_11target_archE908ELNS1_3gpuE7ELNS1_3repE0EEENS1_30default_config_static_selectorELNS0_4arch9wavefront6targetE0EEEvT1_,comdat
	.protected	_ZN7rocprim17ROCPRIM_400000_NS6detail17trampoline_kernelINS0_14default_configENS1_29reduce_by_key_config_selectorIffN6thrust23THRUST_200600_302600_NS4plusIfEEEEZZNS1_33reduce_by_key_impl_wrapped_configILNS1_25lookback_scan_determinismE1ES3_S9_NS6_6detail15normal_iteratorINS6_10device_ptrIfEEEESG_SG_SG_PmS8_NS6_8equal_toIfEEEE10hipError_tPvRmT2_T3_mT4_T5_T6_T7_T8_P12ihipStream_tbENKUlT_T0_E_clISt17integral_constantIbLb0EES11_EEDaSW_SX_EUlSW_E_NS1_11comp_targetILNS1_3genE3ELNS1_11target_archE908ELNS1_3gpuE7ELNS1_3repE0EEENS1_30default_config_static_selectorELNS0_4arch9wavefront6targetE0EEEvT1_ ; -- Begin function _ZN7rocprim17ROCPRIM_400000_NS6detail17trampoline_kernelINS0_14default_configENS1_29reduce_by_key_config_selectorIffN6thrust23THRUST_200600_302600_NS4plusIfEEEEZZNS1_33reduce_by_key_impl_wrapped_configILNS1_25lookback_scan_determinismE1ES3_S9_NS6_6detail15normal_iteratorINS6_10device_ptrIfEEEESG_SG_SG_PmS8_NS6_8equal_toIfEEEE10hipError_tPvRmT2_T3_mT4_T5_T6_T7_T8_P12ihipStream_tbENKUlT_T0_E_clISt17integral_constantIbLb0EES11_EEDaSW_SX_EUlSW_E_NS1_11comp_targetILNS1_3genE3ELNS1_11target_archE908ELNS1_3gpuE7ELNS1_3repE0EEENS1_30default_config_static_selectorELNS0_4arch9wavefront6targetE0EEEvT1_
	.globl	_ZN7rocprim17ROCPRIM_400000_NS6detail17trampoline_kernelINS0_14default_configENS1_29reduce_by_key_config_selectorIffN6thrust23THRUST_200600_302600_NS4plusIfEEEEZZNS1_33reduce_by_key_impl_wrapped_configILNS1_25lookback_scan_determinismE1ES3_S9_NS6_6detail15normal_iteratorINS6_10device_ptrIfEEEESG_SG_SG_PmS8_NS6_8equal_toIfEEEE10hipError_tPvRmT2_T3_mT4_T5_T6_T7_T8_P12ihipStream_tbENKUlT_T0_E_clISt17integral_constantIbLb0EES11_EEDaSW_SX_EUlSW_E_NS1_11comp_targetILNS1_3genE3ELNS1_11target_archE908ELNS1_3gpuE7ELNS1_3repE0EEENS1_30default_config_static_selectorELNS0_4arch9wavefront6targetE0EEEvT1_
	.p2align	8
	.type	_ZN7rocprim17ROCPRIM_400000_NS6detail17trampoline_kernelINS0_14default_configENS1_29reduce_by_key_config_selectorIffN6thrust23THRUST_200600_302600_NS4plusIfEEEEZZNS1_33reduce_by_key_impl_wrapped_configILNS1_25lookback_scan_determinismE1ES3_S9_NS6_6detail15normal_iteratorINS6_10device_ptrIfEEEESG_SG_SG_PmS8_NS6_8equal_toIfEEEE10hipError_tPvRmT2_T3_mT4_T5_T6_T7_T8_P12ihipStream_tbENKUlT_T0_E_clISt17integral_constantIbLb0EES11_EEDaSW_SX_EUlSW_E_NS1_11comp_targetILNS1_3genE3ELNS1_11target_archE908ELNS1_3gpuE7ELNS1_3repE0EEENS1_30default_config_static_selectorELNS0_4arch9wavefront6targetE0EEEvT1_,@function
_ZN7rocprim17ROCPRIM_400000_NS6detail17trampoline_kernelINS0_14default_configENS1_29reduce_by_key_config_selectorIffN6thrust23THRUST_200600_302600_NS4plusIfEEEEZZNS1_33reduce_by_key_impl_wrapped_configILNS1_25lookback_scan_determinismE1ES3_S9_NS6_6detail15normal_iteratorINS6_10device_ptrIfEEEESG_SG_SG_PmS8_NS6_8equal_toIfEEEE10hipError_tPvRmT2_T3_mT4_T5_T6_T7_T8_P12ihipStream_tbENKUlT_T0_E_clISt17integral_constantIbLb0EES11_EEDaSW_SX_EUlSW_E_NS1_11comp_targetILNS1_3genE3ELNS1_11target_archE908ELNS1_3gpuE7ELNS1_3repE0EEENS1_30default_config_static_selectorELNS0_4arch9wavefront6targetE0EEEvT1_: ; @_ZN7rocprim17ROCPRIM_400000_NS6detail17trampoline_kernelINS0_14default_configENS1_29reduce_by_key_config_selectorIffN6thrust23THRUST_200600_302600_NS4plusIfEEEEZZNS1_33reduce_by_key_impl_wrapped_configILNS1_25lookback_scan_determinismE1ES3_S9_NS6_6detail15normal_iteratorINS6_10device_ptrIfEEEESG_SG_SG_PmS8_NS6_8equal_toIfEEEE10hipError_tPvRmT2_T3_mT4_T5_T6_T7_T8_P12ihipStream_tbENKUlT_T0_E_clISt17integral_constantIbLb0EES11_EEDaSW_SX_EUlSW_E_NS1_11comp_targetILNS1_3genE3ELNS1_11target_archE908ELNS1_3gpuE7ELNS1_3repE0EEENS1_30default_config_static_selectorELNS0_4arch9wavefront6targetE0EEEvT1_
; %bb.0:
	.section	.rodata,"a",@progbits
	.p2align	6, 0x0
	.amdhsa_kernel _ZN7rocprim17ROCPRIM_400000_NS6detail17trampoline_kernelINS0_14default_configENS1_29reduce_by_key_config_selectorIffN6thrust23THRUST_200600_302600_NS4plusIfEEEEZZNS1_33reduce_by_key_impl_wrapped_configILNS1_25lookback_scan_determinismE1ES3_S9_NS6_6detail15normal_iteratorINS6_10device_ptrIfEEEESG_SG_SG_PmS8_NS6_8equal_toIfEEEE10hipError_tPvRmT2_T3_mT4_T5_T6_T7_T8_P12ihipStream_tbENKUlT_T0_E_clISt17integral_constantIbLb0EES11_EEDaSW_SX_EUlSW_E_NS1_11comp_targetILNS1_3genE3ELNS1_11target_archE908ELNS1_3gpuE7ELNS1_3repE0EEENS1_30default_config_static_selectorELNS0_4arch9wavefront6targetE0EEEvT1_
		.amdhsa_group_segment_fixed_size 0
		.amdhsa_private_segment_fixed_size 0
		.amdhsa_kernarg_size 120
		.amdhsa_user_sgpr_count 15
		.amdhsa_user_sgpr_dispatch_ptr 0
		.amdhsa_user_sgpr_queue_ptr 0
		.amdhsa_user_sgpr_kernarg_segment_ptr 1
		.amdhsa_user_sgpr_dispatch_id 0
		.amdhsa_user_sgpr_private_segment_size 0
		.amdhsa_wavefront_size32 1
		.amdhsa_uses_dynamic_stack 0
		.amdhsa_enable_private_segment 0
		.amdhsa_system_sgpr_workgroup_id_x 1
		.amdhsa_system_sgpr_workgroup_id_y 0
		.amdhsa_system_sgpr_workgroup_id_z 0
		.amdhsa_system_sgpr_workgroup_info 0
		.amdhsa_system_vgpr_workitem_id 0
		.amdhsa_next_free_vgpr 1
		.amdhsa_next_free_sgpr 1
		.amdhsa_reserve_vcc 0
		.amdhsa_float_round_mode_32 0
		.amdhsa_float_round_mode_16_64 0
		.amdhsa_float_denorm_mode_32 3
		.amdhsa_float_denorm_mode_16_64 3
		.amdhsa_dx10_clamp 1
		.amdhsa_ieee_mode 1
		.amdhsa_fp16_overflow 0
		.amdhsa_workgroup_processor_mode 1
		.amdhsa_memory_ordered 1
		.amdhsa_forward_progress 0
		.amdhsa_shared_vgpr_count 0
		.amdhsa_exception_fp_ieee_invalid_op 0
		.amdhsa_exception_fp_denorm_src 0
		.amdhsa_exception_fp_ieee_div_zero 0
		.amdhsa_exception_fp_ieee_overflow 0
		.amdhsa_exception_fp_ieee_underflow 0
		.amdhsa_exception_fp_ieee_inexact 0
		.amdhsa_exception_int_div_zero 0
	.end_amdhsa_kernel
	.section	.text._ZN7rocprim17ROCPRIM_400000_NS6detail17trampoline_kernelINS0_14default_configENS1_29reduce_by_key_config_selectorIffN6thrust23THRUST_200600_302600_NS4plusIfEEEEZZNS1_33reduce_by_key_impl_wrapped_configILNS1_25lookback_scan_determinismE1ES3_S9_NS6_6detail15normal_iteratorINS6_10device_ptrIfEEEESG_SG_SG_PmS8_NS6_8equal_toIfEEEE10hipError_tPvRmT2_T3_mT4_T5_T6_T7_T8_P12ihipStream_tbENKUlT_T0_E_clISt17integral_constantIbLb0EES11_EEDaSW_SX_EUlSW_E_NS1_11comp_targetILNS1_3genE3ELNS1_11target_archE908ELNS1_3gpuE7ELNS1_3repE0EEENS1_30default_config_static_selectorELNS0_4arch9wavefront6targetE0EEEvT1_,"axG",@progbits,_ZN7rocprim17ROCPRIM_400000_NS6detail17trampoline_kernelINS0_14default_configENS1_29reduce_by_key_config_selectorIffN6thrust23THRUST_200600_302600_NS4plusIfEEEEZZNS1_33reduce_by_key_impl_wrapped_configILNS1_25lookback_scan_determinismE1ES3_S9_NS6_6detail15normal_iteratorINS6_10device_ptrIfEEEESG_SG_SG_PmS8_NS6_8equal_toIfEEEE10hipError_tPvRmT2_T3_mT4_T5_T6_T7_T8_P12ihipStream_tbENKUlT_T0_E_clISt17integral_constantIbLb0EES11_EEDaSW_SX_EUlSW_E_NS1_11comp_targetILNS1_3genE3ELNS1_11target_archE908ELNS1_3gpuE7ELNS1_3repE0EEENS1_30default_config_static_selectorELNS0_4arch9wavefront6targetE0EEEvT1_,comdat
.Lfunc_end92:
	.size	_ZN7rocprim17ROCPRIM_400000_NS6detail17trampoline_kernelINS0_14default_configENS1_29reduce_by_key_config_selectorIffN6thrust23THRUST_200600_302600_NS4plusIfEEEEZZNS1_33reduce_by_key_impl_wrapped_configILNS1_25lookback_scan_determinismE1ES3_S9_NS6_6detail15normal_iteratorINS6_10device_ptrIfEEEESG_SG_SG_PmS8_NS6_8equal_toIfEEEE10hipError_tPvRmT2_T3_mT4_T5_T6_T7_T8_P12ihipStream_tbENKUlT_T0_E_clISt17integral_constantIbLb0EES11_EEDaSW_SX_EUlSW_E_NS1_11comp_targetILNS1_3genE3ELNS1_11target_archE908ELNS1_3gpuE7ELNS1_3repE0EEENS1_30default_config_static_selectorELNS0_4arch9wavefront6targetE0EEEvT1_, .Lfunc_end92-_ZN7rocprim17ROCPRIM_400000_NS6detail17trampoline_kernelINS0_14default_configENS1_29reduce_by_key_config_selectorIffN6thrust23THRUST_200600_302600_NS4plusIfEEEEZZNS1_33reduce_by_key_impl_wrapped_configILNS1_25lookback_scan_determinismE1ES3_S9_NS6_6detail15normal_iteratorINS6_10device_ptrIfEEEESG_SG_SG_PmS8_NS6_8equal_toIfEEEE10hipError_tPvRmT2_T3_mT4_T5_T6_T7_T8_P12ihipStream_tbENKUlT_T0_E_clISt17integral_constantIbLb0EES11_EEDaSW_SX_EUlSW_E_NS1_11comp_targetILNS1_3genE3ELNS1_11target_archE908ELNS1_3gpuE7ELNS1_3repE0EEENS1_30default_config_static_selectorELNS0_4arch9wavefront6targetE0EEEvT1_
                                        ; -- End function
	.section	.AMDGPU.csdata,"",@progbits
; Kernel info:
; codeLenInByte = 0
; NumSgprs: 0
; NumVgprs: 0
; ScratchSize: 0
; MemoryBound: 0
; FloatMode: 240
; IeeeMode: 1
; LDSByteSize: 0 bytes/workgroup (compile time only)
; SGPRBlocks: 0
; VGPRBlocks: 0
; NumSGPRsForWavesPerEU: 1
; NumVGPRsForWavesPerEU: 1
; Occupancy: 16
; WaveLimiterHint : 0
; COMPUTE_PGM_RSRC2:SCRATCH_EN: 0
; COMPUTE_PGM_RSRC2:USER_SGPR: 15
; COMPUTE_PGM_RSRC2:TRAP_HANDLER: 0
; COMPUTE_PGM_RSRC2:TGID_X_EN: 1
; COMPUTE_PGM_RSRC2:TGID_Y_EN: 0
; COMPUTE_PGM_RSRC2:TGID_Z_EN: 0
; COMPUTE_PGM_RSRC2:TIDIG_COMP_CNT: 0
	.section	.text._ZN7rocprim17ROCPRIM_400000_NS6detail17trampoline_kernelINS0_14default_configENS1_29reduce_by_key_config_selectorIffN6thrust23THRUST_200600_302600_NS4plusIfEEEEZZNS1_33reduce_by_key_impl_wrapped_configILNS1_25lookback_scan_determinismE1ES3_S9_NS6_6detail15normal_iteratorINS6_10device_ptrIfEEEESG_SG_SG_PmS8_NS6_8equal_toIfEEEE10hipError_tPvRmT2_T3_mT4_T5_T6_T7_T8_P12ihipStream_tbENKUlT_T0_E_clISt17integral_constantIbLb0EES11_EEDaSW_SX_EUlSW_E_NS1_11comp_targetILNS1_3genE2ELNS1_11target_archE906ELNS1_3gpuE6ELNS1_3repE0EEENS1_30default_config_static_selectorELNS0_4arch9wavefront6targetE0EEEvT1_,"axG",@progbits,_ZN7rocprim17ROCPRIM_400000_NS6detail17trampoline_kernelINS0_14default_configENS1_29reduce_by_key_config_selectorIffN6thrust23THRUST_200600_302600_NS4plusIfEEEEZZNS1_33reduce_by_key_impl_wrapped_configILNS1_25lookback_scan_determinismE1ES3_S9_NS6_6detail15normal_iteratorINS6_10device_ptrIfEEEESG_SG_SG_PmS8_NS6_8equal_toIfEEEE10hipError_tPvRmT2_T3_mT4_T5_T6_T7_T8_P12ihipStream_tbENKUlT_T0_E_clISt17integral_constantIbLb0EES11_EEDaSW_SX_EUlSW_E_NS1_11comp_targetILNS1_3genE2ELNS1_11target_archE906ELNS1_3gpuE6ELNS1_3repE0EEENS1_30default_config_static_selectorELNS0_4arch9wavefront6targetE0EEEvT1_,comdat
	.protected	_ZN7rocprim17ROCPRIM_400000_NS6detail17trampoline_kernelINS0_14default_configENS1_29reduce_by_key_config_selectorIffN6thrust23THRUST_200600_302600_NS4plusIfEEEEZZNS1_33reduce_by_key_impl_wrapped_configILNS1_25lookback_scan_determinismE1ES3_S9_NS6_6detail15normal_iteratorINS6_10device_ptrIfEEEESG_SG_SG_PmS8_NS6_8equal_toIfEEEE10hipError_tPvRmT2_T3_mT4_T5_T6_T7_T8_P12ihipStream_tbENKUlT_T0_E_clISt17integral_constantIbLb0EES11_EEDaSW_SX_EUlSW_E_NS1_11comp_targetILNS1_3genE2ELNS1_11target_archE906ELNS1_3gpuE6ELNS1_3repE0EEENS1_30default_config_static_selectorELNS0_4arch9wavefront6targetE0EEEvT1_ ; -- Begin function _ZN7rocprim17ROCPRIM_400000_NS6detail17trampoline_kernelINS0_14default_configENS1_29reduce_by_key_config_selectorIffN6thrust23THRUST_200600_302600_NS4plusIfEEEEZZNS1_33reduce_by_key_impl_wrapped_configILNS1_25lookback_scan_determinismE1ES3_S9_NS6_6detail15normal_iteratorINS6_10device_ptrIfEEEESG_SG_SG_PmS8_NS6_8equal_toIfEEEE10hipError_tPvRmT2_T3_mT4_T5_T6_T7_T8_P12ihipStream_tbENKUlT_T0_E_clISt17integral_constantIbLb0EES11_EEDaSW_SX_EUlSW_E_NS1_11comp_targetILNS1_3genE2ELNS1_11target_archE906ELNS1_3gpuE6ELNS1_3repE0EEENS1_30default_config_static_selectorELNS0_4arch9wavefront6targetE0EEEvT1_
	.globl	_ZN7rocprim17ROCPRIM_400000_NS6detail17trampoline_kernelINS0_14default_configENS1_29reduce_by_key_config_selectorIffN6thrust23THRUST_200600_302600_NS4plusIfEEEEZZNS1_33reduce_by_key_impl_wrapped_configILNS1_25lookback_scan_determinismE1ES3_S9_NS6_6detail15normal_iteratorINS6_10device_ptrIfEEEESG_SG_SG_PmS8_NS6_8equal_toIfEEEE10hipError_tPvRmT2_T3_mT4_T5_T6_T7_T8_P12ihipStream_tbENKUlT_T0_E_clISt17integral_constantIbLb0EES11_EEDaSW_SX_EUlSW_E_NS1_11comp_targetILNS1_3genE2ELNS1_11target_archE906ELNS1_3gpuE6ELNS1_3repE0EEENS1_30default_config_static_selectorELNS0_4arch9wavefront6targetE0EEEvT1_
	.p2align	8
	.type	_ZN7rocprim17ROCPRIM_400000_NS6detail17trampoline_kernelINS0_14default_configENS1_29reduce_by_key_config_selectorIffN6thrust23THRUST_200600_302600_NS4plusIfEEEEZZNS1_33reduce_by_key_impl_wrapped_configILNS1_25lookback_scan_determinismE1ES3_S9_NS6_6detail15normal_iteratorINS6_10device_ptrIfEEEESG_SG_SG_PmS8_NS6_8equal_toIfEEEE10hipError_tPvRmT2_T3_mT4_T5_T6_T7_T8_P12ihipStream_tbENKUlT_T0_E_clISt17integral_constantIbLb0EES11_EEDaSW_SX_EUlSW_E_NS1_11comp_targetILNS1_3genE2ELNS1_11target_archE906ELNS1_3gpuE6ELNS1_3repE0EEENS1_30default_config_static_selectorELNS0_4arch9wavefront6targetE0EEEvT1_,@function
_ZN7rocprim17ROCPRIM_400000_NS6detail17trampoline_kernelINS0_14default_configENS1_29reduce_by_key_config_selectorIffN6thrust23THRUST_200600_302600_NS4plusIfEEEEZZNS1_33reduce_by_key_impl_wrapped_configILNS1_25lookback_scan_determinismE1ES3_S9_NS6_6detail15normal_iteratorINS6_10device_ptrIfEEEESG_SG_SG_PmS8_NS6_8equal_toIfEEEE10hipError_tPvRmT2_T3_mT4_T5_T6_T7_T8_P12ihipStream_tbENKUlT_T0_E_clISt17integral_constantIbLb0EES11_EEDaSW_SX_EUlSW_E_NS1_11comp_targetILNS1_3genE2ELNS1_11target_archE906ELNS1_3gpuE6ELNS1_3repE0EEENS1_30default_config_static_selectorELNS0_4arch9wavefront6targetE0EEEvT1_: ; @_ZN7rocprim17ROCPRIM_400000_NS6detail17trampoline_kernelINS0_14default_configENS1_29reduce_by_key_config_selectorIffN6thrust23THRUST_200600_302600_NS4plusIfEEEEZZNS1_33reduce_by_key_impl_wrapped_configILNS1_25lookback_scan_determinismE1ES3_S9_NS6_6detail15normal_iteratorINS6_10device_ptrIfEEEESG_SG_SG_PmS8_NS6_8equal_toIfEEEE10hipError_tPvRmT2_T3_mT4_T5_T6_T7_T8_P12ihipStream_tbENKUlT_T0_E_clISt17integral_constantIbLb0EES11_EEDaSW_SX_EUlSW_E_NS1_11comp_targetILNS1_3genE2ELNS1_11target_archE906ELNS1_3gpuE6ELNS1_3repE0EEENS1_30default_config_static_selectorELNS0_4arch9wavefront6targetE0EEEvT1_
; %bb.0:
	.section	.rodata,"a",@progbits
	.p2align	6, 0x0
	.amdhsa_kernel _ZN7rocprim17ROCPRIM_400000_NS6detail17trampoline_kernelINS0_14default_configENS1_29reduce_by_key_config_selectorIffN6thrust23THRUST_200600_302600_NS4plusIfEEEEZZNS1_33reduce_by_key_impl_wrapped_configILNS1_25lookback_scan_determinismE1ES3_S9_NS6_6detail15normal_iteratorINS6_10device_ptrIfEEEESG_SG_SG_PmS8_NS6_8equal_toIfEEEE10hipError_tPvRmT2_T3_mT4_T5_T6_T7_T8_P12ihipStream_tbENKUlT_T0_E_clISt17integral_constantIbLb0EES11_EEDaSW_SX_EUlSW_E_NS1_11comp_targetILNS1_3genE2ELNS1_11target_archE906ELNS1_3gpuE6ELNS1_3repE0EEENS1_30default_config_static_selectorELNS0_4arch9wavefront6targetE0EEEvT1_
		.amdhsa_group_segment_fixed_size 0
		.amdhsa_private_segment_fixed_size 0
		.amdhsa_kernarg_size 120
		.amdhsa_user_sgpr_count 15
		.amdhsa_user_sgpr_dispatch_ptr 0
		.amdhsa_user_sgpr_queue_ptr 0
		.amdhsa_user_sgpr_kernarg_segment_ptr 1
		.amdhsa_user_sgpr_dispatch_id 0
		.amdhsa_user_sgpr_private_segment_size 0
		.amdhsa_wavefront_size32 1
		.amdhsa_uses_dynamic_stack 0
		.amdhsa_enable_private_segment 0
		.amdhsa_system_sgpr_workgroup_id_x 1
		.amdhsa_system_sgpr_workgroup_id_y 0
		.amdhsa_system_sgpr_workgroup_id_z 0
		.amdhsa_system_sgpr_workgroup_info 0
		.amdhsa_system_vgpr_workitem_id 0
		.amdhsa_next_free_vgpr 1
		.amdhsa_next_free_sgpr 1
		.amdhsa_reserve_vcc 0
		.amdhsa_float_round_mode_32 0
		.amdhsa_float_round_mode_16_64 0
		.amdhsa_float_denorm_mode_32 3
		.amdhsa_float_denorm_mode_16_64 3
		.amdhsa_dx10_clamp 1
		.amdhsa_ieee_mode 1
		.amdhsa_fp16_overflow 0
		.amdhsa_workgroup_processor_mode 1
		.amdhsa_memory_ordered 1
		.amdhsa_forward_progress 0
		.amdhsa_shared_vgpr_count 0
		.amdhsa_exception_fp_ieee_invalid_op 0
		.amdhsa_exception_fp_denorm_src 0
		.amdhsa_exception_fp_ieee_div_zero 0
		.amdhsa_exception_fp_ieee_overflow 0
		.amdhsa_exception_fp_ieee_underflow 0
		.amdhsa_exception_fp_ieee_inexact 0
		.amdhsa_exception_int_div_zero 0
	.end_amdhsa_kernel
	.section	.text._ZN7rocprim17ROCPRIM_400000_NS6detail17trampoline_kernelINS0_14default_configENS1_29reduce_by_key_config_selectorIffN6thrust23THRUST_200600_302600_NS4plusIfEEEEZZNS1_33reduce_by_key_impl_wrapped_configILNS1_25lookback_scan_determinismE1ES3_S9_NS6_6detail15normal_iteratorINS6_10device_ptrIfEEEESG_SG_SG_PmS8_NS6_8equal_toIfEEEE10hipError_tPvRmT2_T3_mT4_T5_T6_T7_T8_P12ihipStream_tbENKUlT_T0_E_clISt17integral_constantIbLb0EES11_EEDaSW_SX_EUlSW_E_NS1_11comp_targetILNS1_3genE2ELNS1_11target_archE906ELNS1_3gpuE6ELNS1_3repE0EEENS1_30default_config_static_selectorELNS0_4arch9wavefront6targetE0EEEvT1_,"axG",@progbits,_ZN7rocprim17ROCPRIM_400000_NS6detail17trampoline_kernelINS0_14default_configENS1_29reduce_by_key_config_selectorIffN6thrust23THRUST_200600_302600_NS4plusIfEEEEZZNS1_33reduce_by_key_impl_wrapped_configILNS1_25lookback_scan_determinismE1ES3_S9_NS6_6detail15normal_iteratorINS6_10device_ptrIfEEEESG_SG_SG_PmS8_NS6_8equal_toIfEEEE10hipError_tPvRmT2_T3_mT4_T5_T6_T7_T8_P12ihipStream_tbENKUlT_T0_E_clISt17integral_constantIbLb0EES11_EEDaSW_SX_EUlSW_E_NS1_11comp_targetILNS1_3genE2ELNS1_11target_archE906ELNS1_3gpuE6ELNS1_3repE0EEENS1_30default_config_static_selectorELNS0_4arch9wavefront6targetE0EEEvT1_,comdat
.Lfunc_end93:
	.size	_ZN7rocprim17ROCPRIM_400000_NS6detail17trampoline_kernelINS0_14default_configENS1_29reduce_by_key_config_selectorIffN6thrust23THRUST_200600_302600_NS4plusIfEEEEZZNS1_33reduce_by_key_impl_wrapped_configILNS1_25lookback_scan_determinismE1ES3_S9_NS6_6detail15normal_iteratorINS6_10device_ptrIfEEEESG_SG_SG_PmS8_NS6_8equal_toIfEEEE10hipError_tPvRmT2_T3_mT4_T5_T6_T7_T8_P12ihipStream_tbENKUlT_T0_E_clISt17integral_constantIbLb0EES11_EEDaSW_SX_EUlSW_E_NS1_11comp_targetILNS1_3genE2ELNS1_11target_archE906ELNS1_3gpuE6ELNS1_3repE0EEENS1_30default_config_static_selectorELNS0_4arch9wavefront6targetE0EEEvT1_, .Lfunc_end93-_ZN7rocprim17ROCPRIM_400000_NS6detail17trampoline_kernelINS0_14default_configENS1_29reduce_by_key_config_selectorIffN6thrust23THRUST_200600_302600_NS4plusIfEEEEZZNS1_33reduce_by_key_impl_wrapped_configILNS1_25lookback_scan_determinismE1ES3_S9_NS6_6detail15normal_iteratorINS6_10device_ptrIfEEEESG_SG_SG_PmS8_NS6_8equal_toIfEEEE10hipError_tPvRmT2_T3_mT4_T5_T6_T7_T8_P12ihipStream_tbENKUlT_T0_E_clISt17integral_constantIbLb0EES11_EEDaSW_SX_EUlSW_E_NS1_11comp_targetILNS1_3genE2ELNS1_11target_archE906ELNS1_3gpuE6ELNS1_3repE0EEENS1_30default_config_static_selectorELNS0_4arch9wavefront6targetE0EEEvT1_
                                        ; -- End function
	.section	.AMDGPU.csdata,"",@progbits
; Kernel info:
; codeLenInByte = 0
; NumSgprs: 0
; NumVgprs: 0
; ScratchSize: 0
; MemoryBound: 0
; FloatMode: 240
; IeeeMode: 1
; LDSByteSize: 0 bytes/workgroup (compile time only)
; SGPRBlocks: 0
; VGPRBlocks: 0
; NumSGPRsForWavesPerEU: 1
; NumVGPRsForWavesPerEU: 1
; Occupancy: 16
; WaveLimiterHint : 0
; COMPUTE_PGM_RSRC2:SCRATCH_EN: 0
; COMPUTE_PGM_RSRC2:USER_SGPR: 15
; COMPUTE_PGM_RSRC2:TRAP_HANDLER: 0
; COMPUTE_PGM_RSRC2:TGID_X_EN: 1
; COMPUTE_PGM_RSRC2:TGID_Y_EN: 0
; COMPUTE_PGM_RSRC2:TGID_Z_EN: 0
; COMPUTE_PGM_RSRC2:TIDIG_COMP_CNT: 0
	.section	.text._ZN7rocprim17ROCPRIM_400000_NS6detail17trampoline_kernelINS0_14default_configENS1_29reduce_by_key_config_selectorIffN6thrust23THRUST_200600_302600_NS4plusIfEEEEZZNS1_33reduce_by_key_impl_wrapped_configILNS1_25lookback_scan_determinismE1ES3_S9_NS6_6detail15normal_iteratorINS6_10device_ptrIfEEEESG_SG_SG_PmS8_NS6_8equal_toIfEEEE10hipError_tPvRmT2_T3_mT4_T5_T6_T7_T8_P12ihipStream_tbENKUlT_T0_E_clISt17integral_constantIbLb0EES11_EEDaSW_SX_EUlSW_E_NS1_11comp_targetILNS1_3genE10ELNS1_11target_archE1201ELNS1_3gpuE5ELNS1_3repE0EEENS1_30default_config_static_selectorELNS0_4arch9wavefront6targetE0EEEvT1_,"axG",@progbits,_ZN7rocprim17ROCPRIM_400000_NS6detail17trampoline_kernelINS0_14default_configENS1_29reduce_by_key_config_selectorIffN6thrust23THRUST_200600_302600_NS4plusIfEEEEZZNS1_33reduce_by_key_impl_wrapped_configILNS1_25lookback_scan_determinismE1ES3_S9_NS6_6detail15normal_iteratorINS6_10device_ptrIfEEEESG_SG_SG_PmS8_NS6_8equal_toIfEEEE10hipError_tPvRmT2_T3_mT4_T5_T6_T7_T8_P12ihipStream_tbENKUlT_T0_E_clISt17integral_constantIbLb0EES11_EEDaSW_SX_EUlSW_E_NS1_11comp_targetILNS1_3genE10ELNS1_11target_archE1201ELNS1_3gpuE5ELNS1_3repE0EEENS1_30default_config_static_selectorELNS0_4arch9wavefront6targetE0EEEvT1_,comdat
	.protected	_ZN7rocprim17ROCPRIM_400000_NS6detail17trampoline_kernelINS0_14default_configENS1_29reduce_by_key_config_selectorIffN6thrust23THRUST_200600_302600_NS4plusIfEEEEZZNS1_33reduce_by_key_impl_wrapped_configILNS1_25lookback_scan_determinismE1ES3_S9_NS6_6detail15normal_iteratorINS6_10device_ptrIfEEEESG_SG_SG_PmS8_NS6_8equal_toIfEEEE10hipError_tPvRmT2_T3_mT4_T5_T6_T7_T8_P12ihipStream_tbENKUlT_T0_E_clISt17integral_constantIbLb0EES11_EEDaSW_SX_EUlSW_E_NS1_11comp_targetILNS1_3genE10ELNS1_11target_archE1201ELNS1_3gpuE5ELNS1_3repE0EEENS1_30default_config_static_selectorELNS0_4arch9wavefront6targetE0EEEvT1_ ; -- Begin function _ZN7rocprim17ROCPRIM_400000_NS6detail17trampoline_kernelINS0_14default_configENS1_29reduce_by_key_config_selectorIffN6thrust23THRUST_200600_302600_NS4plusIfEEEEZZNS1_33reduce_by_key_impl_wrapped_configILNS1_25lookback_scan_determinismE1ES3_S9_NS6_6detail15normal_iteratorINS6_10device_ptrIfEEEESG_SG_SG_PmS8_NS6_8equal_toIfEEEE10hipError_tPvRmT2_T3_mT4_T5_T6_T7_T8_P12ihipStream_tbENKUlT_T0_E_clISt17integral_constantIbLb0EES11_EEDaSW_SX_EUlSW_E_NS1_11comp_targetILNS1_3genE10ELNS1_11target_archE1201ELNS1_3gpuE5ELNS1_3repE0EEENS1_30default_config_static_selectorELNS0_4arch9wavefront6targetE0EEEvT1_
	.globl	_ZN7rocprim17ROCPRIM_400000_NS6detail17trampoline_kernelINS0_14default_configENS1_29reduce_by_key_config_selectorIffN6thrust23THRUST_200600_302600_NS4plusIfEEEEZZNS1_33reduce_by_key_impl_wrapped_configILNS1_25lookback_scan_determinismE1ES3_S9_NS6_6detail15normal_iteratorINS6_10device_ptrIfEEEESG_SG_SG_PmS8_NS6_8equal_toIfEEEE10hipError_tPvRmT2_T3_mT4_T5_T6_T7_T8_P12ihipStream_tbENKUlT_T0_E_clISt17integral_constantIbLb0EES11_EEDaSW_SX_EUlSW_E_NS1_11comp_targetILNS1_3genE10ELNS1_11target_archE1201ELNS1_3gpuE5ELNS1_3repE0EEENS1_30default_config_static_selectorELNS0_4arch9wavefront6targetE0EEEvT1_
	.p2align	8
	.type	_ZN7rocprim17ROCPRIM_400000_NS6detail17trampoline_kernelINS0_14default_configENS1_29reduce_by_key_config_selectorIffN6thrust23THRUST_200600_302600_NS4plusIfEEEEZZNS1_33reduce_by_key_impl_wrapped_configILNS1_25lookback_scan_determinismE1ES3_S9_NS6_6detail15normal_iteratorINS6_10device_ptrIfEEEESG_SG_SG_PmS8_NS6_8equal_toIfEEEE10hipError_tPvRmT2_T3_mT4_T5_T6_T7_T8_P12ihipStream_tbENKUlT_T0_E_clISt17integral_constantIbLb0EES11_EEDaSW_SX_EUlSW_E_NS1_11comp_targetILNS1_3genE10ELNS1_11target_archE1201ELNS1_3gpuE5ELNS1_3repE0EEENS1_30default_config_static_selectorELNS0_4arch9wavefront6targetE0EEEvT1_,@function
_ZN7rocprim17ROCPRIM_400000_NS6detail17trampoline_kernelINS0_14default_configENS1_29reduce_by_key_config_selectorIffN6thrust23THRUST_200600_302600_NS4plusIfEEEEZZNS1_33reduce_by_key_impl_wrapped_configILNS1_25lookback_scan_determinismE1ES3_S9_NS6_6detail15normal_iteratorINS6_10device_ptrIfEEEESG_SG_SG_PmS8_NS6_8equal_toIfEEEE10hipError_tPvRmT2_T3_mT4_T5_T6_T7_T8_P12ihipStream_tbENKUlT_T0_E_clISt17integral_constantIbLb0EES11_EEDaSW_SX_EUlSW_E_NS1_11comp_targetILNS1_3genE10ELNS1_11target_archE1201ELNS1_3gpuE5ELNS1_3repE0EEENS1_30default_config_static_selectorELNS0_4arch9wavefront6targetE0EEEvT1_: ; @_ZN7rocprim17ROCPRIM_400000_NS6detail17trampoline_kernelINS0_14default_configENS1_29reduce_by_key_config_selectorIffN6thrust23THRUST_200600_302600_NS4plusIfEEEEZZNS1_33reduce_by_key_impl_wrapped_configILNS1_25lookback_scan_determinismE1ES3_S9_NS6_6detail15normal_iteratorINS6_10device_ptrIfEEEESG_SG_SG_PmS8_NS6_8equal_toIfEEEE10hipError_tPvRmT2_T3_mT4_T5_T6_T7_T8_P12ihipStream_tbENKUlT_T0_E_clISt17integral_constantIbLb0EES11_EEDaSW_SX_EUlSW_E_NS1_11comp_targetILNS1_3genE10ELNS1_11target_archE1201ELNS1_3gpuE5ELNS1_3repE0EEENS1_30default_config_static_selectorELNS0_4arch9wavefront6targetE0EEEvT1_
; %bb.0:
	.section	.rodata,"a",@progbits
	.p2align	6, 0x0
	.amdhsa_kernel _ZN7rocprim17ROCPRIM_400000_NS6detail17trampoline_kernelINS0_14default_configENS1_29reduce_by_key_config_selectorIffN6thrust23THRUST_200600_302600_NS4plusIfEEEEZZNS1_33reduce_by_key_impl_wrapped_configILNS1_25lookback_scan_determinismE1ES3_S9_NS6_6detail15normal_iteratorINS6_10device_ptrIfEEEESG_SG_SG_PmS8_NS6_8equal_toIfEEEE10hipError_tPvRmT2_T3_mT4_T5_T6_T7_T8_P12ihipStream_tbENKUlT_T0_E_clISt17integral_constantIbLb0EES11_EEDaSW_SX_EUlSW_E_NS1_11comp_targetILNS1_3genE10ELNS1_11target_archE1201ELNS1_3gpuE5ELNS1_3repE0EEENS1_30default_config_static_selectorELNS0_4arch9wavefront6targetE0EEEvT1_
		.amdhsa_group_segment_fixed_size 0
		.amdhsa_private_segment_fixed_size 0
		.amdhsa_kernarg_size 120
		.amdhsa_user_sgpr_count 15
		.amdhsa_user_sgpr_dispatch_ptr 0
		.amdhsa_user_sgpr_queue_ptr 0
		.amdhsa_user_sgpr_kernarg_segment_ptr 1
		.amdhsa_user_sgpr_dispatch_id 0
		.amdhsa_user_sgpr_private_segment_size 0
		.amdhsa_wavefront_size32 1
		.amdhsa_uses_dynamic_stack 0
		.amdhsa_enable_private_segment 0
		.amdhsa_system_sgpr_workgroup_id_x 1
		.amdhsa_system_sgpr_workgroup_id_y 0
		.amdhsa_system_sgpr_workgroup_id_z 0
		.amdhsa_system_sgpr_workgroup_info 0
		.amdhsa_system_vgpr_workitem_id 0
		.amdhsa_next_free_vgpr 1
		.amdhsa_next_free_sgpr 1
		.amdhsa_reserve_vcc 0
		.amdhsa_float_round_mode_32 0
		.amdhsa_float_round_mode_16_64 0
		.amdhsa_float_denorm_mode_32 3
		.amdhsa_float_denorm_mode_16_64 3
		.amdhsa_dx10_clamp 1
		.amdhsa_ieee_mode 1
		.amdhsa_fp16_overflow 0
		.amdhsa_workgroup_processor_mode 1
		.amdhsa_memory_ordered 1
		.amdhsa_forward_progress 0
		.amdhsa_shared_vgpr_count 0
		.amdhsa_exception_fp_ieee_invalid_op 0
		.amdhsa_exception_fp_denorm_src 0
		.amdhsa_exception_fp_ieee_div_zero 0
		.amdhsa_exception_fp_ieee_overflow 0
		.amdhsa_exception_fp_ieee_underflow 0
		.amdhsa_exception_fp_ieee_inexact 0
		.amdhsa_exception_int_div_zero 0
	.end_amdhsa_kernel
	.section	.text._ZN7rocprim17ROCPRIM_400000_NS6detail17trampoline_kernelINS0_14default_configENS1_29reduce_by_key_config_selectorIffN6thrust23THRUST_200600_302600_NS4plusIfEEEEZZNS1_33reduce_by_key_impl_wrapped_configILNS1_25lookback_scan_determinismE1ES3_S9_NS6_6detail15normal_iteratorINS6_10device_ptrIfEEEESG_SG_SG_PmS8_NS6_8equal_toIfEEEE10hipError_tPvRmT2_T3_mT4_T5_T6_T7_T8_P12ihipStream_tbENKUlT_T0_E_clISt17integral_constantIbLb0EES11_EEDaSW_SX_EUlSW_E_NS1_11comp_targetILNS1_3genE10ELNS1_11target_archE1201ELNS1_3gpuE5ELNS1_3repE0EEENS1_30default_config_static_selectorELNS0_4arch9wavefront6targetE0EEEvT1_,"axG",@progbits,_ZN7rocprim17ROCPRIM_400000_NS6detail17trampoline_kernelINS0_14default_configENS1_29reduce_by_key_config_selectorIffN6thrust23THRUST_200600_302600_NS4plusIfEEEEZZNS1_33reduce_by_key_impl_wrapped_configILNS1_25lookback_scan_determinismE1ES3_S9_NS6_6detail15normal_iteratorINS6_10device_ptrIfEEEESG_SG_SG_PmS8_NS6_8equal_toIfEEEE10hipError_tPvRmT2_T3_mT4_T5_T6_T7_T8_P12ihipStream_tbENKUlT_T0_E_clISt17integral_constantIbLb0EES11_EEDaSW_SX_EUlSW_E_NS1_11comp_targetILNS1_3genE10ELNS1_11target_archE1201ELNS1_3gpuE5ELNS1_3repE0EEENS1_30default_config_static_selectorELNS0_4arch9wavefront6targetE0EEEvT1_,comdat
.Lfunc_end94:
	.size	_ZN7rocprim17ROCPRIM_400000_NS6detail17trampoline_kernelINS0_14default_configENS1_29reduce_by_key_config_selectorIffN6thrust23THRUST_200600_302600_NS4plusIfEEEEZZNS1_33reduce_by_key_impl_wrapped_configILNS1_25lookback_scan_determinismE1ES3_S9_NS6_6detail15normal_iteratorINS6_10device_ptrIfEEEESG_SG_SG_PmS8_NS6_8equal_toIfEEEE10hipError_tPvRmT2_T3_mT4_T5_T6_T7_T8_P12ihipStream_tbENKUlT_T0_E_clISt17integral_constantIbLb0EES11_EEDaSW_SX_EUlSW_E_NS1_11comp_targetILNS1_3genE10ELNS1_11target_archE1201ELNS1_3gpuE5ELNS1_3repE0EEENS1_30default_config_static_selectorELNS0_4arch9wavefront6targetE0EEEvT1_, .Lfunc_end94-_ZN7rocprim17ROCPRIM_400000_NS6detail17trampoline_kernelINS0_14default_configENS1_29reduce_by_key_config_selectorIffN6thrust23THRUST_200600_302600_NS4plusIfEEEEZZNS1_33reduce_by_key_impl_wrapped_configILNS1_25lookback_scan_determinismE1ES3_S9_NS6_6detail15normal_iteratorINS6_10device_ptrIfEEEESG_SG_SG_PmS8_NS6_8equal_toIfEEEE10hipError_tPvRmT2_T3_mT4_T5_T6_T7_T8_P12ihipStream_tbENKUlT_T0_E_clISt17integral_constantIbLb0EES11_EEDaSW_SX_EUlSW_E_NS1_11comp_targetILNS1_3genE10ELNS1_11target_archE1201ELNS1_3gpuE5ELNS1_3repE0EEENS1_30default_config_static_selectorELNS0_4arch9wavefront6targetE0EEEvT1_
                                        ; -- End function
	.section	.AMDGPU.csdata,"",@progbits
; Kernel info:
; codeLenInByte = 0
; NumSgprs: 0
; NumVgprs: 0
; ScratchSize: 0
; MemoryBound: 0
; FloatMode: 240
; IeeeMode: 1
; LDSByteSize: 0 bytes/workgroup (compile time only)
; SGPRBlocks: 0
; VGPRBlocks: 0
; NumSGPRsForWavesPerEU: 1
; NumVGPRsForWavesPerEU: 1
; Occupancy: 16
; WaveLimiterHint : 0
; COMPUTE_PGM_RSRC2:SCRATCH_EN: 0
; COMPUTE_PGM_RSRC2:USER_SGPR: 15
; COMPUTE_PGM_RSRC2:TRAP_HANDLER: 0
; COMPUTE_PGM_RSRC2:TGID_X_EN: 1
; COMPUTE_PGM_RSRC2:TGID_Y_EN: 0
; COMPUTE_PGM_RSRC2:TGID_Z_EN: 0
; COMPUTE_PGM_RSRC2:TIDIG_COMP_CNT: 0
	.section	.text._ZN7rocprim17ROCPRIM_400000_NS6detail17trampoline_kernelINS0_14default_configENS1_29reduce_by_key_config_selectorIffN6thrust23THRUST_200600_302600_NS4plusIfEEEEZZNS1_33reduce_by_key_impl_wrapped_configILNS1_25lookback_scan_determinismE1ES3_S9_NS6_6detail15normal_iteratorINS6_10device_ptrIfEEEESG_SG_SG_PmS8_NS6_8equal_toIfEEEE10hipError_tPvRmT2_T3_mT4_T5_T6_T7_T8_P12ihipStream_tbENKUlT_T0_E_clISt17integral_constantIbLb0EES11_EEDaSW_SX_EUlSW_E_NS1_11comp_targetILNS1_3genE10ELNS1_11target_archE1200ELNS1_3gpuE4ELNS1_3repE0EEENS1_30default_config_static_selectorELNS0_4arch9wavefront6targetE0EEEvT1_,"axG",@progbits,_ZN7rocprim17ROCPRIM_400000_NS6detail17trampoline_kernelINS0_14default_configENS1_29reduce_by_key_config_selectorIffN6thrust23THRUST_200600_302600_NS4plusIfEEEEZZNS1_33reduce_by_key_impl_wrapped_configILNS1_25lookback_scan_determinismE1ES3_S9_NS6_6detail15normal_iteratorINS6_10device_ptrIfEEEESG_SG_SG_PmS8_NS6_8equal_toIfEEEE10hipError_tPvRmT2_T3_mT4_T5_T6_T7_T8_P12ihipStream_tbENKUlT_T0_E_clISt17integral_constantIbLb0EES11_EEDaSW_SX_EUlSW_E_NS1_11comp_targetILNS1_3genE10ELNS1_11target_archE1200ELNS1_3gpuE4ELNS1_3repE0EEENS1_30default_config_static_selectorELNS0_4arch9wavefront6targetE0EEEvT1_,comdat
	.protected	_ZN7rocprim17ROCPRIM_400000_NS6detail17trampoline_kernelINS0_14default_configENS1_29reduce_by_key_config_selectorIffN6thrust23THRUST_200600_302600_NS4plusIfEEEEZZNS1_33reduce_by_key_impl_wrapped_configILNS1_25lookback_scan_determinismE1ES3_S9_NS6_6detail15normal_iteratorINS6_10device_ptrIfEEEESG_SG_SG_PmS8_NS6_8equal_toIfEEEE10hipError_tPvRmT2_T3_mT4_T5_T6_T7_T8_P12ihipStream_tbENKUlT_T0_E_clISt17integral_constantIbLb0EES11_EEDaSW_SX_EUlSW_E_NS1_11comp_targetILNS1_3genE10ELNS1_11target_archE1200ELNS1_3gpuE4ELNS1_3repE0EEENS1_30default_config_static_selectorELNS0_4arch9wavefront6targetE0EEEvT1_ ; -- Begin function _ZN7rocprim17ROCPRIM_400000_NS6detail17trampoline_kernelINS0_14default_configENS1_29reduce_by_key_config_selectorIffN6thrust23THRUST_200600_302600_NS4plusIfEEEEZZNS1_33reduce_by_key_impl_wrapped_configILNS1_25lookback_scan_determinismE1ES3_S9_NS6_6detail15normal_iteratorINS6_10device_ptrIfEEEESG_SG_SG_PmS8_NS6_8equal_toIfEEEE10hipError_tPvRmT2_T3_mT4_T5_T6_T7_T8_P12ihipStream_tbENKUlT_T0_E_clISt17integral_constantIbLb0EES11_EEDaSW_SX_EUlSW_E_NS1_11comp_targetILNS1_3genE10ELNS1_11target_archE1200ELNS1_3gpuE4ELNS1_3repE0EEENS1_30default_config_static_selectorELNS0_4arch9wavefront6targetE0EEEvT1_
	.globl	_ZN7rocprim17ROCPRIM_400000_NS6detail17trampoline_kernelINS0_14default_configENS1_29reduce_by_key_config_selectorIffN6thrust23THRUST_200600_302600_NS4plusIfEEEEZZNS1_33reduce_by_key_impl_wrapped_configILNS1_25lookback_scan_determinismE1ES3_S9_NS6_6detail15normal_iteratorINS6_10device_ptrIfEEEESG_SG_SG_PmS8_NS6_8equal_toIfEEEE10hipError_tPvRmT2_T3_mT4_T5_T6_T7_T8_P12ihipStream_tbENKUlT_T0_E_clISt17integral_constantIbLb0EES11_EEDaSW_SX_EUlSW_E_NS1_11comp_targetILNS1_3genE10ELNS1_11target_archE1200ELNS1_3gpuE4ELNS1_3repE0EEENS1_30default_config_static_selectorELNS0_4arch9wavefront6targetE0EEEvT1_
	.p2align	8
	.type	_ZN7rocprim17ROCPRIM_400000_NS6detail17trampoline_kernelINS0_14default_configENS1_29reduce_by_key_config_selectorIffN6thrust23THRUST_200600_302600_NS4plusIfEEEEZZNS1_33reduce_by_key_impl_wrapped_configILNS1_25lookback_scan_determinismE1ES3_S9_NS6_6detail15normal_iteratorINS6_10device_ptrIfEEEESG_SG_SG_PmS8_NS6_8equal_toIfEEEE10hipError_tPvRmT2_T3_mT4_T5_T6_T7_T8_P12ihipStream_tbENKUlT_T0_E_clISt17integral_constantIbLb0EES11_EEDaSW_SX_EUlSW_E_NS1_11comp_targetILNS1_3genE10ELNS1_11target_archE1200ELNS1_3gpuE4ELNS1_3repE0EEENS1_30default_config_static_selectorELNS0_4arch9wavefront6targetE0EEEvT1_,@function
_ZN7rocprim17ROCPRIM_400000_NS6detail17trampoline_kernelINS0_14default_configENS1_29reduce_by_key_config_selectorIffN6thrust23THRUST_200600_302600_NS4plusIfEEEEZZNS1_33reduce_by_key_impl_wrapped_configILNS1_25lookback_scan_determinismE1ES3_S9_NS6_6detail15normal_iteratorINS6_10device_ptrIfEEEESG_SG_SG_PmS8_NS6_8equal_toIfEEEE10hipError_tPvRmT2_T3_mT4_T5_T6_T7_T8_P12ihipStream_tbENKUlT_T0_E_clISt17integral_constantIbLb0EES11_EEDaSW_SX_EUlSW_E_NS1_11comp_targetILNS1_3genE10ELNS1_11target_archE1200ELNS1_3gpuE4ELNS1_3repE0EEENS1_30default_config_static_selectorELNS0_4arch9wavefront6targetE0EEEvT1_: ; @_ZN7rocprim17ROCPRIM_400000_NS6detail17trampoline_kernelINS0_14default_configENS1_29reduce_by_key_config_selectorIffN6thrust23THRUST_200600_302600_NS4plusIfEEEEZZNS1_33reduce_by_key_impl_wrapped_configILNS1_25lookback_scan_determinismE1ES3_S9_NS6_6detail15normal_iteratorINS6_10device_ptrIfEEEESG_SG_SG_PmS8_NS6_8equal_toIfEEEE10hipError_tPvRmT2_T3_mT4_T5_T6_T7_T8_P12ihipStream_tbENKUlT_T0_E_clISt17integral_constantIbLb0EES11_EEDaSW_SX_EUlSW_E_NS1_11comp_targetILNS1_3genE10ELNS1_11target_archE1200ELNS1_3gpuE4ELNS1_3repE0EEENS1_30default_config_static_selectorELNS0_4arch9wavefront6targetE0EEEvT1_
; %bb.0:
	.section	.rodata,"a",@progbits
	.p2align	6, 0x0
	.amdhsa_kernel _ZN7rocprim17ROCPRIM_400000_NS6detail17trampoline_kernelINS0_14default_configENS1_29reduce_by_key_config_selectorIffN6thrust23THRUST_200600_302600_NS4plusIfEEEEZZNS1_33reduce_by_key_impl_wrapped_configILNS1_25lookback_scan_determinismE1ES3_S9_NS6_6detail15normal_iteratorINS6_10device_ptrIfEEEESG_SG_SG_PmS8_NS6_8equal_toIfEEEE10hipError_tPvRmT2_T3_mT4_T5_T6_T7_T8_P12ihipStream_tbENKUlT_T0_E_clISt17integral_constantIbLb0EES11_EEDaSW_SX_EUlSW_E_NS1_11comp_targetILNS1_3genE10ELNS1_11target_archE1200ELNS1_3gpuE4ELNS1_3repE0EEENS1_30default_config_static_selectorELNS0_4arch9wavefront6targetE0EEEvT1_
		.amdhsa_group_segment_fixed_size 0
		.amdhsa_private_segment_fixed_size 0
		.amdhsa_kernarg_size 120
		.amdhsa_user_sgpr_count 15
		.amdhsa_user_sgpr_dispatch_ptr 0
		.amdhsa_user_sgpr_queue_ptr 0
		.amdhsa_user_sgpr_kernarg_segment_ptr 1
		.amdhsa_user_sgpr_dispatch_id 0
		.amdhsa_user_sgpr_private_segment_size 0
		.amdhsa_wavefront_size32 1
		.amdhsa_uses_dynamic_stack 0
		.amdhsa_enable_private_segment 0
		.amdhsa_system_sgpr_workgroup_id_x 1
		.amdhsa_system_sgpr_workgroup_id_y 0
		.amdhsa_system_sgpr_workgroup_id_z 0
		.amdhsa_system_sgpr_workgroup_info 0
		.amdhsa_system_vgpr_workitem_id 0
		.amdhsa_next_free_vgpr 1
		.amdhsa_next_free_sgpr 1
		.amdhsa_reserve_vcc 0
		.amdhsa_float_round_mode_32 0
		.amdhsa_float_round_mode_16_64 0
		.amdhsa_float_denorm_mode_32 3
		.amdhsa_float_denorm_mode_16_64 3
		.amdhsa_dx10_clamp 1
		.amdhsa_ieee_mode 1
		.amdhsa_fp16_overflow 0
		.amdhsa_workgroup_processor_mode 1
		.amdhsa_memory_ordered 1
		.amdhsa_forward_progress 0
		.amdhsa_shared_vgpr_count 0
		.amdhsa_exception_fp_ieee_invalid_op 0
		.amdhsa_exception_fp_denorm_src 0
		.amdhsa_exception_fp_ieee_div_zero 0
		.amdhsa_exception_fp_ieee_overflow 0
		.amdhsa_exception_fp_ieee_underflow 0
		.amdhsa_exception_fp_ieee_inexact 0
		.amdhsa_exception_int_div_zero 0
	.end_amdhsa_kernel
	.section	.text._ZN7rocprim17ROCPRIM_400000_NS6detail17trampoline_kernelINS0_14default_configENS1_29reduce_by_key_config_selectorIffN6thrust23THRUST_200600_302600_NS4plusIfEEEEZZNS1_33reduce_by_key_impl_wrapped_configILNS1_25lookback_scan_determinismE1ES3_S9_NS6_6detail15normal_iteratorINS6_10device_ptrIfEEEESG_SG_SG_PmS8_NS6_8equal_toIfEEEE10hipError_tPvRmT2_T3_mT4_T5_T6_T7_T8_P12ihipStream_tbENKUlT_T0_E_clISt17integral_constantIbLb0EES11_EEDaSW_SX_EUlSW_E_NS1_11comp_targetILNS1_3genE10ELNS1_11target_archE1200ELNS1_3gpuE4ELNS1_3repE0EEENS1_30default_config_static_selectorELNS0_4arch9wavefront6targetE0EEEvT1_,"axG",@progbits,_ZN7rocprim17ROCPRIM_400000_NS6detail17trampoline_kernelINS0_14default_configENS1_29reduce_by_key_config_selectorIffN6thrust23THRUST_200600_302600_NS4plusIfEEEEZZNS1_33reduce_by_key_impl_wrapped_configILNS1_25lookback_scan_determinismE1ES3_S9_NS6_6detail15normal_iteratorINS6_10device_ptrIfEEEESG_SG_SG_PmS8_NS6_8equal_toIfEEEE10hipError_tPvRmT2_T3_mT4_T5_T6_T7_T8_P12ihipStream_tbENKUlT_T0_E_clISt17integral_constantIbLb0EES11_EEDaSW_SX_EUlSW_E_NS1_11comp_targetILNS1_3genE10ELNS1_11target_archE1200ELNS1_3gpuE4ELNS1_3repE0EEENS1_30default_config_static_selectorELNS0_4arch9wavefront6targetE0EEEvT1_,comdat
.Lfunc_end95:
	.size	_ZN7rocprim17ROCPRIM_400000_NS6detail17trampoline_kernelINS0_14default_configENS1_29reduce_by_key_config_selectorIffN6thrust23THRUST_200600_302600_NS4plusIfEEEEZZNS1_33reduce_by_key_impl_wrapped_configILNS1_25lookback_scan_determinismE1ES3_S9_NS6_6detail15normal_iteratorINS6_10device_ptrIfEEEESG_SG_SG_PmS8_NS6_8equal_toIfEEEE10hipError_tPvRmT2_T3_mT4_T5_T6_T7_T8_P12ihipStream_tbENKUlT_T0_E_clISt17integral_constantIbLb0EES11_EEDaSW_SX_EUlSW_E_NS1_11comp_targetILNS1_3genE10ELNS1_11target_archE1200ELNS1_3gpuE4ELNS1_3repE0EEENS1_30default_config_static_selectorELNS0_4arch9wavefront6targetE0EEEvT1_, .Lfunc_end95-_ZN7rocprim17ROCPRIM_400000_NS6detail17trampoline_kernelINS0_14default_configENS1_29reduce_by_key_config_selectorIffN6thrust23THRUST_200600_302600_NS4plusIfEEEEZZNS1_33reduce_by_key_impl_wrapped_configILNS1_25lookback_scan_determinismE1ES3_S9_NS6_6detail15normal_iteratorINS6_10device_ptrIfEEEESG_SG_SG_PmS8_NS6_8equal_toIfEEEE10hipError_tPvRmT2_T3_mT4_T5_T6_T7_T8_P12ihipStream_tbENKUlT_T0_E_clISt17integral_constantIbLb0EES11_EEDaSW_SX_EUlSW_E_NS1_11comp_targetILNS1_3genE10ELNS1_11target_archE1200ELNS1_3gpuE4ELNS1_3repE0EEENS1_30default_config_static_selectorELNS0_4arch9wavefront6targetE0EEEvT1_
                                        ; -- End function
	.section	.AMDGPU.csdata,"",@progbits
; Kernel info:
; codeLenInByte = 0
; NumSgprs: 0
; NumVgprs: 0
; ScratchSize: 0
; MemoryBound: 0
; FloatMode: 240
; IeeeMode: 1
; LDSByteSize: 0 bytes/workgroup (compile time only)
; SGPRBlocks: 0
; VGPRBlocks: 0
; NumSGPRsForWavesPerEU: 1
; NumVGPRsForWavesPerEU: 1
; Occupancy: 16
; WaveLimiterHint : 0
; COMPUTE_PGM_RSRC2:SCRATCH_EN: 0
; COMPUTE_PGM_RSRC2:USER_SGPR: 15
; COMPUTE_PGM_RSRC2:TRAP_HANDLER: 0
; COMPUTE_PGM_RSRC2:TGID_X_EN: 1
; COMPUTE_PGM_RSRC2:TGID_Y_EN: 0
; COMPUTE_PGM_RSRC2:TGID_Z_EN: 0
; COMPUTE_PGM_RSRC2:TIDIG_COMP_CNT: 0
	.section	.text._ZN7rocprim17ROCPRIM_400000_NS6detail17trampoline_kernelINS0_14default_configENS1_29reduce_by_key_config_selectorIffN6thrust23THRUST_200600_302600_NS4plusIfEEEEZZNS1_33reduce_by_key_impl_wrapped_configILNS1_25lookback_scan_determinismE1ES3_S9_NS6_6detail15normal_iteratorINS6_10device_ptrIfEEEESG_SG_SG_PmS8_NS6_8equal_toIfEEEE10hipError_tPvRmT2_T3_mT4_T5_T6_T7_T8_P12ihipStream_tbENKUlT_T0_E_clISt17integral_constantIbLb0EES11_EEDaSW_SX_EUlSW_E_NS1_11comp_targetILNS1_3genE9ELNS1_11target_archE1100ELNS1_3gpuE3ELNS1_3repE0EEENS1_30default_config_static_selectorELNS0_4arch9wavefront6targetE0EEEvT1_,"axG",@progbits,_ZN7rocprim17ROCPRIM_400000_NS6detail17trampoline_kernelINS0_14default_configENS1_29reduce_by_key_config_selectorIffN6thrust23THRUST_200600_302600_NS4plusIfEEEEZZNS1_33reduce_by_key_impl_wrapped_configILNS1_25lookback_scan_determinismE1ES3_S9_NS6_6detail15normal_iteratorINS6_10device_ptrIfEEEESG_SG_SG_PmS8_NS6_8equal_toIfEEEE10hipError_tPvRmT2_T3_mT4_T5_T6_T7_T8_P12ihipStream_tbENKUlT_T0_E_clISt17integral_constantIbLb0EES11_EEDaSW_SX_EUlSW_E_NS1_11comp_targetILNS1_3genE9ELNS1_11target_archE1100ELNS1_3gpuE3ELNS1_3repE0EEENS1_30default_config_static_selectorELNS0_4arch9wavefront6targetE0EEEvT1_,comdat
	.protected	_ZN7rocprim17ROCPRIM_400000_NS6detail17trampoline_kernelINS0_14default_configENS1_29reduce_by_key_config_selectorIffN6thrust23THRUST_200600_302600_NS4plusIfEEEEZZNS1_33reduce_by_key_impl_wrapped_configILNS1_25lookback_scan_determinismE1ES3_S9_NS6_6detail15normal_iteratorINS6_10device_ptrIfEEEESG_SG_SG_PmS8_NS6_8equal_toIfEEEE10hipError_tPvRmT2_T3_mT4_T5_T6_T7_T8_P12ihipStream_tbENKUlT_T0_E_clISt17integral_constantIbLb0EES11_EEDaSW_SX_EUlSW_E_NS1_11comp_targetILNS1_3genE9ELNS1_11target_archE1100ELNS1_3gpuE3ELNS1_3repE0EEENS1_30default_config_static_selectorELNS0_4arch9wavefront6targetE0EEEvT1_ ; -- Begin function _ZN7rocprim17ROCPRIM_400000_NS6detail17trampoline_kernelINS0_14default_configENS1_29reduce_by_key_config_selectorIffN6thrust23THRUST_200600_302600_NS4plusIfEEEEZZNS1_33reduce_by_key_impl_wrapped_configILNS1_25lookback_scan_determinismE1ES3_S9_NS6_6detail15normal_iteratorINS6_10device_ptrIfEEEESG_SG_SG_PmS8_NS6_8equal_toIfEEEE10hipError_tPvRmT2_T3_mT4_T5_T6_T7_T8_P12ihipStream_tbENKUlT_T0_E_clISt17integral_constantIbLb0EES11_EEDaSW_SX_EUlSW_E_NS1_11comp_targetILNS1_3genE9ELNS1_11target_archE1100ELNS1_3gpuE3ELNS1_3repE0EEENS1_30default_config_static_selectorELNS0_4arch9wavefront6targetE0EEEvT1_
	.globl	_ZN7rocprim17ROCPRIM_400000_NS6detail17trampoline_kernelINS0_14default_configENS1_29reduce_by_key_config_selectorIffN6thrust23THRUST_200600_302600_NS4plusIfEEEEZZNS1_33reduce_by_key_impl_wrapped_configILNS1_25lookback_scan_determinismE1ES3_S9_NS6_6detail15normal_iteratorINS6_10device_ptrIfEEEESG_SG_SG_PmS8_NS6_8equal_toIfEEEE10hipError_tPvRmT2_T3_mT4_T5_T6_T7_T8_P12ihipStream_tbENKUlT_T0_E_clISt17integral_constantIbLb0EES11_EEDaSW_SX_EUlSW_E_NS1_11comp_targetILNS1_3genE9ELNS1_11target_archE1100ELNS1_3gpuE3ELNS1_3repE0EEENS1_30default_config_static_selectorELNS0_4arch9wavefront6targetE0EEEvT1_
	.p2align	8
	.type	_ZN7rocprim17ROCPRIM_400000_NS6detail17trampoline_kernelINS0_14default_configENS1_29reduce_by_key_config_selectorIffN6thrust23THRUST_200600_302600_NS4plusIfEEEEZZNS1_33reduce_by_key_impl_wrapped_configILNS1_25lookback_scan_determinismE1ES3_S9_NS6_6detail15normal_iteratorINS6_10device_ptrIfEEEESG_SG_SG_PmS8_NS6_8equal_toIfEEEE10hipError_tPvRmT2_T3_mT4_T5_T6_T7_T8_P12ihipStream_tbENKUlT_T0_E_clISt17integral_constantIbLb0EES11_EEDaSW_SX_EUlSW_E_NS1_11comp_targetILNS1_3genE9ELNS1_11target_archE1100ELNS1_3gpuE3ELNS1_3repE0EEENS1_30default_config_static_selectorELNS0_4arch9wavefront6targetE0EEEvT1_,@function
_ZN7rocprim17ROCPRIM_400000_NS6detail17trampoline_kernelINS0_14default_configENS1_29reduce_by_key_config_selectorIffN6thrust23THRUST_200600_302600_NS4plusIfEEEEZZNS1_33reduce_by_key_impl_wrapped_configILNS1_25lookback_scan_determinismE1ES3_S9_NS6_6detail15normal_iteratorINS6_10device_ptrIfEEEESG_SG_SG_PmS8_NS6_8equal_toIfEEEE10hipError_tPvRmT2_T3_mT4_T5_T6_T7_T8_P12ihipStream_tbENKUlT_T0_E_clISt17integral_constantIbLb0EES11_EEDaSW_SX_EUlSW_E_NS1_11comp_targetILNS1_3genE9ELNS1_11target_archE1100ELNS1_3gpuE3ELNS1_3repE0EEENS1_30default_config_static_selectorELNS0_4arch9wavefront6targetE0EEEvT1_: ; @_ZN7rocprim17ROCPRIM_400000_NS6detail17trampoline_kernelINS0_14default_configENS1_29reduce_by_key_config_selectorIffN6thrust23THRUST_200600_302600_NS4plusIfEEEEZZNS1_33reduce_by_key_impl_wrapped_configILNS1_25lookback_scan_determinismE1ES3_S9_NS6_6detail15normal_iteratorINS6_10device_ptrIfEEEESG_SG_SG_PmS8_NS6_8equal_toIfEEEE10hipError_tPvRmT2_T3_mT4_T5_T6_T7_T8_P12ihipStream_tbENKUlT_T0_E_clISt17integral_constantIbLb0EES11_EEDaSW_SX_EUlSW_E_NS1_11comp_targetILNS1_3genE9ELNS1_11target_archE1100ELNS1_3gpuE3ELNS1_3repE0EEENS1_30default_config_static_selectorELNS0_4arch9wavefront6targetE0EEEvT1_
; %bb.0:
	s_clause 0x4
	s_load_b256 s[16:23], s[0:1], 0x0
	s_load_b256 s[24:31], s[0:1], 0x38
	s_load_b128 s[36:39], s[0:1], 0x20
	s_load_b64 s[34:35], s[0:1], 0x68
	s_load_b128 s[40:43], s[0:1], 0x58
	s_mov_b32 s3, 0
	s_mul_i32 s2, s15, 0xf00
	s_waitcnt lgkmcnt(0)
	s_lshl_b64 s[0:1], s[18:19], 2
	s_mul_i32 s4, s28, s27
	s_add_u32 s8, s16, s0
	s_mul_hi_u32 s5, s28, s26
	s_addc_u32 s9, s17, s1
	s_add_u32 s10, s20, s0
	s_mul_i32 s6, s29, s26
	s_addc_u32 s11, s21, s1
	s_add_i32 s4, s5, s4
	s_lshl_b64 s[0:1], s[2:3], 2
	s_add_i32 s4, s4, s6
	s_add_u32 s33, s8, s0
	s_addc_u32 s29, s9, s1
	s_mul_i32 s7, s28, s26
	s_add_u32 s18, s10, s0
	s_addc_u32 s19, s11, s1
	s_add_u32 s16, s7, s15
	s_addc_u32 s17, s4, 0
	s_add_u32 s0, s30, -1
	s_addc_u32 s1, s31, -1
	s_mul_i32 s21, s0, 0xfffff100
	s_cmp_eq_u64 s[16:17], s[0:1]
	s_cselect_b32 s20, -1, 0
	s_cmp_lg_u64 s[16:17], s[0:1]
	s_cselect_b32 s14, -1, 0
	s_and_b32 vcc_lo, exec_lo, s20
	s_cbranch_vccnz .LBB96_2
; %bb.1:
	v_lshlrev_b32_e32 v8, 2, v0
	s_delay_alu instid0(VALU_DEP_1) | instskip(NEXT) | instid1(VALU_DEP_1)
	v_add_co_u32 v1, s0, s33, v8
	v_add_co_ci_u32_e64 v2, null, s29, 0, s0
	s_delay_alu instid0(VALU_DEP_2) | instskip(NEXT) | instid1(VALU_DEP_2)
	v_add_co_u32 v3, vcc_lo, 0x1000, v1
	v_add_co_ci_u32_e32 v4, vcc_lo, 0, v2, vcc_lo
	s_clause 0x7
	flat_load_b32 v9, v[1:2]
	flat_load_b32 v10, v[1:2] offset:1024
	flat_load_b32 v11, v[1:2] offset:2048
	;; [unrolled: 1-line block ×3, first 2 shown]
	flat_load_b32 v13, v[3:4]
	flat_load_b32 v14, v[3:4] offset:1024
	flat_load_b32 v15, v[3:4] offset:2048
	;; [unrolled: 1-line block ×3, first 2 shown]
	v_add_co_u32 v3, vcc_lo, 0x2000, v1
	v_add_co_ci_u32_e32 v4, vcc_lo, 0, v2, vcc_lo
	v_add_co_u32 v1, vcc_lo, 0x3000, v1
	v_add_co_ci_u32_e32 v2, vcc_lo, 0, v2, vcc_lo
	s_clause 0x6
	flat_load_b32 v17, v[3:4]
	flat_load_b32 v18, v[3:4] offset:1024
	flat_load_b32 v19, v[3:4] offset:2048
	;; [unrolled: 1-line block ×3, first 2 shown]
	flat_load_b32 v21, v[1:2]
	flat_load_b32 v22, v[1:2] offset:1024
	flat_load_b32 v25, v[1:2] offset:2048
	v_add_co_u32 v2, s0, s18, v8
	s_delay_alu instid0(VALU_DEP_1) | instskip(SKIP_1) | instid1(VALU_DEP_3)
	v_add_co_ci_u32_e64 v3, null, s19, 0, s0
	v_mad_u32_u24 v1, v0, 56, v8
	v_add_co_u32 v4, vcc_lo, 0x1000, v2
	s_delay_alu instid0(VALU_DEP_3)
	v_add_co_ci_u32_e32 v5, vcc_lo, 0, v3, vcc_lo
	v_add_co_u32 v6, vcc_lo, 0x2000, v2
	v_add_co_ci_u32_e32 v7, vcc_lo, 0, v3, vcc_lo
	v_add_co_u32 v23, vcc_lo, 0x3000, v2
	v_add_co_ci_u32_e32 v24, vcc_lo, 0, v3, vcc_lo
	s_waitcnt vmcnt(13) lgkmcnt(13)
	ds_store_2addr_stride64_b32 v8, v9, v10 offset1:4
	s_waitcnt vmcnt(11) lgkmcnt(12)
	ds_store_2addr_stride64_b32 v8, v11, v12 offset0:8 offset1:12
	s_waitcnt vmcnt(9) lgkmcnt(11)
	ds_store_2addr_stride64_b32 v8, v13, v14 offset0:16 offset1:20
	;; [unrolled: 2-line block ×6, first 2 shown]
	s_waitcnt vmcnt(0) lgkmcnt(7)
	ds_store_b32 v8, v25 offset:14336
	s_waitcnt lgkmcnt(0)
	s_barrier
	buffer_gl0_inv
	ds_load_2addr_b32 v[21:22], v1 offset1:1
	ds_load_2addr_b32 v[19:20], v1 offset0:2 offset1:3
	ds_load_2addr_b32 v[17:18], v1 offset0:4 offset1:5
	;; [unrolled: 1-line block ×6, first 2 shown]
	ds_load_b32 v58, v1 offset:56
	s_waitcnt lgkmcnt(0)
	s_barrier
	buffer_gl0_inv
	s_clause 0xe
	flat_load_b32 v25, v[2:3]
	flat_load_b32 v26, v[2:3] offset:1024
	flat_load_b32 v27, v[2:3] offset:2048
	flat_load_b32 v2, v[2:3] offset:3072
	flat_load_b32 v3, v[4:5]
	flat_load_b32 v28, v[4:5] offset:1024
	flat_load_b32 v29, v[4:5] offset:2048
	flat_load_b32 v4, v[4:5] offset:3072
	;; [unrolled: 4-line block ×3, first 2 shown]
	flat_load_b32 v7, v[23:24]
	flat_load_b32 v32, v[23:24] offset:1024
	flat_load_b32 v23, v[23:24] offset:2048
	s_waitcnt vmcnt(13) lgkmcnt(13)
	ds_store_2addr_stride64_b32 v8, v25, v26 offset1:4
	s_waitcnt vmcnt(11) lgkmcnt(12)
	ds_store_2addr_stride64_b32 v8, v27, v2 offset0:8 offset1:12
	s_waitcnt vmcnt(9) lgkmcnt(11)
	ds_store_2addr_stride64_b32 v8, v3, v28 offset0:16 offset1:20
	;; [unrolled: 2-line block ×6, first 2 shown]
	s_waitcnt vmcnt(0) lgkmcnt(7)
	ds_store_b32 v8, v23 offset:14336
	s_waitcnt lgkmcnt(0)
	s_barrier
	s_and_not1_b32 vcc_lo, exec_lo, s3
	s_add_i32 s21, s21, s40
	s_cbranch_vccz .LBB96_3
	s_branch .LBB96_50
.LBB96_2:
                                        ; implicit-def: $vgpr1
                                        ; implicit-def: $vgpr21
                                        ; implicit-def: $vgpr19
                                        ; implicit-def: $vgpr17
                                        ; implicit-def: $vgpr15
                                        ; implicit-def: $vgpr13
                                        ; implicit-def: $vgpr11
                                        ; implicit-def: $vgpr9
                                        ; implicit-def: $vgpr58
	s_add_i32 s21, s21, s40
.LBB96_3:
	s_delay_alu instid0(SALU_CYCLE_1)
	v_cmp_gt_u32_e32 vcc_lo, s21, v0
                                        ; implicit-def: $vgpr1
	s_and_saveexec_b32 s0, vcc_lo
	s_cbranch_execz .LBB96_5
; %bb.4:
	v_lshlrev_b32_e32 v1, 2, v0
	s_delay_alu instid0(VALU_DEP_1) | instskip(NEXT) | instid1(VALU_DEP_1)
	v_add_co_u32 v1, s1, s33, v1
	v_add_co_ci_u32_e64 v2, null, s29, 0, s1
	flat_load_b32 v1, v[1:2]
.LBB96_5:
	s_or_b32 exec_lo, exec_lo, s0
	v_or_b32_e32 v2, 0x100, v0
                                        ; implicit-def: $vgpr9
	s_delay_alu instid0(VALU_DEP_1) | instskip(NEXT) | instid1(VALU_DEP_1)
	v_cmp_gt_u32_e64 s0, s21, v2
	s_and_saveexec_b32 s1, s0
	s_cbranch_execz .LBB96_7
; %bb.6:
	v_lshlrev_b32_e32 v2, 2, v0
	s_delay_alu instid0(VALU_DEP_1) | instskip(NEXT) | instid1(VALU_DEP_1)
	v_add_co_u32 v2, s2, s33, v2
	v_add_co_ci_u32_e64 v3, null, s29, 0, s2
	flat_load_b32 v9, v[2:3] offset:1024
.LBB96_7:
	s_or_b32 exec_lo, exec_lo, s1
	v_or_b32_e32 v2, 0x200, v0
                                        ; implicit-def: $vgpr10
	s_delay_alu instid0(VALU_DEP_1) | instskip(NEXT) | instid1(VALU_DEP_1)
	v_cmp_gt_u32_e64 s1, s21, v2
	s_and_saveexec_b32 s2, s1
	s_cbranch_execz .LBB96_9
; %bb.8:
	v_lshlrev_b32_e32 v2, 2, v0
	s_delay_alu instid0(VALU_DEP_1) | instskip(NEXT) | instid1(VALU_DEP_1)
	v_add_co_u32 v2, s3, s33, v2
	v_add_co_ci_u32_e64 v3, null, s29, 0, s3
	flat_load_b32 v10, v[2:3] offset:2048
.LBB96_9:
	s_or_b32 exec_lo, exec_lo, s2
	v_or_b32_e32 v2, 0x300, v0
                                        ; implicit-def: $vgpr11
	s_delay_alu instid0(VALU_DEP_1) | instskip(NEXT) | instid1(VALU_DEP_1)
	v_cmp_gt_u32_e64 s2, s21, v2
	s_and_saveexec_b32 s3, s2
	s_cbranch_execz .LBB96_11
; %bb.10:
	v_lshlrev_b32_e32 v2, 2, v0
	s_delay_alu instid0(VALU_DEP_1) | instskip(NEXT) | instid1(VALU_DEP_1)
	v_add_co_u32 v2, s4, s33, v2
	v_add_co_ci_u32_e64 v3, null, s29, 0, s4
	flat_load_b32 v11, v[2:3] offset:3072
.LBB96_11:
	s_or_b32 exec_lo, exec_lo, s3
	v_or_b32_e32 v2, 0x400, v0
                                        ; implicit-def: $vgpr12
	s_delay_alu instid0(VALU_DEP_1) | instskip(SKIP_1) | instid1(VALU_DEP_2)
	v_cmp_gt_u32_e64 s3, s21, v2
	v_lshlrev_b32_e32 v2, 2, v2
	s_and_saveexec_b32 s4, s3
	s_cbranch_execz .LBB96_13
; %bb.12:
	s_delay_alu instid0(VALU_DEP_1) | instskip(NEXT) | instid1(VALU_DEP_1)
	v_add_co_u32 v3, s5, s33, v2
	v_add_co_ci_u32_e64 v4, null, s29, 0, s5
	flat_load_b32 v12, v[3:4]
.LBB96_13:
	s_or_b32 exec_lo, exec_lo, s4
	v_or_b32_e32 v3, 0x500, v0
                                        ; implicit-def: $vgpr13
	s_delay_alu instid0(VALU_DEP_1) | instskip(SKIP_1) | instid1(VALU_DEP_2)
	v_cmp_gt_u32_e64 s4, s21, v3
	v_lshlrev_b32_e32 v3, 2, v3
	s_and_saveexec_b32 s5, s4
	s_cbranch_execz .LBB96_15
; %bb.14:
	s_delay_alu instid0(VALU_DEP_1) | instskip(NEXT) | instid1(VALU_DEP_1)
	v_add_co_u32 v4, s6, s33, v3
	v_add_co_ci_u32_e64 v5, null, s29, 0, s6
	flat_load_b32 v13, v[4:5]
.LBB96_15:
	s_or_b32 exec_lo, exec_lo, s5
	v_or_b32_e32 v4, 0x600, v0
                                        ; implicit-def: $vgpr14
	s_delay_alu instid0(VALU_DEP_1) | instskip(SKIP_1) | instid1(VALU_DEP_2)
	v_cmp_gt_u32_e64 s5, s21, v4
	v_lshlrev_b32_e32 v4, 2, v4
	s_and_saveexec_b32 s6, s5
	s_cbranch_execz .LBB96_17
; %bb.16:
	s_delay_alu instid0(VALU_DEP_1) | instskip(NEXT) | instid1(VALU_DEP_1)
	v_add_co_u32 v5, s7, s33, v4
	v_add_co_ci_u32_e64 v6, null, s29, 0, s7
	flat_load_b32 v14, v[5:6]
.LBB96_17:
	s_or_b32 exec_lo, exec_lo, s6
	v_or_b32_e32 v5, 0x700, v0
                                        ; implicit-def: $vgpr15
	s_delay_alu instid0(VALU_DEP_1) | instskip(SKIP_1) | instid1(VALU_DEP_2)
	v_cmp_gt_u32_e64 s6, s21, v5
	v_lshlrev_b32_e32 v5, 2, v5
	s_and_saveexec_b32 s7, s6
	s_cbranch_execz .LBB96_19
; %bb.18:
	s_delay_alu instid0(VALU_DEP_1) | instskip(NEXT) | instid1(VALU_DEP_1)
	v_add_co_u32 v6, s8, s33, v5
	v_add_co_ci_u32_e64 v7, null, s29, 0, s8
	flat_load_b32 v15, v[6:7]
.LBB96_19:
	s_or_b32 exec_lo, exec_lo, s7
	v_or_b32_e32 v6, 0x800, v0
                                        ; implicit-def: $vgpr16
	s_delay_alu instid0(VALU_DEP_1) | instskip(SKIP_1) | instid1(VALU_DEP_2)
	v_cmp_gt_u32_e64 s7, s21, v6
	v_lshlrev_b32_e32 v6, 2, v6
	s_and_saveexec_b32 s8, s7
	s_cbranch_execz .LBB96_21
; %bb.20:
	s_delay_alu instid0(VALU_DEP_1) | instskip(NEXT) | instid1(VALU_DEP_1)
	v_add_co_u32 v7, s9, s33, v6
	v_add_co_ci_u32_e64 v8, null, s29, 0, s9
	flat_load_b32 v16, v[7:8]
.LBB96_21:
	s_or_b32 exec_lo, exec_lo, s8
	v_or_b32_e32 v7, 0x900, v0
                                        ; implicit-def: $vgpr17
	s_delay_alu instid0(VALU_DEP_1) | instskip(SKIP_1) | instid1(VALU_DEP_2)
	v_cmp_gt_u32_e64 s8, s21, v7
	v_lshlrev_b32_e32 v7, 2, v7
	s_and_saveexec_b32 s9, s8
	s_cbranch_execz .LBB96_23
; %bb.22:
	s_delay_alu instid0(VALU_DEP_1) | instskip(NEXT) | instid1(VALU_DEP_1)
	v_add_co_u32 v17, s10, s33, v7
	v_add_co_ci_u32_e64 v18, null, s29, 0, s10
	flat_load_b32 v17, v[17:18]
.LBB96_23:
	s_or_b32 exec_lo, exec_lo, s9
	v_or_b32_e32 v8, 0xa00, v0
                                        ; implicit-def: $vgpr18
	s_delay_alu instid0(VALU_DEP_1) | instskip(SKIP_1) | instid1(VALU_DEP_2)
	v_cmp_gt_u32_e64 s9, s21, v8
	v_lshlrev_b32_e32 v23, 2, v8
	s_and_saveexec_b32 s10, s9
	s_cbranch_execz .LBB96_25
; %bb.24:
	s_delay_alu instid0(VALU_DEP_1) | instskip(NEXT) | instid1(VALU_DEP_1)
	v_add_co_u32 v18, s11, s33, v23
	v_add_co_ci_u32_e64 v19, null, s29, 0, s11
	flat_load_b32 v18, v[18:19]
.LBB96_25:
	s_or_b32 exec_lo, exec_lo, s10
	v_or_b32_e32 v8, 0xb00, v0
                                        ; implicit-def: $vgpr19
	s_delay_alu instid0(VALU_DEP_1) | instskip(SKIP_1) | instid1(VALU_DEP_2)
	v_cmp_gt_u32_e64 s10, s21, v8
	v_lshlrev_b32_e32 v24, 2, v8
	s_and_saveexec_b32 s11, s10
	s_cbranch_execz .LBB96_27
; %bb.26:
	s_delay_alu instid0(VALU_DEP_1) | instskip(NEXT) | instid1(VALU_DEP_1)
	v_add_co_u32 v19, s12, s33, v24
	v_add_co_ci_u32_e64 v20, null, s29, 0, s12
	flat_load_b32 v19, v[19:20]
.LBB96_27:
	s_or_b32 exec_lo, exec_lo, s11
	v_or_b32_e32 v8, 0xc00, v0
                                        ; implicit-def: $vgpr20
	s_delay_alu instid0(VALU_DEP_1) | instskip(SKIP_1) | instid1(VALU_DEP_2)
	v_cmp_gt_u32_e64 s11, s21, v8
	v_lshlrev_b32_e32 v25, 2, v8
	s_and_saveexec_b32 s12, s11
	s_cbranch_execz .LBB96_29
; %bb.28:
	s_delay_alu instid0(VALU_DEP_1) | instskip(NEXT) | instid1(VALU_DEP_1)
	v_add_co_u32 v20, s13, s33, v25
	v_add_co_ci_u32_e64 v21, null, s29, 0, s13
	flat_load_b32 v20, v[20:21]
.LBB96_29:
	s_or_b32 exec_lo, exec_lo, s12
	v_or_b32_e32 v8, 0xd00, v0
                                        ; implicit-def: $vgpr21
	s_delay_alu instid0(VALU_DEP_1) | instskip(SKIP_1) | instid1(VALU_DEP_2)
	v_cmp_gt_u32_e64 s12, s21, v8
	v_lshlrev_b32_e32 v26, 2, v8
	s_and_saveexec_b32 s13, s12
	s_cbranch_execz .LBB96_31
; %bb.30:
	s_delay_alu instid0(VALU_DEP_1) | instskip(NEXT) | instid1(VALU_DEP_1)
	v_add_co_u32 v21, s28, s33, v26
	v_add_co_ci_u32_e64 v22, null, s29, 0, s28
	flat_load_b32 v21, v[21:22]
.LBB96_31:
	s_or_b32 exec_lo, exec_lo, s13
	v_or_b32_e32 v8, 0xe00, v0
                                        ; implicit-def: $vgpr22
	s_delay_alu instid0(VALU_DEP_1) | instskip(SKIP_1) | instid1(VALU_DEP_2)
	v_cmp_gt_u32_e64 s13, s21, v8
	v_lshlrev_b32_e32 v27, 2, v8
	s_and_saveexec_b32 s28, s13
	s_cbranch_execz .LBB96_33
; %bb.32:
	s_delay_alu instid0(VALU_DEP_1) | instskip(NEXT) | instid1(VALU_DEP_1)
	v_add_co_u32 v28, s30, s33, v27
	v_add_co_ci_u32_e64 v29, null, s29, 0, s30
	flat_load_b32 v22, v[28:29]
.LBB96_33:
	s_or_b32 exec_lo, exec_lo, s28
	v_lshlrev_b32_e32 v8, 2, v0
                                        ; implicit-def: $vgpr28
	s_waitcnt vmcnt(0) lgkmcnt(0)
	ds_store_2addr_stride64_b32 v8, v1, v9 offset1:4
	ds_store_2addr_stride64_b32 v8, v10, v11 offset0:8 offset1:12
	ds_store_2addr_stride64_b32 v8, v12, v13 offset0:16 offset1:20
	;; [unrolled: 1-line block ×6, first 2 shown]
	v_mad_u32_u24 v1, v0, 56, v8
	ds_store_b32 v8, v22 offset:14336
	s_waitcnt lgkmcnt(0)
	s_barrier
	buffer_gl0_inv
	ds_load_2addr_b32 v[21:22], v1 offset1:1
	ds_load_2addr_b32 v[19:20], v1 offset0:2 offset1:3
	ds_load_2addr_b32 v[17:18], v1 offset0:4 offset1:5
	;; [unrolled: 1-line block ×6, first 2 shown]
	ds_load_b32 v58, v1 offset:56
	s_waitcnt lgkmcnt(0)
	s_barrier
	buffer_gl0_inv
	s_and_saveexec_b32 s28, vcc_lo
	s_cbranch_execz .LBB96_56
; %bb.34:
	v_add_co_u32 v28, s30, s18, v8
	s_delay_alu instid0(VALU_DEP_1)
	v_add_co_ci_u32_e64 v29, null, s19, 0, s30
	flat_load_b32 v28, v[28:29]
	s_or_b32 exec_lo, exec_lo, s28
                                        ; implicit-def: $vgpr29
	s_and_saveexec_b32 s28, s0
	s_cbranch_execnz .LBB96_57
.LBB96_35:
	s_or_b32 exec_lo, exec_lo, s28
                                        ; implicit-def: $vgpr30
	s_and_saveexec_b32 s0, s1
	s_cbranch_execz .LBB96_58
.LBB96_36:
	v_add_co_u32 v30, s1, s18, v8
	s_delay_alu instid0(VALU_DEP_1)
	v_add_co_ci_u32_e64 v31, null, s19, 0, s1
	flat_load_b32 v30, v[30:31] offset:2048
	s_or_b32 exec_lo, exec_lo, s0
                                        ; implicit-def: $vgpr31
	s_and_saveexec_b32 s0, s2
	s_cbranch_execnz .LBB96_59
.LBB96_37:
	s_or_b32 exec_lo, exec_lo, s0
                                        ; implicit-def: $vgpr32
	s_and_saveexec_b32 s0, s3
	s_cbranch_execz .LBB96_60
.LBB96_38:
	v_add_co_u32 v32, s1, s18, v2
	s_delay_alu instid0(VALU_DEP_1)
	v_add_co_ci_u32_e64 v33, null, s19, 0, s1
	flat_load_b32 v32, v[32:33]
	s_or_b32 exec_lo, exec_lo, s0
                                        ; implicit-def: $vgpr2
	s_and_saveexec_b32 s0, s4
	s_cbranch_execnz .LBB96_61
.LBB96_39:
	s_or_b32 exec_lo, exec_lo, s0
                                        ; implicit-def: $vgpr3
	s_and_saveexec_b32 s0, s5
	s_cbranch_execz .LBB96_62
.LBB96_40:
	v_add_co_u32 v3, s1, s18, v4
	s_delay_alu instid0(VALU_DEP_1)
	v_add_co_ci_u32_e64 v4, null, s19, 0, s1
	flat_load_b32 v3, v[3:4]
	s_or_b32 exec_lo, exec_lo, s0
                                        ; implicit-def: $vgpr4
	s_and_saveexec_b32 s0, s6
	s_cbranch_execnz .LBB96_63
.LBB96_41:
	s_or_b32 exec_lo, exec_lo, s0
                                        ; implicit-def: $vgpr5
	s_and_saveexec_b32 s0, s7
	s_cbranch_execz .LBB96_64
.LBB96_42:
	v_add_co_u32 v5, s1, s18, v6
	s_delay_alu instid0(VALU_DEP_1)
	v_add_co_ci_u32_e64 v6, null, s19, 0, s1
	flat_load_b32 v5, v[5:6]
	s_or_b32 exec_lo, exec_lo, s0
                                        ; implicit-def: $vgpr6
	s_and_saveexec_b32 s0, s8
	s_cbranch_execnz .LBB96_65
.LBB96_43:
	s_or_b32 exec_lo, exec_lo, s0
                                        ; implicit-def: $vgpr7
	s_and_saveexec_b32 s0, s9
	s_cbranch_execz .LBB96_66
.LBB96_44:
	v_add_co_u32 v33, s1, s18, v23
	s_delay_alu instid0(VALU_DEP_1)
	v_add_co_ci_u32_e64 v34, null, s19, 0, s1
	flat_load_b32 v7, v[33:34]
	s_or_b32 exec_lo, exec_lo, s0
                                        ; implicit-def: $vgpr23
	s_and_saveexec_b32 s0, s10
	s_cbranch_execnz .LBB96_67
.LBB96_45:
	s_or_b32 exec_lo, exec_lo, s0
                                        ; implicit-def: $vgpr24
	s_and_saveexec_b32 s0, s11
	s_cbranch_execz .LBB96_68
.LBB96_46:
	v_add_co_u32 v24, s1, s18, v25
	s_delay_alu instid0(VALU_DEP_1)
	v_add_co_ci_u32_e64 v25, null, s19, 0, s1
	flat_load_b32 v24, v[24:25]
	s_or_b32 exec_lo, exec_lo, s0
                                        ; implicit-def: $vgpr25
	s_and_saveexec_b32 s0, s12
	s_cbranch_execnz .LBB96_69
.LBB96_47:
	s_or_b32 exec_lo, exec_lo, s0
                                        ; implicit-def: $vgpr26
	s_and_saveexec_b32 s0, s13
	s_cbranch_execz .LBB96_49
.LBB96_48:
	v_add_co_u32 v26, s1, s18, v27
	s_delay_alu instid0(VALU_DEP_1)
	v_add_co_ci_u32_e64 v27, null, s19, 0, s1
	flat_load_b32 v26, v[26:27]
.LBB96_49:
	s_or_b32 exec_lo, exec_lo, s0
	s_waitcnt vmcnt(0) lgkmcnt(0)
	ds_store_2addr_stride64_b32 v8, v28, v29 offset1:4
	ds_store_2addr_stride64_b32 v8, v30, v31 offset0:8 offset1:12
	ds_store_2addr_stride64_b32 v8, v32, v2 offset0:16 offset1:20
	;; [unrolled: 1-line block ×6, first 2 shown]
	ds_store_b32 v8, v26 offset:14336
	s_waitcnt lgkmcnt(0)
	s_barrier
.LBB96_50:
	buffer_gl0_inv
	ds_load_2addr_b32 v[35:36], v1 offset1:1
	ds_load_2addr_b32 v[33:34], v1 offset0:2 offset1:3
	ds_load_2addr_b32 v[31:32], v1 offset0:4 offset1:5
	;; [unrolled: 1-line block ×6, first 2 shown]
	ds_load_b32 v65, v1 offset:56
	s_cmp_eq_u64 s[16:17], 0
	s_waitcnt lgkmcnt(0)
	s_cselect_b32 s28, -1, 0
	s_cmp_lg_u64 s[16:17], 0
	s_barrier
	s_cselect_b32 s31, -1, 0
	s_and_b32 vcc_lo, exec_lo, s14
	buffer_gl0_inv
	s_cbranch_vccz .LBB96_70
; %bb.51:
	s_and_b32 vcc_lo, exec_lo, s31
	s_cbranch_vccz .LBB96_103
; %bb.52:
	v_add_co_u32 v1, s0, -4, s33
	s_delay_alu instid0(VALU_DEP_1)
	v_add_co_ci_u32_e64 v2, null, -1, s29, s0
	v_cmp_neq_f32_e32 vcc_lo, v10, v58
	v_cmp_neq_f32_e64 s0, v9, v10
	v_cmp_neq_f32_e64 s1, v12, v9
	flat_load_b32 v1, v[1:2]
	v_lshlrev_b32_e32 v2, 2, v0
	v_cmp_neq_f32_e64 s2, v11, v12
	v_cmp_neq_f32_e64 s3, v14, v11
	;; [unrolled: 1-line block ×11, first 2 shown]
	s_mov_b32 s30, -1
	s_mov_b32 s14, 0
	s_mov_b32 s18, exec_lo
	ds_store_b32 v2, v58
	s_waitcnt vmcnt(0) lgkmcnt(0)
	s_barrier
	buffer_gl0_inv
	v_cmpx_ne_u32_e32 0, v0
	s_cbranch_execz .LBB96_54
; %bb.53:
	v_add_nc_u32_e32 v1, -4, v2
	ds_load_b32 v1, v1
.LBB96_54:
	s_or_b32 exec_lo, exec_lo, s18
	v_cndmask_b32_e64 v59, 0, 1, vcc_lo
	v_cndmask_b32_e64 v54, 0, 1, s0
	v_cndmask_b32_e64 v52, 0, 1, s1
	;; [unrolled: 1-line block ×13, first 2 shown]
	s_waitcnt lgkmcnt(0)
	v_cmp_neq_f32_e64 s0, v1, v21
	s_and_b32 vcc_lo, exec_lo, s14
	s_cbranch_vccnz .LBB96_104
.LBB96_55:
                                        ; implicit-def: $sgpr1
	s_branch .LBB96_71
.LBB96_56:
	s_or_b32 exec_lo, exec_lo, s28
                                        ; implicit-def: $vgpr29
	s_and_saveexec_b32 s28, s0
	s_cbranch_execz .LBB96_35
.LBB96_57:
	v_add_co_u32 v29, s0, s18, v8
	s_delay_alu instid0(VALU_DEP_1)
	v_add_co_ci_u32_e64 v30, null, s19, 0, s0
	flat_load_b32 v29, v[29:30] offset:1024
	s_or_b32 exec_lo, exec_lo, s28
                                        ; implicit-def: $vgpr30
	s_and_saveexec_b32 s0, s1
	s_cbranch_execnz .LBB96_36
.LBB96_58:
	s_or_b32 exec_lo, exec_lo, s0
                                        ; implicit-def: $vgpr31
	s_and_saveexec_b32 s0, s2
	s_cbranch_execz .LBB96_37
.LBB96_59:
	v_add_co_u32 v31, s1, s18, v8
	s_delay_alu instid0(VALU_DEP_1)
	v_add_co_ci_u32_e64 v32, null, s19, 0, s1
	flat_load_b32 v31, v[31:32] offset:3072
	s_or_b32 exec_lo, exec_lo, s0
                                        ; implicit-def: $vgpr32
	s_and_saveexec_b32 s0, s3
	s_cbranch_execnz .LBB96_38
.LBB96_60:
	s_or_b32 exec_lo, exec_lo, s0
                                        ; implicit-def: $vgpr2
	s_and_saveexec_b32 s0, s4
	s_cbranch_execz .LBB96_39
.LBB96_61:
	v_add_co_u32 v2, s1, s18, v3
	s_delay_alu instid0(VALU_DEP_1)
	v_add_co_ci_u32_e64 v3, null, s19, 0, s1
	flat_load_b32 v2, v[2:3]
	s_or_b32 exec_lo, exec_lo, s0
                                        ; implicit-def: $vgpr3
	s_and_saveexec_b32 s0, s5
	s_cbranch_execnz .LBB96_40
.LBB96_62:
	s_or_b32 exec_lo, exec_lo, s0
                                        ; implicit-def: $vgpr4
	s_and_saveexec_b32 s0, s6
	s_cbranch_execz .LBB96_41
.LBB96_63:
	v_add_co_u32 v4, s1, s18, v5
	s_delay_alu instid0(VALU_DEP_1)
	v_add_co_ci_u32_e64 v5, null, s19, 0, s1
	flat_load_b32 v4, v[4:5]
	s_or_b32 exec_lo, exec_lo, s0
                                        ; implicit-def: $vgpr5
	s_and_saveexec_b32 s0, s7
	s_cbranch_execnz .LBB96_42
.LBB96_64:
	s_or_b32 exec_lo, exec_lo, s0
                                        ; implicit-def: $vgpr6
	s_and_saveexec_b32 s0, s8
	s_cbranch_execz .LBB96_43
.LBB96_65:
	v_add_co_u32 v6, s1, s18, v7
	s_delay_alu instid0(VALU_DEP_1)
	v_add_co_ci_u32_e64 v7, null, s19, 0, s1
	flat_load_b32 v6, v[6:7]
	s_or_b32 exec_lo, exec_lo, s0
                                        ; implicit-def: $vgpr7
	s_and_saveexec_b32 s0, s9
	s_cbranch_execnz .LBB96_44
.LBB96_66:
	s_or_b32 exec_lo, exec_lo, s0
                                        ; implicit-def: $vgpr23
	s_and_saveexec_b32 s0, s10
	s_cbranch_execz .LBB96_45
.LBB96_67:
	v_add_co_u32 v23, s1, s18, v24
	s_delay_alu instid0(VALU_DEP_1)
	v_add_co_ci_u32_e64 v24, null, s19, 0, s1
	flat_load_b32 v23, v[23:24]
	s_or_b32 exec_lo, exec_lo, s0
                                        ; implicit-def: $vgpr24
	s_and_saveexec_b32 s0, s11
	s_cbranch_execnz .LBB96_46
.LBB96_68:
	s_or_b32 exec_lo, exec_lo, s0
                                        ; implicit-def: $vgpr25
	s_and_saveexec_b32 s0, s12
	s_cbranch_execz .LBB96_47
.LBB96_69:
	v_add_co_u32 v25, s1, s18, v26
	s_delay_alu instid0(VALU_DEP_1)
	v_add_co_ci_u32_e64 v26, null, s19, 0, s1
	flat_load_b32 v25, v[25:26]
	s_or_b32 exec_lo, exec_lo, s0
                                        ; implicit-def: $vgpr26
	s_and_saveexec_b32 s0, s13
	s_cbranch_execnz .LBB96_48
	s_branch .LBB96_49
.LBB96_70:
	s_mov_b32 s30, 0
                                        ; implicit-def: $sgpr0
                                        ; implicit-def: $vgpr59
                                        ; implicit-def: $vgpr54
                                        ; implicit-def: $vgpr52
                                        ; implicit-def: $vgpr50
                                        ; implicit-def: $vgpr48
                                        ; implicit-def: $vgpr46
                                        ; implicit-def: $vgpr44
                                        ; implicit-def: $vgpr60
                                        ; implicit-def: $vgpr61
                                        ; implicit-def: $vgpr62
                                        ; implicit-def: $vgpr63
                                        ; implicit-def: $vgpr64
                                        ; implicit-def: $vgpr56
                                        ; implicit-def: $vgpr57
                                        ; implicit-def: $sgpr1
	s_cbranch_execnz .LBB96_107
.LBB96_71:
	v_mov_b32_e32 v43, s1
	s_and_saveexec_b32 s1, s30
.LBB96_72:
	v_cndmask_b32_e64 v43, 0, 1, s0
.LBB96_73:
	s_or_b32 exec_lo, exec_lo, s1
	s_delay_alu instid0(VALU_DEP_1)
	v_add3_u32 v1, v57, v43, v56
	v_add_f32_e32 v76, v35, v36
	v_cmp_eq_u32_e64 s12, 0, v57
	v_cmp_eq_u32_e64 s11, 0, v56
	;; [unrolled: 1-line block ×3, first 2 shown]
	v_add3_u32 v75, v1, v64, v63
	v_cmp_eq_u32_e64 s10, 0, v63
	v_cmp_eq_u32_e64 s8, 0, v62
	;; [unrolled: 1-line block ×10, first 2 shown]
	v_cmp_eq_u32_e32 vcc_lo, 0, v59
	v_mbcnt_lo_u32_b32 v72, -1, 0
	v_lshrrev_b32_e32 v73, 5, v0
	v_or_b32_e32 v74, 31, v0
	s_cmp_eq_u64 s[26:27], 0
	s_cselect_b32 s26, -1, 0
	s_cmp_lg_u32 s15, 0
	s_cbranch_scc0 .LBB96_101
; %bb.74:
	v_add3_u32 v2, v75, v62, v61
	v_cndmask_b32_e64 v1, v36, v76, s12
	s_mov_b32 s14, exec_lo
	v_and_b32_e32 v4, 15, v72
	v_and_b32_e32 v6, 16, v72
	v_add3_u32 v2, v2, v60, v44
	v_add_f32_e32 v1, v33, v1
	s_delay_alu instid0(VALU_DEP_2) | instskip(NEXT) | instid1(VALU_DEP_2)
	v_add3_u32 v2, v2, v46, v48
	v_cndmask_b32_e64 v1, v33, v1, s11
	s_delay_alu instid0(VALU_DEP_2) | instskip(NEXT) | instid1(VALU_DEP_1)
	v_add3_u32 v2, v2, v50, v52
	v_add3_u32 v2, v2, v54, v59
	s_delay_alu instid0(VALU_DEP_3) | instskip(NEXT) | instid1(VALU_DEP_2)
	v_add_f32_e32 v1, v34, v1
	v_mov_b32_dpp v5, v2 row_shr:1 row_mask:0xf bank_mask:0xf
	s_delay_alu instid0(VALU_DEP_2) | instskip(NEXT) | instid1(VALU_DEP_1)
	v_cndmask_b32_e64 v1, v34, v1, s9
	v_add_f32_e32 v1, v31, v1
	s_delay_alu instid0(VALU_DEP_1) | instskip(NEXT) | instid1(VALU_DEP_1)
	v_cndmask_b32_e64 v1, v31, v1, s10
	v_add_f32_e32 v1, v32, v1
	s_delay_alu instid0(VALU_DEP_1) | instskip(NEXT) | instid1(VALU_DEP_1)
	v_cndmask_b32_e64 v1, v32, v1, s8
	v_add_f32_e32 v1, v29, v1
	s_delay_alu instid0(VALU_DEP_1) | instskip(NEXT) | instid1(VALU_DEP_1)
	v_cndmask_b32_e64 v1, v29, v1, s7
	v_add_f32_e32 v1, v30, v1
	s_delay_alu instid0(VALU_DEP_1) | instskip(NEXT) | instid1(VALU_DEP_1)
	v_cndmask_b32_e64 v1, v30, v1, s6
	v_add_f32_e32 v1, v27, v1
	s_delay_alu instid0(VALU_DEP_1) | instskip(NEXT) | instid1(VALU_DEP_1)
	v_cndmask_b32_e64 v1, v27, v1, s5
	v_add_f32_e32 v1, v28, v1
	s_delay_alu instid0(VALU_DEP_1) | instskip(NEXT) | instid1(VALU_DEP_1)
	v_cndmask_b32_e64 v1, v28, v1, s4
	v_add_f32_e32 v1, v25, v1
	s_delay_alu instid0(VALU_DEP_1) | instskip(NEXT) | instid1(VALU_DEP_1)
	v_cndmask_b32_e64 v1, v25, v1, s3
	v_add_f32_e32 v1, v26, v1
	s_delay_alu instid0(VALU_DEP_1) | instskip(NEXT) | instid1(VALU_DEP_1)
	v_cndmask_b32_e64 v1, v26, v1, s2
	v_add_f32_e32 v1, v23, v1
	s_delay_alu instid0(VALU_DEP_1) | instskip(NEXT) | instid1(VALU_DEP_1)
	v_cndmask_b32_e64 v1, v23, v1, s1
	v_add_f32_e32 v1, v24, v1
	s_delay_alu instid0(VALU_DEP_1) | instskip(NEXT) | instid1(VALU_DEP_1)
	v_cndmask_b32_e64 v1, v24, v1, s0
	v_add_f32_e32 v1, v65, v1
	s_delay_alu instid0(VALU_DEP_1) | instskip(SKIP_1) | instid1(VALU_DEP_2)
	v_cndmask_b32_e32 v1, v65, v1, vcc_lo
	v_cmp_eq_u32_e32 vcc_lo, 0, v2
	v_mov_b32_dpp v3, v1 row_shr:1 row_mask:0xf bank_mask:0xf
	s_delay_alu instid0(VALU_DEP_1) | instskip(NEXT) | instid1(VALU_DEP_1)
	v_add_f32_e32 v3, v1, v3
	v_cndmask_b32_e32 v3, v1, v3, vcc_lo
	v_cmp_eq_u32_e32 vcc_lo, 0, v4
	v_cndmask_b32_e64 v5, v5, 0, vcc_lo
	s_delay_alu instid0(VALU_DEP_1) | instskip(NEXT) | instid1(VALU_DEP_1)
	v_dual_cndmask_b32 v1, v3, v1 :: v_dual_add_nc_u32 v2, v5, v2
	v_mov_b32_dpp v3, v1 row_shr:2 row_mask:0xf bank_mask:0xf
	s_delay_alu instid0(VALU_DEP_2) | instskip(NEXT) | instid1(VALU_DEP_2)
	v_cmp_eq_u32_e32 vcc_lo, 0, v2
	v_add_f32_e32 v3, v1, v3
	v_mov_b32_dpp v5, v2 row_shr:2 row_mask:0xf bank_mask:0xf
	s_delay_alu instid0(VALU_DEP_2) | instskip(SKIP_1) | instid1(VALU_DEP_2)
	v_cndmask_b32_e32 v3, v1, v3, vcc_lo
	v_cmp_lt_u32_e32 vcc_lo, 1, v4
	v_cndmask_b32_e32 v1, v1, v3, vcc_lo
	s_delay_alu instid0(VALU_DEP_4) | instskip(NEXT) | instid1(VALU_DEP_2)
	v_cndmask_b32_e32 v3, 0, v5, vcc_lo
	v_mov_b32_dpp v5, v1 row_shr:4 row_mask:0xf bank_mask:0xf
	s_delay_alu instid0(VALU_DEP_1) | instskip(NEXT) | instid1(VALU_DEP_1)
	v_dual_add_f32 v3, v1, v5 :: v_dual_add_nc_u32 v2, v2, v3
	v_cmp_eq_u32_e32 vcc_lo, 0, v2
	v_mov_b32_dpp v5, v2 row_shr:4 row_mask:0xf bank_mask:0xf
	s_delay_alu instid0(VALU_DEP_3) | instskip(SKIP_1) | instid1(VALU_DEP_2)
	v_cndmask_b32_e32 v3, v1, v3, vcc_lo
	v_cmp_lt_u32_e32 vcc_lo, 3, v4
	v_cndmask_b32_e32 v1, v1, v3, vcc_lo
	s_delay_alu instid0(VALU_DEP_4) | instskip(NEXT) | instid1(VALU_DEP_2)
	v_cndmask_b32_e32 v3, 0, v5, vcc_lo
	v_mov_b32_dpp v5, v1 row_shr:8 row_mask:0xf bank_mask:0xf
	s_delay_alu instid0(VALU_DEP_1) | instskip(NEXT) | instid1(VALU_DEP_1)
	v_dual_add_f32 v2, v1, v5 :: v_dual_add_nc_u32 v3, v3, v2
	v_cmp_eq_u32_e32 vcc_lo, 0, v3
	v_mov_b32_dpp v5, v3 row_shr:8 row_mask:0xf bank_mask:0xf
	s_delay_alu instid0(VALU_DEP_3) | instskip(SKIP_1) | instid1(VALU_DEP_2)
	v_cndmask_b32_e32 v2, v1, v2, vcc_lo
	v_cmp_lt_u32_e32 vcc_lo, 7, v4
	v_dual_cndmask_b32 v2, v1, v2 :: v_dual_cndmask_b32 v1, 0, v5
	v_bfe_i32 v5, v72, 4, 1
	s_delay_alu instid0(VALU_DEP_2)
	v_add_nc_u32_e32 v1, v1, v3
	ds_swizzle_b32 v3, v2 offset:swizzle(BROADCAST,32,15)
	ds_swizzle_b32 v4, v1 offset:swizzle(BROADCAST,32,15)
	v_cmp_eq_u32_e32 vcc_lo, 0, v1
	s_waitcnt lgkmcnt(1)
	v_add_f32_e32 v3, v2, v3
	s_waitcnt lgkmcnt(0)
	v_and_b32_e32 v7, v5, v4
	s_delay_alu instid0(VALU_DEP_2) | instskip(SKIP_2) | instid1(VALU_DEP_4)
	v_cndmask_b32_e32 v5, v2, v3, vcc_lo
	v_cmp_eq_u32_e32 vcc_lo, 0, v6
	v_lshlrev_b32_e32 v4, 3, v73
	v_add_nc_u32_e32 v1, v7, v1
	s_delay_alu instid0(VALU_DEP_4)
	v_cndmask_b32_e32 v3, v5, v2, vcc_lo
	v_cmpx_eq_u32_e64 v74, v0
	s_cbranch_execz .LBB96_76
; %bb.75:
	v_cndmask_b32_e32 v2, v5, v2, vcc_lo
	ds_store_b64 v4, v[1:2] offset:2064
.LBB96_76:
	s_or_b32 exec_lo, exec_lo, s14
	s_delay_alu instid0(SALU_CYCLE_1)
	s_mov_b32 s14, exec_lo
	s_waitcnt lgkmcnt(0)
	s_barrier
	buffer_gl0_inv
	v_cmpx_gt_u32_e32 8, v0
	s_cbranch_execz .LBB96_78
; %bb.77:
	v_lshlrev_b32_e32 v2, 3, v0
	ds_load_b64 v[5:6], v2 offset:2064
	s_waitcnt lgkmcnt(0)
	v_mov_b32_dpp v7, v6 row_shr:1 row_mask:0xf bank_mask:0xf
	v_cmp_eq_u32_e32 vcc_lo, 0, v5
	v_mov_b32_dpp v37, v5 row_shr:1 row_mask:0xf bank_mask:0xf
	s_delay_alu instid0(VALU_DEP_3) | instskip(NEXT) | instid1(VALU_DEP_1)
	v_dual_add_f32 v7, v6, v7 :: v_dual_and_b32 v8, 7, v72
	v_cndmask_b32_e32 v7, v6, v7, vcc_lo
	s_delay_alu instid0(VALU_DEP_2) | instskip(NEXT) | instid1(VALU_DEP_4)
	v_cmp_eq_u32_e32 vcc_lo, 0, v8
	v_cndmask_b32_e64 v37, v37, 0, vcc_lo
	s_delay_alu instid0(VALU_DEP_1) | instskip(NEXT) | instid1(VALU_DEP_1)
	v_dual_cndmask_b32 v6, v7, v6 :: v_dual_add_nc_u32 v5, v37, v5
	v_mov_b32_dpp v7, v6 row_shr:2 row_mask:0xf bank_mask:0xf
	s_delay_alu instid0(VALU_DEP_2) | instskip(NEXT) | instid1(VALU_DEP_2)
	v_cmp_eq_u32_e32 vcc_lo, 0, v5
	v_add_f32_e32 v7, v6, v7
	v_mov_b32_dpp v37, v5 row_shr:2 row_mask:0xf bank_mask:0xf
	s_delay_alu instid0(VALU_DEP_2) | instskip(SKIP_1) | instid1(VALU_DEP_2)
	v_cndmask_b32_e32 v7, v6, v7, vcc_lo
	v_cmp_lt_u32_e32 vcc_lo, 1, v8
	v_dual_cndmask_b32 v6, v6, v7 :: v_dual_cndmask_b32 v7, 0, v37
	v_cmp_lt_u32_e32 vcc_lo, 3, v8
	s_delay_alu instid0(VALU_DEP_2) | instskip(NEXT) | instid1(VALU_DEP_1)
	v_mov_b32_dpp v37, v6 row_shr:4 row_mask:0xf bank_mask:0xf
	v_add_f32_e32 v8, v6, v37
	s_delay_alu instid0(VALU_DEP_4) | instskip(NEXT) | instid1(VALU_DEP_1)
	v_add_nc_u32_e32 v5, v7, v5
	v_mov_b32_dpp v7, v5 row_shr:4 row_mask:0xf bank_mask:0xf
	v_cmp_eq_u32_e64 s13, 0, v5
	s_delay_alu instid0(VALU_DEP_2) | instskip(NEXT) | instid1(VALU_DEP_2)
	v_cndmask_b32_e32 v7, 0, v7, vcc_lo
	s_and_b32 vcc_lo, vcc_lo, s13
	s_delay_alu instid0(VALU_DEP_1)
	v_dual_cndmask_b32 v6, v6, v8 :: v_dual_add_nc_u32 v5, v7, v5
	ds_store_b64 v2, v[5:6] offset:2064
.LBB96_78:
	s_or_b32 exec_lo, exec_lo, s14
	v_cmp_gt_u32_e32 vcc_lo, 32, v0
	v_dual_mov_b32 v37, 0 :: v_dual_mov_b32 v38, 0
	s_mov_b32 s14, exec_lo
	s_waitcnt lgkmcnt(0)
	s_barrier
	buffer_gl0_inv
	v_cmpx_lt_u32_e32 31, v0
	s_cbranch_execz .LBB96_80
; %bb.79:
	ds_load_b64 v[37:38], v4 offset:2056
	v_cmp_eq_u32_e64 s13, 0, v1
	s_waitcnt lgkmcnt(0)
	v_add_nc_u32_e32 v4, v37, v1
	s_delay_alu instid0(VALU_DEP_1) | instskip(NEXT) | instid1(VALU_DEP_1)
	v_dual_add_f32 v2, v3, v38 :: v_dual_mov_b32 v1, v4
	v_cndmask_b32_e64 v3, v3, v2, s13
.LBB96_80:
	s_or_b32 exec_lo, exec_lo, s14
	v_add_nc_u32_e32 v2, -1, v72
	s_mov_b32 s16, -1
	s_mov_b32 s27, 0
	s_mov_b32 s14, 0
	s_delay_alu instid0(VALU_DEP_1) | instskip(NEXT) | instid1(VALU_DEP_1)
	v_cmp_gt_i32_e64 s13, 0, v2
	v_cndmask_b32_e64 v2, v2, v72, s13
	v_cmp_eq_u32_e64 s13, 0, v72
	s_delay_alu instid0(VALU_DEP_2)
	v_lshlrev_b32_e32 v2, 2, v2
	ds_bpermute_b32 v77, v2, v1
	ds_bpermute_b32 v78, v2, v3
	s_and_saveexec_b32 s29, vcc_lo
                                        ; implicit-def: $vgpr2_vgpr3_vgpr4
	s_cbranch_execz .LBB96_132
; %bb.81:
	v_mov_b32_e32 v4, 0
	ds_load_b64 v[1:2], v4 offset:2120
	s_waitcnt lgkmcnt(0)
	v_readfirstlane_b32 s30, v2
	s_and_saveexec_b32 s14, s13
	s_cbranch_execz .LBB96_83
; %bb.82:
	s_add_i32 s16, s15, 32
	s_mov_b32 s17, 0
	v_mov_b32_e32 v3, 1
	s_lshl_b64 s[18:19], s[16:17], 4
	s_mov_b32 s40, s17
	s_add_u32 s18, s24, s18
	s_addc_u32 s19, s25, s19
	s_and_b32 s41, s30, 0xff000000
	s_and_b32 s45, s30, 0xff0000
	s_mov_b32 s44, s17
	v_dual_mov_b32 v5, s18 :: v_dual_mov_b32 v6, s19
	s_or_b64 s[40:41], s[44:45], s[40:41]
	s_and_b32 s45, s30, 0xff00
	s_delay_alu instid0(SALU_CYCLE_1) | instskip(SKIP_1) | instid1(SALU_CYCLE_1)
	s_or_b64 s[40:41], s[40:41], s[44:45]
	s_and_b32 s45, s30, 0xff
	s_or_b64 s[16:17], s[40:41], s[44:45]
	s_delay_alu instid0(SALU_CYCLE_1)
	v_mov_b32_e32 v2, s17
	;;#ASMSTART
	global_store_dwordx4 v[5:6], v[1:4] off	
s_waitcnt vmcnt(0)
	;;#ASMEND
.LBB96_83:
	s_or_b32 exec_lo, exec_lo, s14
	v_xad_u32 v41, v72, -1, s15
	s_mov_b32 s16, 0
	s_mov_b32 s14, exec_lo
	s_mov_b32 s17, s16
	s_mov_b32 s18, s16
	s_mov_b32 s19, s16
	v_add_nc_u32_e32 v3, 32, v41
	v_dual_mov_b32 v5, s16 :: v_dual_mov_b32 v8, s19
	v_dual_mov_b32 v6, s17 :: v_dual_mov_b32 v7, s18
	s_delay_alu instid0(VALU_DEP_3)
	v_lshlrev_b64 v[2:3], 4, v[3:4]
	s_clause 0x5
	scratch_store_b128 off, v[5:8], off
	scratch_store_b128 off, v[5:8], off offset:16
	scratch_store_b32 off, v4, off offset:4
	scratch_store_b32 off, v4, off offset:12
	;; [unrolled: 1-line block ×4, first 2 shown]
	v_add_co_u32 v2, vcc_lo, s24, v2
	v_add_co_ci_u32_e32 v3, vcc_lo, s25, v3, vcc_lo
	;;#ASMSTART
	global_load_dwordx4 v[5:8], v[2:3] off glc	
s_waitcnt vmcnt(0)
	;;#ASMEND
	v_perm_b32 v4, v6, v7, 0x70605
	v_perm_b32 v8, v6, v7, 0x1000706
	;; [unrolled: 1-line block ×3, first 2 shown]
	v_and_b32_e32 v42, 0xff, v7
	v_alignbit_b32 v47, v6, v5, 16
	v_lshlrev_b32_e32 v4, 8, v4
	v_lshlrev_b32_e32 v8, 16, v8
	v_lshlrev_b32_e32 v39, 24, v39
	v_alignbit_b32 v45, v6, v5, 24
	s_delay_alu instid0(VALU_DEP_4) | instskip(NEXT) | instid1(VALU_DEP_4)
	v_perm_b32 v4, v4, v6, 0xc0c0500
	v_and_b32_e32 v40, 0xff0000, v8
	v_alignbit_b32 v8, v6, v5, 8
	s_delay_alu instid0(VALU_DEP_2)
	v_or3_b32 v6, v4, v40, v39
	v_cmpx_eq_u16_e32 0, v42
	s_cbranch_execz .LBB96_86
.LBB96_84:                              ; =>This Inner Loop Header: Depth=1
	;;#ASMSTART
	global_load_dwordx4 v[5:8], v[2:3] off glc	
s_waitcnt vmcnt(0)
	;;#ASMEND
	v_and_b32_e32 v4, 0xff, v7
	s_delay_alu instid0(VALU_DEP_1) | instskip(SKIP_1) | instid1(SALU_CYCLE_1)
	v_cmp_ne_u16_e32 vcc_lo, 0, v4
	s_or_b32 s16, vcc_lo, s16
	s_and_not1_b32 exec_lo, exec_lo, s16
	s_cbranch_execnz .LBB96_84
; %bb.85:
	s_or_b32 exec_lo, exec_lo, s16
	v_perm_b32 v2, v6, v7, 0x70605
	v_perm_b32 v3, v6, v7, 0x1000706
	;; [unrolled: 1-line block ×3, first 2 shown]
	v_alignbit_b32 v8, v6, v5, 8
	v_alignbit_b32 v47, v6, v5, 16
	v_lshlrev_b32_e32 v2, 8, v2
	v_lshlrev_b32_e32 v3, 16, v3
	;; [unrolled: 1-line block ×3, first 2 shown]
	v_alignbit_b32 v45, v6, v5, 24
	s_delay_alu instid0(VALU_DEP_4) | instskip(NEXT) | instid1(VALU_DEP_4)
	v_perm_b32 v2, v2, v6, 0xc0c0500
	v_and_b32_e32 v3, 0xff0000, v3
	s_delay_alu instid0(VALU_DEP_1)
	v_or3_b32 v6, v2, v3, v4
.LBB96_86:
	s_or_b32 exec_lo, exec_lo, s14
	v_mov_b32_e32 v40, 0
	s_mov_b32 s17, 0
	s_branch .LBB96_88
.LBB96_87:                              ;   in Loop: Header=BB96_88 Depth=1
	s_or_b32 exec_lo, exec_lo, s17
	v_subrev_nc_u32_e32 v41, 32, v39
	s_add_i32 s17, s16, 1
	s_cbranch_execz .LBB96_94
.LBB96_88:                              ; =>This Loop Header: Depth=1
                                        ;     Child Loop BB96_91 Depth 2
	v_dual_mov_b32 v4, v7 :: v_dual_lshlrev_b32 v3, 8, v8
	v_and_b32_e32 v5, 0xff, v5
	s_delay_alu instid0(VALU_DEP_2) | instskip(NEXT) | instid1(VALU_DEP_3)
	v_dual_mov_b32 v39, v41 :: v_dual_and_b32 v2, 0xff, v4
	v_and_b32_e32 v7, 0xff00, v3
	v_mov_b32_e32 v3, v6
	s_delay_alu instid0(VALU_DEP_3) | instskip(SKIP_1) | instid1(VALU_DEP_2)
	v_cmp_ne_u16_e64 s14, 2, v2
	v_cmp_ne_u16_e32 vcc_lo, 0xff, v2
	s_and_b32 s16, s14, vcc_lo
	s_delay_alu instid0(SALU_CYCLE_1) | instskip(SKIP_1) | instid1(VALU_DEP_1)
	v_cndmask_b32_e64 v2, 0, 1, s16
	;;#ASMSTART
	;;#ASMEND
	v_cmp_ne_u32_e32 vcc_lo, 0, v2
	v_lshlrev_b32_e32 v2, 16, v47
	s_mov_b32 s16, s17
	s_cmp_eq_u32 vcc_lo, exec_lo
	s_delay_alu instid0(VALU_DEP_1) | instskip(SKIP_3) | instid1(VALU_DEP_1)
	v_perm_b32 v2, v45, v2, 0x4020c0c
	s_cselect_b32 s17, -1, 0
	s_cmp_lt_u32 s16, 4
	s_cselect_b32 s18, -1, 0
	v_or3_b32 v2, v2, v7, v5
	s_and_b32 s17, s17, s18
	s_delay_alu instid0(SALU_CYCLE_1)
	s_and_not1_b32 vcc_lo, exec_lo, s17
	s_cbranch_vccnz .LBB96_93
; %bb.89:                               ;   in Loop: Header=BB96_88 Depth=1
	v_lshlrev_b64 v[5:6], 4, v[39:40]
	s_lshl_b32 s17, s16, 3
	s_delay_alu instid0(SALU_CYCLE_1)
	s_add_i32 s17, s17, 0
	scratch_store_b64 off, v[2:3], s17
	v_add_co_u32 v41, vcc_lo, s24, v5
	v_add_co_ci_u32_e32 v42, vcc_lo, s25, v6, vcc_lo
	;;#ASMSTART
	global_load_dwordx4 v[5:8], v[41:42] off glc	
s_waitcnt vmcnt(0)
	;;#ASMEND
	v_perm_b32 v8, v6, v7, 0x70605
	v_perm_b32 v45, v6, v7, 0x1000706
	;; [unrolled: 1-line block ×3, first 2 shown]
	v_and_b32_e32 v55, 0xff, v7
	s_mov_b32 s17, exec_lo
	v_lshlrev_b32_e32 v8, 8, v8
	v_lshlrev_b32_e32 v45, 16, v45
	;; [unrolled: 1-line block ×3, first 2 shown]
	v_alignbit_b32 v47, v6, v5, 16
	s_delay_alu instid0(VALU_DEP_4) | instskip(NEXT) | instid1(VALU_DEP_4)
	v_perm_b32 v51, v8, v6, 0xc0c0500
	v_and_b32_e32 v53, 0xff0000, v45
	v_alignbit_b32 v8, v6, v5, 8
	v_alignbit_b32 v45, v6, v5, 24
	s_delay_alu instid0(VALU_DEP_3)
	v_or3_b32 v6, v51, v53, v49
	v_cmpx_eq_u16_e32 0, v55
	s_cbranch_execz .LBB96_87
; %bb.90:                               ;   in Loop: Header=BB96_88 Depth=1
	s_mov_b32 s18, 0
.LBB96_91:                              ;   Parent Loop BB96_88 Depth=1
                                        ; =>  This Inner Loop Header: Depth=2
	;;#ASMSTART
	global_load_dwordx4 v[5:8], v[41:42] off glc	
s_waitcnt vmcnt(0)
	;;#ASMEND
	v_and_b32_e32 v8, 0xff, v7
	s_delay_alu instid0(VALU_DEP_1) | instskip(SKIP_1) | instid1(SALU_CYCLE_1)
	v_cmp_ne_u16_e32 vcc_lo, 0, v8
	s_or_b32 s18, vcc_lo, s18
	s_and_not1_b32 exec_lo, exec_lo, s18
	s_cbranch_execnz .LBB96_91
; %bb.92:                               ;   in Loop: Header=BB96_88 Depth=1
	s_or_b32 exec_lo, exec_lo, s18
	v_perm_b32 v8, v6, v7, 0x70605
	v_perm_b32 v41, v6, v7, 0x1000706
	;; [unrolled: 1-line block ×3, first 2 shown]
	v_alignbit_b32 v47, v6, v5, 16
	v_alignbit_b32 v45, v6, v5, 24
	v_lshlrev_b32_e32 v8, 8, v8
	v_lshlrev_b32_e32 v41, 16, v41
	v_lshlrev_b32_e32 v42, 24, v42
	s_delay_alu instid0(VALU_DEP_3) | instskip(NEXT) | instid1(VALU_DEP_3)
	v_perm_b32 v49, v8, v6, 0xc0c0500
	v_and_b32_e32 v41, 0xff0000, v41
	v_alignbit_b32 v8, v6, v5, 8
	s_delay_alu instid0(VALU_DEP_2)
	v_or3_b32 v6, v49, v41, v42
	s_branch .LBB96_87
.LBB96_93:
                                        ; implicit-def: $vgpr41
                                        ; implicit-def: $sgpr17
                                        ; implicit-def: $vgpr7
                                        ; implicit-def: $vgpr6
                                        ; implicit-def: $vgpr8
                                        ; implicit-def: $vgpr47
                                        ; implicit-def: $vgpr45
.LBB96_94:
	v_cndmask_b32_e64 v5, 0, 1, s14
	;;#ASMSTART
	;;#ASMEND
	s_delay_alu instid0(VALU_DEP_1)
	v_cmp_ne_u32_e32 vcc_lo, 0, v5
	s_cmp_lg_u32 vcc_lo, exec_lo
	s_cbranch_scc1 .LBB96_116
; %bb.95:
	v_dual_mov_b32 v3, 0 :: v_dual_and_b32 v2, 0xff, v4
	s_delay_alu instid0(VALU_DEP_1) | instskip(SKIP_2) | instid1(VALU_DEP_1)
	v_cmp_eq_u16_e32 vcc_lo, 0xff, v2
	v_cndmask_b32_e64 v2, 0, 1, vcc_lo
	;;#ASMSTART
	;;#ASMEND
	v_cmp_ne_u32_e32 vcc_lo, 0, v2
	v_add_nc_u32_e32 v2, 32, v39
	s_cmp_eq_u32 vcc_lo, exec_lo
	s_cselect_b32 vcc_lo, -1, 0
	s_delay_alu instid0(VALU_DEP_1) | instskip(NEXT) | instid1(VALU_DEP_1)
	v_cndmask_b32_e32 v2, v39, v2, vcc_lo
	v_add_nc_u32_e32 v2, 32, v2
	s_delay_alu instid0(VALU_DEP_1) | instskip(NEXT) | instid1(VALU_DEP_1)
	v_lshlrev_b64 v[2:3], 4, v[2:3]
	v_add_co_u32 v6, s14, s24, v2
	s_delay_alu instid0(VALU_DEP_1)
	v_add_co_ci_u32_e64 v7, s14, s25, v3, s14
	s_branch .LBB96_97
.LBB96_96:                              ;   in Loop: Header=BB96_97 Depth=1
	s_or_b32 exec_lo, exec_lo, s17
	v_and_b32_e32 v40, 0xff, v4
	s_delay_alu instid0(VALU_DEP_1) | instskip(NEXT) | instid1(VALU_DEP_1)
	v_cmp_ne_u16_e64 s14, 2, v40
	v_cndmask_b32_e64 v40, 0, 1, s14
	;;#ASMSTART
	;;#ASMEND
	s_delay_alu instid0(VALU_DEP_1) | instskip(NEXT) | instid1(VALU_DEP_1)
	v_cmp_ne_u32_e64 s14, 0, v40
	s_cmp_eq_u32 s14, exec_lo
	s_cbranch_scc0 .LBB96_115
.LBB96_97:                              ; =>This Loop Header: Depth=1
                                        ;     Child Loop BB96_99 Depth 2
	;;#ASMSTART
	global_load_dwordx4 v[2:5], v[6:7] off glc	
s_waitcnt vmcnt(0)
	;;#ASMEND
	v_perm_b32 v5, v3, v4, 0x70605
	v_perm_b32 v8, v3, v4, 0x1000706
	;; [unrolled: 1-line block ×3, first 2 shown]
	v_and_b32_e32 v45, 0xff, v4
	s_mov_b32 s17, exec_lo
	v_lshlrev_b32_e32 v5, 8, v5
	v_lshlrev_b32_e32 v8, 16, v8
	v_lshlrev_b32_e32 v40, 24, v39
	v_alignbit_b32 v39, v3, v2, 16
	s_delay_alu instid0(VALU_DEP_4) | instskip(NEXT) | instid1(VALU_DEP_4)
	v_perm_b32 v41, v5, v3, 0xc0c0500
	v_and_b32_e32 v42, 0xff0000, v8
	v_alignbit_b32 v5, v3, v2, 8
	v_alignbit_b32 v8, v3, v2, 24
	s_delay_alu instid0(VALU_DEP_3)
	v_or3_b32 v3, v41, v42, v40
	v_cmpx_eq_u16_e32 0, v45
	s_cbranch_execz .LBB96_96
; %bb.98:                               ;   in Loop: Header=BB96_97 Depth=1
	s_mov_b32 s18, 0
	.p2align	6
.LBB96_99:                              ;   Parent Loop BB96_97 Depth=1
                                        ; =>  This Inner Loop Header: Depth=2
	;;#ASMSTART
	global_load_dwordx4 v[2:5], v[6:7] off glc	
s_waitcnt vmcnt(0)
	;;#ASMEND
	v_and_b32_e32 v5, 0xff, v4
	s_delay_alu instid0(VALU_DEP_1) | instskip(NEXT) | instid1(VALU_DEP_1)
	v_cmp_ne_u16_e64 s14, 0, v5
	s_or_b32 s18, s14, s18
	s_delay_alu instid0(SALU_CYCLE_1)
	s_and_not1_b32 exec_lo, exec_lo, s18
	s_cbranch_execnz .LBB96_99
; %bb.100:                              ;   in Loop: Header=BB96_97 Depth=1
	s_or_b32 exec_lo, exec_lo, s18
	v_perm_b32 v5, v3, v4, 0x70605
	v_perm_b32 v8, v3, v4, 0x1000706
	v_perm_b32 v39, v3, v4, 0x2010007
	s_delay_alu instid0(VALU_DEP_3) | instskip(NEXT) | instid1(VALU_DEP_3)
	v_lshlrev_b32_e32 v5, 8, v5
	v_lshlrev_b32_e32 v8, 16, v8
	s_delay_alu instid0(VALU_DEP_3) | instskip(SKIP_1) | instid1(VALU_DEP_4)
	v_lshlrev_b32_e32 v40, 24, v39
	v_alignbit_b32 v39, v3, v2, 16
	v_perm_b32 v41, v5, v3, 0xc0c0500
	s_delay_alu instid0(VALU_DEP_4) | instskip(SKIP_2) | instid1(VALU_DEP_3)
	v_and_b32_e32 v42, 0xff0000, v8
	v_alignbit_b32 v5, v3, v2, 8
	v_alignbit_b32 v8, v3, v2, 24
	v_or3_b32 v3, v41, v42, v40
	s_branch .LBB96_96
.LBB96_101:
	s_mov_b32 s27, 0
                                        ; implicit-def: $vgpr1
                                        ; implicit-def: $vgpr39
                                        ; implicit-def: $vgpr5
                                        ; implicit-def: $vgpr49
                                        ; implicit-def: $vgpr40
                                        ; implicit-def: $vgpr42
                                        ; implicit-def: $vgpr41
                                        ; implicit-def: $vgpr45
                                        ; implicit-def: $vgpr47
                                        ; implicit-def: $vgpr51
                                        ; implicit-def: $vgpr53
                                        ; implicit-def: $vgpr55
                                        ; implicit-def: $vgpr66
                                        ; implicit-def: $vgpr67
                                        ; implicit-def: $vgpr68
                                        ; implicit-def: $vgpr69
                                        ; implicit-def: $vgpr70
                                        ; implicit-def: $vgpr71
	s_cbranch_execnz .LBB96_135
.LBB96_102:
	s_and_saveexec_b32 s0, s27
	s_cbranch_execz .LBB96_308
	s_branch .LBB96_146
.LBB96_103:
	s_mov_b32 s30, 0
                                        ; implicit-def: $sgpr0
                                        ; implicit-def: $vgpr59
                                        ; implicit-def: $vgpr54
                                        ; implicit-def: $vgpr52
                                        ; implicit-def: $vgpr50
                                        ; implicit-def: $vgpr48
                                        ; implicit-def: $vgpr46
                                        ; implicit-def: $vgpr44
                                        ; implicit-def: $vgpr60
                                        ; implicit-def: $vgpr61
                                        ; implicit-def: $vgpr62
                                        ; implicit-def: $vgpr63
                                        ; implicit-def: $vgpr64
                                        ; implicit-def: $vgpr56
                                        ; implicit-def: $vgpr57
	s_cbranch_execz .LBB96_55
.LBB96_104:
	v_cmp_neq_f32_e32 vcc_lo, v10, v58
	v_lshlrev_b32_e32 v1, 2, v0
	s_mov_b32 s1, exec_lo
                                        ; implicit-def: $sgpr0
	v_cndmask_b32_e64 v59, 0, 1, vcc_lo
	v_cmp_neq_f32_e32 vcc_lo, v9, v10
	ds_store_b32 v1, v58
	s_waitcnt lgkmcnt(0)
	s_barrier
	buffer_gl0_inv
	v_cndmask_b32_e64 v54, 0, 1, vcc_lo
	v_cmp_neq_f32_e32 vcc_lo, v12, v9
	v_cndmask_b32_e64 v52, 0, 1, vcc_lo
	v_cmp_neq_f32_e32 vcc_lo, v11, v12
	;; [unrolled: 2-line block ×12, first 2 shown]
	v_cndmask_b32_e64 v57, 0, 1, vcc_lo
	v_cmpx_ne_u32_e32 0, v0
	s_xor_b32 s1, exec_lo, s1
	s_cbranch_execz .LBB96_106
; %bb.105:
	v_add_nc_u32_e32 v1, -4, v1
	s_or_b32 s30, s30, exec_lo
	ds_load_b32 v1, v1
	s_waitcnt lgkmcnt(0)
	v_cmp_neq_f32_e32 vcc_lo, v1, v21
	s_and_b32 s0, vcc_lo, exec_lo
.LBB96_106:
	s_or_b32 exec_lo, exec_lo, s1
	s_mov_b32 s1, 1
	s_branch .LBB96_71
.LBB96_107:
	s_mul_hi_u32 s0, s16, 0xfffff100
	s_mul_i32 s1, s17, 0xfffff100
	s_sub_i32 s0, s0, s16
	s_mul_i32 s2, s16, 0xfffff100
	s_add_i32 s0, s0, s1
	s_add_u32 s18, s2, s40
	s_addc_u32 s19, s0, s41
	v_cmp_neq_f32_e64 s13, v10, v58
	v_cmp_neq_f32_e64 s14, v9, v10
	;; [unrolled: 1-line block ×14, first 2 shown]
	v_mad_u32_u24 v1, v0, 15, 14
	v_mad_u32_u24 v55, v0, 15, 13
	;; [unrolled: 1-line block ×14, first 2 shown]
	v_cmp_ne_u32_e64 s6, 0, v0
	s_and_b32 vcc_lo, exec_lo, s31
	s_cbranch_vccz .LBB96_112
; %bb.108:
	v_add_co_u32 v56, s16, -4, s33
	s_delay_alu instid0(VALU_DEP_1)
	v_add_co_ci_u32_e64 v57, null, -1, s29, s16
	v_mov_b32_e32 v2, 0
	s_mov_b32 s30, -1
	s_mov_b32 s17, 0
	flat_load_b32 v66, v[56:57]
	v_lshlrev_b32_e32 v57, 2, v0
	v_cmp_gt_u64_e32 vcc_lo, s[18:19], v[1:2]
	v_mov_b32_e32 v56, v2
	v_mov_b32_e32 v54, v2
	;; [unrolled: 1-line block ×5, first 2 shown]
	v_cmp_gt_u64_e64 s16, s[18:19], v[55:56]
	s_and_b32 s29, vcc_lo, s13
	v_cmp_gt_u64_e32 vcc_lo, s[18:19], v[53:54]
	v_mov_b32_e32 v46, v2
	v_mov_b32_e32 v44, v2
	v_cmp_gt_u64_e64 s13, s[18:19], v[51:52]
	s_and_b32 s31, s16, s14
	v_mov_b32_e32 v42, v2
	s_and_b32 s33, vcc_lo, s12
	v_cmp_gt_u64_e32 vcc_lo, s[18:19], v[49:50]
	v_cmp_gt_u64_e64 s12, s[18:19], v[47:48]
	v_cmp_gt_u64_e64 s14, s[18:19], v[45:46]
	;; [unrolled: 1-line block ×3, first 2 shown]
	v_mov_b32_e32 v40, v2
	v_mov_b32_e32 v38, v2
	;; [unrolled: 1-line block ×5, first 2 shown]
	s_and_b32 s13, s13, s11
	s_and_b32 s40, vcc_lo, s7
	s_and_b32 s12, s12, s8
	s_and_b32 s14, s14, s9
	;; [unrolled: 1-line block ×3, first 2 shown]
	v_cmp_gt_u64_e32 vcc_lo, s[18:19], v[41:42]
	v_cmp_gt_u64_e64 s7, s[18:19], v[39:40]
	v_cmp_gt_u64_e64 s8, s[18:19], v[37:38]
	;; [unrolled: 1-line block ×5, first 2 shown]
	v_mul_u32_u24_e32 v56, 15, v0
	s_and_b32 s0, vcc_lo, s0
	s_and_b32 s7, s7, s1
	s_and_b32 s8, s8, s2
	;; [unrolled: 1-line block ×5, first 2 shown]
	ds_store_b32 v57, v58
	s_waitcnt vmcnt(0) lgkmcnt(0)
	s_barrier
	buffer_gl0_inv
	s_and_saveexec_b32 s4, s6
	s_cbranch_execz .LBB96_110
; %bb.109:
	v_add_nc_u32_e32 v4, -4, v57
	ds_load_b32 v66, v4
.LBB96_110:
	s_or_b32 exec_lo, exec_lo, s4
	v_mov_b32_e32 v57, v2
	v_cndmask_b32_e64 v61, 0, 1, s0
	s_waitcnt lgkmcnt(0)
	v_cmp_neq_f32_e64 s0, v66, v21
	v_cndmask_b32_e64 v59, 0, 1, s29
	v_cndmask_b32_e64 v54, 0, 1, s31
	v_cmp_gt_u64_e32 vcc_lo, s[18:19], v[56:57]
	v_cndmask_b32_e64 v52, 0, 1, s33
	v_cndmask_b32_e64 v50, 0, 1, s13
	;; [unrolled: 1-line block ×11, first 2 shown]
	s_and_b32 s0, vcc_lo, s0
	s_and_b32 vcc_lo, exec_lo, s17
	s_cbranch_vccnz .LBB96_113
.LBB96_111:
                                        ; implicit-def: $sgpr1
	v_mov_b32_e32 v43, s1
	s_and_saveexec_b32 s1, s30
	s_cbranch_execnz .LBB96_72
	s_branch .LBB96_73
.LBB96_112:
                                        ; implicit-def: $sgpr0
                                        ; implicit-def: $vgpr59
                                        ; implicit-def: $vgpr54
                                        ; implicit-def: $vgpr52
                                        ; implicit-def: $vgpr50
                                        ; implicit-def: $vgpr48
                                        ; implicit-def: $vgpr46
                                        ; implicit-def: $vgpr44
                                        ; implicit-def: $vgpr60
                                        ; implicit-def: $vgpr61
                                        ; implicit-def: $vgpr62
                                        ; implicit-def: $vgpr63
                                        ; implicit-def: $vgpr64
                                        ; implicit-def: $vgpr56
                                        ; implicit-def: $vgpr57
	s_cbranch_execz .LBB96_111
.LBB96_113:
	v_mov_b32_e32 v2, 0
	v_cmp_neq_f32_e64 s1, v12, v9
	v_cmp_neq_f32_e32 vcc_lo, v10, v58
	v_cmp_neq_f32_e64 s0, v9, v10
	v_lshlrev_b32_e32 v66, 2, v0
	v_mov_b32_e32 v54, v2
	v_mov_b32_e32 v56, v2
	v_cmp_gt_u64_e64 s2, s[18:19], v[1:2]
	v_mov_b32_e32 v52, v2
	v_mov_b32_e32 v50, v2
	v_cmp_gt_u64_e64 s4, s[18:19], v[53:54]
	v_cmp_gt_u64_e64 s3, s[18:19], v[55:56]
	v_mov_b32_e32 v48, v2
	s_and_b32 s2, s2, vcc_lo
	v_cmp_gt_u64_e32 vcc_lo, s[18:19], v[51:52]
	v_cndmask_b32_e64 v59, 0, 1, s2
	s_and_b32 s1, s4, s1
	s_and_b32 s0, s3, s0
	v_cndmask_b32_e64 v52, 0, 1, s1
	v_cmp_gt_u64_e64 s1, s[18:19], v[49:50]
	v_cmp_neq_f32_e64 s2, v14, v11
	v_cndmask_b32_e64 v54, 0, 1, s0
	v_cmp_neq_f32_e64 s0, v11, v12
	v_mov_b32_e32 v46, v2
	v_mov_b32_e32 v44, v2
	s_and_b32 s1, s1, s2
	v_cmp_neq_f32_e64 s2, v16, v13
	s_and_b32 s0, vcc_lo, s0
	v_cmp_gt_u64_e32 vcc_lo, s[18:19], v[47:48]
	v_cndmask_b32_e64 v48, 0, 1, s1
	v_cmp_gt_u64_e64 s1, s[18:19], v[45:46]
	v_cndmask_b32_e64 v50, 0, 1, s0
	v_cmp_neq_f32_e64 s0, v13, v14
	v_mov_b32_e32 v42, v2
	v_mov_b32_e32 v40, v2
	;; [unrolled: 1-line block ×3, first 2 shown]
	s_and_b32 s1, s1, s2
	s_and_b32 s0, vcc_lo, s0
	v_cmp_gt_u64_e32 vcc_lo, s[18:19], v[43:44]
	v_cndmask_b32_e64 v46, 0, 1, s0
	v_cmp_neq_f32_e64 s0, v15, v16
	v_cndmask_b32_e64 v44, 0, 1, s1
	v_cmp_gt_u64_e64 s1, s[18:19], v[41:42]
	v_cmp_neq_f32_e64 s2, v18, v15
	v_mov_b32_e32 v8, v2
	s_and_b32 s0, vcc_lo, s0
	v_cmp_gt_u64_e32 vcc_lo, s[18:19], v[39:40]
	v_cndmask_b32_e64 v60, 0, 1, s0
	s_and_b32 s1, s1, s2
	v_cmp_neq_f32_e64 s0, v17, v18
	v_cndmask_b32_e64 v61, 0, 1, s1
	v_cmp_gt_u64_e64 s1, s[18:19], v[37:38]
	v_cmp_neq_f32_e64 s2, v20, v17
	v_mov_b32_e32 v6, v2
	s_and_b32 s0, vcc_lo, s0
	v_mov_b32_e32 v4, v2
	v_cndmask_b32_e64 v62, 0, 1, s0
	s_and_b32 s0, s1, s2
	v_cmp_gt_u64_e32 vcc_lo, s[18:19], v[7:8]
	v_cndmask_b32_e64 v63, 0, 1, s0
	v_cmp_neq_f32_e64 s0, v19, v20
	v_cmp_gt_u64_e64 s1, s[18:19], v[5:6]
	v_cmp_neq_f32_e64 s2, v22, v19
	v_cmp_gt_u64_e64 s3, s[18:19], v[3:4]
	v_cmp_neq_f32_e64 s4, v21, v22
	s_and_b32 s0, vcc_lo, s0
	ds_store_b32 v66, v58
	v_cndmask_b32_e64 v64, 0, 1, s0
	s_and_b32 s0, s1, s2
	s_mov_b32 s1, 1
	v_cndmask_b32_e64 v56, 0, 1, s0
	s_and_b32 s0, s3, s4
	s_mov_b32 s2, exec_lo
	v_cndmask_b32_e64 v57, 0, 1, s0
	s_waitcnt lgkmcnt(0)
	s_barrier
	buffer_gl0_inv
                                        ; implicit-def: $sgpr0
	v_cmpx_ne_u32_e32 0, v0
	s_cbranch_execz .LBB96_121
; %bb.114:
	v_add_nc_u32_e32 v1, -4, v66
	s_or_b32 s30, s30, exec_lo
	ds_load_b32 v3, v1
	v_mul_u32_u24_e32 v1, 15, v0
	s_delay_alu instid0(VALU_DEP_1) | instskip(SKIP_2) | instid1(VALU_DEP_1)
	v_cmp_gt_u64_e32 vcc_lo, s[18:19], v[1:2]
	s_waitcnt lgkmcnt(0)
	v_cmp_neq_f32_e64 s0, v3, v21
	s_and_b32 s0, vcc_lo, s0
	s_delay_alu instid0(SALU_CYCLE_1)
	s_and_b32 s0, s0, exec_lo
	s_or_b32 exec_lo, exec_lo, s2
	v_mov_b32_e32 v43, s1
	s_and_saveexec_b32 s1, s30
	s_cbranch_execz .LBB96_73
	s_branch .LBB96_72
.LBB96_115:
	v_lshlrev_b32_e32 v6, 16, v39
	v_lshlrev_b32_e32 v5, 8, v5
	v_cndmask_b32_e64 v7, 0, 1, vcc_lo
	v_and_b32_e32 v2, 0xff, v2
	s_delay_alu instid0(VALU_DEP_4) | instskip(NEXT) | instid1(VALU_DEP_4)
	v_perm_b32 v6, v8, v6, 0x4020c0c
	v_and_b32_e32 v5, 0xff00, v5
	s_delay_alu instid0(VALU_DEP_4) | instskip(NEXT) | instid1(VALU_DEP_2)
	v_readfirstlane_b32 s14, v7
	v_or3_b32 v2, v6, v5, v2
	s_delay_alu instid0(VALU_DEP_2)
	s_sub_i32 s16, s16, s14
.LBB96_116:
	v_and_b32_e32 v4, 0xff, v4
	s_delay_alu instid0(VALU_DEP_1)
	v_cmp_eq_u16_e32 vcc_lo, 2, v4
	s_cbranch_vccz .LBB96_122
; %bb.117:
	s_ctz_i32_b32 s14, vcc_lo
	s_delay_alu instid0(SALU_CYCLE_1)
	s_cmp_eq_u32 s14, 0
	s_cbranch_scc1 .LBB96_123
; %bb.118:
	v_cmp_ne_u32_e32 vcc_lo, 31, v72
	v_add_co_ci_u32_e32 v4, vcc_lo, 0, v72, vcc_lo
	v_cmp_eq_u32_e32 vcc_lo, 0, v2
	s_delay_alu instid0(VALU_DEP_2)
	v_dual_mov_b32 v5, v3 :: v_dual_lshlrev_b32 v6, 2, v4
	v_mov_b32_e32 v4, v2
.LBB96_119:                             ; =>This Inner Loop Header: Depth=1
	ds_bpermute_b32 v5, v6, v5
	ds_bpermute_b32 v4, v6, v4
	s_add_i32 s14, s14, -1
	s_delay_alu instid0(SALU_CYCLE_1) | instskip(SKIP_2) | instid1(VALU_DEP_1)
	s_cmp_lg_u32 s14, 0
	s_waitcnt lgkmcnt(0)
	v_dual_add_f32 v5, v3, v5 :: v_dual_add_nc_u32 v4, v4, v2
	v_cndmask_b32_e32 v5, v3, v5, vcc_lo
	s_cbranch_scc1 .LBB96_119
; %bb.120:
	s_cmp_lt_i32 s16, 1
	s_cbranch_scc0 .LBB96_124
	s_branch .LBB96_126
.LBB96_121:
	s_or_b32 exec_lo, exec_lo, s2
	v_mov_b32_e32 v43, s1
	s_and_saveexec_b32 s1, s30
	s_cbranch_execnz .LBB96_72
	s_branch .LBB96_73
.LBB96_122:
	s_mov_b32 s16, 0
	s_mov_b32 s15, -1
	s_branch .LBB96_131
.LBB96_123:
	v_dual_mov_b32 v5, v3 :: v_dual_mov_b32 v4, v2
	s_cmp_lt_i32 s16, 1
	s_cbranch_scc1 .LBB96_126
.LBB96_124:
	s_lshl_b32 s14, s16, 3
	s_delay_alu instid0(SALU_CYCLE_1) | instskip(SKIP_1) | instid1(VALU_DEP_1)
	v_add_nc_u32_e64 v2, s14, 0
	s_add_i32 s14, s16, 1
	v_add_nc_u32_e32 v2, -4, v2
.LBB96_125:                             ; =>This Inner Loop Header: Depth=1
	scratch_load_b64 v[6:7], v2, off offset:-4
	v_readlane_b32 s16, v5, 32
	s_add_i32 s14, s14, -1
	v_add_nc_u32_e32 v2, -8, v2
	s_cmp_gt_u32 s14, 1
	s_waitcnt vmcnt(0)
	v_add_f32_e32 v3, s16, v7
	v_readlane_b32 s16, v4, 32
	v_cmp_eq_u32_e32 vcc_lo, 0, v6
	s_delay_alu instid0(VALU_DEP_2) | instskip(NEXT) | instid1(VALU_DEP_1)
	v_add_nc_u32_e32 v4, s16, v6
	v_mov_b32_dpp v4, v4 row_shl:1 row_mask:0xf bank_mask:0xf
	s_delay_alu instid0(VALU_DEP_1) | instskip(NEXT) | instid1(VALU_DEP_1)
	v_dual_cndmask_b32 v3, v7, v3 :: v_dual_add_nc_u32 v4, v4, v6
	v_mov_b32_dpp v3, v3 row_shl:1 row_mask:0xf bank_mask:0xf
	s_delay_alu instid0(VALU_DEP_2) | instskip(NEXT) | instid1(VALU_DEP_1)
	v_mov_b32_dpp v4, v4 row_shl:1 row_mask:0xf bank_mask:0xf
	v_dual_add_f32 v3, v7, v3 :: v_dual_add_nc_u32 v4, v4, v6
	s_delay_alu instid0(VALU_DEP_1) | instskip(NEXT) | instid1(VALU_DEP_1)
	v_mov_b32_dpp v4, v4 row_shl:1 row_mask:0xf bank_mask:0xf
	v_dual_cndmask_b32 v3, v7, v3 :: v_dual_add_nc_u32 v4, v4, v6
	s_delay_alu instid0(VALU_DEP_1) | instskip(NEXT) | instid1(VALU_DEP_2)
	v_mov_b32_dpp v3, v3 row_shl:1 row_mask:0xf bank_mask:0xf
	v_mov_b32_dpp v4, v4 row_shl:1 row_mask:0xf bank_mask:0xf
	s_delay_alu instid0(VALU_DEP_1) | instskip(NEXT) | instid1(VALU_DEP_1)
	v_dual_add_f32 v3, v7, v3 :: v_dual_add_nc_u32 v4, v4, v6
	v_mov_b32_dpp v4, v4 row_shl:1 row_mask:0xf bank_mask:0xf
	s_delay_alu instid0(VALU_DEP_1) | instskip(NEXT) | instid1(VALU_DEP_1)
	v_dual_cndmask_b32 v3, v7, v3 :: v_dual_add_nc_u32 v4, v4, v6
	v_mov_b32_dpp v3, v3 row_shl:1 row_mask:0xf bank_mask:0xf
	s_delay_alu instid0(VALU_DEP_2) | instskip(NEXT) | instid1(VALU_DEP_1)
	v_mov_b32_dpp v4, v4 row_shl:1 row_mask:0xf bank_mask:0xf
	v_dual_add_f32 v3, v7, v3 :: v_dual_add_nc_u32 v4, v4, v6
	s_delay_alu instid0(VALU_DEP_1) | instskip(NEXT) | instid1(VALU_DEP_1)
	v_mov_b32_dpp v4, v4 row_shl:1 row_mask:0xf bank_mask:0xf
	v_dual_cndmask_b32 v3, v7, v3 :: v_dual_add_nc_u32 v4, v4, v6
	s_delay_alu instid0(VALU_DEP_1) | instskip(NEXT) | instid1(VALU_DEP_2)
	v_mov_b32_dpp v3, v3 row_shl:1 row_mask:0xf bank_mask:0xf
	v_mov_b32_dpp v4, v4 row_shl:1 row_mask:0xf bank_mask:0xf
	s_delay_alu instid0(VALU_DEP_2) | instskip(NEXT) | instid1(VALU_DEP_1)
	v_add_f32_e32 v3, v7, v3
	v_cndmask_b32_e32 v3, v7, v3, vcc_lo
	s_delay_alu instid0(VALU_DEP_1) | instskip(NEXT) | instid1(VALU_DEP_1)
	v_mov_b32_dpp v3, v3 row_shl:1 row_mask:0xf bank_mask:0xf
	v_add_f32_e32 v3, v7, v3
	s_delay_alu instid0(VALU_DEP_1) | instskip(NEXT) | instid1(VALU_DEP_1)
	v_cndmask_b32_e32 v3, v7, v3, vcc_lo
	v_mov_b32_dpp v3, v3 row_shl:1 row_mask:0xf bank_mask:0xf
	s_delay_alu instid0(VALU_DEP_1) | instskip(NEXT) | instid1(VALU_DEP_1)
	v_add_f32_e32 v3, v7, v3
	v_cndmask_b32_e32 v3, v7, v3, vcc_lo
	s_delay_alu instid0(VALU_DEP_1) | instskip(NEXT) | instid1(VALU_DEP_1)
	v_mov_b32_dpp v3, v3 row_shl:1 row_mask:0xf bank_mask:0xf
	v_add_f32_e32 v3, v7, v3
	s_delay_alu instid0(VALU_DEP_1) | instskip(NEXT) | instid1(VALU_DEP_1)
	v_cndmask_b32_e32 v3, v7, v3, vcc_lo
	v_mov_b32_dpp v3, v3 row_shl:1 row_mask:0xf bank_mask:0xf
	s_delay_alu instid0(VALU_DEP_1) | instskip(NEXT) | instid1(VALU_DEP_1)
	;; [unrolled: 9-line block ×5, first 2 shown]
	v_add_f32_e32 v3, v7, v3
	v_cndmask_b32_e32 v3, v7, v3, vcc_lo
	s_delay_alu instid0(VALU_DEP_1) | instskip(NEXT) | instid1(VALU_DEP_1)
	v_mov_b32_dpp v3, v3 row_shl:1 row_mask:0xf bank_mask:0xf
	v_add_f32_e32 v3, v7, v3
	s_delay_alu instid0(VALU_DEP_1) | instskip(NEXT) | instid1(VALU_DEP_1)
	v_cndmask_b32_e32 v3, v7, v3, vcc_lo
	v_readlane_b32 s16, v3, 16
	s_delay_alu instid0(VALU_DEP_1) | instskip(NEXT) | instid1(VALU_DEP_1)
	v_dual_add_f32 v4, s16, v7 :: v_dual_add_nc_u32 v3, v4, v6
	v_mov_b32_dpp v3, v3 row_shl:1 row_mask:0xf bank_mask:0xf
	s_delay_alu instid0(VALU_DEP_2) | instskip(NEXT) | instid1(VALU_DEP_2)
	v_cndmask_b32_e32 v4, v7, v4, vcc_lo
	v_add_nc_u32_e32 v3, v3, v6
	s_delay_alu instid0(VALU_DEP_2) | instskip(NEXT) | instid1(VALU_DEP_2)
	v_mov_b32_dpp v4, v4 row_shl:1 row_mask:0xf bank_mask:0xf
	v_mov_b32_dpp v3, v3 row_shl:1 row_mask:0xf bank_mask:0xf
	s_delay_alu instid0(VALU_DEP_2) | instskip(NEXT) | instid1(VALU_DEP_2)
	v_add_f32_e32 v4, v7, v4
	v_add_nc_u32_e32 v3, v3, v6
	s_delay_alu instid0(VALU_DEP_2) | instskip(NEXT) | instid1(VALU_DEP_2)
	v_cndmask_b32_e32 v4, v7, v4, vcc_lo
	v_mov_b32_dpp v3, v3 row_shl:1 row_mask:0xf bank_mask:0xf
	s_delay_alu instid0(VALU_DEP_2) | instskip(NEXT) | instid1(VALU_DEP_2)
	v_mov_b32_dpp v4, v4 row_shl:1 row_mask:0xf bank_mask:0xf
	v_add_nc_u32_e32 v3, v3, v6
	s_delay_alu instid0(VALU_DEP_2) | instskip(NEXT) | instid1(VALU_DEP_2)
	v_add_f32_e32 v4, v7, v4
	v_mov_b32_dpp v3, v3 row_shl:1 row_mask:0xf bank_mask:0xf
	s_delay_alu instid0(VALU_DEP_2) | instskip(NEXT) | instid1(VALU_DEP_2)
	v_cndmask_b32_e32 v4, v7, v4, vcc_lo
	v_add_nc_u32_e32 v3, v3, v6
	s_delay_alu instid0(VALU_DEP_2) | instskip(NEXT) | instid1(VALU_DEP_2)
	v_mov_b32_dpp v4, v4 row_shl:1 row_mask:0xf bank_mask:0xf
	v_mov_b32_dpp v3, v3 row_shl:1 row_mask:0xf bank_mask:0xf
	s_delay_alu instid0(VALU_DEP_2) | instskip(NEXT) | instid1(VALU_DEP_2)
	v_add_f32_e32 v4, v7, v4
	v_add_nc_u32_e32 v3, v3, v6
	s_delay_alu instid0(VALU_DEP_2) | instskip(NEXT) | instid1(VALU_DEP_2)
	v_cndmask_b32_e32 v4, v7, v4, vcc_lo
	v_mov_b32_dpp v3, v3 row_shl:1 row_mask:0xf bank_mask:0xf
	s_delay_alu instid0(VALU_DEP_2) | instskip(NEXT) | instid1(VALU_DEP_2)
	v_mov_b32_dpp v4, v4 row_shl:1 row_mask:0xf bank_mask:0xf
	v_add_nc_u32_e32 v3, v3, v6
	s_delay_alu instid0(VALU_DEP_2) | instskip(NEXT) | instid1(VALU_DEP_2)
	v_add_f32_e32 v4, v7, v4
	v_mov_b32_dpp v3, v3 row_shl:1 row_mask:0xf bank_mask:0xf
	s_delay_alu instid0(VALU_DEP_2) | instskip(NEXT) | instid1(VALU_DEP_2)
	v_cndmask_b32_e32 v4, v7, v4, vcc_lo
	v_add_nc_u32_e32 v3, v3, v6
	s_delay_alu instid0(VALU_DEP_2) | instskip(NEXT) | instid1(VALU_DEP_2)
	v_mov_b32_dpp v4, v4 row_shl:1 row_mask:0xf bank_mask:0xf
	v_readlane_b32 s16, v3, 16
	s_delay_alu instid0(VALU_DEP_1) | instskip(NEXT) | instid1(VALU_DEP_1)
	v_dual_add_f32 v3, v7, v4 :: v_dual_add_nc_u32 v4, s16, v6
	v_cndmask_b32_e32 v3, v7, v3, vcc_lo
	s_delay_alu instid0(VALU_DEP_2) | instskip(NEXT) | instid1(VALU_DEP_2)
	v_mov_b32_dpp v4, v4 row_shl:1 row_mask:0xf bank_mask:0xf
	v_mov_b32_dpp v3, v3 row_shl:1 row_mask:0xf bank_mask:0xf
	s_delay_alu instid0(VALU_DEP_1) | instskip(NEXT) | instid1(VALU_DEP_1)
	v_dual_add_f32 v3, v7, v3 :: v_dual_add_nc_u32 v4, v4, v6
	v_mov_b32_dpp v4, v4 row_shl:1 row_mask:0xf bank_mask:0xf
	s_delay_alu instid0(VALU_DEP_1) | instskip(NEXT) | instid1(VALU_DEP_1)
	v_dual_cndmask_b32 v3, v7, v3 :: v_dual_add_nc_u32 v4, v4, v6
	v_mov_b32_dpp v3, v3 row_shl:1 row_mask:0xf bank_mask:0xf
	s_delay_alu instid0(VALU_DEP_2) | instskip(NEXT) | instid1(VALU_DEP_1)
	v_mov_b32_dpp v4, v4 row_shl:1 row_mask:0xf bank_mask:0xf
	v_dual_add_f32 v3, v7, v3 :: v_dual_add_nc_u32 v4, v4, v6
	s_delay_alu instid0(VALU_DEP_1) | instskip(NEXT) | instid1(VALU_DEP_2)
	v_cndmask_b32_e32 v3, v7, v3, vcc_lo
	v_mov_b32_dpp v4, v4 row_shl:1 row_mask:0xf bank_mask:0xf
	s_delay_alu instid0(VALU_DEP_2) | instskip(NEXT) | instid1(VALU_DEP_1)
	v_mov_b32_dpp v3, v3 row_shl:1 row_mask:0xf bank_mask:0xf
	v_dual_add_f32 v3, v7, v3 :: v_dual_add_nc_u32 v4, v4, v6
	s_delay_alu instid0(VALU_DEP_1) | instskip(NEXT) | instid1(VALU_DEP_1)
	v_mov_b32_dpp v4, v4 row_shl:1 row_mask:0xf bank_mask:0xf
	v_dual_cndmask_b32 v3, v7, v3 :: v_dual_add_nc_u32 v4, v4, v6
	s_delay_alu instid0(VALU_DEP_1) | instskip(NEXT) | instid1(VALU_DEP_2)
	v_mov_b32_dpp v3, v3 row_shl:1 row_mask:0xf bank_mask:0xf
	v_mov_b32_dpp v4, v4 row_shl:1 row_mask:0xf bank_mask:0xf
	s_delay_alu instid0(VALU_DEP_1) | instskip(NEXT) | instid1(VALU_DEP_1)
	v_dual_add_f32 v3, v7, v3 :: v_dual_add_nc_u32 v4, v4, v6
	v_cndmask_b32_e32 v3, v7, v3, vcc_lo
	s_delay_alu instid0(VALU_DEP_2) | instskip(NEXT) | instid1(VALU_DEP_2)
	v_mov_b32_dpp v4, v4 row_shl:1 row_mask:0xf bank_mask:0xf
	v_mov_b32_dpp v3, v3 row_shl:1 row_mask:0xf bank_mask:0xf
	s_delay_alu instid0(VALU_DEP_1) | instskip(NEXT) | instid1(VALU_DEP_1)
	v_dual_add_f32 v3, v7, v3 :: v_dual_add_nc_u32 v4, v4, v6
	v_mov_b32_dpp v4, v4 row_shl:1 row_mask:0xf bank_mask:0xf
	s_delay_alu instid0(VALU_DEP_1) | instskip(NEXT) | instid1(VALU_DEP_1)
	v_dual_cndmask_b32 v3, v7, v3 :: v_dual_add_nc_u32 v4, v4, v6
	v_mov_b32_dpp v3, v3 row_shl:1 row_mask:0xf bank_mask:0xf
	s_delay_alu instid0(VALU_DEP_2) | instskip(NEXT) | instid1(VALU_DEP_1)
	v_mov_b32_dpp v4, v4 row_shl:1 row_mask:0xf bank_mask:0xf
	v_dual_add_f32 v3, v7, v3 :: v_dual_add_nc_u32 v4, v4, v6
	s_delay_alu instid0(VALU_DEP_1) | instskip(NEXT) | instid1(VALU_DEP_2)
	v_cndmask_b32_e32 v3, v7, v3, vcc_lo
	v_mov_b32_dpp v4, v4 row_shl:1 row_mask:0xf bank_mask:0xf
	s_delay_alu instid0(VALU_DEP_2) | instskip(NEXT) | instid1(VALU_DEP_1)
	v_mov_b32_dpp v3, v3 row_shl:1 row_mask:0xf bank_mask:0xf
	v_dual_add_f32 v3, v7, v3 :: v_dual_add_nc_u32 v4, v4, v6
	s_delay_alu instid0(VALU_DEP_1) | instskip(NEXT) | instid1(VALU_DEP_1)
	v_mov_b32_dpp v4, v4 row_shl:1 row_mask:0xf bank_mask:0xf
	v_dual_cndmask_b32 v3, v7, v3 :: v_dual_add_nc_u32 v4, v4, v6
	s_delay_alu instid0(VALU_DEP_1) | instskip(NEXT) | instid1(VALU_DEP_2)
	v_mov_b32_dpp v3, v3 row_shl:1 row_mask:0xf bank_mask:0xf
	v_mov_b32_dpp v4, v4 row_shl:1 row_mask:0xf bank_mask:0xf
	s_delay_alu instid0(VALU_DEP_1) | instskip(NEXT) | instid1(VALU_DEP_1)
	v_dual_add_f32 v3, v7, v3 :: v_dual_add_nc_u32 v4, v4, v6
	v_cndmask_b32_e32 v3, v7, v3, vcc_lo
	s_delay_alu instid0(VALU_DEP_2) | instskip(NEXT) | instid1(VALU_DEP_2)
	v_mov_b32_dpp v4, v4 row_shl:1 row_mask:0xf bank_mask:0xf
	v_mov_b32_dpp v3, v3 row_shl:1 row_mask:0xf bank_mask:0xf
	s_delay_alu instid0(VALU_DEP_1) | instskip(NEXT) | instid1(VALU_DEP_1)
	v_dual_add_f32 v3, v7, v3 :: v_dual_add_nc_u32 v4, v4, v6
	v_mov_b32_dpp v4, v4 row_shl:1 row_mask:0xf bank_mask:0xf
	s_delay_alu instid0(VALU_DEP_1) | instskip(NEXT) | instid1(VALU_DEP_1)
	v_dual_cndmask_b32 v3, v7, v3 :: v_dual_add_nc_u32 v4, v4, v6
	v_mov_b32_dpp v3, v3 row_shl:1 row_mask:0xf bank_mask:0xf
	s_delay_alu instid0(VALU_DEP_2) | instskip(NEXT) | instid1(VALU_DEP_1)
	v_mov_b32_dpp v4, v4 row_shl:1 row_mask:0xf bank_mask:0xf
	v_dual_add_f32 v3, v7, v3 :: v_dual_add_nc_u32 v4, v4, v6
	s_delay_alu instid0(VALU_DEP_1)
	v_cndmask_b32_e32 v5, v7, v3, vcc_lo
	s_cbranch_scc1 .LBB96_125
.LBB96_126:
	s_delay_alu instid0(VALU_DEP_1) | instskip(NEXT) | instid1(VALU_DEP_2)
	v_readfirstlane_b32 s14, v4
	v_readfirstlane_b32 s16, v5
	s_and_saveexec_b32 s17, s13
	s_cbranch_execz .LBB96_128
; %bb.127:
	s_delay_alu instid0(VALU_DEP_1)
	v_add_f32_e64 v2, s30, s16
	v_cmp_eq_u32_e32 vcc_lo, 0, v1
	s_mov_b32 s19, 0
	s_add_i32 s18, s15, 32
	v_mov_b32_e32 v7, 2
	s_lshl_b64 s[18:19], s[18:19], 4
	v_cndmask_b32_e32 v2, s30, v2, vcc_lo
	s_add_u32 s18, s24, s18
	s_addc_u32 s19, s25, s19
	s_delay_alu instid0(SALU_CYCLE_1) | instskip(NEXT) | instid1(VALU_DEP_2)
	v_dual_mov_b32 v40, s19 :: v_dual_add_nc_u32 v5, s14, v1
	v_dual_mov_b32 v8, 0 :: v_dual_and_b32 v3, 0xff000000, v2
	v_dual_mov_b32 v39, s18 :: v_dual_and_b32 v4, 0xff0000, v2
	v_and_b32_e32 v6, 0xff00, v2
	v_and_b32_e32 v2, 0xff, v2
	s_delay_alu instid0(VALU_DEP_3) | instskip(SKIP_1) | instid1(VALU_DEP_2)
	v_or_b32_e32 v3, v4, v3
	v_mov_b32_e32 v4, s16
	v_or_b32_e32 v3, v3, v6
	s_delay_alu instid0(VALU_DEP_1)
	v_or_b32_e32 v6, v3, v2
	v_dual_mov_b32 v3, s14 :: v_dual_mov_b32 v2, s30
	;;#ASMSTART
	global_store_dwordx4 v[39:40], v[5:8] off	
s_waitcnt vmcnt(0)
	;;#ASMEND
	ds_store_b128 v8, v[1:4] offset:2048
.LBB96_128:
	s_or_b32 exec_lo, exec_lo, s17
	s_mov_b32 s15, 0
	s_mov_b32 s17, exec_lo
	v_cmpx_eq_u32_e32 0, v0
	s_cbranch_execz .LBB96_130
; %bb.129:
	v_dual_mov_b32 v1, s14 :: v_dual_mov_b32 v2, s16
	v_mov_b32_e32 v3, 0
	ds_store_b64 v3, v[1:2] offset:2120
.LBB96_130:
	s_or_b32 exec_lo, exec_lo, s17
	s_mov_b32 s16, -1
.LBB96_131:
	s_and_b32 s14, s15, exec_lo
	s_or_not1_b32 s16, s16, exec_lo
.LBB96_132:
	s_or_b32 exec_lo, exec_lo, s29
                                        ; implicit-def: $vgpr1
                                        ; implicit-def: $vgpr39
                                        ; implicit-def: $vgpr5
                                        ; implicit-def: $vgpr49
                                        ; implicit-def: $vgpr40
                                        ; implicit-def: $vgpr42
                                        ; implicit-def: $vgpr41
                                        ; implicit-def: $vgpr45
                                        ; implicit-def: $vgpr47
                                        ; implicit-def: $vgpr51
                                        ; implicit-def: $vgpr53
                                        ; implicit-def: $vgpr55
                                        ; implicit-def: $vgpr66
                                        ; implicit-def: $vgpr67
                                        ; implicit-def: $vgpr68
                                        ; implicit-def: $vgpr69
                                        ; implicit-def: $vgpr70
                                        ; implicit-def: $vgpr71
	s_and_saveexec_b32 s15, s16
	s_cbranch_execz .LBB96_165
; %bb.133:
	s_waitcnt lgkmcnt(1)
	v_cndmask_b32_e64 v7, v77, v37, s13
	s_waitcnt lgkmcnt(0)
	v_cndmask_b32_e64 v2, v78, v38, s13
	s_waitcnt_vscnt null, 0x0
	s_barrier
	buffer_gl0_inv
	v_cmp_eq_u32_e32 vcc_lo, 0, v7
	v_mov_b32_e32 v1, 0
	v_cmp_eq_u32_e64 s13, 0, v43
	s_mov_b32 s27, exec_lo
	ds_load_b64 v[5:6], v1 offset:2120
	s_waitcnt lgkmcnt(0)
	s_barrier
	buffer_gl0_inv
	v_add_f32_e32 v3, v2, v6
	s_delay_alu instid0(VALU_DEP_1) | instskip(SKIP_1) | instid1(VALU_DEP_2)
	v_cndmask_b32_e32 v2, v2, v3, vcc_lo
	v_cmp_eq_u32_e32 vcc_lo, 0, v0
	v_cndmask_b32_e32 v71, v2, v6, vcc_lo
	s_delay_alu instid0(VALU_DEP_1) | instskip(NEXT) | instid1(VALU_DEP_1)
	v_add_f32_e32 v2, v35, v71
	v_cndmask_b32_e64 v70, v35, v2, s13
	s_delay_alu instid0(VALU_DEP_1) | instskip(NEXT) | instid1(VALU_DEP_1)
	v_add_f32_e32 v2, v36, v70
	v_cndmask_b32_e64 v69, v36, v2, s12
	;; [unrolled: 3-line block ×11, first 2 shown]
	ds_load_b128 v[1:4], v1 offset:2048
	v_add_f32_e32 v6, v26, v41
	s_delay_alu instid0(VALU_DEP_1) | instskip(SKIP_2) | instid1(VALU_DEP_2)
	v_cndmask_b32_e64 v42, v26, v6, s2
	s_waitcnt lgkmcnt(0)
	v_add_f32_e32 v4, v4, v2
	v_add_f32_e32 v6, v23, v42
	s_delay_alu instid0(VALU_DEP_1) | instskip(SKIP_2) | instid1(VALU_DEP_2)
	v_cndmask_b32_e64 v40, v23, v6, s1
	v_cndmask_b32_e64 v6, v7, 0, vcc_lo
	v_cmp_eq_u32_e32 vcc_lo, 0, v1
	v_dual_add_f32 v7, v24, v40 :: v_dual_add_nc_u32 v6, v5, v6
	v_cndmask_b32_e32 v39, v2, v4, vcc_lo
	v_mov_b32_e32 v5, v3
	s_delay_alu instid0(VALU_DEP_3) | instskip(NEXT) | instid1(VALU_DEP_4)
	v_cndmask_b32_e64 v49, v24, v7, s0
	v_mov_b32_e32 v4, v6
	s_or_b32 exec_lo, exec_lo, s15
	s_and_saveexec_b32 s0, s14
	s_delay_alu instid0(SALU_CYCLE_1)
	s_xor_b32 s0, exec_lo, s0
	s_cbranch_execnz .LBB96_166
.LBB96_134:
	s_or_b32 exec_lo, exec_lo, s0
	s_branch .LBB96_102
.LBB96_135:
	s_and_b32 s0, s26, exec_lo
	v_mov_b32_e32 v5, v35
	s_cselect_b32 s1, 0, s35
	s_cselect_b32 s0, 0, s34
	s_delay_alu instid0(SALU_CYCLE_1)
	s_cmp_eq_u64 s[0:1], 0
	s_cbranch_scc1 .LBB96_137
; %bb.136:
	v_mov_b32_e32 v1, 0
	global_load_b32 v5, v1, s[0:1]
.LBB96_137:
	v_cmp_eq_u32_e64 s0, 0, v57
	v_cmp_eq_u32_e64 s1, 0, v56
	v_add3_u32 v2, v75, v62, v61
	v_cmp_eq_u32_e64 s2, 0, v64
	v_cmp_eq_u32_e64 s3, 0, v63
	v_cndmask_b32_e64 v1, v36, v76, s0
	v_cmp_eq_u32_e64 s4, 0, v62
	v_add3_u32 v2, v2, v60, v44
	v_cmp_eq_u32_e64 s5, 0, v61
	v_cmp_eq_u32_e64 s6, 0, v60
	v_dual_add_f32 v1, v33, v1 :: v_dual_and_b32 v4, 15, v72
	s_delay_alu instid0(VALU_DEP_4) | instskip(SKIP_2) | instid1(VALU_DEP_4)
	v_add3_u32 v2, v2, v46, v48
	v_cmp_eq_u32_e64 s7, 0, v44
	v_cmp_eq_u32_e64 s9, 0, v46
	v_cndmask_b32_e64 v1, v33, v1, s1
	v_cmp_eq_u32_e64 s11, 0, v48
	v_add3_u32 v2, v2, v50, v52
	v_cmp_eq_u32_e64 s8, 0, v50
	v_cmp_eq_u32_e64 s10, 0, v52
	v_add_f32_e32 v1, v34, v1
	v_cmp_eq_u32_e32 vcc_lo, 0, v54
	v_add3_u32 v2, v2, v54, v59
	v_cmp_eq_u32_e64 s12, 0, v59
	v_and_b32_e32 v7, 16, v72
	v_cndmask_b32_e64 v1, v34, v1, s2
	s_delay_alu instid0(VALU_DEP_4) | instskip(NEXT) | instid1(VALU_DEP_3)
	v_mov_b32_dpp v6, v2 row_shr:1 row_mask:0xf bank_mask:0xf
	v_cmp_eq_u32_e64 s13, 0, v7
	s_delay_alu instid0(VALU_DEP_3) | instskip(NEXT) | instid1(VALU_DEP_1)
	v_add_f32_e32 v1, v31, v1
	v_cndmask_b32_e64 v1, v31, v1, s3
	s_delay_alu instid0(VALU_DEP_1) | instskip(NEXT) | instid1(VALU_DEP_1)
	v_add_f32_e32 v1, v32, v1
	v_cndmask_b32_e64 v1, v32, v1, s4
	s_delay_alu instid0(VALU_DEP_1) | instskip(NEXT) | instid1(VALU_DEP_1)
	v_add_f32_e32 v1, v29, v1
	v_cndmask_b32_e64 v1, v29, v1, s5
	s_delay_alu instid0(VALU_DEP_1) | instskip(NEXT) | instid1(VALU_DEP_1)
	v_add_f32_e32 v1, v30, v1
	v_cndmask_b32_e64 v1, v30, v1, s6
	s_delay_alu instid0(VALU_DEP_1) | instskip(NEXT) | instid1(VALU_DEP_1)
	v_add_f32_e32 v1, v27, v1
	v_cndmask_b32_e64 v1, v27, v1, s7
	s_delay_alu instid0(VALU_DEP_1) | instskip(NEXT) | instid1(VALU_DEP_1)
	v_add_f32_e32 v1, v28, v1
	v_cndmask_b32_e64 v1, v28, v1, s9
	s_delay_alu instid0(VALU_DEP_1) | instskip(NEXT) | instid1(VALU_DEP_1)
	v_add_f32_e32 v1, v25, v1
	v_cndmask_b32_e64 v1, v25, v1, s11
	s_delay_alu instid0(VALU_DEP_1) | instskip(NEXT) | instid1(VALU_DEP_1)
	v_add_f32_e32 v1, v26, v1
	v_cndmask_b32_e64 v1, v26, v1, s8
	s_delay_alu instid0(VALU_DEP_1) | instskip(NEXT) | instid1(VALU_DEP_1)
	v_add_f32_e32 v1, v23, v1
	v_cndmask_b32_e64 v1, v23, v1, s10
	s_delay_alu instid0(VALU_DEP_1) | instskip(NEXT) | instid1(VALU_DEP_1)
	v_add_f32_e32 v1, v24, v1
	v_cndmask_b32_e32 v1, v24, v1, vcc_lo
	s_delay_alu instid0(VALU_DEP_1) | instskip(NEXT) | instid1(VALU_DEP_1)
	v_add_f32_e32 v1, v65, v1
	v_cndmask_b32_e64 v1, v65, v1, s12
	v_cmp_eq_u32_e64 s12, 0, v2
	s_delay_alu instid0(VALU_DEP_2) | instskip(NEXT) | instid1(VALU_DEP_1)
	v_mov_b32_dpp v3, v1 row_shr:1 row_mask:0xf bank_mask:0xf
	v_add_f32_e32 v3, v1, v3
	s_delay_alu instid0(VALU_DEP_1) | instskip(SKIP_1) | instid1(VALU_DEP_1)
	v_cndmask_b32_e64 v3, v1, v3, s12
	v_cmp_eq_u32_e64 s12, 0, v4
	v_cndmask_b32_e64 v6, v6, 0, s12
	s_delay_alu instid0(VALU_DEP_3) | instskip(NEXT) | instid1(VALU_DEP_2)
	v_cndmask_b32_e64 v1, v3, v1, s12
	v_add_nc_u32_e32 v2, v6, v2
	s_delay_alu instid0(VALU_DEP_2) | instskip(NEXT) | instid1(VALU_DEP_2)
	v_mov_b32_dpp v3, v1 row_shr:2 row_mask:0xf bank_mask:0xf
	v_cmp_eq_u32_e64 s12, 0, v2
	s_delay_alu instid0(VALU_DEP_2) | instskip(SKIP_1) | instid1(VALU_DEP_2)
	v_add_f32_e32 v3, v1, v3
	v_mov_b32_dpp v6, v2 row_shr:2 row_mask:0xf bank_mask:0xf
	v_cndmask_b32_e64 v3, v1, v3, s12
	v_cmp_lt_u32_e64 s12, 1, v4
	s_delay_alu instid0(VALU_DEP_1) | instskip(NEXT) | instid1(VALU_DEP_4)
	v_cndmask_b32_e64 v1, v1, v3, s12
	v_cndmask_b32_e64 v3, 0, v6, s12
	s_delay_alu instid0(VALU_DEP_2) | instskip(NEXT) | instid1(VALU_DEP_1)
	v_mov_b32_dpp v6, v1 row_shr:4 row_mask:0xf bank_mask:0xf
	v_dual_add_f32 v3, v1, v6 :: v_dual_add_nc_u32 v2, v2, v3
	s_delay_alu instid0(VALU_DEP_1) | instskip(SKIP_1) | instid1(VALU_DEP_2)
	v_cmp_eq_u32_e64 s12, 0, v2
	v_mov_b32_dpp v6, v2 row_shr:4 row_mask:0xf bank_mask:0xf
	v_cndmask_b32_e64 v3, v1, v3, s12
	v_cmp_lt_u32_e64 s12, 3, v4
	s_delay_alu instid0(VALU_DEP_1) | instskip(NEXT) | instid1(VALU_DEP_4)
	v_cndmask_b32_e64 v1, v1, v3, s12
	v_cndmask_b32_e64 v3, 0, v6, s12
	s_delay_alu instid0(VALU_DEP_2) | instskip(NEXT) | instid1(VALU_DEP_2)
	v_mov_b32_dpp v6, v1 row_shr:8 row_mask:0xf bank_mask:0xf
	v_add_nc_u32_e32 v2, v3, v2
	s_delay_alu instid0(VALU_DEP_2) | instskip(NEXT) | instid1(VALU_DEP_2)
	v_add_f32_e32 v3, v1, v6
	v_cmp_eq_u32_e64 s12, 0, v2
	v_mov_b32_dpp v6, v2 row_shr:8 row_mask:0xf bank_mask:0xf
	s_delay_alu instid0(VALU_DEP_2) | instskip(SKIP_1) | instid1(VALU_DEP_1)
	v_cndmask_b32_e64 v3, v1, v3, s12
	v_cmp_lt_u32_e64 s12, 7, v4
	v_cndmask_b32_e64 v3, v1, v3, s12
	s_delay_alu instid0(VALU_DEP_4) | instskip(SKIP_1) | instid1(VALU_DEP_2)
	v_cndmask_b32_e64 v1, 0, v6, s12
	v_bfe_i32 v6, v72, 4, 1
	v_add_nc_u32_e32 v1, v1, v2
	ds_swizzle_b32 v2, v3 offset:swizzle(BROADCAST,32,15)
	ds_swizzle_b32 v4, v1 offset:swizzle(BROADCAST,32,15)
	v_cmp_eq_u32_e64 s12, 0, v1
	s_waitcnt lgkmcnt(1)
	v_add_f32_e32 v2, v3, v2
	s_waitcnt lgkmcnt(0)
	v_and_b32_e32 v4, v6, v4
	s_delay_alu instid0(VALU_DEP_2) | instskip(NEXT) | instid1(VALU_DEP_2)
	v_cndmask_b32_e64 v2, v3, v2, s12
	v_add_nc_u32_e32 v1, v4, v1
	v_lshlrev_b32_e32 v4, 3, v73
	s_delay_alu instid0(VALU_DEP_3)
	v_cndmask_b32_e64 v2, v2, v3, s13
	s_mov_b32 s13, exec_lo
	v_cmpx_eq_u32_e64 v74, v0
	s_cbranch_execz .LBB96_139
; %bb.138:
	ds_store_b64 v4, v[1:2] offset:2064
.LBB96_139:
	s_or_b32 exec_lo, exec_lo, s13
	s_delay_alu instid0(SALU_CYCLE_1)
	s_mov_b32 s14, exec_lo
	s_waitcnt vmcnt(0) lgkmcnt(0)
	s_waitcnt_vscnt null, 0x0
	s_barrier
	buffer_gl0_inv
	v_cmpx_gt_u32_e32 8, v0
	s_cbranch_execz .LBB96_141
; %bb.140:
	v_lshlrev_b32_e32 v3, 3, v0
	v_and_b32_e32 v37, 7, v72
	ds_load_b64 v[6:7], v3 offset:2064
	s_waitcnt lgkmcnt(0)
	v_mov_b32_dpp v8, v7 row_shr:1 row_mask:0xf bank_mask:0xf
	v_cmp_eq_u32_e64 s12, 0, v6
	v_mov_b32_dpp v38, v6 row_shr:1 row_mask:0xf bank_mask:0xf
	s_delay_alu instid0(VALU_DEP_3) | instskip(NEXT) | instid1(VALU_DEP_1)
	v_add_f32_e32 v8, v7, v8
	v_cndmask_b32_e64 v8, v7, v8, s12
	v_cmp_eq_u32_e64 s12, 0, v37
	s_delay_alu instid0(VALU_DEP_1) | instskip(NEXT) | instid1(VALU_DEP_3)
	v_cndmask_b32_e64 v38, v38, 0, s12
	v_cndmask_b32_e64 v7, v8, v7, s12
	s_delay_alu instid0(VALU_DEP_2) | instskip(NEXT) | instid1(VALU_DEP_2)
	v_add_nc_u32_e32 v6, v38, v6
	v_mov_b32_dpp v8, v7 row_shr:2 row_mask:0xf bank_mask:0xf
	s_delay_alu instid0(VALU_DEP_2) | instskip(NEXT) | instid1(VALU_DEP_2)
	v_cmp_eq_u32_e64 s12, 0, v6
	v_add_f32_e32 v8, v7, v8
	v_mov_b32_dpp v38, v6 row_shr:2 row_mask:0xf bank_mask:0xf
	s_delay_alu instid0(VALU_DEP_2) | instskip(SKIP_1) | instid1(VALU_DEP_1)
	v_cndmask_b32_e64 v8, v7, v8, s12
	v_cmp_lt_u32_e64 s12, 1, v37
	v_cndmask_b32_e64 v7, v7, v8, s12
	s_delay_alu instid0(VALU_DEP_4) | instskip(SKIP_1) | instid1(VALU_DEP_3)
	v_cndmask_b32_e64 v8, 0, v38, s12
	v_cmp_lt_u32_e64 s12, 3, v37
	v_mov_b32_dpp v38, v7 row_shr:4 row_mask:0xf bank_mask:0xf
	s_delay_alu instid0(VALU_DEP_3) | instskip(NEXT) | instid1(VALU_DEP_2)
	v_add_nc_u32_e32 v6, v8, v6
	v_add_f32_e32 v37, v7, v38
	s_delay_alu instid0(VALU_DEP_2) | instskip(SKIP_1) | instid1(VALU_DEP_2)
	v_mov_b32_dpp v8, v6 row_shr:4 row_mask:0xf bank_mask:0xf
	v_cmp_eq_u32_e64 s13, 0, v6
	v_cndmask_b32_e64 v8, 0, v8, s12
	s_delay_alu instid0(VALU_DEP_2) | instskip(NEXT) | instid1(SALU_CYCLE_1)
	s_and_b32 s12, s12, s13
	v_cndmask_b32_e64 v7, v7, v37, s12
	s_delay_alu instid0(VALU_DEP_2)
	v_add_nc_u32_e32 v6, v8, v6
	ds_store_b64 v3, v[6:7] offset:2064
.LBB96_141:
	s_or_b32 exec_lo, exec_lo, s14
	v_dual_mov_b32 v6, 0 :: v_dual_mov_b32 v3, 0
	v_mov_b32_e32 v7, v5
	s_mov_b32 s13, exec_lo
	s_waitcnt lgkmcnt(0)
	s_barrier
	buffer_gl0_inv
	v_cmpx_lt_u32_e32 31, v0
	s_cbranch_execz .LBB96_143
; %bb.142:
	ds_load_b64 v[3:4], v4 offset:2056
	s_waitcnt lgkmcnt(0)
	v_add_f32_e32 v7, v5, v4
	v_cmp_eq_u32_e64 s12, 0, v3
	s_delay_alu instid0(VALU_DEP_1)
	v_cndmask_b32_e64 v7, v4, v7, s12
.LBB96_143:
	s_or_b32 exec_lo, exec_lo, s13
	v_add_nc_u32_e32 v4, -1, v72
	s_delay_alu instid0(VALU_DEP_2) | instskip(SKIP_2) | instid1(VALU_DEP_3)
	v_dual_add_f32 v8, v2, v7 :: v_dual_add_nc_u32 v37, v3, v1
	v_cmp_eq_u32_e64 s13, 0, v43
	s_mov_b32 s27, -1
	v_cmp_gt_i32_e64 s12, 0, v4
	s_delay_alu instid0(VALU_DEP_1) | instskip(SKIP_1) | instid1(VALU_DEP_2)
	v_cndmask_b32_e64 v4, v4, v72, s12
	v_cmp_eq_u32_e64 s12, 0, v1
	v_lshlrev_b32_e32 v4, 2, v4
	s_delay_alu instid0(VALU_DEP_2)
	v_cndmask_b32_e64 v1, v2, v8, s12
	v_cmp_eq_u32_e64 s12, 0, v72
	ds_bpermute_b32 v2, v4, v37
	ds_bpermute_b32 v1, v4, v1
	s_waitcnt lgkmcnt(1)
	v_cndmask_b32_e64 v4, v2, v3, s12
	s_waitcnt lgkmcnt(0)
	v_cndmask_b32_e64 v71, v1, v7, s12
	v_cmp_eq_u32_e64 s12, 0, v0
	s_delay_alu instid0(VALU_DEP_1) | instskip(NEXT) | instid1(VALU_DEP_1)
	v_cndmask_b32_e64 v1, v71, v5, s12
	v_add_f32_e32 v1, v35, v1
	s_delay_alu instid0(VALU_DEP_1) | instskip(NEXT) | instid1(VALU_DEP_1)
	v_cndmask_b32_e64 v70, v35, v1, s13
	v_add_f32_e32 v1, v36, v70
	;; [unrolled: 3-line block ×11, first 2 shown]
	s_delay_alu instid0(VALU_DEP_1) | instskip(SKIP_2) | instid1(VALU_DEP_1)
	v_cndmask_b32_e64 v41, v25, v1, s11
	ds_load_b64 v[1:2], v6 offset:2120
	v_add_f32_e32 v3, v26, v41
	v_cndmask_b32_e64 v42, v26, v3, s8
	s_delay_alu instid0(VALU_DEP_1) | instskip(NEXT) | instid1(VALU_DEP_1)
	v_add_f32_e32 v3, v23, v42
	v_cndmask_b32_e64 v40, v23, v3, s10
	s_waitcnt lgkmcnt(0)
	v_add_f32_e32 v3, v5, v2
	v_cmp_eq_u32_e64 s0, 0, v1
	s_delay_alu instid0(VALU_DEP_3) | instskip(NEXT) | instid1(VALU_DEP_2)
	v_add_f32_e32 v6, v24, v40
	v_cndmask_b32_e64 v39, v2, v3, s0
	s_and_saveexec_b32 s0, s12
	s_cbranch_execz .LBB96_145
; %bb.144:
	s_delay_alu instid0(VALU_DEP_1)
	v_and_b32_e32 v2, 0xff000000, v39
	v_dual_mov_b32 v4, 0 :: v_dual_and_b32 v3, 0xff0000, v39
	s_add_u32 s2, s24, 0x200
	v_and_b32_e32 v7, 0xff00, v39
	s_addc_u32 s3, s25, 0
	v_and_b32_e32 v8, 0xff, v39
	v_or_b32_e32 v2, v3, v2
	v_mov_b32_e32 v3, 2
	v_mov_b32_e32 v71, v5
	s_delay_alu instid0(VALU_DEP_3)
	v_or3_b32 v2, v2, v7, v8
	v_dual_mov_b32 v8, s3 :: v_dual_mov_b32 v7, s2
	;;#ASMSTART
	global_store_dwordx4 v[7:8], v[1:4] off	
s_waitcnt vmcnt(0)
	;;#ASMEND
.LBB96_145:
	s_or_b32 exec_lo, exec_lo, s0
	v_cndmask_b32_e32 v49, v24, v6, vcc_lo
	v_mov_b32_e32 v5, 0
	s_and_saveexec_b32 s0, s27
	s_cbranch_execz .LBB96_308
.LBB96_146:
	v_mov_b32_e32 v7, 0
	s_and_b32 s0, s26, exec_lo
	v_mov_b32_e32 v8, 0
	s_cselect_b32 s1, 0, s43
	s_cselect_b32 s0, 0, s42
	s_waitcnt lgkmcnt(0)
	s_waitcnt_vscnt null, 0x0
	s_cmp_eq_u64 s[0:1], 0
	s_barrier
	buffer_gl0_inv
	s_cbranch_scc1 .LBB96_148
; %bb.147:
	v_mov_b32_e32 v2, 0
	global_load_b64 v[7:8], v2, s[0:1]
.LBB96_148:
	v_cmp_eq_u32_e32 vcc_lo, 0, v43
	v_add_nc_u32_e32 v35, v4, v43
	v_cmp_ne_u32_e64 s12, 0, v43
	v_cmp_ne_u32_e64 s11, 0, v57
	;; [unrolled: 1-line block ×3, first 2 shown]
	v_cndmask_b32_e64 v2, 1, 2, vcc_lo
	v_cmp_eq_u32_e32 vcc_lo, 0, v57
	v_cmp_ne_u32_e64 s8, 0, v64
	v_cmp_ne_u32_e64 s14, 0, v63
	;; [unrolled: 1-line block ×4, first 2 shown]
	v_cndmask_b32_e64 v3, 1, 2, vcc_lo
	v_cmp_eq_u32_e32 vcc_lo, 0, v56
	v_cmp_ne_u32_e64 s7, 0, v60
	v_cmp_ne_u32_e64 s6, 0, v44
	;; [unrolled: 1-line block ×3, first 2 shown]
	v_and_b32_e32 v2, v3, v2
	v_cndmask_b32_e64 v6, 1, 2, vcc_lo
	v_cmp_eq_u32_e32 vcc_lo, 0, v64
	v_cmp_ne_u32_e64 s4, 0, v48
	v_cmp_ne_u32_e64 s3, 0, v50
	;; [unrolled: 1-line block ×3, first 2 shown]
	v_and_b32_e32 v6, v2, v6
	v_cndmask_b32_e64 v23, 1, 2, vcc_lo
	v_cmp_eq_u32_e32 vcc_lo, 0, v63
	s_waitcnt vmcnt(0)
	v_lshlrev_b64 v[2:3], 2, v[7:8]
	v_cmp_ne_u32_e64 s1, 0, v54
	v_cmp_ne_u32_e64 s0, 0, v59
	v_dual_mov_b32 v6, 0 :: v_dual_and_b32 v23, v6, v23
	v_cndmask_b32_e64 v24, 1, 2, vcc_lo
	v_cmp_eq_u32_e32 vcc_lo, 0, v62
	v_add_nc_u32_e32 v37, v35, v57
	s_mov_b32 s16, -1
	s_delay_alu instid0(VALU_DEP_3) | instskip(SKIP_3) | instid1(VALU_DEP_3)
	v_and_b32_e32 v23, v23, v24
	v_cndmask_b32_e64 v25, 1, 2, vcc_lo
	v_cmp_eq_u32_e32 vcc_lo, 0, v61
	v_add_nc_u32_e32 v36, v37, v56
	v_and_b32_e32 v23, v23, v25
	v_cndmask_b32_e64 v24, 1, 2, vcc_lo
	v_cmp_eq_u32_e32 vcc_lo, 0, v60
	s_delay_alu instid0(VALU_DEP_4) | instskip(NEXT) | instid1(VALU_DEP_3)
	v_add_nc_u32_e32 v34, v36, v64
	v_and_b32_e32 v23, v23, v24
	v_cndmask_b32_e64 v25, 1, 2, vcc_lo
	v_cmp_eq_u32_e32 vcc_lo, 0, v44
	s_delay_alu instid0(VALU_DEP_4) | instskip(NEXT) | instid1(VALU_DEP_3)
	;; [unrolled: 5-line block ×4, first 2 shown]
	v_add_nc_u32_e32 v31, v32, v61
	v_and_b32_e32 v25, v23, v25
	v_cndmask_b32_e64 v26, 1, 2, vcc_lo
	v_cmp_eq_u32_e32 vcc_lo, 0, v50
	s_delay_alu instid0(VALU_DEP_4) | instskip(SKIP_1) | instid1(VALU_DEP_4)
	v_add_nc_u32_e32 v30, v31, v60
	v_lshlrev_b64 v[23:24], 2, v[5:6]
	v_and_b32_e32 v6, v25, v26
	v_cndmask_b32_e64 v38, 1, 2, vcc_lo
	v_cmp_eq_u32_e32 vcc_lo, 0, v52
	v_add_nc_u32_e32 v29, v30, v44
	s_delay_alu instid0(VALU_DEP_3) | instskip(SKIP_4) | instid1(VALU_DEP_3)
	v_and_b32_e32 v74, v6, v38
	v_cndmask_b32_e64 v72, 1, 2, vcc_lo
	v_add_co_u32 v65, vcc_lo, s22, v2
	v_add_co_ci_u32_e32 v73, vcc_lo, s23, v3, vcc_lo
	v_add_nc_u32_e32 v28, v29, v46
	v_add_co_u32 v38, vcc_lo, v65, v23
	s_delay_alu instid0(VALU_DEP_3) | instskip(SKIP_1) | instid1(VALU_DEP_4)
	v_add_co_ci_u32_e32 v65, vcc_lo, v73, v24, vcc_lo
	v_cmp_eq_u32_e32 vcc_lo, 0, v54
	v_add_nc_u32_e32 v27, v28, v48
	v_and_b32_e32 v72, v74, v72
	v_cndmask_b32_e64 v73, 1, 2, vcc_lo
	v_cmp_eq_u32_e32 vcc_lo, 0, v59
	s_delay_alu instid0(VALU_DEP_4) | instskip(NEXT) | instid1(VALU_DEP_3)
	v_add_nc_u32_e32 v26, v27, v50
	v_and_b32_e32 v72, v72, v73
	v_cndmask_b32_e64 v73, 1, 2, vcc_lo
	s_delay_alu instid0(VALU_DEP_3) | instskip(SKIP_1) | instid1(VALU_DEP_3)
	v_add_nc_u32_e32 v25, v26, v52
	v_cmp_gt_u32_e32 vcc_lo, 0x100, v1
	v_and_b32_e32 v72, v72, v73
	s_delay_alu instid0(VALU_DEP_3) | instskip(NEXT) | instid1(VALU_DEP_2)
	v_add_nc_u32_e32 v6, v25, v54
	v_cmp_gt_i16_e64 s15, 2, v72
	s_cbranch_vccz .LBB96_188
; %bb.149:
	s_delay_alu instid0(VALU_DEP_1)
	s_and_saveexec_b32 s16, s15
	s_cbranch_execz .LBB96_187
; %bb.150:
	s_mov_b32 s17, 0
	s_mov_b32 s15, exec_lo
	v_cmpx_ne_u16_e32 1, v72
	s_xor_b32 s15, exec_lo, s15
	s_cbranch_execz .LBB96_168
; %bb.151:
	s_and_saveexec_b32 s17, s12
	s_cbranch_execz .LBB96_170
; %bb.152:
	v_sub_nc_u32_e32 v73, v4, v5
	v_mov_b32_e32 v74, 0
	s_delay_alu instid0(VALU_DEP_1) | instskip(NEXT) | instid1(VALU_DEP_1)
	v_lshlrev_b64 v[73:74], 2, v[73:74]
	v_add_co_u32 v73, vcc_lo, v38, v73
	s_delay_alu instid0(VALU_DEP_2)
	v_add_co_ci_u32_e32 v74, vcc_lo, v65, v74, vcc_lo
	global_store_b32 v[73:74], v21, off
	s_or_b32 exec_lo, exec_lo, s17
	s_and_saveexec_b32 s17, s11
	s_cbranch_execnz .LBB96_171
.LBB96_153:
	s_or_b32 exec_lo, exec_lo, s17
	s_and_saveexec_b32 s17, s9
	s_cbranch_execz .LBB96_172
.LBB96_154:
	v_sub_nc_u32_e32 v73, v37, v5
	v_mov_b32_e32 v74, 0
	s_delay_alu instid0(VALU_DEP_1) | instskip(NEXT) | instid1(VALU_DEP_1)
	v_lshlrev_b64 v[73:74], 2, v[73:74]
	v_add_co_u32 v73, vcc_lo, v38, v73
	s_delay_alu instid0(VALU_DEP_2)
	v_add_co_ci_u32_e32 v74, vcc_lo, v65, v74, vcc_lo
	global_store_b32 v[73:74], v19, off
	s_or_b32 exec_lo, exec_lo, s17
	s_and_saveexec_b32 s17, s8
	s_cbranch_execnz .LBB96_173
.LBB96_155:
	s_or_b32 exec_lo, exec_lo, s17
	s_and_saveexec_b32 s17, s14
	s_cbranch_execz .LBB96_174
.LBB96_156:
	v_sub_nc_u32_e32 v73, v34, v5
	v_mov_b32_e32 v74, 0
	s_delay_alu instid0(VALU_DEP_1) | instskip(NEXT) | instid1(VALU_DEP_1)
	v_lshlrev_b64 v[73:74], 2, v[73:74]
	v_add_co_u32 v73, vcc_lo, v38, v73
	s_delay_alu instid0(VALU_DEP_2)
	v_add_co_ci_u32_e32 v74, vcc_lo, v65, v74, vcc_lo
	global_store_b32 v[73:74], v17, off
	s_or_b32 exec_lo, exec_lo, s17
	s_and_saveexec_b32 s17, s13
	s_cbranch_execnz .LBB96_175
.LBB96_157:
	s_or_b32 exec_lo, exec_lo, s17
	s_and_saveexec_b32 s17, s10
	s_cbranch_execz .LBB96_176
.LBB96_158:
	v_sub_nc_u32_e32 v73, v32, v5
	v_mov_b32_e32 v74, 0
	s_delay_alu instid0(VALU_DEP_1) | instskip(NEXT) | instid1(VALU_DEP_1)
	v_lshlrev_b64 v[73:74], 2, v[73:74]
	v_add_co_u32 v73, vcc_lo, v38, v73
	s_delay_alu instid0(VALU_DEP_2)
	v_add_co_ci_u32_e32 v74, vcc_lo, v65, v74, vcc_lo
	global_store_b32 v[73:74], v15, off
	s_or_b32 exec_lo, exec_lo, s17
	s_and_saveexec_b32 s17, s7
	s_cbranch_execnz .LBB96_177
.LBB96_159:
	s_or_b32 exec_lo, exec_lo, s17
	s_and_saveexec_b32 s17, s6
	s_cbranch_execz .LBB96_178
.LBB96_160:
	v_sub_nc_u32_e32 v73, v30, v5
	v_mov_b32_e32 v74, 0
	s_delay_alu instid0(VALU_DEP_1) | instskip(NEXT) | instid1(VALU_DEP_1)
	v_lshlrev_b64 v[73:74], 2, v[73:74]
	v_add_co_u32 v73, vcc_lo, v38, v73
	s_delay_alu instid0(VALU_DEP_2)
	v_add_co_ci_u32_e32 v74, vcc_lo, v65, v74, vcc_lo
	global_store_b32 v[73:74], v13, off
	s_or_b32 exec_lo, exec_lo, s17
	s_and_saveexec_b32 s17, s5
	s_cbranch_execnz .LBB96_179
.LBB96_161:
	s_or_b32 exec_lo, exec_lo, s17
	s_and_saveexec_b32 s17, s4
	s_cbranch_execz .LBB96_180
.LBB96_162:
	v_sub_nc_u32_e32 v73, v28, v5
	v_mov_b32_e32 v74, 0
	s_delay_alu instid0(VALU_DEP_1) | instskip(NEXT) | instid1(VALU_DEP_1)
	v_lshlrev_b64 v[73:74], 2, v[73:74]
	v_add_co_u32 v73, vcc_lo, v38, v73
	s_delay_alu instid0(VALU_DEP_2)
	v_add_co_ci_u32_e32 v74, vcc_lo, v65, v74, vcc_lo
	global_store_b32 v[73:74], v11, off
	s_or_b32 exec_lo, exec_lo, s17
	s_and_saveexec_b32 s17, s3
	s_cbranch_execnz .LBB96_181
.LBB96_163:
	s_or_b32 exec_lo, exec_lo, s17
	s_and_saveexec_b32 s17, s2
	s_cbranch_execz .LBB96_182
.LBB96_164:
	v_sub_nc_u32_e32 v73, v26, v5
	v_mov_b32_e32 v74, 0
	s_delay_alu instid0(VALU_DEP_1) | instskip(NEXT) | instid1(VALU_DEP_1)
	v_lshlrev_b64 v[73:74], 2, v[73:74]
	v_add_co_u32 v73, vcc_lo, v38, v73
	s_delay_alu instid0(VALU_DEP_2)
	v_add_co_ci_u32_e32 v74, vcc_lo, v65, v74, vcc_lo
	global_store_b32 v[73:74], v9, off
	s_or_b32 exec_lo, exec_lo, s17
	s_and_saveexec_b32 s17, s1
	s_cbranch_execnz .LBB96_183
	s_branch .LBB96_184
.LBB96_165:
	s_or_b32 exec_lo, exec_lo, s15
	s_and_saveexec_b32 s0, s14
	s_delay_alu instid0(SALU_CYCLE_1)
	s_xor_b32 s0, exec_lo, s0
	s_cbranch_execz .LBB96_134
.LBB96_166:
	s_cbranch_execnz .LBB96_309
; %bb.167:
	; divergent unreachable
                                        ; implicit-def: $vgpr49
                                        ; implicit-def: $vgpr40
                                        ; implicit-def: $vgpr42
                                        ; implicit-def: $vgpr41
                                        ; implicit-def: $vgpr45
                                        ; implicit-def: $vgpr47
                                        ; implicit-def: $vgpr51
                                        ; implicit-def: $vgpr53
                                        ; implicit-def: $vgpr55
                                        ; implicit-def: $vgpr66
                                        ; implicit-def: $vgpr67
                                        ; implicit-def: $vgpr68
                                        ; implicit-def: $vgpr69
                                        ; implicit-def: $vgpr70
                                        ; implicit-def: $vgpr71
	s_or_b32 exec_lo, exec_lo, s0
	s_branch .LBB96_102
.LBB96_168:
	s_and_not1_saveexec_b32 s15, s15
	s_cbranch_execz .LBB96_185
.LBB96_169:
	v_sub_nc_u32_e32 v73, v4, v5
	v_mov_b32_e32 v74, 0
	s_or_b32 s17, s17, exec_lo
	s_delay_alu instid0(VALU_DEP_1) | instskip(SKIP_1) | instid1(VALU_DEP_1)
	v_lshlrev_b64 v[75:76], 2, v[73:74]
	v_sub_nc_u32_e32 v73, v35, v5
	v_lshlrev_b64 v[77:78], 2, v[73:74]
	v_sub_nc_u32_e32 v73, v37, v5
	s_delay_alu instid0(VALU_DEP_4) | instskip(SKIP_1) | instid1(VALU_DEP_3)
	v_add_co_u32 v75, vcc_lo, v38, v75
	v_add_co_ci_u32_e32 v76, vcc_lo, v65, v76, vcc_lo
	v_lshlrev_b64 v[79:80], 2, v[73:74]
	v_sub_nc_u32_e32 v73, v36, v5
	v_add_co_u32 v77, vcc_lo, v38, v77
	v_add_co_ci_u32_e32 v78, vcc_lo, v65, v78, vcc_lo
	global_store_b32 v[75:76], v21, off
	v_lshlrev_b64 v[75:76], 2, v[73:74]
	v_sub_nc_u32_e32 v73, v34, v5
	global_store_b32 v[77:78], v22, off
	v_add_co_u32 v77, vcc_lo, v38, v79
	v_add_co_ci_u32_e32 v78, vcc_lo, v65, v80, vcc_lo
	v_lshlrev_b64 v[79:80], 2, v[73:74]
	v_sub_nc_u32_e32 v73, v33, v5
	v_add_co_u32 v75, vcc_lo, v38, v75
	v_add_co_ci_u32_e32 v76, vcc_lo, v65, v76, vcc_lo
	s_delay_alu instid0(VALU_DEP_3) | instskip(SKIP_3) | instid1(VALU_DEP_3)
	v_lshlrev_b64 v[81:82], 2, v[73:74]
	v_sub_nc_u32_e32 v73, v32, v5
	v_add_co_u32 v79, vcc_lo, v38, v79
	v_add_co_ci_u32_e32 v80, vcc_lo, v65, v80, vcc_lo
	v_lshlrev_b64 v[83:84], 2, v[73:74]
	v_sub_nc_u32_e32 v73, v31, v5
	v_add_co_u32 v81, vcc_lo, v38, v81
	v_add_co_ci_u32_e32 v82, vcc_lo, v65, v82, vcc_lo
	s_clause 0x3
	global_store_b32 v[77:78], v19, off
	global_store_b32 v[75:76], v20, off
	global_store_b32 v[79:80], v17, off
	global_store_b32 v[81:82], v18, off
	v_lshlrev_b64 v[75:76], 2, v[73:74]
	v_sub_nc_u32_e32 v73, v30, v5
	v_add_co_u32 v77, vcc_lo, v38, v83
	v_add_co_ci_u32_e32 v78, vcc_lo, v65, v84, vcc_lo
	s_delay_alu instid0(VALU_DEP_3) | instskip(SKIP_3) | instid1(VALU_DEP_3)
	v_lshlrev_b64 v[79:80], 2, v[73:74]
	v_sub_nc_u32_e32 v73, v29, v5
	v_add_co_u32 v75, vcc_lo, v38, v75
	v_add_co_ci_u32_e32 v76, vcc_lo, v65, v76, vcc_lo
	v_lshlrev_b64 v[81:82], 2, v[73:74]
	v_sub_nc_u32_e32 v73, v28, v5
	v_add_co_u32 v79, vcc_lo, v38, v79
	v_add_co_ci_u32_e32 v80, vcc_lo, v65, v80, vcc_lo
	s_delay_alu instid0(VALU_DEP_3)
	v_lshlrev_b64 v[83:84], 2, v[73:74]
	v_sub_nc_u32_e32 v73, v27, v5
	v_add_co_u32 v81, vcc_lo, v38, v81
	v_add_co_ci_u32_e32 v82, vcc_lo, v65, v82, vcc_lo
	s_clause 0x3
	global_store_b32 v[77:78], v15, off
	global_store_b32 v[75:76], v16, off
	;; [unrolled: 1-line block ×4, first 2 shown]
	v_lshlrev_b64 v[75:76], 2, v[73:74]
	v_sub_nc_u32_e32 v73, v26, v5
	v_add_co_u32 v77, vcc_lo, v38, v83
	v_add_co_ci_u32_e32 v78, vcc_lo, v65, v84, vcc_lo
	s_delay_alu instid0(VALU_DEP_3) | instskip(SKIP_3) | instid1(VALU_DEP_3)
	v_lshlrev_b64 v[79:80], 2, v[73:74]
	v_sub_nc_u32_e32 v73, v25, v5
	v_add_co_u32 v75, vcc_lo, v38, v75
	v_add_co_ci_u32_e32 v76, vcc_lo, v65, v76, vcc_lo
	v_lshlrev_b64 v[73:74], 2, v[73:74]
	v_add_co_u32 v79, vcc_lo, v38, v79
	v_add_co_ci_u32_e32 v80, vcc_lo, v65, v80, vcc_lo
	s_clause 0x2
	global_store_b32 v[77:78], v11, off
	global_store_b32 v[75:76], v12, off
	;; [unrolled: 1-line block ×3, first 2 shown]
	v_add_co_u32 v73, vcc_lo, v38, v73
	v_add_co_ci_u32_e32 v74, vcc_lo, v65, v74, vcc_lo
	global_store_b32 v[73:74], v10, off
	s_or_b32 exec_lo, exec_lo, s15
	s_delay_alu instid0(SALU_CYCLE_1)
	s_and_b32 exec_lo, exec_lo, s17
	s_cbranch_execnz .LBB96_186
	s_branch .LBB96_187
.LBB96_170:
	s_or_b32 exec_lo, exec_lo, s17
	s_and_saveexec_b32 s17, s11
	s_cbranch_execz .LBB96_153
.LBB96_171:
	v_sub_nc_u32_e32 v73, v35, v5
	v_mov_b32_e32 v74, 0
	s_delay_alu instid0(VALU_DEP_1) | instskip(NEXT) | instid1(VALU_DEP_1)
	v_lshlrev_b64 v[73:74], 2, v[73:74]
	v_add_co_u32 v73, vcc_lo, v38, v73
	s_delay_alu instid0(VALU_DEP_2)
	v_add_co_ci_u32_e32 v74, vcc_lo, v65, v74, vcc_lo
	global_store_b32 v[73:74], v22, off
	s_or_b32 exec_lo, exec_lo, s17
	s_and_saveexec_b32 s17, s9
	s_cbranch_execnz .LBB96_154
.LBB96_172:
	s_or_b32 exec_lo, exec_lo, s17
	s_and_saveexec_b32 s17, s8
	s_cbranch_execz .LBB96_155
.LBB96_173:
	v_sub_nc_u32_e32 v73, v36, v5
	v_mov_b32_e32 v74, 0
	s_delay_alu instid0(VALU_DEP_1) | instskip(NEXT) | instid1(VALU_DEP_1)
	v_lshlrev_b64 v[73:74], 2, v[73:74]
	v_add_co_u32 v73, vcc_lo, v38, v73
	s_delay_alu instid0(VALU_DEP_2)
	v_add_co_ci_u32_e32 v74, vcc_lo, v65, v74, vcc_lo
	global_store_b32 v[73:74], v20, off
	s_or_b32 exec_lo, exec_lo, s17
	s_and_saveexec_b32 s17, s14
	s_cbranch_execnz .LBB96_156
.LBB96_174:
	s_or_b32 exec_lo, exec_lo, s17
	s_and_saveexec_b32 s17, s13
	s_cbranch_execz .LBB96_157
.LBB96_175:
	v_sub_nc_u32_e32 v73, v33, v5
	v_mov_b32_e32 v74, 0
	s_delay_alu instid0(VALU_DEP_1) | instskip(NEXT) | instid1(VALU_DEP_1)
	v_lshlrev_b64 v[73:74], 2, v[73:74]
	v_add_co_u32 v73, vcc_lo, v38, v73
	s_delay_alu instid0(VALU_DEP_2)
	v_add_co_ci_u32_e32 v74, vcc_lo, v65, v74, vcc_lo
	global_store_b32 v[73:74], v18, off
	s_or_b32 exec_lo, exec_lo, s17
	s_and_saveexec_b32 s17, s10
	s_cbranch_execnz .LBB96_158
.LBB96_176:
	s_or_b32 exec_lo, exec_lo, s17
	s_and_saveexec_b32 s17, s7
	s_cbranch_execz .LBB96_159
.LBB96_177:
	v_sub_nc_u32_e32 v73, v31, v5
	v_mov_b32_e32 v74, 0
	s_delay_alu instid0(VALU_DEP_1) | instskip(NEXT) | instid1(VALU_DEP_1)
	v_lshlrev_b64 v[73:74], 2, v[73:74]
	v_add_co_u32 v73, vcc_lo, v38, v73
	s_delay_alu instid0(VALU_DEP_2)
	v_add_co_ci_u32_e32 v74, vcc_lo, v65, v74, vcc_lo
	global_store_b32 v[73:74], v16, off
	s_or_b32 exec_lo, exec_lo, s17
	s_and_saveexec_b32 s17, s6
	s_cbranch_execnz .LBB96_160
.LBB96_178:
	s_or_b32 exec_lo, exec_lo, s17
	s_and_saveexec_b32 s17, s5
	s_cbranch_execz .LBB96_161
.LBB96_179:
	v_sub_nc_u32_e32 v73, v29, v5
	v_mov_b32_e32 v74, 0
	s_delay_alu instid0(VALU_DEP_1) | instskip(NEXT) | instid1(VALU_DEP_1)
	v_lshlrev_b64 v[73:74], 2, v[73:74]
	v_add_co_u32 v73, vcc_lo, v38, v73
	s_delay_alu instid0(VALU_DEP_2)
	v_add_co_ci_u32_e32 v74, vcc_lo, v65, v74, vcc_lo
	global_store_b32 v[73:74], v14, off
	s_or_b32 exec_lo, exec_lo, s17
	s_and_saveexec_b32 s17, s4
	s_cbranch_execnz .LBB96_162
.LBB96_180:
	s_or_b32 exec_lo, exec_lo, s17
	s_and_saveexec_b32 s17, s3
	s_cbranch_execz .LBB96_163
.LBB96_181:
	v_sub_nc_u32_e32 v73, v27, v5
	v_mov_b32_e32 v74, 0
	s_delay_alu instid0(VALU_DEP_1) | instskip(NEXT) | instid1(VALU_DEP_1)
	v_lshlrev_b64 v[73:74], 2, v[73:74]
	v_add_co_u32 v73, vcc_lo, v38, v73
	s_delay_alu instid0(VALU_DEP_2)
	v_add_co_ci_u32_e32 v74, vcc_lo, v65, v74, vcc_lo
	global_store_b32 v[73:74], v12, off
	s_or_b32 exec_lo, exec_lo, s17
	s_and_saveexec_b32 s17, s2
	s_cbranch_execnz .LBB96_164
.LBB96_182:
	s_or_b32 exec_lo, exec_lo, s17
	s_and_saveexec_b32 s17, s1
	s_cbranch_execz .LBB96_184
.LBB96_183:
	v_sub_nc_u32_e32 v73, v25, v5
	v_mov_b32_e32 v74, 0
	s_delay_alu instid0(VALU_DEP_1) | instskip(NEXT) | instid1(VALU_DEP_1)
	v_lshlrev_b64 v[73:74], 2, v[73:74]
	v_add_co_u32 v73, vcc_lo, v38, v73
	s_delay_alu instid0(VALU_DEP_2)
	v_add_co_ci_u32_e32 v74, vcc_lo, v65, v74, vcc_lo
	global_store_b32 v[73:74], v10, off
.LBB96_184:
	s_or_b32 exec_lo, exec_lo, s17
	s_delay_alu instid0(SALU_CYCLE_1)
	s_and_b32 s17, s0, exec_lo
	s_and_not1_saveexec_b32 s15, s15
	s_cbranch_execnz .LBB96_169
.LBB96_185:
	s_or_b32 exec_lo, exec_lo, s15
	s_delay_alu instid0(SALU_CYCLE_1)
	s_and_b32 exec_lo, exec_lo, s17
	s_cbranch_execz .LBB96_187
.LBB96_186:
	v_sub_nc_u32_e32 v73, v6, v5
	v_mov_b32_e32 v74, 0
	s_delay_alu instid0(VALU_DEP_1) | instskip(NEXT) | instid1(VALU_DEP_1)
	v_lshlrev_b64 v[73:74], 2, v[73:74]
	v_add_co_u32 v73, vcc_lo, v38, v73
	s_delay_alu instid0(VALU_DEP_2)
	v_add_co_ci_u32_e32 v74, vcc_lo, v65, v74, vcc_lo
	global_store_b32 v[73:74], v58, off
.LBB96_187:
	s_or_b32 exec_lo, exec_lo, s16
	s_mov_b32 s16, 0
.LBB96_188:
	s_delay_alu instid0(SALU_CYCLE_1)
	s_and_b32 vcc_lo, exec_lo, s16
	s_cbranch_vccz .LBB96_228
; %bb.189:
	s_mov_b32 s15, exec_lo
	v_cmpx_gt_i16_e32 2, v72
	s_cbranch_execz .LBB96_224
; %bb.190:
	s_mov_b32 s17, 0
	s_mov_b32 s16, exec_lo
	v_cmpx_ne_u16_e32 1, v72
	s_xor_b32 s16, exec_lo, s16
	s_cbranch_execz .LBB96_205
; %bb.191:
	s_and_saveexec_b32 s17, s12
	s_cbranch_execz .LBB96_207
; %bb.192:
	v_sub_nc_u32_e32 v72, v4, v5
	s_delay_alu instid0(VALU_DEP_1)
	v_lshlrev_b32_e32 v72, 2, v72
	ds_store_b32 v72, v21
	s_or_b32 exec_lo, exec_lo, s17
	s_and_saveexec_b32 s12, s11
	s_cbranch_execnz .LBB96_208
.LBB96_193:
	s_or_b32 exec_lo, exec_lo, s12
	s_and_saveexec_b32 s11, s9
	s_cbranch_execz .LBB96_209
.LBB96_194:
	v_sub_nc_u32_e32 v21, v37, v5
	s_delay_alu instid0(VALU_DEP_1)
	v_lshlrev_b32_e32 v21, 2, v21
	ds_store_b32 v21, v19
	s_or_b32 exec_lo, exec_lo, s11
	s_and_saveexec_b32 s9, s8
	s_cbranch_execnz .LBB96_210
.LBB96_195:
	s_or_b32 exec_lo, exec_lo, s9
	s_and_saveexec_b32 s8, s14
	s_cbranch_execz .LBB96_211
.LBB96_196:
	v_sub_nc_u32_e32 v19, v34, v5
	s_delay_alu instid0(VALU_DEP_1)
	v_lshlrev_b32_e32 v19, 2, v19
	ds_store_b32 v19, v17
	s_or_b32 exec_lo, exec_lo, s8
	s_and_saveexec_b32 s8, s13
	s_cbranch_execnz .LBB96_212
.LBB96_197:
	s_or_b32 exec_lo, exec_lo, s8
	s_and_saveexec_b32 s8, s10
	s_cbranch_execz .LBB96_213
.LBB96_198:
	v_sub_nc_u32_e32 v17, v32, v5
	s_delay_alu instid0(VALU_DEP_1)
	v_lshlrev_b32_e32 v17, 2, v17
	ds_store_b32 v17, v15
	s_or_b32 exec_lo, exec_lo, s8
	s_and_saveexec_b32 s8, s7
	s_cbranch_execnz .LBB96_214
.LBB96_199:
	s_or_b32 exec_lo, exec_lo, s8
	s_and_saveexec_b32 s7, s6
	s_cbranch_execz .LBB96_215
.LBB96_200:
	v_sub_nc_u32_e32 v15, v30, v5
	s_delay_alu instid0(VALU_DEP_1)
	v_lshlrev_b32_e32 v15, 2, v15
	ds_store_b32 v15, v13
	s_or_b32 exec_lo, exec_lo, s7
	s_and_saveexec_b32 s6, s5
	s_cbranch_execnz .LBB96_216
.LBB96_201:
	s_or_b32 exec_lo, exec_lo, s6
	s_and_saveexec_b32 s5, s4
	s_cbranch_execz .LBB96_217
.LBB96_202:
	v_sub_nc_u32_e32 v13, v28, v5
	s_delay_alu instid0(VALU_DEP_1)
	v_lshlrev_b32_e32 v13, 2, v13
	ds_store_b32 v13, v11
	s_or_b32 exec_lo, exec_lo, s5
	s_and_saveexec_b32 s4, s3
	s_cbranch_execnz .LBB96_218
.LBB96_203:
	s_or_b32 exec_lo, exec_lo, s4
	s_and_saveexec_b32 s3, s2
	s_cbranch_execz .LBB96_219
.LBB96_204:
	v_sub_nc_u32_e32 v11, v26, v5
	s_delay_alu instid0(VALU_DEP_1)
	v_lshlrev_b32_e32 v11, 2, v11
	ds_store_b32 v11, v9
	s_or_b32 exec_lo, exec_lo, s3
	s_and_saveexec_b32 s2, s1
	s_cbranch_execnz .LBB96_220
	s_branch .LBB96_221
.LBB96_205:
	s_and_not1_saveexec_b32 s0, s16
	s_cbranch_execz .LBB96_222
.LBB96_206:
	v_sub_nc_u32_e32 v72, v4, v5
	v_sub_nc_u32_e32 v75, v36, v5
	;; [unrolled: 1-line block ×4, first 2 shown]
	s_or_b32 s17, s17, exec_lo
	v_lshlrev_b32_e32 v72, 2, v72
	v_lshlrev_b32_e32 v75, 2, v75
	;; [unrolled: 1-line block ×4, first 2 shown]
	ds_store_b32 v72, v21
	ds_store_b32 v73, v22
	;; [unrolled: 1-line block ×3, first 2 shown]
	v_sub_nc_u32_e32 v19, v34, v5
	ds_store_b32 v75, v20
	v_sub_nc_u32_e32 v20, v33, v5
	v_sub_nc_u32_e32 v21, v32, v5
	;; [unrolled: 1-line block ×3, first 2 shown]
	v_lshlrev_b32_e32 v19, 2, v19
	v_sub_nc_u32_e32 v72, v30, v5
	v_lshlrev_b32_e32 v20, 2, v20
	v_lshlrev_b32_e32 v21, 2, v21
	;; [unrolled: 1-line block ×3, first 2 shown]
	ds_store_b32 v19, v17
	v_lshlrev_b32_e32 v17, 2, v72
	ds_store_b32 v20, v18
	ds_store_b32 v21, v15
	;; [unrolled: 1-line block ×3, first 2 shown]
	v_sub_nc_u32_e32 v15, v29, v5
	v_sub_nc_u32_e32 v18, v25, v5
	;; [unrolled: 1-line block ×3, first 2 shown]
	ds_store_b32 v17, v13
	v_sub_nc_u32_e32 v13, v28, v5
	v_lshlrev_b32_e32 v15, 2, v15
	v_sub_nc_u32_e32 v17, v26, v5
	v_lshlrev_b32_e32 v16, 2, v16
	s_delay_alu instid0(VALU_DEP_4)
	v_lshlrev_b32_e32 v13, 2, v13
	ds_store_b32 v15, v14
	v_lshlrev_b32_e32 v14, 2, v18
	v_lshlrev_b32_e32 v17, 2, v17
	ds_store_b32 v13, v11
	ds_store_b32 v16, v12
	;; [unrolled: 1-line block ×4, first 2 shown]
	s_or_b32 exec_lo, exec_lo, s0
	s_delay_alu instid0(SALU_CYCLE_1)
	s_and_b32 exec_lo, exec_lo, s17
	s_cbranch_execnz .LBB96_223
	s_branch .LBB96_224
.LBB96_207:
	s_or_b32 exec_lo, exec_lo, s17
	s_and_saveexec_b32 s12, s11
	s_cbranch_execz .LBB96_193
.LBB96_208:
	v_sub_nc_u32_e32 v21, v35, v5
	s_delay_alu instid0(VALU_DEP_1)
	v_lshlrev_b32_e32 v21, 2, v21
	ds_store_b32 v21, v22
	s_or_b32 exec_lo, exec_lo, s12
	s_and_saveexec_b32 s11, s9
	s_cbranch_execnz .LBB96_194
.LBB96_209:
	s_or_b32 exec_lo, exec_lo, s11
	s_and_saveexec_b32 s9, s8
	s_cbranch_execz .LBB96_195
.LBB96_210:
	v_sub_nc_u32_e32 v19, v36, v5
	s_delay_alu instid0(VALU_DEP_1)
	v_lshlrev_b32_e32 v19, 2, v19
	ds_store_b32 v19, v20
	s_or_b32 exec_lo, exec_lo, s9
	s_and_saveexec_b32 s8, s14
	s_cbranch_execnz .LBB96_196
.LBB96_211:
	s_or_b32 exec_lo, exec_lo, s8
	s_and_saveexec_b32 s8, s13
	s_cbranch_execz .LBB96_197
.LBB96_212:
	v_sub_nc_u32_e32 v17, v33, v5
	s_delay_alu instid0(VALU_DEP_1)
	v_lshlrev_b32_e32 v17, 2, v17
	ds_store_b32 v17, v18
	s_or_b32 exec_lo, exec_lo, s8
	s_and_saveexec_b32 s8, s10
	s_cbranch_execnz .LBB96_198
.LBB96_213:
	s_or_b32 exec_lo, exec_lo, s8
	s_and_saveexec_b32 s8, s7
	s_cbranch_execz .LBB96_199
.LBB96_214:
	v_sub_nc_u32_e32 v15, v31, v5
	s_delay_alu instid0(VALU_DEP_1)
	v_lshlrev_b32_e32 v15, 2, v15
	ds_store_b32 v15, v16
	s_or_b32 exec_lo, exec_lo, s8
	s_and_saveexec_b32 s7, s6
	s_cbranch_execnz .LBB96_200
.LBB96_215:
	s_or_b32 exec_lo, exec_lo, s7
	s_and_saveexec_b32 s6, s5
	s_cbranch_execz .LBB96_201
.LBB96_216:
	v_sub_nc_u32_e32 v13, v29, v5
	s_delay_alu instid0(VALU_DEP_1)
	v_lshlrev_b32_e32 v13, 2, v13
	ds_store_b32 v13, v14
	s_or_b32 exec_lo, exec_lo, s6
	s_and_saveexec_b32 s5, s4
	s_cbranch_execnz .LBB96_202
.LBB96_217:
	s_or_b32 exec_lo, exec_lo, s5
	s_and_saveexec_b32 s4, s3
	s_cbranch_execz .LBB96_203
.LBB96_218:
	v_sub_nc_u32_e32 v11, v27, v5
	s_delay_alu instid0(VALU_DEP_1)
	v_lshlrev_b32_e32 v11, 2, v11
	ds_store_b32 v11, v12
	s_or_b32 exec_lo, exec_lo, s4
	s_and_saveexec_b32 s3, s2
	s_cbranch_execnz .LBB96_204
.LBB96_219:
	s_or_b32 exec_lo, exec_lo, s3
	s_and_saveexec_b32 s2, s1
	s_cbranch_execz .LBB96_221
.LBB96_220:
	v_sub_nc_u32_e32 v9, v25, v5
	s_delay_alu instid0(VALU_DEP_1)
	v_lshlrev_b32_e32 v9, 2, v9
	ds_store_b32 v9, v10
.LBB96_221:
	s_or_b32 exec_lo, exec_lo, s2
	s_delay_alu instid0(SALU_CYCLE_1)
	s_and_b32 s17, s0, exec_lo
                                        ; implicit-def: $vgpr21
                                        ; implicit-def: $vgpr19
                                        ; implicit-def: $vgpr17
                                        ; implicit-def: $vgpr15
                                        ; implicit-def: $vgpr13
                                        ; implicit-def: $vgpr11
                                        ; implicit-def: $vgpr9
	s_and_not1_saveexec_b32 s0, s16
	s_cbranch_execnz .LBB96_206
.LBB96_222:
	s_or_b32 exec_lo, exec_lo, s0
	s_delay_alu instid0(SALU_CYCLE_1)
	s_and_b32 exec_lo, exec_lo, s17
	s_cbranch_execz .LBB96_224
.LBB96_223:
	v_sub_nc_u32_e32 v9, v6, v5
	s_delay_alu instid0(VALU_DEP_1)
	v_lshlrev_b32_e32 v9, 2, v9
	ds_store_b32 v9, v58
.LBB96_224:
	s_or_b32 exec_lo, exec_lo, s15
	s_delay_alu instid0(SALU_CYCLE_1)
	s_mov_b32 s1, exec_lo
	s_waitcnt lgkmcnt(0)
	s_waitcnt_vscnt null, 0x0
	s_barrier
	buffer_gl0_inv
	v_cmpx_lt_u32_e64 v0, v1
	s_cbranch_execz .LBB96_227
; %bb.225:
	v_dual_mov_b32 v10, 0 :: v_dual_lshlrev_b32 v11, 2, v0
	v_mov_b32_e32 v9, v0
	s_mov_b32 s2, 0
	.p2align	6
.LBB96_226:                             ; =>This Inner Loop Header: Depth=1
	ds_load_b32 v14, v11
	v_lshlrev_b64 v[12:13], 2, v[9:10]
	v_add_nc_u32_e32 v9, 0x100, v9
	v_add_nc_u32_e32 v11, 0x400, v11
	s_delay_alu instid0(VALU_DEP_2) | instskip(NEXT) | instid1(VALU_DEP_4)
	v_cmp_ge_u32_e32 vcc_lo, v9, v1
	v_add_co_u32 v12, s0, v38, v12
	s_delay_alu instid0(VALU_DEP_1)
	v_add_co_ci_u32_e64 v13, s0, v65, v13, s0
	s_or_b32 s2, vcc_lo, s2
	s_waitcnt lgkmcnt(0)
	global_store_b32 v[12:13], v14, off
	s_and_not1_b32 exec_lo, exec_lo, s2
	s_cbranch_execnz .LBB96_226
.LBB96_227:
	s_or_b32 exec_lo, exec_lo, s1
.LBB96_228:
	s_cmpk_lg_i32 s21, 0xf00
	v_cmp_eq_u32_e32 vcc_lo, 0, v0
	s_cselect_b32 s0, -1, 0
	v_cndmask_b32_e64 v14, 0, 1, s28
	s_and_b32 s0, s20, s0
	v_mad_i32_i24 v11, v0, -15, s21
	v_cndmask_b32_e64 v10, 0, 1, s0
	s_mul_hi_u32 s0, s21, 0x88888889
	s_and_b32 s1, vcc_lo, s28
	s_lshr_b32 s0, s0, 3
	v_sub_nc_u32_e32 v9, v1, v14
	v_cndmask_b32_e64 v12, v43, 0, s1
	v_cmp_eq_u32_e32 vcc_lo, s0, v0
	v_cmp_ne_u32_e64 s0, 0, v11
	s_mov_b32 s16, -1
	s_waitcnt_vscnt null, 0x0
	s_barrier
	s_and_b32 vcc_lo, s20, vcc_lo
	v_add_nc_u32_e32 v9, v9, v10
	v_cndmask_b32_e64 v10, 1, v12, s0
	v_cmp_ne_u32_e64 s0, 1, v11
	buffer_gl0_inv
	v_cndmask_b32_e32 v18, v12, v10, vcc_lo
	v_cndmask_b32_e64 v13, 1, v57, s0
	v_cmp_ne_u32_e64 s0, 14, v11
	s_delay_alu instid0(VALU_DEP_3) | instskip(NEXT) | instid1(VALU_DEP_2)
	v_cmp_ne_u32_e64 s14, 0, v18
	v_cndmask_b32_e64 v15, 1, v59, s0
	v_cmp_ne_u32_e64 s0, 2, v11
	s_delay_alu instid0(VALU_DEP_2) | instskip(NEXT) | instid1(VALU_DEP_2)
	v_cndmask_b32_e32 v15, v59, v15, vcc_lo
	v_cndmask_b32_e64 v16, 1, v56, s0
	v_cmp_ne_u32_e64 s0, 3, v11
	s_delay_alu instid0(VALU_DEP_2) | instskip(NEXT) | instid1(VALU_DEP_2)
	v_cndmask_b32_e32 v16, v56, v16, vcc_lo
	v_cndmask_b32_e64 v17, 1, v64, s0
	v_cmp_ne_u32_e64 s0, 4, v11
	s_delay_alu instid0(VALU_DEP_3) | instskip(NEXT) | instid1(VALU_DEP_2)
	v_cmp_ne_u32_e64 s12, 0, v16
	v_cndmask_b32_e64 v10, 1, v63, s0
	v_cmp_ne_u32_e64 s0, 5, v11
	s_delay_alu instid0(VALU_DEP_1) | instskip(SKIP_2) | instid1(VALU_DEP_3)
	v_cndmask_b32_e64 v12, 1, v62, s0
	v_cndmask_b32_e32 v19, v57, v13, vcc_lo
	v_cmp_eq_u32_e64 s0, 0, v18
	v_cndmask_b32_e32 v56, v62, v12, vcc_lo
	s_delay_alu instid0(VALU_DEP_3) | instskip(NEXT) | instid1(VALU_DEP_3)
	v_cmp_ne_u32_e64 s13, 0, v19
	v_cndmask_b32_e64 v13, 1, 2, s0
	v_cmp_eq_u32_e64 s0, 0, v19
	s_delay_alu instid0(VALU_DEP_4) | instskip(NEXT) | instid1(VALU_DEP_2)
	v_cmp_ne_u32_e64 s9, 0, v56
	v_cndmask_b32_e64 v20, 1, 2, s0
	v_cmp_ne_u32_e64 s0, 6, v11
	s_delay_alu instid0(VALU_DEP_2) | instskip(NEXT) | instid1(VALU_DEP_2)
	v_and_b32_e32 v13, v20, v13
	v_cndmask_b32_e64 v21, 1, v61, s0
	v_cmp_eq_u32_e64 s0, 0, v16
	s_delay_alu instid0(VALU_DEP_1) | instskip(SKIP_1) | instid1(VALU_DEP_1)
	v_cndmask_b32_e64 v20, 1, 2, s0
	v_cmp_ne_u32_e64 s0, 7, v11
	v_cndmask_b32_e64 v22, 1, v60, s0
	v_cmp_ne_u32_e64 s0, 8, v11
	s_delay_alu instid0(VALU_DEP_2) | instskip(SKIP_1) | instid1(VALU_DEP_3)
	v_dual_cndmask_b32 v22, v60, v22 :: v_dual_and_b32 v13, v13, v20
	v_cndmask_b32_e32 v17, v64, v17, vcc_lo
	v_cndmask_b32_e64 v38, 1, v44, s0
	v_cndmask_b32_e32 v21, v61, v21, vcc_lo
	s_delay_alu instid0(VALU_DEP_4) | instskip(NEXT) | instid1(VALU_DEP_4)
	v_cmp_ne_u32_e64 s7, 0, v22
	v_cmp_eq_u32_e64 s0, 0, v17
	s_delay_alu instid0(VALU_DEP_4) | instskip(NEXT) | instid1(VALU_DEP_4)
	v_cndmask_b32_e32 v38, v44, v38, vcc_lo
	v_cmp_ne_u32_e64 s8, 0, v21
	s_delay_alu instid0(VALU_DEP_3) | instskip(SKIP_1) | instid1(VALU_DEP_4)
	v_cndmask_b32_e64 v20, 1, 2, s0
	v_cmp_ne_u32_e64 s0, 9, v11
	v_cmp_ne_u32_e64 s6, 0, v38
	s_delay_alu instid0(VALU_DEP_3) | instskip(NEXT) | instid1(VALU_DEP_3)
	v_dual_cndmask_b32 v43, v63, v10 :: v_dual_and_b32 v12, v13, v20
	v_cndmask_b32_e64 v10, 1, v46, s0
	v_cmp_ne_u32_e64 s11, 0, v17
	s_delay_alu instid0(VALU_DEP_3) | instskip(NEXT) | instid1(VALU_DEP_3)
	v_cmp_eq_u32_e64 s0, 0, v43
	v_cndmask_b32_e32 v46, v46, v10, vcc_lo
	s_delay_alu instid0(VALU_DEP_2) | instskip(SKIP_1) | instid1(VALU_DEP_3)
	v_cndmask_b32_e64 v13, 1, 2, s0
	v_cmp_ne_u32_e64 s0, 10, v11
	v_cmp_ne_u32_e64 s5, 0, v46
	s_delay_alu instid0(VALU_DEP_3) | instskip(NEXT) | instid1(VALU_DEP_3)
	v_and_b32_e32 v12, v12, v13
	v_cndmask_b32_e64 v20, 1, v48, s0
	v_cmp_ne_u32_e64 s0, 12, v11
	v_cmp_ne_u32_e64 s10, 0, v43
	s_delay_alu instid0(VALU_DEP_3) | instskip(NEXT) | instid1(VALU_DEP_3)
	v_cndmask_b32_e32 v20, v48, v20, vcc_lo
	v_cndmask_b32_e64 v57, 1, v52, s0
	v_cmp_eq_u32_e64 s0, 0, v56
	s_delay_alu instid0(VALU_DEP_2) | instskip(NEXT) | instid1(VALU_DEP_2)
	v_cndmask_b32_e32 v52, v52, v57, vcc_lo
	v_cndmask_b32_e64 v13, 1, 2, s0
	v_cmp_ne_u32_e64 s0, 13, v11
	s_delay_alu instid0(VALU_DEP_2) | instskip(NEXT) | instid1(VALU_DEP_2)
	v_and_b32_e32 v12, v12, v13
	v_cndmask_b32_e64 v58, 1, v54, s0
	v_cmp_eq_u32_e64 s0, 0, v21
	s_delay_alu instid0(VALU_DEP_2) | instskip(NEXT) | instid1(VALU_DEP_2)
	v_cndmask_b32_e32 v54, v54, v58, vcc_lo
	v_cndmask_b32_e64 v13, 1, 2, s0
	v_cmp_ne_u32_e64 s0, 11, v11
	s_delay_alu instid0(VALU_DEP_3) | instskip(NEXT) | instid1(VALU_DEP_3)
	v_cmp_ne_u32_e64 s1, 0, v54
	v_and_b32_e32 v12, v12, v13
	s_delay_alu instid0(VALU_DEP_3) | instskip(SKIP_1) | instid1(VALU_DEP_2)
	v_cndmask_b32_e64 v11, 1, v50, s0
	v_cmp_eq_u32_e64 s0, 0, v22
	v_cndmask_b32_e32 v44, v50, v11, vcc_lo
	v_cmp_eq_u32_e32 vcc_lo, 0, v38
	s_delay_alu instid0(VALU_DEP_3)
	v_cndmask_b32_e64 v13, 1, 2, s0
	v_cmp_ne_u32_e64 s0, 0, v15
	v_cndmask_b32_e64 v11, 1, 2, vcc_lo
	v_add_co_u32 v2, vcc_lo, s36, v2
	v_add_co_ci_u32_e32 v3, vcc_lo, s37, v3, vcc_lo
	v_and_b32_e32 v10, v12, v13
	v_cmp_eq_u32_e32 vcc_lo, 0, v46
	s_delay_alu instid0(VALU_DEP_2) | instskip(SKIP_3) | instid1(VALU_DEP_3)
	v_and_b32_e32 v12, v10, v11
	v_cndmask_b32_e64 v13, 1, 2, vcc_lo
	v_add_co_u32 v10, vcc_lo, v2, v23
	v_add_co_ci_u32_e32 v11, vcc_lo, v3, v24, vcc_lo
	v_and_b32_e32 v3, v12, v13
	v_lshlrev_b32_e32 v2, 2, v14
	v_cmp_eq_u32_e32 vcc_lo, 0, v20
	v_cmp_ne_u32_e64 s3, 0, v44
	v_cndmask_b32_e64 v12, 1, 2, vcc_lo
	s_delay_alu instid0(VALU_DEP_4) | instskip(SKIP_2) | instid1(VALU_DEP_4)
	v_add_co_u32 v2, vcc_lo, v2, v10
	v_add_co_ci_u32_e32 v13, vcc_lo, 0, v11, vcc_lo
	v_cmp_eq_u32_e32 vcc_lo, 0, v44
	v_and_b32_e32 v3, v3, v12
	v_cmp_ne_u32_e64 s2, 0, v52
	v_cndmask_b32_e64 v23, 1, 2, vcc_lo
	v_add_co_u32 v12, vcc_lo, v2, -4
	v_add_co_ci_u32_e32 v13, vcc_lo, -1, v13, vcc_lo
	v_cmp_eq_u32_e32 vcc_lo, 0, v52
	v_add_nc_u32_e32 v2, v5, v14
	v_and_b32_e32 v3, v3, v23
	v_cmp_ne_u32_e64 s4, 0, v20
	v_cndmask_b32_e64 v14, 1, 2, vcc_lo
	v_cmp_eq_u32_e32 vcc_lo, 0, v54
	s_delay_alu instid0(VALU_DEP_2) | instskip(SKIP_2) | instid1(VALU_DEP_2)
	v_and_b32_e32 v3, v3, v14
	v_cndmask_b32_e64 v14, 1, 2, vcc_lo
	v_cmp_eq_u32_e32 vcc_lo, 0, v15
	v_and_b32_e32 v3, v3, v14
	v_cndmask_b32_e64 v14, 1, 2, vcc_lo
	v_cmp_gt_u32_e32 vcc_lo, 0x100, v9
	s_delay_alu instid0(VALU_DEP_2) | instskip(NEXT) | instid1(VALU_DEP_1)
	v_and_b32_e32 v3, v3, v14
	v_cmp_gt_i16_e64 s15, 2, v3
	s_cbranch_vccz .LBB96_245
; %bb.229:
	s_delay_alu instid0(VALU_DEP_1)
	s_and_saveexec_b32 s16, s15
	s_cbranch_execz .LBB96_283
; %bb.230:
	s_mov_b32 s17, 0
	s_mov_b32 s15, exec_lo
	v_cmpx_ne_u16_e32 1, v3
	s_xor_b32 s15, exec_lo, s15
	s_cbranch_execz .LBB96_262
; %bb.231:
	s_and_saveexec_b32 s17, s14
	s_cbranch_execz .LBB96_266
; %bb.232:
	v_sub_nc_u32_e32 v14, v4, v2
	v_mov_b32_e32 v15, 0
	s_delay_alu instid0(VALU_DEP_1) | instskip(NEXT) | instid1(VALU_DEP_1)
	v_lshlrev_b64 v[14:15], 2, v[14:15]
	v_add_co_u32 v14, vcc_lo, v12, v14
	s_delay_alu instid0(VALU_DEP_2)
	v_add_co_ci_u32_e32 v15, vcc_lo, v13, v15, vcc_lo
	global_store_b32 v[14:15], v71, off
	s_or_b32 exec_lo, exec_lo, s17
	s_and_saveexec_b32 s17, s13
	s_cbranch_execnz .LBB96_267
.LBB96_233:
	s_or_b32 exec_lo, exec_lo, s17
	s_and_saveexec_b32 s17, s12
	s_cbranch_execz .LBB96_268
.LBB96_234:
	v_sub_nc_u32_e32 v14, v37, v2
	v_mov_b32_e32 v15, 0
	s_delay_alu instid0(VALU_DEP_1) | instskip(NEXT) | instid1(VALU_DEP_1)
	v_lshlrev_b64 v[14:15], 2, v[14:15]
	v_add_co_u32 v14, vcc_lo, v12, v14
	s_delay_alu instid0(VALU_DEP_2)
	v_add_co_ci_u32_e32 v15, vcc_lo, v13, v15, vcc_lo
	global_store_b32 v[14:15], v69, off
	s_or_b32 exec_lo, exec_lo, s17
	s_and_saveexec_b32 s17, s11
	s_cbranch_execnz .LBB96_269
.LBB96_235:
	s_or_b32 exec_lo, exec_lo, s17
	s_and_saveexec_b32 s17, s10
	s_cbranch_execz .LBB96_270
.LBB96_236:
	v_sub_nc_u32_e32 v14, v34, v2
	v_mov_b32_e32 v15, 0
	s_delay_alu instid0(VALU_DEP_1) | instskip(NEXT) | instid1(VALU_DEP_1)
	v_lshlrev_b64 v[14:15], 2, v[14:15]
	v_add_co_u32 v14, vcc_lo, v12, v14
	s_delay_alu instid0(VALU_DEP_2)
	v_add_co_ci_u32_e32 v15, vcc_lo, v13, v15, vcc_lo
	global_store_b32 v[14:15], v67, off
	s_or_b32 exec_lo, exec_lo, s17
	s_and_saveexec_b32 s17, s9
	s_cbranch_execnz .LBB96_271
.LBB96_237:
	s_or_b32 exec_lo, exec_lo, s17
	s_and_saveexec_b32 s17, s8
	s_cbranch_execz .LBB96_272
.LBB96_238:
	v_sub_nc_u32_e32 v14, v32, v2
	v_mov_b32_e32 v15, 0
	s_delay_alu instid0(VALU_DEP_1) | instskip(NEXT) | instid1(VALU_DEP_1)
	v_lshlrev_b64 v[14:15], 2, v[14:15]
	v_add_co_u32 v14, vcc_lo, v12, v14
	s_delay_alu instid0(VALU_DEP_2)
	v_add_co_ci_u32_e32 v15, vcc_lo, v13, v15, vcc_lo
	global_store_b32 v[14:15], v55, off
	s_or_b32 exec_lo, exec_lo, s17
	s_and_saveexec_b32 s17, s7
	s_cbranch_execnz .LBB96_273
.LBB96_239:
	s_or_b32 exec_lo, exec_lo, s17
	s_and_saveexec_b32 s17, s6
	s_cbranch_execz .LBB96_274
.LBB96_240:
	v_sub_nc_u32_e32 v14, v30, v2
	v_mov_b32_e32 v15, 0
	s_delay_alu instid0(VALU_DEP_1) | instskip(NEXT) | instid1(VALU_DEP_1)
	v_lshlrev_b64 v[14:15], 2, v[14:15]
	v_add_co_u32 v14, vcc_lo, v12, v14
	s_delay_alu instid0(VALU_DEP_2)
	v_add_co_ci_u32_e32 v15, vcc_lo, v13, v15, vcc_lo
	global_store_b32 v[14:15], v51, off
	s_or_b32 exec_lo, exec_lo, s17
	s_and_saveexec_b32 s17, s5
	s_cbranch_execnz .LBB96_275
.LBB96_241:
	s_or_b32 exec_lo, exec_lo, s17
	s_and_saveexec_b32 s17, s4
	s_cbranch_execz .LBB96_276
.LBB96_242:
	v_sub_nc_u32_e32 v14, v28, v2
	v_mov_b32_e32 v15, 0
	s_delay_alu instid0(VALU_DEP_1) | instskip(NEXT) | instid1(VALU_DEP_1)
	v_lshlrev_b64 v[14:15], 2, v[14:15]
	v_add_co_u32 v14, vcc_lo, v12, v14
	s_delay_alu instid0(VALU_DEP_2)
	v_add_co_ci_u32_e32 v15, vcc_lo, v13, v15, vcc_lo
	global_store_b32 v[14:15], v45, off
	s_or_b32 exec_lo, exec_lo, s17
	s_and_saveexec_b32 s17, s3
	s_cbranch_execnz .LBB96_277
.LBB96_243:
	s_or_b32 exec_lo, exec_lo, s17
	s_and_saveexec_b32 s17, s2
	s_cbranch_execz .LBB96_278
.LBB96_244:
	v_sub_nc_u32_e32 v14, v26, v2
	v_mov_b32_e32 v15, 0
	s_delay_alu instid0(VALU_DEP_1) | instskip(NEXT) | instid1(VALU_DEP_1)
	v_lshlrev_b64 v[14:15], 2, v[14:15]
	v_add_co_u32 v14, vcc_lo, v12, v14
	s_delay_alu instid0(VALU_DEP_2)
	v_add_co_ci_u32_e32 v15, vcc_lo, v13, v15, vcc_lo
	global_store_b32 v[14:15], v42, off
	s_or_b32 exec_lo, exec_lo, s17
	s_and_saveexec_b32 s17, s1
	s_cbranch_execnz .LBB96_279
	s_branch .LBB96_280
.LBB96_245:
	s_and_b32 vcc_lo, exec_lo, s16
	s_cbranch_vccz .LBB96_284
; %bb.246:
	s_mov_b32 s15, exec_lo
	v_cmpx_gt_i16_e32 2, v3
	s_cbranch_execz .LBB96_302
; %bb.247:
	s_mov_b32 s17, 0
	s_mov_b32 s16, exec_lo
	v_cmpx_ne_u16_e32 1, v3
	s_xor_b32 s16, exec_lo, s16
	s_cbranch_execz .LBB96_264
; %bb.248:
	s_and_saveexec_b32 s17, s14
	s_cbranch_execz .LBB96_285
; %bb.249:
	v_sub_nc_u32_e32 v3, v4, v2
	s_delay_alu instid0(VALU_DEP_1)
	v_lshlrev_b32_e32 v3, 2, v3
	ds_store_b32 v3, v71
	s_or_b32 exec_lo, exec_lo, s17
	s_and_saveexec_b32 s14, s13
	s_cbranch_execnz .LBB96_286
.LBB96_250:
	s_or_b32 exec_lo, exec_lo, s14
	s_and_saveexec_b32 s13, s12
	s_cbranch_execz .LBB96_287
.LBB96_251:
	v_sub_nc_u32_e32 v3, v37, v2
	s_delay_alu instid0(VALU_DEP_1)
	v_lshlrev_b32_e32 v3, 2, v3
	ds_store_b32 v3, v69
	s_or_b32 exec_lo, exec_lo, s13
	s_and_saveexec_b32 s12, s11
	s_cbranch_execnz .LBB96_288
.LBB96_252:
	s_or_b32 exec_lo, exec_lo, s12
	s_and_saveexec_b32 s11, s10
	s_cbranch_execz .LBB96_289
.LBB96_253:
	v_sub_nc_u32_e32 v3, v34, v2
	s_delay_alu instid0(VALU_DEP_1)
	v_lshlrev_b32_e32 v3, 2, v3
	ds_store_b32 v3, v67
	s_or_b32 exec_lo, exec_lo, s11
	s_and_saveexec_b32 s10, s9
	s_cbranch_execnz .LBB96_290
.LBB96_254:
	s_or_b32 exec_lo, exec_lo, s10
	s_and_saveexec_b32 s9, s8
	s_cbranch_execz .LBB96_291
.LBB96_255:
	v_sub_nc_u32_e32 v3, v32, v2
	s_delay_alu instid0(VALU_DEP_1)
	v_lshlrev_b32_e32 v3, 2, v3
	ds_store_b32 v3, v55
	s_or_b32 exec_lo, exec_lo, s9
	s_and_saveexec_b32 s8, s7
	s_cbranch_execnz .LBB96_292
.LBB96_256:
	s_or_b32 exec_lo, exec_lo, s8
	s_and_saveexec_b32 s7, s6
	s_cbranch_execz .LBB96_293
.LBB96_257:
	v_sub_nc_u32_e32 v3, v30, v2
	s_delay_alu instid0(VALU_DEP_1)
	v_lshlrev_b32_e32 v3, 2, v3
	ds_store_b32 v3, v51
	s_or_b32 exec_lo, exec_lo, s7
	s_and_saveexec_b32 s6, s5
	s_cbranch_execnz .LBB96_294
.LBB96_258:
	s_or_b32 exec_lo, exec_lo, s6
	s_and_saveexec_b32 s5, s4
	s_cbranch_execz .LBB96_295
.LBB96_259:
	v_sub_nc_u32_e32 v3, v28, v2
	s_delay_alu instid0(VALU_DEP_1)
	v_lshlrev_b32_e32 v3, 2, v3
	ds_store_b32 v3, v45
	s_or_b32 exec_lo, exec_lo, s5
	s_and_saveexec_b32 s4, s3
	s_cbranch_execnz .LBB96_296
.LBB96_260:
	s_or_b32 exec_lo, exec_lo, s4
	s_and_saveexec_b32 s3, s2
	s_cbranch_execz .LBB96_297
.LBB96_261:
	v_sub_nc_u32_e32 v3, v26, v2
	s_delay_alu instid0(VALU_DEP_1)
	v_lshlrev_b32_e32 v3, 2, v3
	ds_store_b32 v3, v42
	s_or_b32 exec_lo, exec_lo, s3
	s_and_saveexec_b32 s2, s1
	s_cbranch_execnz .LBB96_298
	s_branch .LBB96_299
.LBB96_262:
	s_and_not1_saveexec_b32 s15, s15
	s_cbranch_execz .LBB96_281
.LBB96_263:
	v_sub_nc_u32_e32 v14, v4, v2
	v_mov_b32_e32 v15, 0
	s_or_b32 s17, s17, exec_lo
	s_delay_alu instid0(VALU_DEP_1) | instskip(SKIP_1) | instid1(VALU_DEP_1)
	v_lshlrev_b64 v[16:17], 2, v[14:15]
	v_sub_nc_u32_e32 v14, v35, v2
	v_lshlrev_b64 v[18:19], 2, v[14:15]
	v_sub_nc_u32_e32 v14, v37, v2
	s_delay_alu instid0(VALU_DEP_4) | instskip(SKIP_1) | instid1(VALU_DEP_3)
	v_add_co_u32 v16, vcc_lo, v12, v16
	v_add_co_ci_u32_e32 v17, vcc_lo, v13, v17, vcc_lo
	v_lshlrev_b64 v[20:21], 2, v[14:15]
	v_sub_nc_u32_e32 v14, v36, v2
	v_add_co_u32 v18, vcc_lo, v12, v18
	v_add_co_ci_u32_e32 v19, vcc_lo, v13, v19, vcc_lo
	global_store_b32 v[16:17], v71, off
	v_lshlrev_b64 v[16:17], 2, v[14:15]
	v_sub_nc_u32_e32 v14, v34, v2
	global_store_b32 v[18:19], v70, off
	v_add_co_u32 v18, vcc_lo, v12, v20
	v_add_co_ci_u32_e32 v19, vcc_lo, v13, v21, vcc_lo
	v_lshlrev_b64 v[20:21], 2, v[14:15]
	v_sub_nc_u32_e32 v14, v33, v2
	v_add_co_u32 v16, vcc_lo, v12, v16
	v_add_co_ci_u32_e32 v17, vcc_lo, v13, v17, vcc_lo
	s_delay_alu instid0(VALU_DEP_3) | instskip(SKIP_3) | instid1(VALU_DEP_3)
	v_lshlrev_b64 v[22:23], 2, v[14:15]
	v_sub_nc_u32_e32 v14, v32, v2
	v_add_co_u32 v20, vcc_lo, v12, v20
	v_add_co_ci_u32_e32 v21, vcc_lo, v13, v21, vcc_lo
	v_lshlrev_b64 v[43:44], 2, v[14:15]
	v_sub_nc_u32_e32 v14, v31, v2
	v_add_co_u32 v22, vcc_lo, v12, v22
	v_add_co_ci_u32_e32 v23, vcc_lo, v13, v23, vcc_lo
	s_clause 0x3
	global_store_b32 v[18:19], v69, off
	global_store_b32 v[16:17], v68, off
	;; [unrolled: 1-line block ×4, first 2 shown]
	v_lshlrev_b64 v[16:17], 2, v[14:15]
	v_sub_nc_u32_e32 v14, v30, v2
	v_add_co_u32 v18, vcc_lo, v12, v43
	v_add_co_ci_u32_e32 v19, vcc_lo, v13, v44, vcc_lo
	s_delay_alu instid0(VALU_DEP_3) | instskip(SKIP_3) | instid1(VALU_DEP_3)
	v_lshlrev_b64 v[20:21], 2, v[14:15]
	v_sub_nc_u32_e32 v14, v29, v2
	v_add_co_u32 v16, vcc_lo, v12, v16
	v_add_co_ci_u32_e32 v17, vcc_lo, v13, v17, vcc_lo
	v_lshlrev_b64 v[22:23], 2, v[14:15]
	v_sub_nc_u32_e32 v14, v28, v2
	v_add_co_u32 v20, vcc_lo, v12, v20
	v_add_co_ci_u32_e32 v21, vcc_lo, v13, v21, vcc_lo
	s_delay_alu instid0(VALU_DEP_3)
	v_lshlrev_b64 v[43:44], 2, v[14:15]
	v_sub_nc_u32_e32 v14, v27, v2
	v_add_co_u32 v22, vcc_lo, v12, v22
	v_add_co_ci_u32_e32 v23, vcc_lo, v13, v23, vcc_lo
	s_clause 0x3
	global_store_b32 v[18:19], v55, off
	global_store_b32 v[16:17], v53, off
	;; [unrolled: 1-line block ×4, first 2 shown]
	v_lshlrev_b64 v[16:17], 2, v[14:15]
	v_sub_nc_u32_e32 v14, v26, v2
	v_add_co_u32 v18, vcc_lo, v12, v43
	v_add_co_ci_u32_e32 v19, vcc_lo, v13, v44, vcc_lo
	s_delay_alu instid0(VALU_DEP_3) | instskip(SKIP_3) | instid1(VALU_DEP_3)
	v_lshlrev_b64 v[20:21], 2, v[14:15]
	v_sub_nc_u32_e32 v14, v25, v2
	v_add_co_u32 v16, vcc_lo, v12, v16
	v_add_co_ci_u32_e32 v17, vcc_lo, v13, v17, vcc_lo
	v_lshlrev_b64 v[14:15], 2, v[14:15]
	v_add_co_u32 v20, vcc_lo, v12, v20
	v_add_co_ci_u32_e32 v21, vcc_lo, v13, v21, vcc_lo
	s_clause 0x2
	global_store_b32 v[18:19], v45, off
	global_store_b32 v[16:17], v41, off
	global_store_b32 v[20:21], v42, off
	v_add_co_u32 v14, vcc_lo, v12, v14
	v_add_co_ci_u32_e32 v15, vcc_lo, v13, v15, vcc_lo
	global_store_b32 v[14:15], v40, off
	s_or_b32 exec_lo, exec_lo, s15
	s_delay_alu instid0(SALU_CYCLE_1)
	s_and_b32 exec_lo, exec_lo, s17
	s_cbranch_execnz .LBB96_282
	s_branch .LBB96_283
.LBB96_264:
	s_and_not1_saveexec_b32 s0, s16
	s_cbranch_execz .LBB96_300
.LBB96_265:
	v_sub_nc_u32_e32 v3, v4, v2
	v_sub_nc_u32_e32 v4, v35, v2
	;; [unrolled: 1-line block ×5, first 2 shown]
	v_lshlrev_b32_e32 v3, 2, v3
	v_lshlrev_b32_e32 v4, 2, v4
	;; [unrolled: 1-line block ×4, first 2 shown]
	s_or_b32 s17, s17, exec_lo
	ds_store_b32 v3, v71
	ds_store_b32 v4, v70
	;; [unrolled: 1-line block ×3, first 2 shown]
	v_sub_nc_u32_e32 v3, v34, v2
	v_sub_nc_u32_e32 v4, v33, v2
	;; [unrolled: 1-line block ×3, first 2 shown]
	ds_store_b32 v15, v68
	v_sub_nc_u32_e32 v15, v31, v2
	v_lshlrev_b32_e32 v3, 2, v3
	v_lshlrev_b32_e32 v4, 2, v4
	;; [unrolled: 1-line block ×3, first 2 shown]
	s_delay_alu instid0(VALU_DEP_4)
	v_lshlrev_b32_e32 v15, 2, v15
	ds_store_b32 v3, v67
	v_lshlrev_b32_e32 v3, 2, v16
	ds_store_b32 v4, v66
	ds_store_b32 v14, v55
	;; [unrolled: 1-line block ×3, first 2 shown]
	v_sub_nc_u32_e32 v4, v29, v2
	v_sub_nc_u32_e32 v16, v25, v2
	;; [unrolled: 1-line block ×3, first 2 shown]
	ds_store_b32 v3, v51
	v_sub_nc_u32_e32 v3, v28, v2
	v_lshlrev_b32_e32 v4, 2, v4
	v_sub_nc_u32_e32 v15, v26, v2
	v_lshlrev_b32_e32 v14, 2, v14
	s_delay_alu instid0(VALU_DEP_4)
	v_lshlrev_b32_e32 v3, 2, v3
	ds_store_b32 v4, v47
	v_lshlrev_b32_e32 v4, 2, v16
	v_lshlrev_b32_e32 v15, 2, v15
	ds_store_b32 v3, v45
	ds_store_b32 v14, v41
	;; [unrolled: 1-line block ×4, first 2 shown]
	s_or_b32 exec_lo, exec_lo, s0
	s_delay_alu instid0(SALU_CYCLE_1)
	s_and_b32 exec_lo, exec_lo, s17
	s_cbranch_execnz .LBB96_301
	s_branch .LBB96_302
.LBB96_266:
	s_or_b32 exec_lo, exec_lo, s17
	s_and_saveexec_b32 s17, s13
	s_cbranch_execz .LBB96_233
.LBB96_267:
	v_sub_nc_u32_e32 v14, v35, v2
	v_mov_b32_e32 v15, 0
	s_delay_alu instid0(VALU_DEP_1) | instskip(NEXT) | instid1(VALU_DEP_1)
	v_lshlrev_b64 v[14:15], 2, v[14:15]
	v_add_co_u32 v14, vcc_lo, v12, v14
	s_delay_alu instid0(VALU_DEP_2)
	v_add_co_ci_u32_e32 v15, vcc_lo, v13, v15, vcc_lo
	global_store_b32 v[14:15], v70, off
	s_or_b32 exec_lo, exec_lo, s17
	s_and_saveexec_b32 s17, s12
	s_cbranch_execnz .LBB96_234
.LBB96_268:
	s_or_b32 exec_lo, exec_lo, s17
	s_and_saveexec_b32 s17, s11
	s_cbranch_execz .LBB96_235
.LBB96_269:
	v_sub_nc_u32_e32 v14, v36, v2
	v_mov_b32_e32 v15, 0
	s_delay_alu instid0(VALU_DEP_1) | instskip(NEXT) | instid1(VALU_DEP_1)
	v_lshlrev_b64 v[14:15], 2, v[14:15]
	v_add_co_u32 v14, vcc_lo, v12, v14
	s_delay_alu instid0(VALU_DEP_2)
	v_add_co_ci_u32_e32 v15, vcc_lo, v13, v15, vcc_lo
	global_store_b32 v[14:15], v68, off
	s_or_b32 exec_lo, exec_lo, s17
	s_and_saveexec_b32 s17, s10
	s_cbranch_execnz .LBB96_236
.LBB96_270:
	s_or_b32 exec_lo, exec_lo, s17
	s_and_saveexec_b32 s17, s9
	s_cbranch_execz .LBB96_237
.LBB96_271:
	v_sub_nc_u32_e32 v14, v33, v2
	v_mov_b32_e32 v15, 0
	s_delay_alu instid0(VALU_DEP_1) | instskip(NEXT) | instid1(VALU_DEP_1)
	v_lshlrev_b64 v[14:15], 2, v[14:15]
	v_add_co_u32 v14, vcc_lo, v12, v14
	s_delay_alu instid0(VALU_DEP_2)
	v_add_co_ci_u32_e32 v15, vcc_lo, v13, v15, vcc_lo
	global_store_b32 v[14:15], v66, off
	s_or_b32 exec_lo, exec_lo, s17
	s_and_saveexec_b32 s17, s8
	s_cbranch_execnz .LBB96_238
.LBB96_272:
	s_or_b32 exec_lo, exec_lo, s17
	s_and_saveexec_b32 s17, s7
	s_cbranch_execz .LBB96_239
.LBB96_273:
	v_sub_nc_u32_e32 v14, v31, v2
	v_mov_b32_e32 v15, 0
	s_delay_alu instid0(VALU_DEP_1) | instskip(NEXT) | instid1(VALU_DEP_1)
	v_lshlrev_b64 v[14:15], 2, v[14:15]
	v_add_co_u32 v14, vcc_lo, v12, v14
	s_delay_alu instid0(VALU_DEP_2)
	v_add_co_ci_u32_e32 v15, vcc_lo, v13, v15, vcc_lo
	global_store_b32 v[14:15], v53, off
	s_or_b32 exec_lo, exec_lo, s17
	s_and_saveexec_b32 s17, s6
	s_cbranch_execnz .LBB96_240
.LBB96_274:
	s_or_b32 exec_lo, exec_lo, s17
	s_and_saveexec_b32 s17, s5
	s_cbranch_execz .LBB96_241
.LBB96_275:
	v_sub_nc_u32_e32 v14, v29, v2
	v_mov_b32_e32 v15, 0
	s_delay_alu instid0(VALU_DEP_1) | instskip(NEXT) | instid1(VALU_DEP_1)
	v_lshlrev_b64 v[14:15], 2, v[14:15]
	v_add_co_u32 v14, vcc_lo, v12, v14
	s_delay_alu instid0(VALU_DEP_2)
	v_add_co_ci_u32_e32 v15, vcc_lo, v13, v15, vcc_lo
	global_store_b32 v[14:15], v47, off
	s_or_b32 exec_lo, exec_lo, s17
	s_and_saveexec_b32 s17, s4
	s_cbranch_execnz .LBB96_242
.LBB96_276:
	s_or_b32 exec_lo, exec_lo, s17
	s_and_saveexec_b32 s17, s3
	s_cbranch_execz .LBB96_243
.LBB96_277:
	v_sub_nc_u32_e32 v14, v27, v2
	v_mov_b32_e32 v15, 0
	s_delay_alu instid0(VALU_DEP_1) | instskip(NEXT) | instid1(VALU_DEP_1)
	v_lshlrev_b64 v[14:15], 2, v[14:15]
	v_add_co_u32 v14, vcc_lo, v12, v14
	s_delay_alu instid0(VALU_DEP_2)
	v_add_co_ci_u32_e32 v15, vcc_lo, v13, v15, vcc_lo
	global_store_b32 v[14:15], v41, off
	s_or_b32 exec_lo, exec_lo, s17
	s_and_saveexec_b32 s17, s2
	s_cbranch_execnz .LBB96_244
.LBB96_278:
	s_or_b32 exec_lo, exec_lo, s17
	s_and_saveexec_b32 s17, s1
	s_cbranch_execz .LBB96_280
.LBB96_279:
	v_sub_nc_u32_e32 v14, v25, v2
	v_mov_b32_e32 v15, 0
	s_delay_alu instid0(VALU_DEP_1) | instskip(NEXT) | instid1(VALU_DEP_1)
	v_lshlrev_b64 v[14:15], 2, v[14:15]
	v_add_co_u32 v14, vcc_lo, v12, v14
	s_delay_alu instid0(VALU_DEP_2)
	v_add_co_ci_u32_e32 v15, vcc_lo, v13, v15, vcc_lo
	global_store_b32 v[14:15], v40, off
.LBB96_280:
	s_or_b32 exec_lo, exec_lo, s17
	s_delay_alu instid0(SALU_CYCLE_1)
	s_and_b32 s17, s0, exec_lo
	s_and_not1_saveexec_b32 s15, s15
	s_cbranch_execnz .LBB96_263
.LBB96_281:
	s_or_b32 exec_lo, exec_lo, s15
	s_delay_alu instid0(SALU_CYCLE_1)
	s_and_b32 exec_lo, exec_lo, s17
	s_cbranch_execz .LBB96_283
.LBB96_282:
	v_sub_nc_u32_e32 v14, v6, v2
	v_mov_b32_e32 v15, 0
	s_delay_alu instid0(VALU_DEP_1) | instskip(NEXT) | instid1(VALU_DEP_1)
	v_lshlrev_b64 v[14:15], 2, v[14:15]
	v_add_co_u32 v14, vcc_lo, v12, v14
	s_delay_alu instid0(VALU_DEP_2)
	v_add_co_ci_u32_e32 v15, vcc_lo, v13, v15, vcc_lo
	global_store_b32 v[14:15], v49, off
.LBB96_283:
	s_or_b32 exec_lo, exec_lo, s16
.LBB96_284:
	v_cmp_eq_u32_e32 vcc_lo, 0xff, v0
	s_and_b32 s0, vcc_lo, s20
	s_delay_alu instid0(SALU_CYCLE_1)
	s_and_b32 exec_lo, exec_lo, s0
	s_cbranch_execnz .LBB96_306
	s_branch .LBB96_308
.LBB96_285:
	s_or_b32 exec_lo, exec_lo, s17
	s_and_saveexec_b32 s14, s13
	s_cbranch_execz .LBB96_250
.LBB96_286:
	v_sub_nc_u32_e32 v3, v35, v2
	s_delay_alu instid0(VALU_DEP_1)
	v_lshlrev_b32_e32 v3, 2, v3
	ds_store_b32 v3, v70
	s_or_b32 exec_lo, exec_lo, s14
	s_and_saveexec_b32 s13, s12
	s_cbranch_execnz .LBB96_251
.LBB96_287:
	s_or_b32 exec_lo, exec_lo, s13
	s_and_saveexec_b32 s12, s11
	s_cbranch_execz .LBB96_252
.LBB96_288:
	v_sub_nc_u32_e32 v3, v36, v2
	s_delay_alu instid0(VALU_DEP_1)
	v_lshlrev_b32_e32 v3, 2, v3
	ds_store_b32 v3, v68
	s_or_b32 exec_lo, exec_lo, s12
	s_and_saveexec_b32 s11, s10
	s_cbranch_execnz .LBB96_253
.LBB96_289:
	s_or_b32 exec_lo, exec_lo, s11
	s_and_saveexec_b32 s10, s9
	s_cbranch_execz .LBB96_254
.LBB96_290:
	v_sub_nc_u32_e32 v3, v33, v2
	s_delay_alu instid0(VALU_DEP_1)
	v_lshlrev_b32_e32 v3, 2, v3
	ds_store_b32 v3, v66
	s_or_b32 exec_lo, exec_lo, s10
	s_and_saveexec_b32 s9, s8
	s_cbranch_execnz .LBB96_255
.LBB96_291:
	s_or_b32 exec_lo, exec_lo, s9
	s_and_saveexec_b32 s8, s7
	s_cbranch_execz .LBB96_256
.LBB96_292:
	v_sub_nc_u32_e32 v3, v31, v2
	s_delay_alu instid0(VALU_DEP_1)
	v_lshlrev_b32_e32 v3, 2, v3
	ds_store_b32 v3, v53
	s_or_b32 exec_lo, exec_lo, s8
	s_and_saveexec_b32 s7, s6
	s_cbranch_execnz .LBB96_257
.LBB96_293:
	s_or_b32 exec_lo, exec_lo, s7
	s_and_saveexec_b32 s6, s5
	s_cbranch_execz .LBB96_258
.LBB96_294:
	v_sub_nc_u32_e32 v3, v29, v2
	s_delay_alu instid0(VALU_DEP_1)
	v_lshlrev_b32_e32 v3, 2, v3
	ds_store_b32 v3, v47
	s_or_b32 exec_lo, exec_lo, s6
	s_and_saveexec_b32 s5, s4
	s_cbranch_execnz .LBB96_259
.LBB96_295:
	s_or_b32 exec_lo, exec_lo, s5
	s_and_saveexec_b32 s4, s3
	s_cbranch_execz .LBB96_260
.LBB96_296:
	v_sub_nc_u32_e32 v3, v27, v2
	s_delay_alu instid0(VALU_DEP_1)
	v_lshlrev_b32_e32 v3, 2, v3
	ds_store_b32 v3, v41
	s_or_b32 exec_lo, exec_lo, s4
	s_and_saveexec_b32 s3, s2
	s_cbranch_execnz .LBB96_261
.LBB96_297:
	s_or_b32 exec_lo, exec_lo, s3
	s_and_saveexec_b32 s2, s1
	s_cbranch_execz .LBB96_299
.LBB96_298:
	v_sub_nc_u32_e32 v3, v25, v2
	s_delay_alu instid0(VALU_DEP_1)
	v_lshlrev_b32_e32 v3, 2, v3
	ds_store_b32 v3, v40
.LBB96_299:
	s_or_b32 exec_lo, exec_lo, s2
	s_delay_alu instid0(SALU_CYCLE_1)
	s_and_b32 s17, s0, exec_lo
                                        ; implicit-def: $vgpr40
                                        ; implicit-def: $vgpr42
                                        ; implicit-def: $vgpr41
                                        ; implicit-def: $vgpr45
                                        ; implicit-def: $vgpr47
                                        ; implicit-def: $vgpr51
                                        ; implicit-def: $vgpr53
                                        ; implicit-def: $vgpr55
                                        ; implicit-def: $vgpr66
                                        ; implicit-def: $vgpr67
                                        ; implicit-def: $vgpr68
                                        ; implicit-def: $vgpr69
                                        ; implicit-def: $vgpr70
                                        ; implicit-def: $vgpr71
                                        ; implicit-def: $vgpr35
                                        ; implicit-def: $vgpr37
                                        ; implicit-def: $vgpr36
                                        ; implicit-def: $vgpr34
                                        ; implicit-def: $vgpr33
                                        ; implicit-def: $vgpr32
                                        ; implicit-def: $vgpr31
                                        ; implicit-def: $vgpr30
                                        ; implicit-def: $vgpr29
                                        ; implicit-def: $vgpr28
                                        ; implicit-def: $vgpr27
                                        ; implicit-def: $vgpr26
                                        ; implicit-def: $vgpr25
	s_and_not1_saveexec_b32 s0, s16
	s_cbranch_execnz .LBB96_265
.LBB96_300:
	s_or_b32 exec_lo, exec_lo, s0
	s_delay_alu instid0(SALU_CYCLE_1)
	s_and_b32 exec_lo, exec_lo, s17
	s_cbranch_execz .LBB96_302
.LBB96_301:
	v_sub_nc_u32_e32 v2, v6, v2
	s_delay_alu instid0(VALU_DEP_1)
	v_lshlrev_b32_e32 v2, 2, v2
	ds_store_b32 v2, v49
.LBB96_302:
	s_or_b32 exec_lo, exec_lo, s15
	s_delay_alu instid0(SALU_CYCLE_1)
	s_mov_b32 s1, exec_lo
	s_waitcnt lgkmcnt(0)
	s_waitcnt_vscnt null, 0x0
	s_barrier
	buffer_gl0_inv
	v_cmpx_lt_u32_e64 v0, v9
	s_cbranch_execz .LBB96_305
; %bb.303:
	v_dual_mov_b32 v3, 0 :: v_dual_lshlrev_b32 v4, 2, v0
	v_mov_b32_e32 v2, v0
	s_mov_b32 s2, 0
	.p2align	6
.LBB96_304:                             ; =>This Inner Loop Header: Depth=1
	ds_load_b32 v6, v4
	v_lshlrev_b64 v[14:15], 2, v[2:3]
	v_add_nc_u32_e32 v2, 0x100, v2
	v_add_nc_u32_e32 v4, 0x400, v4
	s_delay_alu instid0(VALU_DEP_2) | instskip(NEXT) | instid1(VALU_DEP_4)
	v_cmp_ge_u32_e32 vcc_lo, v2, v9
	v_add_co_u32 v14, s0, v12, v14
	s_delay_alu instid0(VALU_DEP_1)
	v_add_co_ci_u32_e64 v15, s0, v13, v15, s0
	s_or_b32 s2, vcc_lo, s2
	s_waitcnt lgkmcnt(0)
	global_store_b32 v[14:15], v6, off
	s_and_not1_b32 exec_lo, exec_lo, s2
	s_cbranch_execnz .LBB96_304
.LBB96_305:
	s_or_b32 exec_lo, exec_lo, s1
	v_cmp_eq_u32_e32 vcc_lo, 0xff, v0
	s_and_b32 s0, vcc_lo, s20
	s_delay_alu instid0(SALU_CYCLE_1)
	s_and_b32 exec_lo, exec_lo, s0
	s_cbranch_execz .LBB96_308
.LBB96_306:
	v_add_co_u32 v0, s0, v1, v5
	s_delay_alu instid0(VALU_DEP_1) | instskip(SKIP_1) | instid1(VALU_DEP_3)
	v_add_co_ci_u32_e64 v4, null, 0, 0, s0
	v_mov_b32_e32 v2, 0
	v_add_co_u32 v3, vcc_lo, v0, v7
	s_delay_alu instid0(VALU_DEP_3)
	v_add_co_ci_u32_e32 v4, vcc_lo, v4, v8, vcc_lo
	s_cmpk_lg_i32 s21, 0xf00
	global_store_b64 v2, v[3:4], s[38:39]
	s_cbranch_scc1 .LBB96_308
; %bb.307:
	v_lshlrev_b64 v[0:1], 2, v[1:2]
	s_delay_alu instid0(VALU_DEP_1) | instskip(NEXT) | instid1(VALU_DEP_2)
	v_add_co_u32 v0, vcc_lo, v10, v0
	v_add_co_ci_u32_e32 v1, vcc_lo, v11, v1, vcc_lo
	global_store_b32 v[0:1], v39, off offset:-4
	s_nop 0
	s_sendmsg sendmsg(MSG_DEALLOC_VGPRS)
	s_endpgm
.LBB96_308:
	s_endpgm
.LBB96_309:
	s_trap 2
	s_sendmsg_rtn_b32 s0, sendmsg(MSG_RTN_GET_DOORBELL)
	s_mov_b32 ttmp2, m0
	s_waitcnt lgkmcnt(0)
	s_and_b32 s0, s0, 0x3ff
	s_delay_alu instid0(SALU_CYCLE_1) | instskip(NEXT) | instid1(SALU_CYCLE_1)
	s_bitset1_b32 s0, 10
	s_mov_b32 m0, s0
	s_sendmsg sendmsg(MSG_INTERRUPT)
	s_mov_b32 m0, ttmp2
.LBB96_310:                             ; =>This Inner Loop Header: Depth=1
	s_sethalt 5
	s_branch .LBB96_310
	.section	.rodata,"a",@progbits
	.p2align	6, 0x0
	.amdhsa_kernel _ZN7rocprim17ROCPRIM_400000_NS6detail17trampoline_kernelINS0_14default_configENS1_29reduce_by_key_config_selectorIffN6thrust23THRUST_200600_302600_NS4plusIfEEEEZZNS1_33reduce_by_key_impl_wrapped_configILNS1_25lookback_scan_determinismE1ES3_S9_NS6_6detail15normal_iteratorINS6_10device_ptrIfEEEESG_SG_SG_PmS8_NS6_8equal_toIfEEEE10hipError_tPvRmT2_T3_mT4_T5_T6_T7_T8_P12ihipStream_tbENKUlT_T0_E_clISt17integral_constantIbLb0EES11_EEDaSW_SX_EUlSW_E_NS1_11comp_targetILNS1_3genE9ELNS1_11target_archE1100ELNS1_3gpuE3ELNS1_3repE0EEENS1_30default_config_static_selectorELNS0_4arch9wavefront6targetE0EEEvT1_
		.amdhsa_group_segment_fixed_size 15360
		.amdhsa_private_segment_fixed_size 48
		.amdhsa_kernarg_size 120
		.amdhsa_user_sgpr_count 15
		.amdhsa_user_sgpr_dispatch_ptr 0
		.amdhsa_user_sgpr_queue_ptr 0
		.amdhsa_user_sgpr_kernarg_segment_ptr 1
		.amdhsa_user_sgpr_dispatch_id 0
		.amdhsa_user_sgpr_private_segment_size 0
		.amdhsa_wavefront_size32 1
		.amdhsa_uses_dynamic_stack 0
		.amdhsa_enable_private_segment 1
		.amdhsa_system_sgpr_workgroup_id_x 1
		.amdhsa_system_sgpr_workgroup_id_y 0
		.amdhsa_system_sgpr_workgroup_id_z 0
		.amdhsa_system_sgpr_workgroup_info 0
		.amdhsa_system_vgpr_workitem_id 0
		.amdhsa_next_free_vgpr 85
		.amdhsa_next_free_sgpr 46
		.amdhsa_reserve_vcc 1
		.amdhsa_float_round_mode_32 0
		.amdhsa_float_round_mode_16_64 0
		.amdhsa_float_denorm_mode_32 3
		.amdhsa_float_denorm_mode_16_64 3
		.amdhsa_dx10_clamp 1
		.amdhsa_ieee_mode 1
		.amdhsa_fp16_overflow 0
		.amdhsa_workgroup_processor_mode 1
		.amdhsa_memory_ordered 1
		.amdhsa_forward_progress 0
		.amdhsa_shared_vgpr_count 0
		.amdhsa_exception_fp_ieee_invalid_op 0
		.amdhsa_exception_fp_denorm_src 0
		.amdhsa_exception_fp_ieee_div_zero 0
		.amdhsa_exception_fp_ieee_overflow 0
		.amdhsa_exception_fp_ieee_underflow 0
		.amdhsa_exception_fp_ieee_inexact 0
		.amdhsa_exception_int_div_zero 0
	.end_amdhsa_kernel
	.section	.text._ZN7rocprim17ROCPRIM_400000_NS6detail17trampoline_kernelINS0_14default_configENS1_29reduce_by_key_config_selectorIffN6thrust23THRUST_200600_302600_NS4plusIfEEEEZZNS1_33reduce_by_key_impl_wrapped_configILNS1_25lookback_scan_determinismE1ES3_S9_NS6_6detail15normal_iteratorINS6_10device_ptrIfEEEESG_SG_SG_PmS8_NS6_8equal_toIfEEEE10hipError_tPvRmT2_T3_mT4_T5_T6_T7_T8_P12ihipStream_tbENKUlT_T0_E_clISt17integral_constantIbLb0EES11_EEDaSW_SX_EUlSW_E_NS1_11comp_targetILNS1_3genE9ELNS1_11target_archE1100ELNS1_3gpuE3ELNS1_3repE0EEENS1_30default_config_static_selectorELNS0_4arch9wavefront6targetE0EEEvT1_,"axG",@progbits,_ZN7rocprim17ROCPRIM_400000_NS6detail17trampoline_kernelINS0_14default_configENS1_29reduce_by_key_config_selectorIffN6thrust23THRUST_200600_302600_NS4plusIfEEEEZZNS1_33reduce_by_key_impl_wrapped_configILNS1_25lookback_scan_determinismE1ES3_S9_NS6_6detail15normal_iteratorINS6_10device_ptrIfEEEESG_SG_SG_PmS8_NS6_8equal_toIfEEEE10hipError_tPvRmT2_T3_mT4_T5_T6_T7_T8_P12ihipStream_tbENKUlT_T0_E_clISt17integral_constantIbLb0EES11_EEDaSW_SX_EUlSW_E_NS1_11comp_targetILNS1_3genE9ELNS1_11target_archE1100ELNS1_3gpuE3ELNS1_3repE0EEENS1_30default_config_static_selectorELNS0_4arch9wavefront6targetE0EEEvT1_,comdat
.Lfunc_end96:
	.size	_ZN7rocprim17ROCPRIM_400000_NS6detail17trampoline_kernelINS0_14default_configENS1_29reduce_by_key_config_selectorIffN6thrust23THRUST_200600_302600_NS4plusIfEEEEZZNS1_33reduce_by_key_impl_wrapped_configILNS1_25lookback_scan_determinismE1ES3_S9_NS6_6detail15normal_iteratorINS6_10device_ptrIfEEEESG_SG_SG_PmS8_NS6_8equal_toIfEEEE10hipError_tPvRmT2_T3_mT4_T5_T6_T7_T8_P12ihipStream_tbENKUlT_T0_E_clISt17integral_constantIbLb0EES11_EEDaSW_SX_EUlSW_E_NS1_11comp_targetILNS1_3genE9ELNS1_11target_archE1100ELNS1_3gpuE3ELNS1_3repE0EEENS1_30default_config_static_selectorELNS0_4arch9wavefront6targetE0EEEvT1_, .Lfunc_end96-_ZN7rocprim17ROCPRIM_400000_NS6detail17trampoline_kernelINS0_14default_configENS1_29reduce_by_key_config_selectorIffN6thrust23THRUST_200600_302600_NS4plusIfEEEEZZNS1_33reduce_by_key_impl_wrapped_configILNS1_25lookback_scan_determinismE1ES3_S9_NS6_6detail15normal_iteratorINS6_10device_ptrIfEEEESG_SG_SG_PmS8_NS6_8equal_toIfEEEE10hipError_tPvRmT2_T3_mT4_T5_T6_T7_T8_P12ihipStream_tbENKUlT_T0_E_clISt17integral_constantIbLb0EES11_EEDaSW_SX_EUlSW_E_NS1_11comp_targetILNS1_3genE9ELNS1_11target_archE1100ELNS1_3gpuE3ELNS1_3repE0EEENS1_30default_config_static_selectorELNS0_4arch9wavefront6targetE0EEEvT1_
                                        ; -- End function
	.section	.AMDGPU.csdata,"",@progbits
; Kernel info:
; codeLenInByte = 18888
; NumSgprs: 48
; NumVgprs: 85
; ScratchSize: 48
; MemoryBound: 0
; FloatMode: 240
; IeeeMode: 1
; LDSByteSize: 15360 bytes/workgroup (compile time only)
; SGPRBlocks: 5
; VGPRBlocks: 10
; NumSGPRsForWavesPerEU: 48
; NumVGPRsForWavesPerEU: 85
; Occupancy: 16
; WaveLimiterHint : 1
; COMPUTE_PGM_RSRC2:SCRATCH_EN: 1
; COMPUTE_PGM_RSRC2:USER_SGPR: 15
; COMPUTE_PGM_RSRC2:TRAP_HANDLER: 0
; COMPUTE_PGM_RSRC2:TGID_X_EN: 1
; COMPUTE_PGM_RSRC2:TGID_Y_EN: 0
; COMPUTE_PGM_RSRC2:TGID_Z_EN: 0
; COMPUTE_PGM_RSRC2:TIDIG_COMP_CNT: 0
	.section	.text._ZN7rocprim17ROCPRIM_400000_NS6detail17trampoline_kernelINS0_14default_configENS1_29reduce_by_key_config_selectorIffN6thrust23THRUST_200600_302600_NS4plusIfEEEEZZNS1_33reduce_by_key_impl_wrapped_configILNS1_25lookback_scan_determinismE1ES3_S9_NS6_6detail15normal_iteratorINS6_10device_ptrIfEEEESG_SG_SG_PmS8_NS6_8equal_toIfEEEE10hipError_tPvRmT2_T3_mT4_T5_T6_T7_T8_P12ihipStream_tbENKUlT_T0_E_clISt17integral_constantIbLb0EES11_EEDaSW_SX_EUlSW_E_NS1_11comp_targetILNS1_3genE8ELNS1_11target_archE1030ELNS1_3gpuE2ELNS1_3repE0EEENS1_30default_config_static_selectorELNS0_4arch9wavefront6targetE0EEEvT1_,"axG",@progbits,_ZN7rocprim17ROCPRIM_400000_NS6detail17trampoline_kernelINS0_14default_configENS1_29reduce_by_key_config_selectorIffN6thrust23THRUST_200600_302600_NS4plusIfEEEEZZNS1_33reduce_by_key_impl_wrapped_configILNS1_25lookback_scan_determinismE1ES3_S9_NS6_6detail15normal_iteratorINS6_10device_ptrIfEEEESG_SG_SG_PmS8_NS6_8equal_toIfEEEE10hipError_tPvRmT2_T3_mT4_T5_T6_T7_T8_P12ihipStream_tbENKUlT_T0_E_clISt17integral_constantIbLb0EES11_EEDaSW_SX_EUlSW_E_NS1_11comp_targetILNS1_3genE8ELNS1_11target_archE1030ELNS1_3gpuE2ELNS1_3repE0EEENS1_30default_config_static_selectorELNS0_4arch9wavefront6targetE0EEEvT1_,comdat
	.protected	_ZN7rocprim17ROCPRIM_400000_NS6detail17trampoline_kernelINS0_14default_configENS1_29reduce_by_key_config_selectorIffN6thrust23THRUST_200600_302600_NS4plusIfEEEEZZNS1_33reduce_by_key_impl_wrapped_configILNS1_25lookback_scan_determinismE1ES3_S9_NS6_6detail15normal_iteratorINS6_10device_ptrIfEEEESG_SG_SG_PmS8_NS6_8equal_toIfEEEE10hipError_tPvRmT2_T3_mT4_T5_T6_T7_T8_P12ihipStream_tbENKUlT_T0_E_clISt17integral_constantIbLb0EES11_EEDaSW_SX_EUlSW_E_NS1_11comp_targetILNS1_3genE8ELNS1_11target_archE1030ELNS1_3gpuE2ELNS1_3repE0EEENS1_30default_config_static_selectorELNS0_4arch9wavefront6targetE0EEEvT1_ ; -- Begin function _ZN7rocprim17ROCPRIM_400000_NS6detail17trampoline_kernelINS0_14default_configENS1_29reduce_by_key_config_selectorIffN6thrust23THRUST_200600_302600_NS4plusIfEEEEZZNS1_33reduce_by_key_impl_wrapped_configILNS1_25lookback_scan_determinismE1ES3_S9_NS6_6detail15normal_iteratorINS6_10device_ptrIfEEEESG_SG_SG_PmS8_NS6_8equal_toIfEEEE10hipError_tPvRmT2_T3_mT4_T5_T6_T7_T8_P12ihipStream_tbENKUlT_T0_E_clISt17integral_constantIbLb0EES11_EEDaSW_SX_EUlSW_E_NS1_11comp_targetILNS1_3genE8ELNS1_11target_archE1030ELNS1_3gpuE2ELNS1_3repE0EEENS1_30default_config_static_selectorELNS0_4arch9wavefront6targetE0EEEvT1_
	.globl	_ZN7rocprim17ROCPRIM_400000_NS6detail17trampoline_kernelINS0_14default_configENS1_29reduce_by_key_config_selectorIffN6thrust23THRUST_200600_302600_NS4plusIfEEEEZZNS1_33reduce_by_key_impl_wrapped_configILNS1_25lookback_scan_determinismE1ES3_S9_NS6_6detail15normal_iteratorINS6_10device_ptrIfEEEESG_SG_SG_PmS8_NS6_8equal_toIfEEEE10hipError_tPvRmT2_T3_mT4_T5_T6_T7_T8_P12ihipStream_tbENKUlT_T0_E_clISt17integral_constantIbLb0EES11_EEDaSW_SX_EUlSW_E_NS1_11comp_targetILNS1_3genE8ELNS1_11target_archE1030ELNS1_3gpuE2ELNS1_3repE0EEENS1_30default_config_static_selectorELNS0_4arch9wavefront6targetE0EEEvT1_
	.p2align	8
	.type	_ZN7rocprim17ROCPRIM_400000_NS6detail17trampoline_kernelINS0_14default_configENS1_29reduce_by_key_config_selectorIffN6thrust23THRUST_200600_302600_NS4plusIfEEEEZZNS1_33reduce_by_key_impl_wrapped_configILNS1_25lookback_scan_determinismE1ES3_S9_NS6_6detail15normal_iteratorINS6_10device_ptrIfEEEESG_SG_SG_PmS8_NS6_8equal_toIfEEEE10hipError_tPvRmT2_T3_mT4_T5_T6_T7_T8_P12ihipStream_tbENKUlT_T0_E_clISt17integral_constantIbLb0EES11_EEDaSW_SX_EUlSW_E_NS1_11comp_targetILNS1_3genE8ELNS1_11target_archE1030ELNS1_3gpuE2ELNS1_3repE0EEENS1_30default_config_static_selectorELNS0_4arch9wavefront6targetE0EEEvT1_,@function
_ZN7rocprim17ROCPRIM_400000_NS6detail17trampoline_kernelINS0_14default_configENS1_29reduce_by_key_config_selectorIffN6thrust23THRUST_200600_302600_NS4plusIfEEEEZZNS1_33reduce_by_key_impl_wrapped_configILNS1_25lookback_scan_determinismE1ES3_S9_NS6_6detail15normal_iteratorINS6_10device_ptrIfEEEESG_SG_SG_PmS8_NS6_8equal_toIfEEEE10hipError_tPvRmT2_T3_mT4_T5_T6_T7_T8_P12ihipStream_tbENKUlT_T0_E_clISt17integral_constantIbLb0EES11_EEDaSW_SX_EUlSW_E_NS1_11comp_targetILNS1_3genE8ELNS1_11target_archE1030ELNS1_3gpuE2ELNS1_3repE0EEENS1_30default_config_static_selectorELNS0_4arch9wavefront6targetE0EEEvT1_: ; @_ZN7rocprim17ROCPRIM_400000_NS6detail17trampoline_kernelINS0_14default_configENS1_29reduce_by_key_config_selectorIffN6thrust23THRUST_200600_302600_NS4plusIfEEEEZZNS1_33reduce_by_key_impl_wrapped_configILNS1_25lookback_scan_determinismE1ES3_S9_NS6_6detail15normal_iteratorINS6_10device_ptrIfEEEESG_SG_SG_PmS8_NS6_8equal_toIfEEEE10hipError_tPvRmT2_T3_mT4_T5_T6_T7_T8_P12ihipStream_tbENKUlT_T0_E_clISt17integral_constantIbLb0EES11_EEDaSW_SX_EUlSW_E_NS1_11comp_targetILNS1_3genE8ELNS1_11target_archE1030ELNS1_3gpuE2ELNS1_3repE0EEENS1_30default_config_static_selectorELNS0_4arch9wavefront6targetE0EEEvT1_
; %bb.0:
	.section	.rodata,"a",@progbits
	.p2align	6, 0x0
	.amdhsa_kernel _ZN7rocprim17ROCPRIM_400000_NS6detail17trampoline_kernelINS0_14default_configENS1_29reduce_by_key_config_selectorIffN6thrust23THRUST_200600_302600_NS4plusIfEEEEZZNS1_33reduce_by_key_impl_wrapped_configILNS1_25lookback_scan_determinismE1ES3_S9_NS6_6detail15normal_iteratorINS6_10device_ptrIfEEEESG_SG_SG_PmS8_NS6_8equal_toIfEEEE10hipError_tPvRmT2_T3_mT4_T5_T6_T7_T8_P12ihipStream_tbENKUlT_T0_E_clISt17integral_constantIbLb0EES11_EEDaSW_SX_EUlSW_E_NS1_11comp_targetILNS1_3genE8ELNS1_11target_archE1030ELNS1_3gpuE2ELNS1_3repE0EEENS1_30default_config_static_selectorELNS0_4arch9wavefront6targetE0EEEvT1_
		.amdhsa_group_segment_fixed_size 0
		.amdhsa_private_segment_fixed_size 0
		.amdhsa_kernarg_size 120
		.amdhsa_user_sgpr_count 15
		.amdhsa_user_sgpr_dispatch_ptr 0
		.amdhsa_user_sgpr_queue_ptr 0
		.amdhsa_user_sgpr_kernarg_segment_ptr 1
		.amdhsa_user_sgpr_dispatch_id 0
		.amdhsa_user_sgpr_private_segment_size 0
		.amdhsa_wavefront_size32 1
		.amdhsa_uses_dynamic_stack 0
		.amdhsa_enable_private_segment 0
		.amdhsa_system_sgpr_workgroup_id_x 1
		.amdhsa_system_sgpr_workgroup_id_y 0
		.amdhsa_system_sgpr_workgroup_id_z 0
		.amdhsa_system_sgpr_workgroup_info 0
		.amdhsa_system_vgpr_workitem_id 0
		.amdhsa_next_free_vgpr 1
		.amdhsa_next_free_sgpr 1
		.amdhsa_reserve_vcc 0
		.amdhsa_float_round_mode_32 0
		.amdhsa_float_round_mode_16_64 0
		.amdhsa_float_denorm_mode_32 3
		.amdhsa_float_denorm_mode_16_64 3
		.amdhsa_dx10_clamp 1
		.amdhsa_ieee_mode 1
		.amdhsa_fp16_overflow 0
		.amdhsa_workgroup_processor_mode 1
		.amdhsa_memory_ordered 1
		.amdhsa_forward_progress 0
		.amdhsa_shared_vgpr_count 0
		.amdhsa_exception_fp_ieee_invalid_op 0
		.amdhsa_exception_fp_denorm_src 0
		.amdhsa_exception_fp_ieee_div_zero 0
		.amdhsa_exception_fp_ieee_overflow 0
		.amdhsa_exception_fp_ieee_underflow 0
		.amdhsa_exception_fp_ieee_inexact 0
		.amdhsa_exception_int_div_zero 0
	.end_amdhsa_kernel
	.section	.text._ZN7rocprim17ROCPRIM_400000_NS6detail17trampoline_kernelINS0_14default_configENS1_29reduce_by_key_config_selectorIffN6thrust23THRUST_200600_302600_NS4plusIfEEEEZZNS1_33reduce_by_key_impl_wrapped_configILNS1_25lookback_scan_determinismE1ES3_S9_NS6_6detail15normal_iteratorINS6_10device_ptrIfEEEESG_SG_SG_PmS8_NS6_8equal_toIfEEEE10hipError_tPvRmT2_T3_mT4_T5_T6_T7_T8_P12ihipStream_tbENKUlT_T0_E_clISt17integral_constantIbLb0EES11_EEDaSW_SX_EUlSW_E_NS1_11comp_targetILNS1_3genE8ELNS1_11target_archE1030ELNS1_3gpuE2ELNS1_3repE0EEENS1_30default_config_static_selectorELNS0_4arch9wavefront6targetE0EEEvT1_,"axG",@progbits,_ZN7rocprim17ROCPRIM_400000_NS6detail17trampoline_kernelINS0_14default_configENS1_29reduce_by_key_config_selectorIffN6thrust23THRUST_200600_302600_NS4plusIfEEEEZZNS1_33reduce_by_key_impl_wrapped_configILNS1_25lookback_scan_determinismE1ES3_S9_NS6_6detail15normal_iteratorINS6_10device_ptrIfEEEESG_SG_SG_PmS8_NS6_8equal_toIfEEEE10hipError_tPvRmT2_T3_mT4_T5_T6_T7_T8_P12ihipStream_tbENKUlT_T0_E_clISt17integral_constantIbLb0EES11_EEDaSW_SX_EUlSW_E_NS1_11comp_targetILNS1_3genE8ELNS1_11target_archE1030ELNS1_3gpuE2ELNS1_3repE0EEENS1_30default_config_static_selectorELNS0_4arch9wavefront6targetE0EEEvT1_,comdat
.Lfunc_end97:
	.size	_ZN7rocprim17ROCPRIM_400000_NS6detail17trampoline_kernelINS0_14default_configENS1_29reduce_by_key_config_selectorIffN6thrust23THRUST_200600_302600_NS4plusIfEEEEZZNS1_33reduce_by_key_impl_wrapped_configILNS1_25lookback_scan_determinismE1ES3_S9_NS6_6detail15normal_iteratorINS6_10device_ptrIfEEEESG_SG_SG_PmS8_NS6_8equal_toIfEEEE10hipError_tPvRmT2_T3_mT4_T5_T6_T7_T8_P12ihipStream_tbENKUlT_T0_E_clISt17integral_constantIbLb0EES11_EEDaSW_SX_EUlSW_E_NS1_11comp_targetILNS1_3genE8ELNS1_11target_archE1030ELNS1_3gpuE2ELNS1_3repE0EEENS1_30default_config_static_selectorELNS0_4arch9wavefront6targetE0EEEvT1_, .Lfunc_end97-_ZN7rocprim17ROCPRIM_400000_NS6detail17trampoline_kernelINS0_14default_configENS1_29reduce_by_key_config_selectorIffN6thrust23THRUST_200600_302600_NS4plusIfEEEEZZNS1_33reduce_by_key_impl_wrapped_configILNS1_25lookback_scan_determinismE1ES3_S9_NS6_6detail15normal_iteratorINS6_10device_ptrIfEEEESG_SG_SG_PmS8_NS6_8equal_toIfEEEE10hipError_tPvRmT2_T3_mT4_T5_T6_T7_T8_P12ihipStream_tbENKUlT_T0_E_clISt17integral_constantIbLb0EES11_EEDaSW_SX_EUlSW_E_NS1_11comp_targetILNS1_3genE8ELNS1_11target_archE1030ELNS1_3gpuE2ELNS1_3repE0EEENS1_30default_config_static_selectorELNS0_4arch9wavefront6targetE0EEEvT1_
                                        ; -- End function
	.section	.AMDGPU.csdata,"",@progbits
; Kernel info:
; codeLenInByte = 0
; NumSgprs: 0
; NumVgprs: 0
; ScratchSize: 0
; MemoryBound: 0
; FloatMode: 240
; IeeeMode: 1
; LDSByteSize: 0 bytes/workgroup (compile time only)
; SGPRBlocks: 0
; VGPRBlocks: 0
; NumSGPRsForWavesPerEU: 1
; NumVGPRsForWavesPerEU: 1
; Occupancy: 16
; WaveLimiterHint : 0
; COMPUTE_PGM_RSRC2:SCRATCH_EN: 0
; COMPUTE_PGM_RSRC2:USER_SGPR: 15
; COMPUTE_PGM_RSRC2:TRAP_HANDLER: 0
; COMPUTE_PGM_RSRC2:TGID_X_EN: 1
; COMPUTE_PGM_RSRC2:TGID_Y_EN: 0
; COMPUTE_PGM_RSRC2:TGID_Z_EN: 0
; COMPUTE_PGM_RSRC2:TIDIG_COMP_CNT: 0
	.section	.text._ZN7rocprim17ROCPRIM_400000_NS6detail25reduce_by_key_init_kernelINS1_19lookback_scan_stateINS0_5tupleIJjfEEELb1ELb1EEEfNS1_16block_id_wrapperIjLb1EEEEEvT_jbjPmPT0_T1_,"axG",@progbits,_ZN7rocprim17ROCPRIM_400000_NS6detail25reduce_by_key_init_kernelINS1_19lookback_scan_stateINS0_5tupleIJjfEEELb1ELb1EEEfNS1_16block_id_wrapperIjLb1EEEEEvT_jbjPmPT0_T1_,comdat
	.protected	_ZN7rocprim17ROCPRIM_400000_NS6detail25reduce_by_key_init_kernelINS1_19lookback_scan_stateINS0_5tupleIJjfEEELb1ELb1EEEfNS1_16block_id_wrapperIjLb1EEEEEvT_jbjPmPT0_T1_ ; -- Begin function _ZN7rocprim17ROCPRIM_400000_NS6detail25reduce_by_key_init_kernelINS1_19lookback_scan_stateINS0_5tupleIJjfEEELb1ELb1EEEfNS1_16block_id_wrapperIjLb1EEEEEvT_jbjPmPT0_T1_
	.globl	_ZN7rocprim17ROCPRIM_400000_NS6detail25reduce_by_key_init_kernelINS1_19lookback_scan_stateINS0_5tupleIJjfEEELb1ELb1EEEfNS1_16block_id_wrapperIjLb1EEEEEvT_jbjPmPT0_T1_
	.p2align	8
	.type	_ZN7rocprim17ROCPRIM_400000_NS6detail25reduce_by_key_init_kernelINS1_19lookback_scan_stateINS0_5tupleIJjfEEELb1ELb1EEEfNS1_16block_id_wrapperIjLb1EEEEEvT_jbjPmPT0_T1_,@function
_ZN7rocprim17ROCPRIM_400000_NS6detail25reduce_by_key_init_kernelINS1_19lookback_scan_stateINS0_5tupleIJjfEEELb1ELb1EEEfNS1_16block_id_wrapperIjLb1EEEEEvT_jbjPmPT0_T1_: ; @_ZN7rocprim17ROCPRIM_400000_NS6detail25reduce_by_key_init_kernelINS1_19lookback_scan_stateINS0_5tupleIJjfEEELb1ELb1EEEfNS1_16block_id_wrapperIjLb1EEEEEvT_jbjPmPT0_T1_
; %bb.0:
	s_clause 0x3
	s_load_b32 s14, s[0:1], 0x3c
	s_load_b256 s[4:11], s[0:1], 0x8
	s_load_b64 s[12:13], s[0:1], 0x28
	s_load_b64 s[2:3], s[0:1], 0x0
	s_mov_b32 s1, -1
	s_waitcnt lgkmcnt(0)
	s_and_b32 s0, s14, 0xffff
	s_delay_alu instid0(SALU_CYCLE_1) | instskip(SKIP_1) | instid1(SALU_CYCLE_1)
	v_mad_u64_u32 v[1:2], null, s15, s0, v[0:1]
	s_and_b32 s0, s5, 1
	s_cmp_eq_u32 s0, 0
	s_cbranch_scc0 .LBB98_10
; %bb.1:
	s_cmp_lt_u32 s6, s4
	s_mov_b32 s5, exec_lo
	s_cselect_b32 s0, s6, 0
	s_delay_alu instid0(VALU_DEP_1) | instid1(SALU_CYCLE_1)
	v_cmpx_eq_u32_e64 s0, v1
	s_cbranch_execz .LBB98_9
; %bb.2:
	s_add_i32 s0, s6, 32
	s_mov_b32 s1, 0
	s_delay_alu instid0(SALU_CYCLE_1) | instskip(SKIP_3) | instid1(SALU_CYCLE_1)
	s_lshl_b64 s[6:7], s[0:1], 4
	s_mov_b32 s0, exec_lo
	s_add_u32 s6, s2, s6
	s_addc_u32 s7, s3, s7
	v_dual_mov_b32 v2, s6 :: v_dual_mov_b32 v3, s7
	;;#ASMSTART
	global_load_dwordx4 v[2:5], v[2:3] off glc	
s_waitcnt vmcnt(0)
	;;#ASMEND
	s_delay_alu instid0(VALU_DEP_1) | instskip(SKIP_3) | instid1(VALU_DEP_1)
	v_lshrrev_b64 v[11:12], 8, v[2:3]
	v_lshrrev_b64 v[9:10], 16, v[2:3]
	;; [unrolled: 1-line block ×3, first 2 shown]
	v_dual_mov_b32 v6, 0 :: v_dual_and_b32 v5, 0xff, v4
	v_cmpx_eq_u64_e32 0, v[5:6]
	s_cbranch_execz .LBB98_8
; %bb.3:
	v_dual_mov_b32 v8, s7 :: v_dual_mov_b32 v7, s6
	s_mov_b32 s6, 1
	.p2align	6
.LBB98_4:                               ; =>This Loop Header: Depth=1
                                        ;     Child Loop BB98_5 Depth 2
	s_delay_alu instid0(SALU_CYCLE_1)
	s_max_u32 s7, s6, 1
.LBB98_5:                               ;   Parent Loop BB98_4 Depth=1
                                        ; =>  This Inner Loop Header: Depth=2
	s_delay_alu instid0(SALU_CYCLE_1)
	s_add_i32 s7, s7, -1
	s_sleep 1
	s_cmp_eq_u32 s7, 0
	s_cbranch_scc0 .LBB98_5
; %bb.6:                                ;   in Loop: Header=BB98_4 Depth=1
	;;#ASMSTART
	global_load_dwordx4 v[2:5], v[7:8] off glc	
s_waitcnt vmcnt(0)
	;;#ASMEND
	v_and_b32_e32 v5, 0xff, v4
	s_cmp_lt_u32 s6, 32
	s_cselect_b32 s7, -1, 0
	s_delay_alu instid0(SALU_CYCLE_1) | instskip(NEXT) | instid1(VALU_DEP_1)
	s_cmp_lg_u32 s7, 0
	v_cmp_ne_u64_e32 vcc_lo, 0, v[5:6]
	s_addc_u32 s6, s6, 0
	s_or_b32 s1, vcc_lo, s1
	s_delay_alu instid0(SALU_CYCLE_1)
	s_and_not1_b32 exec_lo, exec_lo, s1
	s_cbranch_execnz .LBB98_4
; %bb.7:
	s_or_b32 exec_lo, exec_lo, s1
	v_lshrrev_b64 v[7:8], 24, v[2:3]
	v_lshrrev_b64 v[9:10], 16, v[2:3]
	;; [unrolled: 1-line block ×3, first 2 shown]
.LBB98_8:
	s_or_b32 exec_lo, exec_lo, s0
	v_mov_b32_e32 v0, 0
	s_delay_alu instid0(VALU_DEP_2) | instskip(NEXT) | instid1(VALU_DEP_4)
	v_lshlrev_b32_e32 v6, 8, v11
	v_lshlrev_b32_e32 v8, 16, v9
	global_load_b64 v[4:5], v0, s[8:9]
	v_perm_b32 v2, v6, v2, 0xc0c0500
	v_lshlrev_b32_e32 v6, 24, v7
	s_delay_alu instid0(VALU_DEP_2) | instskip(SKIP_1) | instid1(VALU_DEP_1)
	v_and_or_b32 v2, 0xff0000, v8, v2
	s_waitcnt vmcnt(0)
	v_add_co_u32 v2, vcc_lo, v2, v4
	v_add_co_ci_u32_e32 v5, vcc_lo, 0, v5, vcc_lo
	s_delay_alu instid0(VALU_DEP_2) | instskip(NEXT) | instid1(VALU_DEP_2)
	v_add_co_u32 v4, vcc_lo, v2, v6
	v_add_co_ci_u32_e32 v5, vcc_lo, 0, v5, vcc_lo
	s_clause 0x1
	global_store_b64 v0, v[4:5], s[8:9]
	global_store_b32 v0, v3, s[10:11]
.LBB98_9:
	s_or_b32 exec_lo, exec_lo, s5
	s_mov_b32 s1, 0
.LBB98_10:
	s_delay_alu instid0(VALU_DEP_1)
	v_cmp_eq_u32_e64 s0, 0, v1
	s_and_not1_b32 vcc_lo, exec_lo, s1
	s_cbranch_vccnz .LBB98_14
; %bb.11:
	s_cmp_lg_u64 s[8:9], 0
	s_cselect_b32 s1, -1, 0
	s_delay_alu instid0(SALU_CYCLE_1) | instskip(NEXT) | instid1(SALU_CYCLE_1)
	s_and_b32 s1, s1, s0
	s_and_saveexec_b32 s0, s1
	s_cbranch_execz .LBB98_13
; %bb.12:
	v_mov_b32_e32 v2, 0
	s_delay_alu instid0(VALU_DEP_1)
	v_mov_b32_e32 v3, v2
	global_store_b64 v2, v[2:3], s[8:9]
.LBB98_13:
	s_or_b32 exec_lo, exec_lo, s0
.LBB98_14:
	s_delay_alu instid0(SALU_CYCLE_1)
	s_mov_b32 s0, exec_lo
	v_cmpx_eq_u32_e32 0, v1
	s_cbranch_execz .LBB98_16
; %bb.15:
	v_mov_b32_e32 v0, 0
	global_store_b32 v0, v0, s[12:13]
.LBB98_16:
	s_or_b32 exec_lo, exec_lo, s0
	s_delay_alu instid0(SALU_CYCLE_1)
	s_mov_b32 s0, exec_lo
	v_cmpx_gt_u32_e64 s4, v1
	s_cbranch_execz .LBB98_18
; %bb.17:
	v_dual_mov_b32 v3, 0 :: v_dual_add_nc_u32 v2, 32, v1
	s_delay_alu instid0(VALU_DEP_1) | instskip(SKIP_2) | instid1(VALU_DEP_3)
	v_lshlrev_b64 v[5:6], 4, v[2:3]
	v_mov_b32_e32 v2, v3
	v_mov_b32_e32 v4, v3
	v_add_co_u32 v7, vcc_lo, s2, v5
	s_delay_alu instid0(VALU_DEP_4)
	v_add_co_ci_u32_e32 v8, vcc_lo, s3, v6, vcc_lo
	v_mov_b32_e32 v5, v3
	global_store_b128 v[7:8], v[2:5], off
.LBB98_18:
	s_or_b32 exec_lo, exec_lo, s0
	s_delay_alu instid0(SALU_CYCLE_1)
	s_mov_b32 s0, exec_lo
	v_cmpx_gt_u32_e32 32, v1
	s_cbranch_execz .LBB98_20
; %bb.19:
	v_dual_mov_b32 v2, 0 :: v_dual_mov_b32 v3, 0xff
	s_delay_alu instid0(VALU_DEP_1) | instskip(SKIP_1) | instid1(VALU_DEP_2)
	v_lshlrev_b64 v[4:5], 4, v[1:2]
	v_mov_b32_e32 v1, v2
	v_add_co_u32 v6, vcc_lo, s2, v4
	s_delay_alu instid0(VALU_DEP_3)
	v_add_co_ci_u32_e32 v7, vcc_lo, s3, v5, vcc_lo
	v_mov_b32_e32 v4, v2
	global_store_b128 v[6:7], v[1:4], off
.LBB98_20:
	s_nop 0
	s_sendmsg sendmsg(MSG_DEALLOC_VGPRS)
	s_endpgm
	.section	.rodata,"a",@progbits
	.p2align	6, 0x0
	.amdhsa_kernel _ZN7rocprim17ROCPRIM_400000_NS6detail25reduce_by_key_init_kernelINS1_19lookback_scan_stateINS0_5tupleIJjfEEELb1ELb1EEEfNS1_16block_id_wrapperIjLb1EEEEEvT_jbjPmPT0_T1_
		.amdhsa_group_segment_fixed_size 0
		.amdhsa_private_segment_fixed_size 0
		.amdhsa_kernarg_size 304
		.amdhsa_user_sgpr_count 15
		.amdhsa_user_sgpr_dispatch_ptr 0
		.amdhsa_user_sgpr_queue_ptr 0
		.amdhsa_user_sgpr_kernarg_segment_ptr 1
		.amdhsa_user_sgpr_dispatch_id 0
		.amdhsa_user_sgpr_private_segment_size 0
		.amdhsa_wavefront_size32 1
		.amdhsa_uses_dynamic_stack 0
		.amdhsa_enable_private_segment 0
		.amdhsa_system_sgpr_workgroup_id_x 1
		.amdhsa_system_sgpr_workgroup_id_y 0
		.amdhsa_system_sgpr_workgroup_id_z 0
		.amdhsa_system_sgpr_workgroup_info 0
		.amdhsa_system_vgpr_workitem_id 0
		.amdhsa_next_free_vgpr 13
		.amdhsa_next_free_sgpr 16
		.amdhsa_reserve_vcc 1
		.amdhsa_float_round_mode_32 0
		.amdhsa_float_round_mode_16_64 0
		.amdhsa_float_denorm_mode_32 3
		.amdhsa_float_denorm_mode_16_64 3
		.amdhsa_dx10_clamp 1
		.amdhsa_ieee_mode 1
		.amdhsa_fp16_overflow 0
		.amdhsa_workgroup_processor_mode 1
		.amdhsa_memory_ordered 1
		.amdhsa_forward_progress 0
		.amdhsa_shared_vgpr_count 0
		.amdhsa_exception_fp_ieee_invalid_op 0
		.amdhsa_exception_fp_denorm_src 0
		.amdhsa_exception_fp_ieee_div_zero 0
		.amdhsa_exception_fp_ieee_overflow 0
		.amdhsa_exception_fp_ieee_underflow 0
		.amdhsa_exception_fp_ieee_inexact 0
		.amdhsa_exception_int_div_zero 0
	.end_amdhsa_kernel
	.section	.text._ZN7rocprim17ROCPRIM_400000_NS6detail25reduce_by_key_init_kernelINS1_19lookback_scan_stateINS0_5tupleIJjfEEELb1ELb1EEEfNS1_16block_id_wrapperIjLb1EEEEEvT_jbjPmPT0_T1_,"axG",@progbits,_ZN7rocprim17ROCPRIM_400000_NS6detail25reduce_by_key_init_kernelINS1_19lookback_scan_stateINS0_5tupleIJjfEEELb1ELb1EEEfNS1_16block_id_wrapperIjLb1EEEEEvT_jbjPmPT0_T1_,comdat
.Lfunc_end98:
	.size	_ZN7rocprim17ROCPRIM_400000_NS6detail25reduce_by_key_init_kernelINS1_19lookback_scan_stateINS0_5tupleIJjfEEELb1ELb1EEEfNS1_16block_id_wrapperIjLb1EEEEEvT_jbjPmPT0_T1_, .Lfunc_end98-_ZN7rocprim17ROCPRIM_400000_NS6detail25reduce_by_key_init_kernelINS1_19lookback_scan_stateINS0_5tupleIJjfEEELb1ELb1EEEfNS1_16block_id_wrapperIjLb1EEEEEvT_jbjPmPT0_T1_
                                        ; -- End function
	.section	.AMDGPU.csdata,"",@progbits
; Kernel info:
; codeLenInByte = 768
; NumSgprs: 18
; NumVgprs: 13
; ScratchSize: 0
; MemoryBound: 0
; FloatMode: 240
; IeeeMode: 1
; LDSByteSize: 0 bytes/workgroup (compile time only)
; SGPRBlocks: 2
; VGPRBlocks: 1
; NumSGPRsForWavesPerEU: 18
; NumVGPRsForWavesPerEU: 13
; Occupancy: 16
; WaveLimiterHint : 0
; COMPUTE_PGM_RSRC2:SCRATCH_EN: 0
; COMPUTE_PGM_RSRC2:USER_SGPR: 15
; COMPUTE_PGM_RSRC2:TRAP_HANDLER: 0
; COMPUTE_PGM_RSRC2:TGID_X_EN: 1
; COMPUTE_PGM_RSRC2:TGID_Y_EN: 0
; COMPUTE_PGM_RSRC2:TGID_Z_EN: 0
; COMPUTE_PGM_RSRC2:TIDIG_COMP_CNT: 0
	.section	.text._ZN7rocprim17ROCPRIM_400000_NS6detail17trampoline_kernelINS0_14default_configENS1_29reduce_by_key_config_selectorIffN6thrust23THRUST_200600_302600_NS4plusIfEEEEZZNS1_33reduce_by_key_impl_wrapped_configILNS1_25lookback_scan_determinismE1ES3_S9_NS6_6detail15normal_iteratorINS6_10device_ptrIfEEEESG_SG_SG_PmS8_NS6_8equal_toIfEEEE10hipError_tPvRmT2_T3_mT4_T5_T6_T7_T8_P12ihipStream_tbENKUlT_T0_E_clISt17integral_constantIbLb1EES11_EEDaSW_SX_EUlSW_E_NS1_11comp_targetILNS1_3genE0ELNS1_11target_archE4294967295ELNS1_3gpuE0ELNS1_3repE0EEENS1_30default_config_static_selectorELNS0_4arch9wavefront6targetE0EEEvT1_,"axG",@progbits,_ZN7rocprim17ROCPRIM_400000_NS6detail17trampoline_kernelINS0_14default_configENS1_29reduce_by_key_config_selectorIffN6thrust23THRUST_200600_302600_NS4plusIfEEEEZZNS1_33reduce_by_key_impl_wrapped_configILNS1_25lookback_scan_determinismE1ES3_S9_NS6_6detail15normal_iteratorINS6_10device_ptrIfEEEESG_SG_SG_PmS8_NS6_8equal_toIfEEEE10hipError_tPvRmT2_T3_mT4_T5_T6_T7_T8_P12ihipStream_tbENKUlT_T0_E_clISt17integral_constantIbLb1EES11_EEDaSW_SX_EUlSW_E_NS1_11comp_targetILNS1_3genE0ELNS1_11target_archE4294967295ELNS1_3gpuE0ELNS1_3repE0EEENS1_30default_config_static_selectorELNS0_4arch9wavefront6targetE0EEEvT1_,comdat
	.protected	_ZN7rocprim17ROCPRIM_400000_NS6detail17trampoline_kernelINS0_14default_configENS1_29reduce_by_key_config_selectorIffN6thrust23THRUST_200600_302600_NS4plusIfEEEEZZNS1_33reduce_by_key_impl_wrapped_configILNS1_25lookback_scan_determinismE1ES3_S9_NS6_6detail15normal_iteratorINS6_10device_ptrIfEEEESG_SG_SG_PmS8_NS6_8equal_toIfEEEE10hipError_tPvRmT2_T3_mT4_T5_T6_T7_T8_P12ihipStream_tbENKUlT_T0_E_clISt17integral_constantIbLb1EES11_EEDaSW_SX_EUlSW_E_NS1_11comp_targetILNS1_3genE0ELNS1_11target_archE4294967295ELNS1_3gpuE0ELNS1_3repE0EEENS1_30default_config_static_selectorELNS0_4arch9wavefront6targetE0EEEvT1_ ; -- Begin function _ZN7rocprim17ROCPRIM_400000_NS6detail17trampoline_kernelINS0_14default_configENS1_29reduce_by_key_config_selectorIffN6thrust23THRUST_200600_302600_NS4plusIfEEEEZZNS1_33reduce_by_key_impl_wrapped_configILNS1_25lookback_scan_determinismE1ES3_S9_NS6_6detail15normal_iteratorINS6_10device_ptrIfEEEESG_SG_SG_PmS8_NS6_8equal_toIfEEEE10hipError_tPvRmT2_T3_mT4_T5_T6_T7_T8_P12ihipStream_tbENKUlT_T0_E_clISt17integral_constantIbLb1EES11_EEDaSW_SX_EUlSW_E_NS1_11comp_targetILNS1_3genE0ELNS1_11target_archE4294967295ELNS1_3gpuE0ELNS1_3repE0EEENS1_30default_config_static_selectorELNS0_4arch9wavefront6targetE0EEEvT1_
	.globl	_ZN7rocprim17ROCPRIM_400000_NS6detail17trampoline_kernelINS0_14default_configENS1_29reduce_by_key_config_selectorIffN6thrust23THRUST_200600_302600_NS4plusIfEEEEZZNS1_33reduce_by_key_impl_wrapped_configILNS1_25lookback_scan_determinismE1ES3_S9_NS6_6detail15normal_iteratorINS6_10device_ptrIfEEEESG_SG_SG_PmS8_NS6_8equal_toIfEEEE10hipError_tPvRmT2_T3_mT4_T5_T6_T7_T8_P12ihipStream_tbENKUlT_T0_E_clISt17integral_constantIbLb1EES11_EEDaSW_SX_EUlSW_E_NS1_11comp_targetILNS1_3genE0ELNS1_11target_archE4294967295ELNS1_3gpuE0ELNS1_3repE0EEENS1_30default_config_static_selectorELNS0_4arch9wavefront6targetE0EEEvT1_
	.p2align	8
	.type	_ZN7rocprim17ROCPRIM_400000_NS6detail17trampoline_kernelINS0_14default_configENS1_29reduce_by_key_config_selectorIffN6thrust23THRUST_200600_302600_NS4plusIfEEEEZZNS1_33reduce_by_key_impl_wrapped_configILNS1_25lookback_scan_determinismE1ES3_S9_NS6_6detail15normal_iteratorINS6_10device_ptrIfEEEESG_SG_SG_PmS8_NS6_8equal_toIfEEEE10hipError_tPvRmT2_T3_mT4_T5_T6_T7_T8_P12ihipStream_tbENKUlT_T0_E_clISt17integral_constantIbLb1EES11_EEDaSW_SX_EUlSW_E_NS1_11comp_targetILNS1_3genE0ELNS1_11target_archE4294967295ELNS1_3gpuE0ELNS1_3repE0EEENS1_30default_config_static_selectorELNS0_4arch9wavefront6targetE0EEEvT1_,@function
_ZN7rocprim17ROCPRIM_400000_NS6detail17trampoline_kernelINS0_14default_configENS1_29reduce_by_key_config_selectorIffN6thrust23THRUST_200600_302600_NS4plusIfEEEEZZNS1_33reduce_by_key_impl_wrapped_configILNS1_25lookback_scan_determinismE1ES3_S9_NS6_6detail15normal_iteratorINS6_10device_ptrIfEEEESG_SG_SG_PmS8_NS6_8equal_toIfEEEE10hipError_tPvRmT2_T3_mT4_T5_T6_T7_T8_P12ihipStream_tbENKUlT_T0_E_clISt17integral_constantIbLb1EES11_EEDaSW_SX_EUlSW_E_NS1_11comp_targetILNS1_3genE0ELNS1_11target_archE4294967295ELNS1_3gpuE0ELNS1_3repE0EEENS1_30default_config_static_selectorELNS0_4arch9wavefront6targetE0EEEvT1_: ; @_ZN7rocprim17ROCPRIM_400000_NS6detail17trampoline_kernelINS0_14default_configENS1_29reduce_by_key_config_selectorIffN6thrust23THRUST_200600_302600_NS4plusIfEEEEZZNS1_33reduce_by_key_impl_wrapped_configILNS1_25lookback_scan_determinismE1ES3_S9_NS6_6detail15normal_iteratorINS6_10device_ptrIfEEEESG_SG_SG_PmS8_NS6_8equal_toIfEEEE10hipError_tPvRmT2_T3_mT4_T5_T6_T7_T8_P12ihipStream_tbENKUlT_T0_E_clISt17integral_constantIbLb1EES11_EEDaSW_SX_EUlSW_E_NS1_11comp_targetILNS1_3genE0ELNS1_11target_archE4294967295ELNS1_3gpuE0ELNS1_3repE0EEENS1_30default_config_static_selectorELNS0_4arch9wavefront6targetE0EEEvT1_
; %bb.0:
	.section	.rodata,"a",@progbits
	.p2align	6, 0x0
	.amdhsa_kernel _ZN7rocprim17ROCPRIM_400000_NS6detail17trampoline_kernelINS0_14default_configENS1_29reduce_by_key_config_selectorIffN6thrust23THRUST_200600_302600_NS4plusIfEEEEZZNS1_33reduce_by_key_impl_wrapped_configILNS1_25lookback_scan_determinismE1ES3_S9_NS6_6detail15normal_iteratorINS6_10device_ptrIfEEEESG_SG_SG_PmS8_NS6_8equal_toIfEEEE10hipError_tPvRmT2_T3_mT4_T5_T6_T7_T8_P12ihipStream_tbENKUlT_T0_E_clISt17integral_constantIbLb1EES11_EEDaSW_SX_EUlSW_E_NS1_11comp_targetILNS1_3genE0ELNS1_11target_archE4294967295ELNS1_3gpuE0ELNS1_3repE0EEENS1_30default_config_static_selectorELNS0_4arch9wavefront6targetE0EEEvT1_
		.amdhsa_group_segment_fixed_size 0
		.amdhsa_private_segment_fixed_size 0
		.amdhsa_kernarg_size 120
		.amdhsa_user_sgpr_count 15
		.amdhsa_user_sgpr_dispatch_ptr 0
		.amdhsa_user_sgpr_queue_ptr 0
		.amdhsa_user_sgpr_kernarg_segment_ptr 1
		.amdhsa_user_sgpr_dispatch_id 0
		.amdhsa_user_sgpr_private_segment_size 0
		.amdhsa_wavefront_size32 1
		.amdhsa_uses_dynamic_stack 0
		.amdhsa_enable_private_segment 0
		.amdhsa_system_sgpr_workgroup_id_x 1
		.amdhsa_system_sgpr_workgroup_id_y 0
		.amdhsa_system_sgpr_workgroup_id_z 0
		.amdhsa_system_sgpr_workgroup_info 0
		.amdhsa_system_vgpr_workitem_id 0
		.amdhsa_next_free_vgpr 1
		.amdhsa_next_free_sgpr 1
		.amdhsa_reserve_vcc 0
		.amdhsa_float_round_mode_32 0
		.amdhsa_float_round_mode_16_64 0
		.amdhsa_float_denorm_mode_32 3
		.amdhsa_float_denorm_mode_16_64 3
		.amdhsa_dx10_clamp 1
		.amdhsa_ieee_mode 1
		.amdhsa_fp16_overflow 0
		.amdhsa_workgroup_processor_mode 1
		.amdhsa_memory_ordered 1
		.amdhsa_forward_progress 0
		.amdhsa_shared_vgpr_count 0
		.amdhsa_exception_fp_ieee_invalid_op 0
		.amdhsa_exception_fp_denorm_src 0
		.amdhsa_exception_fp_ieee_div_zero 0
		.amdhsa_exception_fp_ieee_overflow 0
		.amdhsa_exception_fp_ieee_underflow 0
		.amdhsa_exception_fp_ieee_inexact 0
		.amdhsa_exception_int_div_zero 0
	.end_amdhsa_kernel
	.section	.text._ZN7rocprim17ROCPRIM_400000_NS6detail17trampoline_kernelINS0_14default_configENS1_29reduce_by_key_config_selectorIffN6thrust23THRUST_200600_302600_NS4plusIfEEEEZZNS1_33reduce_by_key_impl_wrapped_configILNS1_25lookback_scan_determinismE1ES3_S9_NS6_6detail15normal_iteratorINS6_10device_ptrIfEEEESG_SG_SG_PmS8_NS6_8equal_toIfEEEE10hipError_tPvRmT2_T3_mT4_T5_T6_T7_T8_P12ihipStream_tbENKUlT_T0_E_clISt17integral_constantIbLb1EES11_EEDaSW_SX_EUlSW_E_NS1_11comp_targetILNS1_3genE0ELNS1_11target_archE4294967295ELNS1_3gpuE0ELNS1_3repE0EEENS1_30default_config_static_selectorELNS0_4arch9wavefront6targetE0EEEvT1_,"axG",@progbits,_ZN7rocprim17ROCPRIM_400000_NS6detail17trampoline_kernelINS0_14default_configENS1_29reduce_by_key_config_selectorIffN6thrust23THRUST_200600_302600_NS4plusIfEEEEZZNS1_33reduce_by_key_impl_wrapped_configILNS1_25lookback_scan_determinismE1ES3_S9_NS6_6detail15normal_iteratorINS6_10device_ptrIfEEEESG_SG_SG_PmS8_NS6_8equal_toIfEEEE10hipError_tPvRmT2_T3_mT4_T5_T6_T7_T8_P12ihipStream_tbENKUlT_T0_E_clISt17integral_constantIbLb1EES11_EEDaSW_SX_EUlSW_E_NS1_11comp_targetILNS1_3genE0ELNS1_11target_archE4294967295ELNS1_3gpuE0ELNS1_3repE0EEENS1_30default_config_static_selectorELNS0_4arch9wavefront6targetE0EEEvT1_,comdat
.Lfunc_end99:
	.size	_ZN7rocprim17ROCPRIM_400000_NS6detail17trampoline_kernelINS0_14default_configENS1_29reduce_by_key_config_selectorIffN6thrust23THRUST_200600_302600_NS4plusIfEEEEZZNS1_33reduce_by_key_impl_wrapped_configILNS1_25lookback_scan_determinismE1ES3_S9_NS6_6detail15normal_iteratorINS6_10device_ptrIfEEEESG_SG_SG_PmS8_NS6_8equal_toIfEEEE10hipError_tPvRmT2_T3_mT4_T5_T6_T7_T8_P12ihipStream_tbENKUlT_T0_E_clISt17integral_constantIbLb1EES11_EEDaSW_SX_EUlSW_E_NS1_11comp_targetILNS1_3genE0ELNS1_11target_archE4294967295ELNS1_3gpuE0ELNS1_3repE0EEENS1_30default_config_static_selectorELNS0_4arch9wavefront6targetE0EEEvT1_, .Lfunc_end99-_ZN7rocprim17ROCPRIM_400000_NS6detail17trampoline_kernelINS0_14default_configENS1_29reduce_by_key_config_selectorIffN6thrust23THRUST_200600_302600_NS4plusIfEEEEZZNS1_33reduce_by_key_impl_wrapped_configILNS1_25lookback_scan_determinismE1ES3_S9_NS6_6detail15normal_iteratorINS6_10device_ptrIfEEEESG_SG_SG_PmS8_NS6_8equal_toIfEEEE10hipError_tPvRmT2_T3_mT4_T5_T6_T7_T8_P12ihipStream_tbENKUlT_T0_E_clISt17integral_constantIbLb1EES11_EEDaSW_SX_EUlSW_E_NS1_11comp_targetILNS1_3genE0ELNS1_11target_archE4294967295ELNS1_3gpuE0ELNS1_3repE0EEENS1_30default_config_static_selectorELNS0_4arch9wavefront6targetE0EEEvT1_
                                        ; -- End function
	.section	.AMDGPU.csdata,"",@progbits
; Kernel info:
; codeLenInByte = 0
; NumSgprs: 0
; NumVgprs: 0
; ScratchSize: 0
; MemoryBound: 0
; FloatMode: 240
; IeeeMode: 1
; LDSByteSize: 0 bytes/workgroup (compile time only)
; SGPRBlocks: 0
; VGPRBlocks: 0
; NumSGPRsForWavesPerEU: 1
; NumVGPRsForWavesPerEU: 1
; Occupancy: 16
; WaveLimiterHint : 0
; COMPUTE_PGM_RSRC2:SCRATCH_EN: 0
; COMPUTE_PGM_RSRC2:USER_SGPR: 15
; COMPUTE_PGM_RSRC2:TRAP_HANDLER: 0
; COMPUTE_PGM_RSRC2:TGID_X_EN: 1
; COMPUTE_PGM_RSRC2:TGID_Y_EN: 0
; COMPUTE_PGM_RSRC2:TGID_Z_EN: 0
; COMPUTE_PGM_RSRC2:TIDIG_COMP_CNT: 0
	.section	.text._ZN7rocprim17ROCPRIM_400000_NS6detail17trampoline_kernelINS0_14default_configENS1_29reduce_by_key_config_selectorIffN6thrust23THRUST_200600_302600_NS4plusIfEEEEZZNS1_33reduce_by_key_impl_wrapped_configILNS1_25lookback_scan_determinismE1ES3_S9_NS6_6detail15normal_iteratorINS6_10device_ptrIfEEEESG_SG_SG_PmS8_NS6_8equal_toIfEEEE10hipError_tPvRmT2_T3_mT4_T5_T6_T7_T8_P12ihipStream_tbENKUlT_T0_E_clISt17integral_constantIbLb1EES11_EEDaSW_SX_EUlSW_E_NS1_11comp_targetILNS1_3genE5ELNS1_11target_archE942ELNS1_3gpuE9ELNS1_3repE0EEENS1_30default_config_static_selectorELNS0_4arch9wavefront6targetE0EEEvT1_,"axG",@progbits,_ZN7rocprim17ROCPRIM_400000_NS6detail17trampoline_kernelINS0_14default_configENS1_29reduce_by_key_config_selectorIffN6thrust23THRUST_200600_302600_NS4plusIfEEEEZZNS1_33reduce_by_key_impl_wrapped_configILNS1_25lookback_scan_determinismE1ES3_S9_NS6_6detail15normal_iteratorINS6_10device_ptrIfEEEESG_SG_SG_PmS8_NS6_8equal_toIfEEEE10hipError_tPvRmT2_T3_mT4_T5_T6_T7_T8_P12ihipStream_tbENKUlT_T0_E_clISt17integral_constantIbLb1EES11_EEDaSW_SX_EUlSW_E_NS1_11comp_targetILNS1_3genE5ELNS1_11target_archE942ELNS1_3gpuE9ELNS1_3repE0EEENS1_30default_config_static_selectorELNS0_4arch9wavefront6targetE0EEEvT1_,comdat
	.protected	_ZN7rocprim17ROCPRIM_400000_NS6detail17trampoline_kernelINS0_14default_configENS1_29reduce_by_key_config_selectorIffN6thrust23THRUST_200600_302600_NS4plusIfEEEEZZNS1_33reduce_by_key_impl_wrapped_configILNS1_25lookback_scan_determinismE1ES3_S9_NS6_6detail15normal_iteratorINS6_10device_ptrIfEEEESG_SG_SG_PmS8_NS6_8equal_toIfEEEE10hipError_tPvRmT2_T3_mT4_T5_T6_T7_T8_P12ihipStream_tbENKUlT_T0_E_clISt17integral_constantIbLb1EES11_EEDaSW_SX_EUlSW_E_NS1_11comp_targetILNS1_3genE5ELNS1_11target_archE942ELNS1_3gpuE9ELNS1_3repE0EEENS1_30default_config_static_selectorELNS0_4arch9wavefront6targetE0EEEvT1_ ; -- Begin function _ZN7rocprim17ROCPRIM_400000_NS6detail17trampoline_kernelINS0_14default_configENS1_29reduce_by_key_config_selectorIffN6thrust23THRUST_200600_302600_NS4plusIfEEEEZZNS1_33reduce_by_key_impl_wrapped_configILNS1_25lookback_scan_determinismE1ES3_S9_NS6_6detail15normal_iteratorINS6_10device_ptrIfEEEESG_SG_SG_PmS8_NS6_8equal_toIfEEEE10hipError_tPvRmT2_T3_mT4_T5_T6_T7_T8_P12ihipStream_tbENKUlT_T0_E_clISt17integral_constantIbLb1EES11_EEDaSW_SX_EUlSW_E_NS1_11comp_targetILNS1_3genE5ELNS1_11target_archE942ELNS1_3gpuE9ELNS1_3repE0EEENS1_30default_config_static_selectorELNS0_4arch9wavefront6targetE0EEEvT1_
	.globl	_ZN7rocprim17ROCPRIM_400000_NS6detail17trampoline_kernelINS0_14default_configENS1_29reduce_by_key_config_selectorIffN6thrust23THRUST_200600_302600_NS4plusIfEEEEZZNS1_33reduce_by_key_impl_wrapped_configILNS1_25lookback_scan_determinismE1ES3_S9_NS6_6detail15normal_iteratorINS6_10device_ptrIfEEEESG_SG_SG_PmS8_NS6_8equal_toIfEEEE10hipError_tPvRmT2_T3_mT4_T5_T6_T7_T8_P12ihipStream_tbENKUlT_T0_E_clISt17integral_constantIbLb1EES11_EEDaSW_SX_EUlSW_E_NS1_11comp_targetILNS1_3genE5ELNS1_11target_archE942ELNS1_3gpuE9ELNS1_3repE0EEENS1_30default_config_static_selectorELNS0_4arch9wavefront6targetE0EEEvT1_
	.p2align	8
	.type	_ZN7rocprim17ROCPRIM_400000_NS6detail17trampoline_kernelINS0_14default_configENS1_29reduce_by_key_config_selectorIffN6thrust23THRUST_200600_302600_NS4plusIfEEEEZZNS1_33reduce_by_key_impl_wrapped_configILNS1_25lookback_scan_determinismE1ES3_S9_NS6_6detail15normal_iteratorINS6_10device_ptrIfEEEESG_SG_SG_PmS8_NS6_8equal_toIfEEEE10hipError_tPvRmT2_T3_mT4_T5_T6_T7_T8_P12ihipStream_tbENKUlT_T0_E_clISt17integral_constantIbLb1EES11_EEDaSW_SX_EUlSW_E_NS1_11comp_targetILNS1_3genE5ELNS1_11target_archE942ELNS1_3gpuE9ELNS1_3repE0EEENS1_30default_config_static_selectorELNS0_4arch9wavefront6targetE0EEEvT1_,@function
_ZN7rocprim17ROCPRIM_400000_NS6detail17trampoline_kernelINS0_14default_configENS1_29reduce_by_key_config_selectorIffN6thrust23THRUST_200600_302600_NS4plusIfEEEEZZNS1_33reduce_by_key_impl_wrapped_configILNS1_25lookback_scan_determinismE1ES3_S9_NS6_6detail15normal_iteratorINS6_10device_ptrIfEEEESG_SG_SG_PmS8_NS6_8equal_toIfEEEE10hipError_tPvRmT2_T3_mT4_T5_T6_T7_T8_P12ihipStream_tbENKUlT_T0_E_clISt17integral_constantIbLb1EES11_EEDaSW_SX_EUlSW_E_NS1_11comp_targetILNS1_3genE5ELNS1_11target_archE942ELNS1_3gpuE9ELNS1_3repE0EEENS1_30default_config_static_selectorELNS0_4arch9wavefront6targetE0EEEvT1_: ; @_ZN7rocprim17ROCPRIM_400000_NS6detail17trampoline_kernelINS0_14default_configENS1_29reduce_by_key_config_selectorIffN6thrust23THRUST_200600_302600_NS4plusIfEEEEZZNS1_33reduce_by_key_impl_wrapped_configILNS1_25lookback_scan_determinismE1ES3_S9_NS6_6detail15normal_iteratorINS6_10device_ptrIfEEEESG_SG_SG_PmS8_NS6_8equal_toIfEEEE10hipError_tPvRmT2_T3_mT4_T5_T6_T7_T8_P12ihipStream_tbENKUlT_T0_E_clISt17integral_constantIbLb1EES11_EEDaSW_SX_EUlSW_E_NS1_11comp_targetILNS1_3genE5ELNS1_11target_archE942ELNS1_3gpuE9ELNS1_3repE0EEENS1_30default_config_static_selectorELNS0_4arch9wavefront6targetE0EEEvT1_
; %bb.0:
	.section	.rodata,"a",@progbits
	.p2align	6, 0x0
	.amdhsa_kernel _ZN7rocprim17ROCPRIM_400000_NS6detail17trampoline_kernelINS0_14default_configENS1_29reduce_by_key_config_selectorIffN6thrust23THRUST_200600_302600_NS4plusIfEEEEZZNS1_33reduce_by_key_impl_wrapped_configILNS1_25lookback_scan_determinismE1ES3_S9_NS6_6detail15normal_iteratorINS6_10device_ptrIfEEEESG_SG_SG_PmS8_NS6_8equal_toIfEEEE10hipError_tPvRmT2_T3_mT4_T5_T6_T7_T8_P12ihipStream_tbENKUlT_T0_E_clISt17integral_constantIbLb1EES11_EEDaSW_SX_EUlSW_E_NS1_11comp_targetILNS1_3genE5ELNS1_11target_archE942ELNS1_3gpuE9ELNS1_3repE0EEENS1_30default_config_static_selectorELNS0_4arch9wavefront6targetE0EEEvT1_
		.amdhsa_group_segment_fixed_size 0
		.amdhsa_private_segment_fixed_size 0
		.amdhsa_kernarg_size 120
		.amdhsa_user_sgpr_count 15
		.amdhsa_user_sgpr_dispatch_ptr 0
		.amdhsa_user_sgpr_queue_ptr 0
		.amdhsa_user_sgpr_kernarg_segment_ptr 1
		.amdhsa_user_sgpr_dispatch_id 0
		.amdhsa_user_sgpr_private_segment_size 0
		.amdhsa_wavefront_size32 1
		.amdhsa_uses_dynamic_stack 0
		.amdhsa_enable_private_segment 0
		.amdhsa_system_sgpr_workgroup_id_x 1
		.amdhsa_system_sgpr_workgroup_id_y 0
		.amdhsa_system_sgpr_workgroup_id_z 0
		.amdhsa_system_sgpr_workgroup_info 0
		.amdhsa_system_vgpr_workitem_id 0
		.amdhsa_next_free_vgpr 1
		.amdhsa_next_free_sgpr 1
		.amdhsa_reserve_vcc 0
		.amdhsa_float_round_mode_32 0
		.amdhsa_float_round_mode_16_64 0
		.amdhsa_float_denorm_mode_32 3
		.amdhsa_float_denorm_mode_16_64 3
		.amdhsa_dx10_clamp 1
		.amdhsa_ieee_mode 1
		.amdhsa_fp16_overflow 0
		.amdhsa_workgroup_processor_mode 1
		.amdhsa_memory_ordered 1
		.amdhsa_forward_progress 0
		.amdhsa_shared_vgpr_count 0
		.amdhsa_exception_fp_ieee_invalid_op 0
		.amdhsa_exception_fp_denorm_src 0
		.amdhsa_exception_fp_ieee_div_zero 0
		.amdhsa_exception_fp_ieee_overflow 0
		.amdhsa_exception_fp_ieee_underflow 0
		.amdhsa_exception_fp_ieee_inexact 0
		.amdhsa_exception_int_div_zero 0
	.end_amdhsa_kernel
	.section	.text._ZN7rocprim17ROCPRIM_400000_NS6detail17trampoline_kernelINS0_14default_configENS1_29reduce_by_key_config_selectorIffN6thrust23THRUST_200600_302600_NS4plusIfEEEEZZNS1_33reduce_by_key_impl_wrapped_configILNS1_25lookback_scan_determinismE1ES3_S9_NS6_6detail15normal_iteratorINS6_10device_ptrIfEEEESG_SG_SG_PmS8_NS6_8equal_toIfEEEE10hipError_tPvRmT2_T3_mT4_T5_T6_T7_T8_P12ihipStream_tbENKUlT_T0_E_clISt17integral_constantIbLb1EES11_EEDaSW_SX_EUlSW_E_NS1_11comp_targetILNS1_3genE5ELNS1_11target_archE942ELNS1_3gpuE9ELNS1_3repE0EEENS1_30default_config_static_selectorELNS0_4arch9wavefront6targetE0EEEvT1_,"axG",@progbits,_ZN7rocprim17ROCPRIM_400000_NS6detail17trampoline_kernelINS0_14default_configENS1_29reduce_by_key_config_selectorIffN6thrust23THRUST_200600_302600_NS4plusIfEEEEZZNS1_33reduce_by_key_impl_wrapped_configILNS1_25lookback_scan_determinismE1ES3_S9_NS6_6detail15normal_iteratorINS6_10device_ptrIfEEEESG_SG_SG_PmS8_NS6_8equal_toIfEEEE10hipError_tPvRmT2_T3_mT4_T5_T6_T7_T8_P12ihipStream_tbENKUlT_T0_E_clISt17integral_constantIbLb1EES11_EEDaSW_SX_EUlSW_E_NS1_11comp_targetILNS1_3genE5ELNS1_11target_archE942ELNS1_3gpuE9ELNS1_3repE0EEENS1_30default_config_static_selectorELNS0_4arch9wavefront6targetE0EEEvT1_,comdat
.Lfunc_end100:
	.size	_ZN7rocprim17ROCPRIM_400000_NS6detail17trampoline_kernelINS0_14default_configENS1_29reduce_by_key_config_selectorIffN6thrust23THRUST_200600_302600_NS4plusIfEEEEZZNS1_33reduce_by_key_impl_wrapped_configILNS1_25lookback_scan_determinismE1ES3_S9_NS6_6detail15normal_iteratorINS6_10device_ptrIfEEEESG_SG_SG_PmS8_NS6_8equal_toIfEEEE10hipError_tPvRmT2_T3_mT4_T5_T6_T7_T8_P12ihipStream_tbENKUlT_T0_E_clISt17integral_constantIbLb1EES11_EEDaSW_SX_EUlSW_E_NS1_11comp_targetILNS1_3genE5ELNS1_11target_archE942ELNS1_3gpuE9ELNS1_3repE0EEENS1_30default_config_static_selectorELNS0_4arch9wavefront6targetE0EEEvT1_, .Lfunc_end100-_ZN7rocprim17ROCPRIM_400000_NS6detail17trampoline_kernelINS0_14default_configENS1_29reduce_by_key_config_selectorIffN6thrust23THRUST_200600_302600_NS4plusIfEEEEZZNS1_33reduce_by_key_impl_wrapped_configILNS1_25lookback_scan_determinismE1ES3_S9_NS6_6detail15normal_iteratorINS6_10device_ptrIfEEEESG_SG_SG_PmS8_NS6_8equal_toIfEEEE10hipError_tPvRmT2_T3_mT4_T5_T6_T7_T8_P12ihipStream_tbENKUlT_T0_E_clISt17integral_constantIbLb1EES11_EEDaSW_SX_EUlSW_E_NS1_11comp_targetILNS1_3genE5ELNS1_11target_archE942ELNS1_3gpuE9ELNS1_3repE0EEENS1_30default_config_static_selectorELNS0_4arch9wavefront6targetE0EEEvT1_
                                        ; -- End function
	.section	.AMDGPU.csdata,"",@progbits
; Kernel info:
; codeLenInByte = 0
; NumSgprs: 0
; NumVgprs: 0
; ScratchSize: 0
; MemoryBound: 0
; FloatMode: 240
; IeeeMode: 1
; LDSByteSize: 0 bytes/workgroup (compile time only)
; SGPRBlocks: 0
; VGPRBlocks: 0
; NumSGPRsForWavesPerEU: 1
; NumVGPRsForWavesPerEU: 1
; Occupancy: 16
; WaveLimiterHint : 0
; COMPUTE_PGM_RSRC2:SCRATCH_EN: 0
; COMPUTE_PGM_RSRC2:USER_SGPR: 15
; COMPUTE_PGM_RSRC2:TRAP_HANDLER: 0
; COMPUTE_PGM_RSRC2:TGID_X_EN: 1
; COMPUTE_PGM_RSRC2:TGID_Y_EN: 0
; COMPUTE_PGM_RSRC2:TGID_Z_EN: 0
; COMPUTE_PGM_RSRC2:TIDIG_COMP_CNT: 0
	.section	.text._ZN7rocprim17ROCPRIM_400000_NS6detail17trampoline_kernelINS0_14default_configENS1_29reduce_by_key_config_selectorIffN6thrust23THRUST_200600_302600_NS4plusIfEEEEZZNS1_33reduce_by_key_impl_wrapped_configILNS1_25lookback_scan_determinismE1ES3_S9_NS6_6detail15normal_iteratorINS6_10device_ptrIfEEEESG_SG_SG_PmS8_NS6_8equal_toIfEEEE10hipError_tPvRmT2_T3_mT4_T5_T6_T7_T8_P12ihipStream_tbENKUlT_T0_E_clISt17integral_constantIbLb1EES11_EEDaSW_SX_EUlSW_E_NS1_11comp_targetILNS1_3genE4ELNS1_11target_archE910ELNS1_3gpuE8ELNS1_3repE0EEENS1_30default_config_static_selectorELNS0_4arch9wavefront6targetE0EEEvT1_,"axG",@progbits,_ZN7rocprim17ROCPRIM_400000_NS6detail17trampoline_kernelINS0_14default_configENS1_29reduce_by_key_config_selectorIffN6thrust23THRUST_200600_302600_NS4plusIfEEEEZZNS1_33reduce_by_key_impl_wrapped_configILNS1_25lookback_scan_determinismE1ES3_S9_NS6_6detail15normal_iteratorINS6_10device_ptrIfEEEESG_SG_SG_PmS8_NS6_8equal_toIfEEEE10hipError_tPvRmT2_T3_mT4_T5_T6_T7_T8_P12ihipStream_tbENKUlT_T0_E_clISt17integral_constantIbLb1EES11_EEDaSW_SX_EUlSW_E_NS1_11comp_targetILNS1_3genE4ELNS1_11target_archE910ELNS1_3gpuE8ELNS1_3repE0EEENS1_30default_config_static_selectorELNS0_4arch9wavefront6targetE0EEEvT1_,comdat
	.protected	_ZN7rocprim17ROCPRIM_400000_NS6detail17trampoline_kernelINS0_14default_configENS1_29reduce_by_key_config_selectorIffN6thrust23THRUST_200600_302600_NS4plusIfEEEEZZNS1_33reduce_by_key_impl_wrapped_configILNS1_25lookback_scan_determinismE1ES3_S9_NS6_6detail15normal_iteratorINS6_10device_ptrIfEEEESG_SG_SG_PmS8_NS6_8equal_toIfEEEE10hipError_tPvRmT2_T3_mT4_T5_T6_T7_T8_P12ihipStream_tbENKUlT_T0_E_clISt17integral_constantIbLb1EES11_EEDaSW_SX_EUlSW_E_NS1_11comp_targetILNS1_3genE4ELNS1_11target_archE910ELNS1_3gpuE8ELNS1_3repE0EEENS1_30default_config_static_selectorELNS0_4arch9wavefront6targetE0EEEvT1_ ; -- Begin function _ZN7rocprim17ROCPRIM_400000_NS6detail17trampoline_kernelINS0_14default_configENS1_29reduce_by_key_config_selectorIffN6thrust23THRUST_200600_302600_NS4plusIfEEEEZZNS1_33reduce_by_key_impl_wrapped_configILNS1_25lookback_scan_determinismE1ES3_S9_NS6_6detail15normal_iteratorINS6_10device_ptrIfEEEESG_SG_SG_PmS8_NS6_8equal_toIfEEEE10hipError_tPvRmT2_T3_mT4_T5_T6_T7_T8_P12ihipStream_tbENKUlT_T0_E_clISt17integral_constantIbLb1EES11_EEDaSW_SX_EUlSW_E_NS1_11comp_targetILNS1_3genE4ELNS1_11target_archE910ELNS1_3gpuE8ELNS1_3repE0EEENS1_30default_config_static_selectorELNS0_4arch9wavefront6targetE0EEEvT1_
	.globl	_ZN7rocprim17ROCPRIM_400000_NS6detail17trampoline_kernelINS0_14default_configENS1_29reduce_by_key_config_selectorIffN6thrust23THRUST_200600_302600_NS4plusIfEEEEZZNS1_33reduce_by_key_impl_wrapped_configILNS1_25lookback_scan_determinismE1ES3_S9_NS6_6detail15normal_iteratorINS6_10device_ptrIfEEEESG_SG_SG_PmS8_NS6_8equal_toIfEEEE10hipError_tPvRmT2_T3_mT4_T5_T6_T7_T8_P12ihipStream_tbENKUlT_T0_E_clISt17integral_constantIbLb1EES11_EEDaSW_SX_EUlSW_E_NS1_11comp_targetILNS1_3genE4ELNS1_11target_archE910ELNS1_3gpuE8ELNS1_3repE0EEENS1_30default_config_static_selectorELNS0_4arch9wavefront6targetE0EEEvT1_
	.p2align	8
	.type	_ZN7rocprim17ROCPRIM_400000_NS6detail17trampoline_kernelINS0_14default_configENS1_29reduce_by_key_config_selectorIffN6thrust23THRUST_200600_302600_NS4plusIfEEEEZZNS1_33reduce_by_key_impl_wrapped_configILNS1_25lookback_scan_determinismE1ES3_S9_NS6_6detail15normal_iteratorINS6_10device_ptrIfEEEESG_SG_SG_PmS8_NS6_8equal_toIfEEEE10hipError_tPvRmT2_T3_mT4_T5_T6_T7_T8_P12ihipStream_tbENKUlT_T0_E_clISt17integral_constantIbLb1EES11_EEDaSW_SX_EUlSW_E_NS1_11comp_targetILNS1_3genE4ELNS1_11target_archE910ELNS1_3gpuE8ELNS1_3repE0EEENS1_30default_config_static_selectorELNS0_4arch9wavefront6targetE0EEEvT1_,@function
_ZN7rocprim17ROCPRIM_400000_NS6detail17trampoline_kernelINS0_14default_configENS1_29reduce_by_key_config_selectorIffN6thrust23THRUST_200600_302600_NS4plusIfEEEEZZNS1_33reduce_by_key_impl_wrapped_configILNS1_25lookback_scan_determinismE1ES3_S9_NS6_6detail15normal_iteratorINS6_10device_ptrIfEEEESG_SG_SG_PmS8_NS6_8equal_toIfEEEE10hipError_tPvRmT2_T3_mT4_T5_T6_T7_T8_P12ihipStream_tbENKUlT_T0_E_clISt17integral_constantIbLb1EES11_EEDaSW_SX_EUlSW_E_NS1_11comp_targetILNS1_3genE4ELNS1_11target_archE910ELNS1_3gpuE8ELNS1_3repE0EEENS1_30default_config_static_selectorELNS0_4arch9wavefront6targetE0EEEvT1_: ; @_ZN7rocprim17ROCPRIM_400000_NS6detail17trampoline_kernelINS0_14default_configENS1_29reduce_by_key_config_selectorIffN6thrust23THRUST_200600_302600_NS4plusIfEEEEZZNS1_33reduce_by_key_impl_wrapped_configILNS1_25lookback_scan_determinismE1ES3_S9_NS6_6detail15normal_iteratorINS6_10device_ptrIfEEEESG_SG_SG_PmS8_NS6_8equal_toIfEEEE10hipError_tPvRmT2_T3_mT4_T5_T6_T7_T8_P12ihipStream_tbENKUlT_T0_E_clISt17integral_constantIbLb1EES11_EEDaSW_SX_EUlSW_E_NS1_11comp_targetILNS1_3genE4ELNS1_11target_archE910ELNS1_3gpuE8ELNS1_3repE0EEENS1_30default_config_static_selectorELNS0_4arch9wavefront6targetE0EEEvT1_
; %bb.0:
	.section	.rodata,"a",@progbits
	.p2align	6, 0x0
	.amdhsa_kernel _ZN7rocprim17ROCPRIM_400000_NS6detail17trampoline_kernelINS0_14default_configENS1_29reduce_by_key_config_selectorIffN6thrust23THRUST_200600_302600_NS4plusIfEEEEZZNS1_33reduce_by_key_impl_wrapped_configILNS1_25lookback_scan_determinismE1ES3_S9_NS6_6detail15normal_iteratorINS6_10device_ptrIfEEEESG_SG_SG_PmS8_NS6_8equal_toIfEEEE10hipError_tPvRmT2_T3_mT4_T5_T6_T7_T8_P12ihipStream_tbENKUlT_T0_E_clISt17integral_constantIbLb1EES11_EEDaSW_SX_EUlSW_E_NS1_11comp_targetILNS1_3genE4ELNS1_11target_archE910ELNS1_3gpuE8ELNS1_3repE0EEENS1_30default_config_static_selectorELNS0_4arch9wavefront6targetE0EEEvT1_
		.amdhsa_group_segment_fixed_size 0
		.amdhsa_private_segment_fixed_size 0
		.amdhsa_kernarg_size 120
		.amdhsa_user_sgpr_count 15
		.amdhsa_user_sgpr_dispatch_ptr 0
		.amdhsa_user_sgpr_queue_ptr 0
		.amdhsa_user_sgpr_kernarg_segment_ptr 1
		.amdhsa_user_sgpr_dispatch_id 0
		.amdhsa_user_sgpr_private_segment_size 0
		.amdhsa_wavefront_size32 1
		.amdhsa_uses_dynamic_stack 0
		.amdhsa_enable_private_segment 0
		.amdhsa_system_sgpr_workgroup_id_x 1
		.amdhsa_system_sgpr_workgroup_id_y 0
		.amdhsa_system_sgpr_workgroup_id_z 0
		.amdhsa_system_sgpr_workgroup_info 0
		.amdhsa_system_vgpr_workitem_id 0
		.amdhsa_next_free_vgpr 1
		.amdhsa_next_free_sgpr 1
		.amdhsa_reserve_vcc 0
		.amdhsa_float_round_mode_32 0
		.amdhsa_float_round_mode_16_64 0
		.amdhsa_float_denorm_mode_32 3
		.amdhsa_float_denorm_mode_16_64 3
		.amdhsa_dx10_clamp 1
		.amdhsa_ieee_mode 1
		.amdhsa_fp16_overflow 0
		.amdhsa_workgroup_processor_mode 1
		.amdhsa_memory_ordered 1
		.amdhsa_forward_progress 0
		.amdhsa_shared_vgpr_count 0
		.amdhsa_exception_fp_ieee_invalid_op 0
		.amdhsa_exception_fp_denorm_src 0
		.amdhsa_exception_fp_ieee_div_zero 0
		.amdhsa_exception_fp_ieee_overflow 0
		.amdhsa_exception_fp_ieee_underflow 0
		.amdhsa_exception_fp_ieee_inexact 0
		.amdhsa_exception_int_div_zero 0
	.end_amdhsa_kernel
	.section	.text._ZN7rocprim17ROCPRIM_400000_NS6detail17trampoline_kernelINS0_14default_configENS1_29reduce_by_key_config_selectorIffN6thrust23THRUST_200600_302600_NS4plusIfEEEEZZNS1_33reduce_by_key_impl_wrapped_configILNS1_25lookback_scan_determinismE1ES3_S9_NS6_6detail15normal_iteratorINS6_10device_ptrIfEEEESG_SG_SG_PmS8_NS6_8equal_toIfEEEE10hipError_tPvRmT2_T3_mT4_T5_T6_T7_T8_P12ihipStream_tbENKUlT_T0_E_clISt17integral_constantIbLb1EES11_EEDaSW_SX_EUlSW_E_NS1_11comp_targetILNS1_3genE4ELNS1_11target_archE910ELNS1_3gpuE8ELNS1_3repE0EEENS1_30default_config_static_selectorELNS0_4arch9wavefront6targetE0EEEvT1_,"axG",@progbits,_ZN7rocprim17ROCPRIM_400000_NS6detail17trampoline_kernelINS0_14default_configENS1_29reduce_by_key_config_selectorIffN6thrust23THRUST_200600_302600_NS4plusIfEEEEZZNS1_33reduce_by_key_impl_wrapped_configILNS1_25lookback_scan_determinismE1ES3_S9_NS6_6detail15normal_iteratorINS6_10device_ptrIfEEEESG_SG_SG_PmS8_NS6_8equal_toIfEEEE10hipError_tPvRmT2_T3_mT4_T5_T6_T7_T8_P12ihipStream_tbENKUlT_T0_E_clISt17integral_constantIbLb1EES11_EEDaSW_SX_EUlSW_E_NS1_11comp_targetILNS1_3genE4ELNS1_11target_archE910ELNS1_3gpuE8ELNS1_3repE0EEENS1_30default_config_static_selectorELNS0_4arch9wavefront6targetE0EEEvT1_,comdat
.Lfunc_end101:
	.size	_ZN7rocprim17ROCPRIM_400000_NS6detail17trampoline_kernelINS0_14default_configENS1_29reduce_by_key_config_selectorIffN6thrust23THRUST_200600_302600_NS4plusIfEEEEZZNS1_33reduce_by_key_impl_wrapped_configILNS1_25lookback_scan_determinismE1ES3_S9_NS6_6detail15normal_iteratorINS6_10device_ptrIfEEEESG_SG_SG_PmS8_NS6_8equal_toIfEEEE10hipError_tPvRmT2_T3_mT4_T5_T6_T7_T8_P12ihipStream_tbENKUlT_T0_E_clISt17integral_constantIbLb1EES11_EEDaSW_SX_EUlSW_E_NS1_11comp_targetILNS1_3genE4ELNS1_11target_archE910ELNS1_3gpuE8ELNS1_3repE0EEENS1_30default_config_static_selectorELNS0_4arch9wavefront6targetE0EEEvT1_, .Lfunc_end101-_ZN7rocprim17ROCPRIM_400000_NS6detail17trampoline_kernelINS0_14default_configENS1_29reduce_by_key_config_selectorIffN6thrust23THRUST_200600_302600_NS4plusIfEEEEZZNS1_33reduce_by_key_impl_wrapped_configILNS1_25lookback_scan_determinismE1ES3_S9_NS6_6detail15normal_iteratorINS6_10device_ptrIfEEEESG_SG_SG_PmS8_NS6_8equal_toIfEEEE10hipError_tPvRmT2_T3_mT4_T5_T6_T7_T8_P12ihipStream_tbENKUlT_T0_E_clISt17integral_constantIbLb1EES11_EEDaSW_SX_EUlSW_E_NS1_11comp_targetILNS1_3genE4ELNS1_11target_archE910ELNS1_3gpuE8ELNS1_3repE0EEENS1_30default_config_static_selectorELNS0_4arch9wavefront6targetE0EEEvT1_
                                        ; -- End function
	.section	.AMDGPU.csdata,"",@progbits
; Kernel info:
; codeLenInByte = 0
; NumSgprs: 0
; NumVgprs: 0
; ScratchSize: 0
; MemoryBound: 0
; FloatMode: 240
; IeeeMode: 1
; LDSByteSize: 0 bytes/workgroup (compile time only)
; SGPRBlocks: 0
; VGPRBlocks: 0
; NumSGPRsForWavesPerEU: 1
; NumVGPRsForWavesPerEU: 1
; Occupancy: 16
; WaveLimiterHint : 0
; COMPUTE_PGM_RSRC2:SCRATCH_EN: 0
; COMPUTE_PGM_RSRC2:USER_SGPR: 15
; COMPUTE_PGM_RSRC2:TRAP_HANDLER: 0
; COMPUTE_PGM_RSRC2:TGID_X_EN: 1
; COMPUTE_PGM_RSRC2:TGID_Y_EN: 0
; COMPUTE_PGM_RSRC2:TGID_Z_EN: 0
; COMPUTE_PGM_RSRC2:TIDIG_COMP_CNT: 0
	.section	.text._ZN7rocprim17ROCPRIM_400000_NS6detail17trampoline_kernelINS0_14default_configENS1_29reduce_by_key_config_selectorIffN6thrust23THRUST_200600_302600_NS4plusIfEEEEZZNS1_33reduce_by_key_impl_wrapped_configILNS1_25lookback_scan_determinismE1ES3_S9_NS6_6detail15normal_iteratorINS6_10device_ptrIfEEEESG_SG_SG_PmS8_NS6_8equal_toIfEEEE10hipError_tPvRmT2_T3_mT4_T5_T6_T7_T8_P12ihipStream_tbENKUlT_T0_E_clISt17integral_constantIbLb1EES11_EEDaSW_SX_EUlSW_E_NS1_11comp_targetILNS1_3genE3ELNS1_11target_archE908ELNS1_3gpuE7ELNS1_3repE0EEENS1_30default_config_static_selectorELNS0_4arch9wavefront6targetE0EEEvT1_,"axG",@progbits,_ZN7rocprim17ROCPRIM_400000_NS6detail17trampoline_kernelINS0_14default_configENS1_29reduce_by_key_config_selectorIffN6thrust23THRUST_200600_302600_NS4plusIfEEEEZZNS1_33reduce_by_key_impl_wrapped_configILNS1_25lookback_scan_determinismE1ES3_S9_NS6_6detail15normal_iteratorINS6_10device_ptrIfEEEESG_SG_SG_PmS8_NS6_8equal_toIfEEEE10hipError_tPvRmT2_T3_mT4_T5_T6_T7_T8_P12ihipStream_tbENKUlT_T0_E_clISt17integral_constantIbLb1EES11_EEDaSW_SX_EUlSW_E_NS1_11comp_targetILNS1_3genE3ELNS1_11target_archE908ELNS1_3gpuE7ELNS1_3repE0EEENS1_30default_config_static_selectorELNS0_4arch9wavefront6targetE0EEEvT1_,comdat
	.protected	_ZN7rocprim17ROCPRIM_400000_NS6detail17trampoline_kernelINS0_14default_configENS1_29reduce_by_key_config_selectorIffN6thrust23THRUST_200600_302600_NS4plusIfEEEEZZNS1_33reduce_by_key_impl_wrapped_configILNS1_25lookback_scan_determinismE1ES3_S9_NS6_6detail15normal_iteratorINS6_10device_ptrIfEEEESG_SG_SG_PmS8_NS6_8equal_toIfEEEE10hipError_tPvRmT2_T3_mT4_T5_T6_T7_T8_P12ihipStream_tbENKUlT_T0_E_clISt17integral_constantIbLb1EES11_EEDaSW_SX_EUlSW_E_NS1_11comp_targetILNS1_3genE3ELNS1_11target_archE908ELNS1_3gpuE7ELNS1_3repE0EEENS1_30default_config_static_selectorELNS0_4arch9wavefront6targetE0EEEvT1_ ; -- Begin function _ZN7rocprim17ROCPRIM_400000_NS6detail17trampoline_kernelINS0_14default_configENS1_29reduce_by_key_config_selectorIffN6thrust23THRUST_200600_302600_NS4plusIfEEEEZZNS1_33reduce_by_key_impl_wrapped_configILNS1_25lookback_scan_determinismE1ES3_S9_NS6_6detail15normal_iteratorINS6_10device_ptrIfEEEESG_SG_SG_PmS8_NS6_8equal_toIfEEEE10hipError_tPvRmT2_T3_mT4_T5_T6_T7_T8_P12ihipStream_tbENKUlT_T0_E_clISt17integral_constantIbLb1EES11_EEDaSW_SX_EUlSW_E_NS1_11comp_targetILNS1_3genE3ELNS1_11target_archE908ELNS1_3gpuE7ELNS1_3repE0EEENS1_30default_config_static_selectorELNS0_4arch9wavefront6targetE0EEEvT1_
	.globl	_ZN7rocprim17ROCPRIM_400000_NS6detail17trampoline_kernelINS0_14default_configENS1_29reduce_by_key_config_selectorIffN6thrust23THRUST_200600_302600_NS4plusIfEEEEZZNS1_33reduce_by_key_impl_wrapped_configILNS1_25lookback_scan_determinismE1ES3_S9_NS6_6detail15normal_iteratorINS6_10device_ptrIfEEEESG_SG_SG_PmS8_NS6_8equal_toIfEEEE10hipError_tPvRmT2_T3_mT4_T5_T6_T7_T8_P12ihipStream_tbENKUlT_T0_E_clISt17integral_constantIbLb1EES11_EEDaSW_SX_EUlSW_E_NS1_11comp_targetILNS1_3genE3ELNS1_11target_archE908ELNS1_3gpuE7ELNS1_3repE0EEENS1_30default_config_static_selectorELNS0_4arch9wavefront6targetE0EEEvT1_
	.p2align	8
	.type	_ZN7rocprim17ROCPRIM_400000_NS6detail17trampoline_kernelINS0_14default_configENS1_29reduce_by_key_config_selectorIffN6thrust23THRUST_200600_302600_NS4plusIfEEEEZZNS1_33reduce_by_key_impl_wrapped_configILNS1_25lookback_scan_determinismE1ES3_S9_NS6_6detail15normal_iteratorINS6_10device_ptrIfEEEESG_SG_SG_PmS8_NS6_8equal_toIfEEEE10hipError_tPvRmT2_T3_mT4_T5_T6_T7_T8_P12ihipStream_tbENKUlT_T0_E_clISt17integral_constantIbLb1EES11_EEDaSW_SX_EUlSW_E_NS1_11comp_targetILNS1_3genE3ELNS1_11target_archE908ELNS1_3gpuE7ELNS1_3repE0EEENS1_30default_config_static_selectorELNS0_4arch9wavefront6targetE0EEEvT1_,@function
_ZN7rocprim17ROCPRIM_400000_NS6detail17trampoline_kernelINS0_14default_configENS1_29reduce_by_key_config_selectorIffN6thrust23THRUST_200600_302600_NS4plusIfEEEEZZNS1_33reduce_by_key_impl_wrapped_configILNS1_25lookback_scan_determinismE1ES3_S9_NS6_6detail15normal_iteratorINS6_10device_ptrIfEEEESG_SG_SG_PmS8_NS6_8equal_toIfEEEE10hipError_tPvRmT2_T3_mT4_T5_T6_T7_T8_P12ihipStream_tbENKUlT_T0_E_clISt17integral_constantIbLb1EES11_EEDaSW_SX_EUlSW_E_NS1_11comp_targetILNS1_3genE3ELNS1_11target_archE908ELNS1_3gpuE7ELNS1_3repE0EEENS1_30default_config_static_selectorELNS0_4arch9wavefront6targetE0EEEvT1_: ; @_ZN7rocprim17ROCPRIM_400000_NS6detail17trampoline_kernelINS0_14default_configENS1_29reduce_by_key_config_selectorIffN6thrust23THRUST_200600_302600_NS4plusIfEEEEZZNS1_33reduce_by_key_impl_wrapped_configILNS1_25lookback_scan_determinismE1ES3_S9_NS6_6detail15normal_iteratorINS6_10device_ptrIfEEEESG_SG_SG_PmS8_NS6_8equal_toIfEEEE10hipError_tPvRmT2_T3_mT4_T5_T6_T7_T8_P12ihipStream_tbENKUlT_T0_E_clISt17integral_constantIbLb1EES11_EEDaSW_SX_EUlSW_E_NS1_11comp_targetILNS1_3genE3ELNS1_11target_archE908ELNS1_3gpuE7ELNS1_3repE0EEENS1_30default_config_static_selectorELNS0_4arch9wavefront6targetE0EEEvT1_
; %bb.0:
	.section	.rodata,"a",@progbits
	.p2align	6, 0x0
	.amdhsa_kernel _ZN7rocprim17ROCPRIM_400000_NS6detail17trampoline_kernelINS0_14default_configENS1_29reduce_by_key_config_selectorIffN6thrust23THRUST_200600_302600_NS4plusIfEEEEZZNS1_33reduce_by_key_impl_wrapped_configILNS1_25lookback_scan_determinismE1ES3_S9_NS6_6detail15normal_iteratorINS6_10device_ptrIfEEEESG_SG_SG_PmS8_NS6_8equal_toIfEEEE10hipError_tPvRmT2_T3_mT4_T5_T6_T7_T8_P12ihipStream_tbENKUlT_T0_E_clISt17integral_constantIbLb1EES11_EEDaSW_SX_EUlSW_E_NS1_11comp_targetILNS1_3genE3ELNS1_11target_archE908ELNS1_3gpuE7ELNS1_3repE0EEENS1_30default_config_static_selectorELNS0_4arch9wavefront6targetE0EEEvT1_
		.amdhsa_group_segment_fixed_size 0
		.amdhsa_private_segment_fixed_size 0
		.amdhsa_kernarg_size 120
		.amdhsa_user_sgpr_count 15
		.amdhsa_user_sgpr_dispatch_ptr 0
		.amdhsa_user_sgpr_queue_ptr 0
		.amdhsa_user_sgpr_kernarg_segment_ptr 1
		.amdhsa_user_sgpr_dispatch_id 0
		.amdhsa_user_sgpr_private_segment_size 0
		.amdhsa_wavefront_size32 1
		.amdhsa_uses_dynamic_stack 0
		.amdhsa_enable_private_segment 0
		.amdhsa_system_sgpr_workgroup_id_x 1
		.amdhsa_system_sgpr_workgroup_id_y 0
		.amdhsa_system_sgpr_workgroup_id_z 0
		.amdhsa_system_sgpr_workgroup_info 0
		.amdhsa_system_vgpr_workitem_id 0
		.amdhsa_next_free_vgpr 1
		.amdhsa_next_free_sgpr 1
		.amdhsa_reserve_vcc 0
		.amdhsa_float_round_mode_32 0
		.amdhsa_float_round_mode_16_64 0
		.amdhsa_float_denorm_mode_32 3
		.amdhsa_float_denorm_mode_16_64 3
		.amdhsa_dx10_clamp 1
		.amdhsa_ieee_mode 1
		.amdhsa_fp16_overflow 0
		.amdhsa_workgroup_processor_mode 1
		.amdhsa_memory_ordered 1
		.amdhsa_forward_progress 0
		.amdhsa_shared_vgpr_count 0
		.amdhsa_exception_fp_ieee_invalid_op 0
		.amdhsa_exception_fp_denorm_src 0
		.amdhsa_exception_fp_ieee_div_zero 0
		.amdhsa_exception_fp_ieee_overflow 0
		.amdhsa_exception_fp_ieee_underflow 0
		.amdhsa_exception_fp_ieee_inexact 0
		.amdhsa_exception_int_div_zero 0
	.end_amdhsa_kernel
	.section	.text._ZN7rocprim17ROCPRIM_400000_NS6detail17trampoline_kernelINS0_14default_configENS1_29reduce_by_key_config_selectorIffN6thrust23THRUST_200600_302600_NS4plusIfEEEEZZNS1_33reduce_by_key_impl_wrapped_configILNS1_25lookback_scan_determinismE1ES3_S9_NS6_6detail15normal_iteratorINS6_10device_ptrIfEEEESG_SG_SG_PmS8_NS6_8equal_toIfEEEE10hipError_tPvRmT2_T3_mT4_T5_T6_T7_T8_P12ihipStream_tbENKUlT_T0_E_clISt17integral_constantIbLb1EES11_EEDaSW_SX_EUlSW_E_NS1_11comp_targetILNS1_3genE3ELNS1_11target_archE908ELNS1_3gpuE7ELNS1_3repE0EEENS1_30default_config_static_selectorELNS0_4arch9wavefront6targetE0EEEvT1_,"axG",@progbits,_ZN7rocprim17ROCPRIM_400000_NS6detail17trampoline_kernelINS0_14default_configENS1_29reduce_by_key_config_selectorIffN6thrust23THRUST_200600_302600_NS4plusIfEEEEZZNS1_33reduce_by_key_impl_wrapped_configILNS1_25lookback_scan_determinismE1ES3_S9_NS6_6detail15normal_iteratorINS6_10device_ptrIfEEEESG_SG_SG_PmS8_NS6_8equal_toIfEEEE10hipError_tPvRmT2_T3_mT4_T5_T6_T7_T8_P12ihipStream_tbENKUlT_T0_E_clISt17integral_constantIbLb1EES11_EEDaSW_SX_EUlSW_E_NS1_11comp_targetILNS1_3genE3ELNS1_11target_archE908ELNS1_3gpuE7ELNS1_3repE0EEENS1_30default_config_static_selectorELNS0_4arch9wavefront6targetE0EEEvT1_,comdat
.Lfunc_end102:
	.size	_ZN7rocprim17ROCPRIM_400000_NS6detail17trampoline_kernelINS0_14default_configENS1_29reduce_by_key_config_selectorIffN6thrust23THRUST_200600_302600_NS4plusIfEEEEZZNS1_33reduce_by_key_impl_wrapped_configILNS1_25lookback_scan_determinismE1ES3_S9_NS6_6detail15normal_iteratorINS6_10device_ptrIfEEEESG_SG_SG_PmS8_NS6_8equal_toIfEEEE10hipError_tPvRmT2_T3_mT4_T5_T6_T7_T8_P12ihipStream_tbENKUlT_T0_E_clISt17integral_constantIbLb1EES11_EEDaSW_SX_EUlSW_E_NS1_11comp_targetILNS1_3genE3ELNS1_11target_archE908ELNS1_3gpuE7ELNS1_3repE0EEENS1_30default_config_static_selectorELNS0_4arch9wavefront6targetE0EEEvT1_, .Lfunc_end102-_ZN7rocprim17ROCPRIM_400000_NS6detail17trampoline_kernelINS0_14default_configENS1_29reduce_by_key_config_selectorIffN6thrust23THRUST_200600_302600_NS4plusIfEEEEZZNS1_33reduce_by_key_impl_wrapped_configILNS1_25lookback_scan_determinismE1ES3_S9_NS6_6detail15normal_iteratorINS6_10device_ptrIfEEEESG_SG_SG_PmS8_NS6_8equal_toIfEEEE10hipError_tPvRmT2_T3_mT4_T5_T6_T7_T8_P12ihipStream_tbENKUlT_T0_E_clISt17integral_constantIbLb1EES11_EEDaSW_SX_EUlSW_E_NS1_11comp_targetILNS1_3genE3ELNS1_11target_archE908ELNS1_3gpuE7ELNS1_3repE0EEENS1_30default_config_static_selectorELNS0_4arch9wavefront6targetE0EEEvT1_
                                        ; -- End function
	.section	.AMDGPU.csdata,"",@progbits
; Kernel info:
; codeLenInByte = 0
; NumSgprs: 0
; NumVgprs: 0
; ScratchSize: 0
; MemoryBound: 0
; FloatMode: 240
; IeeeMode: 1
; LDSByteSize: 0 bytes/workgroup (compile time only)
; SGPRBlocks: 0
; VGPRBlocks: 0
; NumSGPRsForWavesPerEU: 1
; NumVGPRsForWavesPerEU: 1
; Occupancy: 16
; WaveLimiterHint : 0
; COMPUTE_PGM_RSRC2:SCRATCH_EN: 0
; COMPUTE_PGM_RSRC2:USER_SGPR: 15
; COMPUTE_PGM_RSRC2:TRAP_HANDLER: 0
; COMPUTE_PGM_RSRC2:TGID_X_EN: 1
; COMPUTE_PGM_RSRC2:TGID_Y_EN: 0
; COMPUTE_PGM_RSRC2:TGID_Z_EN: 0
; COMPUTE_PGM_RSRC2:TIDIG_COMP_CNT: 0
	.section	.text._ZN7rocprim17ROCPRIM_400000_NS6detail17trampoline_kernelINS0_14default_configENS1_29reduce_by_key_config_selectorIffN6thrust23THRUST_200600_302600_NS4plusIfEEEEZZNS1_33reduce_by_key_impl_wrapped_configILNS1_25lookback_scan_determinismE1ES3_S9_NS6_6detail15normal_iteratorINS6_10device_ptrIfEEEESG_SG_SG_PmS8_NS6_8equal_toIfEEEE10hipError_tPvRmT2_T3_mT4_T5_T6_T7_T8_P12ihipStream_tbENKUlT_T0_E_clISt17integral_constantIbLb1EES11_EEDaSW_SX_EUlSW_E_NS1_11comp_targetILNS1_3genE2ELNS1_11target_archE906ELNS1_3gpuE6ELNS1_3repE0EEENS1_30default_config_static_selectorELNS0_4arch9wavefront6targetE0EEEvT1_,"axG",@progbits,_ZN7rocprim17ROCPRIM_400000_NS6detail17trampoline_kernelINS0_14default_configENS1_29reduce_by_key_config_selectorIffN6thrust23THRUST_200600_302600_NS4plusIfEEEEZZNS1_33reduce_by_key_impl_wrapped_configILNS1_25lookback_scan_determinismE1ES3_S9_NS6_6detail15normal_iteratorINS6_10device_ptrIfEEEESG_SG_SG_PmS8_NS6_8equal_toIfEEEE10hipError_tPvRmT2_T3_mT4_T5_T6_T7_T8_P12ihipStream_tbENKUlT_T0_E_clISt17integral_constantIbLb1EES11_EEDaSW_SX_EUlSW_E_NS1_11comp_targetILNS1_3genE2ELNS1_11target_archE906ELNS1_3gpuE6ELNS1_3repE0EEENS1_30default_config_static_selectorELNS0_4arch9wavefront6targetE0EEEvT1_,comdat
	.protected	_ZN7rocprim17ROCPRIM_400000_NS6detail17trampoline_kernelINS0_14default_configENS1_29reduce_by_key_config_selectorIffN6thrust23THRUST_200600_302600_NS4plusIfEEEEZZNS1_33reduce_by_key_impl_wrapped_configILNS1_25lookback_scan_determinismE1ES3_S9_NS6_6detail15normal_iteratorINS6_10device_ptrIfEEEESG_SG_SG_PmS8_NS6_8equal_toIfEEEE10hipError_tPvRmT2_T3_mT4_T5_T6_T7_T8_P12ihipStream_tbENKUlT_T0_E_clISt17integral_constantIbLb1EES11_EEDaSW_SX_EUlSW_E_NS1_11comp_targetILNS1_3genE2ELNS1_11target_archE906ELNS1_3gpuE6ELNS1_3repE0EEENS1_30default_config_static_selectorELNS0_4arch9wavefront6targetE0EEEvT1_ ; -- Begin function _ZN7rocprim17ROCPRIM_400000_NS6detail17trampoline_kernelINS0_14default_configENS1_29reduce_by_key_config_selectorIffN6thrust23THRUST_200600_302600_NS4plusIfEEEEZZNS1_33reduce_by_key_impl_wrapped_configILNS1_25lookback_scan_determinismE1ES3_S9_NS6_6detail15normal_iteratorINS6_10device_ptrIfEEEESG_SG_SG_PmS8_NS6_8equal_toIfEEEE10hipError_tPvRmT2_T3_mT4_T5_T6_T7_T8_P12ihipStream_tbENKUlT_T0_E_clISt17integral_constantIbLb1EES11_EEDaSW_SX_EUlSW_E_NS1_11comp_targetILNS1_3genE2ELNS1_11target_archE906ELNS1_3gpuE6ELNS1_3repE0EEENS1_30default_config_static_selectorELNS0_4arch9wavefront6targetE0EEEvT1_
	.globl	_ZN7rocprim17ROCPRIM_400000_NS6detail17trampoline_kernelINS0_14default_configENS1_29reduce_by_key_config_selectorIffN6thrust23THRUST_200600_302600_NS4plusIfEEEEZZNS1_33reduce_by_key_impl_wrapped_configILNS1_25lookback_scan_determinismE1ES3_S9_NS6_6detail15normal_iteratorINS6_10device_ptrIfEEEESG_SG_SG_PmS8_NS6_8equal_toIfEEEE10hipError_tPvRmT2_T3_mT4_T5_T6_T7_T8_P12ihipStream_tbENKUlT_T0_E_clISt17integral_constantIbLb1EES11_EEDaSW_SX_EUlSW_E_NS1_11comp_targetILNS1_3genE2ELNS1_11target_archE906ELNS1_3gpuE6ELNS1_3repE0EEENS1_30default_config_static_selectorELNS0_4arch9wavefront6targetE0EEEvT1_
	.p2align	8
	.type	_ZN7rocprim17ROCPRIM_400000_NS6detail17trampoline_kernelINS0_14default_configENS1_29reduce_by_key_config_selectorIffN6thrust23THRUST_200600_302600_NS4plusIfEEEEZZNS1_33reduce_by_key_impl_wrapped_configILNS1_25lookback_scan_determinismE1ES3_S9_NS6_6detail15normal_iteratorINS6_10device_ptrIfEEEESG_SG_SG_PmS8_NS6_8equal_toIfEEEE10hipError_tPvRmT2_T3_mT4_T5_T6_T7_T8_P12ihipStream_tbENKUlT_T0_E_clISt17integral_constantIbLb1EES11_EEDaSW_SX_EUlSW_E_NS1_11comp_targetILNS1_3genE2ELNS1_11target_archE906ELNS1_3gpuE6ELNS1_3repE0EEENS1_30default_config_static_selectorELNS0_4arch9wavefront6targetE0EEEvT1_,@function
_ZN7rocprim17ROCPRIM_400000_NS6detail17trampoline_kernelINS0_14default_configENS1_29reduce_by_key_config_selectorIffN6thrust23THRUST_200600_302600_NS4plusIfEEEEZZNS1_33reduce_by_key_impl_wrapped_configILNS1_25lookback_scan_determinismE1ES3_S9_NS6_6detail15normal_iteratorINS6_10device_ptrIfEEEESG_SG_SG_PmS8_NS6_8equal_toIfEEEE10hipError_tPvRmT2_T3_mT4_T5_T6_T7_T8_P12ihipStream_tbENKUlT_T0_E_clISt17integral_constantIbLb1EES11_EEDaSW_SX_EUlSW_E_NS1_11comp_targetILNS1_3genE2ELNS1_11target_archE906ELNS1_3gpuE6ELNS1_3repE0EEENS1_30default_config_static_selectorELNS0_4arch9wavefront6targetE0EEEvT1_: ; @_ZN7rocprim17ROCPRIM_400000_NS6detail17trampoline_kernelINS0_14default_configENS1_29reduce_by_key_config_selectorIffN6thrust23THRUST_200600_302600_NS4plusIfEEEEZZNS1_33reduce_by_key_impl_wrapped_configILNS1_25lookback_scan_determinismE1ES3_S9_NS6_6detail15normal_iteratorINS6_10device_ptrIfEEEESG_SG_SG_PmS8_NS6_8equal_toIfEEEE10hipError_tPvRmT2_T3_mT4_T5_T6_T7_T8_P12ihipStream_tbENKUlT_T0_E_clISt17integral_constantIbLb1EES11_EEDaSW_SX_EUlSW_E_NS1_11comp_targetILNS1_3genE2ELNS1_11target_archE906ELNS1_3gpuE6ELNS1_3repE0EEENS1_30default_config_static_selectorELNS0_4arch9wavefront6targetE0EEEvT1_
; %bb.0:
	.section	.rodata,"a",@progbits
	.p2align	6, 0x0
	.amdhsa_kernel _ZN7rocprim17ROCPRIM_400000_NS6detail17trampoline_kernelINS0_14default_configENS1_29reduce_by_key_config_selectorIffN6thrust23THRUST_200600_302600_NS4plusIfEEEEZZNS1_33reduce_by_key_impl_wrapped_configILNS1_25lookback_scan_determinismE1ES3_S9_NS6_6detail15normal_iteratorINS6_10device_ptrIfEEEESG_SG_SG_PmS8_NS6_8equal_toIfEEEE10hipError_tPvRmT2_T3_mT4_T5_T6_T7_T8_P12ihipStream_tbENKUlT_T0_E_clISt17integral_constantIbLb1EES11_EEDaSW_SX_EUlSW_E_NS1_11comp_targetILNS1_3genE2ELNS1_11target_archE906ELNS1_3gpuE6ELNS1_3repE0EEENS1_30default_config_static_selectorELNS0_4arch9wavefront6targetE0EEEvT1_
		.amdhsa_group_segment_fixed_size 0
		.amdhsa_private_segment_fixed_size 0
		.amdhsa_kernarg_size 120
		.amdhsa_user_sgpr_count 15
		.amdhsa_user_sgpr_dispatch_ptr 0
		.amdhsa_user_sgpr_queue_ptr 0
		.amdhsa_user_sgpr_kernarg_segment_ptr 1
		.amdhsa_user_sgpr_dispatch_id 0
		.amdhsa_user_sgpr_private_segment_size 0
		.amdhsa_wavefront_size32 1
		.amdhsa_uses_dynamic_stack 0
		.amdhsa_enable_private_segment 0
		.amdhsa_system_sgpr_workgroup_id_x 1
		.amdhsa_system_sgpr_workgroup_id_y 0
		.amdhsa_system_sgpr_workgroup_id_z 0
		.amdhsa_system_sgpr_workgroup_info 0
		.amdhsa_system_vgpr_workitem_id 0
		.amdhsa_next_free_vgpr 1
		.amdhsa_next_free_sgpr 1
		.amdhsa_reserve_vcc 0
		.amdhsa_float_round_mode_32 0
		.amdhsa_float_round_mode_16_64 0
		.amdhsa_float_denorm_mode_32 3
		.amdhsa_float_denorm_mode_16_64 3
		.amdhsa_dx10_clamp 1
		.amdhsa_ieee_mode 1
		.amdhsa_fp16_overflow 0
		.amdhsa_workgroup_processor_mode 1
		.amdhsa_memory_ordered 1
		.amdhsa_forward_progress 0
		.amdhsa_shared_vgpr_count 0
		.amdhsa_exception_fp_ieee_invalid_op 0
		.amdhsa_exception_fp_denorm_src 0
		.amdhsa_exception_fp_ieee_div_zero 0
		.amdhsa_exception_fp_ieee_overflow 0
		.amdhsa_exception_fp_ieee_underflow 0
		.amdhsa_exception_fp_ieee_inexact 0
		.amdhsa_exception_int_div_zero 0
	.end_amdhsa_kernel
	.section	.text._ZN7rocprim17ROCPRIM_400000_NS6detail17trampoline_kernelINS0_14default_configENS1_29reduce_by_key_config_selectorIffN6thrust23THRUST_200600_302600_NS4plusIfEEEEZZNS1_33reduce_by_key_impl_wrapped_configILNS1_25lookback_scan_determinismE1ES3_S9_NS6_6detail15normal_iteratorINS6_10device_ptrIfEEEESG_SG_SG_PmS8_NS6_8equal_toIfEEEE10hipError_tPvRmT2_T3_mT4_T5_T6_T7_T8_P12ihipStream_tbENKUlT_T0_E_clISt17integral_constantIbLb1EES11_EEDaSW_SX_EUlSW_E_NS1_11comp_targetILNS1_3genE2ELNS1_11target_archE906ELNS1_3gpuE6ELNS1_3repE0EEENS1_30default_config_static_selectorELNS0_4arch9wavefront6targetE0EEEvT1_,"axG",@progbits,_ZN7rocprim17ROCPRIM_400000_NS6detail17trampoline_kernelINS0_14default_configENS1_29reduce_by_key_config_selectorIffN6thrust23THRUST_200600_302600_NS4plusIfEEEEZZNS1_33reduce_by_key_impl_wrapped_configILNS1_25lookback_scan_determinismE1ES3_S9_NS6_6detail15normal_iteratorINS6_10device_ptrIfEEEESG_SG_SG_PmS8_NS6_8equal_toIfEEEE10hipError_tPvRmT2_T3_mT4_T5_T6_T7_T8_P12ihipStream_tbENKUlT_T0_E_clISt17integral_constantIbLb1EES11_EEDaSW_SX_EUlSW_E_NS1_11comp_targetILNS1_3genE2ELNS1_11target_archE906ELNS1_3gpuE6ELNS1_3repE0EEENS1_30default_config_static_selectorELNS0_4arch9wavefront6targetE0EEEvT1_,comdat
.Lfunc_end103:
	.size	_ZN7rocprim17ROCPRIM_400000_NS6detail17trampoline_kernelINS0_14default_configENS1_29reduce_by_key_config_selectorIffN6thrust23THRUST_200600_302600_NS4plusIfEEEEZZNS1_33reduce_by_key_impl_wrapped_configILNS1_25lookback_scan_determinismE1ES3_S9_NS6_6detail15normal_iteratorINS6_10device_ptrIfEEEESG_SG_SG_PmS8_NS6_8equal_toIfEEEE10hipError_tPvRmT2_T3_mT4_T5_T6_T7_T8_P12ihipStream_tbENKUlT_T0_E_clISt17integral_constantIbLb1EES11_EEDaSW_SX_EUlSW_E_NS1_11comp_targetILNS1_3genE2ELNS1_11target_archE906ELNS1_3gpuE6ELNS1_3repE0EEENS1_30default_config_static_selectorELNS0_4arch9wavefront6targetE0EEEvT1_, .Lfunc_end103-_ZN7rocprim17ROCPRIM_400000_NS6detail17trampoline_kernelINS0_14default_configENS1_29reduce_by_key_config_selectorIffN6thrust23THRUST_200600_302600_NS4plusIfEEEEZZNS1_33reduce_by_key_impl_wrapped_configILNS1_25lookback_scan_determinismE1ES3_S9_NS6_6detail15normal_iteratorINS6_10device_ptrIfEEEESG_SG_SG_PmS8_NS6_8equal_toIfEEEE10hipError_tPvRmT2_T3_mT4_T5_T6_T7_T8_P12ihipStream_tbENKUlT_T0_E_clISt17integral_constantIbLb1EES11_EEDaSW_SX_EUlSW_E_NS1_11comp_targetILNS1_3genE2ELNS1_11target_archE906ELNS1_3gpuE6ELNS1_3repE0EEENS1_30default_config_static_selectorELNS0_4arch9wavefront6targetE0EEEvT1_
                                        ; -- End function
	.section	.AMDGPU.csdata,"",@progbits
; Kernel info:
; codeLenInByte = 0
; NumSgprs: 0
; NumVgprs: 0
; ScratchSize: 0
; MemoryBound: 0
; FloatMode: 240
; IeeeMode: 1
; LDSByteSize: 0 bytes/workgroup (compile time only)
; SGPRBlocks: 0
; VGPRBlocks: 0
; NumSGPRsForWavesPerEU: 1
; NumVGPRsForWavesPerEU: 1
; Occupancy: 16
; WaveLimiterHint : 0
; COMPUTE_PGM_RSRC2:SCRATCH_EN: 0
; COMPUTE_PGM_RSRC2:USER_SGPR: 15
; COMPUTE_PGM_RSRC2:TRAP_HANDLER: 0
; COMPUTE_PGM_RSRC2:TGID_X_EN: 1
; COMPUTE_PGM_RSRC2:TGID_Y_EN: 0
; COMPUTE_PGM_RSRC2:TGID_Z_EN: 0
; COMPUTE_PGM_RSRC2:TIDIG_COMP_CNT: 0
	.section	.text._ZN7rocprim17ROCPRIM_400000_NS6detail17trampoline_kernelINS0_14default_configENS1_29reduce_by_key_config_selectorIffN6thrust23THRUST_200600_302600_NS4plusIfEEEEZZNS1_33reduce_by_key_impl_wrapped_configILNS1_25lookback_scan_determinismE1ES3_S9_NS6_6detail15normal_iteratorINS6_10device_ptrIfEEEESG_SG_SG_PmS8_NS6_8equal_toIfEEEE10hipError_tPvRmT2_T3_mT4_T5_T6_T7_T8_P12ihipStream_tbENKUlT_T0_E_clISt17integral_constantIbLb1EES11_EEDaSW_SX_EUlSW_E_NS1_11comp_targetILNS1_3genE10ELNS1_11target_archE1201ELNS1_3gpuE5ELNS1_3repE0EEENS1_30default_config_static_selectorELNS0_4arch9wavefront6targetE0EEEvT1_,"axG",@progbits,_ZN7rocprim17ROCPRIM_400000_NS6detail17trampoline_kernelINS0_14default_configENS1_29reduce_by_key_config_selectorIffN6thrust23THRUST_200600_302600_NS4plusIfEEEEZZNS1_33reduce_by_key_impl_wrapped_configILNS1_25lookback_scan_determinismE1ES3_S9_NS6_6detail15normal_iteratorINS6_10device_ptrIfEEEESG_SG_SG_PmS8_NS6_8equal_toIfEEEE10hipError_tPvRmT2_T3_mT4_T5_T6_T7_T8_P12ihipStream_tbENKUlT_T0_E_clISt17integral_constantIbLb1EES11_EEDaSW_SX_EUlSW_E_NS1_11comp_targetILNS1_3genE10ELNS1_11target_archE1201ELNS1_3gpuE5ELNS1_3repE0EEENS1_30default_config_static_selectorELNS0_4arch9wavefront6targetE0EEEvT1_,comdat
	.protected	_ZN7rocprim17ROCPRIM_400000_NS6detail17trampoline_kernelINS0_14default_configENS1_29reduce_by_key_config_selectorIffN6thrust23THRUST_200600_302600_NS4plusIfEEEEZZNS1_33reduce_by_key_impl_wrapped_configILNS1_25lookback_scan_determinismE1ES3_S9_NS6_6detail15normal_iteratorINS6_10device_ptrIfEEEESG_SG_SG_PmS8_NS6_8equal_toIfEEEE10hipError_tPvRmT2_T3_mT4_T5_T6_T7_T8_P12ihipStream_tbENKUlT_T0_E_clISt17integral_constantIbLb1EES11_EEDaSW_SX_EUlSW_E_NS1_11comp_targetILNS1_3genE10ELNS1_11target_archE1201ELNS1_3gpuE5ELNS1_3repE0EEENS1_30default_config_static_selectorELNS0_4arch9wavefront6targetE0EEEvT1_ ; -- Begin function _ZN7rocprim17ROCPRIM_400000_NS6detail17trampoline_kernelINS0_14default_configENS1_29reduce_by_key_config_selectorIffN6thrust23THRUST_200600_302600_NS4plusIfEEEEZZNS1_33reduce_by_key_impl_wrapped_configILNS1_25lookback_scan_determinismE1ES3_S9_NS6_6detail15normal_iteratorINS6_10device_ptrIfEEEESG_SG_SG_PmS8_NS6_8equal_toIfEEEE10hipError_tPvRmT2_T3_mT4_T5_T6_T7_T8_P12ihipStream_tbENKUlT_T0_E_clISt17integral_constantIbLb1EES11_EEDaSW_SX_EUlSW_E_NS1_11comp_targetILNS1_3genE10ELNS1_11target_archE1201ELNS1_3gpuE5ELNS1_3repE0EEENS1_30default_config_static_selectorELNS0_4arch9wavefront6targetE0EEEvT1_
	.globl	_ZN7rocprim17ROCPRIM_400000_NS6detail17trampoline_kernelINS0_14default_configENS1_29reduce_by_key_config_selectorIffN6thrust23THRUST_200600_302600_NS4plusIfEEEEZZNS1_33reduce_by_key_impl_wrapped_configILNS1_25lookback_scan_determinismE1ES3_S9_NS6_6detail15normal_iteratorINS6_10device_ptrIfEEEESG_SG_SG_PmS8_NS6_8equal_toIfEEEE10hipError_tPvRmT2_T3_mT4_T5_T6_T7_T8_P12ihipStream_tbENKUlT_T0_E_clISt17integral_constantIbLb1EES11_EEDaSW_SX_EUlSW_E_NS1_11comp_targetILNS1_3genE10ELNS1_11target_archE1201ELNS1_3gpuE5ELNS1_3repE0EEENS1_30default_config_static_selectorELNS0_4arch9wavefront6targetE0EEEvT1_
	.p2align	8
	.type	_ZN7rocprim17ROCPRIM_400000_NS6detail17trampoline_kernelINS0_14default_configENS1_29reduce_by_key_config_selectorIffN6thrust23THRUST_200600_302600_NS4plusIfEEEEZZNS1_33reduce_by_key_impl_wrapped_configILNS1_25lookback_scan_determinismE1ES3_S9_NS6_6detail15normal_iteratorINS6_10device_ptrIfEEEESG_SG_SG_PmS8_NS6_8equal_toIfEEEE10hipError_tPvRmT2_T3_mT4_T5_T6_T7_T8_P12ihipStream_tbENKUlT_T0_E_clISt17integral_constantIbLb1EES11_EEDaSW_SX_EUlSW_E_NS1_11comp_targetILNS1_3genE10ELNS1_11target_archE1201ELNS1_3gpuE5ELNS1_3repE0EEENS1_30default_config_static_selectorELNS0_4arch9wavefront6targetE0EEEvT1_,@function
_ZN7rocprim17ROCPRIM_400000_NS6detail17trampoline_kernelINS0_14default_configENS1_29reduce_by_key_config_selectorIffN6thrust23THRUST_200600_302600_NS4plusIfEEEEZZNS1_33reduce_by_key_impl_wrapped_configILNS1_25lookback_scan_determinismE1ES3_S9_NS6_6detail15normal_iteratorINS6_10device_ptrIfEEEESG_SG_SG_PmS8_NS6_8equal_toIfEEEE10hipError_tPvRmT2_T3_mT4_T5_T6_T7_T8_P12ihipStream_tbENKUlT_T0_E_clISt17integral_constantIbLb1EES11_EEDaSW_SX_EUlSW_E_NS1_11comp_targetILNS1_3genE10ELNS1_11target_archE1201ELNS1_3gpuE5ELNS1_3repE0EEENS1_30default_config_static_selectorELNS0_4arch9wavefront6targetE0EEEvT1_: ; @_ZN7rocprim17ROCPRIM_400000_NS6detail17trampoline_kernelINS0_14default_configENS1_29reduce_by_key_config_selectorIffN6thrust23THRUST_200600_302600_NS4plusIfEEEEZZNS1_33reduce_by_key_impl_wrapped_configILNS1_25lookback_scan_determinismE1ES3_S9_NS6_6detail15normal_iteratorINS6_10device_ptrIfEEEESG_SG_SG_PmS8_NS6_8equal_toIfEEEE10hipError_tPvRmT2_T3_mT4_T5_T6_T7_T8_P12ihipStream_tbENKUlT_T0_E_clISt17integral_constantIbLb1EES11_EEDaSW_SX_EUlSW_E_NS1_11comp_targetILNS1_3genE10ELNS1_11target_archE1201ELNS1_3gpuE5ELNS1_3repE0EEENS1_30default_config_static_selectorELNS0_4arch9wavefront6targetE0EEEvT1_
; %bb.0:
	.section	.rodata,"a",@progbits
	.p2align	6, 0x0
	.amdhsa_kernel _ZN7rocprim17ROCPRIM_400000_NS6detail17trampoline_kernelINS0_14default_configENS1_29reduce_by_key_config_selectorIffN6thrust23THRUST_200600_302600_NS4plusIfEEEEZZNS1_33reduce_by_key_impl_wrapped_configILNS1_25lookback_scan_determinismE1ES3_S9_NS6_6detail15normal_iteratorINS6_10device_ptrIfEEEESG_SG_SG_PmS8_NS6_8equal_toIfEEEE10hipError_tPvRmT2_T3_mT4_T5_T6_T7_T8_P12ihipStream_tbENKUlT_T0_E_clISt17integral_constantIbLb1EES11_EEDaSW_SX_EUlSW_E_NS1_11comp_targetILNS1_3genE10ELNS1_11target_archE1201ELNS1_3gpuE5ELNS1_3repE0EEENS1_30default_config_static_selectorELNS0_4arch9wavefront6targetE0EEEvT1_
		.amdhsa_group_segment_fixed_size 0
		.amdhsa_private_segment_fixed_size 0
		.amdhsa_kernarg_size 120
		.amdhsa_user_sgpr_count 15
		.amdhsa_user_sgpr_dispatch_ptr 0
		.amdhsa_user_sgpr_queue_ptr 0
		.amdhsa_user_sgpr_kernarg_segment_ptr 1
		.amdhsa_user_sgpr_dispatch_id 0
		.amdhsa_user_sgpr_private_segment_size 0
		.amdhsa_wavefront_size32 1
		.amdhsa_uses_dynamic_stack 0
		.amdhsa_enable_private_segment 0
		.amdhsa_system_sgpr_workgroup_id_x 1
		.amdhsa_system_sgpr_workgroup_id_y 0
		.amdhsa_system_sgpr_workgroup_id_z 0
		.amdhsa_system_sgpr_workgroup_info 0
		.amdhsa_system_vgpr_workitem_id 0
		.amdhsa_next_free_vgpr 1
		.amdhsa_next_free_sgpr 1
		.amdhsa_reserve_vcc 0
		.amdhsa_float_round_mode_32 0
		.amdhsa_float_round_mode_16_64 0
		.amdhsa_float_denorm_mode_32 3
		.amdhsa_float_denorm_mode_16_64 3
		.amdhsa_dx10_clamp 1
		.amdhsa_ieee_mode 1
		.amdhsa_fp16_overflow 0
		.amdhsa_workgroup_processor_mode 1
		.amdhsa_memory_ordered 1
		.amdhsa_forward_progress 0
		.amdhsa_shared_vgpr_count 0
		.amdhsa_exception_fp_ieee_invalid_op 0
		.amdhsa_exception_fp_denorm_src 0
		.amdhsa_exception_fp_ieee_div_zero 0
		.amdhsa_exception_fp_ieee_overflow 0
		.amdhsa_exception_fp_ieee_underflow 0
		.amdhsa_exception_fp_ieee_inexact 0
		.amdhsa_exception_int_div_zero 0
	.end_amdhsa_kernel
	.section	.text._ZN7rocprim17ROCPRIM_400000_NS6detail17trampoline_kernelINS0_14default_configENS1_29reduce_by_key_config_selectorIffN6thrust23THRUST_200600_302600_NS4plusIfEEEEZZNS1_33reduce_by_key_impl_wrapped_configILNS1_25lookback_scan_determinismE1ES3_S9_NS6_6detail15normal_iteratorINS6_10device_ptrIfEEEESG_SG_SG_PmS8_NS6_8equal_toIfEEEE10hipError_tPvRmT2_T3_mT4_T5_T6_T7_T8_P12ihipStream_tbENKUlT_T0_E_clISt17integral_constantIbLb1EES11_EEDaSW_SX_EUlSW_E_NS1_11comp_targetILNS1_3genE10ELNS1_11target_archE1201ELNS1_3gpuE5ELNS1_3repE0EEENS1_30default_config_static_selectorELNS0_4arch9wavefront6targetE0EEEvT1_,"axG",@progbits,_ZN7rocprim17ROCPRIM_400000_NS6detail17trampoline_kernelINS0_14default_configENS1_29reduce_by_key_config_selectorIffN6thrust23THRUST_200600_302600_NS4plusIfEEEEZZNS1_33reduce_by_key_impl_wrapped_configILNS1_25lookback_scan_determinismE1ES3_S9_NS6_6detail15normal_iteratorINS6_10device_ptrIfEEEESG_SG_SG_PmS8_NS6_8equal_toIfEEEE10hipError_tPvRmT2_T3_mT4_T5_T6_T7_T8_P12ihipStream_tbENKUlT_T0_E_clISt17integral_constantIbLb1EES11_EEDaSW_SX_EUlSW_E_NS1_11comp_targetILNS1_3genE10ELNS1_11target_archE1201ELNS1_3gpuE5ELNS1_3repE0EEENS1_30default_config_static_selectorELNS0_4arch9wavefront6targetE0EEEvT1_,comdat
.Lfunc_end104:
	.size	_ZN7rocprim17ROCPRIM_400000_NS6detail17trampoline_kernelINS0_14default_configENS1_29reduce_by_key_config_selectorIffN6thrust23THRUST_200600_302600_NS4plusIfEEEEZZNS1_33reduce_by_key_impl_wrapped_configILNS1_25lookback_scan_determinismE1ES3_S9_NS6_6detail15normal_iteratorINS6_10device_ptrIfEEEESG_SG_SG_PmS8_NS6_8equal_toIfEEEE10hipError_tPvRmT2_T3_mT4_T5_T6_T7_T8_P12ihipStream_tbENKUlT_T0_E_clISt17integral_constantIbLb1EES11_EEDaSW_SX_EUlSW_E_NS1_11comp_targetILNS1_3genE10ELNS1_11target_archE1201ELNS1_3gpuE5ELNS1_3repE0EEENS1_30default_config_static_selectorELNS0_4arch9wavefront6targetE0EEEvT1_, .Lfunc_end104-_ZN7rocprim17ROCPRIM_400000_NS6detail17trampoline_kernelINS0_14default_configENS1_29reduce_by_key_config_selectorIffN6thrust23THRUST_200600_302600_NS4plusIfEEEEZZNS1_33reduce_by_key_impl_wrapped_configILNS1_25lookback_scan_determinismE1ES3_S9_NS6_6detail15normal_iteratorINS6_10device_ptrIfEEEESG_SG_SG_PmS8_NS6_8equal_toIfEEEE10hipError_tPvRmT2_T3_mT4_T5_T6_T7_T8_P12ihipStream_tbENKUlT_T0_E_clISt17integral_constantIbLb1EES11_EEDaSW_SX_EUlSW_E_NS1_11comp_targetILNS1_3genE10ELNS1_11target_archE1201ELNS1_3gpuE5ELNS1_3repE0EEENS1_30default_config_static_selectorELNS0_4arch9wavefront6targetE0EEEvT1_
                                        ; -- End function
	.section	.AMDGPU.csdata,"",@progbits
; Kernel info:
; codeLenInByte = 0
; NumSgprs: 0
; NumVgprs: 0
; ScratchSize: 0
; MemoryBound: 0
; FloatMode: 240
; IeeeMode: 1
; LDSByteSize: 0 bytes/workgroup (compile time only)
; SGPRBlocks: 0
; VGPRBlocks: 0
; NumSGPRsForWavesPerEU: 1
; NumVGPRsForWavesPerEU: 1
; Occupancy: 16
; WaveLimiterHint : 0
; COMPUTE_PGM_RSRC2:SCRATCH_EN: 0
; COMPUTE_PGM_RSRC2:USER_SGPR: 15
; COMPUTE_PGM_RSRC2:TRAP_HANDLER: 0
; COMPUTE_PGM_RSRC2:TGID_X_EN: 1
; COMPUTE_PGM_RSRC2:TGID_Y_EN: 0
; COMPUTE_PGM_RSRC2:TGID_Z_EN: 0
; COMPUTE_PGM_RSRC2:TIDIG_COMP_CNT: 0
	.section	.text._ZN7rocprim17ROCPRIM_400000_NS6detail17trampoline_kernelINS0_14default_configENS1_29reduce_by_key_config_selectorIffN6thrust23THRUST_200600_302600_NS4plusIfEEEEZZNS1_33reduce_by_key_impl_wrapped_configILNS1_25lookback_scan_determinismE1ES3_S9_NS6_6detail15normal_iteratorINS6_10device_ptrIfEEEESG_SG_SG_PmS8_NS6_8equal_toIfEEEE10hipError_tPvRmT2_T3_mT4_T5_T6_T7_T8_P12ihipStream_tbENKUlT_T0_E_clISt17integral_constantIbLb1EES11_EEDaSW_SX_EUlSW_E_NS1_11comp_targetILNS1_3genE10ELNS1_11target_archE1200ELNS1_3gpuE4ELNS1_3repE0EEENS1_30default_config_static_selectorELNS0_4arch9wavefront6targetE0EEEvT1_,"axG",@progbits,_ZN7rocprim17ROCPRIM_400000_NS6detail17trampoline_kernelINS0_14default_configENS1_29reduce_by_key_config_selectorIffN6thrust23THRUST_200600_302600_NS4plusIfEEEEZZNS1_33reduce_by_key_impl_wrapped_configILNS1_25lookback_scan_determinismE1ES3_S9_NS6_6detail15normal_iteratorINS6_10device_ptrIfEEEESG_SG_SG_PmS8_NS6_8equal_toIfEEEE10hipError_tPvRmT2_T3_mT4_T5_T6_T7_T8_P12ihipStream_tbENKUlT_T0_E_clISt17integral_constantIbLb1EES11_EEDaSW_SX_EUlSW_E_NS1_11comp_targetILNS1_3genE10ELNS1_11target_archE1200ELNS1_3gpuE4ELNS1_3repE0EEENS1_30default_config_static_selectorELNS0_4arch9wavefront6targetE0EEEvT1_,comdat
	.protected	_ZN7rocprim17ROCPRIM_400000_NS6detail17trampoline_kernelINS0_14default_configENS1_29reduce_by_key_config_selectorIffN6thrust23THRUST_200600_302600_NS4plusIfEEEEZZNS1_33reduce_by_key_impl_wrapped_configILNS1_25lookback_scan_determinismE1ES3_S9_NS6_6detail15normal_iteratorINS6_10device_ptrIfEEEESG_SG_SG_PmS8_NS6_8equal_toIfEEEE10hipError_tPvRmT2_T3_mT4_T5_T6_T7_T8_P12ihipStream_tbENKUlT_T0_E_clISt17integral_constantIbLb1EES11_EEDaSW_SX_EUlSW_E_NS1_11comp_targetILNS1_3genE10ELNS1_11target_archE1200ELNS1_3gpuE4ELNS1_3repE0EEENS1_30default_config_static_selectorELNS0_4arch9wavefront6targetE0EEEvT1_ ; -- Begin function _ZN7rocprim17ROCPRIM_400000_NS6detail17trampoline_kernelINS0_14default_configENS1_29reduce_by_key_config_selectorIffN6thrust23THRUST_200600_302600_NS4plusIfEEEEZZNS1_33reduce_by_key_impl_wrapped_configILNS1_25lookback_scan_determinismE1ES3_S9_NS6_6detail15normal_iteratorINS6_10device_ptrIfEEEESG_SG_SG_PmS8_NS6_8equal_toIfEEEE10hipError_tPvRmT2_T3_mT4_T5_T6_T7_T8_P12ihipStream_tbENKUlT_T0_E_clISt17integral_constantIbLb1EES11_EEDaSW_SX_EUlSW_E_NS1_11comp_targetILNS1_3genE10ELNS1_11target_archE1200ELNS1_3gpuE4ELNS1_3repE0EEENS1_30default_config_static_selectorELNS0_4arch9wavefront6targetE0EEEvT1_
	.globl	_ZN7rocprim17ROCPRIM_400000_NS6detail17trampoline_kernelINS0_14default_configENS1_29reduce_by_key_config_selectorIffN6thrust23THRUST_200600_302600_NS4plusIfEEEEZZNS1_33reduce_by_key_impl_wrapped_configILNS1_25lookback_scan_determinismE1ES3_S9_NS6_6detail15normal_iteratorINS6_10device_ptrIfEEEESG_SG_SG_PmS8_NS6_8equal_toIfEEEE10hipError_tPvRmT2_T3_mT4_T5_T6_T7_T8_P12ihipStream_tbENKUlT_T0_E_clISt17integral_constantIbLb1EES11_EEDaSW_SX_EUlSW_E_NS1_11comp_targetILNS1_3genE10ELNS1_11target_archE1200ELNS1_3gpuE4ELNS1_3repE0EEENS1_30default_config_static_selectorELNS0_4arch9wavefront6targetE0EEEvT1_
	.p2align	8
	.type	_ZN7rocprim17ROCPRIM_400000_NS6detail17trampoline_kernelINS0_14default_configENS1_29reduce_by_key_config_selectorIffN6thrust23THRUST_200600_302600_NS4plusIfEEEEZZNS1_33reduce_by_key_impl_wrapped_configILNS1_25lookback_scan_determinismE1ES3_S9_NS6_6detail15normal_iteratorINS6_10device_ptrIfEEEESG_SG_SG_PmS8_NS6_8equal_toIfEEEE10hipError_tPvRmT2_T3_mT4_T5_T6_T7_T8_P12ihipStream_tbENKUlT_T0_E_clISt17integral_constantIbLb1EES11_EEDaSW_SX_EUlSW_E_NS1_11comp_targetILNS1_3genE10ELNS1_11target_archE1200ELNS1_3gpuE4ELNS1_3repE0EEENS1_30default_config_static_selectorELNS0_4arch9wavefront6targetE0EEEvT1_,@function
_ZN7rocprim17ROCPRIM_400000_NS6detail17trampoline_kernelINS0_14default_configENS1_29reduce_by_key_config_selectorIffN6thrust23THRUST_200600_302600_NS4plusIfEEEEZZNS1_33reduce_by_key_impl_wrapped_configILNS1_25lookback_scan_determinismE1ES3_S9_NS6_6detail15normal_iteratorINS6_10device_ptrIfEEEESG_SG_SG_PmS8_NS6_8equal_toIfEEEE10hipError_tPvRmT2_T3_mT4_T5_T6_T7_T8_P12ihipStream_tbENKUlT_T0_E_clISt17integral_constantIbLb1EES11_EEDaSW_SX_EUlSW_E_NS1_11comp_targetILNS1_3genE10ELNS1_11target_archE1200ELNS1_3gpuE4ELNS1_3repE0EEENS1_30default_config_static_selectorELNS0_4arch9wavefront6targetE0EEEvT1_: ; @_ZN7rocprim17ROCPRIM_400000_NS6detail17trampoline_kernelINS0_14default_configENS1_29reduce_by_key_config_selectorIffN6thrust23THRUST_200600_302600_NS4plusIfEEEEZZNS1_33reduce_by_key_impl_wrapped_configILNS1_25lookback_scan_determinismE1ES3_S9_NS6_6detail15normal_iteratorINS6_10device_ptrIfEEEESG_SG_SG_PmS8_NS6_8equal_toIfEEEE10hipError_tPvRmT2_T3_mT4_T5_T6_T7_T8_P12ihipStream_tbENKUlT_T0_E_clISt17integral_constantIbLb1EES11_EEDaSW_SX_EUlSW_E_NS1_11comp_targetILNS1_3genE10ELNS1_11target_archE1200ELNS1_3gpuE4ELNS1_3repE0EEENS1_30default_config_static_selectorELNS0_4arch9wavefront6targetE0EEEvT1_
; %bb.0:
	.section	.rodata,"a",@progbits
	.p2align	6, 0x0
	.amdhsa_kernel _ZN7rocprim17ROCPRIM_400000_NS6detail17trampoline_kernelINS0_14default_configENS1_29reduce_by_key_config_selectorIffN6thrust23THRUST_200600_302600_NS4plusIfEEEEZZNS1_33reduce_by_key_impl_wrapped_configILNS1_25lookback_scan_determinismE1ES3_S9_NS6_6detail15normal_iteratorINS6_10device_ptrIfEEEESG_SG_SG_PmS8_NS6_8equal_toIfEEEE10hipError_tPvRmT2_T3_mT4_T5_T6_T7_T8_P12ihipStream_tbENKUlT_T0_E_clISt17integral_constantIbLb1EES11_EEDaSW_SX_EUlSW_E_NS1_11comp_targetILNS1_3genE10ELNS1_11target_archE1200ELNS1_3gpuE4ELNS1_3repE0EEENS1_30default_config_static_selectorELNS0_4arch9wavefront6targetE0EEEvT1_
		.amdhsa_group_segment_fixed_size 0
		.amdhsa_private_segment_fixed_size 0
		.amdhsa_kernarg_size 120
		.amdhsa_user_sgpr_count 15
		.amdhsa_user_sgpr_dispatch_ptr 0
		.amdhsa_user_sgpr_queue_ptr 0
		.amdhsa_user_sgpr_kernarg_segment_ptr 1
		.amdhsa_user_sgpr_dispatch_id 0
		.amdhsa_user_sgpr_private_segment_size 0
		.amdhsa_wavefront_size32 1
		.amdhsa_uses_dynamic_stack 0
		.amdhsa_enable_private_segment 0
		.amdhsa_system_sgpr_workgroup_id_x 1
		.amdhsa_system_sgpr_workgroup_id_y 0
		.amdhsa_system_sgpr_workgroup_id_z 0
		.amdhsa_system_sgpr_workgroup_info 0
		.amdhsa_system_vgpr_workitem_id 0
		.amdhsa_next_free_vgpr 1
		.amdhsa_next_free_sgpr 1
		.amdhsa_reserve_vcc 0
		.amdhsa_float_round_mode_32 0
		.amdhsa_float_round_mode_16_64 0
		.amdhsa_float_denorm_mode_32 3
		.amdhsa_float_denorm_mode_16_64 3
		.amdhsa_dx10_clamp 1
		.amdhsa_ieee_mode 1
		.amdhsa_fp16_overflow 0
		.amdhsa_workgroup_processor_mode 1
		.amdhsa_memory_ordered 1
		.amdhsa_forward_progress 0
		.amdhsa_shared_vgpr_count 0
		.amdhsa_exception_fp_ieee_invalid_op 0
		.amdhsa_exception_fp_denorm_src 0
		.amdhsa_exception_fp_ieee_div_zero 0
		.amdhsa_exception_fp_ieee_overflow 0
		.amdhsa_exception_fp_ieee_underflow 0
		.amdhsa_exception_fp_ieee_inexact 0
		.amdhsa_exception_int_div_zero 0
	.end_amdhsa_kernel
	.section	.text._ZN7rocprim17ROCPRIM_400000_NS6detail17trampoline_kernelINS0_14default_configENS1_29reduce_by_key_config_selectorIffN6thrust23THRUST_200600_302600_NS4plusIfEEEEZZNS1_33reduce_by_key_impl_wrapped_configILNS1_25lookback_scan_determinismE1ES3_S9_NS6_6detail15normal_iteratorINS6_10device_ptrIfEEEESG_SG_SG_PmS8_NS6_8equal_toIfEEEE10hipError_tPvRmT2_T3_mT4_T5_T6_T7_T8_P12ihipStream_tbENKUlT_T0_E_clISt17integral_constantIbLb1EES11_EEDaSW_SX_EUlSW_E_NS1_11comp_targetILNS1_3genE10ELNS1_11target_archE1200ELNS1_3gpuE4ELNS1_3repE0EEENS1_30default_config_static_selectorELNS0_4arch9wavefront6targetE0EEEvT1_,"axG",@progbits,_ZN7rocprim17ROCPRIM_400000_NS6detail17trampoline_kernelINS0_14default_configENS1_29reduce_by_key_config_selectorIffN6thrust23THRUST_200600_302600_NS4plusIfEEEEZZNS1_33reduce_by_key_impl_wrapped_configILNS1_25lookback_scan_determinismE1ES3_S9_NS6_6detail15normal_iteratorINS6_10device_ptrIfEEEESG_SG_SG_PmS8_NS6_8equal_toIfEEEE10hipError_tPvRmT2_T3_mT4_T5_T6_T7_T8_P12ihipStream_tbENKUlT_T0_E_clISt17integral_constantIbLb1EES11_EEDaSW_SX_EUlSW_E_NS1_11comp_targetILNS1_3genE10ELNS1_11target_archE1200ELNS1_3gpuE4ELNS1_3repE0EEENS1_30default_config_static_selectorELNS0_4arch9wavefront6targetE0EEEvT1_,comdat
.Lfunc_end105:
	.size	_ZN7rocprim17ROCPRIM_400000_NS6detail17trampoline_kernelINS0_14default_configENS1_29reduce_by_key_config_selectorIffN6thrust23THRUST_200600_302600_NS4plusIfEEEEZZNS1_33reduce_by_key_impl_wrapped_configILNS1_25lookback_scan_determinismE1ES3_S9_NS6_6detail15normal_iteratorINS6_10device_ptrIfEEEESG_SG_SG_PmS8_NS6_8equal_toIfEEEE10hipError_tPvRmT2_T3_mT4_T5_T6_T7_T8_P12ihipStream_tbENKUlT_T0_E_clISt17integral_constantIbLb1EES11_EEDaSW_SX_EUlSW_E_NS1_11comp_targetILNS1_3genE10ELNS1_11target_archE1200ELNS1_3gpuE4ELNS1_3repE0EEENS1_30default_config_static_selectorELNS0_4arch9wavefront6targetE0EEEvT1_, .Lfunc_end105-_ZN7rocprim17ROCPRIM_400000_NS6detail17trampoline_kernelINS0_14default_configENS1_29reduce_by_key_config_selectorIffN6thrust23THRUST_200600_302600_NS4plusIfEEEEZZNS1_33reduce_by_key_impl_wrapped_configILNS1_25lookback_scan_determinismE1ES3_S9_NS6_6detail15normal_iteratorINS6_10device_ptrIfEEEESG_SG_SG_PmS8_NS6_8equal_toIfEEEE10hipError_tPvRmT2_T3_mT4_T5_T6_T7_T8_P12ihipStream_tbENKUlT_T0_E_clISt17integral_constantIbLb1EES11_EEDaSW_SX_EUlSW_E_NS1_11comp_targetILNS1_3genE10ELNS1_11target_archE1200ELNS1_3gpuE4ELNS1_3repE0EEENS1_30default_config_static_selectorELNS0_4arch9wavefront6targetE0EEEvT1_
                                        ; -- End function
	.section	.AMDGPU.csdata,"",@progbits
; Kernel info:
; codeLenInByte = 0
; NumSgprs: 0
; NumVgprs: 0
; ScratchSize: 0
; MemoryBound: 0
; FloatMode: 240
; IeeeMode: 1
; LDSByteSize: 0 bytes/workgroup (compile time only)
; SGPRBlocks: 0
; VGPRBlocks: 0
; NumSGPRsForWavesPerEU: 1
; NumVGPRsForWavesPerEU: 1
; Occupancy: 16
; WaveLimiterHint : 0
; COMPUTE_PGM_RSRC2:SCRATCH_EN: 0
; COMPUTE_PGM_RSRC2:USER_SGPR: 15
; COMPUTE_PGM_RSRC2:TRAP_HANDLER: 0
; COMPUTE_PGM_RSRC2:TGID_X_EN: 1
; COMPUTE_PGM_RSRC2:TGID_Y_EN: 0
; COMPUTE_PGM_RSRC2:TGID_Z_EN: 0
; COMPUTE_PGM_RSRC2:TIDIG_COMP_CNT: 0
	.section	.text._ZN7rocprim17ROCPRIM_400000_NS6detail17trampoline_kernelINS0_14default_configENS1_29reduce_by_key_config_selectorIffN6thrust23THRUST_200600_302600_NS4plusIfEEEEZZNS1_33reduce_by_key_impl_wrapped_configILNS1_25lookback_scan_determinismE1ES3_S9_NS6_6detail15normal_iteratorINS6_10device_ptrIfEEEESG_SG_SG_PmS8_NS6_8equal_toIfEEEE10hipError_tPvRmT2_T3_mT4_T5_T6_T7_T8_P12ihipStream_tbENKUlT_T0_E_clISt17integral_constantIbLb1EES11_EEDaSW_SX_EUlSW_E_NS1_11comp_targetILNS1_3genE9ELNS1_11target_archE1100ELNS1_3gpuE3ELNS1_3repE0EEENS1_30default_config_static_selectorELNS0_4arch9wavefront6targetE0EEEvT1_,"axG",@progbits,_ZN7rocprim17ROCPRIM_400000_NS6detail17trampoline_kernelINS0_14default_configENS1_29reduce_by_key_config_selectorIffN6thrust23THRUST_200600_302600_NS4plusIfEEEEZZNS1_33reduce_by_key_impl_wrapped_configILNS1_25lookback_scan_determinismE1ES3_S9_NS6_6detail15normal_iteratorINS6_10device_ptrIfEEEESG_SG_SG_PmS8_NS6_8equal_toIfEEEE10hipError_tPvRmT2_T3_mT4_T5_T6_T7_T8_P12ihipStream_tbENKUlT_T0_E_clISt17integral_constantIbLb1EES11_EEDaSW_SX_EUlSW_E_NS1_11comp_targetILNS1_3genE9ELNS1_11target_archE1100ELNS1_3gpuE3ELNS1_3repE0EEENS1_30default_config_static_selectorELNS0_4arch9wavefront6targetE0EEEvT1_,comdat
	.protected	_ZN7rocprim17ROCPRIM_400000_NS6detail17trampoline_kernelINS0_14default_configENS1_29reduce_by_key_config_selectorIffN6thrust23THRUST_200600_302600_NS4plusIfEEEEZZNS1_33reduce_by_key_impl_wrapped_configILNS1_25lookback_scan_determinismE1ES3_S9_NS6_6detail15normal_iteratorINS6_10device_ptrIfEEEESG_SG_SG_PmS8_NS6_8equal_toIfEEEE10hipError_tPvRmT2_T3_mT4_T5_T6_T7_T8_P12ihipStream_tbENKUlT_T0_E_clISt17integral_constantIbLb1EES11_EEDaSW_SX_EUlSW_E_NS1_11comp_targetILNS1_3genE9ELNS1_11target_archE1100ELNS1_3gpuE3ELNS1_3repE0EEENS1_30default_config_static_selectorELNS0_4arch9wavefront6targetE0EEEvT1_ ; -- Begin function _ZN7rocprim17ROCPRIM_400000_NS6detail17trampoline_kernelINS0_14default_configENS1_29reduce_by_key_config_selectorIffN6thrust23THRUST_200600_302600_NS4plusIfEEEEZZNS1_33reduce_by_key_impl_wrapped_configILNS1_25lookback_scan_determinismE1ES3_S9_NS6_6detail15normal_iteratorINS6_10device_ptrIfEEEESG_SG_SG_PmS8_NS6_8equal_toIfEEEE10hipError_tPvRmT2_T3_mT4_T5_T6_T7_T8_P12ihipStream_tbENKUlT_T0_E_clISt17integral_constantIbLb1EES11_EEDaSW_SX_EUlSW_E_NS1_11comp_targetILNS1_3genE9ELNS1_11target_archE1100ELNS1_3gpuE3ELNS1_3repE0EEENS1_30default_config_static_selectorELNS0_4arch9wavefront6targetE0EEEvT1_
	.globl	_ZN7rocprim17ROCPRIM_400000_NS6detail17trampoline_kernelINS0_14default_configENS1_29reduce_by_key_config_selectorIffN6thrust23THRUST_200600_302600_NS4plusIfEEEEZZNS1_33reduce_by_key_impl_wrapped_configILNS1_25lookback_scan_determinismE1ES3_S9_NS6_6detail15normal_iteratorINS6_10device_ptrIfEEEESG_SG_SG_PmS8_NS6_8equal_toIfEEEE10hipError_tPvRmT2_T3_mT4_T5_T6_T7_T8_P12ihipStream_tbENKUlT_T0_E_clISt17integral_constantIbLb1EES11_EEDaSW_SX_EUlSW_E_NS1_11comp_targetILNS1_3genE9ELNS1_11target_archE1100ELNS1_3gpuE3ELNS1_3repE0EEENS1_30default_config_static_selectorELNS0_4arch9wavefront6targetE0EEEvT1_
	.p2align	8
	.type	_ZN7rocprim17ROCPRIM_400000_NS6detail17trampoline_kernelINS0_14default_configENS1_29reduce_by_key_config_selectorIffN6thrust23THRUST_200600_302600_NS4plusIfEEEEZZNS1_33reduce_by_key_impl_wrapped_configILNS1_25lookback_scan_determinismE1ES3_S9_NS6_6detail15normal_iteratorINS6_10device_ptrIfEEEESG_SG_SG_PmS8_NS6_8equal_toIfEEEE10hipError_tPvRmT2_T3_mT4_T5_T6_T7_T8_P12ihipStream_tbENKUlT_T0_E_clISt17integral_constantIbLb1EES11_EEDaSW_SX_EUlSW_E_NS1_11comp_targetILNS1_3genE9ELNS1_11target_archE1100ELNS1_3gpuE3ELNS1_3repE0EEENS1_30default_config_static_selectorELNS0_4arch9wavefront6targetE0EEEvT1_,@function
_ZN7rocprim17ROCPRIM_400000_NS6detail17trampoline_kernelINS0_14default_configENS1_29reduce_by_key_config_selectorIffN6thrust23THRUST_200600_302600_NS4plusIfEEEEZZNS1_33reduce_by_key_impl_wrapped_configILNS1_25lookback_scan_determinismE1ES3_S9_NS6_6detail15normal_iteratorINS6_10device_ptrIfEEEESG_SG_SG_PmS8_NS6_8equal_toIfEEEE10hipError_tPvRmT2_T3_mT4_T5_T6_T7_T8_P12ihipStream_tbENKUlT_T0_E_clISt17integral_constantIbLb1EES11_EEDaSW_SX_EUlSW_E_NS1_11comp_targetILNS1_3genE9ELNS1_11target_archE1100ELNS1_3gpuE3ELNS1_3repE0EEENS1_30default_config_static_selectorELNS0_4arch9wavefront6targetE0EEEvT1_: ; @_ZN7rocprim17ROCPRIM_400000_NS6detail17trampoline_kernelINS0_14default_configENS1_29reduce_by_key_config_selectorIffN6thrust23THRUST_200600_302600_NS4plusIfEEEEZZNS1_33reduce_by_key_impl_wrapped_configILNS1_25lookback_scan_determinismE1ES3_S9_NS6_6detail15normal_iteratorINS6_10device_ptrIfEEEESG_SG_SG_PmS8_NS6_8equal_toIfEEEE10hipError_tPvRmT2_T3_mT4_T5_T6_T7_T8_P12ihipStream_tbENKUlT_T0_E_clISt17integral_constantIbLb1EES11_EEDaSW_SX_EUlSW_E_NS1_11comp_targetILNS1_3genE9ELNS1_11target_archE1100ELNS1_3gpuE3ELNS1_3repE0EEENS1_30default_config_static_selectorELNS0_4arch9wavefront6targetE0EEEvT1_
; %bb.0:
	s_clause 0x4
	s_load_b256 s[20:27], s[0:1], 0x0
	s_load_b128 s[28:31], s[0:1], 0x20
	s_load_b256 s[36:43], s[0:1], 0x38
	s_load_b64 s[34:35], s[0:1], 0x68
	s_load_b128 s[44:47], s[0:1], 0x58
	v_cmp_ne_u32_e64 s3, 0, v0
	v_cmp_eq_u32_e64 s2, 0, v0
	s_delay_alu instid0(VALU_DEP_1)
	s_and_saveexec_b32 s4, s2
	s_cbranch_execz .LBB106_4
; %bb.1:
	s_mov_b32 s6, exec_lo
	s_mov_b32 s5, exec_lo
	v_mbcnt_lo_u32_b32 v1, s6, 0
                                        ; implicit-def: $vgpr2
	s_delay_alu instid0(VALU_DEP_1)
	v_cmpx_eq_u32_e32 0, v1
	s_cbranch_execz .LBB106_3
; %bb.2:
	s_load_b64 s[0:1], s[0:1], 0x70
	s_bcnt1_i32_b32 s6, s6
	s_delay_alu instid0(SALU_CYCLE_1)
	v_dual_mov_b32 v2, 0 :: v_dual_mov_b32 v3, s6
	s_waitcnt lgkmcnt(0)
	global_atomic_add_u32 v2, v2, v3, s[0:1] glc
.LBB106_3:
	s_or_b32 exec_lo, exec_lo, s5
	s_waitcnt vmcnt(0)
	v_readfirstlane_b32 s0, v2
	s_delay_alu instid0(VALU_DEP_1)
	v_dual_mov_b32 v2, 0 :: v_dual_add_nc_u32 v1, s0, v1
	ds_store_b32 v2, v1
.LBB106_4:
	s_or_b32 exec_lo, exec_lo, s4
	v_mov_b32_e32 v2, 0
	s_waitcnt lgkmcnt(0)
	s_barrier
	buffer_gl0_inv
	s_lshl_b64 s[4:5], s[22:23], 2
	ds_load_b32 v1, v2
	s_add_u32 s9, s20, s4
	s_mul_i32 s1, s40, s39
	s_mul_hi_u32 s6, s40, s38
	s_addc_u32 s10, s21, s5
	s_add_u32 s11, s24, s4
	s_mul_i32 s7, s41, s38
	s_addc_u32 s12, s25, s5
	s_add_i32 s1, s6, s1
	s_mul_i32 s8, s40, s38
	s_add_i32 s1, s1, s7
	s_mov_b32 s0, 0
	s_waitcnt lgkmcnt(0)
	s_barrier
	buffer_gl0_inv
	v_readfirstlane_b32 s48, v1
	v_mul_lo_u32 v1, 0xf00, v1
	s_delay_alu instid0(VALU_DEP_2) | instskip(SKIP_3) | instid1(VALU_DEP_1)
	s_add_u32 s18, s8, s48
	s_addc_u32 s19, s1, 0
	s_add_u32 s4, s42, -1
	s_addc_u32 s5, s43, -1
	v_lshlrev_b64 v[3:4], 2, v[1:2]
	s_cmp_eq_u64 s[18:19], s[4:5]
	s_mul_i32 s40, s4, 0xfffff100
	s_cselect_b32 s33, -1, 0
	s_cmp_lg_u64 s[18:19], s[4:5]
	s_delay_alu instid0(VALU_DEP_1)
	v_add_co_u32 v2, vcc_lo, s9, v3
	v_add_co_ci_u32_e32 v1, vcc_lo, s10, v4, vcc_lo
	v_add_co_u32 v3, vcc_lo, s11, v3
	v_add_co_ci_u32_e32 v4, vcc_lo, s12, v4, vcc_lo
	s_cselect_b32 s17, -1, 0
	s_and_b32 vcc_lo, exec_lo, s33
	s_cbranch_vccnz .LBB106_6
; %bb.5:
	v_lshlrev_b32_e32 v29, 2, v0
	s_delay_alu instid0(VALU_DEP_1) | instskip(SKIP_1) | instid1(VALU_DEP_2)
	v_add_co_u32 v5, vcc_lo, v2, v29
	v_add_co_ci_u32_e32 v6, vcc_lo, 0, v1, vcc_lo
	v_add_co_u32 v7, vcc_lo, 0x1000, v5
	s_delay_alu instid0(VALU_DEP_2)
	v_add_co_ci_u32_e32 v8, vcc_lo, 0, v6, vcc_lo
	s_clause 0x7
	flat_load_b32 v9, v[5:6]
	flat_load_b32 v10, v[5:6] offset:1024
	flat_load_b32 v11, v[5:6] offset:2048
	;; [unrolled: 1-line block ×3, first 2 shown]
	flat_load_b32 v13, v[7:8]
	flat_load_b32 v14, v[7:8] offset:1024
	flat_load_b32 v15, v[7:8] offset:2048
	;; [unrolled: 1-line block ×3, first 2 shown]
	v_add_co_u32 v7, vcc_lo, 0x2000, v5
	v_add_co_ci_u32_e32 v8, vcc_lo, 0, v6, vcc_lo
	v_add_co_u32 v5, vcc_lo, 0x3000, v5
	v_add_co_ci_u32_e32 v6, vcc_lo, 0, v6, vcc_lo
	s_clause 0x6
	flat_load_b32 v17, v[7:8]
	flat_load_b32 v18, v[7:8] offset:1024
	flat_load_b32 v19, v[7:8] offset:2048
	;; [unrolled: 1-line block ×3, first 2 shown]
	flat_load_b32 v20, v[5:6]
	flat_load_b32 v21, v[5:6] offset:1024
	flat_load_b32 v22, v[5:6] offset:2048
	v_add_co_u32 v6, vcc_lo, v3, v29
	v_add_co_ci_u32_e32 v7, vcc_lo, 0, v4, vcc_lo
	v_mad_u32_u24 v5, v0, 56, v29
	s_delay_alu instid0(VALU_DEP_3) | instskip(NEXT) | instid1(VALU_DEP_3)
	v_add_co_u32 v23, vcc_lo, 0x1000, v6
	v_add_co_ci_u32_e32 v24, vcc_lo, 0, v7, vcc_lo
	v_add_co_u32 v25, vcc_lo, 0x2000, v6
	v_add_co_ci_u32_e32 v26, vcc_lo, 0, v7, vcc_lo
	;; [unrolled: 2-line block ×3, first 2 shown]
	s_waitcnt vmcnt(13) lgkmcnt(13)
	ds_store_2addr_stride64_b32 v29, v9, v10 offset1:4
	s_waitcnt vmcnt(11) lgkmcnt(12)
	ds_store_2addr_stride64_b32 v29, v11, v12 offset0:8 offset1:12
	s_waitcnt vmcnt(9) lgkmcnt(11)
	ds_store_2addr_stride64_b32 v29, v13, v14 offset0:16 offset1:20
	;; [unrolled: 2-line block ×6, first 2 shown]
	s_waitcnt vmcnt(0) lgkmcnt(7)
	ds_store_b32 v29, v22 offset:14336
	s_waitcnt lgkmcnt(0)
	s_barrier
	buffer_gl0_inv
	ds_load_2addr_b32 v[21:22], v5 offset1:1
	ds_load_2addr_b32 v[19:20], v5 offset0:2 offset1:3
	ds_load_2addr_b32 v[17:18], v5 offset0:4 offset1:5
	;; [unrolled: 1-line block ×6, first 2 shown]
	ds_load_b32 v43, v5 offset:56
	s_waitcnt lgkmcnt(0)
	s_barrier
	buffer_gl0_inv
	s_clause 0xe
	flat_load_b32 v8, v[6:7]
	flat_load_b32 v30, v[6:7] offset:1024
	flat_load_b32 v31, v[6:7] offset:2048
	flat_load_b32 v6, v[6:7] offset:3072
	flat_load_b32 v7, v[23:24]
	flat_load_b32 v32, v[23:24] offset:1024
	flat_load_b32 v33, v[23:24] offset:2048
	flat_load_b32 v23, v[23:24] offset:3072
	;; [unrolled: 4-line block ×3, first 2 shown]
	flat_load_b32 v26, v[27:28]
	flat_load_b32 v36, v[27:28] offset:1024
	flat_load_b32 v27, v[27:28] offset:2048
	s_waitcnt vmcnt(13) lgkmcnt(13)
	ds_store_2addr_stride64_b32 v29, v8, v30 offset1:4
	s_waitcnt vmcnt(11) lgkmcnt(12)
	ds_store_2addr_stride64_b32 v29, v31, v6 offset0:8 offset1:12
	s_waitcnt vmcnt(9) lgkmcnt(11)
	ds_store_2addr_stride64_b32 v29, v7, v32 offset0:16 offset1:20
	;; [unrolled: 2-line block ×6, first 2 shown]
	s_waitcnt vmcnt(0) lgkmcnt(7)
	ds_store_b32 v29, v27 offset:14336
	s_waitcnt lgkmcnt(0)
	s_barrier
	s_and_not1_b32 vcc_lo, exec_lo, s0
	s_add_i32 s40, s40, s44
	s_cbranch_vccz .LBB106_7
	s_branch .LBB106_54
.LBB106_6:
                                        ; implicit-def: $vgpr5
                                        ; implicit-def: $vgpr21
                                        ; implicit-def: $vgpr19
                                        ; implicit-def: $vgpr17
                                        ; implicit-def: $vgpr15
                                        ; implicit-def: $vgpr13
                                        ; implicit-def: $vgpr11
                                        ; implicit-def: $vgpr9
                                        ; implicit-def: $vgpr43
	s_add_i32 s40, s40, s44
.LBB106_7:
	s_delay_alu instid0(SALU_CYCLE_1)
	v_cmp_gt_u32_e32 vcc_lo, s40, v0
                                        ; implicit-def: $vgpr5
	s_and_saveexec_b32 s1, vcc_lo
	s_cbranch_execz .LBB106_9
; %bb.8:
	v_lshlrev_b32_e32 v5, 2, v0
	s_delay_alu instid0(VALU_DEP_1) | instskip(NEXT) | instid1(VALU_DEP_1)
	v_add_co_u32 v5, s0, v2, v5
	v_add_co_ci_u32_e64 v6, s0, 0, v1, s0
	flat_load_b32 v5, v[5:6]
.LBB106_9:
	s_or_b32 exec_lo, exec_lo, s1
	v_or_b32_e32 v6, 0x100, v0
                                        ; implicit-def: $vgpr9
	s_delay_alu instid0(VALU_DEP_1) | instskip(NEXT) | instid1(VALU_DEP_1)
	v_cmp_gt_u32_e64 s0, s40, v6
	s_and_saveexec_b32 s4, s0
	s_cbranch_execz .LBB106_11
; %bb.10:
	v_lshlrev_b32_e32 v6, 2, v0
	s_delay_alu instid0(VALU_DEP_1) | instskip(NEXT) | instid1(VALU_DEP_1)
	v_add_co_u32 v6, s1, v2, v6
	v_add_co_ci_u32_e64 v7, s1, 0, v1, s1
	flat_load_b32 v9, v[6:7] offset:1024
.LBB106_11:
	s_or_b32 exec_lo, exec_lo, s4
	v_or_b32_e32 v6, 0x200, v0
                                        ; implicit-def: $vgpr10
	s_delay_alu instid0(VALU_DEP_1) | instskip(NEXT) | instid1(VALU_DEP_1)
	v_cmp_gt_u32_e64 s1, s40, v6
	s_and_saveexec_b32 s5, s1
	s_cbranch_execz .LBB106_13
; %bb.12:
	v_lshlrev_b32_e32 v6, 2, v0
	s_delay_alu instid0(VALU_DEP_1) | instskip(NEXT) | instid1(VALU_DEP_1)
	v_add_co_u32 v6, s4, v2, v6
	v_add_co_ci_u32_e64 v7, s4, 0, v1, s4
	flat_load_b32 v10, v[6:7] offset:2048
.LBB106_13:
	s_or_b32 exec_lo, exec_lo, s5
	v_or_b32_e32 v6, 0x300, v0
                                        ; implicit-def: $vgpr11
	s_delay_alu instid0(VALU_DEP_1) | instskip(NEXT) | instid1(VALU_DEP_1)
	v_cmp_gt_u32_e64 s4, s40, v6
	s_and_saveexec_b32 s6, s4
	s_cbranch_execz .LBB106_15
; %bb.14:
	v_lshlrev_b32_e32 v6, 2, v0
	s_delay_alu instid0(VALU_DEP_1) | instskip(NEXT) | instid1(VALU_DEP_1)
	v_add_co_u32 v6, s5, v2, v6
	v_add_co_ci_u32_e64 v7, s5, 0, v1, s5
	flat_load_b32 v11, v[6:7] offset:3072
.LBB106_15:
	s_or_b32 exec_lo, exec_lo, s6
	v_or_b32_e32 v6, 0x400, v0
                                        ; implicit-def: $vgpr12
	s_delay_alu instid0(VALU_DEP_1) | instskip(NEXT) | instid1(VALU_DEP_1)
	v_cmp_gt_u32_e64 s5, s40, v6
	s_and_saveexec_b32 s7, s5
	s_cbranch_execz .LBB106_17
; %bb.16:
	v_lshlrev_b32_e32 v7, 2, v6
	s_delay_alu instid0(VALU_DEP_1) | instskip(NEXT) | instid1(VALU_DEP_1)
	v_add_co_u32 v7, s6, v2, v7
	v_add_co_ci_u32_e64 v8, s6, 0, v1, s6
	flat_load_b32 v12, v[7:8]
.LBB106_17:
	s_or_b32 exec_lo, exec_lo, s7
	v_or_b32_e32 v7, 0x500, v0
                                        ; implicit-def: $vgpr13
	s_delay_alu instid0(VALU_DEP_1) | instskip(NEXT) | instid1(VALU_DEP_1)
	v_cmp_gt_u32_e64 s6, s40, v7
	s_and_saveexec_b32 s8, s6
	s_cbranch_execz .LBB106_19
; %bb.18:
	v_lshlrev_b32_e32 v8, 2, v7
	s_delay_alu instid0(VALU_DEP_1) | instskip(NEXT) | instid1(VALU_DEP_1)
	v_add_co_u32 v13, s7, v2, v8
	v_add_co_ci_u32_e64 v14, s7, 0, v1, s7
	flat_load_b32 v13, v[13:14]
.LBB106_19:
	s_or_b32 exec_lo, exec_lo, s8
	v_or_b32_e32 v8, 0x600, v0
                                        ; implicit-def: $vgpr14
	s_delay_alu instid0(VALU_DEP_1) | instskip(NEXT) | instid1(VALU_DEP_1)
	v_cmp_gt_u32_e64 s7, s40, v8
	s_and_saveexec_b32 s9, s7
	s_cbranch_execz .LBB106_21
; %bb.20:
	v_lshlrev_b32_e32 v14, 2, v8
	s_delay_alu instid0(VALU_DEP_1) | instskip(NEXT) | instid1(VALU_DEP_1)
	v_add_co_u32 v14, s8, v2, v14
	v_add_co_ci_u32_e64 v15, s8, 0, v1, s8
	flat_load_b32 v14, v[14:15]
.LBB106_21:
	s_or_b32 exec_lo, exec_lo, s9
	v_or_b32_e32 v23, 0x700, v0
                                        ; implicit-def: $vgpr15
	s_delay_alu instid0(VALU_DEP_1) | instskip(NEXT) | instid1(VALU_DEP_1)
	v_cmp_gt_u32_e64 s8, s40, v23
	s_and_saveexec_b32 s10, s8
	s_cbranch_execz .LBB106_23
; %bb.22:
	v_lshlrev_b32_e32 v15, 2, v23
	s_delay_alu instid0(VALU_DEP_1) | instskip(NEXT) | instid1(VALU_DEP_1)
	v_add_co_u32 v15, s9, v2, v15
	v_add_co_ci_u32_e64 v16, s9, 0, v1, s9
	flat_load_b32 v15, v[15:16]
.LBB106_23:
	s_or_b32 exec_lo, exec_lo, s10
	v_or_b32_e32 v24, 0x800, v0
                                        ; implicit-def: $vgpr16
	s_delay_alu instid0(VALU_DEP_1) | instskip(NEXT) | instid1(VALU_DEP_1)
	v_cmp_gt_u32_e64 s9, s40, v24
	s_and_saveexec_b32 s11, s9
	s_cbranch_execz .LBB106_25
; %bb.24:
	v_lshlrev_b32_e32 v16, 2, v24
	s_delay_alu instid0(VALU_DEP_1) | instskip(NEXT) | instid1(VALU_DEP_1)
	v_add_co_u32 v16, s10, v2, v16
	v_add_co_ci_u32_e64 v17, s10, 0, v1, s10
	flat_load_b32 v16, v[16:17]
.LBB106_25:
	s_or_b32 exec_lo, exec_lo, s11
	v_or_b32_e32 v26, 0x900, v0
                                        ; implicit-def: $vgpr17
	s_delay_alu instid0(VALU_DEP_1) | instskip(NEXT) | instid1(VALU_DEP_1)
	v_cmp_gt_u32_e64 s10, s40, v26
	s_and_saveexec_b32 s12, s10
	s_cbranch_execz .LBB106_27
; %bb.26:
	v_lshlrev_b32_e32 v17, 2, v26
	s_delay_alu instid0(VALU_DEP_1) | instskip(NEXT) | instid1(VALU_DEP_1)
	v_add_co_u32 v17, s11, v2, v17
	v_add_co_ci_u32_e64 v18, s11, 0, v1, s11
	flat_load_b32 v17, v[17:18]
.LBB106_27:
	s_or_b32 exec_lo, exec_lo, s12
	v_or_b32_e32 v27, 0xa00, v0
                                        ; implicit-def: $vgpr18
	s_delay_alu instid0(VALU_DEP_1) | instskip(NEXT) | instid1(VALU_DEP_1)
	v_cmp_gt_u32_e64 s11, s40, v27
	s_and_saveexec_b32 s13, s11
	s_cbranch_execz .LBB106_29
; %bb.28:
	v_lshlrev_b32_e32 v18, 2, v27
	s_delay_alu instid0(VALU_DEP_1) | instskip(NEXT) | instid1(VALU_DEP_1)
	v_add_co_u32 v18, s12, v2, v18
	v_add_co_ci_u32_e64 v19, s12, 0, v1, s12
	flat_load_b32 v18, v[18:19]
.LBB106_29:
	s_or_b32 exec_lo, exec_lo, s13
	v_or_b32_e32 v28, 0xb00, v0
                                        ; implicit-def: $vgpr19
	s_delay_alu instid0(VALU_DEP_1) | instskip(NEXT) | instid1(VALU_DEP_1)
	v_cmp_gt_u32_e64 s12, s40, v28
	s_and_saveexec_b32 s14, s12
	s_cbranch_execz .LBB106_31
; %bb.30:
	v_lshlrev_b32_e32 v19, 2, v28
	s_delay_alu instid0(VALU_DEP_1) | instskip(NEXT) | instid1(VALU_DEP_1)
	v_add_co_u32 v19, s13, v2, v19
	v_add_co_ci_u32_e64 v20, s13, 0, v1, s13
	flat_load_b32 v19, v[19:20]
.LBB106_31:
	s_or_b32 exec_lo, exec_lo, s14
	v_or_b32_e32 v29, 0xc00, v0
                                        ; implicit-def: $vgpr20
	s_delay_alu instid0(VALU_DEP_1) | instskip(NEXT) | instid1(VALU_DEP_1)
	v_cmp_gt_u32_e64 s13, s40, v29
	s_and_saveexec_b32 s15, s13
	s_cbranch_execz .LBB106_33
; %bb.32:
	v_lshlrev_b32_e32 v20, 2, v29
	s_delay_alu instid0(VALU_DEP_1) | instskip(NEXT) | instid1(VALU_DEP_1)
	v_add_co_u32 v20, s14, v2, v20
	v_add_co_ci_u32_e64 v21, s14, 0, v1, s14
	flat_load_b32 v20, v[20:21]
.LBB106_33:
	s_or_b32 exec_lo, exec_lo, s15
	v_or_b32_e32 v30, 0xd00, v0
                                        ; implicit-def: $vgpr21
	s_delay_alu instid0(VALU_DEP_1) | instskip(NEXT) | instid1(VALU_DEP_1)
	v_cmp_gt_u32_e64 s14, s40, v30
	s_and_saveexec_b32 s16, s14
	s_cbranch_execz .LBB106_35
; %bb.34:
	v_lshlrev_b32_e32 v21, 2, v30
	s_delay_alu instid0(VALU_DEP_1) | instskip(NEXT) | instid1(VALU_DEP_1)
	v_add_co_u32 v21, s15, v2, v21
	v_add_co_ci_u32_e64 v22, s15, 0, v1, s15
	flat_load_b32 v21, v[21:22]
.LBB106_35:
	s_or_b32 exec_lo, exec_lo, s16
	v_or_b32_e32 v31, 0xe00, v0
                                        ; implicit-def: $vgpr22
	s_delay_alu instid0(VALU_DEP_1) | instskip(NEXT) | instid1(VALU_DEP_1)
	v_cmp_gt_u32_e64 s15, s40, v31
	s_and_saveexec_b32 s20, s15
	s_cbranch_execz .LBB106_37
; %bb.36:
	v_lshlrev_b32_e32 v22, 2, v31
	s_delay_alu instid0(VALU_DEP_1) | instskip(NEXT) | instid1(VALU_DEP_1)
	v_add_co_u32 v32, s16, v2, v22
	v_add_co_ci_u32_e64 v33, s16, 0, v1, s16
	flat_load_b32 v22, v[32:33]
.LBB106_37:
	s_or_b32 exec_lo, exec_lo, s20
	v_lshlrev_b32_e32 v25, 2, v0
                                        ; implicit-def: $vgpr32
	s_waitcnt vmcnt(0) lgkmcnt(0)
	ds_store_2addr_stride64_b32 v25, v5, v9 offset1:4
	ds_store_2addr_stride64_b32 v25, v10, v11 offset0:8 offset1:12
	ds_store_2addr_stride64_b32 v25, v12, v13 offset0:16 offset1:20
	;; [unrolled: 1-line block ×6, first 2 shown]
	v_mad_u32_u24 v5, v0, 56, v25
	ds_store_b32 v25, v22 offset:14336
	s_waitcnt lgkmcnt(0)
	s_barrier
	buffer_gl0_inv
	ds_load_2addr_b32 v[21:22], v5 offset1:1
	ds_load_2addr_b32 v[19:20], v5 offset0:2 offset1:3
	ds_load_2addr_b32 v[17:18], v5 offset0:4 offset1:5
	;; [unrolled: 1-line block ×6, first 2 shown]
	ds_load_b32 v43, v5 offset:56
	s_waitcnt lgkmcnt(0)
	s_barrier
	buffer_gl0_inv
	s_and_saveexec_b32 s16, vcc_lo
	s_cbranch_execz .LBB106_60
; %bb.38:
	v_add_co_u32 v32, vcc_lo, v3, v25
	v_add_co_ci_u32_e32 v33, vcc_lo, 0, v4, vcc_lo
	flat_load_b32 v32, v[32:33]
	s_or_b32 exec_lo, exec_lo, s16
                                        ; implicit-def: $vgpr33
	s_and_saveexec_b32 s16, s0
	s_cbranch_execnz .LBB106_61
.LBB106_39:
	s_or_b32 exec_lo, exec_lo, s16
                                        ; implicit-def: $vgpr34
	s_and_saveexec_b32 s0, s1
	s_cbranch_execz .LBB106_62
.LBB106_40:
	v_add_co_u32 v34, vcc_lo, v3, v25
	v_add_co_ci_u32_e32 v35, vcc_lo, 0, v4, vcc_lo
	flat_load_b32 v34, v[34:35] offset:2048
	s_or_b32 exec_lo, exec_lo, s0
                                        ; implicit-def: $vgpr35
	s_and_saveexec_b32 s0, s4
	s_cbranch_execnz .LBB106_63
.LBB106_41:
	s_or_b32 exec_lo, exec_lo, s0
                                        ; implicit-def: $vgpr36
	s_and_saveexec_b32 s0, s5
	s_cbranch_execz .LBB106_64
.LBB106_42:
	v_lshlrev_b32_e32 v6, 2, v6
	s_delay_alu instid0(VALU_DEP_1)
	v_add_co_u32 v36, vcc_lo, v3, v6
	v_add_co_ci_u32_e32 v37, vcc_lo, 0, v4, vcc_lo
	flat_load_b32 v36, v[36:37]
	s_or_b32 exec_lo, exec_lo, s0
                                        ; implicit-def: $vgpr6
	s_and_saveexec_b32 s0, s6
	s_cbranch_execnz .LBB106_65
.LBB106_43:
	s_or_b32 exec_lo, exec_lo, s0
                                        ; implicit-def: $vgpr7
	s_and_saveexec_b32 s0, s7
	s_cbranch_execz .LBB106_66
.LBB106_44:
	v_lshlrev_b32_e32 v7, 2, v8
	s_delay_alu instid0(VALU_DEP_1)
	v_add_co_u32 v7, vcc_lo, v3, v7
	v_add_co_ci_u32_e32 v8, vcc_lo, 0, v4, vcc_lo
	flat_load_b32 v7, v[7:8]
	s_or_b32 exec_lo, exec_lo, s0
                                        ; implicit-def: $vgpr8
	s_and_saveexec_b32 s0, s8
	s_cbranch_execnz .LBB106_67
.LBB106_45:
	s_or_b32 exec_lo, exec_lo, s0
                                        ; implicit-def: $vgpr23
	s_and_saveexec_b32 s0, s9
	s_cbranch_execz .LBB106_68
.LBB106_46:
	v_lshlrev_b32_e32 v23, 2, v24
	s_delay_alu instid0(VALU_DEP_1)
	v_add_co_u32 v23, vcc_lo, v3, v23
	v_add_co_ci_u32_e32 v24, vcc_lo, 0, v4, vcc_lo
	flat_load_b32 v23, v[23:24]
	s_or_b32 exec_lo, exec_lo, s0
                                        ; implicit-def: $vgpr24
	s_and_saveexec_b32 s0, s10
	s_cbranch_execnz .LBB106_69
.LBB106_47:
	s_or_b32 exec_lo, exec_lo, s0
                                        ; implicit-def: $vgpr26
	s_and_saveexec_b32 s0, s11
	s_cbranch_execz .LBB106_70
.LBB106_48:
	v_lshlrev_b32_e32 v26, 2, v27
	s_delay_alu instid0(VALU_DEP_1)
	v_add_co_u32 v26, vcc_lo, v3, v26
	v_add_co_ci_u32_e32 v27, vcc_lo, 0, v4, vcc_lo
	flat_load_b32 v26, v[26:27]
	s_or_b32 exec_lo, exec_lo, s0
                                        ; implicit-def: $vgpr27
	s_and_saveexec_b32 s0, s12
	s_cbranch_execnz .LBB106_71
.LBB106_49:
	s_or_b32 exec_lo, exec_lo, s0
                                        ; implicit-def: $vgpr28
	s_and_saveexec_b32 s0, s13
	s_cbranch_execz .LBB106_72
.LBB106_50:
	v_lshlrev_b32_e32 v28, 2, v29
	s_delay_alu instid0(VALU_DEP_1)
	v_add_co_u32 v28, vcc_lo, v3, v28
	v_add_co_ci_u32_e32 v29, vcc_lo, 0, v4, vcc_lo
	flat_load_b32 v28, v[28:29]
	s_or_b32 exec_lo, exec_lo, s0
                                        ; implicit-def: $vgpr29
	s_and_saveexec_b32 s0, s14
	s_cbranch_execnz .LBB106_73
.LBB106_51:
	s_or_b32 exec_lo, exec_lo, s0
                                        ; implicit-def: $vgpr30
	s_and_saveexec_b32 s0, s15
	s_cbranch_execz .LBB106_53
.LBB106_52:
	v_lshlrev_b32_e32 v30, 2, v31
	s_delay_alu instid0(VALU_DEP_1)
	v_add_co_u32 v3, vcc_lo, v3, v30
	v_add_co_ci_u32_e32 v4, vcc_lo, 0, v4, vcc_lo
	flat_load_b32 v30, v[3:4]
.LBB106_53:
	s_or_b32 exec_lo, exec_lo, s0
	s_waitcnt vmcnt(0) lgkmcnt(0)
	ds_store_2addr_stride64_b32 v25, v32, v33 offset1:4
	ds_store_2addr_stride64_b32 v25, v34, v35 offset0:8 offset1:12
	ds_store_2addr_stride64_b32 v25, v36, v6 offset0:16 offset1:20
	;; [unrolled: 1-line block ×6, first 2 shown]
	ds_store_b32 v25, v30 offset:14336
	s_waitcnt lgkmcnt(0)
	s_barrier
.LBB106_54:
	buffer_gl0_inv
	ds_load_2addr_b32 v[35:36], v5 offset1:1
	ds_load_2addr_b32 v[33:34], v5 offset0:2 offset1:3
	ds_load_2addr_b32 v[31:32], v5 offset0:4 offset1:5
	;; [unrolled: 1-line block ×6, first 2 shown]
	ds_load_b32 v59, v5 offset:56
	s_cmp_eq_u64 s[18:19], 0
	s_waitcnt lgkmcnt(0)
	s_cselect_b32 s41, -1, 0
	s_cmp_lg_u64 s[18:19], 0
	s_barrier
	s_cselect_b32 s15, -1, 0
	s_and_b32 vcc_lo, exec_lo, s17
	buffer_gl0_inv
	s_cbranch_vccz .LBB106_74
; %bb.55:
	s_and_b32 vcc_lo, exec_lo, s15
	s_cbranch_vccz .LBB106_114
; %bb.56:
	v_add_co_u32 v3, vcc_lo, -4, v2
	v_add_co_ci_u32_e32 v4, vcc_lo, -1, v1, vcc_lo
	v_cmp_neq_f32_e32 vcc_lo, v10, v43
	v_cmp_neq_f32_e64 s0, v9, v10
	v_cmp_neq_f32_e64 s1, v12, v9
	flat_load_b32 v3, v[3:4]
	v_lshlrev_b32_e32 v4, 2, v0
	v_cmp_neq_f32_e64 s4, v11, v12
	v_cmp_neq_f32_e64 s5, v14, v11
	;; [unrolled: 1-line block ×11, first 2 shown]
	s_mov_b32 s42, -1
	ds_store_b32 v4, v43
	s_waitcnt vmcnt(0) lgkmcnt(0)
	s_barrier
	buffer_gl0_inv
	s_and_saveexec_b32 s16, s3
	s_cbranch_execz .LBB106_58
; %bb.57:
	v_add_nc_u32_e32 v3, -4, v4
	ds_load_b32 v3, v3
.LBB106_58:
	s_or_b32 exec_lo, exec_lo, s16
	v_cndmask_b32_e64 v51, 0, 1, vcc_lo
	v_cndmask_b32_e64 v44, 0, 1, s0
	v_cndmask_b32_e64 v45, 0, 1, s1
	;; [unrolled: 1-line block ×13, first 2 shown]
	s_waitcnt lgkmcnt(0)
	v_cmp_neq_f32_e64 s0, v3, v21
.LBB106_59:
                                        ; implicit-def: $sgpr1
	s_branch .LBB106_75
.LBB106_60:
	s_or_b32 exec_lo, exec_lo, s16
                                        ; implicit-def: $vgpr33
	s_and_saveexec_b32 s16, s0
	s_cbranch_execz .LBB106_39
.LBB106_61:
	v_add_co_u32 v33, vcc_lo, v3, v25
	v_add_co_ci_u32_e32 v34, vcc_lo, 0, v4, vcc_lo
	flat_load_b32 v33, v[33:34] offset:1024
	s_or_b32 exec_lo, exec_lo, s16
                                        ; implicit-def: $vgpr34
	s_and_saveexec_b32 s0, s1
	s_cbranch_execnz .LBB106_40
.LBB106_62:
	s_or_b32 exec_lo, exec_lo, s0
                                        ; implicit-def: $vgpr35
	s_and_saveexec_b32 s0, s4
	s_cbranch_execz .LBB106_41
.LBB106_63:
	v_add_co_u32 v35, vcc_lo, v3, v25
	v_add_co_ci_u32_e32 v36, vcc_lo, 0, v4, vcc_lo
	flat_load_b32 v35, v[35:36] offset:3072
	s_or_b32 exec_lo, exec_lo, s0
                                        ; implicit-def: $vgpr36
	s_and_saveexec_b32 s0, s5
	s_cbranch_execnz .LBB106_42
.LBB106_64:
	s_or_b32 exec_lo, exec_lo, s0
                                        ; implicit-def: $vgpr6
	s_and_saveexec_b32 s0, s6
	s_cbranch_execz .LBB106_43
.LBB106_65:
	v_lshlrev_b32_e32 v6, 2, v7
	s_delay_alu instid0(VALU_DEP_1)
	v_add_co_u32 v6, vcc_lo, v3, v6
	v_add_co_ci_u32_e32 v7, vcc_lo, 0, v4, vcc_lo
	flat_load_b32 v6, v[6:7]
	s_or_b32 exec_lo, exec_lo, s0
                                        ; implicit-def: $vgpr7
	s_and_saveexec_b32 s0, s7
	s_cbranch_execnz .LBB106_44
.LBB106_66:
	s_or_b32 exec_lo, exec_lo, s0
                                        ; implicit-def: $vgpr8
	s_and_saveexec_b32 s0, s8
	s_cbranch_execz .LBB106_45
.LBB106_67:
	v_lshlrev_b32_e32 v8, 2, v23
	s_delay_alu instid0(VALU_DEP_1)
	v_add_co_u32 v37, vcc_lo, v3, v8
	v_add_co_ci_u32_e32 v38, vcc_lo, 0, v4, vcc_lo
	flat_load_b32 v8, v[37:38]
	s_or_b32 exec_lo, exec_lo, s0
                                        ; implicit-def: $vgpr23
	s_and_saveexec_b32 s0, s9
	s_cbranch_execnz .LBB106_46
.LBB106_68:
	s_or_b32 exec_lo, exec_lo, s0
                                        ; implicit-def: $vgpr24
	s_and_saveexec_b32 s0, s10
	s_cbranch_execz .LBB106_47
.LBB106_69:
	v_lshlrev_b32_e32 v24, 2, v26
	s_delay_alu instid0(VALU_DEP_1)
	v_add_co_u32 v37, vcc_lo, v3, v24
	v_add_co_ci_u32_e32 v38, vcc_lo, 0, v4, vcc_lo
	flat_load_b32 v24, v[37:38]
	s_or_b32 exec_lo, exec_lo, s0
                                        ; implicit-def: $vgpr26
	s_and_saveexec_b32 s0, s11
	s_cbranch_execnz .LBB106_48
.LBB106_70:
	s_or_b32 exec_lo, exec_lo, s0
                                        ; implicit-def: $vgpr27
	s_and_saveexec_b32 s0, s12
	s_cbranch_execz .LBB106_49
.LBB106_71:
	v_lshlrev_b32_e32 v27, 2, v28
	s_delay_alu instid0(VALU_DEP_1)
	v_add_co_u32 v27, vcc_lo, v3, v27
	v_add_co_ci_u32_e32 v28, vcc_lo, 0, v4, vcc_lo
	flat_load_b32 v27, v[27:28]
	s_or_b32 exec_lo, exec_lo, s0
                                        ; implicit-def: $vgpr28
	s_and_saveexec_b32 s0, s13
	s_cbranch_execnz .LBB106_50
.LBB106_72:
	s_or_b32 exec_lo, exec_lo, s0
                                        ; implicit-def: $vgpr29
	s_and_saveexec_b32 s0, s14
	s_cbranch_execz .LBB106_51
.LBB106_73:
	v_lshlrev_b32_e32 v29, 2, v30
	s_delay_alu instid0(VALU_DEP_1)
	v_add_co_u32 v29, vcc_lo, v3, v29
	v_add_co_ci_u32_e32 v30, vcc_lo, 0, v4, vcc_lo
	flat_load_b32 v29, v[29:30]
	s_or_b32 exec_lo, exec_lo, s0
                                        ; implicit-def: $vgpr30
	s_and_saveexec_b32 s0, s15
	s_cbranch_execnz .LBB106_52
	s_branch .LBB106_53
.LBB106_74:
	s_mov_b32 s42, 0
                                        ; implicit-def: $sgpr0
                                        ; implicit-def: $vgpr51
                                        ; implicit-def: $vgpr44
                                        ; implicit-def: $vgpr45
                                        ; implicit-def: $vgpr46
                                        ; implicit-def: $vgpr47
                                        ; implicit-def: $vgpr48
                                        ; implicit-def: $vgpr49
                                        ; implicit-def: $vgpr50
                                        ; implicit-def: $vgpr52
                                        ; implicit-def: $vgpr53
                                        ; implicit-def: $vgpr54
                                        ; implicit-def: $vgpr55
                                        ; implicit-def: $vgpr56
                                        ; implicit-def: $vgpr57
                                        ; implicit-def: $sgpr1
	s_cbranch_execnz .LBB106_118
.LBB106_75:
	v_mov_b32_e32 v58, s1
	s_and_saveexec_b32 s1, s42
.LBB106_76:
	s_delay_alu instid0(VALU_DEP_2)
	v_cndmask_b32_e64 v58, 0, 1, s0
.LBB106_77:
	s_or_b32 exec_lo, exec_lo, s1
	s_delay_alu instid0(VALU_DEP_1)
	v_add3_u32 v1, v57, v58, v56
	v_add_f32_e32 v76, v35, v36
	v_cmp_eq_u32_e64 s13, 0, v57
	v_cmp_eq_u32_e64 s12, 0, v56
	;; [unrolled: 1-line block ×3, first 2 shown]
	v_add3_u32 v75, v1, v55, v54
	v_cmp_eq_u32_e64 s11, 0, v54
	v_cmp_eq_u32_e64 s9, 0, v53
	;; [unrolled: 1-line block ×10, first 2 shown]
	v_cmp_eq_u32_e32 vcc_lo, 0, v51
	v_mbcnt_lo_u32_b32 v72, -1, 0
	v_lshrrev_b32_e32 v73, 5, v0
	v_or_b32_e32 v74, 31, v0
	s_cmp_eq_u64 s[38:39], 0
	s_mov_b32 s21, 0
	s_cselect_b32 s20, -1, 0
	s_cmp_lg_u32 s48, 0
	s_cbranch_scc0 .LBB106_112
; %bb.78:
	v_add3_u32 v2, v75, v53, v52
	v_cndmask_b32_e64 v1, v36, v76, s13
	s_mov_b32 s15, exec_lo
	v_and_b32_e32 v4, 15, v72
	v_and_b32_e32 v6, 16, v72
	v_add3_u32 v2, v2, v50, v49
	v_add_f32_e32 v1, v33, v1
	s_delay_alu instid0(VALU_DEP_2) | instskip(NEXT) | instid1(VALU_DEP_2)
	v_add3_u32 v2, v2, v48, v47
	v_cndmask_b32_e64 v1, v33, v1, s12
	s_delay_alu instid0(VALU_DEP_2) | instskip(NEXT) | instid1(VALU_DEP_1)
	v_add3_u32 v2, v2, v46, v45
	v_add3_u32 v2, v2, v44, v51
	s_delay_alu instid0(VALU_DEP_3) | instskip(NEXT) | instid1(VALU_DEP_2)
	v_add_f32_e32 v1, v34, v1
	v_mov_b32_dpp v5, v2 row_shr:1 row_mask:0xf bank_mask:0xf
	s_delay_alu instid0(VALU_DEP_2) | instskip(NEXT) | instid1(VALU_DEP_1)
	v_cndmask_b32_e64 v1, v34, v1, s10
	v_add_f32_e32 v1, v31, v1
	s_delay_alu instid0(VALU_DEP_1) | instskip(NEXT) | instid1(VALU_DEP_1)
	v_cndmask_b32_e64 v1, v31, v1, s11
	v_add_f32_e32 v1, v32, v1
	s_delay_alu instid0(VALU_DEP_1) | instskip(NEXT) | instid1(VALU_DEP_1)
	;; [unrolled: 3-line block ×10, first 2 shown]
	v_cndmask_b32_e64 v1, v24, v1, s0
	v_add_f32_e32 v1, v59, v1
	s_delay_alu instid0(VALU_DEP_1) | instskip(SKIP_1) | instid1(VALU_DEP_2)
	v_cndmask_b32_e32 v1, v59, v1, vcc_lo
	v_cmp_eq_u32_e32 vcc_lo, 0, v2
	v_mov_b32_dpp v3, v1 row_shr:1 row_mask:0xf bank_mask:0xf
	s_delay_alu instid0(VALU_DEP_1) | instskip(NEXT) | instid1(VALU_DEP_1)
	v_add_f32_e32 v3, v1, v3
	v_cndmask_b32_e32 v3, v1, v3, vcc_lo
	v_cmp_eq_u32_e32 vcc_lo, 0, v4
	v_cndmask_b32_e64 v5, v5, 0, vcc_lo
	s_delay_alu instid0(VALU_DEP_1) | instskip(NEXT) | instid1(VALU_DEP_1)
	v_dual_cndmask_b32 v1, v3, v1 :: v_dual_add_nc_u32 v2, v5, v2
	v_mov_b32_dpp v3, v1 row_shr:2 row_mask:0xf bank_mask:0xf
	s_delay_alu instid0(VALU_DEP_2) | instskip(NEXT) | instid1(VALU_DEP_2)
	v_cmp_eq_u32_e32 vcc_lo, 0, v2
	v_add_f32_e32 v3, v1, v3
	v_mov_b32_dpp v5, v2 row_shr:2 row_mask:0xf bank_mask:0xf
	s_delay_alu instid0(VALU_DEP_2) | instskip(SKIP_1) | instid1(VALU_DEP_2)
	v_cndmask_b32_e32 v3, v1, v3, vcc_lo
	v_cmp_lt_u32_e32 vcc_lo, 1, v4
	v_cndmask_b32_e32 v1, v1, v3, vcc_lo
	s_delay_alu instid0(VALU_DEP_4) | instskip(NEXT) | instid1(VALU_DEP_2)
	v_cndmask_b32_e32 v3, 0, v5, vcc_lo
	v_mov_b32_dpp v5, v1 row_shr:4 row_mask:0xf bank_mask:0xf
	s_delay_alu instid0(VALU_DEP_1) | instskip(NEXT) | instid1(VALU_DEP_1)
	v_dual_add_f32 v3, v1, v5 :: v_dual_add_nc_u32 v2, v2, v3
	v_cmp_eq_u32_e32 vcc_lo, 0, v2
	v_mov_b32_dpp v5, v2 row_shr:4 row_mask:0xf bank_mask:0xf
	s_delay_alu instid0(VALU_DEP_3) | instskip(SKIP_1) | instid1(VALU_DEP_2)
	v_cndmask_b32_e32 v3, v1, v3, vcc_lo
	v_cmp_lt_u32_e32 vcc_lo, 3, v4
	v_cndmask_b32_e32 v1, v1, v3, vcc_lo
	s_delay_alu instid0(VALU_DEP_4) | instskip(NEXT) | instid1(VALU_DEP_2)
	v_cndmask_b32_e32 v3, 0, v5, vcc_lo
	v_mov_b32_dpp v5, v1 row_shr:8 row_mask:0xf bank_mask:0xf
	s_delay_alu instid0(VALU_DEP_1) | instskip(NEXT) | instid1(VALU_DEP_1)
	v_dual_add_f32 v2, v1, v5 :: v_dual_add_nc_u32 v3, v3, v2
	v_cmp_eq_u32_e32 vcc_lo, 0, v3
	v_mov_b32_dpp v5, v3 row_shr:8 row_mask:0xf bank_mask:0xf
	s_delay_alu instid0(VALU_DEP_3) | instskip(SKIP_1) | instid1(VALU_DEP_2)
	v_cndmask_b32_e32 v2, v1, v2, vcc_lo
	v_cmp_lt_u32_e32 vcc_lo, 7, v4
	v_dual_cndmask_b32 v2, v1, v2 :: v_dual_cndmask_b32 v1, 0, v5
	v_bfe_i32 v5, v72, 4, 1
	s_delay_alu instid0(VALU_DEP_2)
	v_add_nc_u32_e32 v1, v1, v3
	ds_swizzle_b32 v3, v2 offset:swizzle(BROADCAST,32,15)
	ds_swizzle_b32 v4, v1 offset:swizzle(BROADCAST,32,15)
	v_cmp_eq_u32_e32 vcc_lo, 0, v1
	s_waitcnt lgkmcnt(1)
	v_add_f32_e32 v3, v2, v3
	s_waitcnt lgkmcnt(0)
	v_and_b32_e32 v7, v5, v4
	s_delay_alu instid0(VALU_DEP_2) | instskip(SKIP_2) | instid1(VALU_DEP_4)
	v_cndmask_b32_e32 v5, v2, v3, vcc_lo
	v_cmp_eq_u32_e32 vcc_lo, 0, v6
	v_lshlrev_b32_e32 v4, 3, v73
	v_add_nc_u32_e32 v1, v7, v1
	s_delay_alu instid0(VALU_DEP_4)
	v_cndmask_b32_e32 v3, v5, v2, vcc_lo
	v_cmpx_eq_u32_e64 v74, v0
	s_cbranch_execz .LBB106_80
; %bb.79:
	v_cndmask_b32_e32 v2, v5, v2, vcc_lo
	ds_store_b64 v4, v[1:2] offset:2064
.LBB106_80:
	s_or_b32 exec_lo, exec_lo, s15
	s_delay_alu instid0(SALU_CYCLE_1)
	s_mov_b32 s15, exec_lo
	s_waitcnt lgkmcnt(0)
	s_barrier
	buffer_gl0_inv
	v_cmpx_gt_u32_e32 8, v0
	s_cbranch_execz .LBB106_82
; %bb.81:
	v_lshlrev_b32_e32 v2, 3, v0
	ds_load_b64 v[5:6], v2 offset:2064
	s_waitcnt lgkmcnt(0)
	v_mov_b32_dpp v7, v6 row_shr:1 row_mask:0xf bank_mask:0xf
	v_cmp_eq_u32_e32 vcc_lo, 0, v5
	v_mov_b32_dpp v37, v5 row_shr:1 row_mask:0xf bank_mask:0xf
	s_delay_alu instid0(VALU_DEP_3) | instskip(NEXT) | instid1(VALU_DEP_1)
	v_dual_add_f32 v7, v6, v7 :: v_dual_and_b32 v8, 7, v72
	v_cndmask_b32_e32 v7, v6, v7, vcc_lo
	s_delay_alu instid0(VALU_DEP_2) | instskip(NEXT) | instid1(VALU_DEP_4)
	v_cmp_eq_u32_e32 vcc_lo, 0, v8
	v_cndmask_b32_e64 v37, v37, 0, vcc_lo
	s_delay_alu instid0(VALU_DEP_1) | instskip(NEXT) | instid1(VALU_DEP_1)
	v_dual_cndmask_b32 v6, v7, v6 :: v_dual_add_nc_u32 v5, v37, v5
	v_mov_b32_dpp v7, v6 row_shr:2 row_mask:0xf bank_mask:0xf
	s_delay_alu instid0(VALU_DEP_2) | instskip(NEXT) | instid1(VALU_DEP_2)
	v_cmp_eq_u32_e32 vcc_lo, 0, v5
	v_add_f32_e32 v7, v6, v7
	v_mov_b32_dpp v37, v5 row_shr:2 row_mask:0xf bank_mask:0xf
	s_delay_alu instid0(VALU_DEP_2) | instskip(SKIP_1) | instid1(VALU_DEP_2)
	v_cndmask_b32_e32 v7, v6, v7, vcc_lo
	v_cmp_lt_u32_e32 vcc_lo, 1, v8
	v_dual_cndmask_b32 v6, v6, v7 :: v_dual_cndmask_b32 v7, 0, v37
	v_cmp_lt_u32_e32 vcc_lo, 3, v8
	s_delay_alu instid0(VALU_DEP_2) | instskip(NEXT) | instid1(VALU_DEP_1)
	v_mov_b32_dpp v37, v6 row_shr:4 row_mask:0xf bank_mask:0xf
	v_add_f32_e32 v8, v6, v37
	s_delay_alu instid0(VALU_DEP_4) | instskip(NEXT) | instid1(VALU_DEP_1)
	v_add_nc_u32_e32 v5, v7, v5
	v_mov_b32_dpp v7, v5 row_shr:4 row_mask:0xf bank_mask:0xf
	v_cmp_eq_u32_e64 s14, 0, v5
	s_delay_alu instid0(VALU_DEP_2) | instskip(NEXT) | instid1(VALU_DEP_2)
	v_cndmask_b32_e32 v7, 0, v7, vcc_lo
	s_and_b32 vcc_lo, vcc_lo, s14
	s_delay_alu instid0(VALU_DEP_1)
	v_dual_cndmask_b32 v6, v6, v8 :: v_dual_add_nc_u32 v5, v7, v5
	ds_store_b64 v2, v[5:6] offset:2064
.LBB106_82:
	s_or_b32 exec_lo, exec_lo, s15
	v_cmp_gt_u32_e32 vcc_lo, 32, v0
	v_dual_mov_b32 v37, 0 :: v_dual_mov_b32 v38, 0
	s_mov_b32 s15, exec_lo
	s_waitcnt lgkmcnt(0)
	s_barrier
	buffer_gl0_inv
	v_cmpx_lt_u32_e32 31, v0
	s_cbranch_execz .LBB106_84
; %bb.83:
	ds_load_b64 v[37:38], v4 offset:2056
	v_cmp_eq_u32_e64 s14, 0, v1
	s_waitcnt lgkmcnt(0)
	v_add_nc_u32_e32 v4, v37, v1
	s_delay_alu instid0(VALU_DEP_1) | instskip(NEXT) | instid1(VALU_DEP_1)
	v_dual_add_f32 v2, v3, v38 :: v_dual_mov_b32 v1, v4
	v_cndmask_b32_e64 v3, v3, v2, s14
.LBB106_84:
	s_or_b32 exec_lo, exec_lo, s15
	v_add_nc_u32_e32 v2, -1, v72
	s_mov_b32 s17, -1
	s_mov_b32 s15, 0
	s_delay_alu instid0(VALU_DEP_1) | instskip(NEXT) | instid1(VALU_DEP_1)
	v_cmp_gt_i32_e64 s14, 0, v2
	v_cndmask_b32_e64 v2, v2, v72, s14
	v_cmp_eq_u32_e64 s14, 0, v72
	s_delay_alu instid0(VALU_DEP_2)
	v_lshlrev_b32_e32 v2, 2, v2
	ds_bpermute_b32 v77, v2, v1
	ds_bpermute_b32 v78, v2, v3
	s_and_saveexec_b32 s22, vcc_lo
                                        ; implicit-def: $vgpr2_vgpr3_vgpr4
	s_cbranch_execz .LBB106_143
; %bb.85:
	v_mov_b32_e32 v4, 0
	ds_load_b64 v[1:2], v4 offset:2120
	s_waitcnt lgkmcnt(0)
	v_readfirstlane_b32 s23, v2
	s_and_saveexec_b32 s15, s14
	s_cbranch_execz .LBB106_87
; %bb.86:
	s_add_i32 s16, s48, 32
	s_mov_b32 s17, 0
	v_mov_b32_e32 v3, 1
	s_lshl_b64 s[18:19], s[16:17], 4
	s_mov_b32 s24, s17
	s_add_u32 s18, s36, s18
	s_addc_u32 s19, s37, s19
	s_and_b32 s25, s23, 0xff000000
	s_and_b32 s39, s23, 0xff0000
	s_mov_b32 s38, s17
	v_dual_mov_b32 v5, s18 :: v_dual_mov_b32 v6, s19
	s_or_b64 s[24:25], s[38:39], s[24:25]
	s_and_b32 s39, s23, 0xff00
	s_delay_alu instid0(SALU_CYCLE_1) | instskip(SKIP_1) | instid1(SALU_CYCLE_1)
	s_or_b64 s[24:25], s[24:25], s[38:39]
	s_and_b32 s39, s23, 0xff
	s_or_b64 s[16:17], s[24:25], s[38:39]
	s_delay_alu instid0(SALU_CYCLE_1)
	v_mov_b32_e32 v2, s17
	;;#ASMSTART
	global_store_dwordx4 v[5:6], v[1:4] off	
s_waitcnt vmcnt(0)
	;;#ASMEND
.LBB106_87:
	s_or_b32 exec_lo, exec_lo, s15
	v_xad_u32 v41, v72, -1, s48
	s_mov_b32 s16, 0
	s_mov_b32 s15, exec_lo
	s_mov_b32 s17, s16
	s_mov_b32 s18, s16
	s_mov_b32 s19, s16
	v_add_nc_u32_e32 v3, 32, v41
	v_dual_mov_b32 v5, s16 :: v_dual_mov_b32 v8, s19
	v_dual_mov_b32 v6, s17 :: v_dual_mov_b32 v7, s18
	s_delay_alu instid0(VALU_DEP_3)
	v_lshlrev_b64 v[2:3], 4, v[3:4]
	s_clause 0x5
	scratch_store_b128 off, v[5:8], off
	scratch_store_b128 off, v[5:8], off offset:16
	scratch_store_b32 off, v4, off offset:4
	scratch_store_b32 off, v4, off offset:12
	;; [unrolled: 1-line block ×4, first 2 shown]
	v_add_co_u32 v2, vcc_lo, s36, v2
	v_add_co_ci_u32_e32 v3, vcc_lo, s37, v3, vcc_lo
	;;#ASMSTART
	global_load_dwordx4 v[5:8], v[2:3] off glc	
s_waitcnt vmcnt(0)
	;;#ASMEND
	v_perm_b32 v4, v6, v7, 0x70605
	v_perm_b32 v8, v6, v7, 0x1000706
	;; [unrolled: 1-line block ×3, first 2 shown]
	v_and_b32_e32 v42, 0xff, v7
	v_alignbit_b32 v61, v6, v5, 16
	v_lshlrev_b32_e32 v4, 8, v4
	v_lshlrev_b32_e32 v8, 16, v8
	;; [unrolled: 1-line block ×3, first 2 shown]
	v_alignbit_b32 v60, v6, v5, 24
	s_delay_alu instid0(VALU_DEP_4) | instskip(NEXT) | instid1(VALU_DEP_4)
	v_perm_b32 v4, v4, v6, 0xc0c0500
	v_and_b32_e32 v40, 0xff0000, v8
	v_alignbit_b32 v8, v6, v5, 8
	s_delay_alu instid0(VALU_DEP_2)
	v_or3_b32 v6, v4, v40, v39
	v_cmpx_eq_u16_e32 0, v42
	s_cbranch_execz .LBB106_93
; %bb.88:
	s_mov_b32 s17, 1
	.p2align	6
.LBB106_89:                             ; =>This Loop Header: Depth=1
                                        ;     Child Loop BB106_90 Depth 2
	s_delay_alu instid0(SALU_CYCLE_1)
	s_max_u32 s18, s17, 1
.LBB106_90:                             ;   Parent Loop BB106_89 Depth=1
                                        ; =>  This Inner Loop Header: Depth=2
	s_delay_alu instid0(SALU_CYCLE_1)
	s_add_i32 s18, s18, -1
	s_sleep 1
	s_cmp_eq_u32 s18, 0
	s_cbranch_scc0 .LBB106_90
; %bb.91:                               ;   in Loop: Header=BB106_89 Depth=1
	;;#ASMSTART
	global_load_dwordx4 v[5:8], v[2:3] off glc	
s_waitcnt vmcnt(0)
	;;#ASMEND
	v_and_b32_e32 v4, 0xff, v7
	s_cmp_lt_u32 s17, 32
	s_cselect_b32 s18, -1, 0
	s_delay_alu instid0(VALU_DEP_1) | instskip(SKIP_3) | instid1(SALU_CYCLE_1)
	v_cmp_ne_u16_e32 vcc_lo, 0, v4
	s_cmp_lg_u32 s18, 0
	s_addc_u32 s17, s17, 0
	s_or_b32 s16, vcc_lo, s16
	s_and_not1_b32 exec_lo, exec_lo, s16
	s_cbranch_execnz .LBB106_89
; %bb.92:
	s_or_b32 exec_lo, exec_lo, s16
	v_perm_b32 v2, v6, v7, 0x70605
	v_perm_b32 v3, v6, v7, 0x1000706
	;; [unrolled: 1-line block ×3, first 2 shown]
	v_alignbit_b32 v8, v6, v5, 8
	v_alignbit_b32 v61, v6, v5, 16
	v_lshlrev_b32_e32 v2, 8, v2
	v_lshlrev_b32_e32 v3, 16, v3
	;; [unrolled: 1-line block ×3, first 2 shown]
	v_alignbit_b32 v60, v6, v5, 24
	s_delay_alu instid0(VALU_DEP_4) | instskip(NEXT) | instid1(VALU_DEP_4)
	v_perm_b32 v2, v2, v6, 0xc0c0500
	v_and_b32_e32 v3, 0xff0000, v3
	s_delay_alu instid0(VALU_DEP_1)
	v_or3_b32 v6, v2, v3, v4
.LBB106_93:
	s_or_b32 exec_lo, exec_lo, s15
	v_mov_b32_e32 v40, 0
	s_mov_b32 s17, 0
	s_branch .LBB106_95
.LBB106_94:                             ;   in Loop: Header=BB106_95 Depth=1
	s_or_b32 exec_lo, exec_lo, s17
	v_subrev_nc_u32_e32 v41, 32, v39
	s_add_i32 s17, s16, 1
	s_cbranch_execz .LBB106_103
.LBB106_95:                             ; =>This Loop Header: Depth=1
                                        ;     Child Loop BB106_98 Depth 2
                                        ;       Child Loop BB106_99 Depth 3
	v_dual_mov_b32 v4, v7 :: v_dual_lshlrev_b32 v3, 8, v8
	v_and_b32_e32 v5, 0xff, v5
	s_delay_alu instid0(VALU_DEP_2) | instskip(NEXT) | instid1(VALU_DEP_3)
	v_dual_mov_b32 v39, v41 :: v_dual_and_b32 v2, 0xff, v4
	v_and_b32_e32 v7, 0xff00, v3
	v_mov_b32_e32 v3, v6
	s_delay_alu instid0(VALU_DEP_3) | instskip(SKIP_1) | instid1(VALU_DEP_2)
	v_cmp_ne_u16_e64 s15, 2, v2
	v_cmp_ne_u16_e32 vcc_lo, 0xff, v2
	s_and_b32 s16, s15, vcc_lo
	s_delay_alu instid0(SALU_CYCLE_1) | instskip(SKIP_1) | instid1(VALU_DEP_1)
	v_cndmask_b32_e64 v2, 0, 1, s16
	;;#ASMSTART
	;;#ASMEND
	v_cmp_ne_u32_e32 vcc_lo, 0, v2
	v_lshlrev_b32_e32 v2, 16, v61
	s_mov_b32 s16, s17
	s_cmp_eq_u32 vcc_lo, exec_lo
	s_delay_alu instid0(VALU_DEP_1) | instskip(SKIP_3) | instid1(VALU_DEP_1)
	v_perm_b32 v2, v60, v2, 0x4020c0c
	s_cselect_b32 s17, -1, 0
	s_cmp_lt_u32 s16, 4
	s_cselect_b32 s18, -1, 0
	v_or3_b32 v2, v2, v7, v5
	s_and_b32 s17, s17, s18
	s_delay_alu instid0(SALU_CYCLE_1)
	s_and_not1_b32 vcc_lo, exec_lo, s17
	s_cbranch_vccnz .LBB106_102
; %bb.96:                               ;   in Loop: Header=BB106_95 Depth=1
	v_lshlrev_b64 v[5:6], 4, v[39:40]
	s_lshl_b32 s17, s16, 3
	s_delay_alu instid0(SALU_CYCLE_1)
	s_add_i32 s17, s17, 0
	scratch_store_b64 off, v[2:3], s17
	v_add_co_u32 v41, vcc_lo, s36, v5
	v_add_co_ci_u32_e32 v42, vcc_lo, s37, v6, vcc_lo
	;;#ASMSTART
	global_load_dwordx4 v[5:8], v[41:42] off glc	
s_waitcnt vmcnt(0)
	;;#ASMEND
	v_perm_b32 v8, v6, v7, 0x70605
	v_perm_b32 v60, v6, v7, 0x1000706
	;; [unrolled: 1-line block ×3, first 2 shown]
	v_and_b32_e32 v65, 0xff, v7
	s_mov_b32 s17, exec_lo
	v_lshlrev_b32_e32 v8, 8, v8
	v_lshlrev_b32_e32 v60, 16, v60
	;; [unrolled: 1-line block ×3, first 2 shown]
	v_alignbit_b32 v61, v6, v5, 16
	s_delay_alu instid0(VALU_DEP_4) | instskip(NEXT) | instid1(VALU_DEP_4)
	v_perm_b32 v63, v8, v6, 0xc0c0500
	v_and_b32_e32 v64, 0xff0000, v60
	v_alignbit_b32 v8, v6, v5, 8
	v_alignbit_b32 v60, v6, v5, 24
	s_delay_alu instid0(VALU_DEP_3)
	v_or3_b32 v6, v63, v64, v62
	v_cmpx_eq_u16_e32 0, v65
	s_cbranch_execz .LBB106_94
; %bb.97:                               ;   in Loop: Header=BB106_95 Depth=1
	s_mov_b32 s19, 1
	s_mov_b32 s18, 0
	.p2align	6
.LBB106_98:                             ;   Parent Loop BB106_95 Depth=1
                                        ; =>  This Loop Header: Depth=2
                                        ;       Child Loop BB106_99 Depth 3
	s_max_u32 s24, s19, 1
.LBB106_99:                             ;   Parent Loop BB106_95 Depth=1
                                        ;     Parent Loop BB106_98 Depth=2
                                        ; =>    This Inner Loop Header: Depth=3
	s_delay_alu instid0(SALU_CYCLE_1)
	s_add_i32 s24, s24, -1
	s_sleep 1
	s_cmp_eq_u32 s24, 0
	s_cbranch_scc0 .LBB106_99
; %bb.100:                              ;   in Loop: Header=BB106_98 Depth=2
	;;#ASMSTART
	global_load_dwordx4 v[5:8], v[41:42] off glc	
s_waitcnt vmcnt(0)
	;;#ASMEND
	v_and_b32_e32 v8, 0xff, v7
	s_cmp_lt_u32 s19, 32
	s_cselect_b32 s24, -1, 0
	s_delay_alu instid0(SALU_CYCLE_1) | instskip(NEXT) | instid1(VALU_DEP_1)
	s_cmp_lg_u32 s24, 0
	v_cmp_ne_u16_e32 vcc_lo, 0, v8
	s_addc_u32 s19, s19, 0
	s_or_b32 s18, vcc_lo, s18
	s_delay_alu instid0(SALU_CYCLE_1)
	s_and_not1_b32 exec_lo, exec_lo, s18
	s_cbranch_execnz .LBB106_98
; %bb.101:                              ;   in Loop: Header=BB106_95 Depth=1
	s_or_b32 exec_lo, exec_lo, s18
	v_perm_b32 v8, v6, v7, 0x70605
	v_perm_b32 v41, v6, v7, 0x1000706
	;; [unrolled: 1-line block ×3, first 2 shown]
	v_alignbit_b32 v61, v6, v5, 16
	v_alignbit_b32 v60, v6, v5, 24
	v_lshlrev_b32_e32 v8, 8, v8
	v_lshlrev_b32_e32 v41, 16, v41
	;; [unrolled: 1-line block ×3, first 2 shown]
	s_delay_alu instid0(VALU_DEP_3) | instskip(NEXT) | instid1(VALU_DEP_3)
	v_perm_b32 v62, v8, v6, 0xc0c0500
	v_and_b32_e32 v41, 0xff0000, v41
	v_alignbit_b32 v8, v6, v5, 8
	s_delay_alu instid0(VALU_DEP_2)
	v_or3_b32 v6, v62, v41, v42
	s_branch .LBB106_94
.LBB106_102:
                                        ; implicit-def: $vgpr41
                                        ; implicit-def: $sgpr17
                                        ; implicit-def: $vgpr7
                                        ; implicit-def: $vgpr6
                                        ; implicit-def: $vgpr8
                                        ; implicit-def: $vgpr61
                                        ; implicit-def: $vgpr60
.LBB106_103:
	v_cndmask_b32_e64 v5, 0, 1, s15
	;;#ASMSTART
	;;#ASMEND
	s_delay_alu instid0(VALU_DEP_1)
	v_cmp_ne_u32_e32 vcc_lo, 0, v5
	s_cmp_lg_u32 vcc_lo, exec_lo
	s_cbranch_scc1 .LBB106_127
; %bb.104:
	v_dual_mov_b32 v3, 0 :: v_dual_and_b32 v2, 0xff, v4
	s_delay_alu instid0(VALU_DEP_1) | instskip(SKIP_2) | instid1(VALU_DEP_1)
	v_cmp_eq_u16_e32 vcc_lo, 0xff, v2
	v_cndmask_b32_e64 v2, 0, 1, vcc_lo
	;;#ASMSTART
	;;#ASMEND
	v_cmp_ne_u32_e32 vcc_lo, 0, v2
	v_add_nc_u32_e32 v2, 32, v39
	s_cmp_eq_u32 vcc_lo, exec_lo
	s_cselect_b32 vcc_lo, -1, 0
	s_delay_alu instid0(VALU_DEP_1) | instskip(NEXT) | instid1(VALU_DEP_1)
	v_cndmask_b32_e32 v2, v39, v2, vcc_lo
	v_add_nc_u32_e32 v2, 32, v2
	s_delay_alu instid0(VALU_DEP_1) | instskip(NEXT) | instid1(VALU_DEP_1)
	v_lshlrev_b64 v[2:3], 4, v[2:3]
	v_add_co_u32 v6, s15, s36, v2
	s_delay_alu instid0(VALU_DEP_1)
	v_add_co_ci_u32_e64 v7, s15, s37, v3, s15
	s_branch .LBB106_106
.LBB106_105:                            ;   in Loop: Header=BB106_106 Depth=1
	s_or_b32 exec_lo, exec_lo, s17
	v_and_b32_e32 v40, 0xff, v4
	s_delay_alu instid0(VALU_DEP_1) | instskip(NEXT) | instid1(VALU_DEP_1)
	v_cmp_ne_u16_e64 s15, 2, v40
	v_cndmask_b32_e64 v40, 0, 1, s15
	;;#ASMSTART
	;;#ASMEND
	s_delay_alu instid0(VALU_DEP_1) | instskip(NEXT) | instid1(VALU_DEP_1)
	v_cmp_ne_u32_e64 s15, 0, v40
	s_cmp_eq_u32 s15, exec_lo
	s_cbranch_scc0 .LBB106_126
.LBB106_106:                            ; =>This Loop Header: Depth=1
                                        ;     Child Loop BB106_108 Depth 2
                                        ;       Child Loop BB106_109 Depth 3
	;;#ASMSTART
	global_load_dwordx4 v[2:5], v[6:7] off glc	
s_waitcnt vmcnt(0)
	;;#ASMEND
	v_perm_b32 v5, v3, v4, 0x70605
	v_perm_b32 v8, v3, v4, 0x1000706
	;; [unrolled: 1-line block ×3, first 2 shown]
	v_and_b32_e32 v60, 0xff, v4
	s_mov_b32 s17, exec_lo
	v_lshlrev_b32_e32 v5, 8, v5
	v_lshlrev_b32_e32 v8, 16, v8
	;; [unrolled: 1-line block ×3, first 2 shown]
	v_alignbit_b32 v39, v3, v2, 16
	s_delay_alu instid0(VALU_DEP_4) | instskip(NEXT) | instid1(VALU_DEP_4)
	v_perm_b32 v41, v5, v3, 0xc0c0500
	v_and_b32_e32 v42, 0xff0000, v8
	v_alignbit_b32 v5, v3, v2, 8
	v_alignbit_b32 v8, v3, v2, 24
	s_delay_alu instid0(VALU_DEP_3)
	v_or3_b32 v3, v41, v42, v40
	v_cmpx_eq_u16_e32 0, v60
	s_cbranch_execz .LBB106_105
; %bb.107:                              ;   in Loop: Header=BB106_106 Depth=1
	s_mov_b32 s19, 1
	s_mov_b32 s18, 0
	.p2align	6
.LBB106_108:                            ;   Parent Loop BB106_106 Depth=1
                                        ; =>  This Loop Header: Depth=2
                                        ;       Child Loop BB106_109 Depth 3
	s_max_u32 s15, s19, 1
.LBB106_109:                            ;   Parent Loop BB106_106 Depth=1
                                        ;     Parent Loop BB106_108 Depth=2
                                        ; =>    This Inner Loop Header: Depth=3
	s_delay_alu instid0(SALU_CYCLE_1)
	s_add_i32 s15, s15, -1
	s_sleep 1
	s_cmp_eq_u32 s15, 0
	s_cbranch_scc0 .LBB106_109
; %bb.110:                              ;   in Loop: Header=BB106_108 Depth=2
	;;#ASMSTART
	global_load_dwordx4 v[2:5], v[6:7] off glc	
s_waitcnt vmcnt(0)
	;;#ASMEND
	v_and_b32_e32 v5, 0xff, v4
	s_cmp_lt_u32 s19, 32
	s_cselect_b32 s24, -1, 0
	s_delay_alu instid0(SALU_CYCLE_1) | instskip(NEXT) | instid1(VALU_DEP_1)
	s_cmp_lg_u32 s24, 0
	v_cmp_ne_u16_e64 s15, 0, v5
	s_addc_u32 s19, s19, 0
	s_delay_alu instid0(VALU_DEP_1) | instskip(NEXT) | instid1(SALU_CYCLE_1)
	s_or_b32 s18, s15, s18
	s_and_not1_b32 exec_lo, exec_lo, s18
	s_cbranch_execnz .LBB106_108
; %bb.111:                              ;   in Loop: Header=BB106_106 Depth=1
	s_or_b32 exec_lo, exec_lo, s18
	v_perm_b32 v5, v3, v4, 0x70605
	v_perm_b32 v8, v3, v4, 0x1000706
	v_perm_b32 v39, v3, v4, 0x2010007
	s_delay_alu instid0(VALU_DEP_3) | instskip(NEXT) | instid1(VALU_DEP_3)
	v_lshlrev_b32_e32 v5, 8, v5
	v_lshlrev_b32_e32 v8, 16, v8
	s_delay_alu instid0(VALU_DEP_3) | instskip(SKIP_1) | instid1(VALU_DEP_4)
	v_lshlrev_b32_e32 v40, 24, v39
	v_alignbit_b32 v39, v3, v2, 16
	v_perm_b32 v41, v5, v3, 0xc0c0500
	s_delay_alu instid0(VALU_DEP_4) | instskip(SKIP_2) | instid1(VALU_DEP_3)
	v_and_b32_e32 v42, 0xff0000, v8
	v_alignbit_b32 v5, v3, v2, 8
	v_alignbit_b32 v8, v3, v2, 24
	v_or3_b32 v3, v41, v42, v40
	s_branch .LBB106_105
.LBB106_112:
                                        ; implicit-def: $vgpr1
                                        ; implicit-def: $vgpr39
                                        ; implicit-def: $vgpr5
                                        ; implicit-def: $vgpr62
                                        ; implicit-def: $vgpr40
                                        ; implicit-def: $vgpr42
                                        ; implicit-def: $vgpr41
                                        ; implicit-def: $vgpr60
                                        ; implicit-def: $vgpr61
                                        ; implicit-def: $vgpr63
                                        ; implicit-def: $vgpr64
                                        ; implicit-def: $vgpr65
                                        ; implicit-def: $vgpr66
                                        ; implicit-def: $vgpr67
                                        ; implicit-def: $vgpr68
                                        ; implicit-def: $vgpr69
                                        ; implicit-def: $vgpr70
                                        ; implicit-def: $vgpr71
	s_cbranch_execnz .LBB106_146
.LBB106_113:
	s_and_saveexec_b32 s0, s21
	s_cbranch_execz .LBB106_319
	s_branch .LBB106_157
.LBB106_114:
	s_mov_b32 s42, 0
                                        ; implicit-def: $sgpr0
                                        ; implicit-def: $vgpr51
                                        ; implicit-def: $vgpr44
                                        ; implicit-def: $vgpr45
                                        ; implicit-def: $vgpr46
                                        ; implicit-def: $vgpr47
                                        ; implicit-def: $vgpr48
                                        ; implicit-def: $vgpr49
                                        ; implicit-def: $vgpr50
                                        ; implicit-def: $vgpr52
                                        ; implicit-def: $vgpr53
                                        ; implicit-def: $vgpr54
                                        ; implicit-def: $vgpr55
                                        ; implicit-def: $vgpr56
                                        ; implicit-def: $vgpr57
	s_cbranch_execz .LBB106_59
; %bb.115:
	v_cmp_neq_f32_e32 vcc_lo, v10, v43
	v_lshlrev_b32_e32 v3, 2, v0
                                        ; implicit-def: $sgpr0
	v_cndmask_b32_e64 v51, 0, 1, vcc_lo
	v_cmp_neq_f32_e32 vcc_lo, v9, v10
	ds_store_b32 v3, v43
	s_waitcnt lgkmcnt(0)
	s_barrier
	buffer_gl0_inv
	v_cndmask_b32_e64 v44, 0, 1, vcc_lo
	v_cmp_neq_f32_e32 vcc_lo, v12, v9
	v_cndmask_b32_e64 v45, 0, 1, vcc_lo
	v_cmp_neq_f32_e32 vcc_lo, v11, v12
	;; [unrolled: 2-line block ×12, first 2 shown]
	v_cndmask_b32_e64 v57, 0, 1, vcc_lo
	s_and_saveexec_b32 s1, s3
	s_delay_alu instid0(SALU_CYCLE_1)
	s_xor_b32 s1, exec_lo, s1
	s_cbranch_execz .LBB106_117
; %bb.116:
	v_add_nc_u32_e32 v3, -4, v3
	s_or_b32 s42, s42, exec_lo
	ds_load_b32 v3, v3
	s_waitcnt lgkmcnt(0)
	v_cmp_neq_f32_e32 vcc_lo, v3, v21
	s_and_b32 s0, vcc_lo, exec_lo
.LBB106_117:
	s_or_b32 exec_lo, exec_lo, s1
	s_mov_b32 s1, 1
	s_branch .LBB106_75
.LBB106_118:
	s_mul_hi_u32 s0, s18, 0xfffff100
	s_mul_i32 s1, s19, 0xfffff100
	s_sub_i32 s0, s0, s18
	s_mul_i32 s4, s18, 0xfffff100
	s_add_i32 s0, s0, s1
	s_add_u32 s24, s4, s44
	s_addc_u32 s25, s0, s45
	s_and_b32 vcc_lo, exec_lo, s15
	s_cbranch_vccz .LBB106_123
; %bb.119:
	v_add_co_u32 v2, vcc_lo, -4, v2
	v_add_co_ci_u32_e32 v3, vcc_lo, -1, v1, vcc_lo
	v_mad_u32_u24 v1, v0, 15, 14
	v_cmp_neq_f32_e64 s8, v10, v43
	v_cmp_neq_f32_e64 s10, v12, v9
	flat_load_b32 v5, v[2:3]
	v_mov_b32_e32 v2, 0
	v_cmp_neq_f32_e64 s12, v14, v11
	v_cmp_neq_f32_e64 s11, v11, v12
	v_lshlrev_b32_e32 v4, 2, v0
	v_mul_u32_u24_e32 v3, 15, v0
	v_cmp_gt_u64_e32 vcc_lo, s[24:25], v[1:2]
	v_mad_u32_u24 v1, v0, 15, 13
	s_mov_b32 s42, -1
	s_mov_b32 s14, 0
	ds_store_b32 v4, v43
	s_waitcnt vmcnt(0) lgkmcnt(0)
	v_cmp_gt_u64_e64 s0, s[24:25], v[1:2]
	v_mad_u32_u24 v1, v0, 15, 12
	s_and_b32 s15, vcc_lo, s8
	v_cmp_neq_f32_e64 s8, v9, v10
	s_barrier
	buffer_gl0_inv
	v_cmp_gt_u64_e64 s1, s[24:25], v[1:2]
	v_mad_u32_u24 v1, v0, 15, 11
	s_and_b32 s16, s0, s8
	v_cmp_neq_f32_e64 s8, v18, v15
	s_delay_alu instid0(VALU_DEP_2) | instskip(SKIP_3) | instid1(VALU_DEP_2)
	v_cmp_gt_u64_e64 s4, s[24:25], v[1:2]
	v_mad_u32_u24 v1, v0, 15, 10
	s_and_b32 s17, s1, s10
	v_cmp_neq_f32_e64 s1, v13, v14
	v_cmp_gt_u64_e64 s5, s[24:25], v[1:2]
	v_mad_u32_u24 v1, v0, 15, 9
	s_and_b32 s11, s4, s11
	v_cmp_neq_f32_e64 s4, v16, v13
	s_delay_alu instid0(VALU_DEP_2) | instskip(SKIP_3) | instid1(VALU_DEP_2)
	v_cmp_gt_u64_e64 s6, s[24:25], v[1:2]
	v_mad_u32_u24 v1, v0, 15, 8
	s_and_b32 s12, s5, s12
	v_cmp_neq_f32_e64 s5, v15, v16
	v_cmp_gt_u64_e64 s7, s[24:25], v[1:2]
	v_mad_u32_u24 v1, v0, 15, 7
	s_and_b32 s18, s6, s1
	v_cmp_neq_f32_e64 s1, v17, v18
	v_cmp_neq_f32_e64 s6, v22, v19
	s_delay_alu instid0(VALU_DEP_3) | instskip(SKIP_3) | instid1(VALU_DEP_2)
	v_cmp_gt_u64_e64 s9, s[24:25], v[1:2]
	v_mad_u32_u24 v1, v0, 15, 6
	s_and_b32 s19, s7, s4
	v_cmp_neq_f32_e64 s4, v20, v17
	v_cmp_gt_u64_e32 vcc_lo, s[24:25], v[1:2]
	v_mad_u32_u24 v1, v0, 15, 5
	s_and_b32 s20, s9, s5
	v_cmp_neq_f32_e64 s5, v19, v20
	s_delay_alu instid0(VALU_DEP_2) | instskip(SKIP_3) | instid1(VALU_DEP_2)
	v_cmp_gt_u64_e64 s13, s[24:25], v[1:2]
	v_mad_u32_u24 v1, v0, 15, 4
	s_and_b32 s9, vcc_lo, s8
	v_cmp_neq_f32_e64 s8, v21, v22
	v_cmp_gt_u64_e64 s0, s[24:25], v[1:2]
	v_mad_u32_u24 v1, v0, 15, 3
	s_and_b32 s13, s13, s1
	s_delay_alu instid0(VALU_DEP_1) | instskip(SKIP_1) | instid1(VALU_DEP_4)
	v_cmp_gt_u64_e64 s10, s[24:25], v[1:2]
	v_mad_u32_u24 v1, v0, 15, 2
	s_and_b32 s0, s0, s4
	s_delay_alu instid0(VALU_DEP_1) | instskip(SKIP_1) | instid1(VALU_DEP_4)
	v_cmp_gt_u64_e32 vcc_lo, s[24:25], v[1:2]
	v_mad_u32_u24 v1, v0, 15, 1
	s_and_b32 s5, s10, s5
	s_delay_alu instid0(VALU_DEP_1) | instskip(SKIP_1) | instid1(VALU_DEP_1)
	v_cmp_gt_u64_e64 s7, s[24:25], v[1:2]
	s_and_b32 s1, vcc_lo, s6
	s_and_b32 s4, s7, s8
	s_and_saveexec_b32 s6, s3
	s_cbranch_execz .LBB106_121
; %bb.120:
	v_add_nc_u32_e32 v1, -4, v4
	ds_load_b32 v5, v1
.LBB106_121:
	s_or_b32 exec_lo, exec_lo, s6
	v_mov_b32_e32 v4, v2
	v_cndmask_b32_e64 v54, 0, 1, s0
	s_waitcnt lgkmcnt(0)
	v_cmp_neq_f32_e64 s0, v5, v21
	v_cndmask_b32_e64 v51, 0, 1, s15
	v_cndmask_b32_e64 v44, 0, 1, s16
	v_cmp_gt_u64_e32 vcc_lo, s[24:25], v[3:4]
	v_cndmask_b32_e64 v45, 0, 1, s17
	v_cndmask_b32_e64 v46, 0, 1, s11
	;; [unrolled: 1-line block ×11, first 2 shown]
	s_and_b32 s0, vcc_lo, s0
	s_and_b32 vcc_lo, exec_lo, s14
	s_cbranch_vccnz .LBB106_124
.LBB106_122:
                                        ; implicit-def: $sgpr1
	v_mov_b32_e32 v58, s1
	s_and_saveexec_b32 s1, s42
	s_cbranch_execnz .LBB106_76
	s_branch .LBB106_77
.LBB106_123:
                                        ; implicit-def: $sgpr0
                                        ; implicit-def: $vgpr51
                                        ; implicit-def: $vgpr44
                                        ; implicit-def: $vgpr45
                                        ; implicit-def: $vgpr46
                                        ; implicit-def: $vgpr47
                                        ; implicit-def: $vgpr48
                                        ; implicit-def: $vgpr49
                                        ; implicit-def: $vgpr50
                                        ; implicit-def: $vgpr52
                                        ; implicit-def: $vgpr53
                                        ; implicit-def: $vgpr54
                                        ; implicit-def: $vgpr55
                                        ; implicit-def: $vgpr56
                                        ; implicit-def: $vgpr57
	s_cbranch_execz .LBB106_122
.LBB106_124:
	v_mad_u32_u24 v1, v0, 15, 14
	v_dual_mov_b32 v2, 0 :: v_dual_lshlrev_b32 v3, 2, v0
	v_cmp_neq_f32_e64 s7, v9, v10
	v_cmp_neq_f32_e64 s6, v10, v43
	;; [unrolled: 1-line block ×3, first 2 shown]
	s_delay_alu instid0(VALU_DEP_4)
	v_cmp_gt_u64_e32 vcc_lo, s[24:25], v[1:2]
	v_mad_u32_u24 v1, v0, 15, 13
	v_cmp_neq_f32_e64 s10, v11, v12
	v_cmp_neq_f32_e64 s11, v14, v11
	;; [unrolled: 1-line block ×4, first 2 shown]
	v_cmp_gt_u64_e64 s0, s[24:25], v[1:2]
	v_mad_u32_u24 v1, v0, 15, 12
	s_and_b32 s6, vcc_lo, s6
	v_cmp_neq_f32_e64 s15, v15, v16
	v_cmp_neq_f32_e64 s16, v18, v15
	;; [unrolled: 1-line block ×3, first 2 shown]
	v_cmp_gt_u64_e64 s1, s[24:25], v[1:2]
	v_mad_u32_u24 v1, v0, 15, 11
	s_and_b32 s0, s0, s7
	v_cmp_neq_f32_e64 s18, v20, v17
	v_cndmask_b32_e64 v44, 0, 1, s0
	v_cmp_neq_f32_e64 s20, v19, v20
	v_cmp_gt_u64_e64 s4, s[24:25], v[1:2]
	v_mad_u32_u24 v1, v0, 15, 10
	s_and_b32 s0, s1, s8
	v_cmp_neq_f32_e64 s21, v22, v19
	v_cndmask_b32_e64 v45, 0, 1, s0
	v_cmp_neq_f32_e64 s22, v21, v22
	v_cmp_gt_u64_e64 s5, s[24:25], v[1:2]
	v_mad_u32_u24 v1, v0, 15, 9
	s_and_b32 s0, s4, s10
	v_cndmask_b32_e64 v51, 0, 1, s6
	v_cndmask_b32_e64 v46, 0, 1, s0
	ds_store_b32 v3, v43
	v_cmp_gt_u64_e64 s9, s[24:25], v[1:2]
	v_mad_u32_u24 v1, v0, 15, 8
	s_and_b32 s1, s5, s11
	s_waitcnt lgkmcnt(0)
	v_cndmask_b32_e64 v47, 0, 1, s1
	s_barrier
	v_cmp_gt_u64_e64 s14, s[24:25], v[1:2]
	v_mad_u32_u24 v1, v0, 15, 7
	s_and_b32 s1, s9, s12
	buffer_gl0_inv
	v_cndmask_b32_e64 v48, 0, 1, s1
	v_cmp_gt_u64_e64 s19, s[24:25], v[1:2]
	v_mad_u32_u24 v1, v0, 15, 6
	s_and_b32 s4, s14, s13
	s_delay_alu instid0(SALU_CYCLE_1) | instskip(NEXT) | instid1(VALU_DEP_2)
	v_cndmask_b32_e64 v49, 0, 1, s4
	v_cmp_gt_u64_e64 s23, s[24:25], v[1:2]
	v_mad_u32_u24 v1, v0, 15, 5
	s_and_b32 s4, s19, s15
	s_delay_alu instid0(SALU_CYCLE_1) | instskip(NEXT) | instid1(VALU_DEP_2)
	v_cndmask_b32_e64 v50, 0, 1, s4
	v_cmp_gt_u64_e32 vcc_lo, s[24:25], v[1:2]
	v_mad_u32_u24 v1, v0, 15, 4
	s_and_b32 s5, s23, s16
	s_delay_alu instid0(SALU_CYCLE_1) | instskip(NEXT) | instid1(VALU_DEP_2)
	v_cndmask_b32_e64 v52, 0, 1, s5
	v_cmp_gt_u64_e64 s0, s[24:25], v[1:2]
	v_mad_u32_u24 v1, v0, 15, 3
	s_and_b32 s5, vcc_lo, s17
	s_delay_alu instid0(SALU_CYCLE_1) | instskip(NEXT) | instid1(VALU_DEP_2)
	v_cndmask_b32_e64 v53, 0, 1, s5
	v_cmp_gt_u64_e64 s1, s[24:25], v[1:2]
	v_mad_u32_u24 v1, v0, 15, 2
	s_and_b32 s0, s0, s18
	s_delay_alu instid0(SALU_CYCLE_1) | instskip(NEXT) | instid1(VALU_DEP_2)
	v_cndmask_b32_e64 v54, 0, 1, s0
	v_cmp_gt_u64_e64 s4, s[24:25], v[1:2]
	v_mad_u32_u24 v1, v0, 15, 1
	s_and_b32 s0, s1, s20
	s_mov_b32 s1, 1
	v_cndmask_b32_e64 v55, 0, 1, s0
	s_delay_alu instid0(VALU_DEP_2) | instskip(SKIP_1) | instid1(SALU_CYCLE_1)
	v_cmp_gt_u64_e32 vcc_lo, s[24:25], v[1:2]
	s_and_b32 s0, s4, s21
	v_cndmask_b32_e64 v56, 0, 1, s0
	s_and_b32 s0, vcc_lo, s22
	s_delay_alu instid0(SALU_CYCLE_1)
	v_cndmask_b32_e64 v57, 0, 1, s0
                                        ; implicit-def: $sgpr0
	s_and_saveexec_b32 s4, s3
	s_cbranch_execz .LBB106_132
; %bb.125:
	v_add_nc_u32_e32 v1, -4, v3
	s_or_b32 s42, s42, exec_lo
	ds_load_b32 v3, v1
	v_mul_u32_u24_e32 v1, 15, v0
	s_delay_alu instid0(VALU_DEP_1) | instskip(SKIP_2) | instid1(VALU_DEP_1)
	v_cmp_gt_u64_e32 vcc_lo, s[24:25], v[1:2]
	s_waitcnt lgkmcnt(0)
	v_cmp_neq_f32_e64 s0, v3, v21
	s_and_b32 s0, vcc_lo, s0
	s_delay_alu instid0(SALU_CYCLE_1)
	s_and_b32 s0, s0, exec_lo
	s_or_b32 exec_lo, exec_lo, s4
	v_mov_b32_e32 v58, s1
	s_and_saveexec_b32 s1, s42
	s_cbranch_execz .LBB106_77
	s_branch .LBB106_76
.LBB106_126:
	v_lshlrev_b32_e32 v6, 16, v39
	v_lshlrev_b32_e32 v5, 8, v5
	v_cndmask_b32_e64 v7, 0, 1, vcc_lo
	v_and_b32_e32 v2, 0xff, v2
	s_delay_alu instid0(VALU_DEP_4) | instskip(NEXT) | instid1(VALU_DEP_4)
	v_perm_b32 v6, v8, v6, 0x4020c0c
	v_and_b32_e32 v5, 0xff00, v5
	s_delay_alu instid0(VALU_DEP_4) | instskip(NEXT) | instid1(VALU_DEP_2)
	v_readfirstlane_b32 s15, v7
	v_or3_b32 v2, v6, v5, v2
	s_delay_alu instid0(VALU_DEP_2)
	s_sub_i32 s16, s16, s15
.LBB106_127:
	v_and_b32_e32 v4, 0xff, v4
	s_delay_alu instid0(VALU_DEP_1)
	v_cmp_eq_u16_e32 vcc_lo, 2, v4
	s_cbranch_vccz .LBB106_133
; %bb.128:
	s_ctz_i32_b32 s15, vcc_lo
	s_delay_alu instid0(SALU_CYCLE_1)
	s_cmp_eq_u32 s15, 0
	s_cbranch_scc1 .LBB106_134
; %bb.129:
	v_cmp_ne_u32_e32 vcc_lo, 31, v72
	v_add_co_ci_u32_e32 v4, vcc_lo, 0, v72, vcc_lo
	v_cmp_eq_u32_e32 vcc_lo, 0, v2
	s_delay_alu instid0(VALU_DEP_2)
	v_dual_mov_b32 v5, v3 :: v_dual_lshlrev_b32 v6, 2, v4
	v_mov_b32_e32 v4, v2
.LBB106_130:                            ; =>This Inner Loop Header: Depth=1
	ds_bpermute_b32 v5, v6, v5
	ds_bpermute_b32 v4, v6, v4
	s_add_i32 s15, s15, -1
	s_delay_alu instid0(SALU_CYCLE_1) | instskip(SKIP_2) | instid1(VALU_DEP_1)
	s_cmp_lg_u32 s15, 0
	s_waitcnt lgkmcnt(0)
	v_dual_add_f32 v5, v3, v5 :: v_dual_add_nc_u32 v4, v4, v2
	v_cndmask_b32_e32 v5, v3, v5, vcc_lo
	s_cbranch_scc1 .LBB106_130
; %bb.131:
	s_cmp_lt_i32 s16, 1
	s_cbranch_scc0 .LBB106_135
	s_branch .LBB106_137
.LBB106_132:
	s_or_b32 exec_lo, exec_lo, s4
	v_mov_b32_e32 v58, s1
	s_and_saveexec_b32 s1, s42
	s_cbranch_execnz .LBB106_76
	s_branch .LBB106_77
.LBB106_133:
	s_mov_b32 s16, 0
	s_mov_b32 s15, -1
	s_branch .LBB106_142
.LBB106_134:
	v_dual_mov_b32 v5, v3 :: v_dual_mov_b32 v4, v2
	s_cmp_lt_i32 s16, 1
	s_cbranch_scc1 .LBB106_137
.LBB106_135:
	s_lshl_b32 s15, s16, 3
	s_delay_alu instid0(SALU_CYCLE_1) | instskip(SKIP_1) | instid1(VALU_DEP_1)
	v_add_nc_u32_e64 v2, s15, 0
	s_add_i32 s15, s16, 1
	v_add_nc_u32_e32 v2, -4, v2
.LBB106_136:                            ; =>This Inner Loop Header: Depth=1
	scratch_load_b64 v[6:7], v2, off offset:-4
	v_readlane_b32 s16, v5, 32
	s_add_i32 s15, s15, -1
	v_add_nc_u32_e32 v2, -8, v2
	s_cmp_gt_u32 s15, 1
	s_waitcnt vmcnt(0)
	v_add_f32_e32 v3, s16, v7
	v_readlane_b32 s16, v4, 32
	v_cmp_eq_u32_e32 vcc_lo, 0, v6
	s_delay_alu instid0(VALU_DEP_2) | instskip(NEXT) | instid1(VALU_DEP_1)
	v_add_nc_u32_e32 v4, s16, v6
	v_mov_b32_dpp v4, v4 row_shl:1 row_mask:0xf bank_mask:0xf
	s_delay_alu instid0(VALU_DEP_1) | instskip(NEXT) | instid1(VALU_DEP_1)
	v_dual_cndmask_b32 v3, v7, v3 :: v_dual_add_nc_u32 v4, v4, v6
	v_mov_b32_dpp v3, v3 row_shl:1 row_mask:0xf bank_mask:0xf
	s_delay_alu instid0(VALU_DEP_2) | instskip(NEXT) | instid1(VALU_DEP_1)
	v_mov_b32_dpp v4, v4 row_shl:1 row_mask:0xf bank_mask:0xf
	v_dual_add_f32 v3, v7, v3 :: v_dual_add_nc_u32 v4, v4, v6
	s_delay_alu instid0(VALU_DEP_1) | instskip(NEXT) | instid1(VALU_DEP_1)
	v_mov_b32_dpp v4, v4 row_shl:1 row_mask:0xf bank_mask:0xf
	v_dual_cndmask_b32 v3, v7, v3 :: v_dual_add_nc_u32 v4, v4, v6
	s_delay_alu instid0(VALU_DEP_1) | instskip(NEXT) | instid1(VALU_DEP_2)
	v_mov_b32_dpp v3, v3 row_shl:1 row_mask:0xf bank_mask:0xf
	v_mov_b32_dpp v4, v4 row_shl:1 row_mask:0xf bank_mask:0xf
	s_delay_alu instid0(VALU_DEP_1) | instskip(NEXT) | instid1(VALU_DEP_1)
	v_dual_add_f32 v3, v7, v3 :: v_dual_add_nc_u32 v4, v4, v6
	v_mov_b32_dpp v4, v4 row_shl:1 row_mask:0xf bank_mask:0xf
	s_delay_alu instid0(VALU_DEP_1) | instskip(NEXT) | instid1(VALU_DEP_1)
	v_dual_cndmask_b32 v3, v7, v3 :: v_dual_add_nc_u32 v4, v4, v6
	v_mov_b32_dpp v3, v3 row_shl:1 row_mask:0xf bank_mask:0xf
	s_delay_alu instid0(VALU_DEP_2) | instskip(NEXT) | instid1(VALU_DEP_1)
	v_mov_b32_dpp v4, v4 row_shl:1 row_mask:0xf bank_mask:0xf
	v_dual_add_f32 v3, v7, v3 :: v_dual_add_nc_u32 v4, v4, v6
	s_delay_alu instid0(VALU_DEP_1) | instskip(NEXT) | instid1(VALU_DEP_1)
	v_mov_b32_dpp v4, v4 row_shl:1 row_mask:0xf bank_mask:0xf
	v_dual_cndmask_b32 v3, v7, v3 :: v_dual_add_nc_u32 v4, v4, v6
	s_delay_alu instid0(VALU_DEP_1) | instskip(NEXT) | instid1(VALU_DEP_2)
	v_mov_b32_dpp v3, v3 row_shl:1 row_mask:0xf bank_mask:0xf
	v_mov_b32_dpp v4, v4 row_shl:1 row_mask:0xf bank_mask:0xf
	s_delay_alu instid0(VALU_DEP_2) | instskip(NEXT) | instid1(VALU_DEP_1)
	v_add_f32_e32 v3, v7, v3
	v_cndmask_b32_e32 v3, v7, v3, vcc_lo
	s_delay_alu instid0(VALU_DEP_1) | instskip(NEXT) | instid1(VALU_DEP_1)
	v_mov_b32_dpp v3, v3 row_shl:1 row_mask:0xf bank_mask:0xf
	v_add_f32_e32 v3, v7, v3
	s_delay_alu instid0(VALU_DEP_1) | instskip(NEXT) | instid1(VALU_DEP_1)
	v_cndmask_b32_e32 v3, v7, v3, vcc_lo
	v_mov_b32_dpp v3, v3 row_shl:1 row_mask:0xf bank_mask:0xf
	s_delay_alu instid0(VALU_DEP_1) | instskip(NEXT) | instid1(VALU_DEP_1)
	v_add_f32_e32 v3, v7, v3
	v_cndmask_b32_e32 v3, v7, v3, vcc_lo
	s_delay_alu instid0(VALU_DEP_1) | instskip(NEXT) | instid1(VALU_DEP_1)
	v_mov_b32_dpp v3, v3 row_shl:1 row_mask:0xf bank_mask:0xf
	v_add_f32_e32 v3, v7, v3
	s_delay_alu instid0(VALU_DEP_1) | instskip(NEXT) | instid1(VALU_DEP_1)
	v_cndmask_b32_e32 v3, v7, v3, vcc_lo
	v_mov_b32_dpp v3, v3 row_shl:1 row_mask:0xf bank_mask:0xf
	s_delay_alu instid0(VALU_DEP_1) | instskip(NEXT) | instid1(VALU_DEP_1)
	;; [unrolled: 9-line block ×5, first 2 shown]
	v_add_f32_e32 v3, v7, v3
	v_cndmask_b32_e32 v3, v7, v3, vcc_lo
	s_delay_alu instid0(VALU_DEP_1) | instskip(NEXT) | instid1(VALU_DEP_1)
	v_mov_b32_dpp v3, v3 row_shl:1 row_mask:0xf bank_mask:0xf
	v_add_f32_e32 v3, v7, v3
	s_delay_alu instid0(VALU_DEP_1) | instskip(NEXT) | instid1(VALU_DEP_1)
	v_cndmask_b32_e32 v3, v7, v3, vcc_lo
	v_readlane_b32 s16, v3, 16
	s_delay_alu instid0(VALU_DEP_1) | instskip(NEXT) | instid1(VALU_DEP_1)
	v_dual_add_f32 v4, s16, v7 :: v_dual_add_nc_u32 v3, v4, v6
	v_mov_b32_dpp v3, v3 row_shl:1 row_mask:0xf bank_mask:0xf
	s_delay_alu instid0(VALU_DEP_2) | instskip(NEXT) | instid1(VALU_DEP_2)
	v_cndmask_b32_e32 v4, v7, v4, vcc_lo
	v_add_nc_u32_e32 v3, v3, v6
	s_delay_alu instid0(VALU_DEP_2) | instskip(NEXT) | instid1(VALU_DEP_2)
	v_mov_b32_dpp v4, v4 row_shl:1 row_mask:0xf bank_mask:0xf
	v_mov_b32_dpp v3, v3 row_shl:1 row_mask:0xf bank_mask:0xf
	s_delay_alu instid0(VALU_DEP_2) | instskip(NEXT) | instid1(VALU_DEP_2)
	v_add_f32_e32 v4, v7, v4
	v_add_nc_u32_e32 v3, v3, v6
	s_delay_alu instid0(VALU_DEP_2) | instskip(NEXT) | instid1(VALU_DEP_2)
	v_cndmask_b32_e32 v4, v7, v4, vcc_lo
	v_mov_b32_dpp v3, v3 row_shl:1 row_mask:0xf bank_mask:0xf
	s_delay_alu instid0(VALU_DEP_2) | instskip(NEXT) | instid1(VALU_DEP_2)
	v_mov_b32_dpp v4, v4 row_shl:1 row_mask:0xf bank_mask:0xf
	v_add_nc_u32_e32 v3, v3, v6
	s_delay_alu instid0(VALU_DEP_2) | instskip(NEXT) | instid1(VALU_DEP_2)
	v_add_f32_e32 v4, v7, v4
	v_mov_b32_dpp v3, v3 row_shl:1 row_mask:0xf bank_mask:0xf
	s_delay_alu instid0(VALU_DEP_2) | instskip(NEXT) | instid1(VALU_DEP_2)
	v_cndmask_b32_e32 v4, v7, v4, vcc_lo
	v_add_nc_u32_e32 v3, v3, v6
	s_delay_alu instid0(VALU_DEP_2) | instskip(NEXT) | instid1(VALU_DEP_2)
	v_mov_b32_dpp v4, v4 row_shl:1 row_mask:0xf bank_mask:0xf
	v_mov_b32_dpp v3, v3 row_shl:1 row_mask:0xf bank_mask:0xf
	s_delay_alu instid0(VALU_DEP_2) | instskip(NEXT) | instid1(VALU_DEP_2)
	v_add_f32_e32 v4, v7, v4
	v_add_nc_u32_e32 v3, v3, v6
	s_delay_alu instid0(VALU_DEP_2) | instskip(NEXT) | instid1(VALU_DEP_2)
	v_cndmask_b32_e32 v4, v7, v4, vcc_lo
	v_mov_b32_dpp v3, v3 row_shl:1 row_mask:0xf bank_mask:0xf
	s_delay_alu instid0(VALU_DEP_2) | instskip(NEXT) | instid1(VALU_DEP_2)
	v_mov_b32_dpp v4, v4 row_shl:1 row_mask:0xf bank_mask:0xf
	v_add_nc_u32_e32 v3, v3, v6
	s_delay_alu instid0(VALU_DEP_2) | instskip(NEXT) | instid1(VALU_DEP_2)
	v_add_f32_e32 v4, v7, v4
	v_mov_b32_dpp v3, v3 row_shl:1 row_mask:0xf bank_mask:0xf
	s_delay_alu instid0(VALU_DEP_2) | instskip(NEXT) | instid1(VALU_DEP_2)
	v_cndmask_b32_e32 v4, v7, v4, vcc_lo
	v_add_nc_u32_e32 v3, v3, v6
	s_delay_alu instid0(VALU_DEP_2) | instskip(NEXT) | instid1(VALU_DEP_2)
	v_mov_b32_dpp v4, v4 row_shl:1 row_mask:0xf bank_mask:0xf
	v_readlane_b32 s16, v3, 16
	s_delay_alu instid0(VALU_DEP_1) | instskip(NEXT) | instid1(VALU_DEP_1)
	v_dual_add_f32 v3, v7, v4 :: v_dual_add_nc_u32 v4, s16, v6
	v_cndmask_b32_e32 v3, v7, v3, vcc_lo
	s_delay_alu instid0(VALU_DEP_2) | instskip(NEXT) | instid1(VALU_DEP_2)
	v_mov_b32_dpp v4, v4 row_shl:1 row_mask:0xf bank_mask:0xf
	v_mov_b32_dpp v3, v3 row_shl:1 row_mask:0xf bank_mask:0xf
	s_delay_alu instid0(VALU_DEP_1) | instskip(NEXT) | instid1(VALU_DEP_1)
	v_dual_add_f32 v3, v7, v3 :: v_dual_add_nc_u32 v4, v4, v6
	v_mov_b32_dpp v4, v4 row_shl:1 row_mask:0xf bank_mask:0xf
	s_delay_alu instid0(VALU_DEP_1) | instskip(NEXT) | instid1(VALU_DEP_1)
	v_dual_cndmask_b32 v3, v7, v3 :: v_dual_add_nc_u32 v4, v4, v6
	v_mov_b32_dpp v3, v3 row_shl:1 row_mask:0xf bank_mask:0xf
	s_delay_alu instid0(VALU_DEP_2) | instskip(NEXT) | instid1(VALU_DEP_1)
	v_mov_b32_dpp v4, v4 row_shl:1 row_mask:0xf bank_mask:0xf
	v_dual_add_f32 v3, v7, v3 :: v_dual_add_nc_u32 v4, v4, v6
	s_delay_alu instid0(VALU_DEP_1) | instskip(NEXT) | instid1(VALU_DEP_2)
	v_cndmask_b32_e32 v3, v7, v3, vcc_lo
	v_mov_b32_dpp v4, v4 row_shl:1 row_mask:0xf bank_mask:0xf
	s_delay_alu instid0(VALU_DEP_2) | instskip(NEXT) | instid1(VALU_DEP_1)
	v_mov_b32_dpp v3, v3 row_shl:1 row_mask:0xf bank_mask:0xf
	v_dual_add_f32 v3, v7, v3 :: v_dual_add_nc_u32 v4, v4, v6
	s_delay_alu instid0(VALU_DEP_1) | instskip(NEXT) | instid1(VALU_DEP_1)
	v_mov_b32_dpp v4, v4 row_shl:1 row_mask:0xf bank_mask:0xf
	v_dual_cndmask_b32 v3, v7, v3 :: v_dual_add_nc_u32 v4, v4, v6
	s_delay_alu instid0(VALU_DEP_1) | instskip(NEXT) | instid1(VALU_DEP_2)
	v_mov_b32_dpp v3, v3 row_shl:1 row_mask:0xf bank_mask:0xf
	v_mov_b32_dpp v4, v4 row_shl:1 row_mask:0xf bank_mask:0xf
	s_delay_alu instid0(VALU_DEP_1) | instskip(NEXT) | instid1(VALU_DEP_1)
	v_dual_add_f32 v3, v7, v3 :: v_dual_add_nc_u32 v4, v4, v6
	v_cndmask_b32_e32 v3, v7, v3, vcc_lo
	s_delay_alu instid0(VALU_DEP_2) | instskip(NEXT) | instid1(VALU_DEP_2)
	v_mov_b32_dpp v4, v4 row_shl:1 row_mask:0xf bank_mask:0xf
	v_mov_b32_dpp v3, v3 row_shl:1 row_mask:0xf bank_mask:0xf
	s_delay_alu instid0(VALU_DEP_1) | instskip(NEXT) | instid1(VALU_DEP_1)
	v_dual_add_f32 v3, v7, v3 :: v_dual_add_nc_u32 v4, v4, v6
	v_mov_b32_dpp v4, v4 row_shl:1 row_mask:0xf bank_mask:0xf
	s_delay_alu instid0(VALU_DEP_1) | instskip(NEXT) | instid1(VALU_DEP_1)
	v_dual_cndmask_b32 v3, v7, v3 :: v_dual_add_nc_u32 v4, v4, v6
	v_mov_b32_dpp v3, v3 row_shl:1 row_mask:0xf bank_mask:0xf
	s_delay_alu instid0(VALU_DEP_2) | instskip(NEXT) | instid1(VALU_DEP_1)
	v_mov_b32_dpp v4, v4 row_shl:1 row_mask:0xf bank_mask:0xf
	v_dual_add_f32 v3, v7, v3 :: v_dual_add_nc_u32 v4, v4, v6
	s_delay_alu instid0(VALU_DEP_1) | instskip(NEXT) | instid1(VALU_DEP_2)
	v_cndmask_b32_e32 v3, v7, v3, vcc_lo
	v_mov_b32_dpp v4, v4 row_shl:1 row_mask:0xf bank_mask:0xf
	s_delay_alu instid0(VALU_DEP_2) | instskip(NEXT) | instid1(VALU_DEP_1)
	v_mov_b32_dpp v3, v3 row_shl:1 row_mask:0xf bank_mask:0xf
	v_dual_add_f32 v3, v7, v3 :: v_dual_add_nc_u32 v4, v4, v6
	s_delay_alu instid0(VALU_DEP_1) | instskip(NEXT) | instid1(VALU_DEP_1)
	v_mov_b32_dpp v4, v4 row_shl:1 row_mask:0xf bank_mask:0xf
	v_dual_cndmask_b32 v3, v7, v3 :: v_dual_add_nc_u32 v4, v4, v6
	s_delay_alu instid0(VALU_DEP_1) | instskip(NEXT) | instid1(VALU_DEP_2)
	v_mov_b32_dpp v3, v3 row_shl:1 row_mask:0xf bank_mask:0xf
	v_mov_b32_dpp v4, v4 row_shl:1 row_mask:0xf bank_mask:0xf
	s_delay_alu instid0(VALU_DEP_1) | instskip(NEXT) | instid1(VALU_DEP_1)
	v_dual_add_f32 v3, v7, v3 :: v_dual_add_nc_u32 v4, v4, v6
	v_cndmask_b32_e32 v3, v7, v3, vcc_lo
	s_delay_alu instid0(VALU_DEP_2) | instskip(NEXT) | instid1(VALU_DEP_2)
	v_mov_b32_dpp v4, v4 row_shl:1 row_mask:0xf bank_mask:0xf
	v_mov_b32_dpp v3, v3 row_shl:1 row_mask:0xf bank_mask:0xf
	s_delay_alu instid0(VALU_DEP_1) | instskip(NEXT) | instid1(VALU_DEP_1)
	v_dual_add_f32 v3, v7, v3 :: v_dual_add_nc_u32 v4, v4, v6
	v_mov_b32_dpp v4, v4 row_shl:1 row_mask:0xf bank_mask:0xf
	s_delay_alu instid0(VALU_DEP_1) | instskip(NEXT) | instid1(VALU_DEP_1)
	v_dual_cndmask_b32 v3, v7, v3 :: v_dual_add_nc_u32 v4, v4, v6
	v_mov_b32_dpp v3, v3 row_shl:1 row_mask:0xf bank_mask:0xf
	s_delay_alu instid0(VALU_DEP_2) | instskip(NEXT) | instid1(VALU_DEP_1)
	v_mov_b32_dpp v4, v4 row_shl:1 row_mask:0xf bank_mask:0xf
	v_dual_add_f32 v3, v7, v3 :: v_dual_add_nc_u32 v4, v4, v6
	s_delay_alu instid0(VALU_DEP_1)
	v_cndmask_b32_e32 v5, v7, v3, vcc_lo
	s_cbranch_scc1 .LBB106_136
.LBB106_137:
	s_delay_alu instid0(VALU_DEP_1) | instskip(NEXT) | instid1(VALU_DEP_2)
	v_readfirstlane_b32 s15, v4
	v_readfirstlane_b32 s16, v5
	s_and_saveexec_b32 s17, s14
	s_cbranch_execz .LBB106_139
; %bb.138:
	s_delay_alu instid0(VALU_DEP_1)
	v_add_f32_e64 v2, s23, s16
	v_cmp_eq_u32_e32 vcc_lo, 0, v1
	s_mov_b32 s19, 0
	s_add_i32 s18, s48, 32
	v_mov_b32_e32 v7, 2
	s_lshl_b64 s[18:19], s[18:19], 4
	v_cndmask_b32_e32 v2, s23, v2, vcc_lo
	s_add_u32 s18, s36, s18
	s_addc_u32 s19, s37, s19
	s_delay_alu instid0(SALU_CYCLE_1) | instskip(NEXT) | instid1(VALU_DEP_2)
	v_dual_mov_b32 v40, s19 :: v_dual_add_nc_u32 v5, s15, v1
	v_dual_mov_b32 v8, 0 :: v_dual_and_b32 v3, 0xff000000, v2
	v_dual_mov_b32 v39, s18 :: v_dual_and_b32 v4, 0xff0000, v2
	v_and_b32_e32 v6, 0xff00, v2
	v_and_b32_e32 v2, 0xff, v2
	s_delay_alu instid0(VALU_DEP_3) | instskip(SKIP_1) | instid1(VALU_DEP_2)
	v_or_b32_e32 v3, v4, v3
	v_mov_b32_e32 v4, s16
	v_or_b32_e32 v3, v3, v6
	s_delay_alu instid0(VALU_DEP_1)
	v_or_b32_e32 v6, v3, v2
	v_dual_mov_b32 v3, s15 :: v_dual_mov_b32 v2, s23
	;;#ASMSTART
	global_store_dwordx4 v[39:40], v[5:8] off	
s_waitcnt vmcnt(0)
	;;#ASMEND
	ds_store_b128 v8, v[1:4] offset:2048
.LBB106_139:
	s_or_b32 exec_lo, exec_lo, s17
	s_and_saveexec_b32 s17, s2
	s_cbranch_execz .LBB106_141
; %bb.140:
	v_dual_mov_b32 v1, s15 :: v_dual_mov_b32 v2, s16
	v_mov_b32_e32 v3, 0
	ds_store_b64 v3, v[1:2] offset:2120
.LBB106_141:
	s_or_b32 exec_lo, exec_lo, s17
	s_mov_b32 s16, -1
	s_mov_b32 s15, 0
.LBB106_142:
	s_delay_alu instid0(SALU_CYCLE_1)
	s_and_b32 s15, s15, exec_lo
	s_or_not1_b32 s17, s16, exec_lo
.LBB106_143:
	s_or_b32 exec_lo, exec_lo, s22
                                        ; implicit-def: $vgpr1
                                        ; implicit-def: $vgpr39
                                        ; implicit-def: $vgpr5
                                        ; implicit-def: $vgpr62
                                        ; implicit-def: $vgpr40
                                        ; implicit-def: $vgpr42
                                        ; implicit-def: $vgpr41
                                        ; implicit-def: $vgpr60
                                        ; implicit-def: $vgpr61
                                        ; implicit-def: $vgpr63
                                        ; implicit-def: $vgpr64
                                        ; implicit-def: $vgpr65
                                        ; implicit-def: $vgpr66
                                        ; implicit-def: $vgpr67
                                        ; implicit-def: $vgpr68
                                        ; implicit-def: $vgpr69
                                        ; implicit-def: $vgpr70
                                        ; implicit-def: $vgpr71
	s_and_saveexec_b32 s16, s17
	s_cbranch_execz .LBB106_176
; %bb.144:
	s_waitcnt lgkmcnt(1)
	v_cndmask_b32_e64 v7, v77, v37, s14
	s_waitcnt lgkmcnt(0)
	v_cndmask_b32_e64 v2, v78, v38, s14
	s_waitcnt_vscnt null, 0x0
	s_barrier
	buffer_gl0_inv
	v_cmp_eq_u32_e32 vcc_lo, 0, v7
	v_mov_b32_e32 v1, 0
	s_mov_b32 s21, exec_lo
	ds_load_b64 v[5:6], v1 offset:2120
	s_waitcnt lgkmcnt(0)
	s_barrier
	buffer_gl0_inv
	v_add_f32_e32 v3, v2, v6
	s_delay_alu instid0(VALU_DEP_1) | instskip(SKIP_1) | instid1(VALU_DEP_2)
	v_cndmask_b32_e32 v2, v2, v3, vcc_lo
	v_cmp_eq_u32_e32 vcc_lo, 0, v58
	v_cndmask_b32_e64 v71, v2, v6, s2
	s_delay_alu instid0(VALU_DEP_1) | instskip(NEXT) | instid1(VALU_DEP_1)
	v_add_f32_e32 v2, v35, v71
	v_cndmask_b32_e32 v70, v35, v2, vcc_lo
	s_delay_alu instid0(VALU_DEP_1) | instskip(NEXT) | instid1(VALU_DEP_1)
	v_add_f32_e32 v2, v36, v70
	v_cndmask_b32_e64 v69, v36, v2, s13
	s_delay_alu instid0(VALU_DEP_1) | instskip(NEXT) | instid1(VALU_DEP_1)
	v_add_f32_e32 v2, v33, v69
	v_cndmask_b32_e64 v68, v33, v2, s12
	;; [unrolled: 3-line block ×10, first 2 shown]
	ds_load_b128 v[1:4], v1 offset:2048
	v_add_f32_e32 v6, v26, v41
	s_delay_alu instid0(VALU_DEP_1) | instskip(SKIP_3) | instid1(VALU_DEP_2)
	v_cndmask_b32_e64 v42, v26, v6, s3
	s_waitcnt lgkmcnt(0)
	v_add_f32_e32 v4, v4, v2
	v_cmp_eq_u32_e32 vcc_lo, 0, v1
	v_dual_add_f32 v6, v23, v42 :: v_dual_cndmask_b32 v39, v2, v4
	s_delay_alu instid0(VALU_DEP_1) | instskip(SKIP_1) | instid1(VALU_DEP_1)
	v_cndmask_b32_e64 v40, v23, v6, s1
	v_cndmask_b32_e64 v6, v7, 0, s2
	v_dual_add_f32 v7, v24, v40 :: v_dual_add_nc_u32 v6, v5, v6
	v_mov_b32_e32 v5, v3
	s_delay_alu instid0(VALU_DEP_2) | instskip(NEXT) | instid1(VALU_DEP_3)
	v_cndmask_b32_e64 v62, v24, v7, s0
	v_mov_b32_e32 v4, v6
	s_or_b32 exec_lo, exec_lo, s16
	s_and_saveexec_b32 s0, s15
	s_delay_alu instid0(SALU_CYCLE_1)
	s_xor_b32 s0, exec_lo, s0
	s_cbranch_execnz .LBB106_177
.LBB106_145:
	s_or_b32 exec_lo, exec_lo, s0
	s_branch .LBB106_113
.LBB106_146:
	s_and_b32 s0, s20, exec_lo
	v_mov_b32_e32 v5, v35
	s_cselect_b32 s1, 0, s35
	s_cselect_b32 s0, 0, s34
	s_delay_alu instid0(SALU_CYCLE_1)
	s_cmp_eq_u64 s[0:1], 0
	s_cbranch_scc1 .LBB106_148
; %bb.147:
	v_mov_b32_e32 v1, 0
	global_load_b32 v5, v1, s[0:1]
.LBB106_148:
	v_cmp_eq_u32_e64 s0, 0, v57
	v_cmp_eq_u32_e64 s1, 0, v56
	v_add3_u32 v2, v75, v53, v52
	v_cmp_eq_u32_e64 s3, 0, v55
	v_cmp_eq_u32_e64 s4, 0, v54
	v_cndmask_b32_e64 v1, v36, v76, s0
	v_cmp_eq_u32_e64 s5, 0, v53
	v_add3_u32 v2, v2, v50, v49
	v_cmp_eq_u32_e64 s6, 0, v52
	v_cmp_eq_u32_e64 s7, 0, v50
	v_dual_add_f32 v1, v33, v1 :: v_dual_and_b32 v4, 15, v72
	s_delay_alu instid0(VALU_DEP_4) | instskip(SKIP_2) | instid1(VALU_DEP_4)
	v_add3_u32 v2, v2, v48, v47
	v_cmp_eq_u32_e64 s8, 0, v49
	v_cmp_eq_u32_e64 s10, 0, v48
	v_cndmask_b32_e64 v1, v33, v1, s1
	v_cmp_eq_u32_e64 s12, 0, v47
	v_add3_u32 v2, v2, v46, v45
	v_cmp_eq_u32_e64 s9, 0, v46
	v_cmp_eq_u32_e64 s11, 0, v45
	v_add_f32_e32 v1, v34, v1
	v_cmp_eq_u32_e32 vcc_lo, 0, v44
	v_add3_u32 v2, v2, v44, v51
	v_cmp_eq_u32_e64 s13, 0, v51
	v_and_b32_e32 v7, 16, v72
	v_cndmask_b32_e64 v1, v34, v1, s3
	s_delay_alu instid0(VALU_DEP_4) | instskip(NEXT) | instid1(VALU_DEP_3)
	v_mov_b32_dpp v6, v2 row_shr:1 row_mask:0xf bank_mask:0xf
	v_cmp_eq_u32_e64 s14, 0, v7
	s_delay_alu instid0(VALU_DEP_3) | instskip(NEXT) | instid1(VALU_DEP_1)
	v_add_f32_e32 v1, v31, v1
	v_cndmask_b32_e64 v1, v31, v1, s4
	s_delay_alu instid0(VALU_DEP_1) | instskip(NEXT) | instid1(VALU_DEP_1)
	v_add_f32_e32 v1, v32, v1
	v_cndmask_b32_e64 v1, v32, v1, s5
	s_delay_alu instid0(VALU_DEP_1) | instskip(NEXT) | instid1(VALU_DEP_1)
	;; [unrolled: 3-line block ×9, first 2 shown]
	v_add_f32_e32 v1, v24, v1
	v_cndmask_b32_e32 v1, v24, v1, vcc_lo
	s_delay_alu instid0(VALU_DEP_1) | instskip(NEXT) | instid1(VALU_DEP_1)
	v_add_f32_e32 v1, v59, v1
	v_cndmask_b32_e64 v1, v59, v1, s13
	v_cmp_eq_u32_e64 s13, 0, v2
	s_delay_alu instid0(VALU_DEP_2) | instskip(NEXT) | instid1(VALU_DEP_1)
	v_mov_b32_dpp v3, v1 row_shr:1 row_mask:0xf bank_mask:0xf
	v_add_f32_e32 v3, v1, v3
	s_delay_alu instid0(VALU_DEP_1) | instskip(SKIP_1) | instid1(VALU_DEP_1)
	v_cndmask_b32_e64 v3, v1, v3, s13
	v_cmp_eq_u32_e64 s13, 0, v4
	v_cndmask_b32_e64 v6, v6, 0, s13
	s_delay_alu instid0(VALU_DEP_3) | instskip(NEXT) | instid1(VALU_DEP_2)
	v_cndmask_b32_e64 v1, v3, v1, s13
	v_add_nc_u32_e32 v2, v6, v2
	s_delay_alu instid0(VALU_DEP_2) | instskip(NEXT) | instid1(VALU_DEP_2)
	v_mov_b32_dpp v3, v1 row_shr:2 row_mask:0xf bank_mask:0xf
	v_cmp_eq_u32_e64 s13, 0, v2
	s_delay_alu instid0(VALU_DEP_2) | instskip(SKIP_1) | instid1(VALU_DEP_2)
	v_add_f32_e32 v3, v1, v3
	v_mov_b32_dpp v6, v2 row_shr:2 row_mask:0xf bank_mask:0xf
	v_cndmask_b32_e64 v3, v1, v3, s13
	v_cmp_lt_u32_e64 s13, 1, v4
	s_delay_alu instid0(VALU_DEP_1) | instskip(NEXT) | instid1(VALU_DEP_4)
	v_cndmask_b32_e64 v1, v1, v3, s13
	v_cndmask_b32_e64 v3, 0, v6, s13
	s_delay_alu instid0(VALU_DEP_2) | instskip(NEXT) | instid1(VALU_DEP_1)
	v_mov_b32_dpp v6, v1 row_shr:4 row_mask:0xf bank_mask:0xf
	v_dual_add_f32 v3, v1, v6 :: v_dual_add_nc_u32 v2, v2, v3
	s_delay_alu instid0(VALU_DEP_1) | instskip(SKIP_1) | instid1(VALU_DEP_2)
	v_cmp_eq_u32_e64 s13, 0, v2
	v_mov_b32_dpp v6, v2 row_shr:4 row_mask:0xf bank_mask:0xf
	v_cndmask_b32_e64 v3, v1, v3, s13
	v_cmp_lt_u32_e64 s13, 3, v4
	s_delay_alu instid0(VALU_DEP_1) | instskip(NEXT) | instid1(VALU_DEP_4)
	v_cndmask_b32_e64 v1, v1, v3, s13
	v_cndmask_b32_e64 v3, 0, v6, s13
	s_delay_alu instid0(VALU_DEP_2) | instskip(NEXT) | instid1(VALU_DEP_2)
	v_mov_b32_dpp v6, v1 row_shr:8 row_mask:0xf bank_mask:0xf
	v_add_nc_u32_e32 v2, v3, v2
	s_delay_alu instid0(VALU_DEP_2) | instskip(NEXT) | instid1(VALU_DEP_2)
	v_add_f32_e32 v3, v1, v6
	v_cmp_eq_u32_e64 s13, 0, v2
	v_mov_b32_dpp v6, v2 row_shr:8 row_mask:0xf bank_mask:0xf
	s_delay_alu instid0(VALU_DEP_2) | instskip(SKIP_1) | instid1(VALU_DEP_1)
	v_cndmask_b32_e64 v3, v1, v3, s13
	v_cmp_lt_u32_e64 s13, 7, v4
	v_cndmask_b32_e64 v3, v1, v3, s13
	s_delay_alu instid0(VALU_DEP_4) | instskip(SKIP_1) | instid1(VALU_DEP_2)
	v_cndmask_b32_e64 v1, 0, v6, s13
	v_bfe_i32 v6, v72, 4, 1
	v_add_nc_u32_e32 v1, v1, v2
	ds_swizzle_b32 v2, v3 offset:swizzle(BROADCAST,32,15)
	ds_swizzle_b32 v4, v1 offset:swizzle(BROADCAST,32,15)
	v_cmp_eq_u32_e64 s13, 0, v1
	s_waitcnt lgkmcnt(1)
	v_add_f32_e32 v2, v3, v2
	s_waitcnt lgkmcnt(0)
	v_and_b32_e32 v4, v6, v4
	s_delay_alu instid0(VALU_DEP_2) | instskip(NEXT) | instid1(VALU_DEP_2)
	v_cndmask_b32_e64 v2, v3, v2, s13
	v_add_nc_u32_e32 v1, v4, v1
	s_delay_alu instid0(VALU_DEP_2)
	v_cndmask_b32_e64 v2, v2, v3, s14
	s_mov_b32 s14, exec_lo
	v_cmpx_eq_u32_e64 v74, v0
	s_cbranch_execz .LBB106_150
; %bb.149:
	v_lshlrev_b32_e32 v3, 3, v73
	ds_store_b64 v3, v[1:2] offset:2064
.LBB106_150:
	s_or_b32 exec_lo, exec_lo, s14
	s_delay_alu instid0(SALU_CYCLE_1)
	s_mov_b32 s15, exec_lo
	s_waitcnt vmcnt(0) lgkmcnt(0)
	s_waitcnt_vscnt null, 0x0
	s_barrier
	buffer_gl0_inv
	v_cmpx_gt_u32_e32 8, v0
	s_cbranch_execz .LBB106_152
; %bb.151:
	v_lshlrev_b32_e32 v6, 3, v0
	v_and_b32_e32 v8, 7, v72
	ds_load_b64 v[3:4], v6 offset:2064
	s_waitcnt lgkmcnt(0)
	v_mov_b32_dpp v7, v4 row_shr:1 row_mask:0xf bank_mask:0xf
	v_cmp_eq_u32_e64 s13, 0, v3
	v_mov_b32_dpp v37, v3 row_shr:1 row_mask:0xf bank_mask:0xf
	s_delay_alu instid0(VALU_DEP_3) | instskip(NEXT) | instid1(VALU_DEP_1)
	v_add_f32_e32 v7, v4, v7
	v_cndmask_b32_e64 v7, v4, v7, s13
	v_cmp_eq_u32_e64 s13, 0, v8
	s_delay_alu instid0(VALU_DEP_1) | instskip(NEXT) | instid1(VALU_DEP_3)
	v_cndmask_b32_e64 v37, v37, 0, s13
	v_cndmask_b32_e64 v4, v7, v4, s13
	s_delay_alu instid0(VALU_DEP_2) | instskip(NEXT) | instid1(VALU_DEP_2)
	v_add_nc_u32_e32 v3, v37, v3
	v_mov_b32_dpp v7, v4 row_shr:2 row_mask:0xf bank_mask:0xf
	s_delay_alu instid0(VALU_DEP_2) | instskip(NEXT) | instid1(VALU_DEP_2)
	v_cmp_eq_u32_e64 s13, 0, v3
	v_add_f32_e32 v7, v4, v7
	v_mov_b32_dpp v37, v3 row_shr:2 row_mask:0xf bank_mask:0xf
	s_delay_alu instid0(VALU_DEP_2) | instskip(SKIP_1) | instid1(VALU_DEP_1)
	v_cndmask_b32_e64 v7, v4, v7, s13
	v_cmp_lt_u32_e64 s13, 1, v8
	v_cndmask_b32_e64 v4, v4, v7, s13
	s_delay_alu instid0(VALU_DEP_4) | instskip(SKIP_1) | instid1(VALU_DEP_3)
	v_cndmask_b32_e64 v7, 0, v37, s13
	v_cmp_lt_u32_e64 s13, 3, v8
	v_mov_b32_dpp v37, v4 row_shr:4 row_mask:0xf bank_mask:0xf
	s_delay_alu instid0(VALU_DEP_1) | instskip(NEXT) | instid1(VALU_DEP_1)
	v_dual_add_f32 v8, v4, v37 :: v_dual_add_nc_u32 v3, v7, v3
	v_mov_b32_dpp v7, v3 row_shr:4 row_mask:0xf bank_mask:0xf
	v_cmp_eq_u32_e64 s14, 0, v3
	s_delay_alu instid0(VALU_DEP_2) | instskip(NEXT) | instid1(VALU_DEP_2)
	v_cndmask_b32_e64 v7, 0, v7, s13
	s_and_b32 s13, s13, s14
	s_delay_alu instid0(SALU_CYCLE_1) | instskip(NEXT) | instid1(VALU_DEP_2)
	v_cndmask_b32_e64 v4, v4, v8, s13
	v_add_nc_u32_e32 v3, v7, v3
	ds_store_b64 v6, v[3:4] offset:2064
.LBB106_152:
	s_or_b32 exec_lo, exec_lo, s15
	v_dual_mov_b32 v6, 0 :: v_dual_mov_b32 v3, 0
	v_mov_b32_e32 v7, v5
	s_mov_b32 s14, exec_lo
	s_waitcnt lgkmcnt(0)
	s_barrier
	buffer_gl0_inv
	v_cmpx_lt_u32_e32 31, v0
	s_cbranch_execz .LBB106_154
; %bb.153:
	v_lshlrev_b32_e32 v3, 3, v73
	ds_load_b64 v[3:4], v3 offset:2056
	s_waitcnt lgkmcnt(0)
	v_add_f32_e32 v7, v5, v4
	v_cmp_eq_u32_e64 s13, 0, v3
	s_delay_alu instid0(VALU_DEP_1)
	v_cndmask_b32_e64 v7, v4, v7, s13
.LBB106_154:
	s_or_b32 exec_lo, exec_lo, s14
	v_add_nc_u32_e32 v4, -1, v72
	s_delay_alu instid0(VALU_DEP_2) | instskip(SKIP_1) | instid1(VALU_DEP_2)
	v_dual_add_f32 v8, v2, v7 :: v_dual_add_nc_u32 v37, v3, v1
	s_mov_b32 s21, -1
	v_cmp_gt_i32_e64 s13, 0, v4
	s_delay_alu instid0(VALU_DEP_1) | instskip(SKIP_1) | instid1(VALU_DEP_2)
	v_cndmask_b32_e64 v4, v4, v72, s13
	v_cmp_eq_u32_e64 s13, 0, v1
	v_lshlrev_b32_e32 v4, 2, v4
	s_delay_alu instid0(VALU_DEP_2)
	v_cndmask_b32_e64 v1, v2, v8, s13
	v_cmp_eq_u32_e64 s13, 0, v72
	ds_bpermute_b32 v2, v4, v37
	ds_bpermute_b32 v1, v4, v1
	s_waitcnt lgkmcnt(1)
	v_cndmask_b32_e64 v4, v2, v3, s13
	s_waitcnt lgkmcnt(0)
	v_cndmask_b32_e64 v71, v1, v7, s13
	v_cmp_eq_u32_e64 s13, 0, v58
	s_delay_alu instid0(VALU_DEP_2) | instskip(NEXT) | instid1(VALU_DEP_1)
	v_cndmask_b32_e64 v1, v71, v5, s2
	v_add_f32_e32 v1, v35, v1
	s_delay_alu instid0(VALU_DEP_1) | instskip(NEXT) | instid1(VALU_DEP_1)
	v_cndmask_b32_e64 v70, v35, v1, s13
	v_add_f32_e32 v1, v36, v70
	s_delay_alu instid0(VALU_DEP_1) | instskip(NEXT) | instid1(VALU_DEP_1)
	;; [unrolled: 3-line block ×10, first 2 shown]
	v_cndmask_b32_e64 v60, v28, v1, s10
	v_add_f32_e32 v1, v25, v60
	s_delay_alu instid0(VALU_DEP_1) | instskip(SKIP_2) | instid1(VALU_DEP_1)
	v_cndmask_b32_e64 v41, v25, v1, s12
	ds_load_b64 v[1:2], v6 offset:2120
	v_add_f32_e32 v3, v26, v41
	v_cndmask_b32_e64 v42, v26, v3, s9
	s_delay_alu instid0(VALU_DEP_1) | instskip(NEXT) | instid1(VALU_DEP_1)
	v_add_f32_e32 v3, v23, v42
	v_cndmask_b32_e64 v40, v23, v3, s11
	s_waitcnt lgkmcnt(0)
	v_add_f32_e32 v3, v5, v2
	v_cmp_eq_u32_e64 s0, 0, v1
	s_delay_alu instid0(VALU_DEP_3) | instskip(NEXT) | instid1(VALU_DEP_2)
	v_add_f32_e32 v6, v24, v40
	v_cndmask_b32_e64 v39, v2, v3, s0
	s_and_saveexec_b32 s0, s2
	s_cbranch_execz .LBB106_156
; %bb.155:
	s_delay_alu instid0(VALU_DEP_1)
	v_and_b32_e32 v2, 0xff000000, v39
	v_dual_mov_b32 v4, 0 :: v_dual_and_b32 v3, 0xff0000, v39
	s_add_u32 s4, s36, 0x200
	v_and_b32_e32 v7, 0xff00, v39
	s_addc_u32 s5, s37, 0
	v_and_b32_e32 v8, 0xff, v39
	v_or_b32_e32 v2, v3, v2
	v_mov_b32_e32 v3, 2
	v_mov_b32_e32 v71, v5
	s_delay_alu instid0(VALU_DEP_3)
	v_or3_b32 v2, v2, v7, v8
	v_dual_mov_b32 v8, s5 :: v_dual_mov_b32 v7, s4
	;;#ASMSTART
	global_store_dwordx4 v[7:8], v[1:4] off	
s_waitcnt vmcnt(0)
	;;#ASMEND
.LBB106_156:
	s_or_b32 exec_lo, exec_lo, s0
	v_dual_cndmask_b32 v62, v24, v6 :: v_dual_mov_b32 v5, 0
	s_and_saveexec_b32 s0, s21
	s_cbranch_execz .LBB106_319
.LBB106_157:
	v_mov_b32_e32 v7, 0
	s_and_b32 s0, s20, exec_lo
	v_mov_b32_e32 v8, 0
	s_cselect_b32 s1, 0, s47
	s_cselect_b32 s0, 0, s46
	s_waitcnt lgkmcnt(0)
	s_waitcnt_vscnt null, 0x0
	s_cmp_eq_u64 s[0:1], 0
	s_barrier
	buffer_gl0_inv
	s_cbranch_scc1 .LBB106_159
; %bb.158:
	v_mov_b32_e32 v2, 0
	global_load_b64 v[7:8], v2, s[0:1]
.LBB106_159:
	v_cmp_eq_u32_e32 vcc_lo, 0, v58
	v_add_nc_u32_e32 v36, v4, v58
	s_waitcnt vmcnt(0)
	v_lshlrev_b64 v[2:3], 2, v[7:8]
	v_cmp_ne_u32_e64 s13, 0, v58
	v_cmp_ne_u32_e64 s11, 0, v57
	v_cndmask_b32_e64 v6, 1, 2, vcc_lo
	v_cmp_eq_u32_e32 vcc_lo, 0, v57
	v_add_nc_u32_e32 v34, v36, v57
	v_cmp_ne_u32_e64 s10, 0, v56
	v_cmp_ne_u32_e64 s8, 0, v55
	v_cmp_ne_u32_e64 s15, 0, v54
	v_cndmask_b32_e64 v23, 1, 2, vcc_lo
	v_cmp_eq_u32_e32 vcc_lo, 0, v56
	v_add_nc_u32_e32 v37, v34, v56
	v_cmp_ne_u32_e64 s14, 0, v53
	v_cmp_ne_u32_e64 s12, 0, v52
	v_dual_mov_b32 v6, 0 :: v_dual_and_b32 v23, v23, v6
	v_cndmask_b32_e64 v24, 1, 2, vcc_lo
	v_cmp_eq_u32_e32 vcc_lo, 0, v55
	v_add_nc_u32_e32 v35, v37, v55
	v_cmp_ne_u32_e64 s9, 0, v50
	v_cmp_ne_u32_e64 s7, 0, v49
	v_and_b32_e32 v23, v23, v24
	v_cndmask_b32_e64 v25, 1, 2, vcc_lo
	v_cmp_eq_u32_e32 vcc_lo, 0, v54
	v_add_nc_u32_e32 v33, v35, v54
	v_cmp_ne_u32_e64 s6, 0, v48
	v_cmp_ne_u32_e64 s5, 0, v47
	v_and_b32_e32 v23, v23, v25
	;; [unrolled: 6-line block ×4, first 2 shown]
	v_cndmask_b32_e64 v24, 1, 2, vcc_lo
	v_cmp_eq_u32_e32 vcc_lo, 0, v50
	v_add_nc_u32_e32 v30, v31, v50
	s_mov_b32 s16, -1
	s_delay_alu instid0(VALU_DEP_3) | instskip(SKIP_3) | instid1(VALU_DEP_3)
	v_and_b32_e32 v23, v23, v24
	v_cndmask_b32_e64 v25, 1, 2, vcc_lo
	v_cmp_eq_u32_e32 vcc_lo, 0, v49
	v_add_nc_u32_e32 v29, v30, v49
	v_and_b32_e32 v23, v23, v25
	v_cndmask_b32_e64 v24, 1, 2, vcc_lo
	v_cmp_eq_u32_e32 vcc_lo, 0, v48
	s_delay_alu instid0(VALU_DEP_4) | instskip(NEXT) | instid1(VALU_DEP_3)
	v_add_nc_u32_e32 v28, v29, v48
	v_and_b32_e32 v38, v23, v24
	v_cndmask_b32_e64 v26, 1, 2, vcc_lo
	v_cmp_eq_u32_e32 vcc_lo, 0, v47
	v_lshlrev_b64 v[23:24], 2, v[5:6]
	v_add_nc_u32_e32 v27, v28, v47
	s_delay_alu instid0(VALU_DEP_4) | instskip(SKIP_2) | instid1(VALU_DEP_4)
	v_and_b32_e32 v6, v38, v26
	v_cndmask_b32_e64 v25, 1, 2, vcc_lo
	v_cmp_eq_u32_e32 vcc_lo, 0, v46
	v_add_nc_u32_e32 v26, v27, v46
	s_delay_alu instid0(VALU_DEP_3) | instskip(SKIP_2) | instid1(VALU_DEP_4)
	v_and_b32_e32 v6, v6, v25
	v_cndmask_b32_e64 v72, 1, 2, vcc_lo
	v_cmp_eq_u32_e32 vcc_lo, 0, v45
	v_add_nc_u32_e32 v25, v26, v45
	s_delay_alu instid0(VALU_DEP_3) | instskip(SKIP_3) | instid1(VALU_DEP_3)
	v_and_b32_e32 v72, v6, v72
	v_cndmask_b32_e64 v73, 1, 2, vcc_lo
	v_add_co_u32 v38, vcc_lo, s26, v2
	v_add_co_ci_u32_e32 v59, vcc_lo, s27, v3, vcc_lo
	v_and_b32_e32 v72, v72, v73
	s_delay_alu instid0(VALU_DEP_3) | instskip(NEXT) | instid1(VALU_DEP_3)
	v_add_co_u32 v38, vcc_lo, v38, v23
	v_add_co_ci_u32_e32 v59, vcc_lo, v59, v24, vcc_lo
	v_cmp_eq_u32_e32 vcc_lo, 0, v44
	v_add_nc_u32_e32 v6, v25, v44
	v_cndmask_b32_e64 v73, 1, 2, vcc_lo
	v_cmp_eq_u32_e32 vcc_lo, 0, v51
	s_delay_alu instid0(VALU_DEP_2) | instskip(SKIP_2) | instid1(VALU_DEP_2)
	v_and_b32_e32 v72, v72, v73
	v_cndmask_b32_e64 v73, 1, 2, vcc_lo
	v_cmp_gt_u32_e32 vcc_lo, 0x100, v1
	v_and_b32_e32 v72, v72, v73
	s_cbranch_vccz .LBB106_199
; %bb.160:
	s_mov_b32 s16, exec_lo
	s_delay_alu instid0(VALU_DEP_1)
	v_cmpx_gt_i16_e32 2, v72
	s_cbranch_execz .LBB106_198
; %bb.161:
	s_mov_b32 s18, 0
	s_mov_b32 s17, exec_lo
	v_cmpx_ne_u16_e32 1, v72
	s_xor_b32 s17, exec_lo, s17
	s_cbranch_execz .LBB106_179
; %bb.162:
	s_and_saveexec_b32 s18, s13
	s_cbranch_execz .LBB106_181
; %bb.163:
	v_sub_nc_u32_e32 v73, v4, v5
	v_mov_b32_e32 v74, 0
	s_delay_alu instid0(VALU_DEP_1) | instskip(NEXT) | instid1(VALU_DEP_1)
	v_lshlrev_b64 v[73:74], 2, v[73:74]
	v_add_co_u32 v73, vcc_lo, v38, v73
	s_delay_alu instid0(VALU_DEP_2)
	v_add_co_ci_u32_e32 v74, vcc_lo, v59, v74, vcc_lo
	global_store_b32 v[73:74], v21, off
	s_or_b32 exec_lo, exec_lo, s18
	s_and_saveexec_b32 s18, s11
	s_cbranch_execnz .LBB106_182
.LBB106_164:
	s_or_b32 exec_lo, exec_lo, s18
	s_and_saveexec_b32 s18, s10
	s_cbranch_execz .LBB106_183
.LBB106_165:
	v_sub_nc_u32_e32 v73, v34, v5
	v_mov_b32_e32 v74, 0
	s_delay_alu instid0(VALU_DEP_1) | instskip(NEXT) | instid1(VALU_DEP_1)
	v_lshlrev_b64 v[73:74], 2, v[73:74]
	v_add_co_u32 v73, vcc_lo, v38, v73
	s_delay_alu instid0(VALU_DEP_2)
	v_add_co_ci_u32_e32 v74, vcc_lo, v59, v74, vcc_lo
	global_store_b32 v[73:74], v19, off
	s_or_b32 exec_lo, exec_lo, s18
	s_and_saveexec_b32 s18, s8
	s_cbranch_execnz .LBB106_184
.LBB106_166:
	s_or_b32 exec_lo, exec_lo, s18
	s_and_saveexec_b32 s18, s15
	s_cbranch_execz .LBB106_185
.LBB106_167:
	v_sub_nc_u32_e32 v73, v35, v5
	v_mov_b32_e32 v74, 0
	s_delay_alu instid0(VALU_DEP_1) | instskip(NEXT) | instid1(VALU_DEP_1)
	v_lshlrev_b64 v[73:74], 2, v[73:74]
	v_add_co_u32 v73, vcc_lo, v38, v73
	s_delay_alu instid0(VALU_DEP_2)
	v_add_co_ci_u32_e32 v74, vcc_lo, v59, v74, vcc_lo
	global_store_b32 v[73:74], v17, off
	s_or_b32 exec_lo, exec_lo, s18
	s_and_saveexec_b32 s18, s14
	s_cbranch_execnz .LBB106_186
.LBB106_168:
	s_or_b32 exec_lo, exec_lo, s18
	s_and_saveexec_b32 s18, s12
	s_cbranch_execz .LBB106_187
.LBB106_169:
	v_sub_nc_u32_e32 v73, v32, v5
	v_mov_b32_e32 v74, 0
	s_delay_alu instid0(VALU_DEP_1) | instskip(NEXT) | instid1(VALU_DEP_1)
	v_lshlrev_b64 v[73:74], 2, v[73:74]
	v_add_co_u32 v73, vcc_lo, v38, v73
	s_delay_alu instid0(VALU_DEP_2)
	v_add_co_ci_u32_e32 v74, vcc_lo, v59, v74, vcc_lo
	global_store_b32 v[73:74], v15, off
	s_or_b32 exec_lo, exec_lo, s18
	s_and_saveexec_b32 s18, s9
	s_cbranch_execnz .LBB106_188
.LBB106_170:
	s_or_b32 exec_lo, exec_lo, s18
	s_and_saveexec_b32 s18, s7
	s_cbranch_execz .LBB106_189
.LBB106_171:
	v_sub_nc_u32_e32 v73, v30, v5
	v_mov_b32_e32 v74, 0
	s_delay_alu instid0(VALU_DEP_1) | instskip(NEXT) | instid1(VALU_DEP_1)
	v_lshlrev_b64 v[73:74], 2, v[73:74]
	v_add_co_u32 v73, vcc_lo, v38, v73
	s_delay_alu instid0(VALU_DEP_2)
	v_add_co_ci_u32_e32 v74, vcc_lo, v59, v74, vcc_lo
	global_store_b32 v[73:74], v13, off
	s_or_b32 exec_lo, exec_lo, s18
	s_and_saveexec_b32 s18, s6
	s_cbranch_execnz .LBB106_190
.LBB106_172:
	s_or_b32 exec_lo, exec_lo, s18
	s_and_saveexec_b32 s18, s5
	s_cbranch_execz .LBB106_191
.LBB106_173:
	v_sub_nc_u32_e32 v73, v28, v5
	v_mov_b32_e32 v74, 0
	s_delay_alu instid0(VALU_DEP_1) | instskip(NEXT) | instid1(VALU_DEP_1)
	v_lshlrev_b64 v[73:74], 2, v[73:74]
	v_add_co_u32 v73, vcc_lo, v38, v73
	s_delay_alu instid0(VALU_DEP_2)
	v_add_co_ci_u32_e32 v74, vcc_lo, v59, v74, vcc_lo
	global_store_b32 v[73:74], v11, off
	s_or_b32 exec_lo, exec_lo, s18
	s_and_saveexec_b32 s18, s4
	s_cbranch_execnz .LBB106_192
.LBB106_174:
	s_or_b32 exec_lo, exec_lo, s18
	s_and_saveexec_b32 s18, s3
	s_cbranch_execz .LBB106_193
.LBB106_175:
	v_sub_nc_u32_e32 v73, v26, v5
	v_mov_b32_e32 v74, 0
	s_delay_alu instid0(VALU_DEP_1) | instskip(NEXT) | instid1(VALU_DEP_1)
	v_lshlrev_b64 v[73:74], 2, v[73:74]
	v_add_co_u32 v73, vcc_lo, v38, v73
	s_delay_alu instid0(VALU_DEP_2)
	v_add_co_ci_u32_e32 v74, vcc_lo, v59, v74, vcc_lo
	global_store_b32 v[73:74], v9, off
	s_or_b32 exec_lo, exec_lo, s18
	s_and_saveexec_b32 s18, s1
	s_cbranch_execnz .LBB106_194
	s_branch .LBB106_195
.LBB106_176:
	s_or_b32 exec_lo, exec_lo, s16
	s_and_saveexec_b32 s0, s15
	s_delay_alu instid0(SALU_CYCLE_1)
	s_xor_b32 s0, exec_lo, s0
	s_cbranch_execz .LBB106_145
.LBB106_177:
	s_cbranch_execnz .LBB106_320
; %bb.178:
	; divergent unreachable
                                        ; implicit-def: $vgpr62
                                        ; implicit-def: $vgpr40
                                        ; implicit-def: $vgpr42
                                        ; implicit-def: $vgpr41
                                        ; implicit-def: $vgpr60
                                        ; implicit-def: $vgpr61
                                        ; implicit-def: $vgpr63
                                        ; implicit-def: $vgpr64
                                        ; implicit-def: $vgpr65
                                        ; implicit-def: $vgpr66
                                        ; implicit-def: $vgpr67
                                        ; implicit-def: $vgpr68
                                        ; implicit-def: $vgpr69
                                        ; implicit-def: $vgpr70
                                        ; implicit-def: $vgpr71
	s_or_b32 exec_lo, exec_lo, s0
	s_branch .LBB106_113
.LBB106_179:
	s_and_not1_saveexec_b32 s17, s17
	s_cbranch_execz .LBB106_196
.LBB106_180:
	v_sub_nc_u32_e32 v73, v4, v5
	v_mov_b32_e32 v74, 0
	s_or_b32 s18, s18, exec_lo
	s_delay_alu instid0(VALU_DEP_1) | instskip(SKIP_1) | instid1(VALU_DEP_1)
	v_lshlrev_b64 v[75:76], 2, v[73:74]
	v_sub_nc_u32_e32 v73, v36, v5
	v_lshlrev_b64 v[77:78], 2, v[73:74]
	v_sub_nc_u32_e32 v73, v34, v5
	s_delay_alu instid0(VALU_DEP_4) | instskip(SKIP_1) | instid1(VALU_DEP_3)
	v_add_co_u32 v75, vcc_lo, v38, v75
	v_add_co_ci_u32_e32 v76, vcc_lo, v59, v76, vcc_lo
	v_lshlrev_b64 v[79:80], 2, v[73:74]
	v_sub_nc_u32_e32 v73, v37, v5
	v_add_co_u32 v77, vcc_lo, v38, v77
	v_add_co_ci_u32_e32 v78, vcc_lo, v59, v78, vcc_lo
	global_store_b32 v[75:76], v21, off
	v_lshlrev_b64 v[75:76], 2, v[73:74]
	v_sub_nc_u32_e32 v73, v35, v5
	global_store_b32 v[77:78], v22, off
	v_add_co_u32 v77, vcc_lo, v38, v79
	v_add_co_ci_u32_e32 v78, vcc_lo, v59, v80, vcc_lo
	v_lshlrev_b64 v[79:80], 2, v[73:74]
	v_sub_nc_u32_e32 v73, v33, v5
	v_add_co_u32 v75, vcc_lo, v38, v75
	v_add_co_ci_u32_e32 v76, vcc_lo, v59, v76, vcc_lo
	s_delay_alu instid0(VALU_DEP_3) | instskip(SKIP_3) | instid1(VALU_DEP_3)
	v_lshlrev_b64 v[81:82], 2, v[73:74]
	v_sub_nc_u32_e32 v73, v32, v5
	v_add_co_u32 v79, vcc_lo, v38, v79
	v_add_co_ci_u32_e32 v80, vcc_lo, v59, v80, vcc_lo
	v_lshlrev_b64 v[83:84], 2, v[73:74]
	v_sub_nc_u32_e32 v73, v31, v5
	v_add_co_u32 v81, vcc_lo, v38, v81
	v_add_co_ci_u32_e32 v82, vcc_lo, v59, v82, vcc_lo
	s_clause 0x3
	global_store_b32 v[77:78], v19, off
	global_store_b32 v[75:76], v20, off
	;; [unrolled: 1-line block ×4, first 2 shown]
	v_lshlrev_b64 v[75:76], 2, v[73:74]
	v_sub_nc_u32_e32 v73, v30, v5
	v_add_co_u32 v77, vcc_lo, v38, v83
	v_add_co_ci_u32_e32 v78, vcc_lo, v59, v84, vcc_lo
	s_delay_alu instid0(VALU_DEP_3) | instskip(SKIP_3) | instid1(VALU_DEP_3)
	v_lshlrev_b64 v[79:80], 2, v[73:74]
	v_sub_nc_u32_e32 v73, v29, v5
	v_add_co_u32 v75, vcc_lo, v38, v75
	v_add_co_ci_u32_e32 v76, vcc_lo, v59, v76, vcc_lo
	v_lshlrev_b64 v[81:82], 2, v[73:74]
	v_sub_nc_u32_e32 v73, v28, v5
	v_add_co_u32 v79, vcc_lo, v38, v79
	v_add_co_ci_u32_e32 v80, vcc_lo, v59, v80, vcc_lo
	s_delay_alu instid0(VALU_DEP_3)
	v_lshlrev_b64 v[83:84], 2, v[73:74]
	v_sub_nc_u32_e32 v73, v27, v5
	v_add_co_u32 v81, vcc_lo, v38, v81
	v_add_co_ci_u32_e32 v82, vcc_lo, v59, v82, vcc_lo
	s_clause 0x3
	global_store_b32 v[77:78], v15, off
	global_store_b32 v[75:76], v16, off
	;; [unrolled: 1-line block ×4, first 2 shown]
	v_lshlrev_b64 v[75:76], 2, v[73:74]
	v_sub_nc_u32_e32 v73, v26, v5
	v_add_co_u32 v77, vcc_lo, v38, v83
	v_add_co_ci_u32_e32 v78, vcc_lo, v59, v84, vcc_lo
	s_delay_alu instid0(VALU_DEP_3) | instskip(SKIP_3) | instid1(VALU_DEP_3)
	v_lshlrev_b64 v[79:80], 2, v[73:74]
	v_sub_nc_u32_e32 v73, v25, v5
	v_add_co_u32 v75, vcc_lo, v38, v75
	v_add_co_ci_u32_e32 v76, vcc_lo, v59, v76, vcc_lo
	v_lshlrev_b64 v[73:74], 2, v[73:74]
	v_add_co_u32 v79, vcc_lo, v38, v79
	v_add_co_ci_u32_e32 v80, vcc_lo, v59, v80, vcc_lo
	s_clause 0x2
	global_store_b32 v[77:78], v11, off
	global_store_b32 v[75:76], v12, off
	;; [unrolled: 1-line block ×3, first 2 shown]
	v_add_co_u32 v73, vcc_lo, v38, v73
	v_add_co_ci_u32_e32 v74, vcc_lo, v59, v74, vcc_lo
	global_store_b32 v[73:74], v10, off
	s_or_b32 exec_lo, exec_lo, s17
	s_delay_alu instid0(SALU_CYCLE_1)
	s_and_b32 exec_lo, exec_lo, s18
	s_cbranch_execnz .LBB106_197
	s_branch .LBB106_198
.LBB106_181:
	s_or_b32 exec_lo, exec_lo, s18
	s_and_saveexec_b32 s18, s11
	s_cbranch_execz .LBB106_164
.LBB106_182:
	v_sub_nc_u32_e32 v73, v36, v5
	v_mov_b32_e32 v74, 0
	s_delay_alu instid0(VALU_DEP_1) | instskip(NEXT) | instid1(VALU_DEP_1)
	v_lshlrev_b64 v[73:74], 2, v[73:74]
	v_add_co_u32 v73, vcc_lo, v38, v73
	s_delay_alu instid0(VALU_DEP_2)
	v_add_co_ci_u32_e32 v74, vcc_lo, v59, v74, vcc_lo
	global_store_b32 v[73:74], v22, off
	s_or_b32 exec_lo, exec_lo, s18
	s_and_saveexec_b32 s18, s10
	s_cbranch_execnz .LBB106_165
.LBB106_183:
	s_or_b32 exec_lo, exec_lo, s18
	s_and_saveexec_b32 s18, s8
	s_cbranch_execz .LBB106_166
.LBB106_184:
	v_sub_nc_u32_e32 v73, v37, v5
	v_mov_b32_e32 v74, 0
	s_delay_alu instid0(VALU_DEP_1) | instskip(NEXT) | instid1(VALU_DEP_1)
	v_lshlrev_b64 v[73:74], 2, v[73:74]
	v_add_co_u32 v73, vcc_lo, v38, v73
	s_delay_alu instid0(VALU_DEP_2)
	v_add_co_ci_u32_e32 v74, vcc_lo, v59, v74, vcc_lo
	global_store_b32 v[73:74], v20, off
	s_or_b32 exec_lo, exec_lo, s18
	s_and_saveexec_b32 s18, s15
	s_cbranch_execnz .LBB106_167
.LBB106_185:
	s_or_b32 exec_lo, exec_lo, s18
	s_and_saveexec_b32 s18, s14
	s_cbranch_execz .LBB106_168
.LBB106_186:
	v_sub_nc_u32_e32 v73, v33, v5
	v_mov_b32_e32 v74, 0
	s_delay_alu instid0(VALU_DEP_1) | instskip(NEXT) | instid1(VALU_DEP_1)
	v_lshlrev_b64 v[73:74], 2, v[73:74]
	v_add_co_u32 v73, vcc_lo, v38, v73
	s_delay_alu instid0(VALU_DEP_2)
	v_add_co_ci_u32_e32 v74, vcc_lo, v59, v74, vcc_lo
	global_store_b32 v[73:74], v18, off
	s_or_b32 exec_lo, exec_lo, s18
	s_and_saveexec_b32 s18, s12
	s_cbranch_execnz .LBB106_169
.LBB106_187:
	s_or_b32 exec_lo, exec_lo, s18
	s_and_saveexec_b32 s18, s9
	s_cbranch_execz .LBB106_170
.LBB106_188:
	v_sub_nc_u32_e32 v73, v31, v5
	v_mov_b32_e32 v74, 0
	s_delay_alu instid0(VALU_DEP_1) | instskip(NEXT) | instid1(VALU_DEP_1)
	v_lshlrev_b64 v[73:74], 2, v[73:74]
	v_add_co_u32 v73, vcc_lo, v38, v73
	s_delay_alu instid0(VALU_DEP_2)
	v_add_co_ci_u32_e32 v74, vcc_lo, v59, v74, vcc_lo
	global_store_b32 v[73:74], v16, off
	s_or_b32 exec_lo, exec_lo, s18
	s_and_saveexec_b32 s18, s7
	s_cbranch_execnz .LBB106_171
.LBB106_189:
	s_or_b32 exec_lo, exec_lo, s18
	s_and_saveexec_b32 s18, s6
	s_cbranch_execz .LBB106_172
.LBB106_190:
	v_sub_nc_u32_e32 v73, v29, v5
	v_mov_b32_e32 v74, 0
	s_delay_alu instid0(VALU_DEP_1) | instskip(NEXT) | instid1(VALU_DEP_1)
	v_lshlrev_b64 v[73:74], 2, v[73:74]
	v_add_co_u32 v73, vcc_lo, v38, v73
	s_delay_alu instid0(VALU_DEP_2)
	v_add_co_ci_u32_e32 v74, vcc_lo, v59, v74, vcc_lo
	global_store_b32 v[73:74], v14, off
	s_or_b32 exec_lo, exec_lo, s18
	s_and_saveexec_b32 s18, s5
	s_cbranch_execnz .LBB106_173
.LBB106_191:
	s_or_b32 exec_lo, exec_lo, s18
	s_and_saveexec_b32 s18, s4
	s_cbranch_execz .LBB106_174
.LBB106_192:
	v_sub_nc_u32_e32 v73, v27, v5
	v_mov_b32_e32 v74, 0
	s_delay_alu instid0(VALU_DEP_1) | instskip(NEXT) | instid1(VALU_DEP_1)
	v_lshlrev_b64 v[73:74], 2, v[73:74]
	v_add_co_u32 v73, vcc_lo, v38, v73
	s_delay_alu instid0(VALU_DEP_2)
	v_add_co_ci_u32_e32 v74, vcc_lo, v59, v74, vcc_lo
	global_store_b32 v[73:74], v12, off
	s_or_b32 exec_lo, exec_lo, s18
	s_and_saveexec_b32 s18, s3
	s_cbranch_execnz .LBB106_175
.LBB106_193:
	s_or_b32 exec_lo, exec_lo, s18
	s_and_saveexec_b32 s18, s1
	s_cbranch_execz .LBB106_195
.LBB106_194:
	v_sub_nc_u32_e32 v73, v25, v5
	v_mov_b32_e32 v74, 0
	s_delay_alu instid0(VALU_DEP_1) | instskip(NEXT) | instid1(VALU_DEP_1)
	v_lshlrev_b64 v[73:74], 2, v[73:74]
	v_add_co_u32 v73, vcc_lo, v38, v73
	s_delay_alu instid0(VALU_DEP_2)
	v_add_co_ci_u32_e32 v74, vcc_lo, v59, v74, vcc_lo
	global_store_b32 v[73:74], v10, off
.LBB106_195:
	s_or_b32 exec_lo, exec_lo, s18
	s_delay_alu instid0(SALU_CYCLE_1)
	s_and_b32 s18, s0, exec_lo
	s_and_not1_saveexec_b32 s17, s17
	s_cbranch_execnz .LBB106_180
.LBB106_196:
	s_or_b32 exec_lo, exec_lo, s17
	s_delay_alu instid0(SALU_CYCLE_1)
	s_and_b32 exec_lo, exec_lo, s18
	s_cbranch_execz .LBB106_198
.LBB106_197:
	v_sub_nc_u32_e32 v73, v6, v5
	v_mov_b32_e32 v74, 0
	s_delay_alu instid0(VALU_DEP_1) | instskip(NEXT) | instid1(VALU_DEP_1)
	v_lshlrev_b64 v[73:74], 2, v[73:74]
	v_add_co_u32 v73, vcc_lo, v38, v73
	s_delay_alu instid0(VALU_DEP_2)
	v_add_co_ci_u32_e32 v74, vcc_lo, v59, v74, vcc_lo
	global_store_b32 v[73:74], v43, off
.LBB106_198:
	s_or_b32 exec_lo, exec_lo, s16
	s_mov_b32 s16, 0
.LBB106_199:
	s_delay_alu instid0(SALU_CYCLE_1)
	s_and_b32 vcc_lo, exec_lo, s16
	s_cbranch_vccz .LBB106_239
; %bb.200:
	s_mov_b32 s16, exec_lo
	v_cmpx_gt_i16_e32 2, v72
	s_cbranch_execz .LBB106_235
; %bb.201:
	s_mov_b32 s18, 0
	s_mov_b32 s17, exec_lo
	v_cmpx_ne_u16_e32 1, v72
	s_xor_b32 s17, exec_lo, s17
	s_cbranch_execz .LBB106_216
; %bb.202:
	s_and_saveexec_b32 s18, s13
	s_cbranch_execz .LBB106_218
; %bb.203:
	v_sub_nc_u32_e32 v72, v4, v5
	s_delay_alu instid0(VALU_DEP_1)
	v_lshlrev_b32_e32 v72, 2, v72
	ds_store_b32 v72, v21
	s_or_b32 exec_lo, exec_lo, s18
	s_and_saveexec_b32 s13, s11
	s_cbranch_execnz .LBB106_219
.LBB106_204:
	s_or_b32 exec_lo, exec_lo, s13
	s_and_saveexec_b32 s11, s10
	s_cbranch_execz .LBB106_220
.LBB106_205:
	v_sub_nc_u32_e32 v21, v34, v5
	s_delay_alu instid0(VALU_DEP_1)
	v_lshlrev_b32_e32 v21, 2, v21
	ds_store_b32 v21, v19
	s_or_b32 exec_lo, exec_lo, s11
	s_and_saveexec_b32 s10, s8
	s_cbranch_execnz .LBB106_221
.LBB106_206:
	s_or_b32 exec_lo, exec_lo, s10
	s_and_saveexec_b32 s8, s15
	s_cbranch_execz .LBB106_222
.LBB106_207:
	v_sub_nc_u32_e32 v19, v35, v5
	s_delay_alu instid0(VALU_DEP_1)
	v_lshlrev_b32_e32 v19, 2, v19
	ds_store_b32 v19, v17
	s_or_b32 exec_lo, exec_lo, s8
	s_and_saveexec_b32 s8, s14
	s_cbranch_execnz .LBB106_223
.LBB106_208:
	s_or_b32 exec_lo, exec_lo, s8
	s_and_saveexec_b32 s8, s12
	s_cbranch_execz .LBB106_224
.LBB106_209:
	v_sub_nc_u32_e32 v17, v32, v5
	s_delay_alu instid0(VALU_DEP_1)
	v_lshlrev_b32_e32 v17, 2, v17
	ds_store_b32 v17, v15
	s_or_b32 exec_lo, exec_lo, s8
	s_and_saveexec_b32 s8, s9
	s_cbranch_execnz .LBB106_225
.LBB106_210:
	s_or_b32 exec_lo, exec_lo, s8
	s_and_saveexec_b32 s8, s7
	s_cbranch_execz .LBB106_226
.LBB106_211:
	v_sub_nc_u32_e32 v15, v30, v5
	s_delay_alu instid0(VALU_DEP_1)
	v_lshlrev_b32_e32 v15, 2, v15
	ds_store_b32 v15, v13
	s_or_b32 exec_lo, exec_lo, s8
	s_and_saveexec_b32 s7, s6
	s_cbranch_execnz .LBB106_227
.LBB106_212:
	s_or_b32 exec_lo, exec_lo, s7
	s_and_saveexec_b32 s6, s5
	s_cbranch_execz .LBB106_228
.LBB106_213:
	v_sub_nc_u32_e32 v13, v28, v5
	s_delay_alu instid0(VALU_DEP_1)
	v_lshlrev_b32_e32 v13, 2, v13
	ds_store_b32 v13, v11
	s_or_b32 exec_lo, exec_lo, s6
	s_and_saveexec_b32 s5, s4
	s_cbranch_execnz .LBB106_229
.LBB106_214:
	s_or_b32 exec_lo, exec_lo, s5
	s_and_saveexec_b32 s4, s3
	s_cbranch_execz .LBB106_230
.LBB106_215:
	v_sub_nc_u32_e32 v11, v26, v5
	s_delay_alu instid0(VALU_DEP_1)
	v_lshlrev_b32_e32 v11, 2, v11
	ds_store_b32 v11, v9
	s_or_b32 exec_lo, exec_lo, s4
	s_and_saveexec_b32 s3, s1
	s_cbranch_execnz .LBB106_231
	s_branch .LBB106_232
.LBB106_216:
	s_and_not1_saveexec_b32 s0, s17
	s_cbranch_execz .LBB106_233
.LBB106_217:
	v_sub_nc_u32_e32 v72, v4, v5
	v_sub_nc_u32_e32 v75, v37, v5
	;; [unrolled: 1-line block ×4, first 2 shown]
	s_or_b32 s18, s18, exec_lo
	v_lshlrev_b32_e32 v72, 2, v72
	v_lshlrev_b32_e32 v75, 2, v75
	;; [unrolled: 1-line block ×4, first 2 shown]
	ds_store_b32 v72, v21
	ds_store_b32 v73, v22
	;; [unrolled: 1-line block ×3, first 2 shown]
	v_sub_nc_u32_e32 v19, v35, v5
	ds_store_b32 v75, v20
	v_sub_nc_u32_e32 v20, v33, v5
	v_sub_nc_u32_e32 v21, v32, v5
	;; [unrolled: 1-line block ×3, first 2 shown]
	v_lshlrev_b32_e32 v19, 2, v19
	v_sub_nc_u32_e32 v72, v30, v5
	v_lshlrev_b32_e32 v20, 2, v20
	v_lshlrev_b32_e32 v21, 2, v21
	;; [unrolled: 1-line block ×3, first 2 shown]
	ds_store_b32 v19, v17
	v_lshlrev_b32_e32 v17, 2, v72
	ds_store_b32 v20, v18
	ds_store_b32 v21, v15
	;; [unrolled: 1-line block ×3, first 2 shown]
	v_sub_nc_u32_e32 v15, v29, v5
	v_sub_nc_u32_e32 v18, v25, v5
	v_sub_nc_u32_e32 v16, v27, v5
	ds_store_b32 v17, v13
	v_sub_nc_u32_e32 v13, v28, v5
	v_lshlrev_b32_e32 v15, 2, v15
	v_sub_nc_u32_e32 v17, v26, v5
	v_lshlrev_b32_e32 v16, 2, v16
	s_delay_alu instid0(VALU_DEP_4)
	v_lshlrev_b32_e32 v13, 2, v13
	ds_store_b32 v15, v14
	v_lshlrev_b32_e32 v14, 2, v18
	v_lshlrev_b32_e32 v17, 2, v17
	ds_store_b32 v13, v11
	ds_store_b32 v16, v12
	;; [unrolled: 1-line block ×4, first 2 shown]
	s_or_b32 exec_lo, exec_lo, s0
	s_delay_alu instid0(SALU_CYCLE_1)
	s_and_b32 exec_lo, exec_lo, s18
	s_cbranch_execnz .LBB106_234
	s_branch .LBB106_235
.LBB106_218:
	s_or_b32 exec_lo, exec_lo, s18
	s_and_saveexec_b32 s13, s11
	s_cbranch_execz .LBB106_204
.LBB106_219:
	v_sub_nc_u32_e32 v21, v36, v5
	s_delay_alu instid0(VALU_DEP_1)
	v_lshlrev_b32_e32 v21, 2, v21
	ds_store_b32 v21, v22
	s_or_b32 exec_lo, exec_lo, s13
	s_and_saveexec_b32 s11, s10
	s_cbranch_execnz .LBB106_205
.LBB106_220:
	s_or_b32 exec_lo, exec_lo, s11
	s_and_saveexec_b32 s10, s8
	s_cbranch_execz .LBB106_206
.LBB106_221:
	v_sub_nc_u32_e32 v19, v37, v5
	s_delay_alu instid0(VALU_DEP_1)
	v_lshlrev_b32_e32 v19, 2, v19
	ds_store_b32 v19, v20
	s_or_b32 exec_lo, exec_lo, s10
	s_and_saveexec_b32 s8, s15
	s_cbranch_execnz .LBB106_207
.LBB106_222:
	s_or_b32 exec_lo, exec_lo, s8
	s_and_saveexec_b32 s8, s14
	s_cbranch_execz .LBB106_208
.LBB106_223:
	v_sub_nc_u32_e32 v17, v33, v5
	s_delay_alu instid0(VALU_DEP_1)
	v_lshlrev_b32_e32 v17, 2, v17
	ds_store_b32 v17, v18
	s_or_b32 exec_lo, exec_lo, s8
	s_and_saveexec_b32 s8, s12
	s_cbranch_execnz .LBB106_209
.LBB106_224:
	s_or_b32 exec_lo, exec_lo, s8
	s_and_saveexec_b32 s8, s9
	s_cbranch_execz .LBB106_210
.LBB106_225:
	v_sub_nc_u32_e32 v15, v31, v5
	s_delay_alu instid0(VALU_DEP_1)
	v_lshlrev_b32_e32 v15, 2, v15
	ds_store_b32 v15, v16
	s_or_b32 exec_lo, exec_lo, s8
	s_and_saveexec_b32 s8, s7
	s_cbranch_execnz .LBB106_211
.LBB106_226:
	s_or_b32 exec_lo, exec_lo, s8
	s_and_saveexec_b32 s7, s6
	s_cbranch_execz .LBB106_212
.LBB106_227:
	v_sub_nc_u32_e32 v13, v29, v5
	s_delay_alu instid0(VALU_DEP_1)
	v_lshlrev_b32_e32 v13, 2, v13
	ds_store_b32 v13, v14
	s_or_b32 exec_lo, exec_lo, s7
	s_and_saveexec_b32 s6, s5
	s_cbranch_execnz .LBB106_213
.LBB106_228:
	s_or_b32 exec_lo, exec_lo, s6
	s_and_saveexec_b32 s5, s4
	s_cbranch_execz .LBB106_214
.LBB106_229:
	v_sub_nc_u32_e32 v11, v27, v5
	s_delay_alu instid0(VALU_DEP_1)
	v_lshlrev_b32_e32 v11, 2, v11
	ds_store_b32 v11, v12
	s_or_b32 exec_lo, exec_lo, s5
	s_and_saveexec_b32 s4, s3
	s_cbranch_execnz .LBB106_215
.LBB106_230:
	s_or_b32 exec_lo, exec_lo, s4
	s_and_saveexec_b32 s3, s1
	s_cbranch_execz .LBB106_232
.LBB106_231:
	v_sub_nc_u32_e32 v9, v25, v5
	s_delay_alu instid0(VALU_DEP_1)
	v_lshlrev_b32_e32 v9, 2, v9
	ds_store_b32 v9, v10
.LBB106_232:
	s_or_b32 exec_lo, exec_lo, s3
	s_delay_alu instid0(SALU_CYCLE_1)
	s_and_b32 s18, s0, exec_lo
                                        ; implicit-def: $vgpr21
                                        ; implicit-def: $vgpr19
                                        ; implicit-def: $vgpr17
                                        ; implicit-def: $vgpr15
                                        ; implicit-def: $vgpr13
                                        ; implicit-def: $vgpr11
                                        ; implicit-def: $vgpr9
	s_and_not1_saveexec_b32 s0, s17
	s_cbranch_execnz .LBB106_217
.LBB106_233:
	s_or_b32 exec_lo, exec_lo, s0
	s_delay_alu instid0(SALU_CYCLE_1)
	s_and_b32 exec_lo, exec_lo, s18
	s_cbranch_execz .LBB106_235
.LBB106_234:
	v_sub_nc_u32_e32 v9, v6, v5
	s_delay_alu instid0(VALU_DEP_1)
	v_lshlrev_b32_e32 v9, 2, v9
	ds_store_b32 v9, v43
.LBB106_235:
	s_or_b32 exec_lo, exec_lo, s16
	s_delay_alu instid0(SALU_CYCLE_1)
	s_mov_b32 s1, exec_lo
	s_waitcnt lgkmcnt(0)
	s_waitcnt_vscnt null, 0x0
	s_barrier
	buffer_gl0_inv
	v_cmpx_lt_u32_e64 v0, v1
	s_cbranch_execz .LBB106_238
; %bb.236:
	v_dual_mov_b32 v10, 0 :: v_dual_lshlrev_b32 v11, 2, v0
	v_mov_b32_e32 v9, v0
	s_mov_b32 s3, 0
	.p2align	6
.LBB106_237:                            ; =>This Inner Loop Header: Depth=1
	ds_load_b32 v14, v11
	v_lshlrev_b64 v[12:13], 2, v[9:10]
	v_add_nc_u32_e32 v9, 0x100, v9
	v_add_nc_u32_e32 v11, 0x400, v11
	s_delay_alu instid0(VALU_DEP_2) | instskip(NEXT) | instid1(VALU_DEP_4)
	v_cmp_ge_u32_e32 vcc_lo, v9, v1
	v_add_co_u32 v12, s0, v38, v12
	s_delay_alu instid0(VALU_DEP_1)
	v_add_co_ci_u32_e64 v13, s0, v59, v13, s0
	s_or_b32 s3, vcc_lo, s3
	s_waitcnt lgkmcnt(0)
	global_store_b32 v[12:13], v14, off
	s_and_not1_b32 exec_lo, exec_lo, s3
	s_cbranch_execnz .LBB106_237
.LBB106_238:
	s_or_b32 exec_lo, exec_lo, s1
.LBB106_239:
	s_cmpk_lg_i32 s40, 0xf00
	v_cndmask_b32_e64 v14, 0, 1, s41
	s_cselect_b32 s0, -1, 0
	v_mad_i32_i24 v11, v0, -15, s40
	s_and_b32 s0, s0, s33
	s_and_b32 s1, s2, s41
	v_cndmask_b32_e64 v10, 0, 1, s0
	s_mul_hi_u32 s0, s40, 0x88888889
	v_sub_nc_u32_e32 v9, v1, v14
	s_lshr_b32 s0, s0, 3
	v_cndmask_b32_e64 v12, v58, 0, s1
	v_cmp_eq_u32_e32 vcc_lo, s0, v0
	v_cmp_ne_u32_e64 s0, 0, v11
	s_mov_b32 s15, -1
	s_waitcnt_vscnt null, 0x0
	s_barrier
	s_and_b32 vcc_lo, vcc_lo, s33
	v_add_nc_u32_e32 v9, v9, v10
	v_cndmask_b32_e64 v10, 1, v12, s0
	v_cmp_ne_u32_e64 s0, 1, v11
	buffer_gl0_inv
	v_cndmask_b32_e32 v20, v12, v10, vcc_lo
	v_cndmask_b32_e64 v13, 1, v57, s0
	v_cmp_ne_u32_e64 s0, 2, v11
	s_delay_alu instid0(VALU_DEP_3) | instskip(NEXT) | instid1(VALU_DEP_2)
	v_cmp_ne_u32_e64 s14, 0, v20
	v_cndmask_b32_e64 v15, 1, v56, s0
	v_cmp_ne_u32_e64 s0, 3, v11
	s_delay_alu instid0(VALU_DEP_2) | instskip(NEXT) | instid1(VALU_DEP_2)
	v_cndmask_b32_e32 v15, v56, v15, vcc_lo
	v_cndmask_b32_e64 v16, 1, v55, s0
	v_cmp_ne_u32_e64 s0, 14, v11
	s_delay_alu instid0(VALU_DEP_2) | instskip(NEXT) | instid1(VALU_DEP_2)
	v_cndmask_b32_e32 v16, v55, v16, vcc_lo
	v_cndmask_b32_e64 v17, 1, v51, s0
	v_cmp_ne_u32_e64 s0, 4, v11
	s_delay_alu instid0(VALU_DEP_3) | instskip(NEXT) | instid1(VALU_DEP_3)
	v_cmp_ne_u32_e64 s11, 0, v16
	v_cndmask_b32_e32 v17, v51, v17, vcc_lo
	s_delay_alu instid0(VALU_DEP_3) | instskip(SKIP_1) | instid1(VALU_DEP_2)
	v_cndmask_b32_e64 v18, 1, v54, s0
	v_cmp_ne_u32_e64 s0, 5, v11
	v_dual_cndmask_b32 v21, v57, v13 :: v_dual_cndmask_b32 v18, v54, v18
	s_delay_alu instid0(VALU_DEP_2) | instskip(SKIP_1) | instid1(VALU_DEP_3)
	v_cndmask_b32_e64 v19, 1, v53, s0
	v_cmp_ne_u32_e64 s0, 6, v11
	v_cmp_ne_u32_e64 s13, 0, v21
	s_delay_alu instid0(VALU_DEP_4) | instskip(NEXT) | instid1(VALU_DEP_3)
	v_cmp_ne_u32_e64 s10, 0, v18
	v_cndmask_b32_e64 v10, 1, v52, s0
	v_cmp_ne_u32_e64 s0, 7, v11
	s_delay_alu instid0(VALU_DEP_2) | instskip(NEXT) | instid1(VALU_DEP_2)
	v_cndmask_b32_e32 v52, v52, v10, vcc_lo
	v_cndmask_b32_e64 v12, 1, v50, s0
	v_cmp_eq_u32_e64 s0, 0, v20
	v_cndmask_b32_e32 v19, v53, v19, vcc_lo
	s_delay_alu instid0(VALU_DEP_4) | instskip(NEXT) | instid1(VALU_DEP_3)
	v_cmp_ne_u32_e64 s8, 0, v52
	v_cndmask_b32_e64 v13, 1, 2, s0
	v_cmp_eq_u32_e64 s0, 0, v21
	s_delay_alu instid0(VALU_DEP_1) | instskip(SKIP_1) | instid1(VALU_DEP_2)
	v_cndmask_b32_e64 v22, 1, 2, s0
	v_cmp_ne_u32_e64 s0, 8, v11
	v_and_b32_e32 v13, v22, v13
	s_delay_alu instid0(VALU_DEP_2) | instskip(SKIP_1) | instid1(VALU_DEP_2)
	v_cndmask_b32_e64 v38, 1, v49, s0
	v_cmp_eq_u32_e64 s0, 0, v15
	v_cndmask_b32_e32 v38, v49, v38, vcc_lo
	s_delay_alu instid0(VALU_DEP_2) | instskip(SKIP_1) | instid1(VALU_DEP_3)
	v_cndmask_b32_e64 v22, 1, 2, s0
	v_cmp_ne_u32_e64 s0, 9, v11
	v_cmp_ne_u32_e64 s6, 0, v38
	s_delay_alu instid0(VALU_DEP_3) | instskip(NEXT) | instid1(VALU_DEP_3)
	v_and_b32_e32 v13, v13, v22
	v_cndmask_b32_e64 v43, 1, v48, s0
	v_cmp_ne_u32_e64 s0, 10, v11
	s_delay_alu instid0(VALU_DEP_2) | instskip(NEXT) | instid1(VALU_DEP_2)
	v_cndmask_b32_e32 v43, v48, v43, vcc_lo
	v_cndmask_b32_e64 v51, 1, v47, s0
	v_cmp_eq_u32_e64 s0, 0, v16
	s_delay_alu instid0(VALU_DEP_3) | instskip(NEXT) | instid1(VALU_DEP_3)
	v_cmp_ne_u32_e64 s5, 0, v43
	v_cndmask_b32_e32 v47, v47, v51, vcc_lo
	s_delay_alu instid0(VALU_DEP_3) | instskip(SKIP_1) | instid1(VALU_DEP_3)
	v_cndmask_b32_e64 v22, 1, 2, s0
	v_cmp_ne_u32_e64 s0, 11, v11
	v_cmp_ne_u32_e64 s4, 0, v47
	s_delay_alu instid0(VALU_DEP_3) | instskip(NEXT) | instid1(VALU_DEP_3)
	v_and_b32_e32 v13, v13, v22
	v_cndmask_b32_e64 v54, 1, v46, s0
	v_cmp_eq_u32_e64 s0, 0, v18
	s_delay_alu instid0(VALU_DEP_2) | instskip(NEXT) | instid1(VALU_DEP_2)
	v_cndmask_b32_e32 v46, v46, v54, vcc_lo
	v_cndmask_b32_e64 v22, 1, 2, s0
	v_cmp_ne_u32_e64 s0, 12, v11
	v_cmp_ne_u32_e64 s12, 0, v15
	s_delay_alu instid0(VALU_DEP_4) | instskip(NEXT) | instid1(VALU_DEP_4)
	v_cmp_ne_u32_e64 s3, 0, v46
	v_and_b32_e32 v13, v13, v22
	s_delay_alu instid0(VALU_DEP_4) | instskip(SKIP_1) | instid1(VALU_DEP_1)
	v_cndmask_b32_e64 v53, 1, v45, s0
	v_cmp_ne_u32_e64 s0, 13, v11
	v_cndmask_b32_e64 v11, 1, v44, s0
	v_cmp_eq_u32_e64 s0, 0, v19
	s_delay_alu instid0(VALU_DEP_2) | instskip(NEXT) | instid1(VALU_DEP_2)
	v_cndmask_b32_e32 v44, v44, v11, vcc_lo
	v_cndmask_b32_e64 v22, 1, 2, s0
	v_cmp_eq_u32_e64 s0, 0, v52
	s_delay_alu instid0(VALU_DEP_3) | instskip(NEXT) | instid1(VALU_DEP_3)
	v_cmp_ne_u32_e64 s1, 0, v44
	v_and_b32_e32 v10, v13, v22
	v_cndmask_b32_e32 v22, v50, v12, vcc_lo
	s_delay_alu instid0(VALU_DEP_4)
	v_cndmask_b32_e64 v11, 1, 2, s0
	v_cndmask_b32_e32 v45, v45, v53, vcc_lo
	v_cmp_ne_u32_e64 s9, 0, v19
	v_cmp_ne_u32_e64 s0, 0, v17
	v_cmp_eq_u32_e32 vcc_lo, 0, v22
	v_and_b32_e32 v10, v10, v11
	v_cmp_ne_u32_e64 s7, 0, v22
	v_cmp_ne_u32_e64 s2, 0, v45
	v_cndmask_b32_e64 v11, 1, 2, vcc_lo
	v_add_co_u32 v2, vcc_lo, s28, v2
	v_add_co_ci_u32_e32 v3, vcc_lo, s29, v3, vcc_lo
	v_cmp_eq_u32_e32 vcc_lo, 0, v38
	s_delay_alu instid0(VALU_DEP_4)
	v_and_b32_e32 v12, v10, v11
	v_cndmask_b32_e64 v13, 1, 2, vcc_lo
	v_add_co_u32 v10, vcc_lo, v2, v23
	v_add_co_ci_u32_e32 v11, vcc_lo, v3, v24, vcc_lo
	v_lshlrev_b32_e32 v2, 2, v14
	v_cmp_eq_u32_e32 vcc_lo, 0, v43
	v_and_b32_e32 v3, v12, v13
	v_cndmask_b32_e64 v12, 1, 2, vcc_lo
	s_delay_alu instid0(VALU_DEP_4) | instskip(SKIP_2) | instid1(VALU_DEP_4)
	v_add_co_u32 v2, vcc_lo, v2, v10
	v_add_co_ci_u32_e32 v13, vcc_lo, 0, v11, vcc_lo
	v_cmp_eq_u32_e32 vcc_lo, 0, v47
	v_and_b32_e32 v3, v3, v12
	v_cndmask_b32_e64 v23, 1, 2, vcc_lo
	v_add_co_u32 v12, vcc_lo, v2, -4
	v_add_co_ci_u32_e32 v13, vcc_lo, -1, v13, vcc_lo
	v_cmp_eq_u32_e32 vcc_lo, 0, v46
	v_add_nc_u32_e32 v2, v5, v14
	v_and_b32_e32 v3, v3, v23
	v_cndmask_b32_e64 v14, 1, 2, vcc_lo
	v_cmp_eq_u32_e32 vcc_lo, 0, v45
	s_delay_alu instid0(VALU_DEP_2) | instskip(SKIP_2) | instid1(VALU_DEP_2)
	v_and_b32_e32 v3, v3, v14
	v_cndmask_b32_e64 v14, 1, 2, vcc_lo
	v_cmp_eq_u32_e32 vcc_lo, 0, v44
	v_and_b32_e32 v3, v3, v14
	v_cndmask_b32_e64 v14, 1, 2, vcc_lo
	v_cmp_eq_u32_e32 vcc_lo, 0, v17
	s_delay_alu instid0(VALU_DEP_2) | instskip(SKIP_2) | instid1(VALU_DEP_2)
	v_and_b32_e32 v3, v3, v14
	v_cndmask_b32_e64 v14, 1, 2, vcc_lo
	v_cmp_gt_u32_e32 vcc_lo, 0x100, v9
	v_and_b32_e32 v3, v3, v14
	s_cbranch_vccz .LBB106_256
; %bb.240:
	s_mov_b32 s15, exec_lo
	s_delay_alu instid0(VALU_DEP_1)
	v_cmpx_gt_i16_e32 2, v3
	s_cbranch_execz .LBB106_294
; %bb.241:
	s_mov_b32 s17, 0
	s_mov_b32 s16, exec_lo
	v_cmpx_ne_u16_e32 1, v3
	s_xor_b32 s16, exec_lo, s16
	s_cbranch_execz .LBB106_273
; %bb.242:
	s_and_saveexec_b32 s17, s14
	s_cbranch_execz .LBB106_277
; %bb.243:
	v_sub_nc_u32_e32 v14, v4, v2
	v_mov_b32_e32 v15, 0
	s_delay_alu instid0(VALU_DEP_1) | instskip(NEXT) | instid1(VALU_DEP_1)
	v_lshlrev_b64 v[14:15], 2, v[14:15]
	v_add_co_u32 v14, vcc_lo, v12, v14
	s_delay_alu instid0(VALU_DEP_2)
	v_add_co_ci_u32_e32 v15, vcc_lo, v13, v15, vcc_lo
	global_store_b32 v[14:15], v71, off
	s_or_b32 exec_lo, exec_lo, s17
	s_and_saveexec_b32 s17, s13
	s_cbranch_execnz .LBB106_278
.LBB106_244:
	s_or_b32 exec_lo, exec_lo, s17
	s_and_saveexec_b32 s17, s12
	s_cbranch_execz .LBB106_279
.LBB106_245:
	v_sub_nc_u32_e32 v14, v34, v2
	v_mov_b32_e32 v15, 0
	s_delay_alu instid0(VALU_DEP_1) | instskip(NEXT) | instid1(VALU_DEP_1)
	v_lshlrev_b64 v[14:15], 2, v[14:15]
	v_add_co_u32 v14, vcc_lo, v12, v14
	s_delay_alu instid0(VALU_DEP_2)
	v_add_co_ci_u32_e32 v15, vcc_lo, v13, v15, vcc_lo
	global_store_b32 v[14:15], v69, off
	s_or_b32 exec_lo, exec_lo, s17
	s_and_saveexec_b32 s17, s11
	s_cbranch_execnz .LBB106_280
.LBB106_246:
	s_or_b32 exec_lo, exec_lo, s17
	s_and_saveexec_b32 s17, s10
	s_cbranch_execz .LBB106_281
.LBB106_247:
	v_sub_nc_u32_e32 v14, v35, v2
	v_mov_b32_e32 v15, 0
	s_delay_alu instid0(VALU_DEP_1) | instskip(NEXT) | instid1(VALU_DEP_1)
	v_lshlrev_b64 v[14:15], 2, v[14:15]
	v_add_co_u32 v14, vcc_lo, v12, v14
	s_delay_alu instid0(VALU_DEP_2)
	v_add_co_ci_u32_e32 v15, vcc_lo, v13, v15, vcc_lo
	global_store_b32 v[14:15], v67, off
	s_or_b32 exec_lo, exec_lo, s17
	s_and_saveexec_b32 s17, s9
	s_cbranch_execnz .LBB106_282
.LBB106_248:
	s_or_b32 exec_lo, exec_lo, s17
	s_and_saveexec_b32 s17, s8
	s_cbranch_execz .LBB106_283
.LBB106_249:
	v_sub_nc_u32_e32 v14, v32, v2
	v_mov_b32_e32 v15, 0
	s_delay_alu instid0(VALU_DEP_1) | instskip(NEXT) | instid1(VALU_DEP_1)
	v_lshlrev_b64 v[14:15], 2, v[14:15]
	v_add_co_u32 v14, vcc_lo, v12, v14
	s_delay_alu instid0(VALU_DEP_2)
	v_add_co_ci_u32_e32 v15, vcc_lo, v13, v15, vcc_lo
	global_store_b32 v[14:15], v65, off
	s_or_b32 exec_lo, exec_lo, s17
	s_and_saveexec_b32 s17, s7
	s_cbranch_execnz .LBB106_284
.LBB106_250:
	s_or_b32 exec_lo, exec_lo, s17
	s_and_saveexec_b32 s17, s6
	s_cbranch_execz .LBB106_285
.LBB106_251:
	v_sub_nc_u32_e32 v14, v30, v2
	v_mov_b32_e32 v15, 0
	s_delay_alu instid0(VALU_DEP_1) | instskip(NEXT) | instid1(VALU_DEP_1)
	v_lshlrev_b64 v[14:15], 2, v[14:15]
	v_add_co_u32 v14, vcc_lo, v12, v14
	s_delay_alu instid0(VALU_DEP_2)
	v_add_co_ci_u32_e32 v15, vcc_lo, v13, v15, vcc_lo
	global_store_b32 v[14:15], v63, off
	s_or_b32 exec_lo, exec_lo, s17
	s_and_saveexec_b32 s17, s5
	s_cbranch_execnz .LBB106_286
.LBB106_252:
	s_or_b32 exec_lo, exec_lo, s17
	s_and_saveexec_b32 s17, s4
	s_cbranch_execz .LBB106_287
.LBB106_253:
	v_sub_nc_u32_e32 v14, v28, v2
	v_mov_b32_e32 v15, 0
	s_delay_alu instid0(VALU_DEP_1) | instskip(NEXT) | instid1(VALU_DEP_1)
	v_lshlrev_b64 v[14:15], 2, v[14:15]
	v_add_co_u32 v14, vcc_lo, v12, v14
	s_delay_alu instid0(VALU_DEP_2)
	v_add_co_ci_u32_e32 v15, vcc_lo, v13, v15, vcc_lo
	global_store_b32 v[14:15], v60, off
	s_or_b32 exec_lo, exec_lo, s17
	s_and_saveexec_b32 s17, s3
	s_cbranch_execnz .LBB106_288
.LBB106_254:
	s_or_b32 exec_lo, exec_lo, s17
	s_and_saveexec_b32 s17, s2
	s_cbranch_execz .LBB106_289
.LBB106_255:
	v_sub_nc_u32_e32 v14, v26, v2
	v_mov_b32_e32 v15, 0
	s_delay_alu instid0(VALU_DEP_1) | instskip(NEXT) | instid1(VALU_DEP_1)
	v_lshlrev_b64 v[14:15], 2, v[14:15]
	v_add_co_u32 v14, vcc_lo, v12, v14
	s_delay_alu instid0(VALU_DEP_2)
	v_add_co_ci_u32_e32 v15, vcc_lo, v13, v15, vcc_lo
	global_store_b32 v[14:15], v42, off
	s_or_b32 exec_lo, exec_lo, s17
	s_and_saveexec_b32 s17, s1
	s_cbranch_execnz .LBB106_290
	s_branch .LBB106_291
.LBB106_256:
	s_and_b32 vcc_lo, exec_lo, s15
	s_cbranch_vccz .LBB106_295
; %bb.257:
	s_mov_b32 s15, exec_lo
	v_cmpx_gt_i16_e32 2, v3
	s_cbranch_execz .LBB106_313
; %bb.258:
	s_mov_b32 s17, 0
	s_mov_b32 s16, exec_lo
	v_cmpx_ne_u16_e32 1, v3
	s_xor_b32 s16, exec_lo, s16
	s_cbranch_execz .LBB106_275
; %bb.259:
	s_and_saveexec_b32 s17, s14
	s_cbranch_execz .LBB106_296
; %bb.260:
	v_sub_nc_u32_e32 v3, v4, v2
	s_delay_alu instid0(VALU_DEP_1)
	v_lshlrev_b32_e32 v3, 2, v3
	ds_store_b32 v3, v71
	s_or_b32 exec_lo, exec_lo, s17
	s_and_saveexec_b32 s14, s13
	s_cbranch_execnz .LBB106_297
.LBB106_261:
	s_or_b32 exec_lo, exec_lo, s14
	s_and_saveexec_b32 s13, s12
	s_cbranch_execz .LBB106_298
.LBB106_262:
	v_sub_nc_u32_e32 v3, v34, v2
	s_delay_alu instid0(VALU_DEP_1)
	v_lshlrev_b32_e32 v3, 2, v3
	ds_store_b32 v3, v69
	s_or_b32 exec_lo, exec_lo, s13
	s_and_saveexec_b32 s12, s11
	s_cbranch_execnz .LBB106_299
.LBB106_263:
	s_or_b32 exec_lo, exec_lo, s12
	s_and_saveexec_b32 s11, s10
	s_cbranch_execz .LBB106_300
.LBB106_264:
	v_sub_nc_u32_e32 v3, v35, v2
	s_delay_alu instid0(VALU_DEP_1)
	v_lshlrev_b32_e32 v3, 2, v3
	ds_store_b32 v3, v67
	s_or_b32 exec_lo, exec_lo, s11
	s_and_saveexec_b32 s10, s9
	s_cbranch_execnz .LBB106_301
.LBB106_265:
	s_or_b32 exec_lo, exec_lo, s10
	s_and_saveexec_b32 s9, s8
	s_cbranch_execz .LBB106_302
.LBB106_266:
	v_sub_nc_u32_e32 v3, v32, v2
	s_delay_alu instid0(VALU_DEP_1)
	v_lshlrev_b32_e32 v3, 2, v3
	ds_store_b32 v3, v65
	s_or_b32 exec_lo, exec_lo, s9
	s_and_saveexec_b32 s8, s7
	s_cbranch_execnz .LBB106_303
.LBB106_267:
	s_or_b32 exec_lo, exec_lo, s8
	s_and_saveexec_b32 s7, s6
	s_cbranch_execz .LBB106_304
.LBB106_268:
	v_sub_nc_u32_e32 v3, v30, v2
	s_delay_alu instid0(VALU_DEP_1)
	v_lshlrev_b32_e32 v3, 2, v3
	ds_store_b32 v3, v63
	s_or_b32 exec_lo, exec_lo, s7
	s_and_saveexec_b32 s6, s5
	s_cbranch_execnz .LBB106_305
.LBB106_269:
	s_or_b32 exec_lo, exec_lo, s6
	s_and_saveexec_b32 s5, s4
	s_cbranch_execz .LBB106_306
.LBB106_270:
	v_sub_nc_u32_e32 v3, v28, v2
	s_delay_alu instid0(VALU_DEP_1)
	v_lshlrev_b32_e32 v3, 2, v3
	ds_store_b32 v3, v60
	s_or_b32 exec_lo, exec_lo, s5
	s_and_saveexec_b32 s4, s3
	s_cbranch_execnz .LBB106_307
.LBB106_271:
	s_or_b32 exec_lo, exec_lo, s4
	s_and_saveexec_b32 s3, s2
	s_cbranch_execz .LBB106_308
.LBB106_272:
	v_sub_nc_u32_e32 v3, v26, v2
	s_delay_alu instid0(VALU_DEP_1)
	v_lshlrev_b32_e32 v3, 2, v3
	ds_store_b32 v3, v42
	s_or_b32 exec_lo, exec_lo, s3
	s_and_saveexec_b32 s2, s1
	s_cbranch_execnz .LBB106_309
	s_branch .LBB106_310
.LBB106_273:
	s_and_not1_saveexec_b32 s16, s16
	s_cbranch_execz .LBB106_292
.LBB106_274:
	v_sub_nc_u32_e32 v14, v4, v2
	v_mov_b32_e32 v15, 0
	s_or_b32 s17, s17, exec_lo
	s_delay_alu instid0(VALU_DEP_1) | instskip(SKIP_1) | instid1(VALU_DEP_1)
	v_lshlrev_b64 v[16:17], 2, v[14:15]
	v_sub_nc_u32_e32 v14, v36, v2
	v_lshlrev_b64 v[18:19], 2, v[14:15]
	v_sub_nc_u32_e32 v14, v34, v2
	s_delay_alu instid0(VALU_DEP_4) | instskip(SKIP_1) | instid1(VALU_DEP_3)
	v_add_co_u32 v16, vcc_lo, v12, v16
	v_add_co_ci_u32_e32 v17, vcc_lo, v13, v17, vcc_lo
	v_lshlrev_b64 v[20:21], 2, v[14:15]
	v_sub_nc_u32_e32 v14, v37, v2
	v_add_co_u32 v18, vcc_lo, v12, v18
	v_add_co_ci_u32_e32 v19, vcc_lo, v13, v19, vcc_lo
	global_store_b32 v[16:17], v71, off
	v_lshlrev_b64 v[16:17], 2, v[14:15]
	v_sub_nc_u32_e32 v14, v35, v2
	global_store_b32 v[18:19], v70, off
	v_add_co_u32 v18, vcc_lo, v12, v20
	v_add_co_ci_u32_e32 v19, vcc_lo, v13, v21, vcc_lo
	v_lshlrev_b64 v[20:21], 2, v[14:15]
	v_sub_nc_u32_e32 v14, v33, v2
	v_add_co_u32 v16, vcc_lo, v12, v16
	v_add_co_ci_u32_e32 v17, vcc_lo, v13, v17, vcc_lo
	s_delay_alu instid0(VALU_DEP_3) | instskip(SKIP_3) | instid1(VALU_DEP_3)
	v_lshlrev_b64 v[22:23], 2, v[14:15]
	v_sub_nc_u32_e32 v14, v32, v2
	v_add_co_u32 v20, vcc_lo, v12, v20
	v_add_co_ci_u32_e32 v21, vcc_lo, v13, v21, vcc_lo
	v_lshlrev_b64 v[43:44], 2, v[14:15]
	v_sub_nc_u32_e32 v14, v31, v2
	v_add_co_u32 v22, vcc_lo, v12, v22
	v_add_co_ci_u32_e32 v23, vcc_lo, v13, v23, vcc_lo
	s_clause 0x3
	global_store_b32 v[18:19], v69, off
	global_store_b32 v[16:17], v68, off
	;; [unrolled: 1-line block ×4, first 2 shown]
	v_lshlrev_b64 v[16:17], 2, v[14:15]
	v_sub_nc_u32_e32 v14, v30, v2
	v_add_co_u32 v18, vcc_lo, v12, v43
	v_add_co_ci_u32_e32 v19, vcc_lo, v13, v44, vcc_lo
	s_delay_alu instid0(VALU_DEP_3) | instskip(SKIP_3) | instid1(VALU_DEP_3)
	v_lshlrev_b64 v[20:21], 2, v[14:15]
	v_sub_nc_u32_e32 v14, v29, v2
	v_add_co_u32 v16, vcc_lo, v12, v16
	v_add_co_ci_u32_e32 v17, vcc_lo, v13, v17, vcc_lo
	v_lshlrev_b64 v[22:23], 2, v[14:15]
	v_sub_nc_u32_e32 v14, v28, v2
	v_add_co_u32 v20, vcc_lo, v12, v20
	v_add_co_ci_u32_e32 v21, vcc_lo, v13, v21, vcc_lo
	s_delay_alu instid0(VALU_DEP_3)
	v_lshlrev_b64 v[43:44], 2, v[14:15]
	v_sub_nc_u32_e32 v14, v27, v2
	v_add_co_u32 v22, vcc_lo, v12, v22
	v_add_co_ci_u32_e32 v23, vcc_lo, v13, v23, vcc_lo
	s_clause 0x3
	global_store_b32 v[18:19], v65, off
	global_store_b32 v[16:17], v64, off
	;; [unrolled: 1-line block ×4, first 2 shown]
	v_lshlrev_b64 v[16:17], 2, v[14:15]
	v_sub_nc_u32_e32 v14, v26, v2
	v_add_co_u32 v18, vcc_lo, v12, v43
	v_add_co_ci_u32_e32 v19, vcc_lo, v13, v44, vcc_lo
	s_delay_alu instid0(VALU_DEP_3) | instskip(SKIP_3) | instid1(VALU_DEP_3)
	v_lshlrev_b64 v[20:21], 2, v[14:15]
	v_sub_nc_u32_e32 v14, v25, v2
	v_add_co_u32 v16, vcc_lo, v12, v16
	v_add_co_ci_u32_e32 v17, vcc_lo, v13, v17, vcc_lo
	v_lshlrev_b64 v[14:15], 2, v[14:15]
	v_add_co_u32 v20, vcc_lo, v12, v20
	v_add_co_ci_u32_e32 v21, vcc_lo, v13, v21, vcc_lo
	s_clause 0x2
	global_store_b32 v[18:19], v60, off
	global_store_b32 v[16:17], v41, off
	;; [unrolled: 1-line block ×3, first 2 shown]
	v_add_co_u32 v14, vcc_lo, v12, v14
	v_add_co_ci_u32_e32 v15, vcc_lo, v13, v15, vcc_lo
	global_store_b32 v[14:15], v40, off
	s_or_b32 exec_lo, exec_lo, s16
	s_delay_alu instid0(SALU_CYCLE_1)
	s_and_b32 exec_lo, exec_lo, s17
	s_cbranch_execnz .LBB106_293
	s_branch .LBB106_294
.LBB106_275:
	s_and_not1_saveexec_b32 s0, s16
	s_cbranch_execz .LBB106_311
.LBB106_276:
	v_sub_nc_u32_e32 v3, v4, v2
	v_sub_nc_u32_e32 v4, v36, v2
	;; [unrolled: 1-line block ×5, first 2 shown]
	v_lshlrev_b32_e32 v3, 2, v3
	v_lshlrev_b32_e32 v4, 2, v4
	;; [unrolled: 1-line block ×4, first 2 shown]
	s_or_b32 s17, s17, exec_lo
	ds_store_b32 v3, v71
	ds_store_b32 v4, v70
	;; [unrolled: 1-line block ×3, first 2 shown]
	v_sub_nc_u32_e32 v3, v35, v2
	v_sub_nc_u32_e32 v4, v33, v2
	;; [unrolled: 1-line block ×3, first 2 shown]
	ds_store_b32 v15, v68
	v_sub_nc_u32_e32 v15, v31, v2
	v_lshlrev_b32_e32 v3, 2, v3
	v_lshlrev_b32_e32 v4, 2, v4
	;; [unrolled: 1-line block ×3, first 2 shown]
	s_delay_alu instid0(VALU_DEP_4)
	v_lshlrev_b32_e32 v15, 2, v15
	ds_store_b32 v3, v67
	v_lshlrev_b32_e32 v3, 2, v16
	ds_store_b32 v4, v66
	ds_store_b32 v14, v65
	;; [unrolled: 1-line block ×3, first 2 shown]
	v_sub_nc_u32_e32 v4, v29, v2
	v_sub_nc_u32_e32 v16, v25, v2
	;; [unrolled: 1-line block ×3, first 2 shown]
	ds_store_b32 v3, v63
	v_sub_nc_u32_e32 v3, v28, v2
	v_lshlrev_b32_e32 v4, 2, v4
	v_sub_nc_u32_e32 v15, v26, v2
	v_lshlrev_b32_e32 v14, 2, v14
	s_delay_alu instid0(VALU_DEP_4)
	v_lshlrev_b32_e32 v3, 2, v3
	ds_store_b32 v4, v61
	v_lshlrev_b32_e32 v4, 2, v16
	v_lshlrev_b32_e32 v15, 2, v15
	ds_store_b32 v3, v60
	ds_store_b32 v14, v41
	ds_store_b32 v15, v42
	ds_store_b32 v4, v40
	s_or_b32 exec_lo, exec_lo, s0
	s_delay_alu instid0(SALU_CYCLE_1)
	s_and_b32 exec_lo, exec_lo, s17
	s_cbranch_execnz .LBB106_312
	s_branch .LBB106_313
.LBB106_277:
	s_or_b32 exec_lo, exec_lo, s17
	s_and_saveexec_b32 s17, s13
	s_cbranch_execz .LBB106_244
.LBB106_278:
	v_sub_nc_u32_e32 v14, v36, v2
	v_mov_b32_e32 v15, 0
	s_delay_alu instid0(VALU_DEP_1) | instskip(NEXT) | instid1(VALU_DEP_1)
	v_lshlrev_b64 v[14:15], 2, v[14:15]
	v_add_co_u32 v14, vcc_lo, v12, v14
	s_delay_alu instid0(VALU_DEP_2)
	v_add_co_ci_u32_e32 v15, vcc_lo, v13, v15, vcc_lo
	global_store_b32 v[14:15], v70, off
	s_or_b32 exec_lo, exec_lo, s17
	s_and_saveexec_b32 s17, s12
	s_cbranch_execnz .LBB106_245
.LBB106_279:
	s_or_b32 exec_lo, exec_lo, s17
	s_and_saveexec_b32 s17, s11
	s_cbranch_execz .LBB106_246
.LBB106_280:
	v_sub_nc_u32_e32 v14, v37, v2
	v_mov_b32_e32 v15, 0
	s_delay_alu instid0(VALU_DEP_1) | instskip(NEXT) | instid1(VALU_DEP_1)
	v_lshlrev_b64 v[14:15], 2, v[14:15]
	v_add_co_u32 v14, vcc_lo, v12, v14
	s_delay_alu instid0(VALU_DEP_2)
	v_add_co_ci_u32_e32 v15, vcc_lo, v13, v15, vcc_lo
	global_store_b32 v[14:15], v68, off
	s_or_b32 exec_lo, exec_lo, s17
	s_and_saveexec_b32 s17, s10
	s_cbranch_execnz .LBB106_247
.LBB106_281:
	s_or_b32 exec_lo, exec_lo, s17
	s_and_saveexec_b32 s17, s9
	s_cbranch_execz .LBB106_248
.LBB106_282:
	v_sub_nc_u32_e32 v14, v33, v2
	v_mov_b32_e32 v15, 0
	s_delay_alu instid0(VALU_DEP_1) | instskip(NEXT) | instid1(VALU_DEP_1)
	v_lshlrev_b64 v[14:15], 2, v[14:15]
	v_add_co_u32 v14, vcc_lo, v12, v14
	s_delay_alu instid0(VALU_DEP_2)
	v_add_co_ci_u32_e32 v15, vcc_lo, v13, v15, vcc_lo
	global_store_b32 v[14:15], v66, off
	s_or_b32 exec_lo, exec_lo, s17
	s_and_saveexec_b32 s17, s8
	s_cbranch_execnz .LBB106_249
.LBB106_283:
	s_or_b32 exec_lo, exec_lo, s17
	s_and_saveexec_b32 s17, s7
	s_cbranch_execz .LBB106_250
.LBB106_284:
	v_sub_nc_u32_e32 v14, v31, v2
	v_mov_b32_e32 v15, 0
	s_delay_alu instid0(VALU_DEP_1) | instskip(NEXT) | instid1(VALU_DEP_1)
	v_lshlrev_b64 v[14:15], 2, v[14:15]
	v_add_co_u32 v14, vcc_lo, v12, v14
	s_delay_alu instid0(VALU_DEP_2)
	v_add_co_ci_u32_e32 v15, vcc_lo, v13, v15, vcc_lo
	global_store_b32 v[14:15], v64, off
	s_or_b32 exec_lo, exec_lo, s17
	s_and_saveexec_b32 s17, s6
	s_cbranch_execnz .LBB106_251
.LBB106_285:
	s_or_b32 exec_lo, exec_lo, s17
	s_and_saveexec_b32 s17, s5
	s_cbranch_execz .LBB106_252
.LBB106_286:
	v_sub_nc_u32_e32 v14, v29, v2
	v_mov_b32_e32 v15, 0
	s_delay_alu instid0(VALU_DEP_1) | instskip(NEXT) | instid1(VALU_DEP_1)
	v_lshlrev_b64 v[14:15], 2, v[14:15]
	v_add_co_u32 v14, vcc_lo, v12, v14
	s_delay_alu instid0(VALU_DEP_2)
	v_add_co_ci_u32_e32 v15, vcc_lo, v13, v15, vcc_lo
	global_store_b32 v[14:15], v61, off
	s_or_b32 exec_lo, exec_lo, s17
	s_and_saveexec_b32 s17, s4
	s_cbranch_execnz .LBB106_253
.LBB106_287:
	s_or_b32 exec_lo, exec_lo, s17
	s_and_saveexec_b32 s17, s3
	s_cbranch_execz .LBB106_254
.LBB106_288:
	v_sub_nc_u32_e32 v14, v27, v2
	v_mov_b32_e32 v15, 0
	s_delay_alu instid0(VALU_DEP_1) | instskip(NEXT) | instid1(VALU_DEP_1)
	v_lshlrev_b64 v[14:15], 2, v[14:15]
	v_add_co_u32 v14, vcc_lo, v12, v14
	s_delay_alu instid0(VALU_DEP_2)
	v_add_co_ci_u32_e32 v15, vcc_lo, v13, v15, vcc_lo
	global_store_b32 v[14:15], v41, off
	s_or_b32 exec_lo, exec_lo, s17
	s_and_saveexec_b32 s17, s2
	s_cbranch_execnz .LBB106_255
.LBB106_289:
	s_or_b32 exec_lo, exec_lo, s17
	s_and_saveexec_b32 s17, s1
	s_cbranch_execz .LBB106_291
.LBB106_290:
	v_sub_nc_u32_e32 v14, v25, v2
	v_mov_b32_e32 v15, 0
	s_delay_alu instid0(VALU_DEP_1) | instskip(NEXT) | instid1(VALU_DEP_1)
	v_lshlrev_b64 v[14:15], 2, v[14:15]
	v_add_co_u32 v14, vcc_lo, v12, v14
	s_delay_alu instid0(VALU_DEP_2)
	v_add_co_ci_u32_e32 v15, vcc_lo, v13, v15, vcc_lo
	global_store_b32 v[14:15], v40, off
.LBB106_291:
	s_or_b32 exec_lo, exec_lo, s17
	s_delay_alu instid0(SALU_CYCLE_1)
	s_and_b32 s17, s0, exec_lo
	s_and_not1_saveexec_b32 s16, s16
	s_cbranch_execnz .LBB106_274
.LBB106_292:
	s_or_b32 exec_lo, exec_lo, s16
	s_delay_alu instid0(SALU_CYCLE_1)
	s_and_b32 exec_lo, exec_lo, s17
	s_cbranch_execz .LBB106_294
.LBB106_293:
	v_sub_nc_u32_e32 v14, v6, v2
	v_mov_b32_e32 v15, 0
	s_delay_alu instid0(VALU_DEP_1) | instskip(NEXT) | instid1(VALU_DEP_1)
	v_lshlrev_b64 v[14:15], 2, v[14:15]
	v_add_co_u32 v14, vcc_lo, v12, v14
	s_delay_alu instid0(VALU_DEP_2)
	v_add_co_ci_u32_e32 v15, vcc_lo, v13, v15, vcc_lo
	global_store_b32 v[14:15], v62, off
.LBB106_294:
	s_or_b32 exec_lo, exec_lo, s15
.LBB106_295:
	v_cmp_eq_u32_e32 vcc_lo, 0xff, v0
	s_and_b32 s0, vcc_lo, s33
	s_delay_alu instid0(SALU_CYCLE_1)
	s_and_b32 exec_lo, exec_lo, s0
	s_cbranch_execnz .LBB106_317
	s_branch .LBB106_319
.LBB106_296:
	s_or_b32 exec_lo, exec_lo, s17
	s_and_saveexec_b32 s14, s13
	s_cbranch_execz .LBB106_261
.LBB106_297:
	v_sub_nc_u32_e32 v3, v36, v2
	s_delay_alu instid0(VALU_DEP_1)
	v_lshlrev_b32_e32 v3, 2, v3
	ds_store_b32 v3, v70
	s_or_b32 exec_lo, exec_lo, s14
	s_and_saveexec_b32 s13, s12
	s_cbranch_execnz .LBB106_262
.LBB106_298:
	s_or_b32 exec_lo, exec_lo, s13
	s_and_saveexec_b32 s12, s11
	s_cbranch_execz .LBB106_263
.LBB106_299:
	v_sub_nc_u32_e32 v3, v37, v2
	s_delay_alu instid0(VALU_DEP_1)
	v_lshlrev_b32_e32 v3, 2, v3
	ds_store_b32 v3, v68
	s_or_b32 exec_lo, exec_lo, s12
	s_and_saveexec_b32 s11, s10
	s_cbranch_execnz .LBB106_264
.LBB106_300:
	s_or_b32 exec_lo, exec_lo, s11
	s_and_saveexec_b32 s10, s9
	s_cbranch_execz .LBB106_265
.LBB106_301:
	v_sub_nc_u32_e32 v3, v33, v2
	s_delay_alu instid0(VALU_DEP_1)
	v_lshlrev_b32_e32 v3, 2, v3
	ds_store_b32 v3, v66
	s_or_b32 exec_lo, exec_lo, s10
	s_and_saveexec_b32 s9, s8
	s_cbranch_execnz .LBB106_266
.LBB106_302:
	s_or_b32 exec_lo, exec_lo, s9
	s_and_saveexec_b32 s8, s7
	s_cbranch_execz .LBB106_267
.LBB106_303:
	v_sub_nc_u32_e32 v3, v31, v2
	s_delay_alu instid0(VALU_DEP_1)
	v_lshlrev_b32_e32 v3, 2, v3
	ds_store_b32 v3, v64
	s_or_b32 exec_lo, exec_lo, s8
	s_and_saveexec_b32 s7, s6
	s_cbranch_execnz .LBB106_268
.LBB106_304:
	s_or_b32 exec_lo, exec_lo, s7
	s_and_saveexec_b32 s6, s5
	s_cbranch_execz .LBB106_269
.LBB106_305:
	v_sub_nc_u32_e32 v3, v29, v2
	s_delay_alu instid0(VALU_DEP_1)
	v_lshlrev_b32_e32 v3, 2, v3
	ds_store_b32 v3, v61
	s_or_b32 exec_lo, exec_lo, s6
	s_and_saveexec_b32 s5, s4
	s_cbranch_execnz .LBB106_270
.LBB106_306:
	s_or_b32 exec_lo, exec_lo, s5
	s_and_saveexec_b32 s4, s3
	s_cbranch_execz .LBB106_271
.LBB106_307:
	v_sub_nc_u32_e32 v3, v27, v2
	s_delay_alu instid0(VALU_DEP_1)
	v_lshlrev_b32_e32 v3, 2, v3
	ds_store_b32 v3, v41
	s_or_b32 exec_lo, exec_lo, s4
	s_and_saveexec_b32 s3, s2
	s_cbranch_execnz .LBB106_272
.LBB106_308:
	s_or_b32 exec_lo, exec_lo, s3
	s_and_saveexec_b32 s2, s1
	s_cbranch_execz .LBB106_310
.LBB106_309:
	v_sub_nc_u32_e32 v3, v25, v2
	s_delay_alu instid0(VALU_DEP_1)
	v_lshlrev_b32_e32 v3, 2, v3
	ds_store_b32 v3, v40
.LBB106_310:
	s_or_b32 exec_lo, exec_lo, s2
	s_delay_alu instid0(SALU_CYCLE_1)
	s_and_b32 s17, s0, exec_lo
                                        ; implicit-def: $vgpr40
                                        ; implicit-def: $vgpr42
                                        ; implicit-def: $vgpr41
                                        ; implicit-def: $vgpr60
                                        ; implicit-def: $vgpr61
                                        ; implicit-def: $vgpr63
                                        ; implicit-def: $vgpr64
                                        ; implicit-def: $vgpr65
                                        ; implicit-def: $vgpr66
                                        ; implicit-def: $vgpr67
                                        ; implicit-def: $vgpr68
                                        ; implicit-def: $vgpr69
                                        ; implicit-def: $vgpr70
                                        ; implicit-def: $vgpr71
                                        ; implicit-def: $vgpr36
                                        ; implicit-def: $vgpr34
                                        ; implicit-def: $vgpr37
                                        ; implicit-def: $vgpr35
                                        ; implicit-def: $vgpr33
                                        ; implicit-def: $vgpr32
                                        ; implicit-def: $vgpr31
                                        ; implicit-def: $vgpr30
                                        ; implicit-def: $vgpr29
                                        ; implicit-def: $vgpr28
                                        ; implicit-def: $vgpr27
                                        ; implicit-def: $vgpr26
                                        ; implicit-def: $vgpr25
	s_and_not1_saveexec_b32 s0, s16
	s_cbranch_execnz .LBB106_276
.LBB106_311:
	s_or_b32 exec_lo, exec_lo, s0
	s_delay_alu instid0(SALU_CYCLE_1)
	s_and_b32 exec_lo, exec_lo, s17
	s_cbranch_execz .LBB106_313
.LBB106_312:
	v_sub_nc_u32_e32 v2, v6, v2
	s_delay_alu instid0(VALU_DEP_1)
	v_lshlrev_b32_e32 v2, 2, v2
	ds_store_b32 v2, v62
.LBB106_313:
	s_or_b32 exec_lo, exec_lo, s15
	s_delay_alu instid0(SALU_CYCLE_1)
	s_mov_b32 s1, exec_lo
	s_waitcnt lgkmcnt(0)
	s_waitcnt_vscnt null, 0x0
	s_barrier
	buffer_gl0_inv
	v_cmpx_lt_u32_e64 v0, v9
	s_cbranch_execz .LBB106_316
; %bb.314:
	v_dual_mov_b32 v3, 0 :: v_dual_lshlrev_b32 v4, 2, v0
	v_mov_b32_e32 v2, v0
	s_mov_b32 s2, 0
	.p2align	6
.LBB106_315:                            ; =>This Inner Loop Header: Depth=1
	ds_load_b32 v6, v4
	v_lshlrev_b64 v[14:15], 2, v[2:3]
	v_add_nc_u32_e32 v2, 0x100, v2
	v_add_nc_u32_e32 v4, 0x400, v4
	s_delay_alu instid0(VALU_DEP_2) | instskip(NEXT) | instid1(VALU_DEP_4)
	v_cmp_ge_u32_e32 vcc_lo, v2, v9
	v_add_co_u32 v14, s0, v12, v14
	s_delay_alu instid0(VALU_DEP_1)
	v_add_co_ci_u32_e64 v15, s0, v13, v15, s0
	s_or_b32 s2, vcc_lo, s2
	s_waitcnt lgkmcnt(0)
	global_store_b32 v[14:15], v6, off
	s_and_not1_b32 exec_lo, exec_lo, s2
	s_cbranch_execnz .LBB106_315
.LBB106_316:
	s_or_b32 exec_lo, exec_lo, s1
	v_cmp_eq_u32_e32 vcc_lo, 0xff, v0
	s_and_b32 s0, vcc_lo, s33
	s_delay_alu instid0(SALU_CYCLE_1)
	s_and_b32 exec_lo, exec_lo, s0
	s_cbranch_execz .LBB106_319
.LBB106_317:
	v_add_co_u32 v0, s0, v1, v5
	s_delay_alu instid0(VALU_DEP_1) | instskip(SKIP_1) | instid1(VALU_DEP_3)
	v_add_co_ci_u32_e64 v4, null, 0, 0, s0
	v_mov_b32_e32 v2, 0
	v_add_co_u32 v3, vcc_lo, v0, v7
	s_delay_alu instid0(VALU_DEP_3)
	v_add_co_ci_u32_e32 v4, vcc_lo, v4, v8, vcc_lo
	s_cmpk_lg_i32 s40, 0xf00
	global_store_b64 v2, v[3:4], s[30:31]
	s_cbranch_scc1 .LBB106_319
; %bb.318:
	v_lshlrev_b64 v[0:1], 2, v[1:2]
	s_delay_alu instid0(VALU_DEP_1) | instskip(NEXT) | instid1(VALU_DEP_2)
	v_add_co_u32 v0, vcc_lo, v10, v0
	v_add_co_ci_u32_e32 v1, vcc_lo, v11, v1, vcc_lo
	global_store_b32 v[0:1], v39, off offset:-4
	s_nop 0
	s_sendmsg sendmsg(MSG_DEALLOC_VGPRS)
	s_endpgm
.LBB106_319:
	s_endpgm
.LBB106_320:
	s_trap 2
	s_sendmsg_rtn_b32 s0, sendmsg(MSG_RTN_GET_DOORBELL)
	s_mov_b32 ttmp2, m0
	s_waitcnt lgkmcnt(0)
	s_and_b32 s0, s0, 0x3ff
	s_delay_alu instid0(SALU_CYCLE_1) | instskip(NEXT) | instid1(SALU_CYCLE_1)
	s_bitset1_b32 s0, 10
	s_mov_b32 m0, s0
	s_sendmsg sendmsg(MSG_INTERRUPT)
	s_mov_b32 m0, ttmp2
.LBB106_321:                            ; =>This Inner Loop Header: Depth=1
	s_sethalt 5
	s_branch .LBB106_321
	.section	.rodata,"a",@progbits
	.p2align	6, 0x0
	.amdhsa_kernel _ZN7rocprim17ROCPRIM_400000_NS6detail17trampoline_kernelINS0_14default_configENS1_29reduce_by_key_config_selectorIffN6thrust23THRUST_200600_302600_NS4plusIfEEEEZZNS1_33reduce_by_key_impl_wrapped_configILNS1_25lookback_scan_determinismE1ES3_S9_NS6_6detail15normal_iteratorINS6_10device_ptrIfEEEESG_SG_SG_PmS8_NS6_8equal_toIfEEEE10hipError_tPvRmT2_T3_mT4_T5_T6_T7_T8_P12ihipStream_tbENKUlT_T0_E_clISt17integral_constantIbLb1EES11_EEDaSW_SX_EUlSW_E_NS1_11comp_targetILNS1_3genE9ELNS1_11target_archE1100ELNS1_3gpuE3ELNS1_3repE0EEENS1_30default_config_static_selectorELNS0_4arch9wavefront6targetE0EEEvT1_
		.amdhsa_group_segment_fixed_size 15360
		.amdhsa_private_segment_fixed_size 48
		.amdhsa_kernarg_size 120
		.amdhsa_user_sgpr_count 15
		.amdhsa_user_sgpr_dispatch_ptr 0
		.amdhsa_user_sgpr_queue_ptr 0
		.amdhsa_user_sgpr_kernarg_segment_ptr 1
		.amdhsa_user_sgpr_dispatch_id 0
		.amdhsa_user_sgpr_private_segment_size 0
		.amdhsa_wavefront_size32 1
		.amdhsa_uses_dynamic_stack 0
		.amdhsa_enable_private_segment 1
		.amdhsa_system_sgpr_workgroup_id_x 1
		.amdhsa_system_sgpr_workgroup_id_y 0
		.amdhsa_system_sgpr_workgroup_id_z 0
		.amdhsa_system_sgpr_workgroup_info 0
		.amdhsa_system_vgpr_workitem_id 0
		.amdhsa_next_free_vgpr 85
		.amdhsa_next_free_sgpr 49
		.amdhsa_reserve_vcc 1
		.amdhsa_float_round_mode_32 0
		.amdhsa_float_round_mode_16_64 0
		.amdhsa_float_denorm_mode_32 3
		.amdhsa_float_denorm_mode_16_64 3
		.amdhsa_dx10_clamp 1
		.amdhsa_ieee_mode 1
		.amdhsa_fp16_overflow 0
		.amdhsa_workgroup_processor_mode 1
		.amdhsa_memory_ordered 1
		.amdhsa_forward_progress 0
		.amdhsa_shared_vgpr_count 0
		.amdhsa_exception_fp_ieee_invalid_op 0
		.amdhsa_exception_fp_denorm_src 0
		.amdhsa_exception_fp_ieee_div_zero 0
		.amdhsa_exception_fp_ieee_overflow 0
		.amdhsa_exception_fp_ieee_underflow 0
		.amdhsa_exception_fp_ieee_inexact 0
		.amdhsa_exception_int_div_zero 0
	.end_amdhsa_kernel
	.section	.text._ZN7rocprim17ROCPRIM_400000_NS6detail17trampoline_kernelINS0_14default_configENS1_29reduce_by_key_config_selectorIffN6thrust23THRUST_200600_302600_NS4plusIfEEEEZZNS1_33reduce_by_key_impl_wrapped_configILNS1_25lookback_scan_determinismE1ES3_S9_NS6_6detail15normal_iteratorINS6_10device_ptrIfEEEESG_SG_SG_PmS8_NS6_8equal_toIfEEEE10hipError_tPvRmT2_T3_mT4_T5_T6_T7_T8_P12ihipStream_tbENKUlT_T0_E_clISt17integral_constantIbLb1EES11_EEDaSW_SX_EUlSW_E_NS1_11comp_targetILNS1_3genE9ELNS1_11target_archE1100ELNS1_3gpuE3ELNS1_3repE0EEENS1_30default_config_static_selectorELNS0_4arch9wavefront6targetE0EEEvT1_,"axG",@progbits,_ZN7rocprim17ROCPRIM_400000_NS6detail17trampoline_kernelINS0_14default_configENS1_29reduce_by_key_config_selectorIffN6thrust23THRUST_200600_302600_NS4plusIfEEEEZZNS1_33reduce_by_key_impl_wrapped_configILNS1_25lookback_scan_determinismE1ES3_S9_NS6_6detail15normal_iteratorINS6_10device_ptrIfEEEESG_SG_SG_PmS8_NS6_8equal_toIfEEEE10hipError_tPvRmT2_T3_mT4_T5_T6_T7_T8_P12ihipStream_tbENKUlT_T0_E_clISt17integral_constantIbLb1EES11_EEDaSW_SX_EUlSW_E_NS1_11comp_targetILNS1_3genE9ELNS1_11target_archE1100ELNS1_3gpuE3ELNS1_3repE0EEENS1_30default_config_static_selectorELNS0_4arch9wavefront6targetE0EEEvT1_,comdat
.Lfunc_end106:
	.size	_ZN7rocprim17ROCPRIM_400000_NS6detail17trampoline_kernelINS0_14default_configENS1_29reduce_by_key_config_selectorIffN6thrust23THRUST_200600_302600_NS4plusIfEEEEZZNS1_33reduce_by_key_impl_wrapped_configILNS1_25lookback_scan_determinismE1ES3_S9_NS6_6detail15normal_iteratorINS6_10device_ptrIfEEEESG_SG_SG_PmS8_NS6_8equal_toIfEEEE10hipError_tPvRmT2_T3_mT4_T5_T6_T7_T8_P12ihipStream_tbENKUlT_T0_E_clISt17integral_constantIbLb1EES11_EEDaSW_SX_EUlSW_E_NS1_11comp_targetILNS1_3genE9ELNS1_11target_archE1100ELNS1_3gpuE3ELNS1_3repE0EEENS1_30default_config_static_selectorELNS0_4arch9wavefront6targetE0EEEvT1_, .Lfunc_end106-_ZN7rocprim17ROCPRIM_400000_NS6detail17trampoline_kernelINS0_14default_configENS1_29reduce_by_key_config_selectorIffN6thrust23THRUST_200600_302600_NS4plusIfEEEEZZNS1_33reduce_by_key_impl_wrapped_configILNS1_25lookback_scan_determinismE1ES3_S9_NS6_6detail15normal_iteratorINS6_10device_ptrIfEEEESG_SG_SG_PmS8_NS6_8equal_toIfEEEE10hipError_tPvRmT2_T3_mT4_T5_T6_T7_T8_P12ihipStream_tbENKUlT_T0_E_clISt17integral_constantIbLb1EES11_EEDaSW_SX_EUlSW_E_NS1_11comp_targetILNS1_3genE9ELNS1_11target_archE1100ELNS1_3gpuE3ELNS1_3repE0EEENS1_30default_config_static_selectorELNS0_4arch9wavefront6targetE0EEEvT1_
                                        ; -- End function
	.section	.AMDGPU.csdata,"",@progbits
; Kernel info:
; codeLenInByte = 19168
; NumSgprs: 51
; NumVgprs: 85
; ScratchSize: 48
; MemoryBound: 0
; FloatMode: 240
; IeeeMode: 1
; LDSByteSize: 15360 bytes/workgroup (compile time only)
; SGPRBlocks: 6
; VGPRBlocks: 10
; NumSGPRsForWavesPerEU: 51
; NumVGPRsForWavesPerEU: 85
; Occupancy: 16
; WaveLimiterHint : 1
; COMPUTE_PGM_RSRC2:SCRATCH_EN: 1
; COMPUTE_PGM_RSRC2:USER_SGPR: 15
; COMPUTE_PGM_RSRC2:TRAP_HANDLER: 0
; COMPUTE_PGM_RSRC2:TGID_X_EN: 1
; COMPUTE_PGM_RSRC2:TGID_Y_EN: 0
; COMPUTE_PGM_RSRC2:TGID_Z_EN: 0
; COMPUTE_PGM_RSRC2:TIDIG_COMP_CNT: 0
	.section	.text._ZN7rocprim17ROCPRIM_400000_NS6detail17trampoline_kernelINS0_14default_configENS1_29reduce_by_key_config_selectorIffN6thrust23THRUST_200600_302600_NS4plusIfEEEEZZNS1_33reduce_by_key_impl_wrapped_configILNS1_25lookback_scan_determinismE1ES3_S9_NS6_6detail15normal_iteratorINS6_10device_ptrIfEEEESG_SG_SG_PmS8_NS6_8equal_toIfEEEE10hipError_tPvRmT2_T3_mT4_T5_T6_T7_T8_P12ihipStream_tbENKUlT_T0_E_clISt17integral_constantIbLb1EES11_EEDaSW_SX_EUlSW_E_NS1_11comp_targetILNS1_3genE8ELNS1_11target_archE1030ELNS1_3gpuE2ELNS1_3repE0EEENS1_30default_config_static_selectorELNS0_4arch9wavefront6targetE0EEEvT1_,"axG",@progbits,_ZN7rocprim17ROCPRIM_400000_NS6detail17trampoline_kernelINS0_14default_configENS1_29reduce_by_key_config_selectorIffN6thrust23THRUST_200600_302600_NS4plusIfEEEEZZNS1_33reduce_by_key_impl_wrapped_configILNS1_25lookback_scan_determinismE1ES3_S9_NS6_6detail15normal_iteratorINS6_10device_ptrIfEEEESG_SG_SG_PmS8_NS6_8equal_toIfEEEE10hipError_tPvRmT2_T3_mT4_T5_T6_T7_T8_P12ihipStream_tbENKUlT_T0_E_clISt17integral_constantIbLb1EES11_EEDaSW_SX_EUlSW_E_NS1_11comp_targetILNS1_3genE8ELNS1_11target_archE1030ELNS1_3gpuE2ELNS1_3repE0EEENS1_30default_config_static_selectorELNS0_4arch9wavefront6targetE0EEEvT1_,comdat
	.protected	_ZN7rocprim17ROCPRIM_400000_NS6detail17trampoline_kernelINS0_14default_configENS1_29reduce_by_key_config_selectorIffN6thrust23THRUST_200600_302600_NS4plusIfEEEEZZNS1_33reduce_by_key_impl_wrapped_configILNS1_25lookback_scan_determinismE1ES3_S9_NS6_6detail15normal_iteratorINS6_10device_ptrIfEEEESG_SG_SG_PmS8_NS6_8equal_toIfEEEE10hipError_tPvRmT2_T3_mT4_T5_T6_T7_T8_P12ihipStream_tbENKUlT_T0_E_clISt17integral_constantIbLb1EES11_EEDaSW_SX_EUlSW_E_NS1_11comp_targetILNS1_3genE8ELNS1_11target_archE1030ELNS1_3gpuE2ELNS1_3repE0EEENS1_30default_config_static_selectorELNS0_4arch9wavefront6targetE0EEEvT1_ ; -- Begin function _ZN7rocprim17ROCPRIM_400000_NS6detail17trampoline_kernelINS0_14default_configENS1_29reduce_by_key_config_selectorIffN6thrust23THRUST_200600_302600_NS4plusIfEEEEZZNS1_33reduce_by_key_impl_wrapped_configILNS1_25lookback_scan_determinismE1ES3_S9_NS6_6detail15normal_iteratorINS6_10device_ptrIfEEEESG_SG_SG_PmS8_NS6_8equal_toIfEEEE10hipError_tPvRmT2_T3_mT4_T5_T6_T7_T8_P12ihipStream_tbENKUlT_T0_E_clISt17integral_constantIbLb1EES11_EEDaSW_SX_EUlSW_E_NS1_11comp_targetILNS1_3genE8ELNS1_11target_archE1030ELNS1_3gpuE2ELNS1_3repE0EEENS1_30default_config_static_selectorELNS0_4arch9wavefront6targetE0EEEvT1_
	.globl	_ZN7rocprim17ROCPRIM_400000_NS6detail17trampoline_kernelINS0_14default_configENS1_29reduce_by_key_config_selectorIffN6thrust23THRUST_200600_302600_NS4plusIfEEEEZZNS1_33reduce_by_key_impl_wrapped_configILNS1_25lookback_scan_determinismE1ES3_S9_NS6_6detail15normal_iteratorINS6_10device_ptrIfEEEESG_SG_SG_PmS8_NS6_8equal_toIfEEEE10hipError_tPvRmT2_T3_mT4_T5_T6_T7_T8_P12ihipStream_tbENKUlT_T0_E_clISt17integral_constantIbLb1EES11_EEDaSW_SX_EUlSW_E_NS1_11comp_targetILNS1_3genE8ELNS1_11target_archE1030ELNS1_3gpuE2ELNS1_3repE0EEENS1_30default_config_static_selectorELNS0_4arch9wavefront6targetE0EEEvT1_
	.p2align	8
	.type	_ZN7rocprim17ROCPRIM_400000_NS6detail17trampoline_kernelINS0_14default_configENS1_29reduce_by_key_config_selectorIffN6thrust23THRUST_200600_302600_NS4plusIfEEEEZZNS1_33reduce_by_key_impl_wrapped_configILNS1_25lookback_scan_determinismE1ES3_S9_NS6_6detail15normal_iteratorINS6_10device_ptrIfEEEESG_SG_SG_PmS8_NS6_8equal_toIfEEEE10hipError_tPvRmT2_T3_mT4_T5_T6_T7_T8_P12ihipStream_tbENKUlT_T0_E_clISt17integral_constantIbLb1EES11_EEDaSW_SX_EUlSW_E_NS1_11comp_targetILNS1_3genE8ELNS1_11target_archE1030ELNS1_3gpuE2ELNS1_3repE0EEENS1_30default_config_static_selectorELNS0_4arch9wavefront6targetE0EEEvT1_,@function
_ZN7rocprim17ROCPRIM_400000_NS6detail17trampoline_kernelINS0_14default_configENS1_29reduce_by_key_config_selectorIffN6thrust23THRUST_200600_302600_NS4plusIfEEEEZZNS1_33reduce_by_key_impl_wrapped_configILNS1_25lookback_scan_determinismE1ES3_S9_NS6_6detail15normal_iteratorINS6_10device_ptrIfEEEESG_SG_SG_PmS8_NS6_8equal_toIfEEEE10hipError_tPvRmT2_T3_mT4_T5_T6_T7_T8_P12ihipStream_tbENKUlT_T0_E_clISt17integral_constantIbLb1EES11_EEDaSW_SX_EUlSW_E_NS1_11comp_targetILNS1_3genE8ELNS1_11target_archE1030ELNS1_3gpuE2ELNS1_3repE0EEENS1_30default_config_static_selectorELNS0_4arch9wavefront6targetE0EEEvT1_: ; @_ZN7rocprim17ROCPRIM_400000_NS6detail17trampoline_kernelINS0_14default_configENS1_29reduce_by_key_config_selectorIffN6thrust23THRUST_200600_302600_NS4plusIfEEEEZZNS1_33reduce_by_key_impl_wrapped_configILNS1_25lookback_scan_determinismE1ES3_S9_NS6_6detail15normal_iteratorINS6_10device_ptrIfEEEESG_SG_SG_PmS8_NS6_8equal_toIfEEEE10hipError_tPvRmT2_T3_mT4_T5_T6_T7_T8_P12ihipStream_tbENKUlT_T0_E_clISt17integral_constantIbLb1EES11_EEDaSW_SX_EUlSW_E_NS1_11comp_targetILNS1_3genE8ELNS1_11target_archE1030ELNS1_3gpuE2ELNS1_3repE0EEENS1_30default_config_static_selectorELNS0_4arch9wavefront6targetE0EEEvT1_
; %bb.0:
	.section	.rodata,"a",@progbits
	.p2align	6, 0x0
	.amdhsa_kernel _ZN7rocprim17ROCPRIM_400000_NS6detail17trampoline_kernelINS0_14default_configENS1_29reduce_by_key_config_selectorIffN6thrust23THRUST_200600_302600_NS4plusIfEEEEZZNS1_33reduce_by_key_impl_wrapped_configILNS1_25lookback_scan_determinismE1ES3_S9_NS6_6detail15normal_iteratorINS6_10device_ptrIfEEEESG_SG_SG_PmS8_NS6_8equal_toIfEEEE10hipError_tPvRmT2_T3_mT4_T5_T6_T7_T8_P12ihipStream_tbENKUlT_T0_E_clISt17integral_constantIbLb1EES11_EEDaSW_SX_EUlSW_E_NS1_11comp_targetILNS1_3genE8ELNS1_11target_archE1030ELNS1_3gpuE2ELNS1_3repE0EEENS1_30default_config_static_selectorELNS0_4arch9wavefront6targetE0EEEvT1_
		.amdhsa_group_segment_fixed_size 0
		.amdhsa_private_segment_fixed_size 0
		.amdhsa_kernarg_size 120
		.amdhsa_user_sgpr_count 15
		.amdhsa_user_sgpr_dispatch_ptr 0
		.amdhsa_user_sgpr_queue_ptr 0
		.amdhsa_user_sgpr_kernarg_segment_ptr 1
		.amdhsa_user_sgpr_dispatch_id 0
		.amdhsa_user_sgpr_private_segment_size 0
		.amdhsa_wavefront_size32 1
		.amdhsa_uses_dynamic_stack 0
		.amdhsa_enable_private_segment 0
		.amdhsa_system_sgpr_workgroup_id_x 1
		.amdhsa_system_sgpr_workgroup_id_y 0
		.amdhsa_system_sgpr_workgroup_id_z 0
		.amdhsa_system_sgpr_workgroup_info 0
		.amdhsa_system_vgpr_workitem_id 0
		.amdhsa_next_free_vgpr 1
		.amdhsa_next_free_sgpr 1
		.amdhsa_reserve_vcc 0
		.amdhsa_float_round_mode_32 0
		.amdhsa_float_round_mode_16_64 0
		.amdhsa_float_denorm_mode_32 3
		.amdhsa_float_denorm_mode_16_64 3
		.amdhsa_dx10_clamp 1
		.amdhsa_ieee_mode 1
		.amdhsa_fp16_overflow 0
		.amdhsa_workgroup_processor_mode 1
		.amdhsa_memory_ordered 1
		.amdhsa_forward_progress 0
		.amdhsa_shared_vgpr_count 0
		.amdhsa_exception_fp_ieee_invalid_op 0
		.amdhsa_exception_fp_denorm_src 0
		.amdhsa_exception_fp_ieee_div_zero 0
		.amdhsa_exception_fp_ieee_overflow 0
		.amdhsa_exception_fp_ieee_underflow 0
		.amdhsa_exception_fp_ieee_inexact 0
		.amdhsa_exception_int_div_zero 0
	.end_amdhsa_kernel
	.section	.text._ZN7rocprim17ROCPRIM_400000_NS6detail17trampoline_kernelINS0_14default_configENS1_29reduce_by_key_config_selectorIffN6thrust23THRUST_200600_302600_NS4plusIfEEEEZZNS1_33reduce_by_key_impl_wrapped_configILNS1_25lookback_scan_determinismE1ES3_S9_NS6_6detail15normal_iteratorINS6_10device_ptrIfEEEESG_SG_SG_PmS8_NS6_8equal_toIfEEEE10hipError_tPvRmT2_T3_mT4_T5_T6_T7_T8_P12ihipStream_tbENKUlT_T0_E_clISt17integral_constantIbLb1EES11_EEDaSW_SX_EUlSW_E_NS1_11comp_targetILNS1_3genE8ELNS1_11target_archE1030ELNS1_3gpuE2ELNS1_3repE0EEENS1_30default_config_static_selectorELNS0_4arch9wavefront6targetE0EEEvT1_,"axG",@progbits,_ZN7rocprim17ROCPRIM_400000_NS6detail17trampoline_kernelINS0_14default_configENS1_29reduce_by_key_config_selectorIffN6thrust23THRUST_200600_302600_NS4plusIfEEEEZZNS1_33reduce_by_key_impl_wrapped_configILNS1_25lookback_scan_determinismE1ES3_S9_NS6_6detail15normal_iteratorINS6_10device_ptrIfEEEESG_SG_SG_PmS8_NS6_8equal_toIfEEEE10hipError_tPvRmT2_T3_mT4_T5_T6_T7_T8_P12ihipStream_tbENKUlT_T0_E_clISt17integral_constantIbLb1EES11_EEDaSW_SX_EUlSW_E_NS1_11comp_targetILNS1_3genE8ELNS1_11target_archE1030ELNS1_3gpuE2ELNS1_3repE0EEENS1_30default_config_static_selectorELNS0_4arch9wavefront6targetE0EEEvT1_,comdat
.Lfunc_end107:
	.size	_ZN7rocprim17ROCPRIM_400000_NS6detail17trampoline_kernelINS0_14default_configENS1_29reduce_by_key_config_selectorIffN6thrust23THRUST_200600_302600_NS4plusIfEEEEZZNS1_33reduce_by_key_impl_wrapped_configILNS1_25lookback_scan_determinismE1ES3_S9_NS6_6detail15normal_iteratorINS6_10device_ptrIfEEEESG_SG_SG_PmS8_NS6_8equal_toIfEEEE10hipError_tPvRmT2_T3_mT4_T5_T6_T7_T8_P12ihipStream_tbENKUlT_T0_E_clISt17integral_constantIbLb1EES11_EEDaSW_SX_EUlSW_E_NS1_11comp_targetILNS1_3genE8ELNS1_11target_archE1030ELNS1_3gpuE2ELNS1_3repE0EEENS1_30default_config_static_selectorELNS0_4arch9wavefront6targetE0EEEvT1_, .Lfunc_end107-_ZN7rocprim17ROCPRIM_400000_NS6detail17trampoline_kernelINS0_14default_configENS1_29reduce_by_key_config_selectorIffN6thrust23THRUST_200600_302600_NS4plusIfEEEEZZNS1_33reduce_by_key_impl_wrapped_configILNS1_25lookback_scan_determinismE1ES3_S9_NS6_6detail15normal_iteratorINS6_10device_ptrIfEEEESG_SG_SG_PmS8_NS6_8equal_toIfEEEE10hipError_tPvRmT2_T3_mT4_T5_T6_T7_T8_P12ihipStream_tbENKUlT_T0_E_clISt17integral_constantIbLb1EES11_EEDaSW_SX_EUlSW_E_NS1_11comp_targetILNS1_3genE8ELNS1_11target_archE1030ELNS1_3gpuE2ELNS1_3repE0EEENS1_30default_config_static_selectorELNS0_4arch9wavefront6targetE0EEEvT1_
                                        ; -- End function
	.section	.AMDGPU.csdata,"",@progbits
; Kernel info:
; codeLenInByte = 0
; NumSgprs: 0
; NumVgprs: 0
; ScratchSize: 0
; MemoryBound: 0
; FloatMode: 240
; IeeeMode: 1
; LDSByteSize: 0 bytes/workgroup (compile time only)
; SGPRBlocks: 0
; VGPRBlocks: 0
; NumSGPRsForWavesPerEU: 1
; NumVGPRsForWavesPerEU: 1
; Occupancy: 16
; WaveLimiterHint : 0
; COMPUTE_PGM_RSRC2:SCRATCH_EN: 0
; COMPUTE_PGM_RSRC2:USER_SGPR: 15
; COMPUTE_PGM_RSRC2:TRAP_HANDLER: 0
; COMPUTE_PGM_RSRC2:TGID_X_EN: 1
; COMPUTE_PGM_RSRC2:TGID_Y_EN: 0
; COMPUTE_PGM_RSRC2:TGID_Z_EN: 0
; COMPUTE_PGM_RSRC2:TIDIG_COMP_CNT: 0
	.section	.text._ZN7rocprim17ROCPRIM_400000_NS6detail25reduce_by_key_init_kernelINS1_19lookback_scan_stateINS0_5tupleIJjfEEELb1ELb1EEEfNS1_16block_id_wrapperIjLb0EEEEEvT_jbjPmPT0_T1_,"axG",@progbits,_ZN7rocprim17ROCPRIM_400000_NS6detail25reduce_by_key_init_kernelINS1_19lookback_scan_stateINS0_5tupleIJjfEEELb1ELb1EEEfNS1_16block_id_wrapperIjLb0EEEEEvT_jbjPmPT0_T1_,comdat
	.protected	_ZN7rocprim17ROCPRIM_400000_NS6detail25reduce_by_key_init_kernelINS1_19lookback_scan_stateINS0_5tupleIJjfEEELb1ELb1EEEfNS1_16block_id_wrapperIjLb0EEEEEvT_jbjPmPT0_T1_ ; -- Begin function _ZN7rocprim17ROCPRIM_400000_NS6detail25reduce_by_key_init_kernelINS1_19lookback_scan_stateINS0_5tupleIJjfEEELb1ELb1EEEfNS1_16block_id_wrapperIjLb0EEEEEvT_jbjPmPT0_T1_
	.globl	_ZN7rocprim17ROCPRIM_400000_NS6detail25reduce_by_key_init_kernelINS1_19lookback_scan_stateINS0_5tupleIJjfEEELb1ELb1EEEfNS1_16block_id_wrapperIjLb0EEEEEvT_jbjPmPT0_T1_
	.p2align	8
	.type	_ZN7rocprim17ROCPRIM_400000_NS6detail25reduce_by_key_init_kernelINS1_19lookback_scan_stateINS0_5tupleIJjfEEELb1ELb1EEEfNS1_16block_id_wrapperIjLb0EEEEEvT_jbjPmPT0_T1_,@function
_ZN7rocprim17ROCPRIM_400000_NS6detail25reduce_by_key_init_kernelINS1_19lookback_scan_stateINS0_5tupleIJjfEEELb1ELb1EEEfNS1_16block_id_wrapperIjLb0EEEEEvT_jbjPmPT0_T1_: ; @_ZN7rocprim17ROCPRIM_400000_NS6detail25reduce_by_key_init_kernelINS1_19lookback_scan_stateINS0_5tupleIJjfEEELb1ELb1EEEfNS1_16block_id_wrapperIjLb0EEEEEvT_jbjPmPT0_T1_
; %bb.0:
	s_clause 0x2
	s_load_b32 s2, s[0:1], 0x3c
	s_load_b256 s[4:11], s[0:1], 0x8
	s_load_b64 s[0:1], s[0:1], 0x0
	s_waitcnt lgkmcnt(0)
	s_and_b32 s2, s2, 0xffff
	s_delay_alu instid0(SALU_CYCLE_1) | instskip(SKIP_1) | instid1(SALU_CYCLE_1)
	v_mad_u64_u32 v[1:2], null, s15, s2, v[0:1]
	s_and_b32 s2, s5, 1
	s_cmp_eq_u32 s2, 0
	s_mov_b32 s2, -1
	s_cbranch_scc1 .LBB108_7
; %bb.1:
	s_and_not1_b32 vcc_lo, exec_lo, s2
	s_cbranch_vccz .LBB108_16
.LBB108_2:
	s_mov_b32 s2, exec_lo
	v_cmpx_gt_u32_e64 s4, v1
	s_cbranch_execz .LBB108_4
.LBB108_3:
	v_dual_mov_b32 v3, 0 :: v_dual_add_nc_u32 v2, 32, v1
	s_delay_alu instid0(VALU_DEP_1) | instskip(SKIP_2) | instid1(VALU_DEP_3)
	v_lshlrev_b64 v[5:6], 4, v[2:3]
	v_mov_b32_e32 v2, v3
	v_mov_b32_e32 v4, v3
	v_add_co_u32 v7, vcc_lo, s0, v5
	s_delay_alu instid0(VALU_DEP_4)
	v_add_co_ci_u32_e32 v8, vcc_lo, s1, v6, vcc_lo
	v_mov_b32_e32 v5, v3
	global_store_b128 v[7:8], v[2:5], off
.LBB108_4:
	s_or_b32 exec_lo, exec_lo, s2
	s_delay_alu instid0(SALU_CYCLE_1)
	s_mov_b32 s2, exec_lo
	v_cmpx_gt_u32_e32 32, v1
	s_cbranch_execz .LBB108_6
; %bb.5:
	v_dual_mov_b32 v2, 0 :: v_dual_mov_b32 v3, 0xff
	s_delay_alu instid0(VALU_DEP_1) | instskip(SKIP_1) | instid1(VALU_DEP_2)
	v_lshlrev_b64 v[4:5], 4, v[1:2]
	v_mov_b32_e32 v1, v2
	v_add_co_u32 v6, vcc_lo, s0, v4
	s_delay_alu instid0(VALU_DEP_3)
	v_add_co_ci_u32_e32 v7, vcc_lo, s1, v5, vcc_lo
	v_mov_b32_e32 v4, v2
	global_store_b128 v[6:7], v[1:4], off
.LBB108_6:
	s_nop 0
	s_sendmsg sendmsg(MSG_DEALLOC_VGPRS)
	s_endpgm
.LBB108_7:
	s_cmp_lt_u32 s6, s4
	s_mov_b32 s5, exec_lo
	s_cselect_b32 s2, s6, 0
	s_delay_alu instid0(SALU_CYCLE_1)
	v_cmpx_eq_u32_e64 s2, v1
	s_cbranch_execz .LBB108_15
; %bb.8:
	s_add_i32 s2, s6, 32
	s_mov_b32 s3, 0
	s_delay_alu instid0(SALU_CYCLE_1) | instskip(SKIP_3) | instid1(SALU_CYCLE_1)
	s_lshl_b64 s[6:7], s[2:3], 4
	s_mov_b32 s2, exec_lo
	s_add_u32 s6, s0, s6
	s_addc_u32 s7, s1, s7
	v_dual_mov_b32 v2, s6 :: v_dual_mov_b32 v3, s7
	;;#ASMSTART
	global_load_dwordx4 v[2:5], v[2:3] off glc	
s_waitcnt vmcnt(0)
	;;#ASMEND
	s_delay_alu instid0(VALU_DEP_1) | instskip(SKIP_3) | instid1(VALU_DEP_1)
	v_lshrrev_b64 v[11:12], 8, v[2:3]
	v_lshrrev_b64 v[9:10], 16, v[2:3]
	;; [unrolled: 1-line block ×3, first 2 shown]
	v_dual_mov_b32 v6, 0 :: v_dual_and_b32 v5, 0xff, v4
	v_cmpx_eq_u64_e32 0, v[5:6]
	s_cbranch_execz .LBB108_14
; %bb.9:
	v_dual_mov_b32 v8, s7 :: v_dual_mov_b32 v7, s6
	s_mov_b32 s6, 1
	.p2align	6
.LBB108_10:                             ; =>This Loop Header: Depth=1
                                        ;     Child Loop BB108_11 Depth 2
	s_delay_alu instid0(SALU_CYCLE_1)
	s_max_u32 s7, s6, 1
.LBB108_11:                             ;   Parent Loop BB108_10 Depth=1
                                        ; =>  This Inner Loop Header: Depth=2
	s_delay_alu instid0(SALU_CYCLE_1)
	s_add_i32 s7, s7, -1
	s_sleep 1
	s_cmp_eq_u32 s7, 0
	s_cbranch_scc0 .LBB108_11
; %bb.12:                               ;   in Loop: Header=BB108_10 Depth=1
	;;#ASMSTART
	global_load_dwordx4 v[2:5], v[7:8] off glc	
s_waitcnt vmcnt(0)
	;;#ASMEND
	v_and_b32_e32 v5, 0xff, v4
	s_cmp_lt_u32 s6, 32
	s_cselect_b32 s7, -1, 0
	s_delay_alu instid0(SALU_CYCLE_1) | instskip(NEXT) | instid1(VALU_DEP_1)
	s_cmp_lg_u32 s7, 0
	v_cmp_ne_u64_e32 vcc_lo, 0, v[5:6]
	s_addc_u32 s6, s6, 0
	s_or_b32 s3, vcc_lo, s3
	s_delay_alu instid0(SALU_CYCLE_1)
	s_and_not1_b32 exec_lo, exec_lo, s3
	s_cbranch_execnz .LBB108_10
; %bb.13:
	s_or_b32 exec_lo, exec_lo, s3
	v_lshrrev_b64 v[7:8], 24, v[2:3]
	v_lshrrev_b64 v[9:10], 16, v[2:3]
	;; [unrolled: 1-line block ×3, first 2 shown]
.LBB108_14:
	s_or_b32 exec_lo, exec_lo, s2
	v_mov_b32_e32 v0, 0
	s_delay_alu instid0(VALU_DEP_2) | instskip(NEXT) | instid1(VALU_DEP_4)
	v_lshlrev_b32_e32 v6, 8, v11
	v_lshlrev_b32_e32 v8, 16, v9
	global_load_b64 v[4:5], v0, s[8:9]
	v_perm_b32 v2, v6, v2, 0xc0c0500
	v_lshlrev_b32_e32 v6, 24, v7
	s_delay_alu instid0(VALU_DEP_2) | instskip(SKIP_1) | instid1(VALU_DEP_1)
	v_and_or_b32 v2, 0xff0000, v8, v2
	s_waitcnt vmcnt(0)
	v_add_co_u32 v2, vcc_lo, v2, v4
	v_add_co_ci_u32_e32 v5, vcc_lo, 0, v5, vcc_lo
	s_delay_alu instid0(VALU_DEP_2) | instskip(NEXT) | instid1(VALU_DEP_2)
	v_add_co_u32 v4, vcc_lo, v2, v6
	v_add_co_ci_u32_e32 v5, vcc_lo, 0, v5, vcc_lo
	s_clause 0x1
	global_store_b64 v0, v[4:5], s[8:9]
	global_store_b32 v0, v3, s[10:11]
.LBB108_15:
	s_or_b32 exec_lo, exec_lo, s5
	s_cbranch_execnz .LBB108_2
.LBB108_16:
	s_delay_alu instid0(VALU_DEP_1) | instskip(SKIP_2) | instid1(SALU_CYCLE_1)
	v_cmp_eq_u32_e32 vcc_lo, 0, v1
	s_cmp_lg_u64 s[8:9], 0
	s_cselect_b32 s2, -1, 0
	s_and_b32 s3, s2, vcc_lo
	s_delay_alu instid0(SALU_CYCLE_1)
	s_and_saveexec_b32 s2, s3
	s_cbranch_execz .LBB108_18
; %bb.17:
	v_mov_b32_e32 v2, 0
	s_delay_alu instid0(VALU_DEP_1)
	v_mov_b32_e32 v3, v2
	global_store_b64 v2, v[2:3], s[8:9]
.LBB108_18:
	s_or_b32 exec_lo, exec_lo, s2
	s_delay_alu instid0(SALU_CYCLE_1)
	s_mov_b32 s2, exec_lo
	v_cmpx_gt_u32_e64 s4, v1
	s_cbranch_execnz .LBB108_3
	s_branch .LBB108_4
	.section	.rodata,"a",@progbits
	.p2align	6, 0x0
	.amdhsa_kernel _ZN7rocprim17ROCPRIM_400000_NS6detail25reduce_by_key_init_kernelINS1_19lookback_scan_stateINS0_5tupleIJjfEEELb1ELb1EEEfNS1_16block_id_wrapperIjLb0EEEEEvT_jbjPmPT0_T1_
		.amdhsa_group_segment_fixed_size 0
		.amdhsa_private_segment_fixed_size 0
		.amdhsa_kernarg_size 304
		.amdhsa_user_sgpr_count 15
		.amdhsa_user_sgpr_dispatch_ptr 0
		.amdhsa_user_sgpr_queue_ptr 0
		.amdhsa_user_sgpr_kernarg_segment_ptr 1
		.amdhsa_user_sgpr_dispatch_id 0
		.amdhsa_user_sgpr_private_segment_size 0
		.amdhsa_wavefront_size32 1
		.amdhsa_uses_dynamic_stack 0
		.amdhsa_enable_private_segment 0
		.amdhsa_system_sgpr_workgroup_id_x 1
		.amdhsa_system_sgpr_workgroup_id_y 0
		.amdhsa_system_sgpr_workgroup_id_z 0
		.amdhsa_system_sgpr_workgroup_info 0
		.amdhsa_system_vgpr_workitem_id 0
		.amdhsa_next_free_vgpr 13
		.amdhsa_next_free_sgpr 16
		.amdhsa_reserve_vcc 1
		.amdhsa_float_round_mode_32 0
		.amdhsa_float_round_mode_16_64 0
		.amdhsa_float_denorm_mode_32 3
		.amdhsa_float_denorm_mode_16_64 3
		.amdhsa_dx10_clamp 1
		.amdhsa_ieee_mode 1
		.amdhsa_fp16_overflow 0
		.amdhsa_workgroup_processor_mode 1
		.amdhsa_memory_ordered 1
		.amdhsa_forward_progress 0
		.amdhsa_shared_vgpr_count 0
		.amdhsa_exception_fp_ieee_invalid_op 0
		.amdhsa_exception_fp_denorm_src 0
		.amdhsa_exception_fp_ieee_div_zero 0
		.amdhsa_exception_fp_ieee_overflow 0
		.amdhsa_exception_fp_ieee_underflow 0
		.amdhsa_exception_fp_ieee_inexact 0
		.amdhsa_exception_int_div_zero 0
	.end_amdhsa_kernel
	.section	.text._ZN7rocprim17ROCPRIM_400000_NS6detail25reduce_by_key_init_kernelINS1_19lookback_scan_stateINS0_5tupleIJjfEEELb1ELb1EEEfNS1_16block_id_wrapperIjLb0EEEEEvT_jbjPmPT0_T1_,"axG",@progbits,_ZN7rocprim17ROCPRIM_400000_NS6detail25reduce_by_key_init_kernelINS1_19lookback_scan_stateINS0_5tupleIJjfEEELb1ELb1EEEfNS1_16block_id_wrapperIjLb0EEEEEvT_jbjPmPT0_T1_,comdat
.Lfunc_end108:
	.size	_ZN7rocprim17ROCPRIM_400000_NS6detail25reduce_by_key_init_kernelINS1_19lookback_scan_stateINS0_5tupleIJjfEEELb1ELb1EEEfNS1_16block_id_wrapperIjLb0EEEEEvT_jbjPmPT0_T1_, .Lfunc_end108-_ZN7rocprim17ROCPRIM_400000_NS6detail25reduce_by_key_init_kernelINS1_19lookback_scan_stateINS0_5tupleIJjfEEELb1ELb1EEEfNS1_16block_id_wrapperIjLb0EEEEEvT_jbjPmPT0_T1_
                                        ; -- End function
	.section	.AMDGPU.csdata,"",@progbits
; Kernel info:
; codeLenInByte = 744
; NumSgprs: 18
; NumVgprs: 13
; ScratchSize: 0
; MemoryBound: 0
; FloatMode: 240
; IeeeMode: 1
; LDSByteSize: 0 bytes/workgroup (compile time only)
; SGPRBlocks: 2
; VGPRBlocks: 1
; NumSGPRsForWavesPerEU: 18
; NumVGPRsForWavesPerEU: 13
; Occupancy: 16
; WaveLimiterHint : 0
; COMPUTE_PGM_RSRC2:SCRATCH_EN: 0
; COMPUTE_PGM_RSRC2:USER_SGPR: 15
; COMPUTE_PGM_RSRC2:TRAP_HANDLER: 0
; COMPUTE_PGM_RSRC2:TGID_X_EN: 1
; COMPUTE_PGM_RSRC2:TGID_Y_EN: 0
; COMPUTE_PGM_RSRC2:TGID_Z_EN: 0
; COMPUTE_PGM_RSRC2:TIDIG_COMP_CNT: 0
	.section	.text._ZN7rocprim17ROCPRIM_400000_NS6detail17trampoline_kernelINS0_14default_configENS1_29reduce_by_key_config_selectorIffN6thrust23THRUST_200600_302600_NS4plusIfEEEEZZNS1_33reduce_by_key_impl_wrapped_configILNS1_25lookback_scan_determinismE1ES3_S9_NS6_6detail15normal_iteratorINS6_10device_ptrIfEEEESG_SG_SG_PmS8_NS6_8equal_toIfEEEE10hipError_tPvRmT2_T3_mT4_T5_T6_T7_T8_P12ihipStream_tbENKUlT_T0_E_clISt17integral_constantIbLb1EES10_IbLb0EEEEDaSW_SX_EUlSW_E_NS1_11comp_targetILNS1_3genE0ELNS1_11target_archE4294967295ELNS1_3gpuE0ELNS1_3repE0EEENS1_30default_config_static_selectorELNS0_4arch9wavefront6targetE0EEEvT1_,"axG",@progbits,_ZN7rocprim17ROCPRIM_400000_NS6detail17trampoline_kernelINS0_14default_configENS1_29reduce_by_key_config_selectorIffN6thrust23THRUST_200600_302600_NS4plusIfEEEEZZNS1_33reduce_by_key_impl_wrapped_configILNS1_25lookback_scan_determinismE1ES3_S9_NS6_6detail15normal_iteratorINS6_10device_ptrIfEEEESG_SG_SG_PmS8_NS6_8equal_toIfEEEE10hipError_tPvRmT2_T3_mT4_T5_T6_T7_T8_P12ihipStream_tbENKUlT_T0_E_clISt17integral_constantIbLb1EES10_IbLb0EEEEDaSW_SX_EUlSW_E_NS1_11comp_targetILNS1_3genE0ELNS1_11target_archE4294967295ELNS1_3gpuE0ELNS1_3repE0EEENS1_30default_config_static_selectorELNS0_4arch9wavefront6targetE0EEEvT1_,comdat
	.protected	_ZN7rocprim17ROCPRIM_400000_NS6detail17trampoline_kernelINS0_14default_configENS1_29reduce_by_key_config_selectorIffN6thrust23THRUST_200600_302600_NS4plusIfEEEEZZNS1_33reduce_by_key_impl_wrapped_configILNS1_25lookback_scan_determinismE1ES3_S9_NS6_6detail15normal_iteratorINS6_10device_ptrIfEEEESG_SG_SG_PmS8_NS6_8equal_toIfEEEE10hipError_tPvRmT2_T3_mT4_T5_T6_T7_T8_P12ihipStream_tbENKUlT_T0_E_clISt17integral_constantIbLb1EES10_IbLb0EEEEDaSW_SX_EUlSW_E_NS1_11comp_targetILNS1_3genE0ELNS1_11target_archE4294967295ELNS1_3gpuE0ELNS1_3repE0EEENS1_30default_config_static_selectorELNS0_4arch9wavefront6targetE0EEEvT1_ ; -- Begin function _ZN7rocprim17ROCPRIM_400000_NS6detail17trampoline_kernelINS0_14default_configENS1_29reduce_by_key_config_selectorIffN6thrust23THRUST_200600_302600_NS4plusIfEEEEZZNS1_33reduce_by_key_impl_wrapped_configILNS1_25lookback_scan_determinismE1ES3_S9_NS6_6detail15normal_iteratorINS6_10device_ptrIfEEEESG_SG_SG_PmS8_NS6_8equal_toIfEEEE10hipError_tPvRmT2_T3_mT4_T5_T6_T7_T8_P12ihipStream_tbENKUlT_T0_E_clISt17integral_constantIbLb1EES10_IbLb0EEEEDaSW_SX_EUlSW_E_NS1_11comp_targetILNS1_3genE0ELNS1_11target_archE4294967295ELNS1_3gpuE0ELNS1_3repE0EEENS1_30default_config_static_selectorELNS0_4arch9wavefront6targetE0EEEvT1_
	.globl	_ZN7rocprim17ROCPRIM_400000_NS6detail17trampoline_kernelINS0_14default_configENS1_29reduce_by_key_config_selectorIffN6thrust23THRUST_200600_302600_NS4plusIfEEEEZZNS1_33reduce_by_key_impl_wrapped_configILNS1_25lookback_scan_determinismE1ES3_S9_NS6_6detail15normal_iteratorINS6_10device_ptrIfEEEESG_SG_SG_PmS8_NS6_8equal_toIfEEEE10hipError_tPvRmT2_T3_mT4_T5_T6_T7_T8_P12ihipStream_tbENKUlT_T0_E_clISt17integral_constantIbLb1EES10_IbLb0EEEEDaSW_SX_EUlSW_E_NS1_11comp_targetILNS1_3genE0ELNS1_11target_archE4294967295ELNS1_3gpuE0ELNS1_3repE0EEENS1_30default_config_static_selectorELNS0_4arch9wavefront6targetE0EEEvT1_
	.p2align	8
	.type	_ZN7rocprim17ROCPRIM_400000_NS6detail17trampoline_kernelINS0_14default_configENS1_29reduce_by_key_config_selectorIffN6thrust23THRUST_200600_302600_NS4plusIfEEEEZZNS1_33reduce_by_key_impl_wrapped_configILNS1_25lookback_scan_determinismE1ES3_S9_NS6_6detail15normal_iteratorINS6_10device_ptrIfEEEESG_SG_SG_PmS8_NS6_8equal_toIfEEEE10hipError_tPvRmT2_T3_mT4_T5_T6_T7_T8_P12ihipStream_tbENKUlT_T0_E_clISt17integral_constantIbLb1EES10_IbLb0EEEEDaSW_SX_EUlSW_E_NS1_11comp_targetILNS1_3genE0ELNS1_11target_archE4294967295ELNS1_3gpuE0ELNS1_3repE0EEENS1_30default_config_static_selectorELNS0_4arch9wavefront6targetE0EEEvT1_,@function
_ZN7rocprim17ROCPRIM_400000_NS6detail17trampoline_kernelINS0_14default_configENS1_29reduce_by_key_config_selectorIffN6thrust23THRUST_200600_302600_NS4plusIfEEEEZZNS1_33reduce_by_key_impl_wrapped_configILNS1_25lookback_scan_determinismE1ES3_S9_NS6_6detail15normal_iteratorINS6_10device_ptrIfEEEESG_SG_SG_PmS8_NS6_8equal_toIfEEEE10hipError_tPvRmT2_T3_mT4_T5_T6_T7_T8_P12ihipStream_tbENKUlT_T0_E_clISt17integral_constantIbLb1EES10_IbLb0EEEEDaSW_SX_EUlSW_E_NS1_11comp_targetILNS1_3genE0ELNS1_11target_archE4294967295ELNS1_3gpuE0ELNS1_3repE0EEENS1_30default_config_static_selectorELNS0_4arch9wavefront6targetE0EEEvT1_: ; @_ZN7rocprim17ROCPRIM_400000_NS6detail17trampoline_kernelINS0_14default_configENS1_29reduce_by_key_config_selectorIffN6thrust23THRUST_200600_302600_NS4plusIfEEEEZZNS1_33reduce_by_key_impl_wrapped_configILNS1_25lookback_scan_determinismE1ES3_S9_NS6_6detail15normal_iteratorINS6_10device_ptrIfEEEESG_SG_SG_PmS8_NS6_8equal_toIfEEEE10hipError_tPvRmT2_T3_mT4_T5_T6_T7_T8_P12ihipStream_tbENKUlT_T0_E_clISt17integral_constantIbLb1EES10_IbLb0EEEEDaSW_SX_EUlSW_E_NS1_11comp_targetILNS1_3genE0ELNS1_11target_archE4294967295ELNS1_3gpuE0ELNS1_3repE0EEENS1_30default_config_static_selectorELNS0_4arch9wavefront6targetE0EEEvT1_
; %bb.0:
	.section	.rodata,"a",@progbits
	.p2align	6, 0x0
	.amdhsa_kernel _ZN7rocprim17ROCPRIM_400000_NS6detail17trampoline_kernelINS0_14default_configENS1_29reduce_by_key_config_selectorIffN6thrust23THRUST_200600_302600_NS4plusIfEEEEZZNS1_33reduce_by_key_impl_wrapped_configILNS1_25lookback_scan_determinismE1ES3_S9_NS6_6detail15normal_iteratorINS6_10device_ptrIfEEEESG_SG_SG_PmS8_NS6_8equal_toIfEEEE10hipError_tPvRmT2_T3_mT4_T5_T6_T7_T8_P12ihipStream_tbENKUlT_T0_E_clISt17integral_constantIbLb1EES10_IbLb0EEEEDaSW_SX_EUlSW_E_NS1_11comp_targetILNS1_3genE0ELNS1_11target_archE4294967295ELNS1_3gpuE0ELNS1_3repE0EEENS1_30default_config_static_selectorELNS0_4arch9wavefront6targetE0EEEvT1_
		.amdhsa_group_segment_fixed_size 0
		.amdhsa_private_segment_fixed_size 0
		.amdhsa_kernarg_size 120
		.amdhsa_user_sgpr_count 15
		.amdhsa_user_sgpr_dispatch_ptr 0
		.amdhsa_user_sgpr_queue_ptr 0
		.amdhsa_user_sgpr_kernarg_segment_ptr 1
		.amdhsa_user_sgpr_dispatch_id 0
		.amdhsa_user_sgpr_private_segment_size 0
		.amdhsa_wavefront_size32 1
		.amdhsa_uses_dynamic_stack 0
		.amdhsa_enable_private_segment 0
		.amdhsa_system_sgpr_workgroup_id_x 1
		.amdhsa_system_sgpr_workgroup_id_y 0
		.amdhsa_system_sgpr_workgroup_id_z 0
		.amdhsa_system_sgpr_workgroup_info 0
		.amdhsa_system_vgpr_workitem_id 0
		.amdhsa_next_free_vgpr 1
		.amdhsa_next_free_sgpr 1
		.amdhsa_reserve_vcc 0
		.amdhsa_float_round_mode_32 0
		.amdhsa_float_round_mode_16_64 0
		.amdhsa_float_denorm_mode_32 3
		.amdhsa_float_denorm_mode_16_64 3
		.amdhsa_dx10_clamp 1
		.amdhsa_ieee_mode 1
		.amdhsa_fp16_overflow 0
		.amdhsa_workgroup_processor_mode 1
		.amdhsa_memory_ordered 1
		.amdhsa_forward_progress 0
		.amdhsa_shared_vgpr_count 0
		.amdhsa_exception_fp_ieee_invalid_op 0
		.amdhsa_exception_fp_denorm_src 0
		.amdhsa_exception_fp_ieee_div_zero 0
		.amdhsa_exception_fp_ieee_overflow 0
		.amdhsa_exception_fp_ieee_underflow 0
		.amdhsa_exception_fp_ieee_inexact 0
		.amdhsa_exception_int_div_zero 0
	.end_amdhsa_kernel
	.section	.text._ZN7rocprim17ROCPRIM_400000_NS6detail17trampoline_kernelINS0_14default_configENS1_29reduce_by_key_config_selectorIffN6thrust23THRUST_200600_302600_NS4plusIfEEEEZZNS1_33reduce_by_key_impl_wrapped_configILNS1_25lookback_scan_determinismE1ES3_S9_NS6_6detail15normal_iteratorINS6_10device_ptrIfEEEESG_SG_SG_PmS8_NS6_8equal_toIfEEEE10hipError_tPvRmT2_T3_mT4_T5_T6_T7_T8_P12ihipStream_tbENKUlT_T0_E_clISt17integral_constantIbLb1EES10_IbLb0EEEEDaSW_SX_EUlSW_E_NS1_11comp_targetILNS1_3genE0ELNS1_11target_archE4294967295ELNS1_3gpuE0ELNS1_3repE0EEENS1_30default_config_static_selectorELNS0_4arch9wavefront6targetE0EEEvT1_,"axG",@progbits,_ZN7rocprim17ROCPRIM_400000_NS6detail17trampoline_kernelINS0_14default_configENS1_29reduce_by_key_config_selectorIffN6thrust23THRUST_200600_302600_NS4plusIfEEEEZZNS1_33reduce_by_key_impl_wrapped_configILNS1_25lookback_scan_determinismE1ES3_S9_NS6_6detail15normal_iteratorINS6_10device_ptrIfEEEESG_SG_SG_PmS8_NS6_8equal_toIfEEEE10hipError_tPvRmT2_T3_mT4_T5_T6_T7_T8_P12ihipStream_tbENKUlT_T0_E_clISt17integral_constantIbLb1EES10_IbLb0EEEEDaSW_SX_EUlSW_E_NS1_11comp_targetILNS1_3genE0ELNS1_11target_archE4294967295ELNS1_3gpuE0ELNS1_3repE0EEENS1_30default_config_static_selectorELNS0_4arch9wavefront6targetE0EEEvT1_,comdat
.Lfunc_end109:
	.size	_ZN7rocprim17ROCPRIM_400000_NS6detail17trampoline_kernelINS0_14default_configENS1_29reduce_by_key_config_selectorIffN6thrust23THRUST_200600_302600_NS4plusIfEEEEZZNS1_33reduce_by_key_impl_wrapped_configILNS1_25lookback_scan_determinismE1ES3_S9_NS6_6detail15normal_iteratorINS6_10device_ptrIfEEEESG_SG_SG_PmS8_NS6_8equal_toIfEEEE10hipError_tPvRmT2_T3_mT4_T5_T6_T7_T8_P12ihipStream_tbENKUlT_T0_E_clISt17integral_constantIbLb1EES10_IbLb0EEEEDaSW_SX_EUlSW_E_NS1_11comp_targetILNS1_3genE0ELNS1_11target_archE4294967295ELNS1_3gpuE0ELNS1_3repE0EEENS1_30default_config_static_selectorELNS0_4arch9wavefront6targetE0EEEvT1_, .Lfunc_end109-_ZN7rocprim17ROCPRIM_400000_NS6detail17trampoline_kernelINS0_14default_configENS1_29reduce_by_key_config_selectorIffN6thrust23THRUST_200600_302600_NS4plusIfEEEEZZNS1_33reduce_by_key_impl_wrapped_configILNS1_25lookback_scan_determinismE1ES3_S9_NS6_6detail15normal_iteratorINS6_10device_ptrIfEEEESG_SG_SG_PmS8_NS6_8equal_toIfEEEE10hipError_tPvRmT2_T3_mT4_T5_T6_T7_T8_P12ihipStream_tbENKUlT_T0_E_clISt17integral_constantIbLb1EES10_IbLb0EEEEDaSW_SX_EUlSW_E_NS1_11comp_targetILNS1_3genE0ELNS1_11target_archE4294967295ELNS1_3gpuE0ELNS1_3repE0EEENS1_30default_config_static_selectorELNS0_4arch9wavefront6targetE0EEEvT1_
                                        ; -- End function
	.section	.AMDGPU.csdata,"",@progbits
; Kernel info:
; codeLenInByte = 0
; NumSgprs: 0
; NumVgprs: 0
; ScratchSize: 0
; MemoryBound: 0
; FloatMode: 240
; IeeeMode: 1
; LDSByteSize: 0 bytes/workgroup (compile time only)
; SGPRBlocks: 0
; VGPRBlocks: 0
; NumSGPRsForWavesPerEU: 1
; NumVGPRsForWavesPerEU: 1
; Occupancy: 16
; WaveLimiterHint : 0
; COMPUTE_PGM_RSRC2:SCRATCH_EN: 0
; COMPUTE_PGM_RSRC2:USER_SGPR: 15
; COMPUTE_PGM_RSRC2:TRAP_HANDLER: 0
; COMPUTE_PGM_RSRC2:TGID_X_EN: 1
; COMPUTE_PGM_RSRC2:TGID_Y_EN: 0
; COMPUTE_PGM_RSRC2:TGID_Z_EN: 0
; COMPUTE_PGM_RSRC2:TIDIG_COMP_CNT: 0
	.section	.text._ZN7rocprim17ROCPRIM_400000_NS6detail17trampoline_kernelINS0_14default_configENS1_29reduce_by_key_config_selectorIffN6thrust23THRUST_200600_302600_NS4plusIfEEEEZZNS1_33reduce_by_key_impl_wrapped_configILNS1_25lookback_scan_determinismE1ES3_S9_NS6_6detail15normal_iteratorINS6_10device_ptrIfEEEESG_SG_SG_PmS8_NS6_8equal_toIfEEEE10hipError_tPvRmT2_T3_mT4_T5_T6_T7_T8_P12ihipStream_tbENKUlT_T0_E_clISt17integral_constantIbLb1EES10_IbLb0EEEEDaSW_SX_EUlSW_E_NS1_11comp_targetILNS1_3genE5ELNS1_11target_archE942ELNS1_3gpuE9ELNS1_3repE0EEENS1_30default_config_static_selectorELNS0_4arch9wavefront6targetE0EEEvT1_,"axG",@progbits,_ZN7rocprim17ROCPRIM_400000_NS6detail17trampoline_kernelINS0_14default_configENS1_29reduce_by_key_config_selectorIffN6thrust23THRUST_200600_302600_NS4plusIfEEEEZZNS1_33reduce_by_key_impl_wrapped_configILNS1_25lookback_scan_determinismE1ES3_S9_NS6_6detail15normal_iteratorINS6_10device_ptrIfEEEESG_SG_SG_PmS8_NS6_8equal_toIfEEEE10hipError_tPvRmT2_T3_mT4_T5_T6_T7_T8_P12ihipStream_tbENKUlT_T0_E_clISt17integral_constantIbLb1EES10_IbLb0EEEEDaSW_SX_EUlSW_E_NS1_11comp_targetILNS1_3genE5ELNS1_11target_archE942ELNS1_3gpuE9ELNS1_3repE0EEENS1_30default_config_static_selectorELNS0_4arch9wavefront6targetE0EEEvT1_,comdat
	.protected	_ZN7rocprim17ROCPRIM_400000_NS6detail17trampoline_kernelINS0_14default_configENS1_29reduce_by_key_config_selectorIffN6thrust23THRUST_200600_302600_NS4plusIfEEEEZZNS1_33reduce_by_key_impl_wrapped_configILNS1_25lookback_scan_determinismE1ES3_S9_NS6_6detail15normal_iteratorINS6_10device_ptrIfEEEESG_SG_SG_PmS8_NS6_8equal_toIfEEEE10hipError_tPvRmT2_T3_mT4_T5_T6_T7_T8_P12ihipStream_tbENKUlT_T0_E_clISt17integral_constantIbLb1EES10_IbLb0EEEEDaSW_SX_EUlSW_E_NS1_11comp_targetILNS1_3genE5ELNS1_11target_archE942ELNS1_3gpuE9ELNS1_3repE0EEENS1_30default_config_static_selectorELNS0_4arch9wavefront6targetE0EEEvT1_ ; -- Begin function _ZN7rocprim17ROCPRIM_400000_NS6detail17trampoline_kernelINS0_14default_configENS1_29reduce_by_key_config_selectorIffN6thrust23THRUST_200600_302600_NS4plusIfEEEEZZNS1_33reduce_by_key_impl_wrapped_configILNS1_25lookback_scan_determinismE1ES3_S9_NS6_6detail15normal_iteratorINS6_10device_ptrIfEEEESG_SG_SG_PmS8_NS6_8equal_toIfEEEE10hipError_tPvRmT2_T3_mT4_T5_T6_T7_T8_P12ihipStream_tbENKUlT_T0_E_clISt17integral_constantIbLb1EES10_IbLb0EEEEDaSW_SX_EUlSW_E_NS1_11comp_targetILNS1_3genE5ELNS1_11target_archE942ELNS1_3gpuE9ELNS1_3repE0EEENS1_30default_config_static_selectorELNS0_4arch9wavefront6targetE0EEEvT1_
	.globl	_ZN7rocprim17ROCPRIM_400000_NS6detail17trampoline_kernelINS0_14default_configENS1_29reduce_by_key_config_selectorIffN6thrust23THRUST_200600_302600_NS4plusIfEEEEZZNS1_33reduce_by_key_impl_wrapped_configILNS1_25lookback_scan_determinismE1ES3_S9_NS6_6detail15normal_iteratorINS6_10device_ptrIfEEEESG_SG_SG_PmS8_NS6_8equal_toIfEEEE10hipError_tPvRmT2_T3_mT4_T5_T6_T7_T8_P12ihipStream_tbENKUlT_T0_E_clISt17integral_constantIbLb1EES10_IbLb0EEEEDaSW_SX_EUlSW_E_NS1_11comp_targetILNS1_3genE5ELNS1_11target_archE942ELNS1_3gpuE9ELNS1_3repE0EEENS1_30default_config_static_selectorELNS0_4arch9wavefront6targetE0EEEvT1_
	.p2align	8
	.type	_ZN7rocprim17ROCPRIM_400000_NS6detail17trampoline_kernelINS0_14default_configENS1_29reduce_by_key_config_selectorIffN6thrust23THRUST_200600_302600_NS4plusIfEEEEZZNS1_33reduce_by_key_impl_wrapped_configILNS1_25lookback_scan_determinismE1ES3_S9_NS6_6detail15normal_iteratorINS6_10device_ptrIfEEEESG_SG_SG_PmS8_NS6_8equal_toIfEEEE10hipError_tPvRmT2_T3_mT4_T5_T6_T7_T8_P12ihipStream_tbENKUlT_T0_E_clISt17integral_constantIbLb1EES10_IbLb0EEEEDaSW_SX_EUlSW_E_NS1_11comp_targetILNS1_3genE5ELNS1_11target_archE942ELNS1_3gpuE9ELNS1_3repE0EEENS1_30default_config_static_selectorELNS0_4arch9wavefront6targetE0EEEvT1_,@function
_ZN7rocprim17ROCPRIM_400000_NS6detail17trampoline_kernelINS0_14default_configENS1_29reduce_by_key_config_selectorIffN6thrust23THRUST_200600_302600_NS4plusIfEEEEZZNS1_33reduce_by_key_impl_wrapped_configILNS1_25lookback_scan_determinismE1ES3_S9_NS6_6detail15normal_iteratorINS6_10device_ptrIfEEEESG_SG_SG_PmS8_NS6_8equal_toIfEEEE10hipError_tPvRmT2_T3_mT4_T5_T6_T7_T8_P12ihipStream_tbENKUlT_T0_E_clISt17integral_constantIbLb1EES10_IbLb0EEEEDaSW_SX_EUlSW_E_NS1_11comp_targetILNS1_3genE5ELNS1_11target_archE942ELNS1_3gpuE9ELNS1_3repE0EEENS1_30default_config_static_selectorELNS0_4arch9wavefront6targetE0EEEvT1_: ; @_ZN7rocprim17ROCPRIM_400000_NS6detail17trampoline_kernelINS0_14default_configENS1_29reduce_by_key_config_selectorIffN6thrust23THRUST_200600_302600_NS4plusIfEEEEZZNS1_33reduce_by_key_impl_wrapped_configILNS1_25lookback_scan_determinismE1ES3_S9_NS6_6detail15normal_iteratorINS6_10device_ptrIfEEEESG_SG_SG_PmS8_NS6_8equal_toIfEEEE10hipError_tPvRmT2_T3_mT4_T5_T6_T7_T8_P12ihipStream_tbENKUlT_T0_E_clISt17integral_constantIbLb1EES10_IbLb0EEEEDaSW_SX_EUlSW_E_NS1_11comp_targetILNS1_3genE5ELNS1_11target_archE942ELNS1_3gpuE9ELNS1_3repE0EEENS1_30default_config_static_selectorELNS0_4arch9wavefront6targetE0EEEvT1_
; %bb.0:
	.section	.rodata,"a",@progbits
	.p2align	6, 0x0
	.amdhsa_kernel _ZN7rocprim17ROCPRIM_400000_NS6detail17trampoline_kernelINS0_14default_configENS1_29reduce_by_key_config_selectorIffN6thrust23THRUST_200600_302600_NS4plusIfEEEEZZNS1_33reduce_by_key_impl_wrapped_configILNS1_25lookback_scan_determinismE1ES3_S9_NS6_6detail15normal_iteratorINS6_10device_ptrIfEEEESG_SG_SG_PmS8_NS6_8equal_toIfEEEE10hipError_tPvRmT2_T3_mT4_T5_T6_T7_T8_P12ihipStream_tbENKUlT_T0_E_clISt17integral_constantIbLb1EES10_IbLb0EEEEDaSW_SX_EUlSW_E_NS1_11comp_targetILNS1_3genE5ELNS1_11target_archE942ELNS1_3gpuE9ELNS1_3repE0EEENS1_30default_config_static_selectorELNS0_4arch9wavefront6targetE0EEEvT1_
		.amdhsa_group_segment_fixed_size 0
		.amdhsa_private_segment_fixed_size 0
		.amdhsa_kernarg_size 120
		.amdhsa_user_sgpr_count 15
		.amdhsa_user_sgpr_dispatch_ptr 0
		.amdhsa_user_sgpr_queue_ptr 0
		.amdhsa_user_sgpr_kernarg_segment_ptr 1
		.amdhsa_user_sgpr_dispatch_id 0
		.amdhsa_user_sgpr_private_segment_size 0
		.amdhsa_wavefront_size32 1
		.amdhsa_uses_dynamic_stack 0
		.amdhsa_enable_private_segment 0
		.amdhsa_system_sgpr_workgroup_id_x 1
		.amdhsa_system_sgpr_workgroup_id_y 0
		.amdhsa_system_sgpr_workgroup_id_z 0
		.amdhsa_system_sgpr_workgroup_info 0
		.amdhsa_system_vgpr_workitem_id 0
		.amdhsa_next_free_vgpr 1
		.amdhsa_next_free_sgpr 1
		.amdhsa_reserve_vcc 0
		.amdhsa_float_round_mode_32 0
		.amdhsa_float_round_mode_16_64 0
		.amdhsa_float_denorm_mode_32 3
		.amdhsa_float_denorm_mode_16_64 3
		.amdhsa_dx10_clamp 1
		.amdhsa_ieee_mode 1
		.amdhsa_fp16_overflow 0
		.amdhsa_workgroup_processor_mode 1
		.amdhsa_memory_ordered 1
		.amdhsa_forward_progress 0
		.amdhsa_shared_vgpr_count 0
		.amdhsa_exception_fp_ieee_invalid_op 0
		.amdhsa_exception_fp_denorm_src 0
		.amdhsa_exception_fp_ieee_div_zero 0
		.amdhsa_exception_fp_ieee_overflow 0
		.amdhsa_exception_fp_ieee_underflow 0
		.amdhsa_exception_fp_ieee_inexact 0
		.amdhsa_exception_int_div_zero 0
	.end_amdhsa_kernel
	.section	.text._ZN7rocprim17ROCPRIM_400000_NS6detail17trampoline_kernelINS0_14default_configENS1_29reduce_by_key_config_selectorIffN6thrust23THRUST_200600_302600_NS4plusIfEEEEZZNS1_33reduce_by_key_impl_wrapped_configILNS1_25lookback_scan_determinismE1ES3_S9_NS6_6detail15normal_iteratorINS6_10device_ptrIfEEEESG_SG_SG_PmS8_NS6_8equal_toIfEEEE10hipError_tPvRmT2_T3_mT4_T5_T6_T7_T8_P12ihipStream_tbENKUlT_T0_E_clISt17integral_constantIbLb1EES10_IbLb0EEEEDaSW_SX_EUlSW_E_NS1_11comp_targetILNS1_3genE5ELNS1_11target_archE942ELNS1_3gpuE9ELNS1_3repE0EEENS1_30default_config_static_selectorELNS0_4arch9wavefront6targetE0EEEvT1_,"axG",@progbits,_ZN7rocprim17ROCPRIM_400000_NS6detail17trampoline_kernelINS0_14default_configENS1_29reduce_by_key_config_selectorIffN6thrust23THRUST_200600_302600_NS4plusIfEEEEZZNS1_33reduce_by_key_impl_wrapped_configILNS1_25lookback_scan_determinismE1ES3_S9_NS6_6detail15normal_iteratorINS6_10device_ptrIfEEEESG_SG_SG_PmS8_NS6_8equal_toIfEEEE10hipError_tPvRmT2_T3_mT4_T5_T6_T7_T8_P12ihipStream_tbENKUlT_T0_E_clISt17integral_constantIbLb1EES10_IbLb0EEEEDaSW_SX_EUlSW_E_NS1_11comp_targetILNS1_3genE5ELNS1_11target_archE942ELNS1_3gpuE9ELNS1_3repE0EEENS1_30default_config_static_selectorELNS0_4arch9wavefront6targetE0EEEvT1_,comdat
.Lfunc_end110:
	.size	_ZN7rocprim17ROCPRIM_400000_NS6detail17trampoline_kernelINS0_14default_configENS1_29reduce_by_key_config_selectorIffN6thrust23THRUST_200600_302600_NS4plusIfEEEEZZNS1_33reduce_by_key_impl_wrapped_configILNS1_25lookback_scan_determinismE1ES3_S9_NS6_6detail15normal_iteratorINS6_10device_ptrIfEEEESG_SG_SG_PmS8_NS6_8equal_toIfEEEE10hipError_tPvRmT2_T3_mT4_T5_T6_T7_T8_P12ihipStream_tbENKUlT_T0_E_clISt17integral_constantIbLb1EES10_IbLb0EEEEDaSW_SX_EUlSW_E_NS1_11comp_targetILNS1_3genE5ELNS1_11target_archE942ELNS1_3gpuE9ELNS1_3repE0EEENS1_30default_config_static_selectorELNS0_4arch9wavefront6targetE0EEEvT1_, .Lfunc_end110-_ZN7rocprim17ROCPRIM_400000_NS6detail17trampoline_kernelINS0_14default_configENS1_29reduce_by_key_config_selectorIffN6thrust23THRUST_200600_302600_NS4plusIfEEEEZZNS1_33reduce_by_key_impl_wrapped_configILNS1_25lookback_scan_determinismE1ES3_S9_NS6_6detail15normal_iteratorINS6_10device_ptrIfEEEESG_SG_SG_PmS8_NS6_8equal_toIfEEEE10hipError_tPvRmT2_T3_mT4_T5_T6_T7_T8_P12ihipStream_tbENKUlT_T0_E_clISt17integral_constantIbLb1EES10_IbLb0EEEEDaSW_SX_EUlSW_E_NS1_11comp_targetILNS1_3genE5ELNS1_11target_archE942ELNS1_3gpuE9ELNS1_3repE0EEENS1_30default_config_static_selectorELNS0_4arch9wavefront6targetE0EEEvT1_
                                        ; -- End function
	.section	.AMDGPU.csdata,"",@progbits
; Kernel info:
; codeLenInByte = 0
; NumSgprs: 0
; NumVgprs: 0
; ScratchSize: 0
; MemoryBound: 0
; FloatMode: 240
; IeeeMode: 1
; LDSByteSize: 0 bytes/workgroup (compile time only)
; SGPRBlocks: 0
; VGPRBlocks: 0
; NumSGPRsForWavesPerEU: 1
; NumVGPRsForWavesPerEU: 1
; Occupancy: 16
; WaveLimiterHint : 0
; COMPUTE_PGM_RSRC2:SCRATCH_EN: 0
; COMPUTE_PGM_RSRC2:USER_SGPR: 15
; COMPUTE_PGM_RSRC2:TRAP_HANDLER: 0
; COMPUTE_PGM_RSRC2:TGID_X_EN: 1
; COMPUTE_PGM_RSRC2:TGID_Y_EN: 0
; COMPUTE_PGM_RSRC2:TGID_Z_EN: 0
; COMPUTE_PGM_RSRC2:TIDIG_COMP_CNT: 0
	.section	.text._ZN7rocprim17ROCPRIM_400000_NS6detail17trampoline_kernelINS0_14default_configENS1_29reduce_by_key_config_selectorIffN6thrust23THRUST_200600_302600_NS4plusIfEEEEZZNS1_33reduce_by_key_impl_wrapped_configILNS1_25lookback_scan_determinismE1ES3_S9_NS6_6detail15normal_iteratorINS6_10device_ptrIfEEEESG_SG_SG_PmS8_NS6_8equal_toIfEEEE10hipError_tPvRmT2_T3_mT4_T5_T6_T7_T8_P12ihipStream_tbENKUlT_T0_E_clISt17integral_constantIbLb1EES10_IbLb0EEEEDaSW_SX_EUlSW_E_NS1_11comp_targetILNS1_3genE4ELNS1_11target_archE910ELNS1_3gpuE8ELNS1_3repE0EEENS1_30default_config_static_selectorELNS0_4arch9wavefront6targetE0EEEvT1_,"axG",@progbits,_ZN7rocprim17ROCPRIM_400000_NS6detail17trampoline_kernelINS0_14default_configENS1_29reduce_by_key_config_selectorIffN6thrust23THRUST_200600_302600_NS4plusIfEEEEZZNS1_33reduce_by_key_impl_wrapped_configILNS1_25lookback_scan_determinismE1ES3_S9_NS6_6detail15normal_iteratorINS6_10device_ptrIfEEEESG_SG_SG_PmS8_NS6_8equal_toIfEEEE10hipError_tPvRmT2_T3_mT4_T5_T6_T7_T8_P12ihipStream_tbENKUlT_T0_E_clISt17integral_constantIbLb1EES10_IbLb0EEEEDaSW_SX_EUlSW_E_NS1_11comp_targetILNS1_3genE4ELNS1_11target_archE910ELNS1_3gpuE8ELNS1_3repE0EEENS1_30default_config_static_selectorELNS0_4arch9wavefront6targetE0EEEvT1_,comdat
	.protected	_ZN7rocprim17ROCPRIM_400000_NS6detail17trampoline_kernelINS0_14default_configENS1_29reduce_by_key_config_selectorIffN6thrust23THRUST_200600_302600_NS4plusIfEEEEZZNS1_33reduce_by_key_impl_wrapped_configILNS1_25lookback_scan_determinismE1ES3_S9_NS6_6detail15normal_iteratorINS6_10device_ptrIfEEEESG_SG_SG_PmS8_NS6_8equal_toIfEEEE10hipError_tPvRmT2_T3_mT4_T5_T6_T7_T8_P12ihipStream_tbENKUlT_T0_E_clISt17integral_constantIbLb1EES10_IbLb0EEEEDaSW_SX_EUlSW_E_NS1_11comp_targetILNS1_3genE4ELNS1_11target_archE910ELNS1_3gpuE8ELNS1_3repE0EEENS1_30default_config_static_selectorELNS0_4arch9wavefront6targetE0EEEvT1_ ; -- Begin function _ZN7rocprim17ROCPRIM_400000_NS6detail17trampoline_kernelINS0_14default_configENS1_29reduce_by_key_config_selectorIffN6thrust23THRUST_200600_302600_NS4plusIfEEEEZZNS1_33reduce_by_key_impl_wrapped_configILNS1_25lookback_scan_determinismE1ES3_S9_NS6_6detail15normal_iteratorINS6_10device_ptrIfEEEESG_SG_SG_PmS8_NS6_8equal_toIfEEEE10hipError_tPvRmT2_T3_mT4_T5_T6_T7_T8_P12ihipStream_tbENKUlT_T0_E_clISt17integral_constantIbLb1EES10_IbLb0EEEEDaSW_SX_EUlSW_E_NS1_11comp_targetILNS1_3genE4ELNS1_11target_archE910ELNS1_3gpuE8ELNS1_3repE0EEENS1_30default_config_static_selectorELNS0_4arch9wavefront6targetE0EEEvT1_
	.globl	_ZN7rocprim17ROCPRIM_400000_NS6detail17trampoline_kernelINS0_14default_configENS1_29reduce_by_key_config_selectorIffN6thrust23THRUST_200600_302600_NS4plusIfEEEEZZNS1_33reduce_by_key_impl_wrapped_configILNS1_25lookback_scan_determinismE1ES3_S9_NS6_6detail15normal_iteratorINS6_10device_ptrIfEEEESG_SG_SG_PmS8_NS6_8equal_toIfEEEE10hipError_tPvRmT2_T3_mT4_T5_T6_T7_T8_P12ihipStream_tbENKUlT_T0_E_clISt17integral_constantIbLb1EES10_IbLb0EEEEDaSW_SX_EUlSW_E_NS1_11comp_targetILNS1_3genE4ELNS1_11target_archE910ELNS1_3gpuE8ELNS1_3repE0EEENS1_30default_config_static_selectorELNS0_4arch9wavefront6targetE0EEEvT1_
	.p2align	8
	.type	_ZN7rocprim17ROCPRIM_400000_NS6detail17trampoline_kernelINS0_14default_configENS1_29reduce_by_key_config_selectorIffN6thrust23THRUST_200600_302600_NS4plusIfEEEEZZNS1_33reduce_by_key_impl_wrapped_configILNS1_25lookback_scan_determinismE1ES3_S9_NS6_6detail15normal_iteratorINS6_10device_ptrIfEEEESG_SG_SG_PmS8_NS6_8equal_toIfEEEE10hipError_tPvRmT2_T3_mT4_T5_T6_T7_T8_P12ihipStream_tbENKUlT_T0_E_clISt17integral_constantIbLb1EES10_IbLb0EEEEDaSW_SX_EUlSW_E_NS1_11comp_targetILNS1_3genE4ELNS1_11target_archE910ELNS1_3gpuE8ELNS1_3repE0EEENS1_30default_config_static_selectorELNS0_4arch9wavefront6targetE0EEEvT1_,@function
_ZN7rocprim17ROCPRIM_400000_NS6detail17trampoline_kernelINS0_14default_configENS1_29reduce_by_key_config_selectorIffN6thrust23THRUST_200600_302600_NS4plusIfEEEEZZNS1_33reduce_by_key_impl_wrapped_configILNS1_25lookback_scan_determinismE1ES3_S9_NS6_6detail15normal_iteratorINS6_10device_ptrIfEEEESG_SG_SG_PmS8_NS6_8equal_toIfEEEE10hipError_tPvRmT2_T3_mT4_T5_T6_T7_T8_P12ihipStream_tbENKUlT_T0_E_clISt17integral_constantIbLb1EES10_IbLb0EEEEDaSW_SX_EUlSW_E_NS1_11comp_targetILNS1_3genE4ELNS1_11target_archE910ELNS1_3gpuE8ELNS1_3repE0EEENS1_30default_config_static_selectorELNS0_4arch9wavefront6targetE0EEEvT1_: ; @_ZN7rocprim17ROCPRIM_400000_NS6detail17trampoline_kernelINS0_14default_configENS1_29reduce_by_key_config_selectorIffN6thrust23THRUST_200600_302600_NS4plusIfEEEEZZNS1_33reduce_by_key_impl_wrapped_configILNS1_25lookback_scan_determinismE1ES3_S9_NS6_6detail15normal_iteratorINS6_10device_ptrIfEEEESG_SG_SG_PmS8_NS6_8equal_toIfEEEE10hipError_tPvRmT2_T3_mT4_T5_T6_T7_T8_P12ihipStream_tbENKUlT_T0_E_clISt17integral_constantIbLb1EES10_IbLb0EEEEDaSW_SX_EUlSW_E_NS1_11comp_targetILNS1_3genE4ELNS1_11target_archE910ELNS1_3gpuE8ELNS1_3repE0EEENS1_30default_config_static_selectorELNS0_4arch9wavefront6targetE0EEEvT1_
; %bb.0:
	.section	.rodata,"a",@progbits
	.p2align	6, 0x0
	.amdhsa_kernel _ZN7rocprim17ROCPRIM_400000_NS6detail17trampoline_kernelINS0_14default_configENS1_29reduce_by_key_config_selectorIffN6thrust23THRUST_200600_302600_NS4plusIfEEEEZZNS1_33reduce_by_key_impl_wrapped_configILNS1_25lookback_scan_determinismE1ES3_S9_NS6_6detail15normal_iteratorINS6_10device_ptrIfEEEESG_SG_SG_PmS8_NS6_8equal_toIfEEEE10hipError_tPvRmT2_T3_mT4_T5_T6_T7_T8_P12ihipStream_tbENKUlT_T0_E_clISt17integral_constantIbLb1EES10_IbLb0EEEEDaSW_SX_EUlSW_E_NS1_11comp_targetILNS1_3genE4ELNS1_11target_archE910ELNS1_3gpuE8ELNS1_3repE0EEENS1_30default_config_static_selectorELNS0_4arch9wavefront6targetE0EEEvT1_
		.amdhsa_group_segment_fixed_size 0
		.amdhsa_private_segment_fixed_size 0
		.amdhsa_kernarg_size 120
		.amdhsa_user_sgpr_count 15
		.amdhsa_user_sgpr_dispatch_ptr 0
		.amdhsa_user_sgpr_queue_ptr 0
		.amdhsa_user_sgpr_kernarg_segment_ptr 1
		.amdhsa_user_sgpr_dispatch_id 0
		.amdhsa_user_sgpr_private_segment_size 0
		.amdhsa_wavefront_size32 1
		.amdhsa_uses_dynamic_stack 0
		.amdhsa_enable_private_segment 0
		.amdhsa_system_sgpr_workgroup_id_x 1
		.amdhsa_system_sgpr_workgroup_id_y 0
		.amdhsa_system_sgpr_workgroup_id_z 0
		.amdhsa_system_sgpr_workgroup_info 0
		.amdhsa_system_vgpr_workitem_id 0
		.amdhsa_next_free_vgpr 1
		.amdhsa_next_free_sgpr 1
		.amdhsa_reserve_vcc 0
		.amdhsa_float_round_mode_32 0
		.amdhsa_float_round_mode_16_64 0
		.amdhsa_float_denorm_mode_32 3
		.amdhsa_float_denorm_mode_16_64 3
		.amdhsa_dx10_clamp 1
		.amdhsa_ieee_mode 1
		.amdhsa_fp16_overflow 0
		.amdhsa_workgroup_processor_mode 1
		.amdhsa_memory_ordered 1
		.amdhsa_forward_progress 0
		.amdhsa_shared_vgpr_count 0
		.amdhsa_exception_fp_ieee_invalid_op 0
		.amdhsa_exception_fp_denorm_src 0
		.amdhsa_exception_fp_ieee_div_zero 0
		.amdhsa_exception_fp_ieee_overflow 0
		.amdhsa_exception_fp_ieee_underflow 0
		.amdhsa_exception_fp_ieee_inexact 0
		.amdhsa_exception_int_div_zero 0
	.end_amdhsa_kernel
	.section	.text._ZN7rocprim17ROCPRIM_400000_NS6detail17trampoline_kernelINS0_14default_configENS1_29reduce_by_key_config_selectorIffN6thrust23THRUST_200600_302600_NS4plusIfEEEEZZNS1_33reduce_by_key_impl_wrapped_configILNS1_25lookback_scan_determinismE1ES3_S9_NS6_6detail15normal_iteratorINS6_10device_ptrIfEEEESG_SG_SG_PmS8_NS6_8equal_toIfEEEE10hipError_tPvRmT2_T3_mT4_T5_T6_T7_T8_P12ihipStream_tbENKUlT_T0_E_clISt17integral_constantIbLb1EES10_IbLb0EEEEDaSW_SX_EUlSW_E_NS1_11comp_targetILNS1_3genE4ELNS1_11target_archE910ELNS1_3gpuE8ELNS1_3repE0EEENS1_30default_config_static_selectorELNS0_4arch9wavefront6targetE0EEEvT1_,"axG",@progbits,_ZN7rocprim17ROCPRIM_400000_NS6detail17trampoline_kernelINS0_14default_configENS1_29reduce_by_key_config_selectorIffN6thrust23THRUST_200600_302600_NS4plusIfEEEEZZNS1_33reduce_by_key_impl_wrapped_configILNS1_25lookback_scan_determinismE1ES3_S9_NS6_6detail15normal_iteratorINS6_10device_ptrIfEEEESG_SG_SG_PmS8_NS6_8equal_toIfEEEE10hipError_tPvRmT2_T3_mT4_T5_T6_T7_T8_P12ihipStream_tbENKUlT_T0_E_clISt17integral_constantIbLb1EES10_IbLb0EEEEDaSW_SX_EUlSW_E_NS1_11comp_targetILNS1_3genE4ELNS1_11target_archE910ELNS1_3gpuE8ELNS1_3repE0EEENS1_30default_config_static_selectorELNS0_4arch9wavefront6targetE0EEEvT1_,comdat
.Lfunc_end111:
	.size	_ZN7rocprim17ROCPRIM_400000_NS6detail17trampoline_kernelINS0_14default_configENS1_29reduce_by_key_config_selectorIffN6thrust23THRUST_200600_302600_NS4plusIfEEEEZZNS1_33reduce_by_key_impl_wrapped_configILNS1_25lookback_scan_determinismE1ES3_S9_NS6_6detail15normal_iteratorINS6_10device_ptrIfEEEESG_SG_SG_PmS8_NS6_8equal_toIfEEEE10hipError_tPvRmT2_T3_mT4_T5_T6_T7_T8_P12ihipStream_tbENKUlT_T0_E_clISt17integral_constantIbLb1EES10_IbLb0EEEEDaSW_SX_EUlSW_E_NS1_11comp_targetILNS1_3genE4ELNS1_11target_archE910ELNS1_3gpuE8ELNS1_3repE0EEENS1_30default_config_static_selectorELNS0_4arch9wavefront6targetE0EEEvT1_, .Lfunc_end111-_ZN7rocprim17ROCPRIM_400000_NS6detail17trampoline_kernelINS0_14default_configENS1_29reduce_by_key_config_selectorIffN6thrust23THRUST_200600_302600_NS4plusIfEEEEZZNS1_33reduce_by_key_impl_wrapped_configILNS1_25lookback_scan_determinismE1ES3_S9_NS6_6detail15normal_iteratorINS6_10device_ptrIfEEEESG_SG_SG_PmS8_NS6_8equal_toIfEEEE10hipError_tPvRmT2_T3_mT4_T5_T6_T7_T8_P12ihipStream_tbENKUlT_T0_E_clISt17integral_constantIbLb1EES10_IbLb0EEEEDaSW_SX_EUlSW_E_NS1_11comp_targetILNS1_3genE4ELNS1_11target_archE910ELNS1_3gpuE8ELNS1_3repE0EEENS1_30default_config_static_selectorELNS0_4arch9wavefront6targetE0EEEvT1_
                                        ; -- End function
	.section	.AMDGPU.csdata,"",@progbits
; Kernel info:
; codeLenInByte = 0
; NumSgprs: 0
; NumVgprs: 0
; ScratchSize: 0
; MemoryBound: 0
; FloatMode: 240
; IeeeMode: 1
; LDSByteSize: 0 bytes/workgroup (compile time only)
; SGPRBlocks: 0
; VGPRBlocks: 0
; NumSGPRsForWavesPerEU: 1
; NumVGPRsForWavesPerEU: 1
; Occupancy: 16
; WaveLimiterHint : 0
; COMPUTE_PGM_RSRC2:SCRATCH_EN: 0
; COMPUTE_PGM_RSRC2:USER_SGPR: 15
; COMPUTE_PGM_RSRC2:TRAP_HANDLER: 0
; COMPUTE_PGM_RSRC2:TGID_X_EN: 1
; COMPUTE_PGM_RSRC2:TGID_Y_EN: 0
; COMPUTE_PGM_RSRC2:TGID_Z_EN: 0
; COMPUTE_PGM_RSRC2:TIDIG_COMP_CNT: 0
	.section	.text._ZN7rocprim17ROCPRIM_400000_NS6detail17trampoline_kernelINS0_14default_configENS1_29reduce_by_key_config_selectorIffN6thrust23THRUST_200600_302600_NS4plusIfEEEEZZNS1_33reduce_by_key_impl_wrapped_configILNS1_25lookback_scan_determinismE1ES3_S9_NS6_6detail15normal_iteratorINS6_10device_ptrIfEEEESG_SG_SG_PmS8_NS6_8equal_toIfEEEE10hipError_tPvRmT2_T3_mT4_T5_T6_T7_T8_P12ihipStream_tbENKUlT_T0_E_clISt17integral_constantIbLb1EES10_IbLb0EEEEDaSW_SX_EUlSW_E_NS1_11comp_targetILNS1_3genE3ELNS1_11target_archE908ELNS1_3gpuE7ELNS1_3repE0EEENS1_30default_config_static_selectorELNS0_4arch9wavefront6targetE0EEEvT1_,"axG",@progbits,_ZN7rocprim17ROCPRIM_400000_NS6detail17trampoline_kernelINS0_14default_configENS1_29reduce_by_key_config_selectorIffN6thrust23THRUST_200600_302600_NS4plusIfEEEEZZNS1_33reduce_by_key_impl_wrapped_configILNS1_25lookback_scan_determinismE1ES3_S9_NS6_6detail15normal_iteratorINS6_10device_ptrIfEEEESG_SG_SG_PmS8_NS6_8equal_toIfEEEE10hipError_tPvRmT2_T3_mT4_T5_T6_T7_T8_P12ihipStream_tbENKUlT_T0_E_clISt17integral_constantIbLb1EES10_IbLb0EEEEDaSW_SX_EUlSW_E_NS1_11comp_targetILNS1_3genE3ELNS1_11target_archE908ELNS1_3gpuE7ELNS1_3repE0EEENS1_30default_config_static_selectorELNS0_4arch9wavefront6targetE0EEEvT1_,comdat
	.protected	_ZN7rocprim17ROCPRIM_400000_NS6detail17trampoline_kernelINS0_14default_configENS1_29reduce_by_key_config_selectorIffN6thrust23THRUST_200600_302600_NS4plusIfEEEEZZNS1_33reduce_by_key_impl_wrapped_configILNS1_25lookback_scan_determinismE1ES3_S9_NS6_6detail15normal_iteratorINS6_10device_ptrIfEEEESG_SG_SG_PmS8_NS6_8equal_toIfEEEE10hipError_tPvRmT2_T3_mT4_T5_T6_T7_T8_P12ihipStream_tbENKUlT_T0_E_clISt17integral_constantIbLb1EES10_IbLb0EEEEDaSW_SX_EUlSW_E_NS1_11comp_targetILNS1_3genE3ELNS1_11target_archE908ELNS1_3gpuE7ELNS1_3repE0EEENS1_30default_config_static_selectorELNS0_4arch9wavefront6targetE0EEEvT1_ ; -- Begin function _ZN7rocprim17ROCPRIM_400000_NS6detail17trampoline_kernelINS0_14default_configENS1_29reduce_by_key_config_selectorIffN6thrust23THRUST_200600_302600_NS4plusIfEEEEZZNS1_33reduce_by_key_impl_wrapped_configILNS1_25lookback_scan_determinismE1ES3_S9_NS6_6detail15normal_iteratorINS6_10device_ptrIfEEEESG_SG_SG_PmS8_NS6_8equal_toIfEEEE10hipError_tPvRmT2_T3_mT4_T5_T6_T7_T8_P12ihipStream_tbENKUlT_T0_E_clISt17integral_constantIbLb1EES10_IbLb0EEEEDaSW_SX_EUlSW_E_NS1_11comp_targetILNS1_3genE3ELNS1_11target_archE908ELNS1_3gpuE7ELNS1_3repE0EEENS1_30default_config_static_selectorELNS0_4arch9wavefront6targetE0EEEvT1_
	.globl	_ZN7rocprim17ROCPRIM_400000_NS6detail17trampoline_kernelINS0_14default_configENS1_29reduce_by_key_config_selectorIffN6thrust23THRUST_200600_302600_NS4plusIfEEEEZZNS1_33reduce_by_key_impl_wrapped_configILNS1_25lookback_scan_determinismE1ES3_S9_NS6_6detail15normal_iteratorINS6_10device_ptrIfEEEESG_SG_SG_PmS8_NS6_8equal_toIfEEEE10hipError_tPvRmT2_T3_mT4_T5_T6_T7_T8_P12ihipStream_tbENKUlT_T0_E_clISt17integral_constantIbLb1EES10_IbLb0EEEEDaSW_SX_EUlSW_E_NS1_11comp_targetILNS1_3genE3ELNS1_11target_archE908ELNS1_3gpuE7ELNS1_3repE0EEENS1_30default_config_static_selectorELNS0_4arch9wavefront6targetE0EEEvT1_
	.p2align	8
	.type	_ZN7rocprim17ROCPRIM_400000_NS6detail17trampoline_kernelINS0_14default_configENS1_29reduce_by_key_config_selectorIffN6thrust23THRUST_200600_302600_NS4plusIfEEEEZZNS1_33reduce_by_key_impl_wrapped_configILNS1_25lookback_scan_determinismE1ES3_S9_NS6_6detail15normal_iteratorINS6_10device_ptrIfEEEESG_SG_SG_PmS8_NS6_8equal_toIfEEEE10hipError_tPvRmT2_T3_mT4_T5_T6_T7_T8_P12ihipStream_tbENKUlT_T0_E_clISt17integral_constantIbLb1EES10_IbLb0EEEEDaSW_SX_EUlSW_E_NS1_11comp_targetILNS1_3genE3ELNS1_11target_archE908ELNS1_3gpuE7ELNS1_3repE0EEENS1_30default_config_static_selectorELNS0_4arch9wavefront6targetE0EEEvT1_,@function
_ZN7rocprim17ROCPRIM_400000_NS6detail17trampoline_kernelINS0_14default_configENS1_29reduce_by_key_config_selectorIffN6thrust23THRUST_200600_302600_NS4plusIfEEEEZZNS1_33reduce_by_key_impl_wrapped_configILNS1_25lookback_scan_determinismE1ES3_S9_NS6_6detail15normal_iteratorINS6_10device_ptrIfEEEESG_SG_SG_PmS8_NS6_8equal_toIfEEEE10hipError_tPvRmT2_T3_mT4_T5_T6_T7_T8_P12ihipStream_tbENKUlT_T0_E_clISt17integral_constantIbLb1EES10_IbLb0EEEEDaSW_SX_EUlSW_E_NS1_11comp_targetILNS1_3genE3ELNS1_11target_archE908ELNS1_3gpuE7ELNS1_3repE0EEENS1_30default_config_static_selectorELNS0_4arch9wavefront6targetE0EEEvT1_: ; @_ZN7rocprim17ROCPRIM_400000_NS6detail17trampoline_kernelINS0_14default_configENS1_29reduce_by_key_config_selectorIffN6thrust23THRUST_200600_302600_NS4plusIfEEEEZZNS1_33reduce_by_key_impl_wrapped_configILNS1_25lookback_scan_determinismE1ES3_S9_NS6_6detail15normal_iteratorINS6_10device_ptrIfEEEESG_SG_SG_PmS8_NS6_8equal_toIfEEEE10hipError_tPvRmT2_T3_mT4_T5_T6_T7_T8_P12ihipStream_tbENKUlT_T0_E_clISt17integral_constantIbLb1EES10_IbLb0EEEEDaSW_SX_EUlSW_E_NS1_11comp_targetILNS1_3genE3ELNS1_11target_archE908ELNS1_3gpuE7ELNS1_3repE0EEENS1_30default_config_static_selectorELNS0_4arch9wavefront6targetE0EEEvT1_
; %bb.0:
	.section	.rodata,"a",@progbits
	.p2align	6, 0x0
	.amdhsa_kernel _ZN7rocprim17ROCPRIM_400000_NS6detail17trampoline_kernelINS0_14default_configENS1_29reduce_by_key_config_selectorIffN6thrust23THRUST_200600_302600_NS4plusIfEEEEZZNS1_33reduce_by_key_impl_wrapped_configILNS1_25lookback_scan_determinismE1ES3_S9_NS6_6detail15normal_iteratorINS6_10device_ptrIfEEEESG_SG_SG_PmS8_NS6_8equal_toIfEEEE10hipError_tPvRmT2_T3_mT4_T5_T6_T7_T8_P12ihipStream_tbENKUlT_T0_E_clISt17integral_constantIbLb1EES10_IbLb0EEEEDaSW_SX_EUlSW_E_NS1_11comp_targetILNS1_3genE3ELNS1_11target_archE908ELNS1_3gpuE7ELNS1_3repE0EEENS1_30default_config_static_selectorELNS0_4arch9wavefront6targetE0EEEvT1_
		.amdhsa_group_segment_fixed_size 0
		.amdhsa_private_segment_fixed_size 0
		.amdhsa_kernarg_size 120
		.amdhsa_user_sgpr_count 15
		.amdhsa_user_sgpr_dispatch_ptr 0
		.amdhsa_user_sgpr_queue_ptr 0
		.amdhsa_user_sgpr_kernarg_segment_ptr 1
		.amdhsa_user_sgpr_dispatch_id 0
		.amdhsa_user_sgpr_private_segment_size 0
		.amdhsa_wavefront_size32 1
		.amdhsa_uses_dynamic_stack 0
		.amdhsa_enable_private_segment 0
		.amdhsa_system_sgpr_workgroup_id_x 1
		.amdhsa_system_sgpr_workgroup_id_y 0
		.amdhsa_system_sgpr_workgroup_id_z 0
		.amdhsa_system_sgpr_workgroup_info 0
		.amdhsa_system_vgpr_workitem_id 0
		.amdhsa_next_free_vgpr 1
		.amdhsa_next_free_sgpr 1
		.amdhsa_reserve_vcc 0
		.amdhsa_float_round_mode_32 0
		.amdhsa_float_round_mode_16_64 0
		.amdhsa_float_denorm_mode_32 3
		.amdhsa_float_denorm_mode_16_64 3
		.amdhsa_dx10_clamp 1
		.amdhsa_ieee_mode 1
		.amdhsa_fp16_overflow 0
		.amdhsa_workgroup_processor_mode 1
		.amdhsa_memory_ordered 1
		.amdhsa_forward_progress 0
		.amdhsa_shared_vgpr_count 0
		.amdhsa_exception_fp_ieee_invalid_op 0
		.amdhsa_exception_fp_denorm_src 0
		.amdhsa_exception_fp_ieee_div_zero 0
		.amdhsa_exception_fp_ieee_overflow 0
		.amdhsa_exception_fp_ieee_underflow 0
		.amdhsa_exception_fp_ieee_inexact 0
		.amdhsa_exception_int_div_zero 0
	.end_amdhsa_kernel
	.section	.text._ZN7rocprim17ROCPRIM_400000_NS6detail17trampoline_kernelINS0_14default_configENS1_29reduce_by_key_config_selectorIffN6thrust23THRUST_200600_302600_NS4plusIfEEEEZZNS1_33reduce_by_key_impl_wrapped_configILNS1_25lookback_scan_determinismE1ES3_S9_NS6_6detail15normal_iteratorINS6_10device_ptrIfEEEESG_SG_SG_PmS8_NS6_8equal_toIfEEEE10hipError_tPvRmT2_T3_mT4_T5_T6_T7_T8_P12ihipStream_tbENKUlT_T0_E_clISt17integral_constantIbLb1EES10_IbLb0EEEEDaSW_SX_EUlSW_E_NS1_11comp_targetILNS1_3genE3ELNS1_11target_archE908ELNS1_3gpuE7ELNS1_3repE0EEENS1_30default_config_static_selectorELNS0_4arch9wavefront6targetE0EEEvT1_,"axG",@progbits,_ZN7rocprim17ROCPRIM_400000_NS6detail17trampoline_kernelINS0_14default_configENS1_29reduce_by_key_config_selectorIffN6thrust23THRUST_200600_302600_NS4plusIfEEEEZZNS1_33reduce_by_key_impl_wrapped_configILNS1_25lookback_scan_determinismE1ES3_S9_NS6_6detail15normal_iteratorINS6_10device_ptrIfEEEESG_SG_SG_PmS8_NS6_8equal_toIfEEEE10hipError_tPvRmT2_T3_mT4_T5_T6_T7_T8_P12ihipStream_tbENKUlT_T0_E_clISt17integral_constantIbLb1EES10_IbLb0EEEEDaSW_SX_EUlSW_E_NS1_11comp_targetILNS1_3genE3ELNS1_11target_archE908ELNS1_3gpuE7ELNS1_3repE0EEENS1_30default_config_static_selectorELNS0_4arch9wavefront6targetE0EEEvT1_,comdat
.Lfunc_end112:
	.size	_ZN7rocprim17ROCPRIM_400000_NS6detail17trampoline_kernelINS0_14default_configENS1_29reduce_by_key_config_selectorIffN6thrust23THRUST_200600_302600_NS4plusIfEEEEZZNS1_33reduce_by_key_impl_wrapped_configILNS1_25lookback_scan_determinismE1ES3_S9_NS6_6detail15normal_iteratorINS6_10device_ptrIfEEEESG_SG_SG_PmS8_NS6_8equal_toIfEEEE10hipError_tPvRmT2_T3_mT4_T5_T6_T7_T8_P12ihipStream_tbENKUlT_T0_E_clISt17integral_constantIbLb1EES10_IbLb0EEEEDaSW_SX_EUlSW_E_NS1_11comp_targetILNS1_3genE3ELNS1_11target_archE908ELNS1_3gpuE7ELNS1_3repE0EEENS1_30default_config_static_selectorELNS0_4arch9wavefront6targetE0EEEvT1_, .Lfunc_end112-_ZN7rocprim17ROCPRIM_400000_NS6detail17trampoline_kernelINS0_14default_configENS1_29reduce_by_key_config_selectorIffN6thrust23THRUST_200600_302600_NS4plusIfEEEEZZNS1_33reduce_by_key_impl_wrapped_configILNS1_25lookback_scan_determinismE1ES3_S9_NS6_6detail15normal_iteratorINS6_10device_ptrIfEEEESG_SG_SG_PmS8_NS6_8equal_toIfEEEE10hipError_tPvRmT2_T3_mT4_T5_T6_T7_T8_P12ihipStream_tbENKUlT_T0_E_clISt17integral_constantIbLb1EES10_IbLb0EEEEDaSW_SX_EUlSW_E_NS1_11comp_targetILNS1_3genE3ELNS1_11target_archE908ELNS1_3gpuE7ELNS1_3repE0EEENS1_30default_config_static_selectorELNS0_4arch9wavefront6targetE0EEEvT1_
                                        ; -- End function
	.section	.AMDGPU.csdata,"",@progbits
; Kernel info:
; codeLenInByte = 0
; NumSgprs: 0
; NumVgprs: 0
; ScratchSize: 0
; MemoryBound: 0
; FloatMode: 240
; IeeeMode: 1
; LDSByteSize: 0 bytes/workgroup (compile time only)
; SGPRBlocks: 0
; VGPRBlocks: 0
; NumSGPRsForWavesPerEU: 1
; NumVGPRsForWavesPerEU: 1
; Occupancy: 16
; WaveLimiterHint : 0
; COMPUTE_PGM_RSRC2:SCRATCH_EN: 0
; COMPUTE_PGM_RSRC2:USER_SGPR: 15
; COMPUTE_PGM_RSRC2:TRAP_HANDLER: 0
; COMPUTE_PGM_RSRC2:TGID_X_EN: 1
; COMPUTE_PGM_RSRC2:TGID_Y_EN: 0
; COMPUTE_PGM_RSRC2:TGID_Z_EN: 0
; COMPUTE_PGM_RSRC2:TIDIG_COMP_CNT: 0
	.section	.text._ZN7rocprim17ROCPRIM_400000_NS6detail17trampoline_kernelINS0_14default_configENS1_29reduce_by_key_config_selectorIffN6thrust23THRUST_200600_302600_NS4plusIfEEEEZZNS1_33reduce_by_key_impl_wrapped_configILNS1_25lookback_scan_determinismE1ES3_S9_NS6_6detail15normal_iteratorINS6_10device_ptrIfEEEESG_SG_SG_PmS8_NS6_8equal_toIfEEEE10hipError_tPvRmT2_T3_mT4_T5_T6_T7_T8_P12ihipStream_tbENKUlT_T0_E_clISt17integral_constantIbLb1EES10_IbLb0EEEEDaSW_SX_EUlSW_E_NS1_11comp_targetILNS1_3genE2ELNS1_11target_archE906ELNS1_3gpuE6ELNS1_3repE0EEENS1_30default_config_static_selectorELNS0_4arch9wavefront6targetE0EEEvT1_,"axG",@progbits,_ZN7rocprim17ROCPRIM_400000_NS6detail17trampoline_kernelINS0_14default_configENS1_29reduce_by_key_config_selectorIffN6thrust23THRUST_200600_302600_NS4plusIfEEEEZZNS1_33reduce_by_key_impl_wrapped_configILNS1_25lookback_scan_determinismE1ES3_S9_NS6_6detail15normal_iteratorINS6_10device_ptrIfEEEESG_SG_SG_PmS8_NS6_8equal_toIfEEEE10hipError_tPvRmT2_T3_mT4_T5_T6_T7_T8_P12ihipStream_tbENKUlT_T0_E_clISt17integral_constantIbLb1EES10_IbLb0EEEEDaSW_SX_EUlSW_E_NS1_11comp_targetILNS1_3genE2ELNS1_11target_archE906ELNS1_3gpuE6ELNS1_3repE0EEENS1_30default_config_static_selectorELNS0_4arch9wavefront6targetE0EEEvT1_,comdat
	.protected	_ZN7rocprim17ROCPRIM_400000_NS6detail17trampoline_kernelINS0_14default_configENS1_29reduce_by_key_config_selectorIffN6thrust23THRUST_200600_302600_NS4plusIfEEEEZZNS1_33reduce_by_key_impl_wrapped_configILNS1_25lookback_scan_determinismE1ES3_S9_NS6_6detail15normal_iteratorINS6_10device_ptrIfEEEESG_SG_SG_PmS8_NS6_8equal_toIfEEEE10hipError_tPvRmT2_T3_mT4_T5_T6_T7_T8_P12ihipStream_tbENKUlT_T0_E_clISt17integral_constantIbLb1EES10_IbLb0EEEEDaSW_SX_EUlSW_E_NS1_11comp_targetILNS1_3genE2ELNS1_11target_archE906ELNS1_3gpuE6ELNS1_3repE0EEENS1_30default_config_static_selectorELNS0_4arch9wavefront6targetE0EEEvT1_ ; -- Begin function _ZN7rocprim17ROCPRIM_400000_NS6detail17trampoline_kernelINS0_14default_configENS1_29reduce_by_key_config_selectorIffN6thrust23THRUST_200600_302600_NS4plusIfEEEEZZNS1_33reduce_by_key_impl_wrapped_configILNS1_25lookback_scan_determinismE1ES3_S9_NS6_6detail15normal_iteratorINS6_10device_ptrIfEEEESG_SG_SG_PmS8_NS6_8equal_toIfEEEE10hipError_tPvRmT2_T3_mT4_T5_T6_T7_T8_P12ihipStream_tbENKUlT_T0_E_clISt17integral_constantIbLb1EES10_IbLb0EEEEDaSW_SX_EUlSW_E_NS1_11comp_targetILNS1_3genE2ELNS1_11target_archE906ELNS1_3gpuE6ELNS1_3repE0EEENS1_30default_config_static_selectorELNS0_4arch9wavefront6targetE0EEEvT1_
	.globl	_ZN7rocprim17ROCPRIM_400000_NS6detail17trampoline_kernelINS0_14default_configENS1_29reduce_by_key_config_selectorIffN6thrust23THRUST_200600_302600_NS4plusIfEEEEZZNS1_33reduce_by_key_impl_wrapped_configILNS1_25lookback_scan_determinismE1ES3_S9_NS6_6detail15normal_iteratorINS6_10device_ptrIfEEEESG_SG_SG_PmS8_NS6_8equal_toIfEEEE10hipError_tPvRmT2_T3_mT4_T5_T6_T7_T8_P12ihipStream_tbENKUlT_T0_E_clISt17integral_constantIbLb1EES10_IbLb0EEEEDaSW_SX_EUlSW_E_NS1_11comp_targetILNS1_3genE2ELNS1_11target_archE906ELNS1_3gpuE6ELNS1_3repE0EEENS1_30default_config_static_selectorELNS0_4arch9wavefront6targetE0EEEvT1_
	.p2align	8
	.type	_ZN7rocprim17ROCPRIM_400000_NS6detail17trampoline_kernelINS0_14default_configENS1_29reduce_by_key_config_selectorIffN6thrust23THRUST_200600_302600_NS4plusIfEEEEZZNS1_33reduce_by_key_impl_wrapped_configILNS1_25lookback_scan_determinismE1ES3_S9_NS6_6detail15normal_iteratorINS6_10device_ptrIfEEEESG_SG_SG_PmS8_NS6_8equal_toIfEEEE10hipError_tPvRmT2_T3_mT4_T5_T6_T7_T8_P12ihipStream_tbENKUlT_T0_E_clISt17integral_constantIbLb1EES10_IbLb0EEEEDaSW_SX_EUlSW_E_NS1_11comp_targetILNS1_3genE2ELNS1_11target_archE906ELNS1_3gpuE6ELNS1_3repE0EEENS1_30default_config_static_selectorELNS0_4arch9wavefront6targetE0EEEvT1_,@function
_ZN7rocprim17ROCPRIM_400000_NS6detail17trampoline_kernelINS0_14default_configENS1_29reduce_by_key_config_selectorIffN6thrust23THRUST_200600_302600_NS4plusIfEEEEZZNS1_33reduce_by_key_impl_wrapped_configILNS1_25lookback_scan_determinismE1ES3_S9_NS6_6detail15normal_iteratorINS6_10device_ptrIfEEEESG_SG_SG_PmS8_NS6_8equal_toIfEEEE10hipError_tPvRmT2_T3_mT4_T5_T6_T7_T8_P12ihipStream_tbENKUlT_T0_E_clISt17integral_constantIbLb1EES10_IbLb0EEEEDaSW_SX_EUlSW_E_NS1_11comp_targetILNS1_3genE2ELNS1_11target_archE906ELNS1_3gpuE6ELNS1_3repE0EEENS1_30default_config_static_selectorELNS0_4arch9wavefront6targetE0EEEvT1_: ; @_ZN7rocprim17ROCPRIM_400000_NS6detail17trampoline_kernelINS0_14default_configENS1_29reduce_by_key_config_selectorIffN6thrust23THRUST_200600_302600_NS4plusIfEEEEZZNS1_33reduce_by_key_impl_wrapped_configILNS1_25lookback_scan_determinismE1ES3_S9_NS6_6detail15normal_iteratorINS6_10device_ptrIfEEEESG_SG_SG_PmS8_NS6_8equal_toIfEEEE10hipError_tPvRmT2_T3_mT4_T5_T6_T7_T8_P12ihipStream_tbENKUlT_T0_E_clISt17integral_constantIbLb1EES10_IbLb0EEEEDaSW_SX_EUlSW_E_NS1_11comp_targetILNS1_3genE2ELNS1_11target_archE906ELNS1_3gpuE6ELNS1_3repE0EEENS1_30default_config_static_selectorELNS0_4arch9wavefront6targetE0EEEvT1_
; %bb.0:
	.section	.rodata,"a",@progbits
	.p2align	6, 0x0
	.amdhsa_kernel _ZN7rocprim17ROCPRIM_400000_NS6detail17trampoline_kernelINS0_14default_configENS1_29reduce_by_key_config_selectorIffN6thrust23THRUST_200600_302600_NS4plusIfEEEEZZNS1_33reduce_by_key_impl_wrapped_configILNS1_25lookback_scan_determinismE1ES3_S9_NS6_6detail15normal_iteratorINS6_10device_ptrIfEEEESG_SG_SG_PmS8_NS6_8equal_toIfEEEE10hipError_tPvRmT2_T3_mT4_T5_T6_T7_T8_P12ihipStream_tbENKUlT_T0_E_clISt17integral_constantIbLb1EES10_IbLb0EEEEDaSW_SX_EUlSW_E_NS1_11comp_targetILNS1_3genE2ELNS1_11target_archE906ELNS1_3gpuE6ELNS1_3repE0EEENS1_30default_config_static_selectorELNS0_4arch9wavefront6targetE0EEEvT1_
		.amdhsa_group_segment_fixed_size 0
		.amdhsa_private_segment_fixed_size 0
		.amdhsa_kernarg_size 120
		.amdhsa_user_sgpr_count 15
		.amdhsa_user_sgpr_dispatch_ptr 0
		.amdhsa_user_sgpr_queue_ptr 0
		.amdhsa_user_sgpr_kernarg_segment_ptr 1
		.amdhsa_user_sgpr_dispatch_id 0
		.amdhsa_user_sgpr_private_segment_size 0
		.amdhsa_wavefront_size32 1
		.amdhsa_uses_dynamic_stack 0
		.amdhsa_enable_private_segment 0
		.amdhsa_system_sgpr_workgroup_id_x 1
		.amdhsa_system_sgpr_workgroup_id_y 0
		.amdhsa_system_sgpr_workgroup_id_z 0
		.amdhsa_system_sgpr_workgroup_info 0
		.amdhsa_system_vgpr_workitem_id 0
		.amdhsa_next_free_vgpr 1
		.amdhsa_next_free_sgpr 1
		.amdhsa_reserve_vcc 0
		.amdhsa_float_round_mode_32 0
		.amdhsa_float_round_mode_16_64 0
		.amdhsa_float_denorm_mode_32 3
		.amdhsa_float_denorm_mode_16_64 3
		.amdhsa_dx10_clamp 1
		.amdhsa_ieee_mode 1
		.amdhsa_fp16_overflow 0
		.amdhsa_workgroup_processor_mode 1
		.amdhsa_memory_ordered 1
		.amdhsa_forward_progress 0
		.amdhsa_shared_vgpr_count 0
		.amdhsa_exception_fp_ieee_invalid_op 0
		.amdhsa_exception_fp_denorm_src 0
		.amdhsa_exception_fp_ieee_div_zero 0
		.amdhsa_exception_fp_ieee_overflow 0
		.amdhsa_exception_fp_ieee_underflow 0
		.amdhsa_exception_fp_ieee_inexact 0
		.amdhsa_exception_int_div_zero 0
	.end_amdhsa_kernel
	.section	.text._ZN7rocprim17ROCPRIM_400000_NS6detail17trampoline_kernelINS0_14default_configENS1_29reduce_by_key_config_selectorIffN6thrust23THRUST_200600_302600_NS4plusIfEEEEZZNS1_33reduce_by_key_impl_wrapped_configILNS1_25lookback_scan_determinismE1ES3_S9_NS6_6detail15normal_iteratorINS6_10device_ptrIfEEEESG_SG_SG_PmS8_NS6_8equal_toIfEEEE10hipError_tPvRmT2_T3_mT4_T5_T6_T7_T8_P12ihipStream_tbENKUlT_T0_E_clISt17integral_constantIbLb1EES10_IbLb0EEEEDaSW_SX_EUlSW_E_NS1_11comp_targetILNS1_3genE2ELNS1_11target_archE906ELNS1_3gpuE6ELNS1_3repE0EEENS1_30default_config_static_selectorELNS0_4arch9wavefront6targetE0EEEvT1_,"axG",@progbits,_ZN7rocprim17ROCPRIM_400000_NS6detail17trampoline_kernelINS0_14default_configENS1_29reduce_by_key_config_selectorIffN6thrust23THRUST_200600_302600_NS4plusIfEEEEZZNS1_33reduce_by_key_impl_wrapped_configILNS1_25lookback_scan_determinismE1ES3_S9_NS6_6detail15normal_iteratorINS6_10device_ptrIfEEEESG_SG_SG_PmS8_NS6_8equal_toIfEEEE10hipError_tPvRmT2_T3_mT4_T5_T6_T7_T8_P12ihipStream_tbENKUlT_T0_E_clISt17integral_constantIbLb1EES10_IbLb0EEEEDaSW_SX_EUlSW_E_NS1_11comp_targetILNS1_3genE2ELNS1_11target_archE906ELNS1_3gpuE6ELNS1_3repE0EEENS1_30default_config_static_selectorELNS0_4arch9wavefront6targetE0EEEvT1_,comdat
.Lfunc_end113:
	.size	_ZN7rocprim17ROCPRIM_400000_NS6detail17trampoline_kernelINS0_14default_configENS1_29reduce_by_key_config_selectorIffN6thrust23THRUST_200600_302600_NS4plusIfEEEEZZNS1_33reduce_by_key_impl_wrapped_configILNS1_25lookback_scan_determinismE1ES3_S9_NS6_6detail15normal_iteratorINS6_10device_ptrIfEEEESG_SG_SG_PmS8_NS6_8equal_toIfEEEE10hipError_tPvRmT2_T3_mT4_T5_T6_T7_T8_P12ihipStream_tbENKUlT_T0_E_clISt17integral_constantIbLb1EES10_IbLb0EEEEDaSW_SX_EUlSW_E_NS1_11comp_targetILNS1_3genE2ELNS1_11target_archE906ELNS1_3gpuE6ELNS1_3repE0EEENS1_30default_config_static_selectorELNS0_4arch9wavefront6targetE0EEEvT1_, .Lfunc_end113-_ZN7rocprim17ROCPRIM_400000_NS6detail17trampoline_kernelINS0_14default_configENS1_29reduce_by_key_config_selectorIffN6thrust23THRUST_200600_302600_NS4plusIfEEEEZZNS1_33reduce_by_key_impl_wrapped_configILNS1_25lookback_scan_determinismE1ES3_S9_NS6_6detail15normal_iteratorINS6_10device_ptrIfEEEESG_SG_SG_PmS8_NS6_8equal_toIfEEEE10hipError_tPvRmT2_T3_mT4_T5_T6_T7_T8_P12ihipStream_tbENKUlT_T0_E_clISt17integral_constantIbLb1EES10_IbLb0EEEEDaSW_SX_EUlSW_E_NS1_11comp_targetILNS1_3genE2ELNS1_11target_archE906ELNS1_3gpuE6ELNS1_3repE0EEENS1_30default_config_static_selectorELNS0_4arch9wavefront6targetE0EEEvT1_
                                        ; -- End function
	.section	.AMDGPU.csdata,"",@progbits
; Kernel info:
; codeLenInByte = 0
; NumSgprs: 0
; NumVgprs: 0
; ScratchSize: 0
; MemoryBound: 0
; FloatMode: 240
; IeeeMode: 1
; LDSByteSize: 0 bytes/workgroup (compile time only)
; SGPRBlocks: 0
; VGPRBlocks: 0
; NumSGPRsForWavesPerEU: 1
; NumVGPRsForWavesPerEU: 1
; Occupancy: 16
; WaveLimiterHint : 0
; COMPUTE_PGM_RSRC2:SCRATCH_EN: 0
; COMPUTE_PGM_RSRC2:USER_SGPR: 15
; COMPUTE_PGM_RSRC2:TRAP_HANDLER: 0
; COMPUTE_PGM_RSRC2:TGID_X_EN: 1
; COMPUTE_PGM_RSRC2:TGID_Y_EN: 0
; COMPUTE_PGM_RSRC2:TGID_Z_EN: 0
; COMPUTE_PGM_RSRC2:TIDIG_COMP_CNT: 0
	.section	.text._ZN7rocprim17ROCPRIM_400000_NS6detail17trampoline_kernelINS0_14default_configENS1_29reduce_by_key_config_selectorIffN6thrust23THRUST_200600_302600_NS4plusIfEEEEZZNS1_33reduce_by_key_impl_wrapped_configILNS1_25lookback_scan_determinismE1ES3_S9_NS6_6detail15normal_iteratorINS6_10device_ptrIfEEEESG_SG_SG_PmS8_NS6_8equal_toIfEEEE10hipError_tPvRmT2_T3_mT4_T5_T6_T7_T8_P12ihipStream_tbENKUlT_T0_E_clISt17integral_constantIbLb1EES10_IbLb0EEEEDaSW_SX_EUlSW_E_NS1_11comp_targetILNS1_3genE10ELNS1_11target_archE1201ELNS1_3gpuE5ELNS1_3repE0EEENS1_30default_config_static_selectorELNS0_4arch9wavefront6targetE0EEEvT1_,"axG",@progbits,_ZN7rocprim17ROCPRIM_400000_NS6detail17trampoline_kernelINS0_14default_configENS1_29reduce_by_key_config_selectorIffN6thrust23THRUST_200600_302600_NS4plusIfEEEEZZNS1_33reduce_by_key_impl_wrapped_configILNS1_25lookback_scan_determinismE1ES3_S9_NS6_6detail15normal_iteratorINS6_10device_ptrIfEEEESG_SG_SG_PmS8_NS6_8equal_toIfEEEE10hipError_tPvRmT2_T3_mT4_T5_T6_T7_T8_P12ihipStream_tbENKUlT_T0_E_clISt17integral_constantIbLb1EES10_IbLb0EEEEDaSW_SX_EUlSW_E_NS1_11comp_targetILNS1_3genE10ELNS1_11target_archE1201ELNS1_3gpuE5ELNS1_3repE0EEENS1_30default_config_static_selectorELNS0_4arch9wavefront6targetE0EEEvT1_,comdat
	.protected	_ZN7rocprim17ROCPRIM_400000_NS6detail17trampoline_kernelINS0_14default_configENS1_29reduce_by_key_config_selectorIffN6thrust23THRUST_200600_302600_NS4plusIfEEEEZZNS1_33reduce_by_key_impl_wrapped_configILNS1_25lookback_scan_determinismE1ES3_S9_NS6_6detail15normal_iteratorINS6_10device_ptrIfEEEESG_SG_SG_PmS8_NS6_8equal_toIfEEEE10hipError_tPvRmT2_T3_mT4_T5_T6_T7_T8_P12ihipStream_tbENKUlT_T0_E_clISt17integral_constantIbLb1EES10_IbLb0EEEEDaSW_SX_EUlSW_E_NS1_11comp_targetILNS1_3genE10ELNS1_11target_archE1201ELNS1_3gpuE5ELNS1_3repE0EEENS1_30default_config_static_selectorELNS0_4arch9wavefront6targetE0EEEvT1_ ; -- Begin function _ZN7rocprim17ROCPRIM_400000_NS6detail17trampoline_kernelINS0_14default_configENS1_29reduce_by_key_config_selectorIffN6thrust23THRUST_200600_302600_NS4plusIfEEEEZZNS1_33reduce_by_key_impl_wrapped_configILNS1_25lookback_scan_determinismE1ES3_S9_NS6_6detail15normal_iteratorINS6_10device_ptrIfEEEESG_SG_SG_PmS8_NS6_8equal_toIfEEEE10hipError_tPvRmT2_T3_mT4_T5_T6_T7_T8_P12ihipStream_tbENKUlT_T0_E_clISt17integral_constantIbLb1EES10_IbLb0EEEEDaSW_SX_EUlSW_E_NS1_11comp_targetILNS1_3genE10ELNS1_11target_archE1201ELNS1_3gpuE5ELNS1_3repE0EEENS1_30default_config_static_selectorELNS0_4arch9wavefront6targetE0EEEvT1_
	.globl	_ZN7rocprim17ROCPRIM_400000_NS6detail17trampoline_kernelINS0_14default_configENS1_29reduce_by_key_config_selectorIffN6thrust23THRUST_200600_302600_NS4plusIfEEEEZZNS1_33reduce_by_key_impl_wrapped_configILNS1_25lookback_scan_determinismE1ES3_S9_NS6_6detail15normal_iteratorINS6_10device_ptrIfEEEESG_SG_SG_PmS8_NS6_8equal_toIfEEEE10hipError_tPvRmT2_T3_mT4_T5_T6_T7_T8_P12ihipStream_tbENKUlT_T0_E_clISt17integral_constantIbLb1EES10_IbLb0EEEEDaSW_SX_EUlSW_E_NS1_11comp_targetILNS1_3genE10ELNS1_11target_archE1201ELNS1_3gpuE5ELNS1_3repE0EEENS1_30default_config_static_selectorELNS0_4arch9wavefront6targetE0EEEvT1_
	.p2align	8
	.type	_ZN7rocprim17ROCPRIM_400000_NS6detail17trampoline_kernelINS0_14default_configENS1_29reduce_by_key_config_selectorIffN6thrust23THRUST_200600_302600_NS4plusIfEEEEZZNS1_33reduce_by_key_impl_wrapped_configILNS1_25lookback_scan_determinismE1ES3_S9_NS6_6detail15normal_iteratorINS6_10device_ptrIfEEEESG_SG_SG_PmS8_NS6_8equal_toIfEEEE10hipError_tPvRmT2_T3_mT4_T5_T6_T7_T8_P12ihipStream_tbENKUlT_T0_E_clISt17integral_constantIbLb1EES10_IbLb0EEEEDaSW_SX_EUlSW_E_NS1_11comp_targetILNS1_3genE10ELNS1_11target_archE1201ELNS1_3gpuE5ELNS1_3repE0EEENS1_30default_config_static_selectorELNS0_4arch9wavefront6targetE0EEEvT1_,@function
_ZN7rocprim17ROCPRIM_400000_NS6detail17trampoline_kernelINS0_14default_configENS1_29reduce_by_key_config_selectorIffN6thrust23THRUST_200600_302600_NS4plusIfEEEEZZNS1_33reduce_by_key_impl_wrapped_configILNS1_25lookback_scan_determinismE1ES3_S9_NS6_6detail15normal_iteratorINS6_10device_ptrIfEEEESG_SG_SG_PmS8_NS6_8equal_toIfEEEE10hipError_tPvRmT2_T3_mT4_T5_T6_T7_T8_P12ihipStream_tbENKUlT_T0_E_clISt17integral_constantIbLb1EES10_IbLb0EEEEDaSW_SX_EUlSW_E_NS1_11comp_targetILNS1_3genE10ELNS1_11target_archE1201ELNS1_3gpuE5ELNS1_3repE0EEENS1_30default_config_static_selectorELNS0_4arch9wavefront6targetE0EEEvT1_: ; @_ZN7rocprim17ROCPRIM_400000_NS6detail17trampoline_kernelINS0_14default_configENS1_29reduce_by_key_config_selectorIffN6thrust23THRUST_200600_302600_NS4plusIfEEEEZZNS1_33reduce_by_key_impl_wrapped_configILNS1_25lookback_scan_determinismE1ES3_S9_NS6_6detail15normal_iteratorINS6_10device_ptrIfEEEESG_SG_SG_PmS8_NS6_8equal_toIfEEEE10hipError_tPvRmT2_T3_mT4_T5_T6_T7_T8_P12ihipStream_tbENKUlT_T0_E_clISt17integral_constantIbLb1EES10_IbLb0EEEEDaSW_SX_EUlSW_E_NS1_11comp_targetILNS1_3genE10ELNS1_11target_archE1201ELNS1_3gpuE5ELNS1_3repE0EEENS1_30default_config_static_selectorELNS0_4arch9wavefront6targetE0EEEvT1_
; %bb.0:
	.section	.rodata,"a",@progbits
	.p2align	6, 0x0
	.amdhsa_kernel _ZN7rocprim17ROCPRIM_400000_NS6detail17trampoline_kernelINS0_14default_configENS1_29reduce_by_key_config_selectorIffN6thrust23THRUST_200600_302600_NS4plusIfEEEEZZNS1_33reduce_by_key_impl_wrapped_configILNS1_25lookback_scan_determinismE1ES3_S9_NS6_6detail15normal_iteratorINS6_10device_ptrIfEEEESG_SG_SG_PmS8_NS6_8equal_toIfEEEE10hipError_tPvRmT2_T3_mT4_T5_T6_T7_T8_P12ihipStream_tbENKUlT_T0_E_clISt17integral_constantIbLb1EES10_IbLb0EEEEDaSW_SX_EUlSW_E_NS1_11comp_targetILNS1_3genE10ELNS1_11target_archE1201ELNS1_3gpuE5ELNS1_3repE0EEENS1_30default_config_static_selectorELNS0_4arch9wavefront6targetE0EEEvT1_
		.amdhsa_group_segment_fixed_size 0
		.amdhsa_private_segment_fixed_size 0
		.amdhsa_kernarg_size 120
		.amdhsa_user_sgpr_count 15
		.amdhsa_user_sgpr_dispatch_ptr 0
		.amdhsa_user_sgpr_queue_ptr 0
		.amdhsa_user_sgpr_kernarg_segment_ptr 1
		.amdhsa_user_sgpr_dispatch_id 0
		.amdhsa_user_sgpr_private_segment_size 0
		.amdhsa_wavefront_size32 1
		.amdhsa_uses_dynamic_stack 0
		.amdhsa_enable_private_segment 0
		.amdhsa_system_sgpr_workgroup_id_x 1
		.amdhsa_system_sgpr_workgroup_id_y 0
		.amdhsa_system_sgpr_workgroup_id_z 0
		.amdhsa_system_sgpr_workgroup_info 0
		.amdhsa_system_vgpr_workitem_id 0
		.amdhsa_next_free_vgpr 1
		.amdhsa_next_free_sgpr 1
		.amdhsa_reserve_vcc 0
		.amdhsa_float_round_mode_32 0
		.amdhsa_float_round_mode_16_64 0
		.amdhsa_float_denorm_mode_32 3
		.amdhsa_float_denorm_mode_16_64 3
		.amdhsa_dx10_clamp 1
		.amdhsa_ieee_mode 1
		.amdhsa_fp16_overflow 0
		.amdhsa_workgroup_processor_mode 1
		.amdhsa_memory_ordered 1
		.amdhsa_forward_progress 0
		.amdhsa_shared_vgpr_count 0
		.amdhsa_exception_fp_ieee_invalid_op 0
		.amdhsa_exception_fp_denorm_src 0
		.amdhsa_exception_fp_ieee_div_zero 0
		.amdhsa_exception_fp_ieee_overflow 0
		.amdhsa_exception_fp_ieee_underflow 0
		.amdhsa_exception_fp_ieee_inexact 0
		.amdhsa_exception_int_div_zero 0
	.end_amdhsa_kernel
	.section	.text._ZN7rocprim17ROCPRIM_400000_NS6detail17trampoline_kernelINS0_14default_configENS1_29reduce_by_key_config_selectorIffN6thrust23THRUST_200600_302600_NS4plusIfEEEEZZNS1_33reduce_by_key_impl_wrapped_configILNS1_25lookback_scan_determinismE1ES3_S9_NS6_6detail15normal_iteratorINS6_10device_ptrIfEEEESG_SG_SG_PmS8_NS6_8equal_toIfEEEE10hipError_tPvRmT2_T3_mT4_T5_T6_T7_T8_P12ihipStream_tbENKUlT_T0_E_clISt17integral_constantIbLb1EES10_IbLb0EEEEDaSW_SX_EUlSW_E_NS1_11comp_targetILNS1_3genE10ELNS1_11target_archE1201ELNS1_3gpuE5ELNS1_3repE0EEENS1_30default_config_static_selectorELNS0_4arch9wavefront6targetE0EEEvT1_,"axG",@progbits,_ZN7rocprim17ROCPRIM_400000_NS6detail17trampoline_kernelINS0_14default_configENS1_29reduce_by_key_config_selectorIffN6thrust23THRUST_200600_302600_NS4plusIfEEEEZZNS1_33reduce_by_key_impl_wrapped_configILNS1_25lookback_scan_determinismE1ES3_S9_NS6_6detail15normal_iteratorINS6_10device_ptrIfEEEESG_SG_SG_PmS8_NS6_8equal_toIfEEEE10hipError_tPvRmT2_T3_mT4_T5_T6_T7_T8_P12ihipStream_tbENKUlT_T0_E_clISt17integral_constantIbLb1EES10_IbLb0EEEEDaSW_SX_EUlSW_E_NS1_11comp_targetILNS1_3genE10ELNS1_11target_archE1201ELNS1_3gpuE5ELNS1_3repE0EEENS1_30default_config_static_selectorELNS0_4arch9wavefront6targetE0EEEvT1_,comdat
.Lfunc_end114:
	.size	_ZN7rocprim17ROCPRIM_400000_NS6detail17trampoline_kernelINS0_14default_configENS1_29reduce_by_key_config_selectorIffN6thrust23THRUST_200600_302600_NS4plusIfEEEEZZNS1_33reduce_by_key_impl_wrapped_configILNS1_25lookback_scan_determinismE1ES3_S9_NS6_6detail15normal_iteratorINS6_10device_ptrIfEEEESG_SG_SG_PmS8_NS6_8equal_toIfEEEE10hipError_tPvRmT2_T3_mT4_T5_T6_T7_T8_P12ihipStream_tbENKUlT_T0_E_clISt17integral_constantIbLb1EES10_IbLb0EEEEDaSW_SX_EUlSW_E_NS1_11comp_targetILNS1_3genE10ELNS1_11target_archE1201ELNS1_3gpuE5ELNS1_3repE0EEENS1_30default_config_static_selectorELNS0_4arch9wavefront6targetE0EEEvT1_, .Lfunc_end114-_ZN7rocprim17ROCPRIM_400000_NS6detail17trampoline_kernelINS0_14default_configENS1_29reduce_by_key_config_selectorIffN6thrust23THRUST_200600_302600_NS4plusIfEEEEZZNS1_33reduce_by_key_impl_wrapped_configILNS1_25lookback_scan_determinismE1ES3_S9_NS6_6detail15normal_iteratorINS6_10device_ptrIfEEEESG_SG_SG_PmS8_NS6_8equal_toIfEEEE10hipError_tPvRmT2_T3_mT4_T5_T6_T7_T8_P12ihipStream_tbENKUlT_T0_E_clISt17integral_constantIbLb1EES10_IbLb0EEEEDaSW_SX_EUlSW_E_NS1_11comp_targetILNS1_3genE10ELNS1_11target_archE1201ELNS1_3gpuE5ELNS1_3repE0EEENS1_30default_config_static_selectorELNS0_4arch9wavefront6targetE0EEEvT1_
                                        ; -- End function
	.section	.AMDGPU.csdata,"",@progbits
; Kernel info:
; codeLenInByte = 0
; NumSgprs: 0
; NumVgprs: 0
; ScratchSize: 0
; MemoryBound: 0
; FloatMode: 240
; IeeeMode: 1
; LDSByteSize: 0 bytes/workgroup (compile time only)
; SGPRBlocks: 0
; VGPRBlocks: 0
; NumSGPRsForWavesPerEU: 1
; NumVGPRsForWavesPerEU: 1
; Occupancy: 16
; WaveLimiterHint : 0
; COMPUTE_PGM_RSRC2:SCRATCH_EN: 0
; COMPUTE_PGM_RSRC2:USER_SGPR: 15
; COMPUTE_PGM_RSRC2:TRAP_HANDLER: 0
; COMPUTE_PGM_RSRC2:TGID_X_EN: 1
; COMPUTE_PGM_RSRC2:TGID_Y_EN: 0
; COMPUTE_PGM_RSRC2:TGID_Z_EN: 0
; COMPUTE_PGM_RSRC2:TIDIG_COMP_CNT: 0
	.section	.text._ZN7rocprim17ROCPRIM_400000_NS6detail17trampoline_kernelINS0_14default_configENS1_29reduce_by_key_config_selectorIffN6thrust23THRUST_200600_302600_NS4plusIfEEEEZZNS1_33reduce_by_key_impl_wrapped_configILNS1_25lookback_scan_determinismE1ES3_S9_NS6_6detail15normal_iteratorINS6_10device_ptrIfEEEESG_SG_SG_PmS8_NS6_8equal_toIfEEEE10hipError_tPvRmT2_T3_mT4_T5_T6_T7_T8_P12ihipStream_tbENKUlT_T0_E_clISt17integral_constantIbLb1EES10_IbLb0EEEEDaSW_SX_EUlSW_E_NS1_11comp_targetILNS1_3genE10ELNS1_11target_archE1200ELNS1_3gpuE4ELNS1_3repE0EEENS1_30default_config_static_selectorELNS0_4arch9wavefront6targetE0EEEvT1_,"axG",@progbits,_ZN7rocprim17ROCPRIM_400000_NS6detail17trampoline_kernelINS0_14default_configENS1_29reduce_by_key_config_selectorIffN6thrust23THRUST_200600_302600_NS4plusIfEEEEZZNS1_33reduce_by_key_impl_wrapped_configILNS1_25lookback_scan_determinismE1ES3_S9_NS6_6detail15normal_iteratorINS6_10device_ptrIfEEEESG_SG_SG_PmS8_NS6_8equal_toIfEEEE10hipError_tPvRmT2_T3_mT4_T5_T6_T7_T8_P12ihipStream_tbENKUlT_T0_E_clISt17integral_constantIbLb1EES10_IbLb0EEEEDaSW_SX_EUlSW_E_NS1_11comp_targetILNS1_3genE10ELNS1_11target_archE1200ELNS1_3gpuE4ELNS1_3repE0EEENS1_30default_config_static_selectorELNS0_4arch9wavefront6targetE0EEEvT1_,comdat
	.protected	_ZN7rocprim17ROCPRIM_400000_NS6detail17trampoline_kernelINS0_14default_configENS1_29reduce_by_key_config_selectorIffN6thrust23THRUST_200600_302600_NS4plusIfEEEEZZNS1_33reduce_by_key_impl_wrapped_configILNS1_25lookback_scan_determinismE1ES3_S9_NS6_6detail15normal_iteratorINS6_10device_ptrIfEEEESG_SG_SG_PmS8_NS6_8equal_toIfEEEE10hipError_tPvRmT2_T3_mT4_T5_T6_T7_T8_P12ihipStream_tbENKUlT_T0_E_clISt17integral_constantIbLb1EES10_IbLb0EEEEDaSW_SX_EUlSW_E_NS1_11comp_targetILNS1_3genE10ELNS1_11target_archE1200ELNS1_3gpuE4ELNS1_3repE0EEENS1_30default_config_static_selectorELNS0_4arch9wavefront6targetE0EEEvT1_ ; -- Begin function _ZN7rocprim17ROCPRIM_400000_NS6detail17trampoline_kernelINS0_14default_configENS1_29reduce_by_key_config_selectorIffN6thrust23THRUST_200600_302600_NS4plusIfEEEEZZNS1_33reduce_by_key_impl_wrapped_configILNS1_25lookback_scan_determinismE1ES3_S9_NS6_6detail15normal_iteratorINS6_10device_ptrIfEEEESG_SG_SG_PmS8_NS6_8equal_toIfEEEE10hipError_tPvRmT2_T3_mT4_T5_T6_T7_T8_P12ihipStream_tbENKUlT_T0_E_clISt17integral_constantIbLb1EES10_IbLb0EEEEDaSW_SX_EUlSW_E_NS1_11comp_targetILNS1_3genE10ELNS1_11target_archE1200ELNS1_3gpuE4ELNS1_3repE0EEENS1_30default_config_static_selectorELNS0_4arch9wavefront6targetE0EEEvT1_
	.globl	_ZN7rocprim17ROCPRIM_400000_NS6detail17trampoline_kernelINS0_14default_configENS1_29reduce_by_key_config_selectorIffN6thrust23THRUST_200600_302600_NS4plusIfEEEEZZNS1_33reduce_by_key_impl_wrapped_configILNS1_25lookback_scan_determinismE1ES3_S9_NS6_6detail15normal_iteratorINS6_10device_ptrIfEEEESG_SG_SG_PmS8_NS6_8equal_toIfEEEE10hipError_tPvRmT2_T3_mT4_T5_T6_T7_T8_P12ihipStream_tbENKUlT_T0_E_clISt17integral_constantIbLb1EES10_IbLb0EEEEDaSW_SX_EUlSW_E_NS1_11comp_targetILNS1_3genE10ELNS1_11target_archE1200ELNS1_3gpuE4ELNS1_3repE0EEENS1_30default_config_static_selectorELNS0_4arch9wavefront6targetE0EEEvT1_
	.p2align	8
	.type	_ZN7rocprim17ROCPRIM_400000_NS6detail17trampoline_kernelINS0_14default_configENS1_29reduce_by_key_config_selectorIffN6thrust23THRUST_200600_302600_NS4plusIfEEEEZZNS1_33reduce_by_key_impl_wrapped_configILNS1_25lookback_scan_determinismE1ES3_S9_NS6_6detail15normal_iteratorINS6_10device_ptrIfEEEESG_SG_SG_PmS8_NS6_8equal_toIfEEEE10hipError_tPvRmT2_T3_mT4_T5_T6_T7_T8_P12ihipStream_tbENKUlT_T0_E_clISt17integral_constantIbLb1EES10_IbLb0EEEEDaSW_SX_EUlSW_E_NS1_11comp_targetILNS1_3genE10ELNS1_11target_archE1200ELNS1_3gpuE4ELNS1_3repE0EEENS1_30default_config_static_selectorELNS0_4arch9wavefront6targetE0EEEvT1_,@function
_ZN7rocprim17ROCPRIM_400000_NS6detail17trampoline_kernelINS0_14default_configENS1_29reduce_by_key_config_selectorIffN6thrust23THRUST_200600_302600_NS4plusIfEEEEZZNS1_33reduce_by_key_impl_wrapped_configILNS1_25lookback_scan_determinismE1ES3_S9_NS6_6detail15normal_iteratorINS6_10device_ptrIfEEEESG_SG_SG_PmS8_NS6_8equal_toIfEEEE10hipError_tPvRmT2_T3_mT4_T5_T6_T7_T8_P12ihipStream_tbENKUlT_T0_E_clISt17integral_constantIbLb1EES10_IbLb0EEEEDaSW_SX_EUlSW_E_NS1_11comp_targetILNS1_3genE10ELNS1_11target_archE1200ELNS1_3gpuE4ELNS1_3repE0EEENS1_30default_config_static_selectorELNS0_4arch9wavefront6targetE0EEEvT1_: ; @_ZN7rocprim17ROCPRIM_400000_NS6detail17trampoline_kernelINS0_14default_configENS1_29reduce_by_key_config_selectorIffN6thrust23THRUST_200600_302600_NS4plusIfEEEEZZNS1_33reduce_by_key_impl_wrapped_configILNS1_25lookback_scan_determinismE1ES3_S9_NS6_6detail15normal_iteratorINS6_10device_ptrIfEEEESG_SG_SG_PmS8_NS6_8equal_toIfEEEE10hipError_tPvRmT2_T3_mT4_T5_T6_T7_T8_P12ihipStream_tbENKUlT_T0_E_clISt17integral_constantIbLb1EES10_IbLb0EEEEDaSW_SX_EUlSW_E_NS1_11comp_targetILNS1_3genE10ELNS1_11target_archE1200ELNS1_3gpuE4ELNS1_3repE0EEENS1_30default_config_static_selectorELNS0_4arch9wavefront6targetE0EEEvT1_
; %bb.0:
	.section	.rodata,"a",@progbits
	.p2align	6, 0x0
	.amdhsa_kernel _ZN7rocprim17ROCPRIM_400000_NS6detail17trampoline_kernelINS0_14default_configENS1_29reduce_by_key_config_selectorIffN6thrust23THRUST_200600_302600_NS4plusIfEEEEZZNS1_33reduce_by_key_impl_wrapped_configILNS1_25lookback_scan_determinismE1ES3_S9_NS6_6detail15normal_iteratorINS6_10device_ptrIfEEEESG_SG_SG_PmS8_NS6_8equal_toIfEEEE10hipError_tPvRmT2_T3_mT4_T5_T6_T7_T8_P12ihipStream_tbENKUlT_T0_E_clISt17integral_constantIbLb1EES10_IbLb0EEEEDaSW_SX_EUlSW_E_NS1_11comp_targetILNS1_3genE10ELNS1_11target_archE1200ELNS1_3gpuE4ELNS1_3repE0EEENS1_30default_config_static_selectorELNS0_4arch9wavefront6targetE0EEEvT1_
		.amdhsa_group_segment_fixed_size 0
		.amdhsa_private_segment_fixed_size 0
		.amdhsa_kernarg_size 120
		.amdhsa_user_sgpr_count 15
		.amdhsa_user_sgpr_dispatch_ptr 0
		.amdhsa_user_sgpr_queue_ptr 0
		.amdhsa_user_sgpr_kernarg_segment_ptr 1
		.amdhsa_user_sgpr_dispatch_id 0
		.amdhsa_user_sgpr_private_segment_size 0
		.amdhsa_wavefront_size32 1
		.amdhsa_uses_dynamic_stack 0
		.amdhsa_enable_private_segment 0
		.amdhsa_system_sgpr_workgroup_id_x 1
		.amdhsa_system_sgpr_workgroup_id_y 0
		.amdhsa_system_sgpr_workgroup_id_z 0
		.amdhsa_system_sgpr_workgroup_info 0
		.amdhsa_system_vgpr_workitem_id 0
		.amdhsa_next_free_vgpr 1
		.amdhsa_next_free_sgpr 1
		.amdhsa_reserve_vcc 0
		.amdhsa_float_round_mode_32 0
		.amdhsa_float_round_mode_16_64 0
		.amdhsa_float_denorm_mode_32 3
		.amdhsa_float_denorm_mode_16_64 3
		.amdhsa_dx10_clamp 1
		.amdhsa_ieee_mode 1
		.amdhsa_fp16_overflow 0
		.amdhsa_workgroup_processor_mode 1
		.amdhsa_memory_ordered 1
		.amdhsa_forward_progress 0
		.amdhsa_shared_vgpr_count 0
		.amdhsa_exception_fp_ieee_invalid_op 0
		.amdhsa_exception_fp_denorm_src 0
		.amdhsa_exception_fp_ieee_div_zero 0
		.amdhsa_exception_fp_ieee_overflow 0
		.amdhsa_exception_fp_ieee_underflow 0
		.amdhsa_exception_fp_ieee_inexact 0
		.amdhsa_exception_int_div_zero 0
	.end_amdhsa_kernel
	.section	.text._ZN7rocprim17ROCPRIM_400000_NS6detail17trampoline_kernelINS0_14default_configENS1_29reduce_by_key_config_selectorIffN6thrust23THRUST_200600_302600_NS4plusIfEEEEZZNS1_33reduce_by_key_impl_wrapped_configILNS1_25lookback_scan_determinismE1ES3_S9_NS6_6detail15normal_iteratorINS6_10device_ptrIfEEEESG_SG_SG_PmS8_NS6_8equal_toIfEEEE10hipError_tPvRmT2_T3_mT4_T5_T6_T7_T8_P12ihipStream_tbENKUlT_T0_E_clISt17integral_constantIbLb1EES10_IbLb0EEEEDaSW_SX_EUlSW_E_NS1_11comp_targetILNS1_3genE10ELNS1_11target_archE1200ELNS1_3gpuE4ELNS1_3repE0EEENS1_30default_config_static_selectorELNS0_4arch9wavefront6targetE0EEEvT1_,"axG",@progbits,_ZN7rocprim17ROCPRIM_400000_NS6detail17trampoline_kernelINS0_14default_configENS1_29reduce_by_key_config_selectorIffN6thrust23THRUST_200600_302600_NS4plusIfEEEEZZNS1_33reduce_by_key_impl_wrapped_configILNS1_25lookback_scan_determinismE1ES3_S9_NS6_6detail15normal_iteratorINS6_10device_ptrIfEEEESG_SG_SG_PmS8_NS6_8equal_toIfEEEE10hipError_tPvRmT2_T3_mT4_T5_T6_T7_T8_P12ihipStream_tbENKUlT_T0_E_clISt17integral_constantIbLb1EES10_IbLb0EEEEDaSW_SX_EUlSW_E_NS1_11comp_targetILNS1_3genE10ELNS1_11target_archE1200ELNS1_3gpuE4ELNS1_3repE0EEENS1_30default_config_static_selectorELNS0_4arch9wavefront6targetE0EEEvT1_,comdat
.Lfunc_end115:
	.size	_ZN7rocprim17ROCPRIM_400000_NS6detail17trampoline_kernelINS0_14default_configENS1_29reduce_by_key_config_selectorIffN6thrust23THRUST_200600_302600_NS4plusIfEEEEZZNS1_33reduce_by_key_impl_wrapped_configILNS1_25lookback_scan_determinismE1ES3_S9_NS6_6detail15normal_iteratorINS6_10device_ptrIfEEEESG_SG_SG_PmS8_NS6_8equal_toIfEEEE10hipError_tPvRmT2_T3_mT4_T5_T6_T7_T8_P12ihipStream_tbENKUlT_T0_E_clISt17integral_constantIbLb1EES10_IbLb0EEEEDaSW_SX_EUlSW_E_NS1_11comp_targetILNS1_3genE10ELNS1_11target_archE1200ELNS1_3gpuE4ELNS1_3repE0EEENS1_30default_config_static_selectorELNS0_4arch9wavefront6targetE0EEEvT1_, .Lfunc_end115-_ZN7rocprim17ROCPRIM_400000_NS6detail17trampoline_kernelINS0_14default_configENS1_29reduce_by_key_config_selectorIffN6thrust23THRUST_200600_302600_NS4plusIfEEEEZZNS1_33reduce_by_key_impl_wrapped_configILNS1_25lookback_scan_determinismE1ES3_S9_NS6_6detail15normal_iteratorINS6_10device_ptrIfEEEESG_SG_SG_PmS8_NS6_8equal_toIfEEEE10hipError_tPvRmT2_T3_mT4_T5_T6_T7_T8_P12ihipStream_tbENKUlT_T0_E_clISt17integral_constantIbLb1EES10_IbLb0EEEEDaSW_SX_EUlSW_E_NS1_11comp_targetILNS1_3genE10ELNS1_11target_archE1200ELNS1_3gpuE4ELNS1_3repE0EEENS1_30default_config_static_selectorELNS0_4arch9wavefront6targetE0EEEvT1_
                                        ; -- End function
	.section	.AMDGPU.csdata,"",@progbits
; Kernel info:
; codeLenInByte = 0
; NumSgprs: 0
; NumVgprs: 0
; ScratchSize: 0
; MemoryBound: 0
; FloatMode: 240
; IeeeMode: 1
; LDSByteSize: 0 bytes/workgroup (compile time only)
; SGPRBlocks: 0
; VGPRBlocks: 0
; NumSGPRsForWavesPerEU: 1
; NumVGPRsForWavesPerEU: 1
; Occupancy: 16
; WaveLimiterHint : 0
; COMPUTE_PGM_RSRC2:SCRATCH_EN: 0
; COMPUTE_PGM_RSRC2:USER_SGPR: 15
; COMPUTE_PGM_RSRC2:TRAP_HANDLER: 0
; COMPUTE_PGM_RSRC2:TGID_X_EN: 1
; COMPUTE_PGM_RSRC2:TGID_Y_EN: 0
; COMPUTE_PGM_RSRC2:TGID_Z_EN: 0
; COMPUTE_PGM_RSRC2:TIDIG_COMP_CNT: 0
	.section	.text._ZN7rocprim17ROCPRIM_400000_NS6detail17trampoline_kernelINS0_14default_configENS1_29reduce_by_key_config_selectorIffN6thrust23THRUST_200600_302600_NS4plusIfEEEEZZNS1_33reduce_by_key_impl_wrapped_configILNS1_25lookback_scan_determinismE1ES3_S9_NS6_6detail15normal_iteratorINS6_10device_ptrIfEEEESG_SG_SG_PmS8_NS6_8equal_toIfEEEE10hipError_tPvRmT2_T3_mT4_T5_T6_T7_T8_P12ihipStream_tbENKUlT_T0_E_clISt17integral_constantIbLb1EES10_IbLb0EEEEDaSW_SX_EUlSW_E_NS1_11comp_targetILNS1_3genE9ELNS1_11target_archE1100ELNS1_3gpuE3ELNS1_3repE0EEENS1_30default_config_static_selectorELNS0_4arch9wavefront6targetE0EEEvT1_,"axG",@progbits,_ZN7rocprim17ROCPRIM_400000_NS6detail17trampoline_kernelINS0_14default_configENS1_29reduce_by_key_config_selectorIffN6thrust23THRUST_200600_302600_NS4plusIfEEEEZZNS1_33reduce_by_key_impl_wrapped_configILNS1_25lookback_scan_determinismE1ES3_S9_NS6_6detail15normal_iteratorINS6_10device_ptrIfEEEESG_SG_SG_PmS8_NS6_8equal_toIfEEEE10hipError_tPvRmT2_T3_mT4_T5_T6_T7_T8_P12ihipStream_tbENKUlT_T0_E_clISt17integral_constantIbLb1EES10_IbLb0EEEEDaSW_SX_EUlSW_E_NS1_11comp_targetILNS1_3genE9ELNS1_11target_archE1100ELNS1_3gpuE3ELNS1_3repE0EEENS1_30default_config_static_selectorELNS0_4arch9wavefront6targetE0EEEvT1_,comdat
	.protected	_ZN7rocprim17ROCPRIM_400000_NS6detail17trampoline_kernelINS0_14default_configENS1_29reduce_by_key_config_selectorIffN6thrust23THRUST_200600_302600_NS4plusIfEEEEZZNS1_33reduce_by_key_impl_wrapped_configILNS1_25lookback_scan_determinismE1ES3_S9_NS6_6detail15normal_iteratorINS6_10device_ptrIfEEEESG_SG_SG_PmS8_NS6_8equal_toIfEEEE10hipError_tPvRmT2_T3_mT4_T5_T6_T7_T8_P12ihipStream_tbENKUlT_T0_E_clISt17integral_constantIbLb1EES10_IbLb0EEEEDaSW_SX_EUlSW_E_NS1_11comp_targetILNS1_3genE9ELNS1_11target_archE1100ELNS1_3gpuE3ELNS1_3repE0EEENS1_30default_config_static_selectorELNS0_4arch9wavefront6targetE0EEEvT1_ ; -- Begin function _ZN7rocprim17ROCPRIM_400000_NS6detail17trampoline_kernelINS0_14default_configENS1_29reduce_by_key_config_selectorIffN6thrust23THRUST_200600_302600_NS4plusIfEEEEZZNS1_33reduce_by_key_impl_wrapped_configILNS1_25lookback_scan_determinismE1ES3_S9_NS6_6detail15normal_iteratorINS6_10device_ptrIfEEEESG_SG_SG_PmS8_NS6_8equal_toIfEEEE10hipError_tPvRmT2_T3_mT4_T5_T6_T7_T8_P12ihipStream_tbENKUlT_T0_E_clISt17integral_constantIbLb1EES10_IbLb0EEEEDaSW_SX_EUlSW_E_NS1_11comp_targetILNS1_3genE9ELNS1_11target_archE1100ELNS1_3gpuE3ELNS1_3repE0EEENS1_30default_config_static_selectorELNS0_4arch9wavefront6targetE0EEEvT1_
	.globl	_ZN7rocprim17ROCPRIM_400000_NS6detail17trampoline_kernelINS0_14default_configENS1_29reduce_by_key_config_selectorIffN6thrust23THRUST_200600_302600_NS4plusIfEEEEZZNS1_33reduce_by_key_impl_wrapped_configILNS1_25lookback_scan_determinismE1ES3_S9_NS6_6detail15normal_iteratorINS6_10device_ptrIfEEEESG_SG_SG_PmS8_NS6_8equal_toIfEEEE10hipError_tPvRmT2_T3_mT4_T5_T6_T7_T8_P12ihipStream_tbENKUlT_T0_E_clISt17integral_constantIbLb1EES10_IbLb0EEEEDaSW_SX_EUlSW_E_NS1_11comp_targetILNS1_3genE9ELNS1_11target_archE1100ELNS1_3gpuE3ELNS1_3repE0EEENS1_30default_config_static_selectorELNS0_4arch9wavefront6targetE0EEEvT1_
	.p2align	8
	.type	_ZN7rocprim17ROCPRIM_400000_NS6detail17trampoline_kernelINS0_14default_configENS1_29reduce_by_key_config_selectorIffN6thrust23THRUST_200600_302600_NS4plusIfEEEEZZNS1_33reduce_by_key_impl_wrapped_configILNS1_25lookback_scan_determinismE1ES3_S9_NS6_6detail15normal_iteratorINS6_10device_ptrIfEEEESG_SG_SG_PmS8_NS6_8equal_toIfEEEE10hipError_tPvRmT2_T3_mT4_T5_T6_T7_T8_P12ihipStream_tbENKUlT_T0_E_clISt17integral_constantIbLb1EES10_IbLb0EEEEDaSW_SX_EUlSW_E_NS1_11comp_targetILNS1_3genE9ELNS1_11target_archE1100ELNS1_3gpuE3ELNS1_3repE0EEENS1_30default_config_static_selectorELNS0_4arch9wavefront6targetE0EEEvT1_,@function
_ZN7rocprim17ROCPRIM_400000_NS6detail17trampoline_kernelINS0_14default_configENS1_29reduce_by_key_config_selectorIffN6thrust23THRUST_200600_302600_NS4plusIfEEEEZZNS1_33reduce_by_key_impl_wrapped_configILNS1_25lookback_scan_determinismE1ES3_S9_NS6_6detail15normal_iteratorINS6_10device_ptrIfEEEESG_SG_SG_PmS8_NS6_8equal_toIfEEEE10hipError_tPvRmT2_T3_mT4_T5_T6_T7_T8_P12ihipStream_tbENKUlT_T0_E_clISt17integral_constantIbLb1EES10_IbLb0EEEEDaSW_SX_EUlSW_E_NS1_11comp_targetILNS1_3genE9ELNS1_11target_archE1100ELNS1_3gpuE3ELNS1_3repE0EEENS1_30default_config_static_selectorELNS0_4arch9wavefront6targetE0EEEvT1_: ; @_ZN7rocprim17ROCPRIM_400000_NS6detail17trampoline_kernelINS0_14default_configENS1_29reduce_by_key_config_selectorIffN6thrust23THRUST_200600_302600_NS4plusIfEEEEZZNS1_33reduce_by_key_impl_wrapped_configILNS1_25lookback_scan_determinismE1ES3_S9_NS6_6detail15normal_iteratorINS6_10device_ptrIfEEEESG_SG_SG_PmS8_NS6_8equal_toIfEEEE10hipError_tPvRmT2_T3_mT4_T5_T6_T7_T8_P12ihipStream_tbENKUlT_T0_E_clISt17integral_constantIbLb1EES10_IbLb0EEEEDaSW_SX_EUlSW_E_NS1_11comp_targetILNS1_3genE9ELNS1_11target_archE1100ELNS1_3gpuE3ELNS1_3repE0EEENS1_30default_config_static_selectorELNS0_4arch9wavefront6targetE0EEEvT1_
; %bb.0:
	s_clause 0x4
	s_load_b256 s[20:27], s[0:1], 0x0
	s_load_b256 s[36:43], s[0:1], 0x38
	s_load_b128 s[28:31], s[0:1], 0x20
	s_load_b64 s[34:35], s[0:1], 0x68
	s_load_b128 s[44:47], s[0:1], 0x58
	s_mov_b32 s3, 0
	s_mul_i32 s2, s15, 0xf00
	s_waitcnt lgkmcnt(0)
	s_lshl_b64 s[0:1], s[22:23], 2
	s_mul_i32 s4, s40, s39
	s_add_u32 s8, s20, s0
	s_mul_hi_u32 s5, s40, s38
	s_addc_u32 s9, s21, s1
	s_add_u32 s10, s24, s0
	s_mul_i32 s6, s41, s38
	s_addc_u32 s11, s25, s1
	s_add_i32 s4, s5, s4
	s_lshl_b64 s[0:1], s[2:3], 2
	s_add_i32 s4, s4, s6
	s_add_u32 s18, s8, s0
	s_addc_u32 s14, s9, s1
	s_mul_i32 s7, s40, s38
	s_add_u32 s20, s10, s0
	s_addc_u32 s21, s11, s1
	s_add_u32 s16, s7, s15
	s_addc_u32 s17, s4, 0
	s_add_u32 s0, s42, -1
	s_addc_u32 s1, s43, -1
	s_mul_i32 s33, s0, 0xfffff100
	s_cmp_eq_u64 s[16:17], s[0:1]
	s_cselect_b32 s23, -1, 0
	s_cmp_lg_u64 s[16:17], s[0:1]
	s_cselect_b32 s19, -1, 0
	s_and_b32 vcc_lo, exec_lo, s23
	s_cbranch_vccnz .LBB116_2
; %bb.1:
	v_lshlrev_b32_e32 v8, 2, v0
	s_delay_alu instid0(VALU_DEP_1) | instskip(NEXT) | instid1(VALU_DEP_1)
	v_add_co_u32 v1, s0, s18, v8
	v_add_co_ci_u32_e64 v2, null, s14, 0, s0
	s_delay_alu instid0(VALU_DEP_2) | instskip(NEXT) | instid1(VALU_DEP_2)
	v_add_co_u32 v3, vcc_lo, 0x1000, v1
	v_add_co_ci_u32_e32 v4, vcc_lo, 0, v2, vcc_lo
	s_clause 0x7
	flat_load_b32 v9, v[1:2]
	flat_load_b32 v10, v[1:2] offset:1024
	flat_load_b32 v11, v[1:2] offset:2048
	;; [unrolled: 1-line block ×3, first 2 shown]
	flat_load_b32 v13, v[3:4]
	flat_load_b32 v14, v[3:4] offset:1024
	flat_load_b32 v15, v[3:4] offset:2048
	;; [unrolled: 1-line block ×3, first 2 shown]
	v_add_co_u32 v3, vcc_lo, 0x2000, v1
	v_add_co_ci_u32_e32 v4, vcc_lo, 0, v2, vcc_lo
	v_add_co_u32 v1, vcc_lo, 0x3000, v1
	v_add_co_ci_u32_e32 v2, vcc_lo, 0, v2, vcc_lo
	s_clause 0x6
	flat_load_b32 v17, v[3:4]
	flat_load_b32 v18, v[3:4] offset:1024
	flat_load_b32 v19, v[3:4] offset:2048
	;; [unrolled: 1-line block ×3, first 2 shown]
	flat_load_b32 v21, v[1:2]
	flat_load_b32 v22, v[1:2] offset:1024
	flat_load_b32 v25, v[1:2] offset:2048
	v_add_co_u32 v2, s0, s20, v8
	s_delay_alu instid0(VALU_DEP_1) | instskip(SKIP_1) | instid1(VALU_DEP_3)
	v_add_co_ci_u32_e64 v3, null, s21, 0, s0
	v_mad_u32_u24 v1, v0, 56, v8
	v_add_co_u32 v4, vcc_lo, 0x1000, v2
	s_delay_alu instid0(VALU_DEP_3)
	v_add_co_ci_u32_e32 v5, vcc_lo, 0, v3, vcc_lo
	v_add_co_u32 v6, vcc_lo, 0x2000, v2
	v_add_co_ci_u32_e32 v7, vcc_lo, 0, v3, vcc_lo
	v_add_co_u32 v23, vcc_lo, 0x3000, v2
	v_add_co_ci_u32_e32 v24, vcc_lo, 0, v3, vcc_lo
	s_waitcnt vmcnt(13) lgkmcnt(13)
	ds_store_2addr_stride64_b32 v8, v9, v10 offset1:4
	s_waitcnt vmcnt(11) lgkmcnt(12)
	ds_store_2addr_stride64_b32 v8, v11, v12 offset0:8 offset1:12
	s_waitcnt vmcnt(9) lgkmcnt(11)
	ds_store_2addr_stride64_b32 v8, v13, v14 offset0:16 offset1:20
	;; [unrolled: 2-line block ×6, first 2 shown]
	s_waitcnt vmcnt(0) lgkmcnt(7)
	ds_store_b32 v8, v25 offset:14336
	s_waitcnt lgkmcnt(0)
	s_barrier
	buffer_gl0_inv
	ds_load_2addr_b32 v[21:22], v1 offset1:1
	ds_load_2addr_b32 v[19:20], v1 offset0:2 offset1:3
	ds_load_2addr_b32 v[17:18], v1 offset0:4 offset1:5
	;; [unrolled: 1-line block ×6, first 2 shown]
	ds_load_b32 v43, v1 offset:56
	s_waitcnt lgkmcnt(0)
	s_barrier
	buffer_gl0_inv
	s_clause 0xe
	flat_load_b32 v25, v[2:3]
	flat_load_b32 v26, v[2:3] offset:1024
	flat_load_b32 v27, v[2:3] offset:2048
	flat_load_b32 v2, v[2:3] offset:3072
	flat_load_b32 v3, v[4:5]
	flat_load_b32 v28, v[4:5] offset:1024
	flat_load_b32 v29, v[4:5] offset:2048
	flat_load_b32 v4, v[4:5] offset:3072
	;; [unrolled: 4-line block ×3, first 2 shown]
	flat_load_b32 v7, v[23:24]
	flat_load_b32 v32, v[23:24] offset:1024
	flat_load_b32 v23, v[23:24] offset:2048
	s_waitcnt vmcnt(13) lgkmcnt(13)
	ds_store_2addr_stride64_b32 v8, v25, v26 offset1:4
	s_waitcnt vmcnt(11) lgkmcnt(12)
	ds_store_2addr_stride64_b32 v8, v27, v2 offset0:8 offset1:12
	s_waitcnt vmcnt(9) lgkmcnt(11)
	ds_store_2addr_stride64_b32 v8, v3, v28 offset0:16 offset1:20
	s_waitcnt vmcnt(7) lgkmcnt(10)
	ds_store_2addr_stride64_b32 v8, v29, v4 offset0:24 offset1:28
	s_waitcnt vmcnt(5) lgkmcnt(9)
	ds_store_2addr_stride64_b32 v8, v5, v30 offset0:32 offset1:36
	s_waitcnt vmcnt(3) lgkmcnt(8)
	ds_store_2addr_stride64_b32 v8, v31, v6 offset0:40 offset1:44
	s_waitcnt vmcnt(1) lgkmcnt(7)
	ds_store_2addr_stride64_b32 v8, v7, v32 offset0:48 offset1:52
	s_waitcnt vmcnt(0) lgkmcnt(7)
	ds_store_b32 v8, v23 offset:14336
	s_waitcnt lgkmcnt(0)
	s_barrier
	s_and_not1_b32 vcc_lo, exec_lo, s3
	s_add_i32 s33, s33, s44
	s_cbranch_vccz .LBB116_3
	s_branch .LBB116_50
.LBB116_2:
                                        ; implicit-def: $vgpr1
                                        ; implicit-def: $vgpr21
                                        ; implicit-def: $vgpr19
                                        ; implicit-def: $vgpr17
                                        ; implicit-def: $vgpr15
                                        ; implicit-def: $vgpr13
                                        ; implicit-def: $vgpr11
                                        ; implicit-def: $vgpr9
                                        ; implicit-def: $vgpr43
	s_add_i32 s33, s33, s44
.LBB116_3:
	s_delay_alu instid0(SALU_CYCLE_1)
	v_cmp_gt_u32_e32 vcc_lo, s33, v0
                                        ; implicit-def: $vgpr1
	s_and_saveexec_b32 s0, vcc_lo
	s_cbranch_execz .LBB116_5
; %bb.4:
	v_lshlrev_b32_e32 v1, 2, v0
	s_delay_alu instid0(VALU_DEP_1) | instskip(NEXT) | instid1(VALU_DEP_1)
	v_add_co_u32 v1, s1, s18, v1
	v_add_co_ci_u32_e64 v2, null, s14, 0, s1
	flat_load_b32 v1, v[1:2]
.LBB116_5:
	s_or_b32 exec_lo, exec_lo, s0
	v_or_b32_e32 v2, 0x100, v0
                                        ; implicit-def: $vgpr9
	s_delay_alu instid0(VALU_DEP_1) | instskip(NEXT) | instid1(VALU_DEP_1)
	v_cmp_gt_u32_e64 s0, s33, v2
	s_and_saveexec_b32 s1, s0
	s_cbranch_execz .LBB116_7
; %bb.6:
	v_lshlrev_b32_e32 v2, 2, v0
	s_delay_alu instid0(VALU_DEP_1) | instskip(NEXT) | instid1(VALU_DEP_1)
	v_add_co_u32 v2, s2, s18, v2
	v_add_co_ci_u32_e64 v3, null, s14, 0, s2
	flat_load_b32 v9, v[2:3] offset:1024
.LBB116_7:
	s_or_b32 exec_lo, exec_lo, s1
	v_or_b32_e32 v2, 0x200, v0
                                        ; implicit-def: $vgpr10
	s_delay_alu instid0(VALU_DEP_1) | instskip(NEXT) | instid1(VALU_DEP_1)
	v_cmp_gt_u32_e64 s1, s33, v2
	s_and_saveexec_b32 s2, s1
	s_cbranch_execz .LBB116_9
; %bb.8:
	v_lshlrev_b32_e32 v2, 2, v0
	s_delay_alu instid0(VALU_DEP_1) | instskip(NEXT) | instid1(VALU_DEP_1)
	v_add_co_u32 v2, s3, s18, v2
	v_add_co_ci_u32_e64 v3, null, s14, 0, s3
	flat_load_b32 v10, v[2:3] offset:2048
.LBB116_9:
	s_or_b32 exec_lo, exec_lo, s2
	v_or_b32_e32 v2, 0x300, v0
                                        ; implicit-def: $vgpr11
	s_delay_alu instid0(VALU_DEP_1) | instskip(NEXT) | instid1(VALU_DEP_1)
	v_cmp_gt_u32_e64 s2, s33, v2
	s_and_saveexec_b32 s3, s2
	s_cbranch_execz .LBB116_11
; %bb.10:
	v_lshlrev_b32_e32 v2, 2, v0
	s_delay_alu instid0(VALU_DEP_1) | instskip(NEXT) | instid1(VALU_DEP_1)
	v_add_co_u32 v2, s4, s18, v2
	v_add_co_ci_u32_e64 v3, null, s14, 0, s4
	flat_load_b32 v11, v[2:3] offset:3072
.LBB116_11:
	s_or_b32 exec_lo, exec_lo, s3
	v_or_b32_e32 v2, 0x400, v0
                                        ; implicit-def: $vgpr12
	s_delay_alu instid0(VALU_DEP_1) | instskip(NEXT) | instid1(VALU_DEP_1)
	v_cmp_gt_u32_e64 s3, s33, v2
	s_and_saveexec_b32 s4, s3
	s_cbranch_execz .LBB116_13
; %bb.12:
	v_lshlrev_b32_e32 v3, 2, v2
	s_delay_alu instid0(VALU_DEP_1) | instskip(NEXT) | instid1(VALU_DEP_1)
	v_add_co_u32 v3, s5, s18, v3
	v_add_co_ci_u32_e64 v4, null, s14, 0, s5
	flat_load_b32 v12, v[3:4]
.LBB116_13:
	s_or_b32 exec_lo, exec_lo, s4
	v_or_b32_e32 v3, 0x500, v0
                                        ; implicit-def: $vgpr13
	s_delay_alu instid0(VALU_DEP_1) | instskip(NEXT) | instid1(VALU_DEP_1)
	v_cmp_gt_u32_e64 s4, s33, v3
	s_and_saveexec_b32 s5, s4
	s_cbranch_execz .LBB116_15
; %bb.14:
	v_lshlrev_b32_e32 v4, 2, v3
	s_delay_alu instid0(VALU_DEP_1) | instskip(NEXT) | instid1(VALU_DEP_1)
	v_add_co_u32 v4, s6, s18, v4
	v_add_co_ci_u32_e64 v5, null, s14, 0, s6
	flat_load_b32 v13, v[4:5]
.LBB116_15:
	s_or_b32 exec_lo, exec_lo, s5
	v_or_b32_e32 v4, 0x600, v0
                                        ; implicit-def: $vgpr14
	s_delay_alu instid0(VALU_DEP_1) | instskip(NEXT) | instid1(VALU_DEP_1)
	v_cmp_gt_u32_e64 s5, s33, v4
	s_and_saveexec_b32 s6, s5
	s_cbranch_execz .LBB116_17
; %bb.16:
	v_lshlrev_b32_e32 v5, 2, v4
	s_delay_alu instid0(VALU_DEP_1) | instskip(NEXT) | instid1(VALU_DEP_1)
	v_add_co_u32 v5, s7, s18, v5
	v_add_co_ci_u32_e64 v6, null, s14, 0, s7
	flat_load_b32 v14, v[5:6]
.LBB116_17:
	s_or_b32 exec_lo, exec_lo, s6
	v_or_b32_e32 v5, 0x700, v0
                                        ; implicit-def: $vgpr15
	s_delay_alu instid0(VALU_DEP_1) | instskip(NEXT) | instid1(VALU_DEP_1)
	v_cmp_gt_u32_e64 s6, s33, v5
	s_and_saveexec_b32 s7, s6
	s_cbranch_execz .LBB116_19
; %bb.18:
	v_lshlrev_b32_e32 v6, 2, v5
	s_delay_alu instid0(VALU_DEP_1) | instskip(NEXT) | instid1(VALU_DEP_1)
	v_add_co_u32 v6, s8, s18, v6
	v_add_co_ci_u32_e64 v7, null, s14, 0, s8
	flat_load_b32 v15, v[6:7]
.LBB116_19:
	s_or_b32 exec_lo, exec_lo, s7
	v_or_b32_e32 v6, 0x800, v0
                                        ; implicit-def: $vgpr16
	s_delay_alu instid0(VALU_DEP_1) | instskip(NEXT) | instid1(VALU_DEP_1)
	v_cmp_gt_u32_e64 s7, s33, v6
	s_and_saveexec_b32 s8, s7
	s_cbranch_execz .LBB116_21
; %bb.20:
	v_lshlrev_b32_e32 v7, 2, v6
	s_delay_alu instid0(VALU_DEP_1) | instskip(NEXT) | instid1(VALU_DEP_1)
	v_add_co_u32 v7, s9, s18, v7
	v_add_co_ci_u32_e64 v8, null, s14, 0, s9
	flat_load_b32 v16, v[7:8]
.LBB116_21:
	s_or_b32 exec_lo, exec_lo, s8
	v_or_b32_e32 v8, 0x900, v0
                                        ; implicit-def: $vgpr17
	s_delay_alu instid0(VALU_DEP_1) | instskip(NEXT) | instid1(VALU_DEP_1)
	v_cmp_gt_u32_e64 s8, s33, v8
	s_and_saveexec_b32 s9, s8
	s_cbranch_execz .LBB116_23
; %bb.22:
	v_lshlrev_b32_e32 v7, 2, v8
	s_delay_alu instid0(VALU_DEP_1) | instskip(NEXT) | instid1(VALU_DEP_1)
	v_add_co_u32 v17, s10, s18, v7
	v_add_co_ci_u32_e64 v18, null, s14, 0, s10
	flat_load_b32 v17, v[17:18]
.LBB116_23:
	s_or_b32 exec_lo, exec_lo, s9
	v_or_b32_e32 v23, 0xa00, v0
                                        ; implicit-def: $vgpr18
	s_delay_alu instid0(VALU_DEP_1) | instskip(NEXT) | instid1(VALU_DEP_1)
	v_cmp_gt_u32_e64 s9, s33, v23
	s_and_saveexec_b32 s10, s9
	s_cbranch_execz .LBB116_25
; %bb.24:
	v_lshlrev_b32_e32 v7, 2, v23
	s_delay_alu instid0(VALU_DEP_1) | instskip(NEXT) | instid1(VALU_DEP_1)
	v_add_co_u32 v18, s11, s18, v7
	v_add_co_ci_u32_e64 v19, null, s14, 0, s11
	flat_load_b32 v18, v[18:19]
.LBB116_25:
	s_or_b32 exec_lo, exec_lo, s10
	v_or_b32_e32 v24, 0xb00, v0
                                        ; implicit-def: $vgpr19
	s_delay_alu instid0(VALU_DEP_1) | instskip(NEXT) | instid1(VALU_DEP_1)
	v_cmp_gt_u32_e64 s10, s33, v24
	s_and_saveexec_b32 s11, s10
	s_cbranch_execz .LBB116_27
; %bb.26:
	v_lshlrev_b32_e32 v7, 2, v24
	s_delay_alu instid0(VALU_DEP_1) | instskip(NEXT) | instid1(VALU_DEP_1)
	v_add_co_u32 v19, s12, s18, v7
	v_add_co_ci_u32_e64 v20, null, s14, 0, s12
	flat_load_b32 v19, v[19:20]
.LBB116_27:
	s_or_b32 exec_lo, exec_lo, s11
	v_or_b32_e32 v25, 0xc00, v0
                                        ; implicit-def: $vgpr20
	s_delay_alu instid0(VALU_DEP_1) | instskip(NEXT) | instid1(VALU_DEP_1)
	v_cmp_gt_u32_e64 s11, s33, v25
	s_and_saveexec_b32 s12, s11
	s_cbranch_execz .LBB116_29
; %bb.28:
	v_lshlrev_b32_e32 v7, 2, v25
	s_delay_alu instid0(VALU_DEP_1) | instskip(NEXT) | instid1(VALU_DEP_1)
	v_add_co_u32 v20, s13, s18, v7
	v_add_co_ci_u32_e64 v21, null, s14, 0, s13
	flat_load_b32 v20, v[20:21]
.LBB116_29:
	s_or_b32 exec_lo, exec_lo, s12
	v_or_b32_e32 v26, 0xd00, v0
                                        ; implicit-def: $vgpr21
	s_delay_alu instid0(VALU_DEP_1) | instskip(NEXT) | instid1(VALU_DEP_1)
	v_cmp_gt_u32_e64 s12, s33, v26
	s_and_saveexec_b32 s13, s12
	s_cbranch_execz .LBB116_31
; %bb.30:
	v_lshlrev_b32_e32 v7, 2, v26
	s_delay_alu instid0(VALU_DEP_1) | instskip(NEXT) | instid1(VALU_DEP_1)
	v_add_co_u32 v21, s22, s18, v7
	v_add_co_ci_u32_e64 v22, null, s14, 0, s22
	flat_load_b32 v21, v[21:22]
.LBB116_31:
	s_or_b32 exec_lo, exec_lo, s13
	v_or_b32_e32 v27, 0xe00, v0
                                        ; implicit-def: $vgpr22
	s_delay_alu instid0(VALU_DEP_1) | instskip(NEXT) | instid1(VALU_DEP_1)
	v_cmp_gt_u32_e64 s13, s33, v27
	s_and_saveexec_b32 s22, s13
	s_cbranch_execz .LBB116_33
; %bb.32:
	v_lshlrev_b32_e32 v7, 2, v27
	s_delay_alu instid0(VALU_DEP_1) | instskip(NEXT) | instid1(VALU_DEP_1)
	v_add_co_u32 v28, s24, s18, v7
	v_add_co_ci_u32_e64 v29, null, s14, 0, s24
	flat_load_b32 v22, v[28:29]
.LBB116_33:
	s_or_b32 exec_lo, exec_lo, s22
	v_lshlrev_b32_e32 v7, 2, v0
                                        ; implicit-def: $vgpr28
	s_waitcnt vmcnt(0) lgkmcnt(0)
	ds_store_2addr_stride64_b32 v7, v1, v9 offset1:4
	ds_store_2addr_stride64_b32 v7, v10, v11 offset0:8 offset1:12
	ds_store_2addr_stride64_b32 v7, v12, v13 offset0:16 offset1:20
	;; [unrolled: 1-line block ×6, first 2 shown]
	v_mad_u32_u24 v1, v0, 56, v7
	ds_store_b32 v7, v22 offset:14336
	s_waitcnt lgkmcnt(0)
	s_barrier
	buffer_gl0_inv
	ds_load_2addr_b32 v[21:22], v1 offset1:1
	ds_load_2addr_b32 v[19:20], v1 offset0:2 offset1:3
	ds_load_2addr_b32 v[17:18], v1 offset0:4 offset1:5
	;; [unrolled: 1-line block ×6, first 2 shown]
	ds_load_b32 v43, v1 offset:56
	s_waitcnt lgkmcnt(0)
	s_barrier
	buffer_gl0_inv
	s_and_saveexec_b32 s22, vcc_lo
	s_cbranch_execz .LBB116_56
; %bb.34:
	v_add_co_u32 v28, s24, s20, v7
	s_delay_alu instid0(VALU_DEP_1)
	v_add_co_ci_u32_e64 v29, null, s21, 0, s24
	flat_load_b32 v28, v[28:29]
	s_or_b32 exec_lo, exec_lo, s22
                                        ; implicit-def: $vgpr29
	s_and_saveexec_b32 s22, s0
	s_cbranch_execnz .LBB116_57
.LBB116_35:
	s_or_b32 exec_lo, exec_lo, s22
                                        ; implicit-def: $vgpr30
	s_and_saveexec_b32 s0, s1
	s_cbranch_execz .LBB116_58
.LBB116_36:
	v_add_co_u32 v30, s1, s20, v7
	s_delay_alu instid0(VALU_DEP_1)
	v_add_co_ci_u32_e64 v31, null, s21, 0, s1
	flat_load_b32 v30, v[30:31] offset:2048
	s_or_b32 exec_lo, exec_lo, s0
                                        ; implicit-def: $vgpr31
	s_and_saveexec_b32 s0, s2
	s_cbranch_execnz .LBB116_59
.LBB116_37:
	s_or_b32 exec_lo, exec_lo, s0
                                        ; implicit-def: $vgpr32
	s_and_saveexec_b32 s0, s3
	s_cbranch_execz .LBB116_60
.LBB116_38:
	v_lshlrev_b32_e32 v2, 2, v2
	s_delay_alu instid0(VALU_DEP_1) | instskip(NEXT) | instid1(VALU_DEP_1)
	v_add_co_u32 v32, s1, s20, v2
	v_add_co_ci_u32_e64 v33, null, s21, 0, s1
	flat_load_b32 v32, v[32:33]
	s_or_b32 exec_lo, exec_lo, s0
                                        ; implicit-def: $vgpr2
	s_and_saveexec_b32 s0, s4
	s_cbranch_execnz .LBB116_61
.LBB116_39:
	s_or_b32 exec_lo, exec_lo, s0
                                        ; implicit-def: $vgpr3
	s_and_saveexec_b32 s0, s5
	s_cbranch_execz .LBB116_62
.LBB116_40:
	v_lshlrev_b32_e32 v3, 2, v4
	s_delay_alu instid0(VALU_DEP_1) | instskip(NEXT) | instid1(VALU_DEP_1)
	v_add_co_u32 v3, s1, s20, v3
	v_add_co_ci_u32_e64 v4, null, s21, 0, s1
	flat_load_b32 v3, v[3:4]
	s_or_b32 exec_lo, exec_lo, s0
                                        ; implicit-def: $vgpr4
	s_and_saveexec_b32 s0, s6
	s_cbranch_execnz .LBB116_63
.LBB116_41:
	s_or_b32 exec_lo, exec_lo, s0
                                        ; implicit-def: $vgpr5
	s_and_saveexec_b32 s0, s7
	s_cbranch_execz .LBB116_64
.LBB116_42:
	v_lshlrev_b32_e32 v5, 2, v6
	s_delay_alu instid0(VALU_DEP_1) | instskip(NEXT) | instid1(VALU_DEP_1)
	v_add_co_u32 v5, s1, s20, v5
	v_add_co_ci_u32_e64 v6, null, s21, 0, s1
	flat_load_b32 v5, v[5:6]
	s_or_b32 exec_lo, exec_lo, s0
                                        ; implicit-def: $vgpr6
	s_and_saveexec_b32 s0, s8
	s_cbranch_execnz .LBB116_65
.LBB116_43:
	s_or_b32 exec_lo, exec_lo, s0
                                        ; implicit-def: $vgpr8
	s_and_saveexec_b32 s0, s9
	s_cbranch_execz .LBB116_66
.LBB116_44:
	v_lshlrev_b32_e32 v8, 2, v23
	s_delay_alu instid0(VALU_DEP_1) | instskip(NEXT) | instid1(VALU_DEP_1)
	v_add_co_u32 v33, s1, s20, v8
	v_add_co_ci_u32_e64 v34, null, s21, 0, s1
	flat_load_b32 v8, v[33:34]
	s_or_b32 exec_lo, exec_lo, s0
                                        ; implicit-def: $vgpr23
	s_and_saveexec_b32 s0, s10
	s_cbranch_execnz .LBB116_67
.LBB116_45:
	s_or_b32 exec_lo, exec_lo, s0
                                        ; implicit-def: $vgpr24
	s_and_saveexec_b32 s0, s11
	s_cbranch_execz .LBB116_68
.LBB116_46:
	v_lshlrev_b32_e32 v24, 2, v25
	s_delay_alu instid0(VALU_DEP_1) | instskip(NEXT) | instid1(VALU_DEP_1)
	v_add_co_u32 v24, s1, s20, v24
	v_add_co_ci_u32_e64 v25, null, s21, 0, s1
	flat_load_b32 v24, v[24:25]
	s_or_b32 exec_lo, exec_lo, s0
                                        ; implicit-def: $vgpr25
	s_and_saveexec_b32 s0, s12
	s_cbranch_execnz .LBB116_69
.LBB116_47:
	s_or_b32 exec_lo, exec_lo, s0
                                        ; implicit-def: $vgpr26
	s_and_saveexec_b32 s0, s13
	s_cbranch_execz .LBB116_49
.LBB116_48:
	v_lshlrev_b32_e32 v26, 2, v27
	s_delay_alu instid0(VALU_DEP_1) | instskip(NEXT) | instid1(VALU_DEP_1)
	v_add_co_u32 v26, s1, s20, v26
	v_add_co_ci_u32_e64 v27, null, s21, 0, s1
	flat_load_b32 v26, v[26:27]
.LBB116_49:
	s_or_b32 exec_lo, exec_lo, s0
	s_waitcnt vmcnt(0) lgkmcnt(0)
	ds_store_2addr_stride64_b32 v7, v28, v29 offset1:4
	ds_store_2addr_stride64_b32 v7, v30, v31 offset0:8 offset1:12
	ds_store_2addr_stride64_b32 v7, v32, v2 offset0:16 offset1:20
	;; [unrolled: 1-line block ×6, first 2 shown]
	ds_store_b32 v7, v26 offset:14336
	s_waitcnt lgkmcnt(0)
	s_barrier
.LBB116_50:
	buffer_gl0_inv
	ds_load_2addr_b32 v[35:36], v1 offset1:1
	ds_load_2addr_b32 v[33:34], v1 offset0:2 offset1:3
	ds_load_2addr_b32 v[31:32], v1 offset0:4 offset1:5
	;; [unrolled: 1-line block ×6, first 2 shown]
	ds_load_b32 v59, v1 offset:56
	s_cmp_eq_u64 s[16:17], 0
	s_waitcnt lgkmcnt(0)
	s_cselect_b32 s40, -1, 0
	s_cmp_lg_u64 s[16:17], 0
	s_barrier
	s_cselect_b32 s20, -1, 0
	s_and_b32 vcc_lo, exec_lo, s19
	buffer_gl0_inv
	s_cbranch_vccz .LBB116_70
; %bb.51:
	s_and_b32 vcc_lo, exec_lo, s20
	s_cbranch_vccz .LBB116_110
; %bb.52:
	v_add_co_u32 v1, s0, -4, s18
	s_delay_alu instid0(VALU_DEP_1)
	v_add_co_ci_u32_e64 v2, null, -1, s14, s0
	v_cmp_neq_f32_e32 vcc_lo, v10, v43
	v_cmp_neq_f32_e64 s0, v9, v10
	v_cmp_neq_f32_e64 s1, v12, v9
	flat_load_b32 v1, v[1:2]
	v_lshlrev_b32_e32 v2, 2, v0
	v_cmp_neq_f32_e64 s2, v11, v12
	v_cmp_neq_f32_e64 s3, v14, v11
	;; [unrolled: 1-line block ×11, first 2 shown]
	s_mov_b32 s41, -1
	s_mov_b32 s19, 0
	s_mov_b32 s21, exec_lo
	ds_store_b32 v2, v43
	s_waitcnt vmcnt(0) lgkmcnt(0)
	s_barrier
	buffer_gl0_inv
	v_cmpx_ne_u32_e32 0, v0
	s_cbranch_execz .LBB116_54
; %bb.53:
	v_add_nc_u32_e32 v1, -4, v2
	ds_load_b32 v1, v1
.LBB116_54:
	s_or_b32 exec_lo, exec_lo, s21
	v_cndmask_b32_e64 v51, 0, 1, vcc_lo
	v_cndmask_b32_e64 v44, 0, 1, s0
	v_cndmask_b32_e64 v45, 0, 1, s1
	v_cndmask_b32_e64 v46, 0, 1, s2
	v_cndmask_b32_e64 v47, 0, 1, s3
	v_cndmask_b32_e64 v48, 0, 1, s4
	v_cndmask_b32_e64 v49, 0, 1, s5
	v_cndmask_b32_e64 v50, 0, 1, s6
	v_cndmask_b32_e64 v52, 0, 1, s7
	v_cndmask_b32_e64 v53, 0, 1, s8
	v_cndmask_b32_e64 v54, 0, 1, s9
	v_cndmask_b32_e64 v55, 0, 1, s10
	v_cndmask_b32_e64 v56, 0, 1, s11
	v_cndmask_b32_e64 v57, 0, 1, s12
	s_waitcnt lgkmcnt(0)
	v_cmp_neq_f32_e64 s0, v1, v21
	s_and_b32 vcc_lo, exec_lo, s19
	s_cbranch_vccnz .LBB116_111
.LBB116_55:
                                        ; implicit-def: $sgpr1
	s_branch .LBB116_71
.LBB116_56:
	s_or_b32 exec_lo, exec_lo, s22
                                        ; implicit-def: $vgpr29
	s_and_saveexec_b32 s22, s0
	s_cbranch_execz .LBB116_35
.LBB116_57:
	v_add_co_u32 v29, s0, s20, v7
	s_delay_alu instid0(VALU_DEP_1)
	v_add_co_ci_u32_e64 v30, null, s21, 0, s0
	flat_load_b32 v29, v[29:30] offset:1024
	s_or_b32 exec_lo, exec_lo, s22
                                        ; implicit-def: $vgpr30
	s_and_saveexec_b32 s0, s1
	s_cbranch_execnz .LBB116_36
.LBB116_58:
	s_or_b32 exec_lo, exec_lo, s0
                                        ; implicit-def: $vgpr31
	s_and_saveexec_b32 s0, s2
	s_cbranch_execz .LBB116_37
.LBB116_59:
	v_add_co_u32 v31, s1, s20, v7
	s_delay_alu instid0(VALU_DEP_1)
	v_add_co_ci_u32_e64 v32, null, s21, 0, s1
	flat_load_b32 v31, v[31:32] offset:3072
	s_or_b32 exec_lo, exec_lo, s0
                                        ; implicit-def: $vgpr32
	s_and_saveexec_b32 s0, s3
	s_cbranch_execnz .LBB116_38
.LBB116_60:
	s_or_b32 exec_lo, exec_lo, s0
                                        ; implicit-def: $vgpr2
	s_and_saveexec_b32 s0, s4
	s_cbranch_execz .LBB116_39
.LBB116_61:
	v_lshlrev_b32_e32 v2, 2, v3
	s_delay_alu instid0(VALU_DEP_1) | instskip(NEXT) | instid1(VALU_DEP_1)
	v_add_co_u32 v2, s1, s20, v2
	v_add_co_ci_u32_e64 v3, null, s21, 0, s1
	flat_load_b32 v2, v[2:3]
	s_or_b32 exec_lo, exec_lo, s0
                                        ; implicit-def: $vgpr3
	s_and_saveexec_b32 s0, s5
	s_cbranch_execnz .LBB116_40
.LBB116_62:
	s_or_b32 exec_lo, exec_lo, s0
                                        ; implicit-def: $vgpr4
	s_and_saveexec_b32 s0, s6
	s_cbranch_execz .LBB116_41
.LBB116_63:
	v_lshlrev_b32_e32 v4, 2, v5
	s_delay_alu instid0(VALU_DEP_1) | instskip(NEXT) | instid1(VALU_DEP_1)
	v_add_co_u32 v4, s1, s20, v4
	v_add_co_ci_u32_e64 v5, null, s21, 0, s1
	flat_load_b32 v4, v[4:5]
	s_or_b32 exec_lo, exec_lo, s0
                                        ; implicit-def: $vgpr5
	s_and_saveexec_b32 s0, s7
	s_cbranch_execnz .LBB116_42
.LBB116_64:
	s_or_b32 exec_lo, exec_lo, s0
                                        ; implicit-def: $vgpr6
	s_and_saveexec_b32 s0, s8
	s_cbranch_execz .LBB116_43
.LBB116_65:
	v_lshlrev_b32_e32 v6, 2, v8
	s_delay_alu instid0(VALU_DEP_1) | instskip(NEXT) | instid1(VALU_DEP_1)
	v_add_co_u32 v33, s1, s20, v6
	v_add_co_ci_u32_e64 v34, null, s21, 0, s1
	flat_load_b32 v6, v[33:34]
	s_or_b32 exec_lo, exec_lo, s0
                                        ; implicit-def: $vgpr8
	s_and_saveexec_b32 s0, s9
	s_cbranch_execnz .LBB116_44
.LBB116_66:
	s_or_b32 exec_lo, exec_lo, s0
                                        ; implicit-def: $vgpr23
	s_and_saveexec_b32 s0, s10
	s_cbranch_execz .LBB116_45
.LBB116_67:
	v_lshlrev_b32_e32 v23, 2, v24
	s_delay_alu instid0(VALU_DEP_1) | instskip(NEXT) | instid1(VALU_DEP_1)
	v_add_co_u32 v23, s1, s20, v23
	v_add_co_ci_u32_e64 v24, null, s21, 0, s1
	flat_load_b32 v23, v[23:24]
	s_or_b32 exec_lo, exec_lo, s0
                                        ; implicit-def: $vgpr24
	s_and_saveexec_b32 s0, s11
	s_cbranch_execnz .LBB116_46
.LBB116_68:
	s_or_b32 exec_lo, exec_lo, s0
                                        ; implicit-def: $vgpr25
	s_and_saveexec_b32 s0, s12
	s_cbranch_execz .LBB116_47
.LBB116_69:
	v_lshlrev_b32_e32 v25, 2, v26
	s_delay_alu instid0(VALU_DEP_1) | instskip(NEXT) | instid1(VALU_DEP_1)
	v_add_co_u32 v25, s1, s20, v25
	v_add_co_ci_u32_e64 v26, null, s21, 0, s1
	flat_load_b32 v25, v[25:26]
	s_or_b32 exec_lo, exec_lo, s0
                                        ; implicit-def: $vgpr26
	s_and_saveexec_b32 s0, s13
	s_cbranch_execnz .LBB116_48
	s_branch .LBB116_49
.LBB116_70:
	s_mov_b32 s41, 0
                                        ; implicit-def: $sgpr0
                                        ; implicit-def: $vgpr51
                                        ; implicit-def: $vgpr44
                                        ; implicit-def: $vgpr45
                                        ; implicit-def: $vgpr46
                                        ; implicit-def: $vgpr47
                                        ; implicit-def: $vgpr48
                                        ; implicit-def: $vgpr49
                                        ; implicit-def: $vgpr50
                                        ; implicit-def: $vgpr52
                                        ; implicit-def: $vgpr53
                                        ; implicit-def: $vgpr54
                                        ; implicit-def: $vgpr55
                                        ; implicit-def: $vgpr56
                                        ; implicit-def: $vgpr57
                                        ; implicit-def: $sgpr1
	s_cbranch_execnz .LBB116_114
.LBB116_71:
	v_mov_b32_e32 v58, s1
	s_and_saveexec_b32 s1, s41
.LBB116_72:
	v_cndmask_b32_e64 v58, 0, 1, s0
.LBB116_73:
	s_or_b32 exec_lo, exec_lo, s1
	s_delay_alu instid0(VALU_DEP_1)
	v_add3_u32 v1, v57, v58, v56
	v_add_f32_e32 v76, v35, v36
	v_cmp_eq_u32_e64 s12, 0, v57
	v_cmp_eq_u32_e64 s11, 0, v56
	v_cmp_eq_u32_e64 s9, 0, v55
	v_add3_u32 v75, v1, v55, v54
	v_cmp_eq_u32_e64 s10, 0, v54
	v_cmp_eq_u32_e64 s8, 0, v53
	;; [unrolled: 1-line block ×10, first 2 shown]
	v_cmp_eq_u32_e32 vcc_lo, 0, v51
	v_mbcnt_lo_u32_b32 v72, -1, 0
	v_lshrrev_b32_e32 v73, 5, v0
	v_or_b32_e32 v74, 31, v0
	s_cmp_eq_u64 s[38:39], 0
	s_cselect_b32 s20, -1, 0
	s_cmp_lg_u32 s15, 0
	s_cbranch_scc0 .LBB116_108
; %bb.74:
	v_add3_u32 v2, v75, v53, v52
	v_cndmask_b32_e64 v1, v36, v76, s12
	s_mov_b32 s14, exec_lo
	v_and_b32_e32 v4, 15, v72
	v_and_b32_e32 v6, 16, v72
	v_add3_u32 v2, v2, v50, v49
	v_add_f32_e32 v1, v33, v1
	s_delay_alu instid0(VALU_DEP_2) | instskip(NEXT) | instid1(VALU_DEP_2)
	v_add3_u32 v2, v2, v48, v47
	v_cndmask_b32_e64 v1, v33, v1, s11
	s_delay_alu instid0(VALU_DEP_2) | instskip(NEXT) | instid1(VALU_DEP_1)
	v_add3_u32 v2, v2, v46, v45
	v_add3_u32 v2, v2, v44, v51
	s_delay_alu instid0(VALU_DEP_3) | instskip(NEXT) | instid1(VALU_DEP_2)
	v_add_f32_e32 v1, v34, v1
	v_mov_b32_dpp v5, v2 row_shr:1 row_mask:0xf bank_mask:0xf
	s_delay_alu instid0(VALU_DEP_2) | instskip(NEXT) | instid1(VALU_DEP_1)
	v_cndmask_b32_e64 v1, v34, v1, s9
	v_add_f32_e32 v1, v31, v1
	s_delay_alu instid0(VALU_DEP_1) | instskip(NEXT) | instid1(VALU_DEP_1)
	v_cndmask_b32_e64 v1, v31, v1, s10
	v_add_f32_e32 v1, v32, v1
	s_delay_alu instid0(VALU_DEP_1) | instskip(NEXT) | instid1(VALU_DEP_1)
	;; [unrolled: 3-line block ×10, first 2 shown]
	v_cndmask_b32_e64 v1, v24, v1, s0
	v_add_f32_e32 v1, v59, v1
	s_delay_alu instid0(VALU_DEP_1) | instskip(SKIP_1) | instid1(VALU_DEP_2)
	v_cndmask_b32_e32 v1, v59, v1, vcc_lo
	v_cmp_eq_u32_e32 vcc_lo, 0, v2
	v_mov_b32_dpp v3, v1 row_shr:1 row_mask:0xf bank_mask:0xf
	s_delay_alu instid0(VALU_DEP_1) | instskip(NEXT) | instid1(VALU_DEP_1)
	v_add_f32_e32 v3, v1, v3
	v_cndmask_b32_e32 v3, v1, v3, vcc_lo
	v_cmp_eq_u32_e32 vcc_lo, 0, v4
	v_cndmask_b32_e64 v5, v5, 0, vcc_lo
	s_delay_alu instid0(VALU_DEP_1) | instskip(NEXT) | instid1(VALU_DEP_1)
	v_dual_cndmask_b32 v1, v3, v1 :: v_dual_add_nc_u32 v2, v5, v2
	v_mov_b32_dpp v3, v1 row_shr:2 row_mask:0xf bank_mask:0xf
	s_delay_alu instid0(VALU_DEP_2) | instskip(NEXT) | instid1(VALU_DEP_2)
	v_cmp_eq_u32_e32 vcc_lo, 0, v2
	v_add_f32_e32 v3, v1, v3
	v_mov_b32_dpp v5, v2 row_shr:2 row_mask:0xf bank_mask:0xf
	s_delay_alu instid0(VALU_DEP_2) | instskip(SKIP_1) | instid1(VALU_DEP_2)
	v_cndmask_b32_e32 v3, v1, v3, vcc_lo
	v_cmp_lt_u32_e32 vcc_lo, 1, v4
	v_cndmask_b32_e32 v1, v1, v3, vcc_lo
	s_delay_alu instid0(VALU_DEP_4) | instskip(NEXT) | instid1(VALU_DEP_2)
	v_cndmask_b32_e32 v3, 0, v5, vcc_lo
	v_mov_b32_dpp v5, v1 row_shr:4 row_mask:0xf bank_mask:0xf
	s_delay_alu instid0(VALU_DEP_1) | instskip(NEXT) | instid1(VALU_DEP_1)
	v_dual_add_f32 v3, v1, v5 :: v_dual_add_nc_u32 v2, v2, v3
	v_cmp_eq_u32_e32 vcc_lo, 0, v2
	v_mov_b32_dpp v5, v2 row_shr:4 row_mask:0xf bank_mask:0xf
	s_delay_alu instid0(VALU_DEP_3) | instskip(SKIP_1) | instid1(VALU_DEP_2)
	v_cndmask_b32_e32 v3, v1, v3, vcc_lo
	v_cmp_lt_u32_e32 vcc_lo, 3, v4
	v_cndmask_b32_e32 v1, v1, v3, vcc_lo
	s_delay_alu instid0(VALU_DEP_4) | instskip(NEXT) | instid1(VALU_DEP_2)
	v_cndmask_b32_e32 v3, 0, v5, vcc_lo
	v_mov_b32_dpp v5, v1 row_shr:8 row_mask:0xf bank_mask:0xf
	s_delay_alu instid0(VALU_DEP_1) | instskip(NEXT) | instid1(VALU_DEP_1)
	v_dual_add_f32 v2, v1, v5 :: v_dual_add_nc_u32 v3, v3, v2
	v_cmp_eq_u32_e32 vcc_lo, 0, v3
	v_mov_b32_dpp v5, v3 row_shr:8 row_mask:0xf bank_mask:0xf
	s_delay_alu instid0(VALU_DEP_3) | instskip(SKIP_1) | instid1(VALU_DEP_2)
	v_cndmask_b32_e32 v2, v1, v2, vcc_lo
	v_cmp_lt_u32_e32 vcc_lo, 7, v4
	v_dual_cndmask_b32 v2, v1, v2 :: v_dual_cndmask_b32 v1, 0, v5
	v_bfe_i32 v5, v72, 4, 1
	s_delay_alu instid0(VALU_DEP_2)
	v_add_nc_u32_e32 v1, v1, v3
	ds_swizzle_b32 v3, v2 offset:swizzle(BROADCAST,32,15)
	ds_swizzle_b32 v4, v1 offset:swizzle(BROADCAST,32,15)
	v_cmp_eq_u32_e32 vcc_lo, 0, v1
	s_waitcnt lgkmcnt(1)
	v_add_f32_e32 v3, v2, v3
	s_waitcnt lgkmcnt(0)
	v_and_b32_e32 v7, v5, v4
	s_delay_alu instid0(VALU_DEP_2) | instskip(SKIP_2) | instid1(VALU_DEP_4)
	v_cndmask_b32_e32 v5, v2, v3, vcc_lo
	v_cmp_eq_u32_e32 vcc_lo, 0, v6
	v_lshlrev_b32_e32 v4, 3, v73
	v_add_nc_u32_e32 v1, v7, v1
	s_delay_alu instid0(VALU_DEP_4)
	v_cndmask_b32_e32 v3, v5, v2, vcc_lo
	v_cmpx_eq_u32_e64 v74, v0
	s_cbranch_execz .LBB116_76
; %bb.75:
	v_cndmask_b32_e32 v2, v5, v2, vcc_lo
	ds_store_b64 v4, v[1:2] offset:2064
.LBB116_76:
	s_or_b32 exec_lo, exec_lo, s14
	s_delay_alu instid0(SALU_CYCLE_1)
	s_mov_b32 s14, exec_lo
	s_waitcnt lgkmcnt(0)
	s_barrier
	buffer_gl0_inv
	v_cmpx_gt_u32_e32 8, v0
	s_cbranch_execz .LBB116_78
; %bb.77:
	v_lshlrev_b32_e32 v2, 3, v0
	ds_load_b64 v[5:6], v2 offset:2064
	s_waitcnt lgkmcnt(0)
	v_mov_b32_dpp v7, v6 row_shr:1 row_mask:0xf bank_mask:0xf
	v_cmp_eq_u32_e32 vcc_lo, 0, v5
	v_mov_b32_dpp v37, v5 row_shr:1 row_mask:0xf bank_mask:0xf
	s_delay_alu instid0(VALU_DEP_3) | instskip(NEXT) | instid1(VALU_DEP_1)
	v_dual_add_f32 v7, v6, v7 :: v_dual_and_b32 v8, 7, v72
	v_cndmask_b32_e32 v7, v6, v7, vcc_lo
	s_delay_alu instid0(VALU_DEP_2) | instskip(NEXT) | instid1(VALU_DEP_4)
	v_cmp_eq_u32_e32 vcc_lo, 0, v8
	v_cndmask_b32_e64 v37, v37, 0, vcc_lo
	s_delay_alu instid0(VALU_DEP_1) | instskip(NEXT) | instid1(VALU_DEP_1)
	v_dual_cndmask_b32 v6, v7, v6 :: v_dual_add_nc_u32 v5, v37, v5
	v_mov_b32_dpp v7, v6 row_shr:2 row_mask:0xf bank_mask:0xf
	s_delay_alu instid0(VALU_DEP_2) | instskip(NEXT) | instid1(VALU_DEP_2)
	v_cmp_eq_u32_e32 vcc_lo, 0, v5
	v_add_f32_e32 v7, v6, v7
	v_mov_b32_dpp v37, v5 row_shr:2 row_mask:0xf bank_mask:0xf
	s_delay_alu instid0(VALU_DEP_2) | instskip(SKIP_1) | instid1(VALU_DEP_2)
	v_cndmask_b32_e32 v7, v6, v7, vcc_lo
	v_cmp_lt_u32_e32 vcc_lo, 1, v8
	v_dual_cndmask_b32 v6, v6, v7 :: v_dual_cndmask_b32 v7, 0, v37
	v_cmp_lt_u32_e32 vcc_lo, 3, v8
	s_delay_alu instid0(VALU_DEP_2) | instskip(NEXT) | instid1(VALU_DEP_1)
	v_mov_b32_dpp v37, v6 row_shr:4 row_mask:0xf bank_mask:0xf
	v_add_f32_e32 v8, v6, v37
	s_delay_alu instid0(VALU_DEP_4) | instskip(NEXT) | instid1(VALU_DEP_1)
	v_add_nc_u32_e32 v5, v7, v5
	v_mov_b32_dpp v7, v5 row_shr:4 row_mask:0xf bank_mask:0xf
	v_cmp_eq_u32_e64 s13, 0, v5
	s_delay_alu instid0(VALU_DEP_2) | instskip(NEXT) | instid1(VALU_DEP_2)
	v_cndmask_b32_e32 v7, 0, v7, vcc_lo
	s_and_b32 vcc_lo, vcc_lo, s13
	s_delay_alu instid0(VALU_DEP_1)
	v_dual_cndmask_b32 v6, v6, v8 :: v_dual_add_nc_u32 v5, v7, v5
	ds_store_b64 v2, v[5:6] offset:2064
.LBB116_78:
	s_or_b32 exec_lo, exec_lo, s14
	v_cmp_gt_u32_e32 vcc_lo, 32, v0
	v_dual_mov_b32 v37, 0 :: v_dual_mov_b32 v38, 0
	s_mov_b32 s14, exec_lo
	s_waitcnt lgkmcnt(0)
	s_barrier
	buffer_gl0_inv
	v_cmpx_lt_u32_e32 31, v0
	s_cbranch_execz .LBB116_80
; %bb.79:
	ds_load_b64 v[37:38], v4 offset:2056
	v_cmp_eq_u32_e64 s13, 0, v1
	s_waitcnt lgkmcnt(0)
	v_add_nc_u32_e32 v4, v37, v1
	s_delay_alu instid0(VALU_DEP_1) | instskip(NEXT) | instid1(VALU_DEP_1)
	v_dual_add_f32 v2, v3, v38 :: v_dual_mov_b32 v1, v4
	v_cndmask_b32_e64 v3, v3, v2, s13
.LBB116_80:
	s_or_b32 exec_lo, exec_lo, s14
	v_add_nc_u32_e32 v2, -1, v72
	s_mov_b32 s16, -1
	s_mov_b32 s21, 0
	s_mov_b32 s14, 0
	s_delay_alu instid0(VALU_DEP_1) | instskip(NEXT) | instid1(VALU_DEP_1)
	v_cmp_gt_i32_e64 s13, 0, v2
	v_cndmask_b32_e64 v2, v2, v72, s13
	v_cmp_eq_u32_e64 s13, 0, v72
	s_delay_alu instid0(VALU_DEP_2)
	v_lshlrev_b32_e32 v2, 2, v2
	ds_bpermute_b32 v77, v2, v1
	ds_bpermute_b32 v78, v2, v3
	s_and_saveexec_b32 s22, vcc_lo
                                        ; implicit-def: $vgpr2_vgpr3_vgpr4
	s_cbranch_execz .LBB116_139
; %bb.81:
	v_mov_b32_e32 v4, 0
	ds_load_b64 v[1:2], v4 offset:2120
	s_waitcnt lgkmcnt(0)
	v_readfirstlane_b32 s24, v2
	s_and_saveexec_b32 s14, s13
	s_cbranch_execz .LBB116_83
; %bb.82:
	s_add_i32 s16, s15, 32
	s_mov_b32 s17, 0
	v_mov_b32_e32 v3, 1
	s_lshl_b64 s[18:19], s[16:17], 4
	s_mov_b32 s38, s17
	s_add_u32 s18, s36, s18
	s_addc_u32 s19, s37, s19
	s_and_b32 s39, s24, 0xff000000
	s_and_b32 s43, s24, 0xff0000
	s_mov_b32 s42, s17
	v_dual_mov_b32 v5, s18 :: v_dual_mov_b32 v6, s19
	s_or_b64 s[38:39], s[42:43], s[38:39]
	s_and_b32 s43, s24, 0xff00
	s_delay_alu instid0(SALU_CYCLE_1) | instskip(SKIP_1) | instid1(SALU_CYCLE_1)
	s_or_b64 s[38:39], s[38:39], s[42:43]
	s_and_b32 s43, s24, 0xff
	s_or_b64 s[16:17], s[38:39], s[42:43]
	s_delay_alu instid0(SALU_CYCLE_1)
	v_mov_b32_e32 v2, s17
	;;#ASMSTART
	global_store_dwordx4 v[5:6], v[1:4] off	
s_waitcnt vmcnt(0)
	;;#ASMEND
.LBB116_83:
	s_or_b32 exec_lo, exec_lo, s14
	v_xad_u32 v41, v72, -1, s15
	s_mov_b32 s16, 0
	s_mov_b32 s14, exec_lo
	s_mov_b32 s17, s16
	s_mov_b32 s18, s16
	;; [unrolled: 1-line block ×3, first 2 shown]
	v_add_nc_u32_e32 v3, 32, v41
	v_dual_mov_b32 v5, s16 :: v_dual_mov_b32 v8, s19
	v_dual_mov_b32 v6, s17 :: v_dual_mov_b32 v7, s18
	s_delay_alu instid0(VALU_DEP_3)
	v_lshlrev_b64 v[2:3], 4, v[3:4]
	s_clause 0x5
	scratch_store_b128 off, v[5:8], off
	scratch_store_b128 off, v[5:8], off offset:16
	scratch_store_b32 off, v4, off offset:4
	scratch_store_b32 off, v4, off offset:12
	;; [unrolled: 1-line block ×4, first 2 shown]
	v_add_co_u32 v2, vcc_lo, s36, v2
	v_add_co_ci_u32_e32 v3, vcc_lo, s37, v3, vcc_lo
	;;#ASMSTART
	global_load_dwordx4 v[5:8], v[2:3] off glc	
s_waitcnt vmcnt(0)
	;;#ASMEND
	v_perm_b32 v4, v6, v7, 0x70605
	v_perm_b32 v8, v6, v7, 0x1000706
	;; [unrolled: 1-line block ×3, first 2 shown]
	v_and_b32_e32 v42, 0xff, v7
	v_alignbit_b32 v61, v6, v5, 16
	v_lshlrev_b32_e32 v4, 8, v4
	v_lshlrev_b32_e32 v8, 16, v8
	;; [unrolled: 1-line block ×3, first 2 shown]
	v_alignbit_b32 v60, v6, v5, 24
	s_delay_alu instid0(VALU_DEP_4) | instskip(NEXT) | instid1(VALU_DEP_4)
	v_perm_b32 v4, v4, v6, 0xc0c0500
	v_and_b32_e32 v40, 0xff0000, v8
	v_alignbit_b32 v8, v6, v5, 8
	s_delay_alu instid0(VALU_DEP_2)
	v_or3_b32 v6, v4, v40, v39
	v_cmpx_eq_u16_e32 0, v42
	s_cbranch_execz .LBB116_89
; %bb.84:
	s_mov_b32 s17, 1
	.p2align	6
.LBB116_85:                             ; =>This Loop Header: Depth=1
                                        ;     Child Loop BB116_86 Depth 2
	s_delay_alu instid0(SALU_CYCLE_1)
	s_max_u32 s18, s17, 1
.LBB116_86:                             ;   Parent Loop BB116_85 Depth=1
                                        ; =>  This Inner Loop Header: Depth=2
	s_delay_alu instid0(SALU_CYCLE_1)
	s_add_i32 s18, s18, -1
	s_sleep 1
	s_cmp_eq_u32 s18, 0
	s_cbranch_scc0 .LBB116_86
; %bb.87:                               ;   in Loop: Header=BB116_85 Depth=1
	;;#ASMSTART
	global_load_dwordx4 v[5:8], v[2:3] off glc	
s_waitcnt vmcnt(0)
	;;#ASMEND
	v_and_b32_e32 v4, 0xff, v7
	s_cmp_lt_u32 s17, 32
	s_cselect_b32 s18, -1, 0
	s_delay_alu instid0(VALU_DEP_1) | instskip(SKIP_3) | instid1(SALU_CYCLE_1)
	v_cmp_ne_u16_e32 vcc_lo, 0, v4
	s_cmp_lg_u32 s18, 0
	s_addc_u32 s17, s17, 0
	s_or_b32 s16, vcc_lo, s16
	s_and_not1_b32 exec_lo, exec_lo, s16
	s_cbranch_execnz .LBB116_85
; %bb.88:
	s_or_b32 exec_lo, exec_lo, s16
	v_perm_b32 v2, v6, v7, 0x70605
	v_perm_b32 v3, v6, v7, 0x1000706
	;; [unrolled: 1-line block ×3, first 2 shown]
	v_alignbit_b32 v8, v6, v5, 8
	v_alignbit_b32 v61, v6, v5, 16
	v_lshlrev_b32_e32 v2, 8, v2
	v_lshlrev_b32_e32 v3, 16, v3
	;; [unrolled: 1-line block ×3, first 2 shown]
	v_alignbit_b32 v60, v6, v5, 24
	s_delay_alu instid0(VALU_DEP_4) | instskip(NEXT) | instid1(VALU_DEP_4)
	v_perm_b32 v2, v2, v6, 0xc0c0500
	v_and_b32_e32 v3, 0xff0000, v3
	s_delay_alu instid0(VALU_DEP_1)
	v_or3_b32 v6, v2, v3, v4
.LBB116_89:
	s_or_b32 exec_lo, exec_lo, s14
	v_mov_b32_e32 v40, 0
	s_mov_b32 s17, 0
	s_branch .LBB116_91
.LBB116_90:                             ;   in Loop: Header=BB116_91 Depth=1
	s_or_b32 exec_lo, exec_lo, s17
	v_subrev_nc_u32_e32 v41, 32, v39
	s_add_i32 s17, s16, 1
	s_cbranch_execz .LBB116_99
.LBB116_91:                             ; =>This Loop Header: Depth=1
                                        ;     Child Loop BB116_94 Depth 2
                                        ;       Child Loop BB116_95 Depth 3
	v_dual_mov_b32 v4, v7 :: v_dual_lshlrev_b32 v3, 8, v8
	v_and_b32_e32 v5, 0xff, v5
	s_delay_alu instid0(VALU_DEP_2) | instskip(NEXT) | instid1(VALU_DEP_3)
	v_dual_mov_b32 v39, v41 :: v_dual_and_b32 v2, 0xff, v4
	v_and_b32_e32 v7, 0xff00, v3
	v_mov_b32_e32 v3, v6
	s_delay_alu instid0(VALU_DEP_3) | instskip(SKIP_1) | instid1(VALU_DEP_2)
	v_cmp_ne_u16_e64 s14, 2, v2
	v_cmp_ne_u16_e32 vcc_lo, 0xff, v2
	s_and_b32 s16, s14, vcc_lo
	s_delay_alu instid0(SALU_CYCLE_1) | instskip(SKIP_1) | instid1(VALU_DEP_1)
	v_cndmask_b32_e64 v2, 0, 1, s16
	;;#ASMSTART
	;;#ASMEND
	v_cmp_ne_u32_e32 vcc_lo, 0, v2
	v_lshlrev_b32_e32 v2, 16, v61
	s_mov_b32 s16, s17
	s_cmp_eq_u32 vcc_lo, exec_lo
	s_delay_alu instid0(VALU_DEP_1) | instskip(SKIP_3) | instid1(VALU_DEP_1)
	v_perm_b32 v2, v60, v2, 0x4020c0c
	s_cselect_b32 s17, -1, 0
	s_cmp_lt_u32 s16, 4
	s_cselect_b32 s18, -1, 0
	v_or3_b32 v2, v2, v7, v5
	s_and_b32 s17, s17, s18
	s_delay_alu instid0(SALU_CYCLE_1)
	s_and_not1_b32 vcc_lo, exec_lo, s17
	s_cbranch_vccnz .LBB116_98
; %bb.92:                               ;   in Loop: Header=BB116_91 Depth=1
	v_lshlrev_b64 v[5:6], 4, v[39:40]
	s_lshl_b32 s17, s16, 3
	s_delay_alu instid0(SALU_CYCLE_1)
	s_add_i32 s17, s17, 0
	scratch_store_b64 off, v[2:3], s17
	v_add_co_u32 v41, vcc_lo, s36, v5
	v_add_co_ci_u32_e32 v42, vcc_lo, s37, v6, vcc_lo
	;;#ASMSTART
	global_load_dwordx4 v[5:8], v[41:42] off glc	
s_waitcnt vmcnt(0)
	;;#ASMEND
	v_perm_b32 v8, v6, v7, 0x70605
	v_perm_b32 v60, v6, v7, 0x1000706
	;; [unrolled: 1-line block ×3, first 2 shown]
	v_and_b32_e32 v65, 0xff, v7
	s_mov_b32 s17, exec_lo
	v_lshlrev_b32_e32 v8, 8, v8
	v_lshlrev_b32_e32 v60, 16, v60
	;; [unrolled: 1-line block ×3, first 2 shown]
	v_alignbit_b32 v61, v6, v5, 16
	s_delay_alu instid0(VALU_DEP_4) | instskip(NEXT) | instid1(VALU_DEP_4)
	v_perm_b32 v63, v8, v6, 0xc0c0500
	v_and_b32_e32 v64, 0xff0000, v60
	v_alignbit_b32 v8, v6, v5, 8
	v_alignbit_b32 v60, v6, v5, 24
	s_delay_alu instid0(VALU_DEP_3)
	v_or3_b32 v6, v63, v64, v62
	v_cmpx_eq_u16_e32 0, v65
	s_cbranch_execz .LBB116_90
; %bb.93:                               ;   in Loop: Header=BB116_91 Depth=1
	s_mov_b32 s19, 1
	s_mov_b32 s18, 0
	.p2align	6
.LBB116_94:                             ;   Parent Loop BB116_91 Depth=1
                                        ; =>  This Loop Header: Depth=2
                                        ;       Child Loop BB116_95 Depth 3
	s_max_u32 s25, s19, 1
.LBB116_95:                             ;   Parent Loop BB116_91 Depth=1
                                        ;     Parent Loop BB116_94 Depth=2
                                        ; =>    This Inner Loop Header: Depth=3
	s_delay_alu instid0(SALU_CYCLE_1)
	s_add_i32 s25, s25, -1
	s_sleep 1
	s_cmp_eq_u32 s25, 0
	s_cbranch_scc0 .LBB116_95
; %bb.96:                               ;   in Loop: Header=BB116_94 Depth=2
	;;#ASMSTART
	global_load_dwordx4 v[5:8], v[41:42] off glc	
s_waitcnt vmcnt(0)
	;;#ASMEND
	v_and_b32_e32 v8, 0xff, v7
	s_cmp_lt_u32 s19, 32
	s_cselect_b32 s25, -1, 0
	s_delay_alu instid0(SALU_CYCLE_1) | instskip(NEXT) | instid1(VALU_DEP_1)
	s_cmp_lg_u32 s25, 0
	v_cmp_ne_u16_e32 vcc_lo, 0, v8
	s_addc_u32 s19, s19, 0
	s_or_b32 s18, vcc_lo, s18
	s_delay_alu instid0(SALU_CYCLE_1)
	s_and_not1_b32 exec_lo, exec_lo, s18
	s_cbranch_execnz .LBB116_94
; %bb.97:                               ;   in Loop: Header=BB116_91 Depth=1
	s_or_b32 exec_lo, exec_lo, s18
	v_perm_b32 v8, v6, v7, 0x70605
	v_perm_b32 v41, v6, v7, 0x1000706
	;; [unrolled: 1-line block ×3, first 2 shown]
	v_alignbit_b32 v61, v6, v5, 16
	v_alignbit_b32 v60, v6, v5, 24
	v_lshlrev_b32_e32 v8, 8, v8
	v_lshlrev_b32_e32 v41, 16, v41
	;; [unrolled: 1-line block ×3, first 2 shown]
	s_delay_alu instid0(VALU_DEP_3) | instskip(NEXT) | instid1(VALU_DEP_3)
	v_perm_b32 v62, v8, v6, 0xc0c0500
	v_and_b32_e32 v41, 0xff0000, v41
	v_alignbit_b32 v8, v6, v5, 8
	s_delay_alu instid0(VALU_DEP_2)
	v_or3_b32 v6, v62, v41, v42
	s_branch .LBB116_90
.LBB116_98:
                                        ; implicit-def: $vgpr41
                                        ; implicit-def: $sgpr17
                                        ; implicit-def: $vgpr7
                                        ; implicit-def: $vgpr6
                                        ; implicit-def: $vgpr8
                                        ; implicit-def: $vgpr61
                                        ; implicit-def: $vgpr60
.LBB116_99:
	v_cndmask_b32_e64 v5, 0, 1, s14
	;;#ASMSTART
	;;#ASMEND
	s_delay_alu instid0(VALU_DEP_1)
	v_cmp_ne_u32_e32 vcc_lo, 0, v5
	s_cmp_lg_u32 vcc_lo, exec_lo
	s_cbranch_scc1 .LBB116_123
; %bb.100:
	v_dual_mov_b32 v3, 0 :: v_dual_and_b32 v2, 0xff, v4
	s_delay_alu instid0(VALU_DEP_1) | instskip(SKIP_2) | instid1(VALU_DEP_1)
	v_cmp_eq_u16_e32 vcc_lo, 0xff, v2
	v_cndmask_b32_e64 v2, 0, 1, vcc_lo
	;;#ASMSTART
	;;#ASMEND
	v_cmp_ne_u32_e32 vcc_lo, 0, v2
	v_add_nc_u32_e32 v2, 32, v39
	s_cmp_eq_u32 vcc_lo, exec_lo
	s_cselect_b32 vcc_lo, -1, 0
	s_delay_alu instid0(VALU_DEP_1) | instskip(NEXT) | instid1(VALU_DEP_1)
	v_cndmask_b32_e32 v2, v39, v2, vcc_lo
	v_add_nc_u32_e32 v2, 32, v2
	s_delay_alu instid0(VALU_DEP_1) | instskip(NEXT) | instid1(VALU_DEP_1)
	v_lshlrev_b64 v[2:3], 4, v[2:3]
	v_add_co_u32 v6, s14, s36, v2
	s_delay_alu instid0(VALU_DEP_1)
	v_add_co_ci_u32_e64 v7, s14, s37, v3, s14
	s_branch .LBB116_102
.LBB116_101:                            ;   in Loop: Header=BB116_102 Depth=1
	s_or_b32 exec_lo, exec_lo, s17
	v_and_b32_e32 v40, 0xff, v4
	s_delay_alu instid0(VALU_DEP_1) | instskip(NEXT) | instid1(VALU_DEP_1)
	v_cmp_ne_u16_e64 s14, 2, v40
	v_cndmask_b32_e64 v40, 0, 1, s14
	;;#ASMSTART
	;;#ASMEND
	s_delay_alu instid0(VALU_DEP_1) | instskip(NEXT) | instid1(VALU_DEP_1)
	v_cmp_ne_u32_e64 s14, 0, v40
	s_cmp_eq_u32 s14, exec_lo
	s_cbranch_scc0 .LBB116_122
.LBB116_102:                            ; =>This Loop Header: Depth=1
                                        ;     Child Loop BB116_104 Depth 2
                                        ;       Child Loop BB116_105 Depth 3
	;;#ASMSTART
	global_load_dwordx4 v[2:5], v[6:7] off glc	
s_waitcnt vmcnt(0)
	;;#ASMEND
	v_perm_b32 v5, v3, v4, 0x70605
	v_perm_b32 v8, v3, v4, 0x1000706
	;; [unrolled: 1-line block ×3, first 2 shown]
	v_and_b32_e32 v60, 0xff, v4
	s_mov_b32 s17, exec_lo
	v_lshlrev_b32_e32 v5, 8, v5
	v_lshlrev_b32_e32 v8, 16, v8
	;; [unrolled: 1-line block ×3, first 2 shown]
	v_alignbit_b32 v39, v3, v2, 16
	s_delay_alu instid0(VALU_DEP_4) | instskip(NEXT) | instid1(VALU_DEP_4)
	v_perm_b32 v41, v5, v3, 0xc0c0500
	v_and_b32_e32 v42, 0xff0000, v8
	v_alignbit_b32 v5, v3, v2, 8
	v_alignbit_b32 v8, v3, v2, 24
	s_delay_alu instid0(VALU_DEP_3)
	v_or3_b32 v3, v41, v42, v40
	v_cmpx_eq_u16_e32 0, v60
	s_cbranch_execz .LBB116_101
; %bb.103:                              ;   in Loop: Header=BB116_102 Depth=1
	s_mov_b32 s19, 1
	s_mov_b32 s18, 0
	.p2align	6
.LBB116_104:                            ;   Parent Loop BB116_102 Depth=1
                                        ; =>  This Loop Header: Depth=2
                                        ;       Child Loop BB116_105 Depth 3
	s_max_u32 s14, s19, 1
.LBB116_105:                            ;   Parent Loop BB116_102 Depth=1
                                        ;     Parent Loop BB116_104 Depth=2
                                        ; =>    This Inner Loop Header: Depth=3
	s_delay_alu instid0(SALU_CYCLE_1)
	s_add_i32 s14, s14, -1
	s_sleep 1
	s_cmp_eq_u32 s14, 0
	s_cbranch_scc0 .LBB116_105
; %bb.106:                              ;   in Loop: Header=BB116_104 Depth=2
	;;#ASMSTART
	global_load_dwordx4 v[2:5], v[6:7] off glc	
s_waitcnt vmcnt(0)
	;;#ASMEND
	v_and_b32_e32 v5, 0xff, v4
	s_cmp_lt_u32 s19, 32
	s_cselect_b32 s25, -1, 0
	s_delay_alu instid0(SALU_CYCLE_1) | instskip(NEXT) | instid1(VALU_DEP_1)
	s_cmp_lg_u32 s25, 0
	v_cmp_ne_u16_e64 s14, 0, v5
	s_addc_u32 s19, s19, 0
	s_delay_alu instid0(VALU_DEP_1) | instskip(NEXT) | instid1(SALU_CYCLE_1)
	s_or_b32 s18, s14, s18
	s_and_not1_b32 exec_lo, exec_lo, s18
	s_cbranch_execnz .LBB116_104
; %bb.107:                              ;   in Loop: Header=BB116_102 Depth=1
	s_or_b32 exec_lo, exec_lo, s18
	v_perm_b32 v5, v3, v4, 0x70605
	v_perm_b32 v8, v3, v4, 0x1000706
	;; [unrolled: 1-line block ×3, first 2 shown]
	s_delay_alu instid0(VALU_DEP_3) | instskip(NEXT) | instid1(VALU_DEP_3)
	v_lshlrev_b32_e32 v5, 8, v5
	v_lshlrev_b32_e32 v8, 16, v8
	s_delay_alu instid0(VALU_DEP_3) | instskip(SKIP_1) | instid1(VALU_DEP_4)
	v_lshlrev_b32_e32 v40, 24, v39
	v_alignbit_b32 v39, v3, v2, 16
	v_perm_b32 v41, v5, v3, 0xc0c0500
	s_delay_alu instid0(VALU_DEP_4) | instskip(SKIP_2) | instid1(VALU_DEP_3)
	v_and_b32_e32 v42, 0xff0000, v8
	v_alignbit_b32 v5, v3, v2, 8
	v_alignbit_b32 v8, v3, v2, 24
	v_or3_b32 v3, v41, v42, v40
	s_branch .LBB116_101
.LBB116_108:
	s_mov_b32 s21, 0
                                        ; implicit-def: $vgpr1
                                        ; implicit-def: $vgpr39
                                        ; implicit-def: $vgpr5
                                        ; implicit-def: $vgpr62
                                        ; implicit-def: $vgpr40
                                        ; implicit-def: $vgpr42
                                        ; implicit-def: $vgpr41
                                        ; implicit-def: $vgpr60
                                        ; implicit-def: $vgpr61
                                        ; implicit-def: $vgpr63
                                        ; implicit-def: $vgpr64
                                        ; implicit-def: $vgpr65
                                        ; implicit-def: $vgpr66
                                        ; implicit-def: $vgpr67
                                        ; implicit-def: $vgpr68
                                        ; implicit-def: $vgpr69
                                        ; implicit-def: $vgpr70
                                        ; implicit-def: $vgpr71
	s_cbranch_execnz .LBB116_142
.LBB116_109:
	s_and_saveexec_b32 s0, s21
	s_cbranch_execz .LBB116_315
	s_branch .LBB116_153
.LBB116_110:
	s_mov_b32 s41, 0
                                        ; implicit-def: $sgpr0
                                        ; implicit-def: $vgpr51
                                        ; implicit-def: $vgpr44
                                        ; implicit-def: $vgpr45
                                        ; implicit-def: $vgpr46
                                        ; implicit-def: $vgpr47
                                        ; implicit-def: $vgpr48
                                        ; implicit-def: $vgpr49
                                        ; implicit-def: $vgpr50
                                        ; implicit-def: $vgpr52
                                        ; implicit-def: $vgpr53
                                        ; implicit-def: $vgpr54
                                        ; implicit-def: $vgpr55
                                        ; implicit-def: $vgpr56
                                        ; implicit-def: $vgpr57
	s_cbranch_execz .LBB116_55
.LBB116_111:
	v_cmp_neq_f32_e32 vcc_lo, v10, v43
	v_lshlrev_b32_e32 v1, 2, v0
	s_mov_b32 s1, exec_lo
                                        ; implicit-def: $sgpr0
	v_cndmask_b32_e64 v51, 0, 1, vcc_lo
	v_cmp_neq_f32_e32 vcc_lo, v9, v10
	ds_store_b32 v1, v43
	s_waitcnt lgkmcnt(0)
	s_barrier
	buffer_gl0_inv
	v_cndmask_b32_e64 v44, 0, 1, vcc_lo
	v_cmp_neq_f32_e32 vcc_lo, v12, v9
	v_cndmask_b32_e64 v45, 0, 1, vcc_lo
	v_cmp_neq_f32_e32 vcc_lo, v11, v12
	;; [unrolled: 2-line block ×12, first 2 shown]
	v_cndmask_b32_e64 v57, 0, 1, vcc_lo
	v_cmpx_ne_u32_e32 0, v0
	s_xor_b32 s1, exec_lo, s1
	s_cbranch_execz .LBB116_113
; %bb.112:
	v_add_nc_u32_e32 v1, -4, v1
	s_or_b32 s41, s41, exec_lo
	ds_load_b32 v1, v1
	s_waitcnt lgkmcnt(0)
	v_cmp_neq_f32_e32 vcc_lo, v1, v21
	s_and_b32 s0, vcc_lo, exec_lo
.LBB116_113:
	s_or_b32 exec_lo, exec_lo, s1
	s_mov_b32 s1, 1
	s_branch .LBB116_71
.LBB116_114:
	s_mul_hi_u32 s0, s16, 0xfffff100
	s_mul_i32 s1, s17, 0xfffff100
	s_sub_i32 s0, s0, s16
	s_mul_i32 s2, s16, 0xfffff100
	s_add_i32 s0, s0, s1
	s_add_u32 s24, s2, s44
	s_addc_u32 s25, s0, s45
	s_and_b32 vcc_lo, exec_lo, s20
	s_cbranch_vccz .LBB116_119
; %bb.115:
	v_add_co_u32 v1, s0, -4, s18
	s_delay_alu instid0(VALU_DEP_1)
	v_add_co_ci_u32_e64 v2, null, -1, s14, s0
	v_cmp_neq_f32_e64 s6, v10, v43
	v_cmp_neq_f32_e64 s8, v9, v10
	v_lshlrev_b32_e32 v4, 2, v0
	flat_load_b32 v5, v[1:2]
	v_mad_u32_u24 v1, v0, 15, 14
	v_mov_b32_e32 v2, 0
	v_mul_u32_u24_e32 v3, 15, v0
	s_mov_b32 s41, -1
	s_mov_b32 s10, 0
	ds_store_b32 v4, v43
	v_cmp_gt_u64_e32 vcc_lo, s[24:25], v[1:2]
	v_mad_u32_u24 v1, v0, 15, 13
	s_waitcnt vmcnt(0) lgkmcnt(0)
	s_barrier
	buffer_gl0_inv
	v_cmp_gt_u64_e64 s0, s[24:25], v[1:2]
	v_mad_u32_u24 v1, v0, 15, 12
	s_and_b32 s11, vcc_lo, s6
	v_cmp_neq_f32_e64 s6, v11, v12
	s_delay_alu instid0(VALU_DEP_2) | instskip(SKIP_4) | instid1(VALU_DEP_3)
	v_cmp_gt_u64_e64 s1, s[24:25], v[1:2]
	v_mad_u32_u24 v1, v0, 15, 11
	s_and_b32 s12, s0, s8
	v_cmp_neq_f32_e64 s0, v12, v9
	v_cmp_neq_f32_e64 s8, v14, v11
	v_cmp_gt_u64_e64 s2, s[24:25], v[1:2]
	v_mad_u32_u24 v1, v0, 15, 10
	s_delay_alu instid0(VALU_DEP_4) | instskip(SKIP_1) | instid1(VALU_DEP_2)
	s_and_b32 s13, s1, s0
	v_cmp_neq_f32_e64 s0, v13, v14
	v_cmp_gt_u64_e64 s3, s[24:25], v[1:2]
	v_mad_u32_u24 v1, v0, 15, 9
	s_and_b32 s14, s2, s6
	v_cmp_neq_f32_e64 s2, v15, v16
	v_cmp_neq_f32_e64 s6, v21, v22
	s_delay_alu instid0(VALU_DEP_3) | instskip(SKIP_3) | instid1(VALU_DEP_2)
	v_cmp_gt_u64_e64 s4, s[24:25], v[1:2]
	v_mad_u32_u24 v1, v0, 15, 8
	s_and_b32 s8, s3, s8
	v_cmp_neq_f32_e64 s3, v18, v15
	v_cmp_gt_u64_e64 s5, s[24:25], v[1:2]
	v_mad_u32_u24 v1, v0, 15, 7
	s_and_b32 s16, s4, s0
	v_cmp_neq_f32_e64 s0, v16, v13
	s_delay_alu instid0(VALU_DEP_2) | instskip(SKIP_1) | instid1(VALU_DEP_3)
	v_cmp_gt_u64_e64 s7, s[24:25], v[1:2]
	v_mad_u32_u24 v1, v0, 15, 6
	s_and_b32 s17, s5, s0
	v_cmp_neq_f32_e64 s0, v17, v18
	s_delay_alu instid0(VALU_DEP_2) | instskip(SKIP_3) | instid1(VALU_DEP_2)
	v_cmp_gt_u64_e32 vcc_lo, s[24:25], v[1:2]
	v_mad_u32_u24 v1, v0, 15, 5
	s_and_b32 s18, s7, s2
	v_cmp_neq_f32_e64 s2, v19, v20
	v_cmp_gt_u64_e64 s9, s[24:25], v[1:2]
	v_mad_u32_u24 v1, v0, 15, 4
	s_and_b32 s7, vcc_lo, s3
	v_cmp_neq_f32_e64 s3, v22, v19
	s_delay_alu instid0(VALU_DEP_2) | instskip(SKIP_3) | instid1(VALU_DEP_2)
	v_cmp_gt_u64_e64 s1, s[24:25], v[1:2]
	v_mad_u32_u24 v1, v0, 15, 3
	s_and_b32 s9, s9, s0
	v_cmp_neq_f32_e64 s0, v20, v17
	v_cmp_gt_u64_e64 s4, s[24:25], v[1:2]
	v_mad_u32_u24 v1, v0, 15, 2
	s_delay_alu instid0(VALU_DEP_3) | instskip(NEXT) | instid1(VALU_DEP_1)
	s_and_b32 s0, s1, s0
	v_cmp_gt_u64_e32 vcc_lo, s[24:25], v[1:2]
	v_mad_u32_u24 v1, v0, 15, 1
	s_delay_alu instid0(VALU_DEP_4) | instskip(SKIP_1) | instid1(VALU_DEP_1)
	s_and_b32 s2, s4, s2
	s_mov_b32 s4, exec_lo
	v_cmp_gt_u64_e64 s5, s[24:25], v[1:2]
	s_and_b32 s1, vcc_lo, s3
	s_delay_alu instid0(VALU_DEP_1)
	s_and_b32 s3, s5, s6
	v_cmpx_ne_u32_e32 0, v0
	s_cbranch_execz .LBB116_117
; %bb.116:
	v_add_nc_u32_e32 v1, -4, v4
	ds_load_b32 v5, v1
.LBB116_117:
	s_or_b32 exec_lo, exec_lo, s4
	v_mov_b32_e32 v4, v2
	v_cndmask_b32_e64 v54, 0, 1, s0
	s_waitcnt lgkmcnt(0)
	v_cmp_neq_f32_e64 s0, v5, v21
	v_cndmask_b32_e64 v51, 0, 1, s11
	v_cndmask_b32_e64 v44, 0, 1, s12
	v_cmp_gt_u64_e32 vcc_lo, s[24:25], v[3:4]
	v_cndmask_b32_e64 v45, 0, 1, s13
	v_cndmask_b32_e64 v46, 0, 1, s14
	;; [unrolled: 1-line block ×11, first 2 shown]
	s_and_b32 s0, vcc_lo, s0
	s_and_b32 vcc_lo, exec_lo, s10
	s_cbranch_vccnz .LBB116_120
.LBB116_118:
                                        ; implicit-def: $sgpr1
	v_mov_b32_e32 v58, s1
	s_and_saveexec_b32 s1, s41
	s_cbranch_execnz .LBB116_72
	s_branch .LBB116_73
.LBB116_119:
                                        ; implicit-def: $sgpr0
                                        ; implicit-def: $vgpr51
                                        ; implicit-def: $vgpr44
                                        ; implicit-def: $vgpr45
                                        ; implicit-def: $vgpr46
                                        ; implicit-def: $vgpr47
                                        ; implicit-def: $vgpr48
                                        ; implicit-def: $vgpr49
                                        ; implicit-def: $vgpr50
                                        ; implicit-def: $vgpr52
                                        ; implicit-def: $vgpr53
                                        ; implicit-def: $vgpr54
                                        ; implicit-def: $vgpr55
                                        ; implicit-def: $vgpr56
                                        ; implicit-def: $vgpr57
	s_cbranch_execz .LBB116_118
.LBB116_120:
	v_mad_u32_u24 v1, v0, 15, 14
	v_dual_mov_b32 v2, 0 :: v_dual_lshlrev_b32 v3, 2, v0
	v_cmp_neq_f32_e64 s5, v9, v10
	v_cmp_neq_f32_e64 s4, v10, v43
	;; [unrolled: 1-line block ×3, first 2 shown]
	s_delay_alu instid0(VALU_DEP_4)
	v_cmp_gt_u64_e32 vcc_lo, s[24:25], v[1:2]
	v_mad_u32_u24 v1, v0, 15, 13
	v_cmp_neq_f32_e64 s8, v11, v12
	v_cmp_neq_f32_e64 s9, v14, v11
	;; [unrolled: 1-line block ×4, first 2 shown]
	v_cmp_gt_u64_e64 s0, s[24:25], v[1:2]
	v_mad_u32_u24 v1, v0, 15, 12
	s_and_b32 s4, vcc_lo, s4
	v_cmp_neq_f32_e64 s13, v15, v16
	v_cmp_neq_f32_e64 s14, v18, v15
	;; [unrolled: 1-line block ×3, first 2 shown]
	v_cmp_gt_u64_e64 s1, s[24:25], v[1:2]
	v_mad_u32_u24 v1, v0, 15, 11
	s_and_b32 s0, s0, s5
	v_cmp_neq_f32_e64 s17, v20, v17
	v_cndmask_b32_e64 v44, 0, 1, s0
	v_cmp_neq_f32_e64 s19, v19, v20
	v_cmp_gt_u64_e64 s2, s[24:25], v[1:2]
	v_mad_u32_u24 v1, v0, 15, 10
	s_and_b32 s0, s1, s6
	v_cmp_neq_f32_e64 s20, v22, v19
	v_cndmask_b32_e64 v45, 0, 1, s0
	v_cmp_neq_f32_e64 s21, v21, v22
	v_cmp_gt_u64_e64 s3, s[24:25], v[1:2]
	v_mad_u32_u24 v1, v0, 15, 9
	s_and_b32 s0, s2, s8
	v_cndmask_b32_e64 v51, 0, 1, s4
	v_cndmask_b32_e64 v46, 0, 1, s0
	ds_store_b32 v3, v43
	v_cmp_gt_u64_e64 s7, s[24:25], v[1:2]
	v_mad_u32_u24 v1, v0, 15, 8
	s_and_b32 s1, s3, s9
	s_waitcnt lgkmcnt(0)
	v_cndmask_b32_e64 v47, 0, 1, s1
	s_barrier
	v_cmp_gt_u64_e64 s12, s[24:25], v[1:2]
	v_mad_u32_u24 v1, v0, 15, 7
	s_and_b32 s1, s7, s10
	buffer_gl0_inv
	v_cndmask_b32_e64 v48, 0, 1, s1
	v_cmp_gt_u64_e64 s18, s[24:25], v[1:2]
	v_mad_u32_u24 v1, v0, 15, 6
	s_and_b32 s2, s12, s11
	s_delay_alu instid0(SALU_CYCLE_1) | instskip(NEXT) | instid1(VALU_DEP_2)
	v_cndmask_b32_e64 v49, 0, 1, s2
	v_cmp_gt_u64_e64 s22, s[24:25], v[1:2]
	v_mad_u32_u24 v1, v0, 15, 5
	s_and_b32 s2, s18, s13
	s_delay_alu instid0(SALU_CYCLE_1) | instskip(NEXT) | instid1(VALU_DEP_2)
	v_cndmask_b32_e64 v50, 0, 1, s2
	v_cmp_gt_u64_e32 vcc_lo, s[24:25], v[1:2]
	v_mad_u32_u24 v1, v0, 15, 4
	s_and_b32 s3, s22, s14
	s_delay_alu instid0(SALU_CYCLE_1) | instskip(NEXT) | instid1(VALU_DEP_2)
	v_cndmask_b32_e64 v52, 0, 1, s3
	v_cmp_gt_u64_e64 s0, s[24:25], v[1:2]
	v_mad_u32_u24 v1, v0, 15, 3
	s_and_b32 s3, vcc_lo, s16
	s_delay_alu instid0(SALU_CYCLE_1) | instskip(NEXT) | instid1(VALU_DEP_2)
	v_cndmask_b32_e64 v53, 0, 1, s3
	v_cmp_gt_u64_e64 s1, s[24:25], v[1:2]
	v_mad_u32_u24 v1, v0, 15, 2
	s_and_b32 s0, s0, s17
	s_delay_alu instid0(SALU_CYCLE_1) | instskip(NEXT) | instid1(VALU_DEP_2)
	v_cndmask_b32_e64 v54, 0, 1, s0
	v_cmp_gt_u64_e64 s2, s[24:25], v[1:2]
	v_mad_u32_u24 v1, v0, 15, 1
	s_and_b32 s0, s1, s19
	s_mov_b32 s1, 1
	v_cndmask_b32_e64 v55, 0, 1, s0
	s_delay_alu instid0(VALU_DEP_2) | instskip(SKIP_4) | instid1(SALU_CYCLE_1)
	v_cmp_gt_u64_e32 vcc_lo, s[24:25], v[1:2]
	s_and_b32 s0, s2, s20
	s_mov_b32 s2, exec_lo
	v_cndmask_b32_e64 v56, 0, 1, s0
	s_and_b32 s0, vcc_lo, s21
	v_cndmask_b32_e64 v57, 0, 1, s0
                                        ; implicit-def: $sgpr0
	v_cmpx_ne_u32_e32 0, v0
	s_cbranch_execz .LBB116_128
; %bb.121:
	v_add_nc_u32_e32 v1, -4, v3
	s_or_b32 s41, s41, exec_lo
	ds_load_b32 v3, v1
	v_mul_u32_u24_e32 v1, 15, v0
	s_delay_alu instid0(VALU_DEP_1) | instskip(SKIP_2) | instid1(VALU_DEP_1)
	v_cmp_gt_u64_e32 vcc_lo, s[24:25], v[1:2]
	s_waitcnt lgkmcnt(0)
	v_cmp_neq_f32_e64 s0, v3, v21
	s_and_b32 s0, vcc_lo, s0
	s_delay_alu instid0(SALU_CYCLE_1)
	s_and_b32 s0, s0, exec_lo
	s_or_b32 exec_lo, exec_lo, s2
	v_mov_b32_e32 v58, s1
	s_and_saveexec_b32 s1, s41
	s_cbranch_execz .LBB116_73
	s_branch .LBB116_72
.LBB116_122:
	v_lshlrev_b32_e32 v6, 16, v39
	v_lshlrev_b32_e32 v5, 8, v5
	v_cndmask_b32_e64 v7, 0, 1, vcc_lo
	v_and_b32_e32 v2, 0xff, v2
	s_delay_alu instid0(VALU_DEP_4) | instskip(NEXT) | instid1(VALU_DEP_4)
	v_perm_b32 v6, v8, v6, 0x4020c0c
	v_and_b32_e32 v5, 0xff00, v5
	s_delay_alu instid0(VALU_DEP_4) | instskip(NEXT) | instid1(VALU_DEP_2)
	v_readfirstlane_b32 s14, v7
	v_or3_b32 v2, v6, v5, v2
	s_delay_alu instid0(VALU_DEP_2)
	s_sub_i32 s16, s16, s14
.LBB116_123:
	v_and_b32_e32 v4, 0xff, v4
	s_delay_alu instid0(VALU_DEP_1)
	v_cmp_eq_u16_e32 vcc_lo, 2, v4
	s_cbranch_vccz .LBB116_129
; %bb.124:
	s_ctz_i32_b32 s14, vcc_lo
	s_delay_alu instid0(SALU_CYCLE_1)
	s_cmp_eq_u32 s14, 0
	s_cbranch_scc1 .LBB116_130
; %bb.125:
	v_cmp_ne_u32_e32 vcc_lo, 31, v72
	v_add_co_ci_u32_e32 v4, vcc_lo, 0, v72, vcc_lo
	v_cmp_eq_u32_e32 vcc_lo, 0, v2
	s_delay_alu instid0(VALU_DEP_2)
	v_dual_mov_b32 v5, v3 :: v_dual_lshlrev_b32 v6, 2, v4
	v_mov_b32_e32 v4, v2
.LBB116_126:                            ; =>This Inner Loop Header: Depth=1
	ds_bpermute_b32 v5, v6, v5
	ds_bpermute_b32 v4, v6, v4
	s_add_i32 s14, s14, -1
	s_delay_alu instid0(SALU_CYCLE_1) | instskip(SKIP_2) | instid1(VALU_DEP_1)
	s_cmp_lg_u32 s14, 0
	s_waitcnt lgkmcnt(0)
	v_dual_add_f32 v5, v3, v5 :: v_dual_add_nc_u32 v4, v4, v2
	v_cndmask_b32_e32 v5, v3, v5, vcc_lo
	s_cbranch_scc1 .LBB116_126
; %bb.127:
	s_cmp_lt_i32 s16, 1
	s_cbranch_scc0 .LBB116_131
	s_branch .LBB116_133
.LBB116_128:
	s_or_b32 exec_lo, exec_lo, s2
	v_mov_b32_e32 v58, s1
	s_and_saveexec_b32 s1, s41
	s_cbranch_execnz .LBB116_72
	s_branch .LBB116_73
.LBB116_129:
	s_mov_b32 s16, 0
	s_mov_b32 s15, -1
	s_branch .LBB116_138
.LBB116_130:
	v_dual_mov_b32 v5, v3 :: v_dual_mov_b32 v4, v2
	s_cmp_lt_i32 s16, 1
	s_cbranch_scc1 .LBB116_133
.LBB116_131:
	s_lshl_b32 s14, s16, 3
	s_delay_alu instid0(SALU_CYCLE_1) | instskip(SKIP_1) | instid1(VALU_DEP_1)
	v_add_nc_u32_e64 v2, s14, 0
	s_add_i32 s14, s16, 1
	v_add_nc_u32_e32 v2, -4, v2
.LBB116_132:                            ; =>This Inner Loop Header: Depth=1
	scratch_load_b64 v[6:7], v2, off offset:-4
	v_readlane_b32 s16, v5, 32
	s_add_i32 s14, s14, -1
	v_add_nc_u32_e32 v2, -8, v2
	s_cmp_gt_u32 s14, 1
	s_waitcnt vmcnt(0)
	v_add_f32_e32 v3, s16, v7
	v_readlane_b32 s16, v4, 32
	v_cmp_eq_u32_e32 vcc_lo, 0, v6
	s_delay_alu instid0(VALU_DEP_2) | instskip(NEXT) | instid1(VALU_DEP_1)
	v_add_nc_u32_e32 v4, s16, v6
	v_mov_b32_dpp v4, v4 row_shl:1 row_mask:0xf bank_mask:0xf
	s_delay_alu instid0(VALU_DEP_1) | instskip(NEXT) | instid1(VALU_DEP_1)
	v_dual_cndmask_b32 v3, v7, v3 :: v_dual_add_nc_u32 v4, v4, v6
	v_mov_b32_dpp v3, v3 row_shl:1 row_mask:0xf bank_mask:0xf
	s_delay_alu instid0(VALU_DEP_2) | instskip(NEXT) | instid1(VALU_DEP_1)
	v_mov_b32_dpp v4, v4 row_shl:1 row_mask:0xf bank_mask:0xf
	v_dual_add_f32 v3, v7, v3 :: v_dual_add_nc_u32 v4, v4, v6
	s_delay_alu instid0(VALU_DEP_1) | instskip(NEXT) | instid1(VALU_DEP_1)
	v_mov_b32_dpp v4, v4 row_shl:1 row_mask:0xf bank_mask:0xf
	v_dual_cndmask_b32 v3, v7, v3 :: v_dual_add_nc_u32 v4, v4, v6
	s_delay_alu instid0(VALU_DEP_1) | instskip(NEXT) | instid1(VALU_DEP_2)
	v_mov_b32_dpp v3, v3 row_shl:1 row_mask:0xf bank_mask:0xf
	v_mov_b32_dpp v4, v4 row_shl:1 row_mask:0xf bank_mask:0xf
	s_delay_alu instid0(VALU_DEP_1) | instskip(NEXT) | instid1(VALU_DEP_1)
	v_dual_add_f32 v3, v7, v3 :: v_dual_add_nc_u32 v4, v4, v6
	v_mov_b32_dpp v4, v4 row_shl:1 row_mask:0xf bank_mask:0xf
	s_delay_alu instid0(VALU_DEP_1) | instskip(NEXT) | instid1(VALU_DEP_1)
	v_dual_cndmask_b32 v3, v7, v3 :: v_dual_add_nc_u32 v4, v4, v6
	v_mov_b32_dpp v3, v3 row_shl:1 row_mask:0xf bank_mask:0xf
	s_delay_alu instid0(VALU_DEP_2) | instskip(NEXT) | instid1(VALU_DEP_1)
	v_mov_b32_dpp v4, v4 row_shl:1 row_mask:0xf bank_mask:0xf
	v_dual_add_f32 v3, v7, v3 :: v_dual_add_nc_u32 v4, v4, v6
	s_delay_alu instid0(VALU_DEP_1) | instskip(NEXT) | instid1(VALU_DEP_1)
	v_mov_b32_dpp v4, v4 row_shl:1 row_mask:0xf bank_mask:0xf
	v_dual_cndmask_b32 v3, v7, v3 :: v_dual_add_nc_u32 v4, v4, v6
	s_delay_alu instid0(VALU_DEP_1) | instskip(NEXT) | instid1(VALU_DEP_2)
	v_mov_b32_dpp v3, v3 row_shl:1 row_mask:0xf bank_mask:0xf
	v_mov_b32_dpp v4, v4 row_shl:1 row_mask:0xf bank_mask:0xf
	s_delay_alu instid0(VALU_DEP_2) | instskip(NEXT) | instid1(VALU_DEP_1)
	v_add_f32_e32 v3, v7, v3
	v_cndmask_b32_e32 v3, v7, v3, vcc_lo
	s_delay_alu instid0(VALU_DEP_1) | instskip(NEXT) | instid1(VALU_DEP_1)
	v_mov_b32_dpp v3, v3 row_shl:1 row_mask:0xf bank_mask:0xf
	v_add_f32_e32 v3, v7, v3
	s_delay_alu instid0(VALU_DEP_1) | instskip(NEXT) | instid1(VALU_DEP_1)
	v_cndmask_b32_e32 v3, v7, v3, vcc_lo
	v_mov_b32_dpp v3, v3 row_shl:1 row_mask:0xf bank_mask:0xf
	s_delay_alu instid0(VALU_DEP_1) | instskip(NEXT) | instid1(VALU_DEP_1)
	v_add_f32_e32 v3, v7, v3
	v_cndmask_b32_e32 v3, v7, v3, vcc_lo
	s_delay_alu instid0(VALU_DEP_1) | instskip(NEXT) | instid1(VALU_DEP_1)
	v_mov_b32_dpp v3, v3 row_shl:1 row_mask:0xf bank_mask:0xf
	v_add_f32_e32 v3, v7, v3
	s_delay_alu instid0(VALU_DEP_1) | instskip(NEXT) | instid1(VALU_DEP_1)
	v_cndmask_b32_e32 v3, v7, v3, vcc_lo
	v_mov_b32_dpp v3, v3 row_shl:1 row_mask:0xf bank_mask:0xf
	s_delay_alu instid0(VALU_DEP_1) | instskip(NEXT) | instid1(VALU_DEP_1)
	;; [unrolled: 9-line block ×5, first 2 shown]
	v_add_f32_e32 v3, v7, v3
	v_cndmask_b32_e32 v3, v7, v3, vcc_lo
	s_delay_alu instid0(VALU_DEP_1) | instskip(NEXT) | instid1(VALU_DEP_1)
	v_mov_b32_dpp v3, v3 row_shl:1 row_mask:0xf bank_mask:0xf
	v_add_f32_e32 v3, v7, v3
	s_delay_alu instid0(VALU_DEP_1) | instskip(NEXT) | instid1(VALU_DEP_1)
	v_cndmask_b32_e32 v3, v7, v3, vcc_lo
	v_readlane_b32 s16, v3, 16
	s_delay_alu instid0(VALU_DEP_1) | instskip(NEXT) | instid1(VALU_DEP_1)
	v_dual_add_f32 v4, s16, v7 :: v_dual_add_nc_u32 v3, v4, v6
	v_mov_b32_dpp v3, v3 row_shl:1 row_mask:0xf bank_mask:0xf
	s_delay_alu instid0(VALU_DEP_2) | instskip(NEXT) | instid1(VALU_DEP_2)
	v_cndmask_b32_e32 v4, v7, v4, vcc_lo
	v_add_nc_u32_e32 v3, v3, v6
	s_delay_alu instid0(VALU_DEP_2) | instskip(NEXT) | instid1(VALU_DEP_2)
	v_mov_b32_dpp v4, v4 row_shl:1 row_mask:0xf bank_mask:0xf
	v_mov_b32_dpp v3, v3 row_shl:1 row_mask:0xf bank_mask:0xf
	s_delay_alu instid0(VALU_DEP_2) | instskip(NEXT) | instid1(VALU_DEP_2)
	v_add_f32_e32 v4, v7, v4
	v_add_nc_u32_e32 v3, v3, v6
	s_delay_alu instid0(VALU_DEP_2) | instskip(NEXT) | instid1(VALU_DEP_2)
	v_cndmask_b32_e32 v4, v7, v4, vcc_lo
	v_mov_b32_dpp v3, v3 row_shl:1 row_mask:0xf bank_mask:0xf
	s_delay_alu instid0(VALU_DEP_2) | instskip(NEXT) | instid1(VALU_DEP_2)
	v_mov_b32_dpp v4, v4 row_shl:1 row_mask:0xf bank_mask:0xf
	v_add_nc_u32_e32 v3, v3, v6
	s_delay_alu instid0(VALU_DEP_2) | instskip(NEXT) | instid1(VALU_DEP_2)
	v_add_f32_e32 v4, v7, v4
	v_mov_b32_dpp v3, v3 row_shl:1 row_mask:0xf bank_mask:0xf
	s_delay_alu instid0(VALU_DEP_2) | instskip(NEXT) | instid1(VALU_DEP_2)
	v_cndmask_b32_e32 v4, v7, v4, vcc_lo
	v_add_nc_u32_e32 v3, v3, v6
	s_delay_alu instid0(VALU_DEP_2) | instskip(NEXT) | instid1(VALU_DEP_2)
	v_mov_b32_dpp v4, v4 row_shl:1 row_mask:0xf bank_mask:0xf
	v_mov_b32_dpp v3, v3 row_shl:1 row_mask:0xf bank_mask:0xf
	s_delay_alu instid0(VALU_DEP_2) | instskip(NEXT) | instid1(VALU_DEP_2)
	v_add_f32_e32 v4, v7, v4
	v_add_nc_u32_e32 v3, v3, v6
	s_delay_alu instid0(VALU_DEP_2) | instskip(NEXT) | instid1(VALU_DEP_2)
	v_cndmask_b32_e32 v4, v7, v4, vcc_lo
	v_mov_b32_dpp v3, v3 row_shl:1 row_mask:0xf bank_mask:0xf
	s_delay_alu instid0(VALU_DEP_2) | instskip(NEXT) | instid1(VALU_DEP_2)
	v_mov_b32_dpp v4, v4 row_shl:1 row_mask:0xf bank_mask:0xf
	v_add_nc_u32_e32 v3, v3, v6
	s_delay_alu instid0(VALU_DEP_2) | instskip(NEXT) | instid1(VALU_DEP_2)
	v_add_f32_e32 v4, v7, v4
	v_mov_b32_dpp v3, v3 row_shl:1 row_mask:0xf bank_mask:0xf
	s_delay_alu instid0(VALU_DEP_2) | instskip(NEXT) | instid1(VALU_DEP_2)
	v_cndmask_b32_e32 v4, v7, v4, vcc_lo
	v_add_nc_u32_e32 v3, v3, v6
	s_delay_alu instid0(VALU_DEP_2) | instskip(NEXT) | instid1(VALU_DEP_2)
	v_mov_b32_dpp v4, v4 row_shl:1 row_mask:0xf bank_mask:0xf
	v_readlane_b32 s16, v3, 16
	s_delay_alu instid0(VALU_DEP_1) | instskip(NEXT) | instid1(VALU_DEP_1)
	v_dual_add_f32 v3, v7, v4 :: v_dual_add_nc_u32 v4, s16, v6
	v_cndmask_b32_e32 v3, v7, v3, vcc_lo
	s_delay_alu instid0(VALU_DEP_2) | instskip(NEXT) | instid1(VALU_DEP_2)
	v_mov_b32_dpp v4, v4 row_shl:1 row_mask:0xf bank_mask:0xf
	v_mov_b32_dpp v3, v3 row_shl:1 row_mask:0xf bank_mask:0xf
	s_delay_alu instid0(VALU_DEP_1) | instskip(NEXT) | instid1(VALU_DEP_1)
	v_dual_add_f32 v3, v7, v3 :: v_dual_add_nc_u32 v4, v4, v6
	v_mov_b32_dpp v4, v4 row_shl:1 row_mask:0xf bank_mask:0xf
	s_delay_alu instid0(VALU_DEP_1) | instskip(NEXT) | instid1(VALU_DEP_1)
	v_dual_cndmask_b32 v3, v7, v3 :: v_dual_add_nc_u32 v4, v4, v6
	v_mov_b32_dpp v3, v3 row_shl:1 row_mask:0xf bank_mask:0xf
	s_delay_alu instid0(VALU_DEP_2) | instskip(NEXT) | instid1(VALU_DEP_1)
	v_mov_b32_dpp v4, v4 row_shl:1 row_mask:0xf bank_mask:0xf
	v_dual_add_f32 v3, v7, v3 :: v_dual_add_nc_u32 v4, v4, v6
	s_delay_alu instid0(VALU_DEP_1) | instskip(NEXT) | instid1(VALU_DEP_2)
	v_cndmask_b32_e32 v3, v7, v3, vcc_lo
	v_mov_b32_dpp v4, v4 row_shl:1 row_mask:0xf bank_mask:0xf
	s_delay_alu instid0(VALU_DEP_2) | instskip(NEXT) | instid1(VALU_DEP_1)
	v_mov_b32_dpp v3, v3 row_shl:1 row_mask:0xf bank_mask:0xf
	v_dual_add_f32 v3, v7, v3 :: v_dual_add_nc_u32 v4, v4, v6
	s_delay_alu instid0(VALU_DEP_1) | instskip(NEXT) | instid1(VALU_DEP_1)
	v_mov_b32_dpp v4, v4 row_shl:1 row_mask:0xf bank_mask:0xf
	v_dual_cndmask_b32 v3, v7, v3 :: v_dual_add_nc_u32 v4, v4, v6
	s_delay_alu instid0(VALU_DEP_1) | instskip(NEXT) | instid1(VALU_DEP_2)
	v_mov_b32_dpp v3, v3 row_shl:1 row_mask:0xf bank_mask:0xf
	v_mov_b32_dpp v4, v4 row_shl:1 row_mask:0xf bank_mask:0xf
	s_delay_alu instid0(VALU_DEP_1) | instskip(NEXT) | instid1(VALU_DEP_1)
	v_dual_add_f32 v3, v7, v3 :: v_dual_add_nc_u32 v4, v4, v6
	v_cndmask_b32_e32 v3, v7, v3, vcc_lo
	s_delay_alu instid0(VALU_DEP_2) | instskip(NEXT) | instid1(VALU_DEP_2)
	v_mov_b32_dpp v4, v4 row_shl:1 row_mask:0xf bank_mask:0xf
	v_mov_b32_dpp v3, v3 row_shl:1 row_mask:0xf bank_mask:0xf
	s_delay_alu instid0(VALU_DEP_1) | instskip(NEXT) | instid1(VALU_DEP_1)
	v_dual_add_f32 v3, v7, v3 :: v_dual_add_nc_u32 v4, v4, v6
	v_mov_b32_dpp v4, v4 row_shl:1 row_mask:0xf bank_mask:0xf
	s_delay_alu instid0(VALU_DEP_1) | instskip(NEXT) | instid1(VALU_DEP_1)
	v_dual_cndmask_b32 v3, v7, v3 :: v_dual_add_nc_u32 v4, v4, v6
	v_mov_b32_dpp v3, v3 row_shl:1 row_mask:0xf bank_mask:0xf
	s_delay_alu instid0(VALU_DEP_2) | instskip(NEXT) | instid1(VALU_DEP_1)
	v_mov_b32_dpp v4, v4 row_shl:1 row_mask:0xf bank_mask:0xf
	v_dual_add_f32 v3, v7, v3 :: v_dual_add_nc_u32 v4, v4, v6
	s_delay_alu instid0(VALU_DEP_1) | instskip(NEXT) | instid1(VALU_DEP_2)
	v_cndmask_b32_e32 v3, v7, v3, vcc_lo
	v_mov_b32_dpp v4, v4 row_shl:1 row_mask:0xf bank_mask:0xf
	s_delay_alu instid0(VALU_DEP_2) | instskip(NEXT) | instid1(VALU_DEP_1)
	v_mov_b32_dpp v3, v3 row_shl:1 row_mask:0xf bank_mask:0xf
	v_dual_add_f32 v3, v7, v3 :: v_dual_add_nc_u32 v4, v4, v6
	s_delay_alu instid0(VALU_DEP_1) | instskip(NEXT) | instid1(VALU_DEP_1)
	v_mov_b32_dpp v4, v4 row_shl:1 row_mask:0xf bank_mask:0xf
	v_dual_cndmask_b32 v3, v7, v3 :: v_dual_add_nc_u32 v4, v4, v6
	s_delay_alu instid0(VALU_DEP_1) | instskip(NEXT) | instid1(VALU_DEP_2)
	v_mov_b32_dpp v3, v3 row_shl:1 row_mask:0xf bank_mask:0xf
	v_mov_b32_dpp v4, v4 row_shl:1 row_mask:0xf bank_mask:0xf
	s_delay_alu instid0(VALU_DEP_1) | instskip(NEXT) | instid1(VALU_DEP_1)
	v_dual_add_f32 v3, v7, v3 :: v_dual_add_nc_u32 v4, v4, v6
	v_cndmask_b32_e32 v3, v7, v3, vcc_lo
	s_delay_alu instid0(VALU_DEP_2) | instskip(NEXT) | instid1(VALU_DEP_2)
	v_mov_b32_dpp v4, v4 row_shl:1 row_mask:0xf bank_mask:0xf
	v_mov_b32_dpp v3, v3 row_shl:1 row_mask:0xf bank_mask:0xf
	s_delay_alu instid0(VALU_DEP_1) | instskip(NEXT) | instid1(VALU_DEP_1)
	v_dual_add_f32 v3, v7, v3 :: v_dual_add_nc_u32 v4, v4, v6
	v_mov_b32_dpp v4, v4 row_shl:1 row_mask:0xf bank_mask:0xf
	s_delay_alu instid0(VALU_DEP_1) | instskip(NEXT) | instid1(VALU_DEP_1)
	v_dual_cndmask_b32 v3, v7, v3 :: v_dual_add_nc_u32 v4, v4, v6
	v_mov_b32_dpp v3, v3 row_shl:1 row_mask:0xf bank_mask:0xf
	s_delay_alu instid0(VALU_DEP_2) | instskip(NEXT) | instid1(VALU_DEP_1)
	v_mov_b32_dpp v4, v4 row_shl:1 row_mask:0xf bank_mask:0xf
	v_dual_add_f32 v3, v7, v3 :: v_dual_add_nc_u32 v4, v4, v6
	s_delay_alu instid0(VALU_DEP_1)
	v_cndmask_b32_e32 v5, v7, v3, vcc_lo
	s_cbranch_scc1 .LBB116_132
.LBB116_133:
	s_delay_alu instid0(VALU_DEP_1) | instskip(NEXT) | instid1(VALU_DEP_2)
	v_readfirstlane_b32 s14, v4
	v_readfirstlane_b32 s16, v5
	s_and_saveexec_b32 s17, s13
	s_cbranch_execz .LBB116_135
; %bb.134:
	s_delay_alu instid0(VALU_DEP_1)
	v_add_f32_e64 v2, s24, s16
	v_cmp_eq_u32_e32 vcc_lo, 0, v1
	s_mov_b32 s19, 0
	s_add_i32 s18, s15, 32
	v_mov_b32_e32 v7, 2
	s_lshl_b64 s[18:19], s[18:19], 4
	v_cndmask_b32_e32 v2, s24, v2, vcc_lo
	s_add_u32 s18, s36, s18
	s_addc_u32 s19, s37, s19
	s_delay_alu instid0(SALU_CYCLE_1) | instskip(NEXT) | instid1(VALU_DEP_2)
	v_dual_mov_b32 v40, s19 :: v_dual_add_nc_u32 v5, s14, v1
	v_dual_mov_b32 v8, 0 :: v_dual_and_b32 v3, 0xff000000, v2
	v_dual_mov_b32 v39, s18 :: v_dual_and_b32 v4, 0xff0000, v2
	v_and_b32_e32 v6, 0xff00, v2
	v_and_b32_e32 v2, 0xff, v2
	s_delay_alu instid0(VALU_DEP_3) | instskip(SKIP_1) | instid1(VALU_DEP_2)
	v_or_b32_e32 v3, v4, v3
	v_mov_b32_e32 v4, s16
	v_or_b32_e32 v3, v3, v6
	s_delay_alu instid0(VALU_DEP_1)
	v_or_b32_e32 v6, v3, v2
	v_dual_mov_b32 v3, s14 :: v_dual_mov_b32 v2, s24
	;;#ASMSTART
	global_store_dwordx4 v[39:40], v[5:8] off	
s_waitcnt vmcnt(0)
	;;#ASMEND
	ds_store_b128 v8, v[1:4] offset:2048
.LBB116_135:
	s_or_b32 exec_lo, exec_lo, s17
	s_mov_b32 s15, 0
	s_mov_b32 s17, exec_lo
	v_cmpx_eq_u32_e32 0, v0
	s_cbranch_execz .LBB116_137
; %bb.136:
	v_dual_mov_b32 v1, s14 :: v_dual_mov_b32 v2, s16
	v_mov_b32_e32 v3, 0
	ds_store_b64 v3, v[1:2] offset:2120
.LBB116_137:
	s_or_b32 exec_lo, exec_lo, s17
	s_mov_b32 s16, -1
.LBB116_138:
	s_and_b32 s14, s15, exec_lo
	s_or_not1_b32 s16, s16, exec_lo
.LBB116_139:
	s_or_b32 exec_lo, exec_lo, s22
                                        ; implicit-def: $vgpr1
                                        ; implicit-def: $vgpr39
                                        ; implicit-def: $vgpr5
                                        ; implicit-def: $vgpr62
                                        ; implicit-def: $vgpr40
                                        ; implicit-def: $vgpr42
                                        ; implicit-def: $vgpr41
                                        ; implicit-def: $vgpr60
                                        ; implicit-def: $vgpr61
                                        ; implicit-def: $vgpr63
                                        ; implicit-def: $vgpr64
                                        ; implicit-def: $vgpr65
                                        ; implicit-def: $vgpr66
                                        ; implicit-def: $vgpr67
                                        ; implicit-def: $vgpr68
                                        ; implicit-def: $vgpr69
                                        ; implicit-def: $vgpr70
                                        ; implicit-def: $vgpr71
	s_and_saveexec_b32 s15, s16
	s_cbranch_execz .LBB116_172
; %bb.140:
	s_waitcnt lgkmcnt(1)
	v_cndmask_b32_e64 v7, v77, v37, s13
	s_waitcnt lgkmcnt(0)
	v_cndmask_b32_e64 v2, v78, v38, s13
	s_waitcnt_vscnt null, 0x0
	s_barrier
	buffer_gl0_inv
	v_cmp_eq_u32_e32 vcc_lo, 0, v7
	v_mov_b32_e32 v1, 0
	v_cmp_eq_u32_e64 s13, 0, v58
	s_mov_b32 s21, exec_lo
	ds_load_b64 v[5:6], v1 offset:2120
	s_waitcnt lgkmcnt(0)
	s_barrier
	buffer_gl0_inv
	v_add_f32_e32 v3, v2, v6
	s_delay_alu instid0(VALU_DEP_1) | instskip(SKIP_1) | instid1(VALU_DEP_2)
	v_cndmask_b32_e32 v2, v2, v3, vcc_lo
	v_cmp_eq_u32_e32 vcc_lo, 0, v0
	v_cndmask_b32_e32 v71, v2, v6, vcc_lo
	s_delay_alu instid0(VALU_DEP_1) | instskip(NEXT) | instid1(VALU_DEP_1)
	v_add_f32_e32 v2, v35, v71
	v_cndmask_b32_e64 v70, v35, v2, s13
	s_delay_alu instid0(VALU_DEP_1) | instskip(NEXT) | instid1(VALU_DEP_1)
	v_add_f32_e32 v2, v36, v70
	v_cndmask_b32_e64 v69, v36, v2, s12
	;; [unrolled: 3-line block ×11, first 2 shown]
	ds_load_b128 v[1:4], v1 offset:2048
	v_add_f32_e32 v6, v26, v41
	s_delay_alu instid0(VALU_DEP_1) | instskip(SKIP_2) | instid1(VALU_DEP_2)
	v_cndmask_b32_e64 v42, v26, v6, s2
	s_waitcnt lgkmcnt(0)
	v_add_f32_e32 v4, v4, v2
	v_add_f32_e32 v6, v23, v42
	s_delay_alu instid0(VALU_DEP_1) | instskip(SKIP_2) | instid1(VALU_DEP_2)
	v_cndmask_b32_e64 v40, v23, v6, s1
	v_cndmask_b32_e64 v6, v7, 0, vcc_lo
	v_cmp_eq_u32_e32 vcc_lo, 0, v1
	v_dual_add_f32 v7, v24, v40 :: v_dual_add_nc_u32 v6, v5, v6
	v_cndmask_b32_e32 v39, v2, v4, vcc_lo
	v_mov_b32_e32 v5, v3
	s_delay_alu instid0(VALU_DEP_3) | instskip(NEXT) | instid1(VALU_DEP_4)
	v_cndmask_b32_e64 v62, v24, v7, s0
	v_mov_b32_e32 v4, v6
	s_or_b32 exec_lo, exec_lo, s15
	s_and_saveexec_b32 s0, s14
	s_delay_alu instid0(SALU_CYCLE_1)
	s_xor_b32 s0, exec_lo, s0
	s_cbranch_execnz .LBB116_173
.LBB116_141:
	s_or_b32 exec_lo, exec_lo, s0
	s_branch .LBB116_109
.LBB116_142:
	s_and_b32 s0, s20, exec_lo
	v_mov_b32_e32 v5, v35
	s_cselect_b32 s1, 0, s35
	s_cselect_b32 s0, 0, s34
	s_delay_alu instid0(SALU_CYCLE_1)
	s_cmp_eq_u64 s[0:1], 0
	s_cbranch_scc1 .LBB116_144
; %bb.143:
	v_mov_b32_e32 v1, 0
	global_load_b32 v5, v1, s[0:1]
.LBB116_144:
	v_cmp_eq_u32_e64 s0, 0, v57
	v_cmp_eq_u32_e64 s1, 0, v56
	v_add3_u32 v2, v75, v53, v52
	v_cmp_eq_u32_e64 s2, 0, v55
	v_cmp_eq_u32_e64 s3, 0, v54
	v_cndmask_b32_e64 v1, v36, v76, s0
	v_cmp_eq_u32_e64 s4, 0, v53
	v_add3_u32 v2, v2, v50, v49
	v_cmp_eq_u32_e64 s5, 0, v52
	v_cmp_eq_u32_e64 s6, 0, v50
	v_dual_add_f32 v1, v33, v1 :: v_dual_and_b32 v4, 15, v72
	s_delay_alu instid0(VALU_DEP_4) | instskip(SKIP_2) | instid1(VALU_DEP_4)
	v_add3_u32 v2, v2, v48, v47
	v_cmp_eq_u32_e64 s7, 0, v49
	v_cmp_eq_u32_e64 s9, 0, v48
	v_cndmask_b32_e64 v1, v33, v1, s1
	v_cmp_eq_u32_e64 s11, 0, v47
	v_add3_u32 v2, v2, v46, v45
	v_cmp_eq_u32_e64 s8, 0, v46
	v_cmp_eq_u32_e64 s10, 0, v45
	v_add_f32_e32 v1, v34, v1
	v_cmp_eq_u32_e32 vcc_lo, 0, v44
	v_add3_u32 v2, v2, v44, v51
	v_cmp_eq_u32_e64 s12, 0, v51
	v_and_b32_e32 v7, 16, v72
	v_cndmask_b32_e64 v1, v34, v1, s2
	s_delay_alu instid0(VALU_DEP_4) | instskip(NEXT) | instid1(VALU_DEP_3)
	v_mov_b32_dpp v6, v2 row_shr:1 row_mask:0xf bank_mask:0xf
	v_cmp_eq_u32_e64 s13, 0, v7
	s_delay_alu instid0(VALU_DEP_3) | instskip(NEXT) | instid1(VALU_DEP_1)
	v_add_f32_e32 v1, v31, v1
	v_cndmask_b32_e64 v1, v31, v1, s3
	s_delay_alu instid0(VALU_DEP_1) | instskip(NEXT) | instid1(VALU_DEP_1)
	v_add_f32_e32 v1, v32, v1
	v_cndmask_b32_e64 v1, v32, v1, s4
	s_delay_alu instid0(VALU_DEP_1) | instskip(NEXT) | instid1(VALU_DEP_1)
	;; [unrolled: 3-line block ×9, first 2 shown]
	v_add_f32_e32 v1, v24, v1
	v_cndmask_b32_e32 v1, v24, v1, vcc_lo
	s_delay_alu instid0(VALU_DEP_1) | instskip(NEXT) | instid1(VALU_DEP_1)
	v_add_f32_e32 v1, v59, v1
	v_cndmask_b32_e64 v1, v59, v1, s12
	v_cmp_eq_u32_e64 s12, 0, v2
	s_delay_alu instid0(VALU_DEP_2) | instskip(NEXT) | instid1(VALU_DEP_1)
	v_mov_b32_dpp v3, v1 row_shr:1 row_mask:0xf bank_mask:0xf
	v_add_f32_e32 v3, v1, v3
	s_delay_alu instid0(VALU_DEP_1) | instskip(SKIP_1) | instid1(VALU_DEP_1)
	v_cndmask_b32_e64 v3, v1, v3, s12
	v_cmp_eq_u32_e64 s12, 0, v4
	v_cndmask_b32_e64 v6, v6, 0, s12
	s_delay_alu instid0(VALU_DEP_3) | instskip(NEXT) | instid1(VALU_DEP_2)
	v_cndmask_b32_e64 v1, v3, v1, s12
	v_add_nc_u32_e32 v2, v6, v2
	s_delay_alu instid0(VALU_DEP_2) | instskip(NEXT) | instid1(VALU_DEP_2)
	v_mov_b32_dpp v3, v1 row_shr:2 row_mask:0xf bank_mask:0xf
	v_cmp_eq_u32_e64 s12, 0, v2
	s_delay_alu instid0(VALU_DEP_2) | instskip(SKIP_1) | instid1(VALU_DEP_2)
	v_add_f32_e32 v3, v1, v3
	v_mov_b32_dpp v6, v2 row_shr:2 row_mask:0xf bank_mask:0xf
	v_cndmask_b32_e64 v3, v1, v3, s12
	v_cmp_lt_u32_e64 s12, 1, v4
	s_delay_alu instid0(VALU_DEP_1) | instskip(NEXT) | instid1(VALU_DEP_4)
	v_cndmask_b32_e64 v1, v1, v3, s12
	v_cndmask_b32_e64 v3, 0, v6, s12
	s_delay_alu instid0(VALU_DEP_2) | instskip(NEXT) | instid1(VALU_DEP_1)
	v_mov_b32_dpp v6, v1 row_shr:4 row_mask:0xf bank_mask:0xf
	v_dual_add_f32 v3, v1, v6 :: v_dual_add_nc_u32 v2, v2, v3
	s_delay_alu instid0(VALU_DEP_1) | instskip(SKIP_1) | instid1(VALU_DEP_2)
	v_cmp_eq_u32_e64 s12, 0, v2
	v_mov_b32_dpp v6, v2 row_shr:4 row_mask:0xf bank_mask:0xf
	v_cndmask_b32_e64 v3, v1, v3, s12
	v_cmp_lt_u32_e64 s12, 3, v4
	s_delay_alu instid0(VALU_DEP_1) | instskip(NEXT) | instid1(VALU_DEP_4)
	v_cndmask_b32_e64 v1, v1, v3, s12
	v_cndmask_b32_e64 v3, 0, v6, s12
	s_delay_alu instid0(VALU_DEP_2) | instskip(NEXT) | instid1(VALU_DEP_2)
	v_mov_b32_dpp v6, v1 row_shr:8 row_mask:0xf bank_mask:0xf
	v_add_nc_u32_e32 v2, v3, v2
	s_delay_alu instid0(VALU_DEP_2) | instskip(NEXT) | instid1(VALU_DEP_2)
	v_add_f32_e32 v3, v1, v6
	v_cmp_eq_u32_e64 s12, 0, v2
	v_mov_b32_dpp v6, v2 row_shr:8 row_mask:0xf bank_mask:0xf
	s_delay_alu instid0(VALU_DEP_2) | instskip(SKIP_1) | instid1(VALU_DEP_1)
	v_cndmask_b32_e64 v3, v1, v3, s12
	v_cmp_lt_u32_e64 s12, 7, v4
	v_cndmask_b32_e64 v3, v1, v3, s12
	s_delay_alu instid0(VALU_DEP_4) | instskip(SKIP_1) | instid1(VALU_DEP_2)
	v_cndmask_b32_e64 v1, 0, v6, s12
	v_bfe_i32 v6, v72, 4, 1
	v_add_nc_u32_e32 v1, v1, v2
	ds_swizzle_b32 v2, v3 offset:swizzle(BROADCAST,32,15)
	ds_swizzle_b32 v4, v1 offset:swizzle(BROADCAST,32,15)
	v_cmp_eq_u32_e64 s12, 0, v1
	s_waitcnt lgkmcnt(1)
	v_add_f32_e32 v2, v3, v2
	s_waitcnt lgkmcnt(0)
	v_and_b32_e32 v4, v6, v4
	s_delay_alu instid0(VALU_DEP_2) | instskip(NEXT) | instid1(VALU_DEP_2)
	v_cndmask_b32_e64 v2, v3, v2, s12
	v_add_nc_u32_e32 v1, v4, v1
	s_delay_alu instid0(VALU_DEP_2)
	v_cndmask_b32_e64 v2, v2, v3, s13
	s_mov_b32 s13, exec_lo
	v_cmpx_eq_u32_e64 v74, v0
	s_cbranch_execz .LBB116_146
; %bb.145:
	v_lshlrev_b32_e32 v3, 3, v73
	ds_store_b64 v3, v[1:2] offset:2064
.LBB116_146:
	s_or_b32 exec_lo, exec_lo, s13
	s_delay_alu instid0(SALU_CYCLE_1)
	s_mov_b32 s14, exec_lo
	s_waitcnt vmcnt(0) lgkmcnt(0)
	s_waitcnt_vscnt null, 0x0
	s_barrier
	buffer_gl0_inv
	v_cmpx_gt_u32_e32 8, v0
	s_cbranch_execz .LBB116_148
; %bb.147:
	v_lshlrev_b32_e32 v6, 3, v0
	v_and_b32_e32 v8, 7, v72
	ds_load_b64 v[3:4], v6 offset:2064
	s_waitcnt lgkmcnt(0)
	v_mov_b32_dpp v7, v4 row_shr:1 row_mask:0xf bank_mask:0xf
	v_cmp_eq_u32_e64 s12, 0, v3
	v_mov_b32_dpp v37, v3 row_shr:1 row_mask:0xf bank_mask:0xf
	s_delay_alu instid0(VALU_DEP_3) | instskip(NEXT) | instid1(VALU_DEP_1)
	v_add_f32_e32 v7, v4, v7
	v_cndmask_b32_e64 v7, v4, v7, s12
	v_cmp_eq_u32_e64 s12, 0, v8
	s_delay_alu instid0(VALU_DEP_1) | instskip(NEXT) | instid1(VALU_DEP_3)
	v_cndmask_b32_e64 v37, v37, 0, s12
	v_cndmask_b32_e64 v4, v7, v4, s12
	s_delay_alu instid0(VALU_DEP_2) | instskip(NEXT) | instid1(VALU_DEP_2)
	v_add_nc_u32_e32 v3, v37, v3
	v_mov_b32_dpp v7, v4 row_shr:2 row_mask:0xf bank_mask:0xf
	s_delay_alu instid0(VALU_DEP_2) | instskip(NEXT) | instid1(VALU_DEP_2)
	v_cmp_eq_u32_e64 s12, 0, v3
	v_add_f32_e32 v7, v4, v7
	v_mov_b32_dpp v37, v3 row_shr:2 row_mask:0xf bank_mask:0xf
	s_delay_alu instid0(VALU_DEP_2) | instskip(SKIP_1) | instid1(VALU_DEP_1)
	v_cndmask_b32_e64 v7, v4, v7, s12
	v_cmp_lt_u32_e64 s12, 1, v8
	v_cndmask_b32_e64 v4, v4, v7, s12
	s_delay_alu instid0(VALU_DEP_4) | instskip(SKIP_1) | instid1(VALU_DEP_3)
	v_cndmask_b32_e64 v7, 0, v37, s12
	v_cmp_lt_u32_e64 s12, 3, v8
	v_mov_b32_dpp v37, v4 row_shr:4 row_mask:0xf bank_mask:0xf
	s_delay_alu instid0(VALU_DEP_1) | instskip(NEXT) | instid1(VALU_DEP_1)
	v_dual_add_f32 v8, v4, v37 :: v_dual_add_nc_u32 v3, v7, v3
	v_mov_b32_dpp v7, v3 row_shr:4 row_mask:0xf bank_mask:0xf
	v_cmp_eq_u32_e64 s13, 0, v3
	s_delay_alu instid0(VALU_DEP_2) | instskip(NEXT) | instid1(VALU_DEP_2)
	v_cndmask_b32_e64 v7, 0, v7, s12
	s_and_b32 s12, s12, s13
	s_delay_alu instid0(SALU_CYCLE_1) | instskip(NEXT) | instid1(VALU_DEP_2)
	v_cndmask_b32_e64 v4, v4, v8, s12
	v_add_nc_u32_e32 v3, v7, v3
	ds_store_b64 v6, v[3:4] offset:2064
.LBB116_148:
	s_or_b32 exec_lo, exec_lo, s14
	v_dual_mov_b32 v6, 0 :: v_dual_mov_b32 v3, 0
	v_mov_b32_e32 v7, v5
	s_mov_b32 s13, exec_lo
	s_waitcnt lgkmcnt(0)
	s_barrier
	buffer_gl0_inv
	v_cmpx_lt_u32_e32 31, v0
	s_cbranch_execz .LBB116_150
; %bb.149:
	v_lshlrev_b32_e32 v3, 3, v73
	ds_load_b64 v[3:4], v3 offset:2056
	s_waitcnt lgkmcnt(0)
	v_add_f32_e32 v7, v5, v4
	v_cmp_eq_u32_e64 s12, 0, v3
	s_delay_alu instid0(VALU_DEP_1)
	v_cndmask_b32_e64 v7, v4, v7, s12
.LBB116_150:
	s_or_b32 exec_lo, exec_lo, s13
	v_add_nc_u32_e32 v4, -1, v72
	s_delay_alu instid0(VALU_DEP_2) | instskip(SKIP_2) | instid1(VALU_DEP_3)
	v_dual_add_f32 v8, v2, v7 :: v_dual_add_nc_u32 v37, v3, v1
	v_cmp_eq_u32_e64 s13, 0, v58
	s_mov_b32 s21, -1
	v_cmp_gt_i32_e64 s12, 0, v4
	s_delay_alu instid0(VALU_DEP_1) | instskip(SKIP_1) | instid1(VALU_DEP_2)
	v_cndmask_b32_e64 v4, v4, v72, s12
	v_cmp_eq_u32_e64 s12, 0, v1
	v_lshlrev_b32_e32 v4, 2, v4
	s_delay_alu instid0(VALU_DEP_2)
	v_cndmask_b32_e64 v1, v2, v8, s12
	v_cmp_eq_u32_e64 s12, 0, v72
	ds_bpermute_b32 v2, v4, v37
	ds_bpermute_b32 v1, v4, v1
	s_waitcnt lgkmcnt(1)
	v_cndmask_b32_e64 v4, v2, v3, s12
	s_waitcnt lgkmcnt(0)
	v_cndmask_b32_e64 v71, v1, v7, s12
	v_cmp_eq_u32_e64 s12, 0, v0
	s_delay_alu instid0(VALU_DEP_1) | instskip(NEXT) | instid1(VALU_DEP_1)
	v_cndmask_b32_e64 v1, v71, v5, s12
	v_add_f32_e32 v1, v35, v1
	s_delay_alu instid0(VALU_DEP_1) | instskip(NEXT) | instid1(VALU_DEP_1)
	v_cndmask_b32_e64 v70, v35, v1, s13
	v_add_f32_e32 v1, v36, v70
	;; [unrolled: 3-line block ×11, first 2 shown]
	s_delay_alu instid0(VALU_DEP_1) | instskip(SKIP_2) | instid1(VALU_DEP_1)
	v_cndmask_b32_e64 v41, v25, v1, s11
	ds_load_b64 v[1:2], v6 offset:2120
	v_add_f32_e32 v3, v26, v41
	v_cndmask_b32_e64 v42, v26, v3, s8
	s_delay_alu instid0(VALU_DEP_1) | instskip(NEXT) | instid1(VALU_DEP_1)
	v_add_f32_e32 v3, v23, v42
	v_cndmask_b32_e64 v40, v23, v3, s10
	s_waitcnt lgkmcnt(0)
	v_add_f32_e32 v3, v5, v2
	v_cmp_eq_u32_e64 s0, 0, v1
	s_delay_alu instid0(VALU_DEP_3) | instskip(NEXT) | instid1(VALU_DEP_2)
	v_add_f32_e32 v6, v24, v40
	v_cndmask_b32_e64 v39, v2, v3, s0
	s_and_saveexec_b32 s0, s12
	s_cbranch_execz .LBB116_152
; %bb.151:
	s_delay_alu instid0(VALU_DEP_1)
	v_and_b32_e32 v2, 0xff000000, v39
	v_dual_mov_b32 v4, 0 :: v_dual_and_b32 v3, 0xff0000, v39
	s_add_u32 s2, s36, 0x200
	v_and_b32_e32 v7, 0xff00, v39
	s_addc_u32 s3, s37, 0
	v_and_b32_e32 v8, 0xff, v39
	v_or_b32_e32 v2, v3, v2
	v_mov_b32_e32 v3, 2
	v_mov_b32_e32 v71, v5
	s_delay_alu instid0(VALU_DEP_3)
	v_or3_b32 v2, v2, v7, v8
	v_dual_mov_b32 v8, s3 :: v_dual_mov_b32 v7, s2
	;;#ASMSTART
	global_store_dwordx4 v[7:8], v[1:4] off	
s_waitcnt vmcnt(0)
	;;#ASMEND
.LBB116_152:
	s_or_b32 exec_lo, exec_lo, s0
	v_dual_cndmask_b32 v62, v24, v6 :: v_dual_mov_b32 v5, 0
	s_and_saveexec_b32 s0, s21
	s_cbranch_execz .LBB116_315
.LBB116_153:
	v_mov_b32_e32 v7, 0
	s_and_b32 s0, s20, exec_lo
	v_mov_b32_e32 v8, 0
	s_cselect_b32 s1, 0, s47
	s_cselect_b32 s0, 0, s46
	s_waitcnt lgkmcnt(0)
	s_waitcnt_vscnt null, 0x0
	s_cmp_eq_u64 s[0:1], 0
	s_barrier
	buffer_gl0_inv
	s_cbranch_scc1 .LBB116_155
; %bb.154:
	v_mov_b32_e32 v2, 0
	global_load_b64 v[7:8], v2, s[0:1]
.LBB116_155:
	v_cmp_eq_u32_e32 vcc_lo, 0, v58
	v_add_nc_u32_e32 v36, v4, v58
	s_waitcnt vmcnt(0)
	v_lshlrev_b64 v[2:3], 2, v[7:8]
	v_cmp_ne_u32_e64 s12, 0, v58
	v_cmp_ne_u32_e64 s10, 0, v57
	v_cndmask_b32_e64 v6, 1, 2, vcc_lo
	v_cmp_eq_u32_e32 vcc_lo, 0, v57
	v_add_nc_u32_e32 v34, v36, v57
	v_cmp_ne_u32_e64 s9, 0, v56
	v_cmp_ne_u32_e64 s7, 0, v55
	;; [unrolled: 1-line block ×3, first 2 shown]
	v_cndmask_b32_e64 v23, 1, 2, vcc_lo
	v_cmp_eq_u32_e32 vcc_lo, 0, v56
	v_add_nc_u32_e32 v37, v34, v56
	v_cmp_ne_u32_e64 s13, 0, v53
	v_cmp_ne_u32_e64 s11, 0, v52
	v_dual_mov_b32 v6, 0 :: v_dual_and_b32 v23, v23, v6
	v_cndmask_b32_e64 v24, 1, 2, vcc_lo
	v_cmp_eq_u32_e32 vcc_lo, 0, v55
	v_add_nc_u32_e32 v35, v37, v55
	v_cmp_ne_u32_e64 s8, 0, v50
	v_cmp_ne_u32_e64 s6, 0, v49
	v_and_b32_e32 v23, v23, v24
	v_cndmask_b32_e64 v25, 1, 2, vcc_lo
	v_cmp_eq_u32_e32 vcc_lo, 0, v54
	v_add_nc_u32_e32 v33, v35, v54
	v_cmp_ne_u32_e64 s5, 0, v48
	v_cmp_ne_u32_e64 s4, 0, v47
	v_and_b32_e32 v23, v23, v25
	;; [unrolled: 6-line block ×4, first 2 shown]
	v_cndmask_b32_e64 v24, 1, 2, vcc_lo
	v_cmp_eq_u32_e32 vcc_lo, 0, v50
	v_add_nc_u32_e32 v30, v31, v50
	s_mov_b32 s15, -1
	s_delay_alu instid0(VALU_DEP_3) | instskip(SKIP_3) | instid1(VALU_DEP_3)
	v_and_b32_e32 v23, v23, v24
	v_cndmask_b32_e64 v25, 1, 2, vcc_lo
	v_cmp_eq_u32_e32 vcc_lo, 0, v49
	v_add_nc_u32_e32 v29, v30, v49
	v_and_b32_e32 v23, v23, v25
	v_cndmask_b32_e64 v24, 1, 2, vcc_lo
	v_cmp_eq_u32_e32 vcc_lo, 0, v48
	s_delay_alu instid0(VALU_DEP_4) | instskip(NEXT) | instid1(VALU_DEP_3)
	v_add_nc_u32_e32 v28, v29, v48
	v_and_b32_e32 v38, v23, v24
	v_cndmask_b32_e64 v26, 1, 2, vcc_lo
	v_cmp_eq_u32_e32 vcc_lo, 0, v47
	v_lshlrev_b64 v[23:24], 2, v[5:6]
	v_add_nc_u32_e32 v27, v28, v47
	s_delay_alu instid0(VALU_DEP_4) | instskip(SKIP_2) | instid1(VALU_DEP_4)
	v_and_b32_e32 v6, v38, v26
	v_cndmask_b32_e64 v25, 1, 2, vcc_lo
	v_cmp_eq_u32_e32 vcc_lo, 0, v46
	v_add_nc_u32_e32 v26, v27, v46
	s_delay_alu instid0(VALU_DEP_3) | instskip(SKIP_2) | instid1(VALU_DEP_4)
	v_and_b32_e32 v6, v6, v25
	v_cndmask_b32_e64 v72, 1, 2, vcc_lo
	v_cmp_eq_u32_e32 vcc_lo, 0, v45
	v_add_nc_u32_e32 v25, v26, v45
	s_delay_alu instid0(VALU_DEP_3) | instskip(SKIP_3) | instid1(VALU_DEP_3)
	v_and_b32_e32 v72, v6, v72
	v_cndmask_b32_e64 v73, 1, 2, vcc_lo
	v_add_co_u32 v38, vcc_lo, s26, v2
	v_add_co_ci_u32_e32 v59, vcc_lo, s27, v3, vcc_lo
	v_and_b32_e32 v72, v72, v73
	s_delay_alu instid0(VALU_DEP_3) | instskip(NEXT) | instid1(VALU_DEP_3)
	v_add_co_u32 v38, vcc_lo, v38, v23
	v_add_co_ci_u32_e32 v59, vcc_lo, v59, v24, vcc_lo
	v_cmp_eq_u32_e32 vcc_lo, 0, v44
	v_add_nc_u32_e32 v6, v25, v44
	v_cndmask_b32_e64 v73, 1, 2, vcc_lo
	v_cmp_eq_u32_e32 vcc_lo, 0, v51
	s_delay_alu instid0(VALU_DEP_2) | instskip(SKIP_2) | instid1(VALU_DEP_2)
	v_and_b32_e32 v72, v72, v73
	v_cndmask_b32_e64 v73, 1, 2, vcc_lo
	v_cmp_gt_u32_e32 vcc_lo, 0x100, v1
	v_and_b32_e32 v72, v72, v73
	s_cbranch_vccz .LBB116_195
; %bb.156:
	s_mov_b32 s15, exec_lo
	s_delay_alu instid0(VALU_DEP_1)
	v_cmpx_gt_i16_e32 2, v72
	s_cbranch_execz .LBB116_194
; %bb.157:
	s_mov_b32 s17, 0
	s_mov_b32 s16, exec_lo
	v_cmpx_ne_u16_e32 1, v72
	s_xor_b32 s16, exec_lo, s16
	s_cbranch_execz .LBB116_175
; %bb.158:
	s_and_saveexec_b32 s17, s12
	s_cbranch_execz .LBB116_177
; %bb.159:
	v_sub_nc_u32_e32 v73, v4, v5
	v_mov_b32_e32 v74, 0
	s_delay_alu instid0(VALU_DEP_1) | instskip(NEXT) | instid1(VALU_DEP_1)
	v_lshlrev_b64 v[73:74], 2, v[73:74]
	v_add_co_u32 v73, vcc_lo, v38, v73
	s_delay_alu instid0(VALU_DEP_2)
	v_add_co_ci_u32_e32 v74, vcc_lo, v59, v74, vcc_lo
	global_store_b32 v[73:74], v21, off
	s_or_b32 exec_lo, exec_lo, s17
	s_and_saveexec_b32 s17, s10
	s_cbranch_execnz .LBB116_178
.LBB116_160:
	s_or_b32 exec_lo, exec_lo, s17
	s_and_saveexec_b32 s17, s9
	s_cbranch_execz .LBB116_179
.LBB116_161:
	v_sub_nc_u32_e32 v73, v34, v5
	v_mov_b32_e32 v74, 0
	s_delay_alu instid0(VALU_DEP_1) | instskip(NEXT) | instid1(VALU_DEP_1)
	v_lshlrev_b64 v[73:74], 2, v[73:74]
	v_add_co_u32 v73, vcc_lo, v38, v73
	s_delay_alu instid0(VALU_DEP_2)
	v_add_co_ci_u32_e32 v74, vcc_lo, v59, v74, vcc_lo
	global_store_b32 v[73:74], v19, off
	s_or_b32 exec_lo, exec_lo, s17
	s_and_saveexec_b32 s17, s7
	s_cbranch_execnz .LBB116_180
.LBB116_162:
	s_or_b32 exec_lo, exec_lo, s17
	s_and_saveexec_b32 s17, s14
	s_cbranch_execz .LBB116_181
.LBB116_163:
	v_sub_nc_u32_e32 v73, v35, v5
	v_mov_b32_e32 v74, 0
	s_delay_alu instid0(VALU_DEP_1) | instskip(NEXT) | instid1(VALU_DEP_1)
	v_lshlrev_b64 v[73:74], 2, v[73:74]
	v_add_co_u32 v73, vcc_lo, v38, v73
	s_delay_alu instid0(VALU_DEP_2)
	v_add_co_ci_u32_e32 v74, vcc_lo, v59, v74, vcc_lo
	global_store_b32 v[73:74], v17, off
	s_or_b32 exec_lo, exec_lo, s17
	s_and_saveexec_b32 s17, s13
	s_cbranch_execnz .LBB116_182
.LBB116_164:
	s_or_b32 exec_lo, exec_lo, s17
	s_and_saveexec_b32 s17, s11
	s_cbranch_execz .LBB116_183
.LBB116_165:
	v_sub_nc_u32_e32 v73, v32, v5
	v_mov_b32_e32 v74, 0
	s_delay_alu instid0(VALU_DEP_1) | instskip(NEXT) | instid1(VALU_DEP_1)
	v_lshlrev_b64 v[73:74], 2, v[73:74]
	v_add_co_u32 v73, vcc_lo, v38, v73
	s_delay_alu instid0(VALU_DEP_2)
	v_add_co_ci_u32_e32 v74, vcc_lo, v59, v74, vcc_lo
	global_store_b32 v[73:74], v15, off
	s_or_b32 exec_lo, exec_lo, s17
	s_and_saveexec_b32 s17, s8
	s_cbranch_execnz .LBB116_184
.LBB116_166:
	s_or_b32 exec_lo, exec_lo, s17
	s_and_saveexec_b32 s17, s6
	s_cbranch_execz .LBB116_185
.LBB116_167:
	v_sub_nc_u32_e32 v73, v30, v5
	v_mov_b32_e32 v74, 0
	s_delay_alu instid0(VALU_DEP_1) | instskip(NEXT) | instid1(VALU_DEP_1)
	v_lshlrev_b64 v[73:74], 2, v[73:74]
	v_add_co_u32 v73, vcc_lo, v38, v73
	s_delay_alu instid0(VALU_DEP_2)
	v_add_co_ci_u32_e32 v74, vcc_lo, v59, v74, vcc_lo
	global_store_b32 v[73:74], v13, off
	s_or_b32 exec_lo, exec_lo, s17
	s_and_saveexec_b32 s17, s5
	s_cbranch_execnz .LBB116_186
.LBB116_168:
	s_or_b32 exec_lo, exec_lo, s17
	s_and_saveexec_b32 s17, s4
	s_cbranch_execz .LBB116_187
.LBB116_169:
	v_sub_nc_u32_e32 v73, v28, v5
	v_mov_b32_e32 v74, 0
	s_delay_alu instid0(VALU_DEP_1) | instskip(NEXT) | instid1(VALU_DEP_1)
	v_lshlrev_b64 v[73:74], 2, v[73:74]
	v_add_co_u32 v73, vcc_lo, v38, v73
	s_delay_alu instid0(VALU_DEP_2)
	v_add_co_ci_u32_e32 v74, vcc_lo, v59, v74, vcc_lo
	global_store_b32 v[73:74], v11, off
	s_or_b32 exec_lo, exec_lo, s17
	s_and_saveexec_b32 s17, s3
	s_cbranch_execnz .LBB116_188
.LBB116_170:
	s_or_b32 exec_lo, exec_lo, s17
	s_and_saveexec_b32 s17, s2
	s_cbranch_execz .LBB116_189
.LBB116_171:
	v_sub_nc_u32_e32 v73, v26, v5
	v_mov_b32_e32 v74, 0
	s_delay_alu instid0(VALU_DEP_1) | instskip(NEXT) | instid1(VALU_DEP_1)
	v_lshlrev_b64 v[73:74], 2, v[73:74]
	v_add_co_u32 v73, vcc_lo, v38, v73
	s_delay_alu instid0(VALU_DEP_2)
	v_add_co_ci_u32_e32 v74, vcc_lo, v59, v74, vcc_lo
	global_store_b32 v[73:74], v9, off
	s_or_b32 exec_lo, exec_lo, s17
	s_and_saveexec_b32 s17, s1
	s_cbranch_execnz .LBB116_190
	s_branch .LBB116_191
.LBB116_172:
	s_or_b32 exec_lo, exec_lo, s15
	s_and_saveexec_b32 s0, s14
	s_delay_alu instid0(SALU_CYCLE_1)
	s_xor_b32 s0, exec_lo, s0
	s_cbranch_execz .LBB116_141
.LBB116_173:
	s_cbranch_execnz .LBB116_316
; %bb.174:
	; divergent unreachable
                                        ; implicit-def: $vgpr62
                                        ; implicit-def: $vgpr40
                                        ; implicit-def: $vgpr42
                                        ; implicit-def: $vgpr41
                                        ; implicit-def: $vgpr60
                                        ; implicit-def: $vgpr61
                                        ; implicit-def: $vgpr63
                                        ; implicit-def: $vgpr64
                                        ; implicit-def: $vgpr65
                                        ; implicit-def: $vgpr66
                                        ; implicit-def: $vgpr67
                                        ; implicit-def: $vgpr68
                                        ; implicit-def: $vgpr69
                                        ; implicit-def: $vgpr70
                                        ; implicit-def: $vgpr71
	s_or_b32 exec_lo, exec_lo, s0
	s_branch .LBB116_109
.LBB116_175:
	s_and_not1_saveexec_b32 s16, s16
	s_cbranch_execz .LBB116_192
.LBB116_176:
	v_sub_nc_u32_e32 v73, v4, v5
	v_mov_b32_e32 v74, 0
	s_or_b32 s17, s17, exec_lo
	s_delay_alu instid0(VALU_DEP_1) | instskip(SKIP_1) | instid1(VALU_DEP_1)
	v_lshlrev_b64 v[75:76], 2, v[73:74]
	v_sub_nc_u32_e32 v73, v36, v5
	v_lshlrev_b64 v[77:78], 2, v[73:74]
	v_sub_nc_u32_e32 v73, v34, v5
	s_delay_alu instid0(VALU_DEP_4) | instskip(SKIP_1) | instid1(VALU_DEP_3)
	v_add_co_u32 v75, vcc_lo, v38, v75
	v_add_co_ci_u32_e32 v76, vcc_lo, v59, v76, vcc_lo
	v_lshlrev_b64 v[79:80], 2, v[73:74]
	v_sub_nc_u32_e32 v73, v37, v5
	v_add_co_u32 v77, vcc_lo, v38, v77
	v_add_co_ci_u32_e32 v78, vcc_lo, v59, v78, vcc_lo
	global_store_b32 v[75:76], v21, off
	v_lshlrev_b64 v[75:76], 2, v[73:74]
	v_sub_nc_u32_e32 v73, v35, v5
	global_store_b32 v[77:78], v22, off
	v_add_co_u32 v77, vcc_lo, v38, v79
	v_add_co_ci_u32_e32 v78, vcc_lo, v59, v80, vcc_lo
	v_lshlrev_b64 v[79:80], 2, v[73:74]
	v_sub_nc_u32_e32 v73, v33, v5
	v_add_co_u32 v75, vcc_lo, v38, v75
	v_add_co_ci_u32_e32 v76, vcc_lo, v59, v76, vcc_lo
	s_delay_alu instid0(VALU_DEP_3) | instskip(SKIP_3) | instid1(VALU_DEP_3)
	v_lshlrev_b64 v[81:82], 2, v[73:74]
	v_sub_nc_u32_e32 v73, v32, v5
	v_add_co_u32 v79, vcc_lo, v38, v79
	v_add_co_ci_u32_e32 v80, vcc_lo, v59, v80, vcc_lo
	v_lshlrev_b64 v[83:84], 2, v[73:74]
	v_sub_nc_u32_e32 v73, v31, v5
	v_add_co_u32 v81, vcc_lo, v38, v81
	v_add_co_ci_u32_e32 v82, vcc_lo, v59, v82, vcc_lo
	s_clause 0x3
	global_store_b32 v[77:78], v19, off
	global_store_b32 v[75:76], v20, off
	;; [unrolled: 1-line block ×4, first 2 shown]
	v_lshlrev_b64 v[75:76], 2, v[73:74]
	v_sub_nc_u32_e32 v73, v30, v5
	v_add_co_u32 v77, vcc_lo, v38, v83
	v_add_co_ci_u32_e32 v78, vcc_lo, v59, v84, vcc_lo
	s_delay_alu instid0(VALU_DEP_3) | instskip(SKIP_3) | instid1(VALU_DEP_3)
	v_lshlrev_b64 v[79:80], 2, v[73:74]
	v_sub_nc_u32_e32 v73, v29, v5
	v_add_co_u32 v75, vcc_lo, v38, v75
	v_add_co_ci_u32_e32 v76, vcc_lo, v59, v76, vcc_lo
	v_lshlrev_b64 v[81:82], 2, v[73:74]
	v_sub_nc_u32_e32 v73, v28, v5
	v_add_co_u32 v79, vcc_lo, v38, v79
	v_add_co_ci_u32_e32 v80, vcc_lo, v59, v80, vcc_lo
	s_delay_alu instid0(VALU_DEP_3)
	v_lshlrev_b64 v[83:84], 2, v[73:74]
	v_sub_nc_u32_e32 v73, v27, v5
	v_add_co_u32 v81, vcc_lo, v38, v81
	v_add_co_ci_u32_e32 v82, vcc_lo, v59, v82, vcc_lo
	s_clause 0x3
	global_store_b32 v[77:78], v15, off
	global_store_b32 v[75:76], v16, off
	;; [unrolled: 1-line block ×4, first 2 shown]
	v_lshlrev_b64 v[75:76], 2, v[73:74]
	v_sub_nc_u32_e32 v73, v26, v5
	v_add_co_u32 v77, vcc_lo, v38, v83
	v_add_co_ci_u32_e32 v78, vcc_lo, v59, v84, vcc_lo
	s_delay_alu instid0(VALU_DEP_3) | instskip(SKIP_3) | instid1(VALU_DEP_3)
	v_lshlrev_b64 v[79:80], 2, v[73:74]
	v_sub_nc_u32_e32 v73, v25, v5
	v_add_co_u32 v75, vcc_lo, v38, v75
	v_add_co_ci_u32_e32 v76, vcc_lo, v59, v76, vcc_lo
	v_lshlrev_b64 v[73:74], 2, v[73:74]
	v_add_co_u32 v79, vcc_lo, v38, v79
	v_add_co_ci_u32_e32 v80, vcc_lo, v59, v80, vcc_lo
	s_clause 0x2
	global_store_b32 v[77:78], v11, off
	global_store_b32 v[75:76], v12, off
	;; [unrolled: 1-line block ×3, first 2 shown]
	v_add_co_u32 v73, vcc_lo, v38, v73
	v_add_co_ci_u32_e32 v74, vcc_lo, v59, v74, vcc_lo
	global_store_b32 v[73:74], v10, off
	s_or_b32 exec_lo, exec_lo, s16
	s_delay_alu instid0(SALU_CYCLE_1)
	s_and_b32 exec_lo, exec_lo, s17
	s_cbranch_execnz .LBB116_193
	s_branch .LBB116_194
.LBB116_177:
	s_or_b32 exec_lo, exec_lo, s17
	s_and_saveexec_b32 s17, s10
	s_cbranch_execz .LBB116_160
.LBB116_178:
	v_sub_nc_u32_e32 v73, v36, v5
	v_mov_b32_e32 v74, 0
	s_delay_alu instid0(VALU_DEP_1) | instskip(NEXT) | instid1(VALU_DEP_1)
	v_lshlrev_b64 v[73:74], 2, v[73:74]
	v_add_co_u32 v73, vcc_lo, v38, v73
	s_delay_alu instid0(VALU_DEP_2)
	v_add_co_ci_u32_e32 v74, vcc_lo, v59, v74, vcc_lo
	global_store_b32 v[73:74], v22, off
	s_or_b32 exec_lo, exec_lo, s17
	s_and_saveexec_b32 s17, s9
	s_cbranch_execnz .LBB116_161
.LBB116_179:
	s_or_b32 exec_lo, exec_lo, s17
	s_and_saveexec_b32 s17, s7
	s_cbranch_execz .LBB116_162
.LBB116_180:
	v_sub_nc_u32_e32 v73, v37, v5
	v_mov_b32_e32 v74, 0
	s_delay_alu instid0(VALU_DEP_1) | instskip(NEXT) | instid1(VALU_DEP_1)
	v_lshlrev_b64 v[73:74], 2, v[73:74]
	v_add_co_u32 v73, vcc_lo, v38, v73
	s_delay_alu instid0(VALU_DEP_2)
	v_add_co_ci_u32_e32 v74, vcc_lo, v59, v74, vcc_lo
	global_store_b32 v[73:74], v20, off
	s_or_b32 exec_lo, exec_lo, s17
	s_and_saveexec_b32 s17, s14
	s_cbranch_execnz .LBB116_163
.LBB116_181:
	s_or_b32 exec_lo, exec_lo, s17
	s_and_saveexec_b32 s17, s13
	s_cbranch_execz .LBB116_164
.LBB116_182:
	v_sub_nc_u32_e32 v73, v33, v5
	v_mov_b32_e32 v74, 0
	s_delay_alu instid0(VALU_DEP_1) | instskip(NEXT) | instid1(VALU_DEP_1)
	v_lshlrev_b64 v[73:74], 2, v[73:74]
	v_add_co_u32 v73, vcc_lo, v38, v73
	s_delay_alu instid0(VALU_DEP_2)
	v_add_co_ci_u32_e32 v74, vcc_lo, v59, v74, vcc_lo
	global_store_b32 v[73:74], v18, off
	s_or_b32 exec_lo, exec_lo, s17
	s_and_saveexec_b32 s17, s11
	s_cbranch_execnz .LBB116_165
.LBB116_183:
	s_or_b32 exec_lo, exec_lo, s17
	s_and_saveexec_b32 s17, s8
	s_cbranch_execz .LBB116_166
.LBB116_184:
	v_sub_nc_u32_e32 v73, v31, v5
	v_mov_b32_e32 v74, 0
	s_delay_alu instid0(VALU_DEP_1) | instskip(NEXT) | instid1(VALU_DEP_1)
	v_lshlrev_b64 v[73:74], 2, v[73:74]
	v_add_co_u32 v73, vcc_lo, v38, v73
	s_delay_alu instid0(VALU_DEP_2)
	v_add_co_ci_u32_e32 v74, vcc_lo, v59, v74, vcc_lo
	global_store_b32 v[73:74], v16, off
	s_or_b32 exec_lo, exec_lo, s17
	s_and_saveexec_b32 s17, s6
	s_cbranch_execnz .LBB116_167
.LBB116_185:
	s_or_b32 exec_lo, exec_lo, s17
	s_and_saveexec_b32 s17, s5
	s_cbranch_execz .LBB116_168
.LBB116_186:
	v_sub_nc_u32_e32 v73, v29, v5
	v_mov_b32_e32 v74, 0
	s_delay_alu instid0(VALU_DEP_1) | instskip(NEXT) | instid1(VALU_DEP_1)
	v_lshlrev_b64 v[73:74], 2, v[73:74]
	v_add_co_u32 v73, vcc_lo, v38, v73
	s_delay_alu instid0(VALU_DEP_2)
	v_add_co_ci_u32_e32 v74, vcc_lo, v59, v74, vcc_lo
	global_store_b32 v[73:74], v14, off
	s_or_b32 exec_lo, exec_lo, s17
	s_and_saveexec_b32 s17, s4
	s_cbranch_execnz .LBB116_169
.LBB116_187:
	s_or_b32 exec_lo, exec_lo, s17
	s_and_saveexec_b32 s17, s3
	s_cbranch_execz .LBB116_170
.LBB116_188:
	v_sub_nc_u32_e32 v73, v27, v5
	v_mov_b32_e32 v74, 0
	s_delay_alu instid0(VALU_DEP_1) | instskip(NEXT) | instid1(VALU_DEP_1)
	v_lshlrev_b64 v[73:74], 2, v[73:74]
	v_add_co_u32 v73, vcc_lo, v38, v73
	s_delay_alu instid0(VALU_DEP_2)
	v_add_co_ci_u32_e32 v74, vcc_lo, v59, v74, vcc_lo
	global_store_b32 v[73:74], v12, off
	s_or_b32 exec_lo, exec_lo, s17
	s_and_saveexec_b32 s17, s2
	s_cbranch_execnz .LBB116_171
.LBB116_189:
	s_or_b32 exec_lo, exec_lo, s17
	s_and_saveexec_b32 s17, s1
	s_cbranch_execz .LBB116_191
.LBB116_190:
	v_sub_nc_u32_e32 v73, v25, v5
	v_mov_b32_e32 v74, 0
	s_delay_alu instid0(VALU_DEP_1) | instskip(NEXT) | instid1(VALU_DEP_1)
	v_lshlrev_b64 v[73:74], 2, v[73:74]
	v_add_co_u32 v73, vcc_lo, v38, v73
	s_delay_alu instid0(VALU_DEP_2)
	v_add_co_ci_u32_e32 v74, vcc_lo, v59, v74, vcc_lo
	global_store_b32 v[73:74], v10, off
.LBB116_191:
	s_or_b32 exec_lo, exec_lo, s17
	s_delay_alu instid0(SALU_CYCLE_1)
	s_and_b32 s17, s0, exec_lo
	s_and_not1_saveexec_b32 s16, s16
	s_cbranch_execnz .LBB116_176
.LBB116_192:
	s_or_b32 exec_lo, exec_lo, s16
	s_delay_alu instid0(SALU_CYCLE_1)
	s_and_b32 exec_lo, exec_lo, s17
	s_cbranch_execz .LBB116_194
.LBB116_193:
	v_sub_nc_u32_e32 v73, v6, v5
	v_mov_b32_e32 v74, 0
	s_delay_alu instid0(VALU_DEP_1) | instskip(NEXT) | instid1(VALU_DEP_1)
	v_lshlrev_b64 v[73:74], 2, v[73:74]
	v_add_co_u32 v73, vcc_lo, v38, v73
	s_delay_alu instid0(VALU_DEP_2)
	v_add_co_ci_u32_e32 v74, vcc_lo, v59, v74, vcc_lo
	global_store_b32 v[73:74], v43, off
.LBB116_194:
	s_or_b32 exec_lo, exec_lo, s15
	s_mov_b32 s15, 0
.LBB116_195:
	s_delay_alu instid0(SALU_CYCLE_1)
	s_and_b32 vcc_lo, exec_lo, s15
	s_cbranch_vccz .LBB116_235
; %bb.196:
	s_mov_b32 s15, exec_lo
	v_cmpx_gt_i16_e32 2, v72
	s_cbranch_execz .LBB116_231
; %bb.197:
	s_mov_b32 s17, 0
	s_mov_b32 s16, exec_lo
	v_cmpx_ne_u16_e32 1, v72
	s_xor_b32 s16, exec_lo, s16
	s_cbranch_execz .LBB116_212
; %bb.198:
	s_and_saveexec_b32 s17, s12
	s_cbranch_execz .LBB116_214
; %bb.199:
	v_sub_nc_u32_e32 v72, v4, v5
	s_delay_alu instid0(VALU_DEP_1)
	v_lshlrev_b32_e32 v72, 2, v72
	ds_store_b32 v72, v21
	s_or_b32 exec_lo, exec_lo, s17
	s_and_saveexec_b32 s12, s10
	s_cbranch_execnz .LBB116_215
.LBB116_200:
	s_or_b32 exec_lo, exec_lo, s12
	s_and_saveexec_b32 s10, s9
	s_cbranch_execz .LBB116_216
.LBB116_201:
	v_sub_nc_u32_e32 v21, v34, v5
	s_delay_alu instid0(VALU_DEP_1)
	v_lshlrev_b32_e32 v21, 2, v21
	ds_store_b32 v21, v19
	s_or_b32 exec_lo, exec_lo, s10
	s_and_saveexec_b32 s9, s7
	s_cbranch_execnz .LBB116_217
.LBB116_202:
	s_or_b32 exec_lo, exec_lo, s9
	s_and_saveexec_b32 s7, s14
	s_cbranch_execz .LBB116_218
.LBB116_203:
	v_sub_nc_u32_e32 v19, v35, v5
	s_delay_alu instid0(VALU_DEP_1)
	v_lshlrev_b32_e32 v19, 2, v19
	ds_store_b32 v19, v17
	s_or_b32 exec_lo, exec_lo, s7
	s_and_saveexec_b32 s7, s13
	s_cbranch_execnz .LBB116_219
.LBB116_204:
	s_or_b32 exec_lo, exec_lo, s7
	s_and_saveexec_b32 s7, s11
	s_cbranch_execz .LBB116_220
.LBB116_205:
	v_sub_nc_u32_e32 v17, v32, v5
	s_delay_alu instid0(VALU_DEP_1)
	v_lshlrev_b32_e32 v17, 2, v17
	ds_store_b32 v17, v15
	s_or_b32 exec_lo, exec_lo, s7
	s_and_saveexec_b32 s7, s8
	s_cbranch_execnz .LBB116_221
.LBB116_206:
	s_or_b32 exec_lo, exec_lo, s7
	s_and_saveexec_b32 s7, s6
	s_cbranch_execz .LBB116_222
.LBB116_207:
	v_sub_nc_u32_e32 v15, v30, v5
	s_delay_alu instid0(VALU_DEP_1)
	v_lshlrev_b32_e32 v15, 2, v15
	ds_store_b32 v15, v13
	s_or_b32 exec_lo, exec_lo, s7
	s_and_saveexec_b32 s6, s5
	s_cbranch_execnz .LBB116_223
.LBB116_208:
	s_or_b32 exec_lo, exec_lo, s6
	s_and_saveexec_b32 s5, s4
	s_cbranch_execz .LBB116_224
.LBB116_209:
	v_sub_nc_u32_e32 v13, v28, v5
	s_delay_alu instid0(VALU_DEP_1)
	v_lshlrev_b32_e32 v13, 2, v13
	ds_store_b32 v13, v11
	s_or_b32 exec_lo, exec_lo, s5
	s_and_saveexec_b32 s4, s3
	s_cbranch_execnz .LBB116_225
.LBB116_210:
	s_or_b32 exec_lo, exec_lo, s4
	s_and_saveexec_b32 s3, s2
	s_cbranch_execz .LBB116_226
.LBB116_211:
	v_sub_nc_u32_e32 v11, v26, v5
	s_delay_alu instid0(VALU_DEP_1)
	v_lshlrev_b32_e32 v11, 2, v11
	ds_store_b32 v11, v9
	s_or_b32 exec_lo, exec_lo, s3
	s_and_saveexec_b32 s2, s1
	s_cbranch_execnz .LBB116_227
	s_branch .LBB116_228
.LBB116_212:
	s_and_not1_saveexec_b32 s0, s16
	s_cbranch_execz .LBB116_229
.LBB116_213:
	v_sub_nc_u32_e32 v72, v4, v5
	v_sub_nc_u32_e32 v75, v37, v5
	;; [unrolled: 1-line block ×4, first 2 shown]
	s_or_b32 s17, s17, exec_lo
	v_lshlrev_b32_e32 v72, 2, v72
	v_lshlrev_b32_e32 v75, 2, v75
	;; [unrolled: 1-line block ×4, first 2 shown]
	ds_store_b32 v72, v21
	ds_store_b32 v73, v22
	;; [unrolled: 1-line block ×3, first 2 shown]
	v_sub_nc_u32_e32 v19, v35, v5
	ds_store_b32 v75, v20
	v_sub_nc_u32_e32 v20, v33, v5
	v_sub_nc_u32_e32 v21, v32, v5
	;; [unrolled: 1-line block ×3, first 2 shown]
	v_lshlrev_b32_e32 v19, 2, v19
	v_sub_nc_u32_e32 v72, v30, v5
	v_lshlrev_b32_e32 v20, 2, v20
	v_lshlrev_b32_e32 v21, 2, v21
	;; [unrolled: 1-line block ×3, first 2 shown]
	ds_store_b32 v19, v17
	v_lshlrev_b32_e32 v17, 2, v72
	ds_store_b32 v20, v18
	ds_store_b32 v21, v15
	;; [unrolled: 1-line block ×3, first 2 shown]
	v_sub_nc_u32_e32 v15, v29, v5
	v_sub_nc_u32_e32 v18, v25, v5
	;; [unrolled: 1-line block ×3, first 2 shown]
	ds_store_b32 v17, v13
	v_sub_nc_u32_e32 v13, v28, v5
	v_lshlrev_b32_e32 v15, 2, v15
	v_sub_nc_u32_e32 v17, v26, v5
	v_lshlrev_b32_e32 v16, 2, v16
	s_delay_alu instid0(VALU_DEP_4)
	v_lshlrev_b32_e32 v13, 2, v13
	ds_store_b32 v15, v14
	v_lshlrev_b32_e32 v14, 2, v18
	v_lshlrev_b32_e32 v17, 2, v17
	ds_store_b32 v13, v11
	ds_store_b32 v16, v12
	;; [unrolled: 1-line block ×4, first 2 shown]
	s_or_b32 exec_lo, exec_lo, s0
	s_delay_alu instid0(SALU_CYCLE_1)
	s_and_b32 exec_lo, exec_lo, s17
	s_cbranch_execnz .LBB116_230
	s_branch .LBB116_231
.LBB116_214:
	s_or_b32 exec_lo, exec_lo, s17
	s_and_saveexec_b32 s12, s10
	s_cbranch_execz .LBB116_200
.LBB116_215:
	v_sub_nc_u32_e32 v21, v36, v5
	s_delay_alu instid0(VALU_DEP_1)
	v_lshlrev_b32_e32 v21, 2, v21
	ds_store_b32 v21, v22
	s_or_b32 exec_lo, exec_lo, s12
	s_and_saveexec_b32 s10, s9
	s_cbranch_execnz .LBB116_201
.LBB116_216:
	s_or_b32 exec_lo, exec_lo, s10
	s_and_saveexec_b32 s9, s7
	s_cbranch_execz .LBB116_202
.LBB116_217:
	v_sub_nc_u32_e32 v19, v37, v5
	s_delay_alu instid0(VALU_DEP_1)
	v_lshlrev_b32_e32 v19, 2, v19
	ds_store_b32 v19, v20
	s_or_b32 exec_lo, exec_lo, s9
	s_and_saveexec_b32 s7, s14
	s_cbranch_execnz .LBB116_203
.LBB116_218:
	s_or_b32 exec_lo, exec_lo, s7
	s_and_saveexec_b32 s7, s13
	s_cbranch_execz .LBB116_204
.LBB116_219:
	v_sub_nc_u32_e32 v17, v33, v5
	s_delay_alu instid0(VALU_DEP_1)
	v_lshlrev_b32_e32 v17, 2, v17
	ds_store_b32 v17, v18
	s_or_b32 exec_lo, exec_lo, s7
	s_and_saveexec_b32 s7, s11
	s_cbranch_execnz .LBB116_205
.LBB116_220:
	s_or_b32 exec_lo, exec_lo, s7
	s_and_saveexec_b32 s7, s8
	s_cbranch_execz .LBB116_206
.LBB116_221:
	v_sub_nc_u32_e32 v15, v31, v5
	s_delay_alu instid0(VALU_DEP_1)
	v_lshlrev_b32_e32 v15, 2, v15
	ds_store_b32 v15, v16
	s_or_b32 exec_lo, exec_lo, s7
	s_and_saveexec_b32 s7, s6
	s_cbranch_execnz .LBB116_207
.LBB116_222:
	s_or_b32 exec_lo, exec_lo, s7
	s_and_saveexec_b32 s6, s5
	s_cbranch_execz .LBB116_208
.LBB116_223:
	v_sub_nc_u32_e32 v13, v29, v5
	s_delay_alu instid0(VALU_DEP_1)
	v_lshlrev_b32_e32 v13, 2, v13
	ds_store_b32 v13, v14
	s_or_b32 exec_lo, exec_lo, s6
	s_and_saveexec_b32 s5, s4
	s_cbranch_execnz .LBB116_209
.LBB116_224:
	s_or_b32 exec_lo, exec_lo, s5
	s_and_saveexec_b32 s4, s3
	s_cbranch_execz .LBB116_210
.LBB116_225:
	v_sub_nc_u32_e32 v11, v27, v5
	s_delay_alu instid0(VALU_DEP_1)
	v_lshlrev_b32_e32 v11, 2, v11
	ds_store_b32 v11, v12
	s_or_b32 exec_lo, exec_lo, s4
	s_and_saveexec_b32 s3, s2
	s_cbranch_execnz .LBB116_211
.LBB116_226:
	s_or_b32 exec_lo, exec_lo, s3
	s_and_saveexec_b32 s2, s1
	s_cbranch_execz .LBB116_228
.LBB116_227:
	v_sub_nc_u32_e32 v9, v25, v5
	s_delay_alu instid0(VALU_DEP_1)
	v_lshlrev_b32_e32 v9, 2, v9
	ds_store_b32 v9, v10
.LBB116_228:
	s_or_b32 exec_lo, exec_lo, s2
	s_delay_alu instid0(SALU_CYCLE_1)
	s_and_b32 s17, s0, exec_lo
                                        ; implicit-def: $vgpr21
                                        ; implicit-def: $vgpr19
                                        ; implicit-def: $vgpr17
                                        ; implicit-def: $vgpr15
                                        ; implicit-def: $vgpr13
                                        ; implicit-def: $vgpr11
                                        ; implicit-def: $vgpr9
	s_and_not1_saveexec_b32 s0, s16
	s_cbranch_execnz .LBB116_213
.LBB116_229:
	s_or_b32 exec_lo, exec_lo, s0
	s_delay_alu instid0(SALU_CYCLE_1)
	s_and_b32 exec_lo, exec_lo, s17
	s_cbranch_execz .LBB116_231
.LBB116_230:
	v_sub_nc_u32_e32 v9, v6, v5
	s_delay_alu instid0(VALU_DEP_1)
	v_lshlrev_b32_e32 v9, 2, v9
	ds_store_b32 v9, v43
.LBB116_231:
	s_or_b32 exec_lo, exec_lo, s15
	s_delay_alu instid0(SALU_CYCLE_1)
	s_mov_b32 s1, exec_lo
	s_waitcnt lgkmcnt(0)
	s_waitcnt_vscnt null, 0x0
	s_barrier
	buffer_gl0_inv
	v_cmpx_lt_u32_e64 v0, v1
	s_cbranch_execz .LBB116_234
; %bb.232:
	v_dual_mov_b32 v10, 0 :: v_dual_lshlrev_b32 v11, 2, v0
	v_mov_b32_e32 v9, v0
	s_mov_b32 s2, 0
	.p2align	6
.LBB116_233:                            ; =>This Inner Loop Header: Depth=1
	ds_load_b32 v14, v11
	v_lshlrev_b64 v[12:13], 2, v[9:10]
	v_add_nc_u32_e32 v9, 0x100, v9
	v_add_nc_u32_e32 v11, 0x400, v11
	s_delay_alu instid0(VALU_DEP_2) | instskip(NEXT) | instid1(VALU_DEP_4)
	v_cmp_ge_u32_e32 vcc_lo, v9, v1
	v_add_co_u32 v12, s0, v38, v12
	s_delay_alu instid0(VALU_DEP_1)
	v_add_co_ci_u32_e64 v13, s0, v59, v13, s0
	s_or_b32 s2, vcc_lo, s2
	s_waitcnt lgkmcnt(0)
	global_store_b32 v[12:13], v14, off
	s_and_not1_b32 exec_lo, exec_lo, s2
	s_cbranch_execnz .LBB116_233
.LBB116_234:
	s_or_b32 exec_lo, exec_lo, s1
.LBB116_235:
	s_cmpk_lg_i32 s33, 0xf00
	v_cmp_eq_u32_e32 vcc_lo, 0, v0
	s_cselect_b32 s0, -1, 0
	v_cndmask_b32_e64 v14, 0, 1, s40
	s_and_b32 s0, s23, s0
	v_mad_i32_i24 v11, v0, -15, s33
	v_cndmask_b32_e64 v10, 0, 1, s0
	s_mul_hi_u32 s0, s33, 0x88888889
	s_and_b32 s1, vcc_lo, s40
	s_lshr_b32 s0, s0, 3
	v_sub_nc_u32_e32 v9, v1, v14
	v_cndmask_b32_e64 v12, v58, 0, s1
	v_cmp_eq_u32_e32 vcc_lo, s0, v0
	v_cmp_ne_u32_e64 s0, 0, v11
	s_mov_b32 s15, -1
	s_waitcnt_vscnt null, 0x0
	s_barrier
	s_and_b32 vcc_lo, s23, vcc_lo
	v_add_nc_u32_e32 v9, v9, v10
	v_cndmask_b32_e64 v10, 1, v12, s0
	v_cmp_ne_u32_e64 s0, 1, v11
	buffer_gl0_inv
	v_cndmask_b32_e32 v20, v12, v10, vcc_lo
	v_cndmask_b32_e64 v13, 1, v57, s0
	v_cmp_ne_u32_e64 s0, 2, v11
	s_delay_alu instid0(VALU_DEP_3) | instskip(NEXT) | instid1(VALU_DEP_2)
	v_cmp_ne_u32_e64 s14, 0, v20
	v_cndmask_b32_e64 v15, 1, v56, s0
	v_cmp_ne_u32_e64 s0, 3, v11
	s_delay_alu instid0(VALU_DEP_2) | instskip(NEXT) | instid1(VALU_DEP_2)
	v_cndmask_b32_e32 v15, v56, v15, vcc_lo
	v_cndmask_b32_e64 v16, 1, v55, s0
	v_cmp_ne_u32_e64 s0, 14, v11
	s_delay_alu instid0(VALU_DEP_2) | instskip(NEXT) | instid1(VALU_DEP_2)
	v_cndmask_b32_e32 v16, v55, v16, vcc_lo
	v_cndmask_b32_e64 v17, 1, v51, s0
	v_cmp_ne_u32_e64 s0, 4, v11
	s_delay_alu instid0(VALU_DEP_3) | instskip(NEXT) | instid1(VALU_DEP_3)
	v_cmp_ne_u32_e64 s11, 0, v16
	v_cndmask_b32_e32 v17, v51, v17, vcc_lo
	s_delay_alu instid0(VALU_DEP_3) | instskip(SKIP_1) | instid1(VALU_DEP_2)
	v_cndmask_b32_e64 v18, 1, v54, s0
	v_cmp_ne_u32_e64 s0, 5, v11
	v_dual_cndmask_b32 v21, v57, v13 :: v_dual_cndmask_b32 v18, v54, v18
	s_delay_alu instid0(VALU_DEP_2) | instskip(SKIP_1) | instid1(VALU_DEP_3)
	v_cndmask_b32_e64 v19, 1, v53, s0
	v_cmp_ne_u32_e64 s0, 6, v11
	v_cmp_ne_u32_e64 s13, 0, v21
	s_delay_alu instid0(VALU_DEP_4) | instskip(NEXT) | instid1(VALU_DEP_3)
	v_cmp_ne_u32_e64 s10, 0, v18
	v_cndmask_b32_e64 v10, 1, v52, s0
	v_cmp_ne_u32_e64 s0, 7, v11
	s_delay_alu instid0(VALU_DEP_2) | instskip(NEXT) | instid1(VALU_DEP_2)
	v_cndmask_b32_e32 v52, v52, v10, vcc_lo
	v_cndmask_b32_e64 v12, 1, v50, s0
	v_cmp_eq_u32_e64 s0, 0, v20
	v_cndmask_b32_e32 v19, v53, v19, vcc_lo
	s_delay_alu instid0(VALU_DEP_4) | instskip(NEXT) | instid1(VALU_DEP_3)
	v_cmp_ne_u32_e64 s8, 0, v52
	v_cndmask_b32_e64 v13, 1, 2, s0
	v_cmp_eq_u32_e64 s0, 0, v21
	s_delay_alu instid0(VALU_DEP_1) | instskip(SKIP_1) | instid1(VALU_DEP_2)
	v_cndmask_b32_e64 v22, 1, 2, s0
	v_cmp_ne_u32_e64 s0, 8, v11
	v_and_b32_e32 v13, v22, v13
	s_delay_alu instid0(VALU_DEP_2) | instskip(SKIP_1) | instid1(VALU_DEP_2)
	v_cndmask_b32_e64 v38, 1, v49, s0
	v_cmp_eq_u32_e64 s0, 0, v15
	v_cndmask_b32_e32 v38, v49, v38, vcc_lo
	s_delay_alu instid0(VALU_DEP_2) | instskip(SKIP_1) | instid1(VALU_DEP_3)
	v_cndmask_b32_e64 v22, 1, 2, s0
	v_cmp_ne_u32_e64 s0, 9, v11
	v_cmp_ne_u32_e64 s6, 0, v38
	s_delay_alu instid0(VALU_DEP_3) | instskip(NEXT) | instid1(VALU_DEP_3)
	v_and_b32_e32 v13, v13, v22
	v_cndmask_b32_e64 v43, 1, v48, s0
	v_cmp_ne_u32_e64 s0, 10, v11
	s_delay_alu instid0(VALU_DEP_2) | instskip(NEXT) | instid1(VALU_DEP_2)
	v_cndmask_b32_e32 v43, v48, v43, vcc_lo
	v_cndmask_b32_e64 v51, 1, v47, s0
	v_cmp_eq_u32_e64 s0, 0, v16
	s_delay_alu instid0(VALU_DEP_3) | instskip(NEXT) | instid1(VALU_DEP_3)
	v_cmp_ne_u32_e64 s5, 0, v43
	v_cndmask_b32_e32 v47, v47, v51, vcc_lo
	s_delay_alu instid0(VALU_DEP_3) | instskip(SKIP_1) | instid1(VALU_DEP_3)
	v_cndmask_b32_e64 v22, 1, 2, s0
	v_cmp_ne_u32_e64 s0, 11, v11
	v_cmp_ne_u32_e64 s4, 0, v47
	s_delay_alu instid0(VALU_DEP_3) | instskip(NEXT) | instid1(VALU_DEP_3)
	v_and_b32_e32 v13, v13, v22
	v_cndmask_b32_e64 v54, 1, v46, s0
	v_cmp_eq_u32_e64 s0, 0, v18
	s_delay_alu instid0(VALU_DEP_2) | instskip(NEXT) | instid1(VALU_DEP_2)
	v_cndmask_b32_e32 v46, v46, v54, vcc_lo
	v_cndmask_b32_e64 v22, 1, 2, s0
	v_cmp_ne_u32_e64 s0, 12, v11
	v_cmp_ne_u32_e64 s12, 0, v15
	s_delay_alu instid0(VALU_DEP_4) | instskip(NEXT) | instid1(VALU_DEP_4)
	v_cmp_ne_u32_e64 s3, 0, v46
	v_and_b32_e32 v13, v13, v22
	s_delay_alu instid0(VALU_DEP_4) | instskip(SKIP_1) | instid1(VALU_DEP_1)
	v_cndmask_b32_e64 v53, 1, v45, s0
	v_cmp_ne_u32_e64 s0, 13, v11
	v_cndmask_b32_e64 v11, 1, v44, s0
	v_cmp_eq_u32_e64 s0, 0, v19
	s_delay_alu instid0(VALU_DEP_2) | instskip(NEXT) | instid1(VALU_DEP_2)
	v_cndmask_b32_e32 v44, v44, v11, vcc_lo
	v_cndmask_b32_e64 v22, 1, 2, s0
	v_cmp_eq_u32_e64 s0, 0, v52
	s_delay_alu instid0(VALU_DEP_3) | instskip(NEXT) | instid1(VALU_DEP_3)
	v_cmp_ne_u32_e64 s1, 0, v44
	v_and_b32_e32 v10, v13, v22
	v_cndmask_b32_e32 v22, v50, v12, vcc_lo
	s_delay_alu instid0(VALU_DEP_4)
	v_cndmask_b32_e64 v11, 1, 2, s0
	v_cndmask_b32_e32 v45, v45, v53, vcc_lo
	v_cmp_ne_u32_e64 s9, 0, v19
	v_cmp_ne_u32_e64 s0, 0, v17
	v_cmp_eq_u32_e32 vcc_lo, 0, v22
	v_and_b32_e32 v10, v10, v11
	v_cmp_ne_u32_e64 s7, 0, v22
	v_cmp_ne_u32_e64 s2, 0, v45
	v_cndmask_b32_e64 v11, 1, 2, vcc_lo
	v_add_co_u32 v2, vcc_lo, s28, v2
	v_add_co_ci_u32_e32 v3, vcc_lo, s29, v3, vcc_lo
	v_cmp_eq_u32_e32 vcc_lo, 0, v38
	s_delay_alu instid0(VALU_DEP_4)
	v_and_b32_e32 v12, v10, v11
	v_cndmask_b32_e64 v13, 1, 2, vcc_lo
	v_add_co_u32 v10, vcc_lo, v2, v23
	v_add_co_ci_u32_e32 v11, vcc_lo, v3, v24, vcc_lo
	v_lshlrev_b32_e32 v2, 2, v14
	v_cmp_eq_u32_e32 vcc_lo, 0, v43
	v_and_b32_e32 v3, v12, v13
	v_cndmask_b32_e64 v12, 1, 2, vcc_lo
	s_delay_alu instid0(VALU_DEP_4) | instskip(SKIP_2) | instid1(VALU_DEP_4)
	v_add_co_u32 v2, vcc_lo, v2, v10
	v_add_co_ci_u32_e32 v13, vcc_lo, 0, v11, vcc_lo
	v_cmp_eq_u32_e32 vcc_lo, 0, v47
	v_and_b32_e32 v3, v3, v12
	v_cndmask_b32_e64 v23, 1, 2, vcc_lo
	v_add_co_u32 v12, vcc_lo, v2, -4
	v_add_co_ci_u32_e32 v13, vcc_lo, -1, v13, vcc_lo
	v_cmp_eq_u32_e32 vcc_lo, 0, v46
	v_add_nc_u32_e32 v2, v5, v14
	v_and_b32_e32 v3, v3, v23
	v_cndmask_b32_e64 v14, 1, 2, vcc_lo
	v_cmp_eq_u32_e32 vcc_lo, 0, v45
	s_delay_alu instid0(VALU_DEP_2) | instskip(SKIP_2) | instid1(VALU_DEP_2)
	v_and_b32_e32 v3, v3, v14
	v_cndmask_b32_e64 v14, 1, 2, vcc_lo
	v_cmp_eq_u32_e32 vcc_lo, 0, v44
	v_and_b32_e32 v3, v3, v14
	v_cndmask_b32_e64 v14, 1, 2, vcc_lo
	v_cmp_eq_u32_e32 vcc_lo, 0, v17
	s_delay_alu instid0(VALU_DEP_2) | instskip(SKIP_2) | instid1(VALU_DEP_2)
	v_and_b32_e32 v3, v3, v14
	v_cndmask_b32_e64 v14, 1, 2, vcc_lo
	v_cmp_gt_u32_e32 vcc_lo, 0x100, v9
	v_and_b32_e32 v3, v3, v14
	s_cbranch_vccz .LBB116_252
; %bb.236:
	s_mov_b32 s15, exec_lo
	s_delay_alu instid0(VALU_DEP_1)
	v_cmpx_gt_i16_e32 2, v3
	s_cbranch_execz .LBB116_290
; %bb.237:
	s_mov_b32 s17, 0
	s_mov_b32 s16, exec_lo
	v_cmpx_ne_u16_e32 1, v3
	s_xor_b32 s16, exec_lo, s16
	s_cbranch_execz .LBB116_269
; %bb.238:
	s_and_saveexec_b32 s17, s14
	s_cbranch_execz .LBB116_273
; %bb.239:
	v_sub_nc_u32_e32 v14, v4, v2
	v_mov_b32_e32 v15, 0
	s_delay_alu instid0(VALU_DEP_1) | instskip(NEXT) | instid1(VALU_DEP_1)
	v_lshlrev_b64 v[14:15], 2, v[14:15]
	v_add_co_u32 v14, vcc_lo, v12, v14
	s_delay_alu instid0(VALU_DEP_2)
	v_add_co_ci_u32_e32 v15, vcc_lo, v13, v15, vcc_lo
	global_store_b32 v[14:15], v71, off
	s_or_b32 exec_lo, exec_lo, s17
	s_and_saveexec_b32 s17, s13
	s_cbranch_execnz .LBB116_274
.LBB116_240:
	s_or_b32 exec_lo, exec_lo, s17
	s_and_saveexec_b32 s17, s12
	s_cbranch_execz .LBB116_275
.LBB116_241:
	v_sub_nc_u32_e32 v14, v34, v2
	v_mov_b32_e32 v15, 0
	s_delay_alu instid0(VALU_DEP_1) | instskip(NEXT) | instid1(VALU_DEP_1)
	v_lshlrev_b64 v[14:15], 2, v[14:15]
	v_add_co_u32 v14, vcc_lo, v12, v14
	s_delay_alu instid0(VALU_DEP_2)
	v_add_co_ci_u32_e32 v15, vcc_lo, v13, v15, vcc_lo
	global_store_b32 v[14:15], v69, off
	s_or_b32 exec_lo, exec_lo, s17
	s_and_saveexec_b32 s17, s11
	s_cbranch_execnz .LBB116_276
.LBB116_242:
	s_or_b32 exec_lo, exec_lo, s17
	s_and_saveexec_b32 s17, s10
	s_cbranch_execz .LBB116_277
.LBB116_243:
	v_sub_nc_u32_e32 v14, v35, v2
	v_mov_b32_e32 v15, 0
	s_delay_alu instid0(VALU_DEP_1) | instskip(NEXT) | instid1(VALU_DEP_1)
	v_lshlrev_b64 v[14:15], 2, v[14:15]
	v_add_co_u32 v14, vcc_lo, v12, v14
	s_delay_alu instid0(VALU_DEP_2)
	v_add_co_ci_u32_e32 v15, vcc_lo, v13, v15, vcc_lo
	global_store_b32 v[14:15], v67, off
	s_or_b32 exec_lo, exec_lo, s17
	s_and_saveexec_b32 s17, s9
	s_cbranch_execnz .LBB116_278
.LBB116_244:
	s_or_b32 exec_lo, exec_lo, s17
	s_and_saveexec_b32 s17, s8
	s_cbranch_execz .LBB116_279
.LBB116_245:
	v_sub_nc_u32_e32 v14, v32, v2
	v_mov_b32_e32 v15, 0
	s_delay_alu instid0(VALU_DEP_1) | instskip(NEXT) | instid1(VALU_DEP_1)
	v_lshlrev_b64 v[14:15], 2, v[14:15]
	v_add_co_u32 v14, vcc_lo, v12, v14
	s_delay_alu instid0(VALU_DEP_2)
	v_add_co_ci_u32_e32 v15, vcc_lo, v13, v15, vcc_lo
	global_store_b32 v[14:15], v65, off
	s_or_b32 exec_lo, exec_lo, s17
	s_and_saveexec_b32 s17, s7
	s_cbranch_execnz .LBB116_280
.LBB116_246:
	s_or_b32 exec_lo, exec_lo, s17
	s_and_saveexec_b32 s17, s6
	s_cbranch_execz .LBB116_281
.LBB116_247:
	v_sub_nc_u32_e32 v14, v30, v2
	v_mov_b32_e32 v15, 0
	s_delay_alu instid0(VALU_DEP_1) | instskip(NEXT) | instid1(VALU_DEP_1)
	v_lshlrev_b64 v[14:15], 2, v[14:15]
	v_add_co_u32 v14, vcc_lo, v12, v14
	s_delay_alu instid0(VALU_DEP_2)
	v_add_co_ci_u32_e32 v15, vcc_lo, v13, v15, vcc_lo
	global_store_b32 v[14:15], v63, off
	s_or_b32 exec_lo, exec_lo, s17
	s_and_saveexec_b32 s17, s5
	s_cbranch_execnz .LBB116_282
.LBB116_248:
	s_or_b32 exec_lo, exec_lo, s17
	s_and_saveexec_b32 s17, s4
	s_cbranch_execz .LBB116_283
.LBB116_249:
	v_sub_nc_u32_e32 v14, v28, v2
	v_mov_b32_e32 v15, 0
	s_delay_alu instid0(VALU_DEP_1) | instskip(NEXT) | instid1(VALU_DEP_1)
	v_lshlrev_b64 v[14:15], 2, v[14:15]
	v_add_co_u32 v14, vcc_lo, v12, v14
	s_delay_alu instid0(VALU_DEP_2)
	v_add_co_ci_u32_e32 v15, vcc_lo, v13, v15, vcc_lo
	global_store_b32 v[14:15], v60, off
	s_or_b32 exec_lo, exec_lo, s17
	s_and_saveexec_b32 s17, s3
	s_cbranch_execnz .LBB116_284
.LBB116_250:
	s_or_b32 exec_lo, exec_lo, s17
	s_and_saveexec_b32 s17, s2
	s_cbranch_execz .LBB116_285
.LBB116_251:
	v_sub_nc_u32_e32 v14, v26, v2
	v_mov_b32_e32 v15, 0
	s_delay_alu instid0(VALU_DEP_1) | instskip(NEXT) | instid1(VALU_DEP_1)
	v_lshlrev_b64 v[14:15], 2, v[14:15]
	v_add_co_u32 v14, vcc_lo, v12, v14
	s_delay_alu instid0(VALU_DEP_2)
	v_add_co_ci_u32_e32 v15, vcc_lo, v13, v15, vcc_lo
	global_store_b32 v[14:15], v42, off
	s_or_b32 exec_lo, exec_lo, s17
	s_and_saveexec_b32 s17, s1
	s_cbranch_execnz .LBB116_286
	s_branch .LBB116_287
.LBB116_252:
	s_and_b32 vcc_lo, exec_lo, s15
	s_cbranch_vccz .LBB116_291
; %bb.253:
	s_mov_b32 s15, exec_lo
	v_cmpx_gt_i16_e32 2, v3
	s_cbranch_execz .LBB116_309
; %bb.254:
	s_mov_b32 s17, 0
	s_mov_b32 s16, exec_lo
	v_cmpx_ne_u16_e32 1, v3
	s_xor_b32 s16, exec_lo, s16
	s_cbranch_execz .LBB116_271
; %bb.255:
	s_and_saveexec_b32 s17, s14
	s_cbranch_execz .LBB116_292
; %bb.256:
	v_sub_nc_u32_e32 v3, v4, v2
	s_delay_alu instid0(VALU_DEP_1)
	v_lshlrev_b32_e32 v3, 2, v3
	ds_store_b32 v3, v71
	s_or_b32 exec_lo, exec_lo, s17
	s_and_saveexec_b32 s14, s13
	s_cbranch_execnz .LBB116_293
.LBB116_257:
	s_or_b32 exec_lo, exec_lo, s14
	s_and_saveexec_b32 s13, s12
	s_cbranch_execz .LBB116_294
.LBB116_258:
	v_sub_nc_u32_e32 v3, v34, v2
	s_delay_alu instid0(VALU_DEP_1)
	v_lshlrev_b32_e32 v3, 2, v3
	ds_store_b32 v3, v69
	s_or_b32 exec_lo, exec_lo, s13
	s_and_saveexec_b32 s12, s11
	s_cbranch_execnz .LBB116_295
.LBB116_259:
	s_or_b32 exec_lo, exec_lo, s12
	s_and_saveexec_b32 s11, s10
	s_cbranch_execz .LBB116_296
.LBB116_260:
	v_sub_nc_u32_e32 v3, v35, v2
	s_delay_alu instid0(VALU_DEP_1)
	v_lshlrev_b32_e32 v3, 2, v3
	ds_store_b32 v3, v67
	s_or_b32 exec_lo, exec_lo, s11
	s_and_saveexec_b32 s10, s9
	s_cbranch_execnz .LBB116_297
.LBB116_261:
	s_or_b32 exec_lo, exec_lo, s10
	s_and_saveexec_b32 s9, s8
	s_cbranch_execz .LBB116_298
.LBB116_262:
	v_sub_nc_u32_e32 v3, v32, v2
	s_delay_alu instid0(VALU_DEP_1)
	v_lshlrev_b32_e32 v3, 2, v3
	ds_store_b32 v3, v65
	s_or_b32 exec_lo, exec_lo, s9
	s_and_saveexec_b32 s8, s7
	s_cbranch_execnz .LBB116_299
.LBB116_263:
	s_or_b32 exec_lo, exec_lo, s8
	s_and_saveexec_b32 s7, s6
	s_cbranch_execz .LBB116_300
.LBB116_264:
	v_sub_nc_u32_e32 v3, v30, v2
	s_delay_alu instid0(VALU_DEP_1)
	v_lshlrev_b32_e32 v3, 2, v3
	ds_store_b32 v3, v63
	s_or_b32 exec_lo, exec_lo, s7
	s_and_saveexec_b32 s6, s5
	s_cbranch_execnz .LBB116_301
.LBB116_265:
	s_or_b32 exec_lo, exec_lo, s6
	s_and_saveexec_b32 s5, s4
	s_cbranch_execz .LBB116_302
.LBB116_266:
	v_sub_nc_u32_e32 v3, v28, v2
	s_delay_alu instid0(VALU_DEP_1)
	v_lshlrev_b32_e32 v3, 2, v3
	ds_store_b32 v3, v60
	s_or_b32 exec_lo, exec_lo, s5
	s_and_saveexec_b32 s4, s3
	s_cbranch_execnz .LBB116_303
.LBB116_267:
	s_or_b32 exec_lo, exec_lo, s4
	s_and_saveexec_b32 s3, s2
	s_cbranch_execz .LBB116_304
.LBB116_268:
	v_sub_nc_u32_e32 v3, v26, v2
	s_delay_alu instid0(VALU_DEP_1)
	v_lshlrev_b32_e32 v3, 2, v3
	ds_store_b32 v3, v42
	s_or_b32 exec_lo, exec_lo, s3
	s_and_saveexec_b32 s2, s1
	s_cbranch_execnz .LBB116_305
	s_branch .LBB116_306
.LBB116_269:
	s_and_not1_saveexec_b32 s16, s16
	s_cbranch_execz .LBB116_288
.LBB116_270:
	v_sub_nc_u32_e32 v14, v4, v2
	v_mov_b32_e32 v15, 0
	s_or_b32 s17, s17, exec_lo
	s_delay_alu instid0(VALU_DEP_1) | instskip(SKIP_1) | instid1(VALU_DEP_1)
	v_lshlrev_b64 v[16:17], 2, v[14:15]
	v_sub_nc_u32_e32 v14, v36, v2
	v_lshlrev_b64 v[18:19], 2, v[14:15]
	v_sub_nc_u32_e32 v14, v34, v2
	s_delay_alu instid0(VALU_DEP_4) | instskip(SKIP_1) | instid1(VALU_DEP_3)
	v_add_co_u32 v16, vcc_lo, v12, v16
	v_add_co_ci_u32_e32 v17, vcc_lo, v13, v17, vcc_lo
	v_lshlrev_b64 v[20:21], 2, v[14:15]
	v_sub_nc_u32_e32 v14, v37, v2
	v_add_co_u32 v18, vcc_lo, v12, v18
	v_add_co_ci_u32_e32 v19, vcc_lo, v13, v19, vcc_lo
	global_store_b32 v[16:17], v71, off
	v_lshlrev_b64 v[16:17], 2, v[14:15]
	v_sub_nc_u32_e32 v14, v35, v2
	global_store_b32 v[18:19], v70, off
	v_add_co_u32 v18, vcc_lo, v12, v20
	v_add_co_ci_u32_e32 v19, vcc_lo, v13, v21, vcc_lo
	v_lshlrev_b64 v[20:21], 2, v[14:15]
	v_sub_nc_u32_e32 v14, v33, v2
	v_add_co_u32 v16, vcc_lo, v12, v16
	v_add_co_ci_u32_e32 v17, vcc_lo, v13, v17, vcc_lo
	s_delay_alu instid0(VALU_DEP_3) | instskip(SKIP_3) | instid1(VALU_DEP_3)
	v_lshlrev_b64 v[22:23], 2, v[14:15]
	v_sub_nc_u32_e32 v14, v32, v2
	v_add_co_u32 v20, vcc_lo, v12, v20
	v_add_co_ci_u32_e32 v21, vcc_lo, v13, v21, vcc_lo
	v_lshlrev_b64 v[43:44], 2, v[14:15]
	v_sub_nc_u32_e32 v14, v31, v2
	v_add_co_u32 v22, vcc_lo, v12, v22
	v_add_co_ci_u32_e32 v23, vcc_lo, v13, v23, vcc_lo
	s_clause 0x3
	global_store_b32 v[18:19], v69, off
	global_store_b32 v[16:17], v68, off
	;; [unrolled: 1-line block ×4, first 2 shown]
	v_lshlrev_b64 v[16:17], 2, v[14:15]
	v_sub_nc_u32_e32 v14, v30, v2
	v_add_co_u32 v18, vcc_lo, v12, v43
	v_add_co_ci_u32_e32 v19, vcc_lo, v13, v44, vcc_lo
	s_delay_alu instid0(VALU_DEP_3) | instskip(SKIP_3) | instid1(VALU_DEP_3)
	v_lshlrev_b64 v[20:21], 2, v[14:15]
	v_sub_nc_u32_e32 v14, v29, v2
	v_add_co_u32 v16, vcc_lo, v12, v16
	v_add_co_ci_u32_e32 v17, vcc_lo, v13, v17, vcc_lo
	v_lshlrev_b64 v[22:23], 2, v[14:15]
	v_sub_nc_u32_e32 v14, v28, v2
	v_add_co_u32 v20, vcc_lo, v12, v20
	v_add_co_ci_u32_e32 v21, vcc_lo, v13, v21, vcc_lo
	s_delay_alu instid0(VALU_DEP_3)
	v_lshlrev_b64 v[43:44], 2, v[14:15]
	v_sub_nc_u32_e32 v14, v27, v2
	v_add_co_u32 v22, vcc_lo, v12, v22
	v_add_co_ci_u32_e32 v23, vcc_lo, v13, v23, vcc_lo
	s_clause 0x3
	global_store_b32 v[18:19], v65, off
	global_store_b32 v[16:17], v64, off
	;; [unrolled: 1-line block ×4, first 2 shown]
	v_lshlrev_b64 v[16:17], 2, v[14:15]
	v_sub_nc_u32_e32 v14, v26, v2
	v_add_co_u32 v18, vcc_lo, v12, v43
	v_add_co_ci_u32_e32 v19, vcc_lo, v13, v44, vcc_lo
	s_delay_alu instid0(VALU_DEP_3) | instskip(SKIP_3) | instid1(VALU_DEP_3)
	v_lshlrev_b64 v[20:21], 2, v[14:15]
	v_sub_nc_u32_e32 v14, v25, v2
	v_add_co_u32 v16, vcc_lo, v12, v16
	v_add_co_ci_u32_e32 v17, vcc_lo, v13, v17, vcc_lo
	v_lshlrev_b64 v[14:15], 2, v[14:15]
	v_add_co_u32 v20, vcc_lo, v12, v20
	v_add_co_ci_u32_e32 v21, vcc_lo, v13, v21, vcc_lo
	s_clause 0x2
	global_store_b32 v[18:19], v60, off
	global_store_b32 v[16:17], v41, off
	;; [unrolled: 1-line block ×3, first 2 shown]
	v_add_co_u32 v14, vcc_lo, v12, v14
	v_add_co_ci_u32_e32 v15, vcc_lo, v13, v15, vcc_lo
	global_store_b32 v[14:15], v40, off
	s_or_b32 exec_lo, exec_lo, s16
	s_delay_alu instid0(SALU_CYCLE_1)
	s_and_b32 exec_lo, exec_lo, s17
	s_cbranch_execnz .LBB116_289
	s_branch .LBB116_290
.LBB116_271:
	s_and_not1_saveexec_b32 s0, s16
	s_cbranch_execz .LBB116_307
.LBB116_272:
	v_sub_nc_u32_e32 v3, v4, v2
	v_sub_nc_u32_e32 v4, v36, v2
	;; [unrolled: 1-line block ×5, first 2 shown]
	v_lshlrev_b32_e32 v3, 2, v3
	v_lshlrev_b32_e32 v4, 2, v4
	;; [unrolled: 1-line block ×4, first 2 shown]
	s_or_b32 s17, s17, exec_lo
	ds_store_b32 v3, v71
	ds_store_b32 v4, v70
	;; [unrolled: 1-line block ×3, first 2 shown]
	v_sub_nc_u32_e32 v3, v35, v2
	v_sub_nc_u32_e32 v4, v33, v2
	;; [unrolled: 1-line block ×3, first 2 shown]
	ds_store_b32 v15, v68
	v_sub_nc_u32_e32 v15, v31, v2
	v_lshlrev_b32_e32 v3, 2, v3
	v_lshlrev_b32_e32 v4, 2, v4
	;; [unrolled: 1-line block ×3, first 2 shown]
	s_delay_alu instid0(VALU_DEP_4)
	v_lshlrev_b32_e32 v15, 2, v15
	ds_store_b32 v3, v67
	v_lshlrev_b32_e32 v3, 2, v16
	ds_store_b32 v4, v66
	ds_store_b32 v14, v65
	;; [unrolled: 1-line block ×3, first 2 shown]
	v_sub_nc_u32_e32 v4, v29, v2
	v_sub_nc_u32_e32 v16, v25, v2
	;; [unrolled: 1-line block ×3, first 2 shown]
	ds_store_b32 v3, v63
	v_sub_nc_u32_e32 v3, v28, v2
	v_lshlrev_b32_e32 v4, 2, v4
	v_sub_nc_u32_e32 v15, v26, v2
	v_lshlrev_b32_e32 v14, 2, v14
	s_delay_alu instid0(VALU_DEP_4)
	v_lshlrev_b32_e32 v3, 2, v3
	ds_store_b32 v4, v61
	v_lshlrev_b32_e32 v4, 2, v16
	v_lshlrev_b32_e32 v15, 2, v15
	ds_store_b32 v3, v60
	ds_store_b32 v14, v41
	;; [unrolled: 1-line block ×4, first 2 shown]
	s_or_b32 exec_lo, exec_lo, s0
	s_delay_alu instid0(SALU_CYCLE_1)
	s_and_b32 exec_lo, exec_lo, s17
	s_cbranch_execnz .LBB116_308
	s_branch .LBB116_309
.LBB116_273:
	s_or_b32 exec_lo, exec_lo, s17
	s_and_saveexec_b32 s17, s13
	s_cbranch_execz .LBB116_240
.LBB116_274:
	v_sub_nc_u32_e32 v14, v36, v2
	v_mov_b32_e32 v15, 0
	s_delay_alu instid0(VALU_DEP_1) | instskip(NEXT) | instid1(VALU_DEP_1)
	v_lshlrev_b64 v[14:15], 2, v[14:15]
	v_add_co_u32 v14, vcc_lo, v12, v14
	s_delay_alu instid0(VALU_DEP_2)
	v_add_co_ci_u32_e32 v15, vcc_lo, v13, v15, vcc_lo
	global_store_b32 v[14:15], v70, off
	s_or_b32 exec_lo, exec_lo, s17
	s_and_saveexec_b32 s17, s12
	s_cbranch_execnz .LBB116_241
.LBB116_275:
	s_or_b32 exec_lo, exec_lo, s17
	s_and_saveexec_b32 s17, s11
	s_cbranch_execz .LBB116_242
.LBB116_276:
	v_sub_nc_u32_e32 v14, v37, v2
	v_mov_b32_e32 v15, 0
	s_delay_alu instid0(VALU_DEP_1) | instskip(NEXT) | instid1(VALU_DEP_1)
	v_lshlrev_b64 v[14:15], 2, v[14:15]
	v_add_co_u32 v14, vcc_lo, v12, v14
	s_delay_alu instid0(VALU_DEP_2)
	v_add_co_ci_u32_e32 v15, vcc_lo, v13, v15, vcc_lo
	global_store_b32 v[14:15], v68, off
	s_or_b32 exec_lo, exec_lo, s17
	s_and_saveexec_b32 s17, s10
	s_cbranch_execnz .LBB116_243
.LBB116_277:
	s_or_b32 exec_lo, exec_lo, s17
	s_and_saveexec_b32 s17, s9
	s_cbranch_execz .LBB116_244
.LBB116_278:
	v_sub_nc_u32_e32 v14, v33, v2
	v_mov_b32_e32 v15, 0
	s_delay_alu instid0(VALU_DEP_1) | instskip(NEXT) | instid1(VALU_DEP_1)
	v_lshlrev_b64 v[14:15], 2, v[14:15]
	v_add_co_u32 v14, vcc_lo, v12, v14
	s_delay_alu instid0(VALU_DEP_2)
	v_add_co_ci_u32_e32 v15, vcc_lo, v13, v15, vcc_lo
	global_store_b32 v[14:15], v66, off
	s_or_b32 exec_lo, exec_lo, s17
	s_and_saveexec_b32 s17, s8
	s_cbranch_execnz .LBB116_245
.LBB116_279:
	s_or_b32 exec_lo, exec_lo, s17
	s_and_saveexec_b32 s17, s7
	s_cbranch_execz .LBB116_246
.LBB116_280:
	v_sub_nc_u32_e32 v14, v31, v2
	v_mov_b32_e32 v15, 0
	s_delay_alu instid0(VALU_DEP_1) | instskip(NEXT) | instid1(VALU_DEP_1)
	v_lshlrev_b64 v[14:15], 2, v[14:15]
	v_add_co_u32 v14, vcc_lo, v12, v14
	s_delay_alu instid0(VALU_DEP_2)
	v_add_co_ci_u32_e32 v15, vcc_lo, v13, v15, vcc_lo
	global_store_b32 v[14:15], v64, off
	s_or_b32 exec_lo, exec_lo, s17
	s_and_saveexec_b32 s17, s6
	s_cbranch_execnz .LBB116_247
.LBB116_281:
	s_or_b32 exec_lo, exec_lo, s17
	s_and_saveexec_b32 s17, s5
	s_cbranch_execz .LBB116_248
.LBB116_282:
	v_sub_nc_u32_e32 v14, v29, v2
	v_mov_b32_e32 v15, 0
	s_delay_alu instid0(VALU_DEP_1) | instskip(NEXT) | instid1(VALU_DEP_1)
	v_lshlrev_b64 v[14:15], 2, v[14:15]
	v_add_co_u32 v14, vcc_lo, v12, v14
	s_delay_alu instid0(VALU_DEP_2)
	v_add_co_ci_u32_e32 v15, vcc_lo, v13, v15, vcc_lo
	global_store_b32 v[14:15], v61, off
	s_or_b32 exec_lo, exec_lo, s17
	s_and_saveexec_b32 s17, s4
	s_cbranch_execnz .LBB116_249
.LBB116_283:
	s_or_b32 exec_lo, exec_lo, s17
	s_and_saveexec_b32 s17, s3
	s_cbranch_execz .LBB116_250
.LBB116_284:
	v_sub_nc_u32_e32 v14, v27, v2
	v_mov_b32_e32 v15, 0
	s_delay_alu instid0(VALU_DEP_1) | instskip(NEXT) | instid1(VALU_DEP_1)
	v_lshlrev_b64 v[14:15], 2, v[14:15]
	v_add_co_u32 v14, vcc_lo, v12, v14
	s_delay_alu instid0(VALU_DEP_2)
	v_add_co_ci_u32_e32 v15, vcc_lo, v13, v15, vcc_lo
	global_store_b32 v[14:15], v41, off
	s_or_b32 exec_lo, exec_lo, s17
	s_and_saveexec_b32 s17, s2
	s_cbranch_execnz .LBB116_251
.LBB116_285:
	s_or_b32 exec_lo, exec_lo, s17
	s_and_saveexec_b32 s17, s1
	s_cbranch_execz .LBB116_287
.LBB116_286:
	v_sub_nc_u32_e32 v14, v25, v2
	v_mov_b32_e32 v15, 0
	s_delay_alu instid0(VALU_DEP_1) | instskip(NEXT) | instid1(VALU_DEP_1)
	v_lshlrev_b64 v[14:15], 2, v[14:15]
	v_add_co_u32 v14, vcc_lo, v12, v14
	s_delay_alu instid0(VALU_DEP_2)
	v_add_co_ci_u32_e32 v15, vcc_lo, v13, v15, vcc_lo
	global_store_b32 v[14:15], v40, off
.LBB116_287:
	s_or_b32 exec_lo, exec_lo, s17
	s_delay_alu instid0(SALU_CYCLE_1)
	s_and_b32 s17, s0, exec_lo
	s_and_not1_saveexec_b32 s16, s16
	s_cbranch_execnz .LBB116_270
.LBB116_288:
	s_or_b32 exec_lo, exec_lo, s16
	s_delay_alu instid0(SALU_CYCLE_1)
	s_and_b32 exec_lo, exec_lo, s17
	s_cbranch_execz .LBB116_290
.LBB116_289:
	v_sub_nc_u32_e32 v14, v6, v2
	v_mov_b32_e32 v15, 0
	s_delay_alu instid0(VALU_DEP_1) | instskip(NEXT) | instid1(VALU_DEP_1)
	v_lshlrev_b64 v[14:15], 2, v[14:15]
	v_add_co_u32 v14, vcc_lo, v12, v14
	s_delay_alu instid0(VALU_DEP_2)
	v_add_co_ci_u32_e32 v15, vcc_lo, v13, v15, vcc_lo
	global_store_b32 v[14:15], v62, off
.LBB116_290:
	s_or_b32 exec_lo, exec_lo, s15
.LBB116_291:
	v_cmp_eq_u32_e32 vcc_lo, 0xff, v0
	s_and_b32 s0, vcc_lo, s23
	s_delay_alu instid0(SALU_CYCLE_1)
	s_and_b32 exec_lo, exec_lo, s0
	s_cbranch_execnz .LBB116_313
	s_branch .LBB116_315
.LBB116_292:
	s_or_b32 exec_lo, exec_lo, s17
	s_and_saveexec_b32 s14, s13
	s_cbranch_execz .LBB116_257
.LBB116_293:
	v_sub_nc_u32_e32 v3, v36, v2
	s_delay_alu instid0(VALU_DEP_1)
	v_lshlrev_b32_e32 v3, 2, v3
	ds_store_b32 v3, v70
	s_or_b32 exec_lo, exec_lo, s14
	s_and_saveexec_b32 s13, s12
	s_cbranch_execnz .LBB116_258
.LBB116_294:
	s_or_b32 exec_lo, exec_lo, s13
	s_and_saveexec_b32 s12, s11
	s_cbranch_execz .LBB116_259
.LBB116_295:
	v_sub_nc_u32_e32 v3, v37, v2
	s_delay_alu instid0(VALU_DEP_1)
	v_lshlrev_b32_e32 v3, 2, v3
	ds_store_b32 v3, v68
	s_or_b32 exec_lo, exec_lo, s12
	s_and_saveexec_b32 s11, s10
	s_cbranch_execnz .LBB116_260
.LBB116_296:
	s_or_b32 exec_lo, exec_lo, s11
	s_and_saveexec_b32 s10, s9
	s_cbranch_execz .LBB116_261
.LBB116_297:
	v_sub_nc_u32_e32 v3, v33, v2
	s_delay_alu instid0(VALU_DEP_1)
	v_lshlrev_b32_e32 v3, 2, v3
	ds_store_b32 v3, v66
	s_or_b32 exec_lo, exec_lo, s10
	s_and_saveexec_b32 s9, s8
	s_cbranch_execnz .LBB116_262
.LBB116_298:
	s_or_b32 exec_lo, exec_lo, s9
	s_and_saveexec_b32 s8, s7
	s_cbranch_execz .LBB116_263
.LBB116_299:
	v_sub_nc_u32_e32 v3, v31, v2
	s_delay_alu instid0(VALU_DEP_1)
	v_lshlrev_b32_e32 v3, 2, v3
	ds_store_b32 v3, v64
	s_or_b32 exec_lo, exec_lo, s8
	s_and_saveexec_b32 s7, s6
	s_cbranch_execnz .LBB116_264
.LBB116_300:
	s_or_b32 exec_lo, exec_lo, s7
	s_and_saveexec_b32 s6, s5
	s_cbranch_execz .LBB116_265
.LBB116_301:
	v_sub_nc_u32_e32 v3, v29, v2
	s_delay_alu instid0(VALU_DEP_1)
	v_lshlrev_b32_e32 v3, 2, v3
	ds_store_b32 v3, v61
	s_or_b32 exec_lo, exec_lo, s6
	s_and_saveexec_b32 s5, s4
	s_cbranch_execnz .LBB116_266
.LBB116_302:
	s_or_b32 exec_lo, exec_lo, s5
	s_and_saveexec_b32 s4, s3
	s_cbranch_execz .LBB116_267
.LBB116_303:
	v_sub_nc_u32_e32 v3, v27, v2
	s_delay_alu instid0(VALU_DEP_1)
	v_lshlrev_b32_e32 v3, 2, v3
	ds_store_b32 v3, v41
	s_or_b32 exec_lo, exec_lo, s4
	s_and_saveexec_b32 s3, s2
	s_cbranch_execnz .LBB116_268
.LBB116_304:
	s_or_b32 exec_lo, exec_lo, s3
	s_and_saveexec_b32 s2, s1
	s_cbranch_execz .LBB116_306
.LBB116_305:
	v_sub_nc_u32_e32 v3, v25, v2
	s_delay_alu instid0(VALU_DEP_1)
	v_lshlrev_b32_e32 v3, 2, v3
	ds_store_b32 v3, v40
.LBB116_306:
	s_or_b32 exec_lo, exec_lo, s2
	s_delay_alu instid0(SALU_CYCLE_1)
	s_and_b32 s17, s0, exec_lo
                                        ; implicit-def: $vgpr40
                                        ; implicit-def: $vgpr42
                                        ; implicit-def: $vgpr41
                                        ; implicit-def: $vgpr60
                                        ; implicit-def: $vgpr61
                                        ; implicit-def: $vgpr63
                                        ; implicit-def: $vgpr64
                                        ; implicit-def: $vgpr65
                                        ; implicit-def: $vgpr66
                                        ; implicit-def: $vgpr67
                                        ; implicit-def: $vgpr68
                                        ; implicit-def: $vgpr69
                                        ; implicit-def: $vgpr70
                                        ; implicit-def: $vgpr71
                                        ; implicit-def: $vgpr36
                                        ; implicit-def: $vgpr34
                                        ; implicit-def: $vgpr37
                                        ; implicit-def: $vgpr35
                                        ; implicit-def: $vgpr33
                                        ; implicit-def: $vgpr32
                                        ; implicit-def: $vgpr31
                                        ; implicit-def: $vgpr30
                                        ; implicit-def: $vgpr29
                                        ; implicit-def: $vgpr28
                                        ; implicit-def: $vgpr27
                                        ; implicit-def: $vgpr26
                                        ; implicit-def: $vgpr25
	s_and_not1_saveexec_b32 s0, s16
	s_cbranch_execnz .LBB116_272
.LBB116_307:
	s_or_b32 exec_lo, exec_lo, s0
	s_delay_alu instid0(SALU_CYCLE_1)
	s_and_b32 exec_lo, exec_lo, s17
	s_cbranch_execz .LBB116_309
.LBB116_308:
	v_sub_nc_u32_e32 v2, v6, v2
	s_delay_alu instid0(VALU_DEP_1)
	v_lshlrev_b32_e32 v2, 2, v2
	ds_store_b32 v2, v62
.LBB116_309:
	s_or_b32 exec_lo, exec_lo, s15
	s_delay_alu instid0(SALU_CYCLE_1)
	s_mov_b32 s1, exec_lo
	s_waitcnt lgkmcnt(0)
	s_waitcnt_vscnt null, 0x0
	s_barrier
	buffer_gl0_inv
	v_cmpx_lt_u32_e64 v0, v9
	s_cbranch_execz .LBB116_312
; %bb.310:
	v_dual_mov_b32 v3, 0 :: v_dual_lshlrev_b32 v4, 2, v0
	v_mov_b32_e32 v2, v0
	s_mov_b32 s2, 0
	.p2align	6
.LBB116_311:                            ; =>This Inner Loop Header: Depth=1
	ds_load_b32 v6, v4
	v_lshlrev_b64 v[14:15], 2, v[2:3]
	v_add_nc_u32_e32 v2, 0x100, v2
	v_add_nc_u32_e32 v4, 0x400, v4
	s_delay_alu instid0(VALU_DEP_2) | instskip(NEXT) | instid1(VALU_DEP_4)
	v_cmp_ge_u32_e32 vcc_lo, v2, v9
	v_add_co_u32 v14, s0, v12, v14
	s_delay_alu instid0(VALU_DEP_1)
	v_add_co_ci_u32_e64 v15, s0, v13, v15, s0
	s_or_b32 s2, vcc_lo, s2
	s_waitcnt lgkmcnt(0)
	global_store_b32 v[14:15], v6, off
	s_and_not1_b32 exec_lo, exec_lo, s2
	s_cbranch_execnz .LBB116_311
.LBB116_312:
	s_or_b32 exec_lo, exec_lo, s1
	v_cmp_eq_u32_e32 vcc_lo, 0xff, v0
	s_and_b32 s0, vcc_lo, s23
	s_delay_alu instid0(SALU_CYCLE_1)
	s_and_b32 exec_lo, exec_lo, s0
	s_cbranch_execz .LBB116_315
.LBB116_313:
	v_add_co_u32 v0, s0, v1, v5
	s_delay_alu instid0(VALU_DEP_1) | instskip(SKIP_1) | instid1(VALU_DEP_3)
	v_add_co_ci_u32_e64 v4, null, 0, 0, s0
	v_mov_b32_e32 v2, 0
	v_add_co_u32 v3, vcc_lo, v0, v7
	s_delay_alu instid0(VALU_DEP_3)
	v_add_co_ci_u32_e32 v4, vcc_lo, v4, v8, vcc_lo
	s_cmpk_lg_i32 s33, 0xf00
	global_store_b64 v2, v[3:4], s[30:31]
	s_cbranch_scc1 .LBB116_315
; %bb.314:
	v_lshlrev_b64 v[0:1], 2, v[1:2]
	s_delay_alu instid0(VALU_DEP_1) | instskip(NEXT) | instid1(VALU_DEP_2)
	v_add_co_u32 v0, vcc_lo, v10, v0
	v_add_co_ci_u32_e32 v1, vcc_lo, v11, v1, vcc_lo
	global_store_b32 v[0:1], v39, off offset:-4
	s_nop 0
	s_sendmsg sendmsg(MSG_DEALLOC_VGPRS)
	s_endpgm
.LBB116_315:
	s_endpgm
.LBB116_316:
	s_trap 2
	s_sendmsg_rtn_b32 s0, sendmsg(MSG_RTN_GET_DOORBELL)
	s_mov_b32 ttmp2, m0
	s_waitcnt lgkmcnt(0)
	s_and_b32 s0, s0, 0x3ff
	s_delay_alu instid0(SALU_CYCLE_1) | instskip(NEXT) | instid1(SALU_CYCLE_1)
	s_bitset1_b32 s0, 10
	s_mov_b32 m0, s0
	s_sendmsg sendmsg(MSG_INTERRUPT)
	s_mov_b32 m0, ttmp2
.LBB116_317:                            ; =>This Inner Loop Header: Depth=1
	s_sethalt 5
	s_branch .LBB116_317
	.section	.rodata,"a",@progbits
	.p2align	6, 0x0
	.amdhsa_kernel _ZN7rocprim17ROCPRIM_400000_NS6detail17trampoline_kernelINS0_14default_configENS1_29reduce_by_key_config_selectorIffN6thrust23THRUST_200600_302600_NS4plusIfEEEEZZNS1_33reduce_by_key_impl_wrapped_configILNS1_25lookback_scan_determinismE1ES3_S9_NS6_6detail15normal_iteratorINS6_10device_ptrIfEEEESG_SG_SG_PmS8_NS6_8equal_toIfEEEE10hipError_tPvRmT2_T3_mT4_T5_T6_T7_T8_P12ihipStream_tbENKUlT_T0_E_clISt17integral_constantIbLb1EES10_IbLb0EEEEDaSW_SX_EUlSW_E_NS1_11comp_targetILNS1_3genE9ELNS1_11target_archE1100ELNS1_3gpuE3ELNS1_3repE0EEENS1_30default_config_static_selectorELNS0_4arch9wavefront6targetE0EEEvT1_
		.amdhsa_group_segment_fixed_size 15360
		.amdhsa_private_segment_fixed_size 48
		.amdhsa_kernarg_size 120
		.amdhsa_user_sgpr_count 15
		.amdhsa_user_sgpr_dispatch_ptr 0
		.amdhsa_user_sgpr_queue_ptr 0
		.amdhsa_user_sgpr_kernarg_segment_ptr 1
		.amdhsa_user_sgpr_dispatch_id 0
		.amdhsa_user_sgpr_private_segment_size 0
		.amdhsa_wavefront_size32 1
		.amdhsa_uses_dynamic_stack 0
		.amdhsa_enable_private_segment 1
		.amdhsa_system_sgpr_workgroup_id_x 1
		.amdhsa_system_sgpr_workgroup_id_y 0
		.amdhsa_system_sgpr_workgroup_id_z 0
		.amdhsa_system_sgpr_workgroup_info 0
		.amdhsa_system_vgpr_workitem_id 0
		.amdhsa_next_free_vgpr 85
		.amdhsa_next_free_sgpr 48
		.amdhsa_reserve_vcc 1
		.amdhsa_float_round_mode_32 0
		.amdhsa_float_round_mode_16_64 0
		.amdhsa_float_denorm_mode_32 3
		.amdhsa_float_denorm_mode_16_64 3
		.amdhsa_dx10_clamp 1
		.amdhsa_ieee_mode 1
		.amdhsa_fp16_overflow 0
		.amdhsa_workgroup_processor_mode 1
		.amdhsa_memory_ordered 1
		.amdhsa_forward_progress 0
		.amdhsa_shared_vgpr_count 0
		.amdhsa_exception_fp_ieee_invalid_op 0
		.amdhsa_exception_fp_denorm_src 0
		.amdhsa_exception_fp_ieee_div_zero 0
		.amdhsa_exception_fp_ieee_overflow 0
		.amdhsa_exception_fp_ieee_underflow 0
		.amdhsa_exception_fp_ieee_inexact 0
		.amdhsa_exception_int_div_zero 0
	.end_amdhsa_kernel
	.section	.text._ZN7rocprim17ROCPRIM_400000_NS6detail17trampoline_kernelINS0_14default_configENS1_29reduce_by_key_config_selectorIffN6thrust23THRUST_200600_302600_NS4plusIfEEEEZZNS1_33reduce_by_key_impl_wrapped_configILNS1_25lookback_scan_determinismE1ES3_S9_NS6_6detail15normal_iteratorINS6_10device_ptrIfEEEESG_SG_SG_PmS8_NS6_8equal_toIfEEEE10hipError_tPvRmT2_T3_mT4_T5_T6_T7_T8_P12ihipStream_tbENKUlT_T0_E_clISt17integral_constantIbLb1EES10_IbLb0EEEEDaSW_SX_EUlSW_E_NS1_11comp_targetILNS1_3genE9ELNS1_11target_archE1100ELNS1_3gpuE3ELNS1_3repE0EEENS1_30default_config_static_selectorELNS0_4arch9wavefront6targetE0EEEvT1_,"axG",@progbits,_ZN7rocprim17ROCPRIM_400000_NS6detail17trampoline_kernelINS0_14default_configENS1_29reduce_by_key_config_selectorIffN6thrust23THRUST_200600_302600_NS4plusIfEEEEZZNS1_33reduce_by_key_impl_wrapped_configILNS1_25lookback_scan_determinismE1ES3_S9_NS6_6detail15normal_iteratorINS6_10device_ptrIfEEEESG_SG_SG_PmS8_NS6_8equal_toIfEEEE10hipError_tPvRmT2_T3_mT4_T5_T6_T7_T8_P12ihipStream_tbENKUlT_T0_E_clISt17integral_constantIbLb1EES10_IbLb0EEEEDaSW_SX_EUlSW_E_NS1_11comp_targetILNS1_3genE9ELNS1_11target_archE1100ELNS1_3gpuE3ELNS1_3repE0EEENS1_30default_config_static_selectorELNS0_4arch9wavefront6targetE0EEEvT1_,comdat
.Lfunc_end116:
	.size	_ZN7rocprim17ROCPRIM_400000_NS6detail17trampoline_kernelINS0_14default_configENS1_29reduce_by_key_config_selectorIffN6thrust23THRUST_200600_302600_NS4plusIfEEEEZZNS1_33reduce_by_key_impl_wrapped_configILNS1_25lookback_scan_determinismE1ES3_S9_NS6_6detail15normal_iteratorINS6_10device_ptrIfEEEESG_SG_SG_PmS8_NS6_8equal_toIfEEEE10hipError_tPvRmT2_T3_mT4_T5_T6_T7_T8_P12ihipStream_tbENKUlT_T0_E_clISt17integral_constantIbLb1EES10_IbLb0EEEEDaSW_SX_EUlSW_E_NS1_11comp_targetILNS1_3genE9ELNS1_11target_archE1100ELNS1_3gpuE3ELNS1_3repE0EEENS1_30default_config_static_selectorELNS0_4arch9wavefront6targetE0EEEvT1_, .Lfunc_end116-_ZN7rocprim17ROCPRIM_400000_NS6detail17trampoline_kernelINS0_14default_configENS1_29reduce_by_key_config_selectorIffN6thrust23THRUST_200600_302600_NS4plusIfEEEEZZNS1_33reduce_by_key_impl_wrapped_configILNS1_25lookback_scan_determinismE1ES3_S9_NS6_6detail15normal_iteratorINS6_10device_ptrIfEEEESG_SG_SG_PmS8_NS6_8equal_toIfEEEE10hipError_tPvRmT2_T3_mT4_T5_T6_T7_T8_P12ihipStream_tbENKUlT_T0_E_clISt17integral_constantIbLb1EES10_IbLb0EEEEDaSW_SX_EUlSW_E_NS1_11comp_targetILNS1_3genE9ELNS1_11target_archE1100ELNS1_3gpuE3ELNS1_3repE0EEENS1_30default_config_static_selectorELNS0_4arch9wavefront6targetE0EEEvT1_
                                        ; -- End function
	.section	.AMDGPU.csdata,"",@progbits
; Kernel info:
; codeLenInByte = 19124
; NumSgprs: 50
; NumVgprs: 85
; ScratchSize: 48
; MemoryBound: 0
; FloatMode: 240
; IeeeMode: 1
; LDSByteSize: 15360 bytes/workgroup (compile time only)
; SGPRBlocks: 6
; VGPRBlocks: 10
; NumSGPRsForWavesPerEU: 50
; NumVGPRsForWavesPerEU: 85
; Occupancy: 16
; WaveLimiterHint : 1
; COMPUTE_PGM_RSRC2:SCRATCH_EN: 1
; COMPUTE_PGM_RSRC2:USER_SGPR: 15
; COMPUTE_PGM_RSRC2:TRAP_HANDLER: 0
; COMPUTE_PGM_RSRC2:TGID_X_EN: 1
; COMPUTE_PGM_RSRC2:TGID_Y_EN: 0
; COMPUTE_PGM_RSRC2:TGID_Z_EN: 0
; COMPUTE_PGM_RSRC2:TIDIG_COMP_CNT: 0
	.section	.text._ZN7rocprim17ROCPRIM_400000_NS6detail17trampoline_kernelINS0_14default_configENS1_29reduce_by_key_config_selectorIffN6thrust23THRUST_200600_302600_NS4plusIfEEEEZZNS1_33reduce_by_key_impl_wrapped_configILNS1_25lookback_scan_determinismE1ES3_S9_NS6_6detail15normal_iteratorINS6_10device_ptrIfEEEESG_SG_SG_PmS8_NS6_8equal_toIfEEEE10hipError_tPvRmT2_T3_mT4_T5_T6_T7_T8_P12ihipStream_tbENKUlT_T0_E_clISt17integral_constantIbLb1EES10_IbLb0EEEEDaSW_SX_EUlSW_E_NS1_11comp_targetILNS1_3genE8ELNS1_11target_archE1030ELNS1_3gpuE2ELNS1_3repE0EEENS1_30default_config_static_selectorELNS0_4arch9wavefront6targetE0EEEvT1_,"axG",@progbits,_ZN7rocprim17ROCPRIM_400000_NS6detail17trampoline_kernelINS0_14default_configENS1_29reduce_by_key_config_selectorIffN6thrust23THRUST_200600_302600_NS4plusIfEEEEZZNS1_33reduce_by_key_impl_wrapped_configILNS1_25lookback_scan_determinismE1ES3_S9_NS6_6detail15normal_iteratorINS6_10device_ptrIfEEEESG_SG_SG_PmS8_NS6_8equal_toIfEEEE10hipError_tPvRmT2_T3_mT4_T5_T6_T7_T8_P12ihipStream_tbENKUlT_T0_E_clISt17integral_constantIbLb1EES10_IbLb0EEEEDaSW_SX_EUlSW_E_NS1_11comp_targetILNS1_3genE8ELNS1_11target_archE1030ELNS1_3gpuE2ELNS1_3repE0EEENS1_30default_config_static_selectorELNS0_4arch9wavefront6targetE0EEEvT1_,comdat
	.protected	_ZN7rocprim17ROCPRIM_400000_NS6detail17trampoline_kernelINS0_14default_configENS1_29reduce_by_key_config_selectorIffN6thrust23THRUST_200600_302600_NS4plusIfEEEEZZNS1_33reduce_by_key_impl_wrapped_configILNS1_25lookback_scan_determinismE1ES3_S9_NS6_6detail15normal_iteratorINS6_10device_ptrIfEEEESG_SG_SG_PmS8_NS6_8equal_toIfEEEE10hipError_tPvRmT2_T3_mT4_T5_T6_T7_T8_P12ihipStream_tbENKUlT_T0_E_clISt17integral_constantIbLb1EES10_IbLb0EEEEDaSW_SX_EUlSW_E_NS1_11comp_targetILNS1_3genE8ELNS1_11target_archE1030ELNS1_3gpuE2ELNS1_3repE0EEENS1_30default_config_static_selectorELNS0_4arch9wavefront6targetE0EEEvT1_ ; -- Begin function _ZN7rocprim17ROCPRIM_400000_NS6detail17trampoline_kernelINS0_14default_configENS1_29reduce_by_key_config_selectorIffN6thrust23THRUST_200600_302600_NS4plusIfEEEEZZNS1_33reduce_by_key_impl_wrapped_configILNS1_25lookback_scan_determinismE1ES3_S9_NS6_6detail15normal_iteratorINS6_10device_ptrIfEEEESG_SG_SG_PmS8_NS6_8equal_toIfEEEE10hipError_tPvRmT2_T3_mT4_T5_T6_T7_T8_P12ihipStream_tbENKUlT_T0_E_clISt17integral_constantIbLb1EES10_IbLb0EEEEDaSW_SX_EUlSW_E_NS1_11comp_targetILNS1_3genE8ELNS1_11target_archE1030ELNS1_3gpuE2ELNS1_3repE0EEENS1_30default_config_static_selectorELNS0_4arch9wavefront6targetE0EEEvT1_
	.globl	_ZN7rocprim17ROCPRIM_400000_NS6detail17trampoline_kernelINS0_14default_configENS1_29reduce_by_key_config_selectorIffN6thrust23THRUST_200600_302600_NS4plusIfEEEEZZNS1_33reduce_by_key_impl_wrapped_configILNS1_25lookback_scan_determinismE1ES3_S9_NS6_6detail15normal_iteratorINS6_10device_ptrIfEEEESG_SG_SG_PmS8_NS6_8equal_toIfEEEE10hipError_tPvRmT2_T3_mT4_T5_T6_T7_T8_P12ihipStream_tbENKUlT_T0_E_clISt17integral_constantIbLb1EES10_IbLb0EEEEDaSW_SX_EUlSW_E_NS1_11comp_targetILNS1_3genE8ELNS1_11target_archE1030ELNS1_3gpuE2ELNS1_3repE0EEENS1_30default_config_static_selectorELNS0_4arch9wavefront6targetE0EEEvT1_
	.p2align	8
	.type	_ZN7rocprim17ROCPRIM_400000_NS6detail17trampoline_kernelINS0_14default_configENS1_29reduce_by_key_config_selectorIffN6thrust23THRUST_200600_302600_NS4plusIfEEEEZZNS1_33reduce_by_key_impl_wrapped_configILNS1_25lookback_scan_determinismE1ES3_S9_NS6_6detail15normal_iteratorINS6_10device_ptrIfEEEESG_SG_SG_PmS8_NS6_8equal_toIfEEEE10hipError_tPvRmT2_T3_mT4_T5_T6_T7_T8_P12ihipStream_tbENKUlT_T0_E_clISt17integral_constantIbLb1EES10_IbLb0EEEEDaSW_SX_EUlSW_E_NS1_11comp_targetILNS1_3genE8ELNS1_11target_archE1030ELNS1_3gpuE2ELNS1_3repE0EEENS1_30default_config_static_selectorELNS0_4arch9wavefront6targetE0EEEvT1_,@function
_ZN7rocprim17ROCPRIM_400000_NS6detail17trampoline_kernelINS0_14default_configENS1_29reduce_by_key_config_selectorIffN6thrust23THRUST_200600_302600_NS4plusIfEEEEZZNS1_33reduce_by_key_impl_wrapped_configILNS1_25lookback_scan_determinismE1ES3_S9_NS6_6detail15normal_iteratorINS6_10device_ptrIfEEEESG_SG_SG_PmS8_NS6_8equal_toIfEEEE10hipError_tPvRmT2_T3_mT4_T5_T6_T7_T8_P12ihipStream_tbENKUlT_T0_E_clISt17integral_constantIbLb1EES10_IbLb0EEEEDaSW_SX_EUlSW_E_NS1_11comp_targetILNS1_3genE8ELNS1_11target_archE1030ELNS1_3gpuE2ELNS1_3repE0EEENS1_30default_config_static_selectorELNS0_4arch9wavefront6targetE0EEEvT1_: ; @_ZN7rocprim17ROCPRIM_400000_NS6detail17trampoline_kernelINS0_14default_configENS1_29reduce_by_key_config_selectorIffN6thrust23THRUST_200600_302600_NS4plusIfEEEEZZNS1_33reduce_by_key_impl_wrapped_configILNS1_25lookback_scan_determinismE1ES3_S9_NS6_6detail15normal_iteratorINS6_10device_ptrIfEEEESG_SG_SG_PmS8_NS6_8equal_toIfEEEE10hipError_tPvRmT2_T3_mT4_T5_T6_T7_T8_P12ihipStream_tbENKUlT_T0_E_clISt17integral_constantIbLb1EES10_IbLb0EEEEDaSW_SX_EUlSW_E_NS1_11comp_targetILNS1_3genE8ELNS1_11target_archE1030ELNS1_3gpuE2ELNS1_3repE0EEENS1_30default_config_static_selectorELNS0_4arch9wavefront6targetE0EEEvT1_
; %bb.0:
	.section	.rodata,"a",@progbits
	.p2align	6, 0x0
	.amdhsa_kernel _ZN7rocprim17ROCPRIM_400000_NS6detail17trampoline_kernelINS0_14default_configENS1_29reduce_by_key_config_selectorIffN6thrust23THRUST_200600_302600_NS4plusIfEEEEZZNS1_33reduce_by_key_impl_wrapped_configILNS1_25lookback_scan_determinismE1ES3_S9_NS6_6detail15normal_iteratorINS6_10device_ptrIfEEEESG_SG_SG_PmS8_NS6_8equal_toIfEEEE10hipError_tPvRmT2_T3_mT4_T5_T6_T7_T8_P12ihipStream_tbENKUlT_T0_E_clISt17integral_constantIbLb1EES10_IbLb0EEEEDaSW_SX_EUlSW_E_NS1_11comp_targetILNS1_3genE8ELNS1_11target_archE1030ELNS1_3gpuE2ELNS1_3repE0EEENS1_30default_config_static_selectorELNS0_4arch9wavefront6targetE0EEEvT1_
		.amdhsa_group_segment_fixed_size 0
		.amdhsa_private_segment_fixed_size 0
		.amdhsa_kernarg_size 120
		.amdhsa_user_sgpr_count 15
		.amdhsa_user_sgpr_dispatch_ptr 0
		.amdhsa_user_sgpr_queue_ptr 0
		.amdhsa_user_sgpr_kernarg_segment_ptr 1
		.amdhsa_user_sgpr_dispatch_id 0
		.amdhsa_user_sgpr_private_segment_size 0
		.amdhsa_wavefront_size32 1
		.amdhsa_uses_dynamic_stack 0
		.amdhsa_enable_private_segment 0
		.amdhsa_system_sgpr_workgroup_id_x 1
		.amdhsa_system_sgpr_workgroup_id_y 0
		.amdhsa_system_sgpr_workgroup_id_z 0
		.amdhsa_system_sgpr_workgroup_info 0
		.amdhsa_system_vgpr_workitem_id 0
		.amdhsa_next_free_vgpr 1
		.amdhsa_next_free_sgpr 1
		.amdhsa_reserve_vcc 0
		.amdhsa_float_round_mode_32 0
		.amdhsa_float_round_mode_16_64 0
		.amdhsa_float_denorm_mode_32 3
		.amdhsa_float_denorm_mode_16_64 3
		.amdhsa_dx10_clamp 1
		.amdhsa_ieee_mode 1
		.amdhsa_fp16_overflow 0
		.amdhsa_workgroup_processor_mode 1
		.amdhsa_memory_ordered 1
		.amdhsa_forward_progress 0
		.amdhsa_shared_vgpr_count 0
		.amdhsa_exception_fp_ieee_invalid_op 0
		.amdhsa_exception_fp_denorm_src 0
		.amdhsa_exception_fp_ieee_div_zero 0
		.amdhsa_exception_fp_ieee_overflow 0
		.amdhsa_exception_fp_ieee_underflow 0
		.amdhsa_exception_fp_ieee_inexact 0
		.amdhsa_exception_int_div_zero 0
	.end_amdhsa_kernel
	.section	.text._ZN7rocprim17ROCPRIM_400000_NS6detail17trampoline_kernelINS0_14default_configENS1_29reduce_by_key_config_selectorIffN6thrust23THRUST_200600_302600_NS4plusIfEEEEZZNS1_33reduce_by_key_impl_wrapped_configILNS1_25lookback_scan_determinismE1ES3_S9_NS6_6detail15normal_iteratorINS6_10device_ptrIfEEEESG_SG_SG_PmS8_NS6_8equal_toIfEEEE10hipError_tPvRmT2_T3_mT4_T5_T6_T7_T8_P12ihipStream_tbENKUlT_T0_E_clISt17integral_constantIbLb1EES10_IbLb0EEEEDaSW_SX_EUlSW_E_NS1_11comp_targetILNS1_3genE8ELNS1_11target_archE1030ELNS1_3gpuE2ELNS1_3repE0EEENS1_30default_config_static_selectorELNS0_4arch9wavefront6targetE0EEEvT1_,"axG",@progbits,_ZN7rocprim17ROCPRIM_400000_NS6detail17trampoline_kernelINS0_14default_configENS1_29reduce_by_key_config_selectorIffN6thrust23THRUST_200600_302600_NS4plusIfEEEEZZNS1_33reduce_by_key_impl_wrapped_configILNS1_25lookback_scan_determinismE1ES3_S9_NS6_6detail15normal_iteratorINS6_10device_ptrIfEEEESG_SG_SG_PmS8_NS6_8equal_toIfEEEE10hipError_tPvRmT2_T3_mT4_T5_T6_T7_T8_P12ihipStream_tbENKUlT_T0_E_clISt17integral_constantIbLb1EES10_IbLb0EEEEDaSW_SX_EUlSW_E_NS1_11comp_targetILNS1_3genE8ELNS1_11target_archE1030ELNS1_3gpuE2ELNS1_3repE0EEENS1_30default_config_static_selectorELNS0_4arch9wavefront6targetE0EEEvT1_,comdat
.Lfunc_end117:
	.size	_ZN7rocprim17ROCPRIM_400000_NS6detail17trampoline_kernelINS0_14default_configENS1_29reduce_by_key_config_selectorIffN6thrust23THRUST_200600_302600_NS4plusIfEEEEZZNS1_33reduce_by_key_impl_wrapped_configILNS1_25lookback_scan_determinismE1ES3_S9_NS6_6detail15normal_iteratorINS6_10device_ptrIfEEEESG_SG_SG_PmS8_NS6_8equal_toIfEEEE10hipError_tPvRmT2_T3_mT4_T5_T6_T7_T8_P12ihipStream_tbENKUlT_T0_E_clISt17integral_constantIbLb1EES10_IbLb0EEEEDaSW_SX_EUlSW_E_NS1_11comp_targetILNS1_3genE8ELNS1_11target_archE1030ELNS1_3gpuE2ELNS1_3repE0EEENS1_30default_config_static_selectorELNS0_4arch9wavefront6targetE0EEEvT1_, .Lfunc_end117-_ZN7rocprim17ROCPRIM_400000_NS6detail17trampoline_kernelINS0_14default_configENS1_29reduce_by_key_config_selectorIffN6thrust23THRUST_200600_302600_NS4plusIfEEEEZZNS1_33reduce_by_key_impl_wrapped_configILNS1_25lookback_scan_determinismE1ES3_S9_NS6_6detail15normal_iteratorINS6_10device_ptrIfEEEESG_SG_SG_PmS8_NS6_8equal_toIfEEEE10hipError_tPvRmT2_T3_mT4_T5_T6_T7_T8_P12ihipStream_tbENKUlT_T0_E_clISt17integral_constantIbLb1EES10_IbLb0EEEEDaSW_SX_EUlSW_E_NS1_11comp_targetILNS1_3genE8ELNS1_11target_archE1030ELNS1_3gpuE2ELNS1_3repE0EEENS1_30default_config_static_selectorELNS0_4arch9wavefront6targetE0EEEvT1_
                                        ; -- End function
	.section	.AMDGPU.csdata,"",@progbits
; Kernel info:
; codeLenInByte = 0
; NumSgprs: 0
; NumVgprs: 0
; ScratchSize: 0
; MemoryBound: 0
; FloatMode: 240
; IeeeMode: 1
; LDSByteSize: 0 bytes/workgroup (compile time only)
; SGPRBlocks: 0
; VGPRBlocks: 0
; NumSGPRsForWavesPerEU: 1
; NumVGPRsForWavesPerEU: 1
; Occupancy: 16
; WaveLimiterHint : 0
; COMPUTE_PGM_RSRC2:SCRATCH_EN: 0
; COMPUTE_PGM_RSRC2:USER_SGPR: 15
; COMPUTE_PGM_RSRC2:TRAP_HANDLER: 0
; COMPUTE_PGM_RSRC2:TGID_X_EN: 1
; COMPUTE_PGM_RSRC2:TGID_Y_EN: 0
; COMPUTE_PGM_RSRC2:TGID_Z_EN: 0
; COMPUTE_PGM_RSRC2:TIDIG_COMP_CNT: 0
	.section	.text._ZN7rocprim17ROCPRIM_400000_NS6detail25reduce_by_key_init_kernelINS1_19lookback_scan_stateINS0_5tupleIJjfEEELb0ELb1EEEfNS1_16block_id_wrapperIjLb1EEEEEvT_jbjPmPT0_T1_,"axG",@progbits,_ZN7rocprim17ROCPRIM_400000_NS6detail25reduce_by_key_init_kernelINS1_19lookback_scan_stateINS0_5tupleIJjfEEELb0ELb1EEEfNS1_16block_id_wrapperIjLb1EEEEEvT_jbjPmPT0_T1_,comdat
	.protected	_ZN7rocprim17ROCPRIM_400000_NS6detail25reduce_by_key_init_kernelINS1_19lookback_scan_stateINS0_5tupleIJjfEEELb0ELb1EEEfNS1_16block_id_wrapperIjLb1EEEEEvT_jbjPmPT0_T1_ ; -- Begin function _ZN7rocprim17ROCPRIM_400000_NS6detail25reduce_by_key_init_kernelINS1_19lookback_scan_stateINS0_5tupleIJjfEEELb0ELb1EEEfNS1_16block_id_wrapperIjLb1EEEEEvT_jbjPmPT0_T1_
	.globl	_ZN7rocprim17ROCPRIM_400000_NS6detail25reduce_by_key_init_kernelINS1_19lookback_scan_stateINS0_5tupleIJjfEEELb0ELb1EEEfNS1_16block_id_wrapperIjLb1EEEEEvT_jbjPmPT0_T1_
	.p2align	8
	.type	_ZN7rocprim17ROCPRIM_400000_NS6detail25reduce_by_key_init_kernelINS1_19lookback_scan_stateINS0_5tupleIJjfEEELb0ELb1EEEfNS1_16block_id_wrapperIjLb1EEEEEvT_jbjPmPT0_T1_,@function
_ZN7rocprim17ROCPRIM_400000_NS6detail25reduce_by_key_init_kernelINS1_19lookback_scan_stateINS0_5tupleIJjfEEELb0ELb1EEEfNS1_16block_id_wrapperIjLb1EEEEEvT_jbjPmPT0_T1_: ; @_ZN7rocprim17ROCPRIM_400000_NS6detail25reduce_by_key_init_kernelINS1_19lookback_scan_stateINS0_5tupleIJjfEEELb0ELb1EEEfNS1_16block_id_wrapperIjLb1EEEEEvT_jbjPmPT0_T1_
; %bb.0:
	s_clause 0x3
	s_load_b32 s14, s[0:1], 0x3c
	s_load_b256 s[4:11], s[0:1], 0x8
	s_load_b64 s[12:13], s[0:1], 0x28
	s_load_b64 s[2:3], s[0:1], 0x0
	s_mov_b32 s1, -1
	s_waitcnt lgkmcnt(0)
	s_and_b32 s0, s14, 0xffff
	s_delay_alu instid0(SALU_CYCLE_1) | instskip(SKIP_1) | instid1(SALU_CYCLE_1)
	v_mad_u64_u32 v[1:2], null, s15, s0, v[0:1]
	s_and_b32 s0, s5, 1
	s_cmp_eq_u32 s0, 0
	s_cbranch_scc0 .LBB118_8
; %bb.1:
	s_cmp_lt_u32 s6, s4
	s_mov_b32 s5, exec_lo
	s_cselect_b32 s0, s6, 0
	s_delay_alu instid0(VALU_DEP_1) | instid1(SALU_CYCLE_1)
	v_cmpx_eq_u32_e64 s0, v1
	s_cbranch_execz .LBB118_7
; %bb.2:
	s_add_i32 s0, s6, 32
	s_mov_b32 s1, 0
	s_delay_alu instid0(SALU_CYCLE_1) | instskip(SKIP_3) | instid1(SALU_CYCLE_1)
	s_lshl_b64 s[6:7], s[0:1], 4
	s_mov_b32 s0, exec_lo
	s_add_u32 s6, s2, s6
	s_addc_u32 s7, s3, s7
	v_dual_mov_b32 v2, s6 :: v_dual_mov_b32 v3, s7
	;;#ASMSTART
	global_load_dwordx4 v[2:5], v[2:3] off glc	
s_waitcnt vmcnt(0)
	;;#ASMEND
	v_dual_mov_b32 v11, 0 :: v_dual_and_b32 v10, 0xff, v4
	s_delay_alu instid0(VALU_DEP_2) | instskip(SKIP_2) | instid1(VALU_DEP_4)
	v_lshrrev_b64 v[8:9], 8, v[2:3]
	v_lshrrev_b64 v[6:7], 16, v[2:3]
	;; [unrolled: 1-line block ×3, first 2 shown]
	v_cmpx_eq_u64_e32 0, v[10:11]
	s_cbranch_execz .LBB118_6
; %bb.3:
	v_dual_mov_b32 v6, s6 :: v_dual_mov_b32 v7, s7
.LBB118_4:                              ; =>This Inner Loop Header: Depth=1
	;;#ASMSTART
	global_load_dwordx4 v[2:5], v[6:7] off glc	
s_waitcnt vmcnt(0)
	;;#ASMEND
	s_delay_alu instid0(VALU_DEP_3) | instskip(NEXT) | instid1(VALU_DEP_1)
	v_and_b32_e32 v10, 0xff, v4
	v_cmp_ne_u64_e32 vcc_lo, 0, v[10:11]
	s_or_b32 s1, vcc_lo, s1
	s_delay_alu instid0(SALU_CYCLE_1)
	s_and_not1_b32 exec_lo, exec_lo, s1
	s_cbranch_execnz .LBB118_4
; %bb.5:
	s_or_b32 exec_lo, exec_lo, s1
	v_lshrrev_b64 v[4:5], 24, v[2:3]
	v_lshrrev_b64 v[6:7], 16, v[2:3]
	;; [unrolled: 1-line block ×3, first 2 shown]
.LBB118_6:
	s_or_b32 exec_lo, exec_lo, s0
	s_delay_alu instid0(VALU_DEP_1) | instskip(NEXT) | instid1(VALU_DEP_3)
	v_dual_mov_b32 v0, 0 :: v_dual_lshlrev_b32 v5, 8, v8
	v_lshlrev_b32_e32 v6, 16, v6
	v_lshlrev_b32_e32 v4, 24, v4
	global_load_b64 v[9:10], v0, s[8:9]
	v_perm_b32 v2, v5, v2, 0xc0c0500
	s_delay_alu instid0(VALU_DEP_1) | instskip(SKIP_1) | instid1(VALU_DEP_1)
	v_and_or_b32 v2, 0xff0000, v6, v2
	s_waitcnt vmcnt(0)
	v_add_co_u32 v2, vcc_lo, v2, v9
	v_add_co_ci_u32_e32 v5, vcc_lo, 0, v10, vcc_lo
	s_delay_alu instid0(VALU_DEP_2) | instskip(NEXT) | instid1(VALU_DEP_2)
	v_add_co_u32 v4, vcc_lo, v2, v4
	v_add_co_ci_u32_e32 v5, vcc_lo, 0, v5, vcc_lo
	s_clause 0x1
	global_store_b64 v0, v[4:5], s[8:9]
	global_store_b32 v0, v3, s[10:11]
.LBB118_7:
	s_or_b32 exec_lo, exec_lo, s5
	s_mov_b32 s1, 0
.LBB118_8:
	s_delay_alu instid0(VALU_DEP_1)
	v_cmp_eq_u32_e64 s0, 0, v1
	s_and_not1_b32 vcc_lo, exec_lo, s1
	s_cbranch_vccnz .LBB118_12
; %bb.9:
	s_cmp_lg_u64 s[8:9], 0
	s_cselect_b32 s1, -1, 0
	s_delay_alu instid0(SALU_CYCLE_1) | instskip(NEXT) | instid1(SALU_CYCLE_1)
	s_and_b32 s1, s1, s0
	s_and_saveexec_b32 s0, s1
	s_cbranch_execz .LBB118_11
; %bb.10:
	v_mov_b32_e32 v2, 0
	s_delay_alu instid0(VALU_DEP_1)
	v_mov_b32_e32 v3, v2
	global_store_b64 v2, v[2:3], s[8:9]
.LBB118_11:
	s_or_b32 exec_lo, exec_lo, s0
.LBB118_12:
	s_delay_alu instid0(SALU_CYCLE_1)
	s_mov_b32 s0, exec_lo
	v_cmpx_eq_u32_e32 0, v1
	s_cbranch_execz .LBB118_14
; %bb.13:
	v_mov_b32_e32 v0, 0
	global_store_b32 v0, v0, s[12:13]
.LBB118_14:
	s_or_b32 exec_lo, exec_lo, s0
	s_delay_alu instid0(SALU_CYCLE_1)
	s_mov_b32 s0, exec_lo
	v_cmpx_gt_u32_e64 s4, v1
	s_cbranch_execz .LBB118_16
; %bb.15:
	v_dual_mov_b32 v3, 0 :: v_dual_add_nc_u32 v2, 32, v1
	s_delay_alu instid0(VALU_DEP_1) | instskip(SKIP_2) | instid1(VALU_DEP_3)
	v_lshlrev_b64 v[5:6], 4, v[2:3]
	v_mov_b32_e32 v2, v3
	v_mov_b32_e32 v4, v3
	v_add_co_u32 v7, vcc_lo, s2, v5
	s_delay_alu instid0(VALU_DEP_4)
	v_add_co_ci_u32_e32 v8, vcc_lo, s3, v6, vcc_lo
	v_mov_b32_e32 v5, v3
	global_store_b128 v[7:8], v[2:5], off
.LBB118_16:
	s_or_b32 exec_lo, exec_lo, s0
	s_delay_alu instid0(SALU_CYCLE_1)
	s_mov_b32 s0, exec_lo
	v_cmpx_gt_u32_e32 32, v1
	s_cbranch_execz .LBB118_18
; %bb.17:
	v_dual_mov_b32 v2, 0 :: v_dual_mov_b32 v3, 0xff
	s_delay_alu instid0(VALU_DEP_1) | instskip(SKIP_1) | instid1(VALU_DEP_2)
	v_lshlrev_b64 v[4:5], 4, v[1:2]
	v_mov_b32_e32 v1, v2
	v_add_co_u32 v6, vcc_lo, s2, v4
	s_delay_alu instid0(VALU_DEP_3)
	v_add_co_ci_u32_e32 v7, vcc_lo, s3, v5, vcc_lo
	v_mov_b32_e32 v4, v2
	global_store_b128 v[6:7], v[1:4], off
.LBB118_18:
	s_nop 0
	s_sendmsg sendmsg(MSG_DEALLOC_VGPRS)
	s_endpgm
	.section	.rodata,"a",@progbits
	.p2align	6, 0x0
	.amdhsa_kernel _ZN7rocprim17ROCPRIM_400000_NS6detail25reduce_by_key_init_kernelINS1_19lookback_scan_stateINS0_5tupleIJjfEEELb0ELb1EEEfNS1_16block_id_wrapperIjLb1EEEEEvT_jbjPmPT0_T1_
		.amdhsa_group_segment_fixed_size 0
		.amdhsa_private_segment_fixed_size 0
		.amdhsa_kernarg_size 304
		.amdhsa_user_sgpr_count 15
		.amdhsa_user_sgpr_dispatch_ptr 0
		.amdhsa_user_sgpr_queue_ptr 0
		.amdhsa_user_sgpr_kernarg_segment_ptr 1
		.amdhsa_user_sgpr_dispatch_id 0
		.amdhsa_user_sgpr_private_segment_size 0
		.amdhsa_wavefront_size32 1
		.amdhsa_uses_dynamic_stack 0
		.amdhsa_enable_private_segment 0
		.amdhsa_system_sgpr_workgroup_id_x 1
		.amdhsa_system_sgpr_workgroup_id_y 0
		.amdhsa_system_sgpr_workgroup_id_z 0
		.amdhsa_system_sgpr_workgroup_info 0
		.amdhsa_system_vgpr_workitem_id 0
		.amdhsa_next_free_vgpr 12
		.amdhsa_next_free_sgpr 16
		.amdhsa_reserve_vcc 1
		.amdhsa_float_round_mode_32 0
		.amdhsa_float_round_mode_16_64 0
		.amdhsa_float_denorm_mode_32 3
		.amdhsa_float_denorm_mode_16_64 3
		.amdhsa_dx10_clamp 1
		.amdhsa_ieee_mode 1
		.amdhsa_fp16_overflow 0
		.amdhsa_workgroup_processor_mode 1
		.amdhsa_memory_ordered 1
		.amdhsa_forward_progress 0
		.amdhsa_shared_vgpr_count 0
		.amdhsa_exception_fp_ieee_invalid_op 0
		.amdhsa_exception_fp_denorm_src 0
		.amdhsa_exception_fp_ieee_div_zero 0
		.amdhsa_exception_fp_ieee_overflow 0
		.amdhsa_exception_fp_ieee_underflow 0
		.amdhsa_exception_fp_ieee_inexact 0
		.amdhsa_exception_int_div_zero 0
	.end_amdhsa_kernel
	.section	.text._ZN7rocprim17ROCPRIM_400000_NS6detail25reduce_by_key_init_kernelINS1_19lookback_scan_stateINS0_5tupleIJjfEEELb0ELb1EEEfNS1_16block_id_wrapperIjLb1EEEEEvT_jbjPmPT0_T1_,"axG",@progbits,_ZN7rocprim17ROCPRIM_400000_NS6detail25reduce_by_key_init_kernelINS1_19lookback_scan_stateINS0_5tupleIJjfEEELb0ELb1EEEfNS1_16block_id_wrapperIjLb1EEEEEvT_jbjPmPT0_T1_,comdat
.Lfunc_end118:
	.size	_ZN7rocprim17ROCPRIM_400000_NS6detail25reduce_by_key_init_kernelINS1_19lookback_scan_stateINS0_5tupleIJjfEEELb0ELb1EEEfNS1_16block_id_wrapperIjLb1EEEEEvT_jbjPmPT0_T1_, .Lfunc_end118-_ZN7rocprim17ROCPRIM_400000_NS6detail25reduce_by_key_init_kernelINS1_19lookback_scan_stateINS0_5tupleIJjfEEELb0ELb1EEEfNS1_16block_id_wrapperIjLb1EEEEEvT_jbjPmPT0_T1_
                                        ; -- End function
	.section	.AMDGPU.csdata,"",@progbits
; Kernel info:
; codeLenInByte = 720
; NumSgprs: 18
; NumVgprs: 12
; ScratchSize: 0
; MemoryBound: 0
; FloatMode: 240
; IeeeMode: 1
; LDSByteSize: 0 bytes/workgroup (compile time only)
; SGPRBlocks: 2
; VGPRBlocks: 1
; NumSGPRsForWavesPerEU: 18
; NumVGPRsForWavesPerEU: 12
; Occupancy: 16
; WaveLimiterHint : 0
; COMPUTE_PGM_RSRC2:SCRATCH_EN: 0
; COMPUTE_PGM_RSRC2:USER_SGPR: 15
; COMPUTE_PGM_RSRC2:TRAP_HANDLER: 0
; COMPUTE_PGM_RSRC2:TGID_X_EN: 1
; COMPUTE_PGM_RSRC2:TGID_Y_EN: 0
; COMPUTE_PGM_RSRC2:TGID_Z_EN: 0
; COMPUTE_PGM_RSRC2:TIDIG_COMP_CNT: 0
	.section	.text._ZN7rocprim17ROCPRIM_400000_NS6detail17trampoline_kernelINS0_14default_configENS1_29reduce_by_key_config_selectorIffN6thrust23THRUST_200600_302600_NS4plusIfEEEEZZNS1_33reduce_by_key_impl_wrapped_configILNS1_25lookback_scan_determinismE1ES3_S9_NS6_6detail15normal_iteratorINS6_10device_ptrIfEEEESG_SG_SG_PmS8_NS6_8equal_toIfEEEE10hipError_tPvRmT2_T3_mT4_T5_T6_T7_T8_P12ihipStream_tbENKUlT_T0_E_clISt17integral_constantIbLb0EES10_IbLb1EEEEDaSW_SX_EUlSW_E_NS1_11comp_targetILNS1_3genE0ELNS1_11target_archE4294967295ELNS1_3gpuE0ELNS1_3repE0EEENS1_30default_config_static_selectorELNS0_4arch9wavefront6targetE0EEEvT1_,"axG",@progbits,_ZN7rocprim17ROCPRIM_400000_NS6detail17trampoline_kernelINS0_14default_configENS1_29reduce_by_key_config_selectorIffN6thrust23THRUST_200600_302600_NS4plusIfEEEEZZNS1_33reduce_by_key_impl_wrapped_configILNS1_25lookback_scan_determinismE1ES3_S9_NS6_6detail15normal_iteratorINS6_10device_ptrIfEEEESG_SG_SG_PmS8_NS6_8equal_toIfEEEE10hipError_tPvRmT2_T3_mT4_T5_T6_T7_T8_P12ihipStream_tbENKUlT_T0_E_clISt17integral_constantIbLb0EES10_IbLb1EEEEDaSW_SX_EUlSW_E_NS1_11comp_targetILNS1_3genE0ELNS1_11target_archE4294967295ELNS1_3gpuE0ELNS1_3repE0EEENS1_30default_config_static_selectorELNS0_4arch9wavefront6targetE0EEEvT1_,comdat
	.protected	_ZN7rocprim17ROCPRIM_400000_NS6detail17trampoline_kernelINS0_14default_configENS1_29reduce_by_key_config_selectorIffN6thrust23THRUST_200600_302600_NS4plusIfEEEEZZNS1_33reduce_by_key_impl_wrapped_configILNS1_25lookback_scan_determinismE1ES3_S9_NS6_6detail15normal_iteratorINS6_10device_ptrIfEEEESG_SG_SG_PmS8_NS6_8equal_toIfEEEE10hipError_tPvRmT2_T3_mT4_T5_T6_T7_T8_P12ihipStream_tbENKUlT_T0_E_clISt17integral_constantIbLb0EES10_IbLb1EEEEDaSW_SX_EUlSW_E_NS1_11comp_targetILNS1_3genE0ELNS1_11target_archE4294967295ELNS1_3gpuE0ELNS1_3repE0EEENS1_30default_config_static_selectorELNS0_4arch9wavefront6targetE0EEEvT1_ ; -- Begin function _ZN7rocprim17ROCPRIM_400000_NS6detail17trampoline_kernelINS0_14default_configENS1_29reduce_by_key_config_selectorIffN6thrust23THRUST_200600_302600_NS4plusIfEEEEZZNS1_33reduce_by_key_impl_wrapped_configILNS1_25lookback_scan_determinismE1ES3_S9_NS6_6detail15normal_iteratorINS6_10device_ptrIfEEEESG_SG_SG_PmS8_NS6_8equal_toIfEEEE10hipError_tPvRmT2_T3_mT4_T5_T6_T7_T8_P12ihipStream_tbENKUlT_T0_E_clISt17integral_constantIbLb0EES10_IbLb1EEEEDaSW_SX_EUlSW_E_NS1_11comp_targetILNS1_3genE0ELNS1_11target_archE4294967295ELNS1_3gpuE0ELNS1_3repE0EEENS1_30default_config_static_selectorELNS0_4arch9wavefront6targetE0EEEvT1_
	.globl	_ZN7rocprim17ROCPRIM_400000_NS6detail17trampoline_kernelINS0_14default_configENS1_29reduce_by_key_config_selectorIffN6thrust23THRUST_200600_302600_NS4plusIfEEEEZZNS1_33reduce_by_key_impl_wrapped_configILNS1_25lookback_scan_determinismE1ES3_S9_NS6_6detail15normal_iteratorINS6_10device_ptrIfEEEESG_SG_SG_PmS8_NS6_8equal_toIfEEEE10hipError_tPvRmT2_T3_mT4_T5_T6_T7_T8_P12ihipStream_tbENKUlT_T0_E_clISt17integral_constantIbLb0EES10_IbLb1EEEEDaSW_SX_EUlSW_E_NS1_11comp_targetILNS1_3genE0ELNS1_11target_archE4294967295ELNS1_3gpuE0ELNS1_3repE0EEENS1_30default_config_static_selectorELNS0_4arch9wavefront6targetE0EEEvT1_
	.p2align	8
	.type	_ZN7rocprim17ROCPRIM_400000_NS6detail17trampoline_kernelINS0_14default_configENS1_29reduce_by_key_config_selectorIffN6thrust23THRUST_200600_302600_NS4plusIfEEEEZZNS1_33reduce_by_key_impl_wrapped_configILNS1_25lookback_scan_determinismE1ES3_S9_NS6_6detail15normal_iteratorINS6_10device_ptrIfEEEESG_SG_SG_PmS8_NS6_8equal_toIfEEEE10hipError_tPvRmT2_T3_mT4_T5_T6_T7_T8_P12ihipStream_tbENKUlT_T0_E_clISt17integral_constantIbLb0EES10_IbLb1EEEEDaSW_SX_EUlSW_E_NS1_11comp_targetILNS1_3genE0ELNS1_11target_archE4294967295ELNS1_3gpuE0ELNS1_3repE0EEENS1_30default_config_static_selectorELNS0_4arch9wavefront6targetE0EEEvT1_,@function
_ZN7rocprim17ROCPRIM_400000_NS6detail17trampoline_kernelINS0_14default_configENS1_29reduce_by_key_config_selectorIffN6thrust23THRUST_200600_302600_NS4plusIfEEEEZZNS1_33reduce_by_key_impl_wrapped_configILNS1_25lookback_scan_determinismE1ES3_S9_NS6_6detail15normal_iteratorINS6_10device_ptrIfEEEESG_SG_SG_PmS8_NS6_8equal_toIfEEEE10hipError_tPvRmT2_T3_mT4_T5_T6_T7_T8_P12ihipStream_tbENKUlT_T0_E_clISt17integral_constantIbLb0EES10_IbLb1EEEEDaSW_SX_EUlSW_E_NS1_11comp_targetILNS1_3genE0ELNS1_11target_archE4294967295ELNS1_3gpuE0ELNS1_3repE0EEENS1_30default_config_static_selectorELNS0_4arch9wavefront6targetE0EEEvT1_: ; @_ZN7rocprim17ROCPRIM_400000_NS6detail17trampoline_kernelINS0_14default_configENS1_29reduce_by_key_config_selectorIffN6thrust23THRUST_200600_302600_NS4plusIfEEEEZZNS1_33reduce_by_key_impl_wrapped_configILNS1_25lookback_scan_determinismE1ES3_S9_NS6_6detail15normal_iteratorINS6_10device_ptrIfEEEESG_SG_SG_PmS8_NS6_8equal_toIfEEEE10hipError_tPvRmT2_T3_mT4_T5_T6_T7_T8_P12ihipStream_tbENKUlT_T0_E_clISt17integral_constantIbLb0EES10_IbLb1EEEEDaSW_SX_EUlSW_E_NS1_11comp_targetILNS1_3genE0ELNS1_11target_archE4294967295ELNS1_3gpuE0ELNS1_3repE0EEENS1_30default_config_static_selectorELNS0_4arch9wavefront6targetE0EEEvT1_
; %bb.0:
	.section	.rodata,"a",@progbits
	.p2align	6, 0x0
	.amdhsa_kernel _ZN7rocprim17ROCPRIM_400000_NS6detail17trampoline_kernelINS0_14default_configENS1_29reduce_by_key_config_selectorIffN6thrust23THRUST_200600_302600_NS4plusIfEEEEZZNS1_33reduce_by_key_impl_wrapped_configILNS1_25lookback_scan_determinismE1ES3_S9_NS6_6detail15normal_iteratorINS6_10device_ptrIfEEEESG_SG_SG_PmS8_NS6_8equal_toIfEEEE10hipError_tPvRmT2_T3_mT4_T5_T6_T7_T8_P12ihipStream_tbENKUlT_T0_E_clISt17integral_constantIbLb0EES10_IbLb1EEEEDaSW_SX_EUlSW_E_NS1_11comp_targetILNS1_3genE0ELNS1_11target_archE4294967295ELNS1_3gpuE0ELNS1_3repE0EEENS1_30default_config_static_selectorELNS0_4arch9wavefront6targetE0EEEvT1_
		.amdhsa_group_segment_fixed_size 0
		.amdhsa_private_segment_fixed_size 0
		.amdhsa_kernarg_size 120
		.amdhsa_user_sgpr_count 15
		.amdhsa_user_sgpr_dispatch_ptr 0
		.amdhsa_user_sgpr_queue_ptr 0
		.amdhsa_user_sgpr_kernarg_segment_ptr 1
		.amdhsa_user_sgpr_dispatch_id 0
		.amdhsa_user_sgpr_private_segment_size 0
		.amdhsa_wavefront_size32 1
		.amdhsa_uses_dynamic_stack 0
		.amdhsa_enable_private_segment 0
		.amdhsa_system_sgpr_workgroup_id_x 1
		.amdhsa_system_sgpr_workgroup_id_y 0
		.amdhsa_system_sgpr_workgroup_id_z 0
		.amdhsa_system_sgpr_workgroup_info 0
		.amdhsa_system_vgpr_workitem_id 0
		.amdhsa_next_free_vgpr 1
		.amdhsa_next_free_sgpr 1
		.amdhsa_reserve_vcc 0
		.amdhsa_float_round_mode_32 0
		.amdhsa_float_round_mode_16_64 0
		.amdhsa_float_denorm_mode_32 3
		.amdhsa_float_denorm_mode_16_64 3
		.amdhsa_dx10_clamp 1
		.amdhsa_ieee_mode 1
		.amdhsa_fp16_overflow 0
		.amdhsa_workgroup_processor_mode 1
		.amdhsa_memory_ordered 1
		.amdhsa_forward_progress 0
		.amdhsa_shared_vgpr_count 0
		.amdhsa_exception_fp_ieee_invalid_op 0
		.amdhsa_exception_fp_denorm_src 0
		.amdhsa_exception_fp_ieee_div_zero 0
		.amdhsa_exception_fp_ieee_overflow 0
		.amdhsa_exception_fp_ieee_underflow 0
		.amdhsa_exception_fp_ieee_inexact 0
		.amdhsa_exception_int_div_zero 0
	.end_amdhsa_kernel
	.section	.text._ZN7rocprim17ROCPRIM_400000_NS6detail17trampoline_kernelINS0_14default_configENS1_29reduce_by_key_config_selectorIffN6thrust23THRUST_200600_302600_NS4plusIfEEEEZZNS1_33reduce_by_key_impl_wrapped_configILNS1_25lookback_scan_determinismE1ES3_S9_NS6_6detail15normal_iteratorINS6_10device_ptrIfEEEESG_SG_SG_PmS8_NS6_8equal_toIfEEEE10hipError_tPvRmT2_T3_mT4_T5_T6_T7_T8_P12ihipStream_tbENKUlT_T0_E_clISt17integral_constantIbLb0EES10_IbLb1EEEEDaSW_SX_EUlSW_E_NS1_11comp_targetILNS1_3genE0ELNS1_11target_archE4294967295ELNS1_3gpuE0ELNS1_3repE0EEENS1_30default_config_static_selectorELNS0_4arch9wavefront6targetE0EEEvT1_,"axG",@progbits,_ZN7rocprim17ROCPRIM_400000_NS6detail17trampoline_kernelINS0_14default_configENS1_29reduce_by_key_config_selectorIffN6thrust23THRUST_200600_302600_NS4plusIfEEEEZZNS1_33reduce_by_key_impl_wrapped_configILNS1_25lookback_scan_determinismE1ES3_S9_NS6_6detail15normal_iteratorINS6_10device_ptrIfEEEESG_SG_SG_PmS8_NS6_8equal_toIfEEEE10hipError_tPvRmT2_T3_mT4_T5_T6_T7_T8_P12ihipStream_tbENKUlT_T0_E_clISt17integral_constantIbLb0EES10_IbLb1EEEEDaSW_SX_EUlSW_E_NS1_11comp_targetILNS1_3genE0ELNS1_11target_archE4294967295ELNS1_3gpuE0ELNS1_3repE0EEENS1_30default_config_static_selectorELNS0_4arch9wavefront6targetE0EEEvT1_,comdat
.Lfunc_end119:
	.size	_ZN7rocprim17ROCPRIM_400000_NS6detail17trampoline_kernelINS0_14default_configENS1_29reduce_by_key_config_selectorIffN6thrust23THRUST_200600_302600_NS4plusIfEEEEZZNS1_33reduce_by_key_impl_wrapped_configILNS1_25lookback_scan_determinismE1ES3_S9_NS6_6detail15normal_iteratorINS6_10device_ptrIfEEEESG_SG_SG_PmS8_NS6_8equal_toIfEEEE10hipError_tPvRmT2_T3_mT4_T5_T6_T7_T8_P12ihipStream_tbENKUlT_T0_E_clISt17integral_constantIbLb0EES10_IbLb1EEEEDaSW_SX_EUlSW_E_NS1_11comp_targetILNS1_3genE0ELNS1_11target_archE4294967295ELNS1_3gpuE0ELNS1_3repE0EEENS1_30default_config_static_selectorELNS0_4arch9wavefront6targetE0EEEvT1_, .Lfunc_end119-_ZN7rocprim17ROCPRIM_400000_NS6detail17trampoline_kernelINS0_14default_configENS1_29reduce_by_key_config_selectorIffN6thrust23THRUST_200600_302600_NS4plusIfEEEEZZNS1_33reduce_by_key_impl_wrapped_configILNS1_25lookback_scan_determinismE1ES3_S9_NS6_6detail15normal_iteratorINS6_10device_ptrIfEEEESG_SG_SG_PmS8_NS6_8equal_toIfEEEE10hipError_tPvRmT2_T3_mT4_T5_T6_T7_T8_P12ihipStream_tbENKUlT_T0_E_clISt17integral_constantIbLb0EES10_IbLb1EEEEDaSW_SX_EUlSW_E_NS1_11comp_targetILNS1_3genE0ELNS1_11target_archE4294967295ELNS1_3gpuE0ELNS1_3repE0EEENS1_30default_config_static_selectorELNS0_4arch9wavefront6targetE0EEEvT1_
                                        ; -- End function
	.section	.AMDGPU.csdata,"",@progbits
; Kernel info:
; codeLenInByte = 0
; NumSgprs: 0
; NumVgprs: 0
; ScratchSize: 0
; MemoryBound: 0
; FloatMode: 240
; IeeeMode: 1
; LDSByteSize: 0 bytes/workgroup (compile time only)
; SGPRBlocks: 0
; VGPRBlocks: 0
; NumSGPRsForWavesPerEU: 1
; NumVGPRsForWavesPerEU: 1
; Occupancy: 16
; WaveLimiterHint : 0
; COMPUTE_PGM_RSRC2:SCRATCH_EN: 0
; COMPUTE_PGM_RSRC2:USER_SGPR: 15
; COMPUTE_PGM_RSRC2:TRAP_HANDLER: 0
; COMPUTE_PGM_RSRC2:TGID_X_EN: 1
; COMPUTE_PGM_RSRC2:TGID_Y_EN: 0
; COMPUTE_PGM_RSRC2:TGID_Z_EN: 0
; COMPUTE_PGM_RSRC2:TIDIG_COMP_CNT: 0
	.section	.text._ZN7rocprim17ROCPRIM_400000_NS6detail17trampoline_kernelINS0_14default_configENS1_29reduce_by_key_config_selectorIffN6thrust23THRUST_200600_302600_NS4plusIfEEEEZZNS1_33reduce_by_key_impl_wrapped_configILNS1_25lookback_scan_determinismE1ES3_S9_NS6_6detail15normal_iteratorINS6_10device_ptrIfEEEESG_SG_SG_PmS8_NS6_8equal_toIfEEEE10hipError_tPvRmT2_T3_mT4_T5_T6_T7_T8_P12ihipStream_tbENKUlT_T0_E_clISt17integral_constantIbLb0EES10_IbLb1EEEEDaSW_SX_EUlSW_E_NS1_11comp_targetILNS1_3genE5ELNS1_11target_archE942ELNS1_3gpuE9ELNS1_3repE0EEENS1_30default_config_static_selectorELNS0_4arch9wavefront6targetE0EEEvT1_,"axG",@progbits,_ZN7rocprim17ROCPRIM_400000_NS6detail17trampoline_kernelINS0_14default_configENS1_29reduce_by_key_config_selectorIffN6thrust23THRUST_200600_302600_NS4plusIfEEEEZZNS1_33reduce_by_key_impl_wrapped_configILNS1_25lookback_scan_determinismE1ES3_S9_NS6_6detail15normal_iteratorINS6_10device_ptrIfEEEESG_SG_SG_PmS8_NS6_8equal_toIfEEEE10hipError_tPvRmT2_T3_mT4_T5_T6_T7_T8_P12ihipStream_tbENKUlT_T0_E_clISt17integral_constantIbLb0EES10_IbLb1EEEEDaSW_SX_EUlSW_E_NS1_11comp_targetILNS1_3genE5ELNS1_11target_archE942ELNS1_3gpuE9ELNS1_3repE0EEENS1_30default_config_static_selectorELNS0_4arch9wavefront6targetE0EEEvT1_,comdat
	.protected	_ZN7rocprim17ROCPRIM_400000_NS6detail17trampoline_kernelINS0_14default_configENS1_29reduce_by_key_config_selectorIffN6thrust23THRUST_200600_302600_NS4plusIfEEEEZZNS1_33reduce_by_key_impl_wrapped_configILNS1_25lookback_scan_determinismE1ES3_S9_NS6_6detail15normal_iteratorINS6_10device_ptrIfEEEESG_SG_SG_PmS8_NS6_8equal_toIfEEEE10hipError_tPvRmT2_T3_mT4_T5_T6_T7_T8_P12ihipStream_tbENKUlT_T0_E_clISt17integral_constantIbLb0EES10_IbLb1EEEEDaSW_SX_EUlSW_E_NS1_11comp_targetILNS1_3genE5ELNS1_11target_archE942ELNS1_3gpuE9ELNS1_3repE0EEENS1_30default_config_static_selectorELNS0_4arch9wavefront6targetE0EEEvT1_ ; -- Begin function _ZN7rocprim17ROCPRIM_400000_NS6detail17trampoline_kernelINS0_14default_configENS1_29reduce_by_key_config_selectorIffN6thrust23THRUST_200600_302600_NS4plusIfEEEEZZNS1_33reduce_by_key_impl_wrapped_configILNS1_25lookback_scan_determinismE1ES3_S9_NS6_6detail15normal_iteratorINS6_10device_ptrIfEEEESG_SG_SG_PmS8_NS6_8equal_toIfEEEE10hipError_tPvRmT2_T3_mT4_T5_T6_T7_T8_P12ihipStream_tbENKUlT_T0_E_clISt17integral_constantIbLb0EES10_IbLb1EEEEDaSW_SX_EUlSW_E_NS1_11comp_targetILNS1_3genE5ELNS1_11target_archE942ELNS1_3gpuE9ELNS1_3repE0EEENS1_30default_config_static_selectorELNS0_4arch9wavefront6targetE0EEEvT1_
	.globl	_ZN7rocprim17ROCPRIM_400000_NS6detail17trampoline_kernelINS0_14default_configENS1_29reduce_by_key_config_selectorIffN6thrust23THRUST_200600_302600_NS4plusIfEEEEZZNS1_33reduce_by_key_impl_wrapped_configILNS1_25lookback_scan_determinismE1ES3_S9_NS6_6detail15normal_iteratorINS6_10device_ptrIfEEEESG_SG_SG_PmS8_NS6_8equal_toIfEEEE10hipError_tPvRmT2_T3_mT4_T5_T6_T7_T8_P12ihipStream_tbENKUlT_T0_E_clISt17integral_constantIbLb0EES10_IbLb1EEEEDaSW_SX_EUlSW_E_NS1_11comp_targetILNS1_3genE5ELNS1_11target_archE942ELNS1_3gpuE9ELNS1_3repE0EEENS1_30default_config_static_selectorELNS0_4arch9wavefront6targetE0EEEvT1_
	.p2align	8
	.type	_ZN7rocprim17ROCPRIM_400000_NS6detail17trampoline_kernelINS0_14default_configENS1_29reduce_by_key_config_selectorIffN6thrust23THRUST_200600_302600_NS4plusIfEEEEZZNS1_33reduce_by_key_impl_wrapped_configILNS1_25lookback_scan_determinismE1ES3_S9_NS6_6detail15normal_iteratorINS6_10device_ptrIfEEEESG_SG_SG_PmS8_NS6_8equal_toIfEEEE10hipError_tPvRmT2_T3_mT4_T5_T6_T7_T8_P12ihipStream_tbENKUlT_T0_E_clISt17integral_constantIbLb0EES10_IbLb1EEEEDaSW_SX_EUlSW_E_NS1_11comp_targetILNS1_3genE5ELNS1_11target_archE942ELNS1_3gpuE9ELNS1_3repE0EEENS1_30default_config_static_selectorELNS0_4arch9wavefront6targetE0EEEvT1_,@function
_ZN7rocprim17ROCPRIM_400000_NS6detail17trampoline_kernelINS0_14default_configENS1_29reduce_by_key_config_selectorIffN6thrust23THRUST_200600_302600_NS4plusIfEEEEZZNS1_33reduce_by_key_impl_wrapped_configILNS1_25lookback_scan_determinismE1ES3_S9_NS6_6detail15normal_iteratorINS6_10device_ptrIfEEEESG_SG_SG_PmS8_NS6_8equal_toIfEEEE10hipError_tPvRmT2_T3_mT4_T5_T6_T7_T8_P12ihipStream_tbENKUlT_T0_E_clISt17integral_constantIbLb0EES10_IbLb1EEEEDaSW_SX_EUlSW_E_NS1_11comp_targetILNS1_3genE5ELNS1_11target_archE942ELNS1_3gpuE9ELNS1_3repE0EEENS1_30default_config_static_selectorELNS0_4arch9wavefront6targetE0EEEvT1_: ; @_ZN7rocprim17ROCPRIM_400000_NS6detail17trampoline_kernelINS0_14default_configENS1_29reduce_by_key_config_selectorIffN6thrust23THRUST_200600_302600_NS4plusIfEEEEZZNS1_33reduce_by_key_impl_wrapped_configILNS1_25lookback_scan_determinismE1ES3_S9_NS6_6detail15normal_iteratorINS6_10device_ptrIfEEEESG_SG_SG_PmS8_NS6_8equal_toIfEEEE10hipError_tPvRmT2_T3_mT4_T5_T6_T7_T8_P12ihipStream_tbENKUlT_T0_E_clISt17integral_constantIbLb0EES10_IbLb1EEEEDaSW_SX_EUlSW_E_NS1_11comp_targetILNS1_3genE5ELNS1_11target_archE942ELNS1_3gpuE9ELNS1_3repE0EEENS1_30default_config_static_selectorELNS0_4arch9wavefront6targetE0EEEvT1_
; %bb.0:
	.section	.rodata,"a",@progbits
	.p2align	6, 0x0
	.amdhsa_kernel _ZN7rocprim17ROCPRIM_400000_NS6detail17trampoline_kernelINS0_14default_configENS1_29reduce_by_key_config_selectorIffN6thrust23THRUST_200600_302600_NS4plusIfEEEEZZNS1_33reduce_by_key_impl_wrapped_configILNS1_25lookback_scan_determinismE1ES3_S9_NS6_6detail15normal_iteratorINS6_10device_ptrIfEEEESG_SG_SG_PmS8_NS6_8equal_toIfEEEE10hipError_tPvRmT2_T3_mT4_T5_T6_T7_T8_P12ihipStream_tbENKUlT_T0_E_clISt17integral_constantIbLb0EES10_IbLb1EEEEDaSW_SX_EUlSW_E_NS1_11comp_targetILNS1_3genE5ELNS1_11target_archE942ELNS1_3gpuE9ELNS1_3repE0EEENS1_30default_config_static_selectorELNS0_4arch9wavefront6targetE0EEEvT1_
		.amdhsa_group_segment_fixed_size 0
		.amdhsa_private_segment_fixed_size 0
		.amdhsa_kernarg_size 120
		.amdhsa_user_sgpr_count 15
		.amdhsa_user_sgpr_dispatch_ptr 0
		.amdhsa_user_sgpr_queue_ptr 0
		.amdhsa_user_sgpr_kernarg_segment_ptr 1
		.amdhsa_user_sgpr_dispatch_id 0
		.amdhsa_user_sgpr_private_segment_size 0
		.amdhsa_wavefront_size32 1
		.amdhsa_uses_dynamic_stack 0
		.amdhsa_enable_private_segment 0
		.amdhsa_system_sgpr_workgroup_id_x 1
		.amdhsa_system_sgpr_workgroup_id_y 0
		.amdhsa_system_sgpr_workgroup_id_z 0
		.amdhsa_system_sgpr_workgroup_info 0
		.amdhsa_system_vgpr_workitem_id 0
		.amdhsa_next_free_vgpr 1
		.amdhsa_next_free_sgpr 1
		.amdhsa_reserve_vcc 0
		.amdhsa_float_round_mode_32 0
		.amdhsa_float_round_mode_16_64 0
		.amdhsa_float_denorm_mode_32 3
		.amdhsa_float_denorm_mode_16_64 3
		.amdhsa_dx10_clamp 1
		.amdhsa_ieee_mode 1
		.amdhsa_fp16_overflow 0
		.amdhsa_workgroup_processor_mode 1
		.amdhsa_memory_ordered 1
		.amdhsa_forward_progress 0
		.amdhsa_shared_vgpr_count 0
		.amdhsa_exception_fp_ieee_invalid_op 0
		.amdhsa_exception_fp_denorm_src 0
		.amdhsa_exception_fp_ieee_div_zero 0
		.amdhsa_exception_fp_ieee_overflow 0
		.amdhsa_exception_fp_ieee_underflow 0
		.amdhsa_exception_fp_ieee_inexact 0
		.amdhsa_exception_int_div_zero 0
	.end_amdhsa_kernel
	.section	.text._ZN7rocprim17ROCPRIM_400000_NS6detail17trampoline_kernelINS0_14default_configENS1_29reduce_by_key_config_selectorIffN6thrust23THRUST_200600_302600_NS4plusIfEEEEZZNS1_33reduce_by_key_impl_wrapped_configILNS1_25lookback_scan_determinismE1ES3_S9_NS6_6detail15normal_iteratorINS6_10device_ptrIfEEEESG_SG_SG_PmS8_NS6_8equal_toIfEEEE10hipError_tPvRmT2_T3_mT4_T5_T6_T7_T8_P12ihipStream_tbENKUlT_T0_E_clISt17integral_constantIbLb0EES10_IbLb1EEEEDaSW_SX_EUlSW_E_NS1_11comp_targetILNS1_3genE5ELNS1_11target_archE942ELNS1_3gpuE9ELNS1_3repE0EEENS1_30default_config_static_selectorELNS0_4arch9wavefront6targetE0EEEvT1_,"axG",@progbits,_ZN7rocprim17ROCPRIM_400000_NS6detail17trampoline_kernelINS0_14default_configENS1_29reduce_by_key_config_selectorIffN6thrust23THRUST_200600_302600_NS4plusIfEEEEZZNS1_33reduce_by_key_impl_wrapped_configILNS1_25lookback_scan_determinismE1ES3_S9_NS6_6detail15normal_iteratorINS6_10device_ptrIfEEEESG_SG_SG_PmS8_NS6_8equal_toIfEEEE10hipError_tPvRmT2_T3_mT4_T5_T6_T7_T8_P12ihipStream_tbENKUlT_T0_E_clISt17integral_constantIbLb0EES10_IbLb1EEEEDaSW_SX_EUlSW_E_NS1_11comp_targetILNS1_3genE5ELNS1_11target_archE942ELNS1_3gpuE9ELNS1_3repE0EEENS1_30default_config_static_selectorELNS0_4arch9wavefront6targetE0EEEvT1_,comdat
.Lfunc_end120:
	.size	_ZN7rocprim17ROCPRIM_400000_NS6detail17trampoline_kernelINS0_14default_configENS1_29reduce_by_key_config_selectorIffN6thrust23THRUST_200600_302600_NS4plusIfEEEEZZNS1_33reduce_by_key_impl_wrapped_configILNS1_25lookback_scan_determinismE1ES3_S9_NS6_6detail15normal_iteratorINS6_10device_ptrIfEEEESG_SG_SG_PmS8_NS6_8equal_toIfEEEE10hipError_tPvRmT2_T3_mT4_T5_T6_T7_T8_P12ihipStream_tbENKUlT_T0_E_clISt17integral_constantIbLb0EES10_IbLb1EEEEDaSW_SX_EUlSW_E_NS1_11comp_targetILNS1_3genE5ELNS1_11target_archE942ELNS1_3gpuE9ELNS1_3repE0EEENS1_30default_config_static_selectorELNS0_4arch9wavefront6targetE0EEEvT1_, .Lfunc_end120-_ZN7rocprim17ROCPRIM_400000_NS6detail17trampoline_kernelINS0_14default_configENS1_29reduce_by_key_config_selectorIffN6thrust23THRUST_200600_302600_NS4plusIfEEEEZZNS1_33reduce_by_key_impl_wrapped_configILNS1_25lookback_scan_determinismE1ES3_S9_NS6_6detail15normal_iteratorINS6_10device_ptrIfEEEESG_SG_SG_PmS8_NS6_8equal_toIfEEEE10hipError_tPvRmT2_T3_mT4_T5_T6_T7_T8_P12ihipStream_tbENKUlT_T0_E_clISt17integral_constantIbLb0EES10_IbLb1EEEEDaSW_SX_EUlSW_E_NS1_11comp_targetILNS1_3genE5ELNS1_11target_archE942ELNS1_3gpuE9ELNS1_3repE0EEENS1_30default_config_static_selectorELNS0_4arch9wavefront6targetE0EEEvT1_
                                        ; -- End function
	.section	.AMDGPU.csdata,"",@progbits
; Kernel info:
; codeLenInByte = 0
; NumSgprs: 0
; NumVgprs: 0
; ScratchSize: 0
; MemoryBound: 0
; FloatMode: 240
; IeeeMode: 1
; LDSByteSize: 0 bytes/workgroup (compile time only)
; SGPRBlocks: 0
; VGPRBlocks: 0
; NumSGPRsForWavesPerEU: 1
; NumVGPRsForWavesPerEU: 1
; Occupancy: 16
; WaveLimiterHint : 0
; COMPUTE_PGM_RSRC2:SCRATCH_EN: 0
; COMPUTE_PGM_RSRC2:USER_SGPR: 15
; COMPUTE_PGM_RSRC2:TRAP_HANDLER: 0
; COMPUTE_PGM_RSRC2:TGID_X_EN: 1
; COMPUTE_PGM_RSRC2:TGID_Y_EN: 0
; COMPUTE_PGM_RSRC2:TGID_Z_EN: 0
; COMPUTE_PGM_RSRC2:TIDIG_COMP_CNT: 0
	.section	.text._ZN7rocprim17ROCPRIM_400000_NS6detail17trampoline_kernelINS0_14default_configENS1_29reduce_by_key_config_selectorIffN6thrust23THRUST_200600_302600_NS4plusIfEEEEZZNS1_33reduce_by_key_impl_wrapped_configILNS1_25lookback_scan_determinismE1ES3_S9_NS6_6detail15normal_iteratorINS6_10device_ptrIfEEEESG_SG_SG_PmS8_NS6_8equal_toIfEEEE10hipError_tPvRmT2_T3_mT4_T5_T6_T7_T8_P12ihipStream_tbENKUlT_T0_E_clISt17integral_constantIbLb0EES10_IbLb1EEEEDaSW_SX_EUlSW_E_NS1_11comp_targetILNS1_3genE4ELNS1_11target_archE910ELNS1_3gpuE8ELNS1_3repE0EEENS1_30default_config_static_selectorELNS0_4arch9wavefront6targetE0EEEvT1_,"axG",@progbits,_ZN7rocprim17ROCPRIM_400000_NS6detail17trampoline_kernelINS0_14default_configENS1_29reduce_by_key_config_selectorIffN6thrust23THRUST_200600_302600_NS4plusIfEEEEZZNS1_33reduce_by_key_impl_wrapped_configILNS1_25lookback_scan_determinismE1ES3_S9_NS6_6detail15normal_iteratorINS6_10device_ptrIfEEEESG_SG_SG_PmS8_NS6_8equal_toIfEEEE10hipError_tPvRmT2_T3_mT4_T5_T6_T7_T8_P12ihipStream_tbENKUlT_T0_E_clISt17integral_constantIbLb0EES10_IbLb1EEEEDaSW_SX_EUlSW_E_NS1_11comp_targetILNS1_3genE4ELNS1_11target_archE910ELNS1_3gpuE8ELNS1_3repE0EEENS1_30default_config_static_selectorELNS0_4arch9wavefront6targetE0EEEvT1_,comdat
	.protected	_ZN7rocprim17ROCPRIM_400000_NS6detail17trampoline_kernelINS0_14default_configENS1_29reduce_by_key_config_selectorIffN6thrust23THRUST_200600_302600_NS4plusIfEEEEZZNS1_33reduce_by_key_impl_wrapped_configILNS1_25lookback_scan_determinismE1ES3_S9_NS6_6detail15normal_iteratorINS6_10device_ptrIfEEEESG_SG_SG_PmS8_NS6_8equal_toIfEEEE10hipError_tPvRmT2_T3_mT4_T5_T6_T7_T8_P12ihipStream_tbENKUlT_T0_E_clISt17integral_constantIbLb0EES10_IbLb1EEEEDaSW_SX_EUlSW_E_NS1_11comp_targetILNS1_3genE4ELNS1_11target_archE910ELNS1_3gpuE8ELNS1_3repE0EEENS1_30default_config_static_selectorELNS0_4arch9wavefront6targetE0EEEvT1_ ; -- Begin function _ZN7rocprim17ROCPRIM_400000_NS6detail17trampoline_kernelINS0_14default_configENS1_29reduce_by_key_config_selectorIffN6thrust23THRUST_200600_302600_NS4plusIfEEEEZZNS1_33reduce_by_key_impl_wrapped_configILNS1_25lookback_scan_determinismE1ES3_S9_NS6_6detail15normal_iteratorINS6_10device_ptrIfEEEESG_SG_SG_PmS8_NS6_8equal_toIfEEEE10hipError_tPvRmT2_T3_mT4_T5_T6_T7_T8_P12ihipStream_tbENKUlT_T0_E_clISt17integral_constantIbLb0EES10_IbLb1EEEEDaSW_SX_EUlSW_E_NS1_11comp_targetILNS1_3genE4ELNS1_11target_archE910ELNS1_3gpuE8ELNS1_3repE0EEENS1_30default_config_static_selectorELNS0_4arch9wavefront6targetE0EEEvT1_
	.globl	_ZN7rocprim17ROCPRIM_400000_NS6detail17trampoline_kernelINS0_14default_configENS1_29reduce_by_key_config_selectorIffN6thrust23THRUST_200600_302600_NS4plusIfEEEEZZNS1_33reduce_by_key_impl_wrapped_configILNS1_25lookback_scan_determinismE1ES3_S9_NS6_6detail15normal_iteratorINS6_10device_ptrIfEEEESG_SG_SG_PmS8_NS6_8equal_toIfEEEE10hipError_tPvRmT2_T3_mT4_T5_T6_T7_T8_P12ihipStream_tbENKUlT_T0_E_clISt17integral_constantIbLb0EES10_IbLb1EEEEDaSW_SX_EUlSW_E_NS1_11comp_targetILNS1_3genE4ELNS1_11target_archE910ELNS1_3gpuE8ELNS1_3repE0EEENS1_30default_config_static_selectorELNS0_4arch9wavefront6targetE0EEEvT1_
	.p2align	8
	.type	_ZN7rocprim17ROCPRIM_400000_NS6detail17trampoline_kernelINS0_14default_configENS1_29reduce_by_key_config_selectorIffN6thrust23THRUST_200600_302600_NS4plusIfEEEEZZNS1_33reduce_by_key_impl_wrapped_configILNS1_25lookback_scan_determinismE1ES3_S9_NS6_6detail15normal_iteratorINS6_10device_ptrIfEEEESG_SG_SG_PmS8_NS6_8equal_toIfEEEE10hipError_tPvRmT2_T3_mT4_T5_T6_T7_T8_P12ihipStream_tbENKUlT_T0_E_clISt17integral_constantIbLb0EES10_IbLb1EEEEDaSW_SX_EUlSW_E_NS1_11comp_targetILNS1_3genE4ELNS1_11target_archE910ELNS1_3gpuE8ELNS1_3repE0EEENS1_30default_config_static_selectorELNS0_4arch9wavefront6targetE0EEEvT1_,@function
_ZN7rocprim17ROCPRIM_400000_NS6detail17trampoline_kernelINS0_14default_configENS1_29reduce_by_key_config_selectorIffN6thrust23THRUST_200600_302600_NS4plusIfEEEEZZNS1_33reduce_by_key_impl_wrapped_configILNS1_25lookback_scan_determinismE1ES3_S9_NS6_6detail15normal_iteratorINS6_10device_ptrIfEEEESG_SG_SG_PmS8_NS6_8equal_toIfEEEE10hipError_tPvRmT2_T3_mT4_T5_T6_T7_T8_P12ihipStream_tbENKUlT_T0_E_clISt17integral_constantIbLb0EES10_IbLb1EEEEDaSW_SX_EUlSW_E_NS1_11comp_targetILNS1_3genE4ELNS1_11target_archE910ELNS1_3gpuE8ELNS1_3repE0EEENS1_30default_config_static_selectorELNS0_4arch9wavefront6targetE0EEEvT1_: ; @_ZN7rocprim17ROCPRIM_400000_NS6detail17trampoline_kernelINS0_14default_configENS1_29reduce_by_key_config_selectorIffN6thrust23THRUST_200600_302600_NS4plusIfEEEEZZNS1_33reduce_by_key_impl_wrapped_configILNS1_25lookback_scan_determinismE1ES3_S9_NS6_6detail15normal_iteratorINS6_10device_ptrIfEEEESG_SG_SG_PmS8_NS6_8equal_toIfEEEE10hipError_tPvRmT2_T3_mT4_T5_T6_T7_T8_P12ihipStream_tbENKUlT_T0_E_clISt17integral_constantIbLb0EES10_IbLb1EEEEDaSW_SX_EUlSW_E_NS1_11comp_targetILNS1_3genE4ELNS1_11target_archE910ELNS1_3gpuE8ELNS1_3repE0EEENS1_30default_config_static_selectorELNS0_4arch9wavefront6targetE0EEEvT1_
; %bb.0:
	.section	.rodata,"a",@progbits
	.p2align	6, 0x0
	.amdhsa_kernel _ZN7rocprim17ROCPRIM_400000_NS6detail17trampoline_kernelINS0_14default_configENS1_29reduce_by_key_config_selectorIffN6thrust23THRUST_200600_302600_NS4plusIfEEEEZZNS1_33reduce_by_key_impl_wrapped_configILNS1_25lookback_scan_determinismE1ES3_S9_NS6_6detail15normal_iteratorINS6_10device_ptrIfEEEESG_SG_SG_PmS8_NS6_8equal_toIfEEEE10hipError_tPvRmT2_T3_mT4_T5_T6_T7_T8_P12ihipStream_tbENKUlT_T0_E_clISt17integral_constantIbLb0EES10_IbLb1EEEEDaSW_SX_EUlSW_E_NS1_11comp_targetILNS1_3genE4ELNS1_11target_archE910ELNS1_3gpuE8ELNS1_3repE0EEENS1_30default_config_static_selectorELNS0_4arch9wavefront6targetE0EEEvT1_
		.amdhsa_group_segment_fixed_size 0
		.amdhsa_private_segment_fixed_size 0
		.amdhsa_kernarg_size 120
		.amdhsa_user_sgpr_count 15
		.amdhsa_user_sgpr_dispatch_ptr 0
		.amdhsa_user_sgpr_queue_ptr 0
		.amdhsa_user_sgpr_kernarg_segment_ptr 1
		.amdhsa_user_sgpr_dispatch_id 0
		.amdhsa_user_sgpr_private_segment_size 0
		.amdhsa_wavefront_size32 1
		.amdhsa_uses_dynamic_stack 0
		.amdhsa_enable_private_segment 0
		.amdhsa_system_sgpr_workgroup_id_x 1
		.amdhsa_system_sgpr_workgroup_id_y 0
		.amdhsa_system_sgpr_workgroup_id_z 0
		.amdhsa_system_sgpr_workgroup_info 0
		.amdhsa_system_vgpr_workitem_id 0
		.amdhsa_next_free_vgpr 1
		.amdhsa_next_free_sgpr 1
		.amdhsa_reserve_vcc 0
		.amdhsa_float_round_mode_32 0
		.amdhsa_float_round_mode_16_64 0
		.amdhsa_float_denorm_mode_32 3
		.amdhsa_float_denorm_mode_16_64 3
		.amdhsa_dx10_clamp 1
		.amdhsa_ieee_mode 1
		.amdhsa_fp16_overflow 0
		.amdhsa_workgroup_processor_mode 1
		.amdhsa_memory_ordered 1
		.amdhsa_forward_progress 0
		.amdhsa_shared_vgpr_count 0
		.amdhsa_exception_fp_ieee_invalid_op 0
		.amdhsa_exception_fp_denorm_src 0
		.amdhsa_exception_fp_ieee_div_zero 0
		.amdhsa_exception_fp_ieee_overflow 0
		.amdhsa_exception_fp_ieee_underflow 0
		.amdhsa_exception_fp_ieee_inexact 0
		.amdhsa_exception_int_div_zero 0
	.end_amdhsa_kernel
	.section	.text._ZN7rocprim17ROCPRIM_400000_NS6detail17trampoline_kernelINS0_14default_configENS1_29reduce_by_key_config_selectorIffN6thrust23THRUST_200600_302600_NS4plusIfEEEEZZNS1_33reduce_by_key_impl_wrapped_configILNS1_25lookback_scan_determinismE1ES3_S9_NS6_6detail15normal_iteratorINS6_10device_ptrIfEEEESG_SG_SG_PmS8_NS6_8equal_toIfEEEE10hipError_tPvRmT2_T3_mT4_T5_T6_T7_T8_P12ihipStream_tbENKUlT_T0_E_clISt17integral_constantIbLb0EES10_IbLb1EEEEDaSW_SX_EUlSW_E_NS1_11comp_targetILNS1_3genE4ELNS1_11target_archE910ELNS1_3gpuE8ELNS1_3repE0EEENS1_30default_config_static_selectorELNS0_4arch9wavefront6targetE0EEEvT1_,"axG",@progbits,_ZN7rocprim17ROCPRIM_400000_NS6detail17trampoline_kernelINS0_14default_configENS1_29reduce_by_key_config_selectorIffN6thrust23THRUST_200600_302600_NS4plusIfEEEEZZNS1_33reduce_by_key_impl_wrapped_configILNS1_25lookback_scan_determinismE1ES3_S9_NS6_6detail15normal_iteratorINS6_10device_ptrIfEEEESG_SG_SG_PmS8_NS6_8equal_toIfEEEE10hipError_tPvRmT2_T3_mT4_T5_T6_T7_T8_P12ihipStream_tbENKUlT_T0_E_clISt17integral_constantIbLb0EES10_IbLb1EEEEDaSW_SX_EUlSW_E_NS1_11comp_targetILNS1_3genE4ELNS1_11target_archE910ELNS1_3gpuE8ELNS1_3repE0EEENS1_30default_config_static_selectorELNS0_4arch9wavefront6targetE0EEEvT1_,comdat
.Lfunc_end121:
	.size	_ZN7rocprim17ROCPRIM_400000_NS6detail17trampoline_kernelINS0_14default_configENS1_29reduce_by_key_config_selectorIffN6thrust23THRUST_200600_302600_NS4plusIfEEEEZZNS1_33reduce_by_key_impl_wrapped_configILNS1_25lookback_scan_determinismE1ES3_S9_NS6_6detail15normal_iteratorINS6_10device_ptrIfEEEESG_SG_SG_PmS8_NS6_8equal_toIfEEEE10hipError_tPvRmT2_T3_mT4_T5_T6_T7_T8_P12ihipStream_tbENKUlT_T0_E_clISt17integral_constantIbLb0EES10_IbLb1EEEEDaSW_SX_EUlSW_E_NS1_11comp_targetILNS1_3genE4ELNS1_11target_archE910ELNS1_3gpuE8ELNS1_3repE0EEENS1_30default_config_static_selectorELNS0_4arch9wavefront6targetE0EEEvT1_, .Lfunc_end121-_ZN7rocprim17ROCPRIM_400000_NS6detail17trampoline_kernelINS0_14default_configENS1_29reduce_by_key_config_selectorIffN6thrust23THRUST_200600_302600_NS4plusIfEEEEZZNS1_33reduce_by_key_impl_wrapped_configILNS1_25lookback_scan_determinismE1ES3_S9_NS6_6detail15normal_iteratorINS6_10device_ptrIfEEEESG_SG_SG_PmS8_NS6_8equal_toIfEEEE10hipError_tPvRmT2_T3_mT4_T5_T6_T7_T8_P12ihipStream_tbENKUlT_T0_E_clISt17integral_constantIbLb0EES10_IbLb1EEEEDaSW_SX_EUlSW_E_NS1_11comp_targetILNS1_3genE4ELNS1_11target_archE910ELNS1_3gpuE8ELNS1_3repE0EEENS1_30default_config_static_selectorELNS0_4arch9wavefront6targetE0EEEvT1_
                                        ; -- End function
	.section	.AMDGPU.csdata,"",@progbits
; Kernel info:
; codeLenInByte = 0
; NumSgprs: 0
; NumVgprs: 0
; ScratchSize: 0
; MemoryBound: 0
; FloatMode: 240
; IeeeMode: 1
; LDSByteSize: 0 bytes/workgroup (compile time only)
; SGPRBlocks: 0
; VGPRBlocks: 0
; NumSGPRsForWavesPerEU: 1
; NumVGPRsForWavesPerEU: 1
; Occupancy: 16
; WaveLimiterHint : 0
; COMPUTE_PGM_RSRC2:SCRATCH_EN: 0
; COMPUTE_PGM_RSRC2:USER_SGPR: 15
; COMPUTE_PGM_RSRC2:TRAP_HANDLER: 0
; COMPUTE_PGM_RSRC2:TGID_X_EN: 1
; COMPUTE_PGM_RSRC2:TGID_Y_EN: 0
; COMPUTE_PGM_RSRC2:TGID_Z_EN: 0
; COMPUTE_PGM_RSRC2:TIDIG_COMP_CNT: 0
	.section	.text._ZN7rocprim17ROCPRIM_400000_NS6detail17trampoline_kernelINS0_14default_configENS1_29reduce_by_key_config_selectorIffN6thrust23THRUST_200600_302600_NS4plusIfEEEEZZNS1_33reduce_by_key_impl_wrapped_configILNS1_25lookback_scan_determinismE1ES3_S9_NS6_6detail15normal_iteratorINS6_10device_ptrIfEEEESG_SG_SG_PmS8_NS6_8equal_toIfEEEE10hipError_tPvRmT2_T3_mT4_T5_T6_T7_T8_P12ihipStream_tbENKUlT_T0_E_clISt17integral_constantIbLb0EES10_IbLb1EEEEDaSW_SX_EUlSW_E_NS1_11comp_targetILNS1_3genE3ELNS1_11target_archE908ELNS1_3gpuE7ELNS1_3repE0EEENS1_30default_config_static_selectorELNS0_4arch9wavefront6targetE0EEEvT1_,"axG",@progbits,_ZN7rocprim17ROCPRIM_400000_NS6detail17trampoline_kernelINS0_14default_configENS1_29reduce_by_key_config_selectorIffN6thrust23THRUST_200600_302600_NS4plusIfEEEEZZNS1_33reduce_by_key_impl_wrapped_configILNS1_25lookback_scan_determinismE1ES3_S9_NS6_6detail15normal_iteratorINS6_10device_ptrIfEEEESG_SG_SG_PmS8_NS6_8equal_toIfEEEE10hipError_tPvRmT2_T3_mT4_T5_T6_T7_T8_P12ihipStream_tbENKUlT_T0_E_clISt17integral_constantIbLb0EES10_IbLb1EEEEDaSW_SX_EUlSW_E_NS1_11comp_targetILNS1_3genE3ELNS1_11target_archE908ELNS1_3gpuE7ELNS1_3repE0EEENS1_30default_config_static_selectorELNS0_4arch9wavefront6targetE0EEEvT1_,comdat
	.protected	_ZN7rocprim17ROCPRIM_400000_NS6detail17trampoline_kernelINS0_14default_configENS1_29reduce_by_key_config_selectorIffN6thrust23THRUST_200600_302600_NS4plusIfEEEEZZNS1_33reduce_by_key_impl_wrapped_configILNS1_25lookback_scan_determinismE1ES3_S9_NS6_6detail15normal_iteratorINS6_10device_ptrIfEEEESG_SG_SG_PmS8_NS6_8equal_toIfEEEE10hipError_tPvRmT2_T3_mT4_T5_T6_T7_T8_P12ihipStream_tbENKUlT_T0_E_clISt17integral_constantIbLb0EES10_IbLb1EEEEDaSW_SX_EUlSW_E_NS1_11comp_targetILNS1_3genE3ELNS1_11target_archE908ELNS1_3gpuE7ELNS1_3repE0EEENS1_30default_config_static_selectorELNS0_4arch9wavefront6targetE0EEEvT1_ ; -- Begin function _ZN7rocprim17ROCPRIM_400000_NS6detail17trampoline_kernelINS0_14default_configENS1_29reduce_by_key_config_selectorIffN6thrust23THRUST_200600_302600_NS4plusIfEEEEZZNS1_33reduce_by_key_impl_wrapped_configILNS1_25lookback_scan_determinismE1ES3_S9_NS6_6detail15normal_iteratorINS6_10device_ptrIfEEEESG_SG_SG_PmS8_NS6_8equal_toIfEEEE10hipError_tPvRmT2_T3_mT4_T5_T6_T7_T8_P12ihipStream_tbENKUlT_T0_E_clISt17integral_constantIbLb0EES10_IbLb1EEEEDaSW_SX_EUlSW_E_NS1_11comp_targetILNS1_3genE3ELNS1_11target_archE908ELNS1_3gpuE7ELNS1_3repE0EEENS1_30default_config_static_selectorELNS0_4arch9wavefront6targetE0EEEvT1_
	.globl	_ZN7rocprim17ROCPRIM_400000_NS6detail17trampoline_kernelINS0_14default_configENS1_29reduce_by_key_config_selectorIffN6thrust23THRUST_200600_302600_NS4plusIfEEEEZZNS1_33reduce_by_key_impl_wrapped_configILNS1_25lookback_scan_determinismE1ES3_S9_NS6_6detail15normal_iteratorINS6_10device_ptrIfEEEESG_SG_SG_PmS8_NS6_8equal_toIfEEEE10hipError_tPvRmT2_T3_mT4_T5_T6_T7_T8_P12ihipStream_tbENKUlT_T0_E_clISt17integral_constantIbLb0EES10_IbLb1EEEEDaSW_SX_EUlSW_E_NS1_11comp_targetILNS1_3genE3ELNS1_11target_archE908ELNS1_3gpuE7ELNS1_3repE0EEENS1_30default_config_static_selectorELNS0_4arch9wavefront6targetE0EEEvT1_
	.p2align	8
	.type	_ZN7rocprim17ROCPRIM_400000_NS6detail17trampoline_kernelINS0_14default_configENS1_29reduce_by_key_config_selectorIffN6thrust23THRUST_200600_302600_NS4plusIfEEEEZZNS1_33reduce_by_key_impl_wrapped_configILNS1_25lookback_scan_determinismE1ES3_S9_NS6_6detail15normal_iteratorINS6_10device_ptrIfEEEESG_SG_SG_PmS8_NS6_8equal_toIfEEEE10hipError_tPvRmT2_T3_mT4_T5_T6_T7_T8_P12ihipStream_tbENKUlT_T0_E_clISt17integral_constantIbLb0EES10_IbLb1EEEEDaSW_SX_EUlSW_E_NS1_11comp_targetILNS1_3genE3ELNS1_11target_archE908ELNS1_3gpuE7ELNS1_3repE0EEENS1_30default_config_static_selectorELNS0_4arch9wavefront6targetE0EEEvT1_,@function
_ZN7rocprim17ROCPRIM_400000_NS6detail17trampoline_kernelINS0_14default_configENS1_29reduce_by_key_config_selectorIffN6thrust23THRUST_200600_302600_NS4plusIfEEEEZZNS1_33reduce_by_key_impl_wrapped_configILNS1_25lookback_scan_determinismE1ES3_S9_NS6_6detail15normal_iteratorINS6_10device_ptrIfEEEESG_SG_SG_PmS8_NS6_8equal_toIfEEEE10hipError_tPvRmT2_T3_mT4_T5_T6_T7_T8_P12ihipStream_tbENKUlT_T0_E_clISt17integral_constantIbLb0EES10_IbLb1EEEEDaSW_SX_EUlSW_E_NS1_11comp_targetILNS1_3genE3ELNS1_11target_archE908ELNS1_3gpuE7ELNS1_3repE0EEENS1_30default_config_static_selectorELNS0_4arch9wavefront6targetE0EEEvT1_: ; @_ZN7rocprim17ROCPRIM_400000_NS6detail17trampoline_kernelINS0_14default_configENS1_29reduce_by_key_config_selectorIffN6thrust23THRUST_200600_302600_NS4plusIfEEEEZZNS1_33reduce_by_key_impl_wrapped_configILNS1_25lookback_scan_determinismE1ES3_S9_NS6_6detail15normal_iteratorINS6_10device_ptrIfEEEESG_SG_SG_PmS8_NS6_8equal_toIfEEEE10hipError_tPvRmT2_T3_mT4_T5_T6_T7_T8_P12ihipStream_tbENKUlT_T0_E_clISt17integral_constantIbLb0EES10_IbLb1EEEEDaSW_SX_EUlSW_E_NS1_11comp_targetILNS1_3genE3ELNS1_11target_archE908ELNS1_3gpuE7ELNS1_3repE0EEENS1_30default_config_static_selectorELNS0_4arch9wavefront6targetE0EEEvT1_
; %bb.0:
	.section	.rodata,"a",@progbits
	.p2align	6, 0x0
	.amdhsa_kernel _ZN7rocprim17ROCPRIM_400000_NS6detail17trampoline_kernelINS0_14default_configENS1_29reduce_by_key_config_selectorIffN6thrust23THRUST_200600_302600_NS4plusIfEEEEZZNS1_33reduce_by_key_impl_wrapped_configILNS1_25lookback_scan_determinismE1ES3_S9_NS6_6detail15normal_iteratorINS6_10device_ptrIfEEEESG_SG_SG_PmS8_NS6_8equal_toIfEEEE10hipError_tPvRmT2_T3_mT4_T5_T6_T7_T8_P12ihipStream_tbENKUlT_T0_E_clISt17integral_constantIbLb0EES10_IbLb1EEEEDaSW_SX_EUlSW_E_NS1_11comp_targetILNS1_3genE3ELNS1_11target_archE908ELNS1_3gpuE7ELNS1_3repE0EEENS1_30default_config_static_selectorELNS0_4arch9wavefront6targetE0EEEvT1_
		.amdhsa_group_segment_fixed_size 0
		.amdhsa_private_segment_fixed_size 0
		.amdhsa_kernarg_size 120
		.amdhsa_user_sgpr_count 15
		.amdhsa_user_sgpr_dispatch_ptr 0
		.amdhsa_user_sgpr_queue_ptr 0
		.amdhsa_user_sgpr_kernarg_segment_ptr 1
		.amdhsa_user_sgpr_dispatch_id 0
		.amdhsa_user_sgpr_private_segment_size 0
		.amdhsa_wavefront_size32 1
		.amdhsa_uses_dynamic_stack 0
		.amdhsa_enable_private_segment 0
		.amdhsa_system_sgpr_workgroup_id_x 1
		.amdhsa_system_sgpr_workgroup_id_y 0
		.amdhsa_system_sgpr_workgroup_id_z 0
		.amdhsa_system_sgpr_workgroup_info 0
		.amdhsa_system_vgpr_workitem_id 0
		.amdhsa_next_free_vgpr 1
		.amdhsa_next_free_sgpr 1
		.amdhsa_reserve_vcc 0
		.amdhsa_float_round_mode_32 0
		.amdhsa_float_round_mode_16_64 0
		.amdhsa_float_denorm_mode_32 3
		.amdhsa_float_denorm_mode_16_64 3
		.amdhsa_dx10_clamp 1
		.amdhsa_ieee_mode 1
		.amdhsa_fp16_overflow 0
		.amdhsa_workgroup_processor_mode 1
		.amdhsa_memory_ordered 1
		.amdhsa_forward_progress 0
		.amdhsa_shared_vgpr_count 0
		.amdhsa_exception_fp_ieee_invalid_op 0
		.amdhsa_exception_fp_denorm_src 0
		.amdhsa_exception_fp_ieee_div_zero 0
		.amdhsa_exception_fp_ieee_overflow 0
		.amdhsa_exception_fp_ieee_underflow 0
		.amdhsa_exception_fp_ieee_inexact 0
		.amdhsa_exception_int_div_zero 0
	.end_amdhsa_kernel
	.section	.text._ZN7rocprim17ROCPRIM_400000_NS6detail17trampoline_kernelINS0_14default_configENS1_29reduce_by_key_config_selectorIffN6thrust23THRUST_200600_302600_NS4plusIfEEEEZZNS1_33reduce_by_key_impl_wrapped_configILNS1_25lookback_scan_determinismE1ES3_S9_NS6_6detail15normal_iteratorINS6_10device_ptrIfEEEESG_SG_SG_PmS8_NS6_8equal_toIfEEEE10hipError_tPvRmT2_T3_mT4_T5_T6_T7_T8_P12ihipStream_tbENKUlT_T0_E_clISt17integral_constantIbLb0EES10_IbLb1EEEEDaSW_SX_EUlSW_E_NS1_11comp_targetILNS1_3genE3ELNS1_11target_archE908ELNS1_3gpuE7ELNS1_3repE0EEENS1_30default_config_static_selectorELNS0_4arch9wavefront6targetE0EEEvT1_,"axG",@progbits,_ZN7rocprim17ROCPRIM_400000_NS6detail17trampoline_kernelINS0_14default_configENS1_29reduce_by_key_config_selectorIffN6thrust23THRUST_200600_302600_NS4plusIfEEEEZZNS1_33reduce_by_key_impl_wrapped_configILNS1_25lookback_scan_determinismE1ES3_S9_NS6_6detail15normal_iteratorINS6_10device_ptrIfEEEESG_SG_SG_PmS8_NS6_8equal_toIfEEEE10hipError_tPvRmT2_T3_mT4_T5_T6_T7_T8_P12ihipStream_tbENKUlT_T0_E_clISt17integral_constantIbLb0EES10_IbLb1EEEEDaSW_SX_EUlSW_E_NS1_11comp_targetILNS1_3genE3ELNS1_11target_archE908ELNS1_3gpuE7ELNS1_3repE0EEENS1_30default_config_static_selectorELNS0_4arch9wavefront6targetE0EEEvT1_,comdat
.Lfunc_end122:
	.size	_ZN7rocprim17ROCPRIM_400000_NS6detail17trampoline_kernelINS0_14default_configENS1_29reduce_by_key_config_selectorIffN6thrust23THRUST_200600_302600_NS4plusIfEEEEZZNS1_33reduce_by_key_impl_wrapped_configILNS1_25lookback_scan_determinismE1ES3_S9_NS6_6detail15normal_iteratorINS6_10device_ptrIfEEEESG_SG_SG_PmS8_NS6_8equal_toIfEEEE10hipError_tPvRmT2_T3_mT4_T5_T6_T7_T8_P12ihipStream_tbENKUlT_T0_E_clISt17integral_constantIbLb0EES10_IbLb1EEEEDaSW_SX_EUlSW_E_NS1_11comp_targetILNS1_3genE3ELNS1_11target_archE908ELNS1_3gpuE7ELNS1_3repE0EEENS1_30default_config_static_selectorELNS0_4arch9wavefront6targetE0EEEvT1_, .Lfunc_end122-_ZN7rocprim17ROCPRIM_400000_NS6detail17trampoline_kernelINS0_14default_configENS1_29reduce_by_key_config_selectorIffN6thrust23THRUST_200600_302600_NS4plusIfEEEEZZNS1_33reduce_by_key_impl_wrapped_configILNS1_25lookback_scan_determinismE1ES3_S9_NS6_6detail15normal_iteratorINS6_10device_ptrIfEEEESG_SG_SG_PmS8_NS6_8equal_toIfEEEE10hipError_tPvRmT2_T3_mT4_T5_T6_T7_T8_P12ihipStream_tbENKUlT_T0_E_clISt17integral_constantIbLb0EES10_IbLb1EEEEDaSW_SX_EUlSW_E_NS1_11comp_targetILNS1_3genE3ELNS1_11target_archE908ELNS1_3gpuE7ELNS1_3repE0EEENS1_30default_config_static_selectorELNS0_4arch9wavefront6targetE0EEEvT1_
                                        ; -- End function
	.section	.AMDGPU.csdata,"",@progbits
; Kernel info:
; codeLenInByte = 0
; NumSgprs: 0
; NumVgprs: 0
; ScratchSize: 0
; MemoryBound: 0
; FloatMode: 240
; IeeeMode: 1
; LDSByteSize: 0 bytes/workgroup (compile time only)
; SGPRBlocks: 0
; VGPRBlocks: 0
; NumSGPRsForWavesPerEU: 1
; NumVGPRsForWavesPerEU: 1
; Occupancy: 16
; WaveLimiterHint : 0
; COMPUTE_PGM_RSRC2:SCRATCH_EN: 0
; COMPUTE_PGM_RSRC2:USER_SGPR: 15
; COMPUTE_PGM_RSRC2:TRAP_HANDLER: 0
; COMPUTE_PGM_RSRC2:TGID_X_EN: 1
; COMPUTE_PGM_RSRC2:TGID_Y_EN: 0
; COMPUTE_PGM_RSRC2:TGID_Z_EN: 0
; COMPUTE_PGM_RSRC2:TIDIG_COMP_CNT: 0
	.section	.text._ZN7rocprim17ROCPRIM_400000_NS6detail17trampoline_kernelINS0_14default_configENS1_29reduce_by_key_config_selectorIffN6thrust23THRUST_200600_302600_NS4plusIfEEEEZZNS1_33reduce_by_key_impl_wrapped_configILNS1_25lookback_scan_determinismE1ES3_S9_NS6_6detail15normal_iteratorINS6_10device_ptrIfEEEESG_SG_SG_PmS8_NS6_8equal_toIfEEEE10hipError_tPvRmT2_T3_mT4_T5_T6_T7_T8_P12ihipStream_tbENKUlT_T0_E_clISt17integral_constantIbLb0EES10_IbLb1EEEEDaSW_SX_EUlSW_E_NS1_11comp_targetILNS1_3genE2ELNS1_11target_archE906ELNS1_3gpuE6ELNS1_3repE0EEENS1_30default_config_static_selectorELNS0_4arch9wavefront6targetE0EEEvT1_,"axG",@progbits,_ZN7rocprim17ROCPRIM_400000_NS6detail17trampoline_kernelINS0_14default_configENS1_29reduce_by_key_config_selectorIffN6thrust23THRUST_200600_302600_NS4plusIfEEEEZZNS1_33reduce_by_key_impl_wrapped_configILNS1_25lookback_scan_determinismE1ES3_S9_NS6_6detail15normal_iteratorINS6_10device_ptrIfEEEESG_SG_SG_PmS8_NS6_8equal_toIfEEEE10hipError_tPvRmT2_T3_mT4_T5_T6_T7_T8_P12ihipStream_tbENKUlT_T0_E_clISt17integral_constantIbLb0EES10_IbLb1EEEEDaSW_SX_EUlSW_E_NS1_11comp_targetILNS1_3genE2ELNS1_11target_archE906ELNS1_3gpuE6ELNS1_3repE0EEENS1_30default_config_static_selectorELNS0_4arch9wavefront6targetE0EEEvT1_,comdat
	.protected	_ZN7rocprim17ROCPRIM_400000_NS6detail17trampoline_kernelINS0_14default_configENS1_29reduce_by_key_config_selectorIffN6thrust23THRUST_200600_302600_NS4plusIfEEEEZZNS1_33reduce_by_key_impl_wrapped_configILNS1_25lookback_scan_determinismE1ES3_S9_NS6_6detail15normal_iteratorINS6_10device_ptrIfEEEESG_SG_SG_PmS8_NS6_8equal_toIfEEEE10hipError_tPvRmT2_T3_mT4_T5_T6_T7_T8_P12ihipStream_tbENKUlT_T0_E_clISt17integral_constantIbLb0EES10_IbLb1EEEEDaSW_SX_EUlSW_E_NS1_11comp_targetILNS1_3genE2ELNS1_11target_archE906ELNS1_3gpuE6ELNS1_3repE0EEENS1_30default_config_static_selectorELNS0_4arch9wavefront6targetE0EEEvT1_ ; -- Begin function _ZN7rocprim17ROCPRIM_400000_NS6detail17trampoline_kernelINS0_14default_configENS1_29reduce_by_key_config_selectorIffN6thrust23THRUST_200600_302600_NS4plusIfEEEEZZNS1_33reduce_by_key_impl_wrapped_configILNS1_25lookback_scan_determinismE1ES3_S9_NS6_6detail15normal_iteratorINS6_10device_ptrIfEEEESG_SG_SG_PmS8_NS6_8equal_toIfEEEE10hipError_tPvRmT2_T3_mT4_T5_T6_T7_T8_P12ihipStream_tbENKUlT_T0_E_clISt17integral_constantIbLb0EES10_IbLb1EEEEDaSW_SX_EUlSW_E_NS1_11comp_targetILNS1_3genE2ELNS1_11target_archE906ELNS1_3gpuE6ELNS1_3repE0EEENS1_30default_config_static_selectorELNS0_4arch9wavefront6targetE0EEEvT1_
	.globl	_ZN7rocprim17ROCPRIM_400000_NS6detail17trampoline_kernelINS0_14default_configENS1_29reduce_by_key_config_selectorIffN6thrust23THRUST_200600_302600_NS4plusIfEEEEZZNS1_33reduce_by_key_impl_wrapped_configILNS1_25lookback_scan_determinismE1ES3_S9_NS6_6detail15normal_iteratorINS6_10device_ptrIfEEEESG_SG_SG_PmS8_NS6_8equal_toIfEEEE10hipError_tPvRmT2_T3_mT4_T5_T6_T7_T8_P12ihipStream_tbENKUlT_T0_E_clISt17integral_constantIbLb0EES10_IbLb1EEEEDaSW_SX_EUlSW_E_NS1_11comp_targetILNS1_3genE2ELNS1_11target_archE906ELNS1_3gpuE6ELNS1_3repE0EEENS1_30default_config_static_selectorELNS0_4arch9wavefront6targetE0EEEvT1_
	.p2align	8
	.type	_ZN7rocprim17ROCPRIM_400000_NS6detail17trampoline_kernelINS0_14default_configENS1_29reduce_by_key_config_selectorIffN6thrust23THRUST_200600_302600_NS4plusIfEEEEZZNS1_33reduce_by_key_impl_wrapped_configILNS1_25lookback_scan_determinismE1ES3_S9_NS6_6detail15normal_iteratorINS6_10device_ptrIfEEEESG_SG_SG_PmS8_NS6_8equal_toIfEEEE10hipError_tPvRmT2_T3_mT4_T5_T6_T7_T8_P12ihipStream_tbENKUlT_T0_E_clISt17integral_constantIbLb0EES10_IbLb1EEEEDaSW_SX_EUlSW_E_NS1_11comp_targetILNS1_3genE2ELNS1_11target_archE906ELNS1_3gpuE6ELNS1_3repE0EEENS1_30default_config_static_selectorELNS0_4arch9wavefront6targetE0EEEvT1_,@function
_ZN7rocprim17ROCPRIM_400000_NS6detail17trampoline_kernelINS0_14default_configENS1_29reduce_by_key_config_selectorIffN6thrust23THRUST_200600_302600_NS4plusIfEEEEZZNS1_33reduce_by_key_impl_wrapped_configILNS1_25lookback_scan_determinismE1ES3_S9_NS6_6detail15normal_iteratorINS6_10device_ptrIfEEEESG_SG_SG_PmS8_NS6_8equal_toIfEEEE10hipError_tPvRmT2_T3_mT4_T5_T6_T7_T8_P12ihipStream_tbENKUlT_T0_E_clISt17integral_constantIbLb0EES10_IbLb1EEEEDaSW_SX_EUlSW_E_NS1_11comp_targetILNS1_3genE2ELNS1_11target_archE906ELNS1_3gpuE6ELNS1_3repE0EEENS1_30default_config_static_selectorELNS0_4arch9wavefront6targetE0EEEvT1_: ; @_ZN7rocprim17ROCPRIM_400000_NS6detail17trampoline_kernelINS0_14default_configENS1_29reduce_by_key_config_selectorIffN6thrust23THRUST_200600_302600_NS4plusIfEEEEZZNS1_33reduce_by_key_impl_wrapped_configILNS1_25lookback_scan_determinismE1ES3_S9_NS6_6detail15normal_iteratorINS6_10device_ptrIfEEEESG_SG_SG_PmS8_NS6_8equal_toIfEEEE10hipError_tPvRmT2_T3_mT4_T5_T6_T7_T8_P12ihipStream_tbENKUlT_T0_E_clISt17integral_constantIbLb0EES10_IbLb1EEEEDaSW_SX_EUlSW_E_NS1_11comp_targetILNS1_3genE2ELNS1_11target_archE906ELNS1_3gpuE6ELNS1_3repE0EEENS1_30default_config_static_selectorELNS0_4arch9wavefront6targetE0EEEvT1_
; %bb.0:
	.section	.rodata,"a",@progbits
	.p2align	6, 0x0
	.amdhsa_kernel _ZN7rocprim17ROCPRIM_400000_NS6detail17trampoline_kernelINS0_14default_configENS1_29reduce_by_key_config_selectorIffN6thrust23THRUST_200600_302600_NS4plusIfEEEEZZNS1_33reduce_by_key_impl_wrapped_configILNS1_25lookback_scan_determinismE1ES3_S9_NS6_6detail15normal_iteratorINS6_10device_ptrIfEEEESG_SG_SG_PmS8_NS6_8equal_toIfEEEE10hipError_tPvRmT2_T3_mT4_T5_T6_T7_T8_P12ihipStream_tbENKUlT_T0_E_clISt17integral_constantIbLb0EES10_IbLb1EEEEDaSW_SX_EUlSW_E_NS1_11comp_targetILNS1_3genE2ELNS1_11target_archE906ELNS1_3gpuE6ELNS1_3repE0EEENS1_30default_config_static_selectorELNS0_4arch9wavefront6targetE0EEEvT1_
		.amdhsa_group_segment_fixed_size 0
		.amdhsa_private_segment_fixed_size 0
		.amdhsa_kernarg_size 120
		.amdhsa_user_sgpr_count 15
		.amdhsa_user_sgpr_dispatch_ptr 0
		.amdhsa_user_sgpr_queue_ptr 0
		.amdhsa_user_sgpr_kernarg_segment_ptr 1
		.amdhsa_user_sgpr_dispatch_id 0
		.amdhsa_user_sgpr_private_segment_size 0
		.amdhsa_wavefront_size32 1
		.amdhsa_uses_dynamic_stack 0
		.amdhsa_enable_private_segment 0
		.amdhsa_system_sgpr_workgroup_id_x 1
		.amdhsa_system_sgpr_workgroup_id_y 0
		.amdhsa_system_sgpr_workgroup_id_z 0
		.amdhsa_system_sgpr_workgroup_info 0
		.amdhsa_system_vgpr_workitem_id 0
		.amdhsa_next_free_vgpr 1
		.amdhsa_next_free_sgpr 1
		.amdhsa_reserve_vcc 0
		.amdhsa_float_round_mode_32 0
		.amdhsa_float_round_mode_16_64 0
		.amdhsa_float_denorm_mode_32 3
		.amdhsa_float_denorm_mode_16_64 3
		.amdhsa_dx10_clamp 1
		.amdhsa_ieee_mode 1
		.amdhsa_fp16_overflow 0
		.amdhsa_workgroup_processor_mode 1
		.amdhsa_memory_ordered 1
		.amdhsa_forward_progress 0
		.amdhsa_shared_vgpr_count 0
		.amdhsa_exception_fp_ieee_invalid_op 0
		.amdhsa_exception_fp_denorm_src 0
		.amdhsa_exception_fp_ieee_div_zero 0
		.amdhsa_exception_fp_ieee_overflow 0
		.amdhsa_exception_fp_ieee_underflow 0
		.amdhsa_exception_fp_ieee_inexact 0
		.amdhsa_exception_int_div_zero 0
	.end_amdhsa_kernel
	.section	.text._ZN7rocprim17ROCPRIM_400000_NS6detail17trampoline_kernelINS0_14default_configENS1_29reduce_by_key_config_selectorIffN6thrust23THRUST_200600_302600_NS4plusIfEEEEZZNS1_33reduce_by_key_impl_wrapped_configILNS1_25lookback_scan_determinismE1ES3_S9_NS6_6detail15normal_iteratorINS6_10device_ptrIfEEEESG_SG_SG_PmS8_NS6_8equal_toIfEEEE10hipError_tPvRmT2_T3_mT4_T5_T6_T7_T8_P12ihipStream_tbENKUlT_T0_E_clISt17integral_constantIbLb0EES10_IbLb1EEEEDaSW_SX_EUlSW_E_NS1_11comp_targetILNS1_3genE2ELNS1_11target_archE906ELNS1_3gpuE6ELNS1_3repE0EEENS1_30default_config_static_selectorELNS0_4arch9wavefront6targetE0EEEvT1_,"axG",@progbits,_ZN7rocprim17ROCPRIM_400000_NS6detail17trampoline_kernelINS0_14default_configENS1_29reduce_by_key_config_selectorIffN6thrust23THRUST_200600_302600_NS4plusIfEEEEZZNS1_33reduce_by_key_impl_wrapped_configILNS1_25lookback_scan_determinismE1ES3_S9_NS6_6detail15normal_iteratorINS6_10device_ptrIfEEEESG_SG_SG_PmS8_NS6_8equal_toIfEEEE10hipError_tPvRmT2_T3_mT4_T5_T6_T7_T8_P12ihipStream_tbENKUlT_T0_E_clISt17integral_constantIbLb0EES10_IbLb1EEEEDaSW_SX_EUlSW_E_NS1_11comp_targetILNS1_3genE2ELNS1_11target_archE906ELNS1_3gpuE6ELNS1_3repE0EEENS1_30default_config_static_selectorELNS0_4arch9wavefront6targetE0EEEvT1_,comdat
.Lfunc_end123:
	.size	_ZN7rocprim17ROCPRIM_400000_NS6detail17trampoline_kernelINS0_14default_configENS1_29reduce_by_key_config_selectorIffN6thrust23THRUST_200600_302600_NS4plusIfEEEEZZNS1_33reduce_by_key_impl_wrapped_configILNS1_25lookback_scan_determinismE1ES3_S9_NS6_6detail15normal_iteratorINS6_10device_ptrIfEEEESG_SG_SG_PmS8_NS6_8equal_toIfEEEE10hipError_tPvRmT2_T3_mT4_T5_T6_T7_T8_P12ihipStream_tbENKUlT_T0_E_clISt17integral_constantIbLb0EES10_IbLb1EEEEDaSW_SX_EUlSW_E_NS1_11comp_targetILNS1_3genE2ELNS1_11target_archE906ELNS1_3gpuE6ELNS1_3repE0EEENS1_30default_config_static_selectorELNS0_4arch9wavefront6targetE0EEEvT1_, .Lfunc_end123-_ZN7rocprim17ROCPRIM_400000_NS6detail17trampoline_kernelINS0_14default_configENS1_29reduce_by_key_config_selectorIffN6thrust23THRUST_200600_302600_NS4plusIfEEEEZZNS1_33reduce_by_key_impl_wrapped_configILNS1_25lookback_scan_determinismE1ES3_S9_NS6_6detail15normal_iteratorINS6_10device_ptrIfEEEESG_SG_SG_PmS8_NS6_8equal_toIfEEEE10hipError_tPvRmT2_T3_mT4_T5_T6_T7_T8_P12ihipStream_tbENKUlT_T0_E_clISt17integral_constantIbLb0EES10_IbLb1EEEEDaSW_SX_EUlSW_E_NS1_11comp_targetILNS1_3genE2ELNS1_11target_archE906ELNS1_3gpuE6ELNS1_3repE0EEENS1_30default_config_static_selectorELNS0_4arch9wavefront6targetE0EEEvT1_
                                        ; -- End function
	.section	.AMDGPU.csdata,"",@progbits
; Kernel info:
; codeLenInByte = 0
; NumSgprs: 0
; NumVgprs: 0
; ScratchSize: 0
; MemoryBound: 0
; FloatMode: 240
; IeeeMode: 1
; LDSByteSize: 0 bytes/workgroup (compile time only)
; SGPRBlocks: 0
; VGPRBlocks: 0
; NumSGPRsForWavesPerEU: 1
; NumVGPRsForWavesPerEU: 1
; Occupancy: 16
; WaveLimiterHint : 0
; COMPUTE_PGM_RSRC2:SCRATCH_EN: 0
; COMPUTE_PGM_RSRC2:USER_SGPR: 15
; COMPUTE_PGM_RSRC2:TRAP_HANDLER: 0
; COMPUTE_PGM_RSRC2:TGID_X_EN: 1
; COMPUTE_PGM_RSRC2:TGID_Y_EN: 0
; COMPUTE_PGM_RSRC2:TGID_Z_EN: 0
; COMPUTE_PGM_RSRC2:TIDIG_COMP_CNT: 0
	.section	.text._ZN7rocprim17ROCPRIM_400000_NS6detail17trampoline_kernelINS0_14default_configENS1_29reduce_by_key_config_selectorIffN6thrust23THRUST_200600_302600_NS4plusIfEEEEZZNS1_33reduce_by_key_impl_wrapped_configILNS1_25lookback_scan_determinismE1ES3_S9_NS6_6detail15normal_iteratorINS6_10device_ptrIfEEEESG_SG_SG_PmS8_NS6_8equal_toIfEEEE10hipError_tPvRmT2_T3_mT4_T5_T6_T7_T8_P12ihipStream_tbENKUlT_T0_E_clISt17integral_constantIbLb0EES10_IbLb1EEEEDaSW_SX_EUlSW_E_NS1_11comp_targetILNS1_3genE10ELNS1_11target_archE1201ELNS1_3gpuE5ELNS1_3repE0EEENS1_30default_config_static_selectorELNS0_4arch9wavefront6targetE0EEEvT1_,"axG",@progbits,_ZN7rocprim17ROCPRIM_400000_NS6detail17trampoline_kernelINS0_14default_configENS1_29reduce_by_key_config_selectorIffN6thrust23THRUST_200600_302600_NS4plusIfEEEEZZNS1_33reduce_by_key_impl_wrapped_configILNS1_25lookback_scan_determinismE1ES3_S9_NS6_6detail15normal_iteratorINS6_10device_ptrIfEEEESG_SG_SG_PmS8_NS6_8equal_toIfEEEE10hipError_tPvRmT2_T3_mT4_T5_T6_T7_T8_P12ihipStream_tbENKUlT_T0_E_clISt17integral_constantIbLb0EES10_IbLb1EEEEDaSW_SX_EUlSW_E_NS1_11comp_targetILNS1_3genE10ELNS1_11target_archE1201ELNS1_3gpuE5ELNS1_3repE0EEENS1_30default_config_static_selectorELNS0_4arch9wavefront6targetE0EEEvT1_,comdat
	.protected	_ZN7rocprim17ROCPRIM_400000_NS6detail17trampoline_kernelINS0_14default_configENS1_29reduce_by_key_config_selectorIffN6thrust23THRUST_200600_302600_NS4plusIfEEEEZZNS1_33reduce_by_key_impl_wrapped_configILNS1_25lookback_scan_determinismE1ES3_S9_NS6_6detail15normal_iteratorINS6_10device_ptrIfEEEESG_SG_SG_PmS8_NS6_8equal_toIfEEEE10hipError_tPvRmT2_T3_mT4_T5_T6_T7_T8_P12ihipStream_tbENKUlT_T0_E_clISt17integral_constantIbLb0EES10_IbLb1EEEEDaSW_SX_EUlSW_E_NS1_11comp_targetILNS1_3genE10ELNS1_11target_archE1201ELNS1_3gpuE5ELNS1_3repE0EEENS1_30default_config_static_selectorELNS0_4arch9wavefront6targetE0EEEvT1_ ; -- Begin function _ZN7rocprim17ROCPRIM_400000_NS6detail17trampoline_kernelINS0_14default_configENS1_29reduce_by_key_config_selectorIffN6thrust23THRUST_200600_302600_NS4plusIfEEEEZZNS1_33reduce_by_key_impl_wrapped_configILNS1_25lookback_scan_determinismE1ES3_S9_NS6_6detail15normal_iteratorINS6_10device_ptrIfEEEESG_SG_SG_PmS8_NS6_8equal_toIfEEEE10hipError_tPvRmT2_T3_mT4_T5_T6_T7_T8_P12ihipStream_tbENKUlT_T0_E_clISt17integral_constantIbLb0EES10_IbLb1EEEEDaSW_SX_EUlSW_E_NS1_11comp_targetILNS1_3genE10ELNS1_11target_archE1201ELNS1_3gpuE5ELNS1_3repE0EEENS1_30default_config_static_selectorELNS0_4arch9wavefront6targetE0EEEvT1_
	.globl	_ZN7rocprim17ROCPRIM_400000_NS6detail17trampoline_kernelINS0_14default_configENS1_29reduce_by_key_config_selectorIffN6thrust23THRUST_200600_302600_NS4plusIfEEEEZZNS1_33reduce_by_key_impl_wrapped_configILNS1_25lookback_scan_determinismE1ES3_S9_NS6_6detail15normal_iteratorINS6_10device_ptrIfEEEESG_SG_SG_PmS8_NS6_8equal_toIfEEEE10hipError_tPvRmT2_T3_mT4_T5_T6_T7_T8_P12ihipStream_tbENKUlT_T0_E_clISt17integral_constantIbLb0EES10_IbLb1EEEEDaSW_SX_EUlSW_E_NS1_11comp_targetILNS1_3genE10ELNS1_11target_archE1201ELNS1_3gpuE5ELNS1_3repE0EEENS1_30default_config_static_selectorELNS0_4arch9wavefront6targetE0EEEvT1_
	.p2align	8
	.type	_ZN7rocprim17ROCPRIM_400000_NS6detail17trampoline_kernelINS0_14default_configENS1_29reduce_by_key_config_selectorIffN6thrust23THRUST_200600_302600_NS4plusIfEEEEZZNS1_33reduce_by_key_impl_wrapped_configILNS1_25lookback_scan_determinismE1ES3_S9_NS6_6detail15normal_iteratorINS6_10device_ptrIfEEEESG_SG_SG_PmS8_NS6_8equal_toIfEEEE10hipError_tPvRmT2_T3_mT4_T5_T6_T7_T8_P12ihipStream_tbENKUlT_T0_E_clISt17integral_constantIbLb0EES10_IbLb1EEEEDaSW_SX_EUlSW_E_NS1_11comp_targetILNS1_3genE10ELNS1_11target_archE1201ELNS1_3gpuE5ELNS1_3repE0EEENS1_30default_config_static_selectorELNS0_4arch9wavefront6targetE0EEEvT1_,@function
_ZN7rocprim17ROCPRIM_400000_NS6detail17trampoline_kernelINS0_14default_configENS1_29reduce_by_key_config_selectorIffN6thrust23THRUST_200600_302600_NS4plusIfEEEEZZNS1_33reduce_by_key_impl_wrapped_configILNS1_25lookback_scan_determinismE1ES3_S9_NS6_6detail15normal_iteratorINS6_10device_ptrIfEEEESG_SG_SG_PmS8_NS6_8equal_toIfEEEE10hipError_tPvRmT2_T3_mT4_T5_T6_T7_T8_P12ihipStream_tbENKUlT_T0_E_clISt17integral_constantIbLb0EES10_IbLb1EEEEDaSW_SX_EUlSW_E_NS1_11comp_targetILNS1_3genE10ELNS1_11target_archE1201ELNS1_3gpuE5ELNS1_3repE0EEENS1_30default_config_static_selectorELNS0_4arch9wavefront6targetE0EEEvT1_: ; @_ZN7rocprim17ROCPRIM_400000_NS6detail17trampoline_kernelINS0_14default_configENS1_29reduce_by_key_config_selectorIffN6thrust23THRUST_200600_302600_NS4plusIfEEEEZZNS1_33reduce_by_key_impl_wrapped_configILNS1_25lookback_scan_determinismE1ES3_S9_NS6_6detail15normal_iteratorINS6_10device_ptrIfEEEESG_SG_SG_PmS8_NS6_8equal_toIfEEEE10hipError_tPvRmT2_T3_mT4_T5_T6_T7_T8_P12ihipStream_tbENKUlT_T0_E_clISt17integral_constantIbLb0EES10_IbLb1EEEEDaSW_SX_EUlSW_E_NS1_11comp_targetILNS1_3genE10ELNS1_11target_archE1201ELNS1_3gpuE5ELNS1_3repE0EEENS1_30default_config_static_selectorELNS0_4arch9wavefront6targetE0EEEvT1_
; %bb.0:
	.section	.rodata,"a",@progbits
	.p2align	6, 0x0
	.amdhsa_kernel _ZN7rocprim17ROCPRIM_400000_NS6detail17trampoline_kernelINS0_14default_configENS1_29reduce_by_key_config_selectorIffN6thrust23THRUST_200600_302600_NS4plusIfEEEEZZNS1_33reduce_by_key_impl_wrapped_configILNS1_25lookback_scan_determinismE1ES3_S9_NS6_6detail15normal_iteratorINS6_10device_ptrIfEEEESG_SG_SG_PmS8_NS6_8equal_toIfEEEE10hipError_tPvRmT2_T3_mT4_T5_T6_T7_T8_P12ihipStream_tbENKUlT_T0_E_clISt17integral_constantIbLb0EES10_IbLb1EEEEDaSW_SX_EUlSW_E_NS1_11comp_targetILNS1_3genE10ELNS1_11target_archE1201ELNS1_3gpuE5ELNS1_3repE0EEENS1_30default_config_static_selectorELNS0_4arch9wavefront6targetE0EEEvT1_
		.amdhsa_group_segment_fixed_size 0
		.amdhsa_private_segment_fixed_size 0
		.amdhsa_kernarg_size 120
		.amdhsa_user_sgpr_count 15
		.amdhsa_user_sgpr_dispatch_ptr 0
		.amdhsa_user_sgpr_queue_ptr 0
		.amdhsa_user_sgpr_kernarg_segment_ptr 1
		.amdhsa_user_sgpr_dispatch_id 0
		.amdhsa_user_sgpr_private_segment_size 0
		.amdhsa_wavefront_size32 1
		.amdhsa_uses_dynamic_stack 0
		.amdhsa_enable_private_segment 0
		.amdhsa_system_sgpr_workgroup_id_x 1
		.amdhsa_system_sgpr_workgroup_id_y 0
		.amdhsa_system_sgpr_workgroup_id_z 0
		.amdhsa_system_sgpr_workgroup_info 0
		.amdhsa_system_vgpr_workitem_id 0
		.amdhsa_next_free_vgpr 1
		.amdhsa_next_free_sgpr 1
		.amdhsa_reserve_vcc 0
		.amdhsa_float_round_mode_32 0
		.amdhsa_float_round_mode_16_64 0
		.amdhsa_float_denorm_mode_32 3
		.amdhsa_float_denorm_mode_16_64 3
		.amdhsa_dx10_clamp 1
		.amdhsa_ieee_mode 1
		.amdhsa_fp16_overflow 0
		.amdhsa_workgroup_processor_mode 1
		.amdhsa_memory_ordered 1
		.amdhsa_forward_progress 0
		.amdhsa_shared_vgpr_count 0
		.amdhsa_exception_fp_ieee_invalid_op 0
		.amdhsa_exception_fp_denorm_src 0
		.amdhsa_exception_fp_ieee_div_zero 0
		.amdhsa_exception_fp_ieee_overflow 0
		.amdhsa_exception_fp_ieee_underflow 0
		.amdhsa_exception_fp_ieee_inexact 0
		.amdhsa_exception_int_div_zero 0
	.end_amdhsa_kernel
	.section	.text._ZN7rocprim17ROCPRIM_400000_NS6detail17trampoline_kernelINS0_14default_configENS1_29reduce_by_key_config_selectorIffN6thrust23THRUST_200600_302600_NS4plusIfEEEEZZNS1_33reduce_by_key_impl_wrapped_configILNS1_25lookback_scan_determinismE1ES3_S9_NS6_6detail15normal_iteratorINS6_10device_ptrIfEEEESG_SG_SG_PmS8_NS6_8equal_toIfEEEE10hipError_tPvRmT2_T3_mT4_T5_T6_T7_T8_P12ihipStream_tbENKUlT_T0_E_clISt17integral_constantIbLb0EES10_IbLb1EEEEDaSW_SX_EUlSW_E_NS1_11comp_targetILNS1_3genE10ELNS1_11target_archE1201ELNS1_3gpuE5ELNS1_3repE0EEENS1_30default_config_static_selectorELNS0_4arch9wavefront6targetE0EEEvT1_,"axG",@progbits,_ZN7rocprim17ROCPRIM_400000_NS6detail17trampoline_kernelINS0_14default_configENS1_29reduce_by_key_config_selectorIffN6thrust23THRUST_200600_302600_NS4plusIfEEEEZZNS1_33reduce_by_key_impl_wrapped_configILNS1_25lookback_scan_determinismE1ES3_S9_NS6_6detail15normal_iteratorINS6_10device_ptrIfEEEESG_SG_SG_PmS8_NS6_8equal_toIfEEEE10hipError_tPvRmT2_T3_mT4_T5_T6_T7_T8_P12ihipStream_tbENKUlT_T0_E_clISt17integral_constantIbLb0EES10_IbLb1EEEEDaSW_SX_EUlSW_E_NS1_11comp_targetILNS1_3genE10ELNS1_11target_archE1201ELNS1_3gpuE5ELNS1_3repE0EEENS1_30default_config_static_selectorELNS0_4arch9wavefront6targetE0EEEvT1_,comdat
.Lfunc_end124:
	.size	_ZN7rocprim17ROCPRIM_400000_NS6detail17trampoline_kernelINS0_14default_configENS1_29reduce_by_key_config_selectorIffN6thrust23THRUST_200600_302600_NS4plusIfEEEEZZNS1_33reduce_by_key_impl_wrapped_configILNS1_25lookback_scan_determinismE1ES3_S9_NS6_6detail15normal_iteratorINS6_10device_ptrIfEEEESG_SG_SG_PmS8_NS6_8equal_toIfEEEE10hipError_tPvRmT2_T3_mT4_T5_T6_T7_T8_P12ihipStream_tbENKUlT_T0_E_clISt17integral_constantIbLb0EES10_IbLb1EEEEDaSW_SX_EUlSW_E_NS1_11comp_targetILNS1_3genE10ELNS1_11target_archE1201ELNS1_3gpuE5ELNS1_3repE0EEENS1_30default_config_static_selectorELNS0_4arch9wavefront6targetE0EEEvT1_, .Lfunc_end124-_ZN7rocprim17ROCPRIM_400000_NS6detail17trampoline_kernelINS0_14default_configENS1_29reduce_by_key_config_selectorIffN6thrust23THRUST_200600_302600_NS4plusIfEEEEZZNS1_33reduce_by_key_impl_wrapped_configILNS1_25lookback_scan_determinismE1ES3_S9_NS6_6detail15normal_iteratorINS6_10device_ptrIfEEEESG_SG_SG_PmS8_NS6_8equal_toIfEEEE10hipError_tPvRmT2_T3_mT4_T5_T6_T7_T8_P12ihipStream_tbENKUlT_T0_E_clISt17integral_constantIbLb0EES10_IbLb1EEEEDaSW_SX_EUlSW_E_NS1_11comp_targetILNS1_3genE10ELNS1_11target_archE1201ELNS1_3gpuE5ELNS1_3repE0EEENS1_30default_config_static_selectorELNS0_4arch9wavefront6targetE0EEEvT1_
                                        ; -- End function
	.section	.AMDGPU.csdata,"",@progbits
; Kernel info:
; codeLenInByte = 0
; NumSgprs: 0
; NumVgprs: 0
; ScratchSize: 0
; MemoryBound: 0
; FloatMode: 240
; IeeeMode: 1
; LDSByteSize: 0 bytes/workgroup (compile time only)
; SGPRBlocks: 0
; VGPRBlocks: 0
; NumSGPRsForWavesPerEU: 1
; NumVGPRsForWavesPerEU: 1
; Occupancy: 16
; WaveLimiterHint : 0
; COMPUTE_PGM_RSRC2:SCRATCH_EN: 0
; COMPUTE_PGM_RSRC2:USER_SGPR: 15
; COMPUTE_PGM_RSRC2:TRAP_HANDLER: 0
; COMPUTE_PGM_RSRC2:TGID_X_EN: 1
; COMPUTE_PGM_RSRC2:TGID_Y_EN: 0
; COMPUTE_PGM_RSRC2:TGID_Z_EN: 0
; COMPUTE_PGM_RSRC2:TIDIG_COMP_CNT: 0
	.section	.text._ZN7rocprim17ROCPRIM_400000_NS6detail17trampoline_kernelINS0_14default_configENS1_29reduce_by_key_config_selectorIffN6thrust23THRUST_200600_302600_NS4plusIfEEEEZZNS1_33reduce_by_key_impl_wrapped_configILNS1_25lookback_scan_determinismE1ES3_S9_NS6_6detail15normal_iteratorINS6_10device_ptrIfEEEESG_SG_SG_PmS8_NS6_8equal_toIfEEEE10hipError_tPvRmT2_T3_mT4_T5_T6_T7_T8_P12ihipStream_tbENKUlT_T0_E_clISt17integral_constantIbLb0EES10_IbLb1EEEEDaSW_SX_EUlSW_E_NS1_11comp_targetILNS1_3genE10ELNS1_11target_archE1200ELNS1_3gpuE4ELNS1_3repE0EEENS1_30default_config_static_selectorELNS0_4arch9wavefront6targetE0EEEvT1_,"axG",@progbits,_ZN7rocprim17ROCPRIM_400000_NS6detail17trampoline_kernelINS0_14default_configENS1_29reduce_by_key_config_selectorIffN6thrust23THRUST_200600_302600_NS4plusIfEEEEZZNS1_33reduce_by_key_impl_wrapped_configILNS1_25lookback_scan_determinismE1ES3_S9_NS6_6detail15normal_iteratorINS6_10device_ptrIfEEEESG_SG_SG_PmS8_NS6_8equal_toIfEEEE10hipError_tPvRmT2_T3_mT4_T5_T6_T7_T8_P12ihipStream_tbENKUlT_T0_E_clISt17integral_constantIbLb0EES10_IbLb1EEEEDaSW_SX_EUlSW_E_NS1_11comp_targetILNS1_3genE10ELNS1_11target_archE1200ELNS1_3gpuE4ELNS1_3repE0EEENS1_30default_config_static_selectorELNS0_4arch9wavefront6targetE0EEEvT1_,comdat
	.protected	_ZN7rocprim17ROCPRIM_400000_NS6detail17trampoline_kernelINS0_14default_configENS1_29reduce_by_key_config_selectorIffN6thrust23THRUST_200600_302600_NS4plusIfEEEEZZNS1_33reduce_by_key_impl_wrapped_configILNS1_25lookback_scan_determinismE1ES3_S9_NS6_6detail15normal_iteratorINS6_10device_ptrIfEEEESG_SG_SG_PmS8_NS6_8equal_toIfEEEE10hipError_tPvRmT2_T3_mT4_T5_T6_T7_T8_P12ihipStream_tbENKUlT_T0_E_clISt17integral_constantIbLb0EES10_IbLb1EEEEDaSW_SX_EUlSW_E_NS1_11comp_targetILNS1_3genE10ELNS1_11target_archE1200ELNS1_3gpuE4ELNS1_3repE0EEENS1_30default_config_static_selectorELNS0_4arch9wavefront6targetE0EEEvT1_ ; -- Begin function _ZN7rocprim17ROCPRIM_400000_NS6detail17trampoline_kernelINS0_14default_configENS1_29reduce_by_key_config_selectorIffN6thrust23THRUST_200600_302600_NS4plusIfEEEEZZNS1_33reduce_by_key_impl_wrapped_configILNS1_25lookback_scan_determinismE1ES3_S9_NS6_6detail15normal_iteratorINS6_10device_ptrIfEEEESG_SG_SG_PmS8_NS6_8equal_toIfEEEE10hipError_tPvRmT2_T3_mT4_T5_T6_T7_T8_P12ihipStream_tbENKUlT_T0_E_clISt17integral_constantIbLb0EES10_IbLb1EEEEDaSW_SX_EUlSW_E_NS1_11comp_targetILNS1_3genE10ELNS1_11target_archE1200ELNS1_3gpuE4ELNS1_3repE0EEENS1_30default_config_static_selectorELNS0_4arch9wavefront6targetE0EEEvT1_
	.globl	_ZN7rocprim17ROCPRIM_400000_NS6detail17trampoline_kernelINS0_14default_configENS1_29reduce_by_key_config_selectorIffN6thrust23THRUST_200600_302600_NS4plusIfEEEEZZNS1_33reduce_by_key_impl_wrapped_configILNS1_25lookback_scan_determinismE1ES3_S9_NS6_6detail15normal_iteratorINS6_10device_ptrIfEEEESG_SG_SG_PmS8_NS6_8equal_toIfEEEE10hipError_tPvRmT2_T3_mT4_T5_T6_T7_T8_P12ihipStream_tbENKUlT_T0_E_clISt17integral_constantIbLb0EES10_IbLb1EEEEDaSW_SX_EUlSW_E_NS1_11comp_targetILNS1_3genE10ELNS1_11target_archE1200ELNS1_3gpuE4ELNS1_3repE0EEENS1_30default_config_static_selectorELNS0_4arch9wavefront6targetE0EEEvT1_
	.p2align	8
	.type	_ZN7rocprim17ROCPRIM_400000_NS6detail17trampoline_kernelINS0_14default_configENS1_29reduce_by_key_config_selectorIffN6thrust23THRUST_200600_302600_NS4plusIfEEEEZZNS1_33reduce_by_key_impl_wrapped_configILNS1_25lookback_scan_determinismE1ES3_S9_NS6_6detail15normal_iteratorINS6_10device_ptrIfEEEESG_SG_SG_PmS8_NS6_8equal_toIfEEEE10hipError_tPvRmT2_T3_mT4_T5_T6_T7_T8_P12ihipStream_tbENKUlT_T0_E_clISt17integral_constantIbLb0EES10_IbLb1EEEEDaSW_SX_EUlSW_E_NS1_11comp_targetILNS1_3genE10ELNS1_11target_archE1200ELNS1_3gpuE4ELNS1_3repE0EEENS1_30default_config_static_selectorELNS0_4arch9wavefront6targetE0EEEvT1_,@function
_ZN7rocprim17ROCPRIM_400000_NS6detail17trampoline_kernelINS0_14default_configENS1_29reduce_by_key_config_selectorIffN6thrust23THRUST_200600_302600_NS4plusIfEEEEZZNS1_33reduce_by_key_impl_wrapped_configILNS1_25lookback_scan_determinismE1ES3_S9_NS6_6detail15normal_iteratorINS6_10device_ptrIfEEEESG_SG_SG_PmS8_NS6_8equal_toIfEEEE10hipError_tPvRmT2_T3_mT4_T5_T6_T7_T8_P12ihipStream_tbENKUlT_T0_E_clISt17integral_constantIbLb0EES10_IbLb1EEEEDaSW_SX_EUlSW_E_NS1_11comp_targetILNS1_3genE10ELNS1_11target_archE1200ELNS1_3gpuE4ELNS1_3repE0EEENS1_30default_config_static_selectorELNS0_4arch9wavefront6targetE0EEEvT1_: ; @_ZN7rocprim17ROCPRIM_400000_NS6detail17trampoline_kernelINS0_14default_configENS1_29reduce_by_key_config_selectorIffN6thrust23THRUST_200600_302600_NS4plusIfEEEEZZNS1_33reduce_by_key_impl_wrapped_configILNS1_25lookback_scan_determinismE1ES3_S9_NS6_6detail15normal_iteratorINS6_10device_ptrIfEEEESG_SG_SG_PmS8_NS6_8equal_toIfEEEE10hipError_tPvRmT2_T3_mT4_T5_T6_T7_T8_P12ihipStream_tbENKUlT_T0_E_clISt17integral_constantIbLb0EES10_IbLb1EEEEDaSW_SX_EUlSW_E_NS1_11comp_targetILNS1_3genE10ELNS1_11target_archE1200ELNS1_3gpuE4ELNS1_3repE0EEENS1_30default_config_static_selectorELNS0_4arch9wavefront6targetE0EEEvT1_
; %bb.0:
	.section	.rodata,"a",@progbits
	.p2align	6, 0x0
	.amdhsa_kernel _ZN7rocprim17ROCPRIM_400000_NS6detail17trampoline_kernelINS0_14default_configENS1_29reduce_by_key_config_selectorIffN6thrust23THRUST_200600_302600_NS4plusIfEEEEZZNS1_33reduce_by_key_impl_wrapped_configILNS1_25lookback_scan_determinismE1ES3_S9_NS6_6detail15normal_iteratorINS6_10device_ptrIfEEEESG_SG_SG_PmS8_NS6_8equal_toIfEEEE10hipError_tPvRmT2_T3_mT4_T5_T6_T7_T8_P12ihipStream_tbENKUlT_T0_E_clISt17integral_constantIbLb0EES10_IbLb1EEEEDaSW_SX_EUlSW_E_NS1_11comp_targetILNS1_3genE10ELNS1_11target_archE1200ELNS1_3gpuE4ELNS1_3repE0EEENS1_30default_config_static_selectorELNS0_4arch9wavefront6targetE0EEEvT1_
		.amdhsa_group_segment_fixed_size 0
		.amdhsa_private_segment_fixed_size 0
		.amdhsa_kernarg_size 120
		.amdhsa_user_sgpr_count 15
		.amdhsa_user_sgpr_dispatch_ptr 0
		.amdhsa_user_sgpr_queue_ptr 0
		.amdhsa_user_sgpr_kernarg_segment_ptr 1
		.amdhsa_user_sgpr_dispatch_id 0
		.amdhsa_user_sgpr_private_segment_size 0
		.amdhsa_wavefront_size32 1
		.amdhsa_uses_dynamic_stack 0
		.amdhsa_enable_private_segment 0
		.amdhsa_system_sgpr_workgroup_id_x 1
		.amdhsa_system_sgpr_workgroup_id_y 0
		.amdhsa_system_sgpr_workgroup_id_z 0
		.amdhsa_system_sgpr_workgroup_info 0
		.amdhsa_system_vgpr_workitem_id 0
		.amdhsa_next_free_vgpr 1
		.amdhsa_next_free_sgpr 1
		.amdhsa_reserve_vcc 0
		.amdhsa_float_round_mode_32 0
		.amdhsa_float_round_mode_16_64 0
		.amdhsa_float_denorm_mode_32 3
		.amdhsa_float_denorm_mode_16_64 3
		.amdhsa_dx10_clamp 1
		.amdhsa_ieee_mode 1
		.amdhsa_fp16_overflow 0
		.amdhsa_workgroup_processor_mode 1
		.amdhsa_memory_ordered 1
		.amdhsa_forward_progress 0
		.amdhsa_shared_vgpr_count 0
		.amdhsa_exception_fp_ieee_invalid_op 0
		.amdhsa_exception_fp_denorm_src 0
		.amdhsa_exception_fp_ieee_div_zero 0
		.amdhsa_exception_fp_ieee_overflow 0
		.amdhsa_exception_fp_ieee_underflow 0
		.amdhsa_exception_fp_ieee_inexact 0
		.amdhsa_exception_int_div_zero 0
	.end_amdhsa_kernel
	.section	.text._ZN7rocprim17ROCPRIM_400000_NS6detail17trampoline_kernelINS0_14default_configENS1_29reduce_by_key_config_selectorIffN6thrust23THRUST_200600_302600_NS4plusIfEEEEZZNS1_33reduce_by_key_impl_wrapped_configILNS1_25lookback_scan_determinismE1ES3_S9_NS6_6detail15normal_iteratorINS6_10device_ptrIfEEEESG_SG_SG_PmS8_NS6_8equal_toIfEEEE10hipError_tPvRmT2_T3_mT4_T5_T6_T7_T8_P12ihipStream_tbENKUlT_T0_E_clISt17integral_constantIbLb0EES10_IbLb1EEEEDaSW_SX_EUlSW_E_NS1_11comp_targetILNS1_3genE10ELNS1_11target_archE1200ELNS1_3gpuE4ELNS1_3repE0EEENS1_30default_config_static_selectorELNS0_4arch9wavefront6targetE0EEEvT1_,"axG",@progbits,_ZN7rocprim17ROCPRIM_400000_NS6detail17trampoline_kernelINS0_14default_configENS1_29reduce_by_key_config_selectorIffN6thrust23THRUST_200600_302600_NS4plusIfEEEEZZNS1_33reduce_by_key_impl_wrapped_configILNS1_25lookback_scan_determinismE1ES3_S9_NS6_6detail15normal_iteratorINS6_10device_ptrIfEEEESG_SG_SG_PmS8_NS6_8equal_toIfEEEE10hipError_tPvRmT2_T3_mT4_T5_T6_T7_T8_P12ihipStream_tbENKUlT_T0_E_clISt17integral_constantIbLb0EES10_IbLb1EEEEDaSW_SX_EUlSW_E_NS1_11comp_targetILNS1_3genE10ELNS1_11target_archE1200ELNS1_3gpuE4ELNS1_3repE0EEENS1_30default_config_static_selectorELNS0_4arch9wavefront6targetE0EEEvT1_,comdat
.Lfunc_end125:
	.size	_ZN7rocprim17ROCPRIM_400000_NS6detail17trampoline_kernelINS0_14default_configENS1_29reduce_by_key_config_selectorIffN6thrust23THRUST_200600_302600_NS4plusIfEEEEZZNS1_33reduce_by_key_impl_wrapped_configILNS1_25lookback_scan_determinismE1ES3_S9_NS6_6detail15normal_iteratorINS6_10device_ptrIfEEEESG_SG_SG_PmS8_NS6_8equal_toIfEEEE10hipError_tPvRmT2_T3_mT4_T5_T6_T7_T8_P12ihipStream_tbENKUlT_T0_E_clISt17integral_constantIbLb0EES10_IbLb1EEEEDaSW_SX_EUlSW_E_NS1_11comp_targetILNS1_3genE10ELNS1_11target_archE1200ELNS1_3gpuE4ELNS1_3repE0EEENS1_30default_config_static_selectorELNS0_4arch9wavefront6targetE0EEEvT1_, .Lfunc_end125-_ZN7rocprim17ROCPRIM_400000_NS6detail17trampoline_kernelINS0_14default_configENS1_29reduce_by_key_config_selectorIffN6thrust23THRUST_200600_302600_NS4plusIfEEEEZZNS1_33reduce_by_key_impl_wrapped_configILNS1_25lookback_scan_determinismE1ES3_S9_NS6_6detail15normal_iteratorINS6_10device_ptrIfEEEESG_SG_SG_PmS8_NS6_8equal_toIfEEEE10hipError_tPvRmT2_T3_mT4_T5_T6_T7_T8_P12ihipStream_tbENKUlT_T0_E_clISt17integral_constantIbLb0EES10_IbLb1EEEEDaSW_SX_EUlSW_E_NS1_11comp_targetILNS1_3genE10ELNS1_11target_archE1200ELNS1_3gpuE4ELNS1_3repE0EEENS1_30default_config_static_selectorELNS0_4arch9wavefront6targetE0EEEvT1_
                                        ; -- End function
	.section	.AMDGPU.csdata,"",@progbits
; Kernel info:
; codeLenInByte = 0
; NumSgprs: 0
; NumVgprs: 0
; ScratchSize: 0
; MemoryBound: 0
; FloatMode: 240
; IeeeMode: 1
; LDSByteSize: 0 bytes/workgroup (compile time only)
; SGPRBlocks: 0
; VGPRBlocks: 0
; NumSGPRsForWavesPerEU: 1
; NumVGPRsForWavesPerEU: 1
; Occupancy: 16
; WaveLimiterHint : 0
; COMPUTE_PGM_RSRC2:SCRATCH_EN: 0
; COMPUTE_PGM_RSRC2:USER_SGPR: 15
; COMPUTE_PGM_RSRC2:TRAP_HANDLER: 0
; COMPUTE_PGM_RSRC2:TGID_X_EN: 1
; COMPUTE_PGM_RSRC2:TGID_Y_EN: 0
; COMPUTE_PGM_RSRC2:TGID_Z_EN: 0
; COMPUTE_PGM_RSRC2:TIDIG_COMP_CNT: 0
	.section	.text._ZN7rocprim17ROCPRIM_400000_NS6detail17trampoline_kernelINS0_14default_configENS1_29reduce_by_key_config_selectorIffN6thrust23THRUST_200600_302600_NS4plusIfEEEEZZNS1_33reduce_by_key_impl_wrapped_configILNS1_25lookback_scan_determinismE1ES3_S9_NS6_6detail15normal_iteratorINS6_10device_ptrIfEEEESG_SG_SG_PmS8_NS6_8equal_toIfEEEE10hipError_tPvRmT2_T3_mT4_T5_T6_T7_T8_P12ihipStream_tbENKUlT_T0_E_clISt17integral_constantIbLb0EES10_IbLb1EEEEDaSW_SX_EUlSW_E_NS1_11comp_targetILNS1_3genE9ELNS1_11target_archE1100ELNS1_3gpuE3ELNS1_3repE0EEENS1_30default_config_static_selectorELNS0_4arch9wavefront6targetE0EEEvT1_,"axG",@progbits,_ZN7rocprim17ROCPRIM_400000_NS6detail17trampoline_kernelINS0_14default_configENS1_29reduce_by_key_config_selectorIffN6thrust23THRUST_200600_302600_NS4plusIfEEEEZZNS1_33reduce_by_key_impl_wrapped_configILNS1_25lookback_scan_determinismE1ES3_S9_NS6_6detail15normal_iteratorINS6_10device_ptrIfEEEESG_SG_SG_PmS8_NS6_8equal_toIfEEEE10hipError_tPvRmT2_T3_mT4_T5_T6_T7_T8_P12ihipStream_tbENKUlT_T0_E_clISt17integral_constantIbLb0EES10_IbLb1EEEEDaSW_SX_EUlSW_E_NS1_11comp_targetILNS1_3genE9ELNS1_11target_archE1100ELNS1_3gpuE3ELNS1_3repE0EEENS1_30default_config_static_selectorELNS0_4arch9wavefront6targetE0EEEvT1_,comdat
	.protected	_ZN7rocprim17ROCPRIM_400000_NS6detail17trampoline_kernelINS0_14default_configENS1_29reduce_by_key_config_selectorIffN6thrust23THRUST_200600_302600_NS4plusIfEEEEZZNS1_33reduce_by_key_impl_wrapped_configILNS1_25lookback_scan_determinismE1ES3_S9_NS6_6detail15normal_iteratorINS6_10device_ptrIfEEEESG_SG_SG_PmS8_NS6_8equal_toIfEEEE10hipError_tPvRmT2_T3_mT4_T5_T6_T7_T8_P12ihipStream_tbENKUlT_T0_E_clISt17integral_constantIbLb0EES10_IbLb1EEEEDaSW_SX_EUlSW_E_NS1_11comp_targetILNS1_3genE9ELNS1_11target_archE1100ELNS1_3gpuE3ELNS1_3repE0EEENS1_30default_config_static_selectorELNS0_4arch9wavefront6targetE0EEEvT1_ ; -- Begin function _ZN7rocprim17ROCPRIM_400000_NS6detail17trampoline_kernelINS0_14default_configENS1_29reduce_by_key_config_selectorIffN6thrust23THRUST_200600_302600_NS4plusIfEEEEZZNS1_33reduce_by_key_impl_wrapped_configILNS1_25lookback_scan_determinismE1ES3_S9_NS6_6detail15normal_iteratorINS6_10device_ptrIfEEEESG_SG_SG_PmS8_NS6_8equal_toIfEEEE10hipError_tPvRmT2_T3_mT4_T5_T6_T7_T8_P12ihipStream_tbENKUlT_T0_E_clISt17integral_constantIbLb0EES10_IbLb1EEEEDaSW_SX_EUlSW_E_NS1_11comp_targetILNS1_3genE9ELNS1_11target_archE1100ELNS1_3gpuE3ELNS1_3repE0EEENS1_30default_config_static_selectorELNS0_4arch9wavefront6targetE0EEEvT1_
	.globl	_ZN7rocprim17ROCPRIM_400000_NS6detail17trampoline_kernelINS0_14default_configENS1_29reduce_by_key_config_selectorIffN6thrust23THRUST_200600_302600_NS4plusIfEEEEZZNS1_33reduce_by_key_impl_wrapped_configILNS1_25lookback_scan_determinismE1ES3_S9_NS6_6detail15normal_iteratorINS6_10device_ptrIfEEEESG_SG_SG_PmS8_NS6_8equal_toIfEEEE10hipError_tPvRmT2_T3_mT4_T5_T6_T7_T8_P12ihipStream_tbENKUlT_T0_E_clISt17integral_constantIbLb0EES10_IbLb1EEEEDaSW_SX_EUlSW_E_NS1_11comp_targetILNS1_3genE9ELNS1_11target_archE1100ELNS1_3gpuE3ELNS1_3repE0EEENS1_30default_config_static_selectorELNS0_4arch9wavefront6targetE0EEEvT1_
	.p2align	8
	.type	_ZN7rocprim17ROCPRIM_400000_NS6detail17trampoline_kernelINS0_14default_configENS1_29reduce_by_key_config_selectorIffN6thrust23THRUST_200600_302600_NS4plusIfEEEEZZNS1_33reduce_by_key_impl_wrapped_configILNS1_25lookback_scan_determinismE1ES3_S9_NS6_6detail15normal_iteratorINS6_10device_ptrIfEEEESG_SG_SG_PmS8_NS6_8equal_toIfEEEE10hipError_tPvRmT2_T3_mT4_T5_T6_T7_T8_P12ihipStream_tbENKUlT_T0_E_clISt17integral_constantIbLb0EES10_IbLb1EEEEDaSW_SX_EUlSW_E_NS1_11comp_targetILNS1_3genE9ELNS1_11target_archE1100ELNS1_3gpuE3ELNS1_3repE0EEENS1_30default_config_static_selectorELNS0_4arch9wavefront6targetE0EEEvT1_,@function
_ZN7rocprim17ROCPRIM_400000_NS6detail17trampoline_kernelINS0_14default_configENS1_29reduce_by_key_config_selectorIffN6thrust23THRUST_200600_302600_NS4plusIfEEEEZZNS1_33reduce_by_key_impl_wrapped_configILNS1_25lookback_scan_determinismE1ES3_S9_NS6_6detail15normal_iteratorINS6_10device_ptrIfEEEESG_SG_SG_PmS8_NS6_8equal_toIfEEEE10hipError_tPvRmT2_T3_mT4_T5_T6_T7_T8_P12ihipStream_tbENKUlT_T0_E_clISt17integral_constantIbLb0EES10_IbLb1EEEEDaSW_SX_EUlSW_E_NS1_11comp_targetILNS1_3genE9ELNS1_11target_archE1100ELNS1_3gpuE3ELNS1_3repE0EEENS1_30default_config_static_selectorELNS0_4arch9wavefront6targetE0EEEvT1_: ; @_ZN7rocprim17ROCPRIM_400000_NS6detail17trampoline_kernelINS0_14default_configENS1_29reduce_by_key_config_selectorIffN6thrust23THRUST_200600_302600_NS4plusIfEEEEZZNS1_33reduce_by_key_impl_wrapped_configILNS1_25lookback_scan_determinismE1ES3_S9_NS6_6detail15normal_iteratorINS6_10device_ptrIfEEEESG_SG_SG_PmS8_NS6_8equal_toIfEEEE10hipError_tPvRmT2_T3_mT4_T5_T6_T7_T8_P12ihipStream_tbENKUlT_T0_E_clISt17integral_constantIbLb0EES10_IbLb1EEEEDaSW_SX_EUlSW_E_NS1_11comp_targetILNS1_3genE9ELNS1_11target_archE1100ELNS1_3gpuE3ELNS1_3repE0EEENS1_30default_config_static_selectorELNS0_4arch9wavefront6targetE0EEEvT1_
; %bb.0:
	s_clause 0x4
	s_load_b256 s[12:19], s[0:1], 0x0
	s_load_b128 s[28:31], s[0:1], 0x20
	s_load_b256 s[20:27], s[0:1], 0x38
	s_load_b64 s[34:35], s[0:1], 0x68
	s_load_b128 s[36:39], s[0:1], 0x58
	v_cmp_ne_u32_e64 s3, 0, v0
	v_cmp_eq_u32_e64 s2, 0, v0
	s_delay_alu instid0(VALU_DEP_1)
	s_and_saveexec_b32 s4, s2
	s_cbranch_execz .LBB126_4
; %bb.1:
	s_mov_b32 s6, exec_lo
	s_mov_b32 s5, exec_lo
	v_mbcnt_lo_u32_b32 v1, s6, 0
                                        ; implicit-def: $vgpr2
	s_delay_alu instid0(VALU_DEP_1)
	v_cmpx_eq_u32_e32 0, v1
	s_cbranch_execz .LBB126_3
; %bb.2:
	s_load_b64 s[0:1], s[0:1], 0x70
	s_bcnt1_i32_b32 s6, s6
	s_delay_alu instid0(SALU_CYCLE_1)
	v_dual_mov_b32 v2, 0 :: v_dual_mov_b32 v3, s6
	s_waitcnt lgkmcnt(0)
	global_atomic_add_u32 v2, v2, v3, s[0:1] glc
.LBB126_3:
	s_or_b32 exec_lo, exec_lo, s5
	s_waitcnt vmcnt(0)
	v_readfirstlane_b32 s0, v2
	s_delay_alu instid0(VALU_DEP_1)
	v_dual_mov_b32 v2, 0 :: v_dual_add_nc_u32 v1, s0, v1
	ds_store_b32 v2, v1
.LBB126_4:
	s_or_b32 exec_lo, exec_lo, s4
	v_mov_b32_e32 v2, 0
	s_waitcnt lgkmcnt(0)
	s_barrier
	buffer_gl0_inv
	s_lshl_b64 s[4:5], s[14:15], 2
	ds_load_b32 v1, v2
	s_add_u32 s9, s12, s4
	s_mul_i32 s1, s24, s23
	s_mul_hi_u32 s6, s24, s22
	s_addc_u32 s10, s13, s5
	s_add_u32 s11, s16, s4
	s_mul_i32 s7, s25, s22
	s_addc_u32 s12, s17, s5
	s_add_i32 s1, s6, s1
	s_mul_i32 s8, s24, s22
	s_add_i32 s1, s1, s7
	s_mov_b32 s0, 0
	s_waitcnt lgkmcnt(0)
	s_barrier
	buffer_gl0_inv
	v_readfirstlane_b32 s41, v1
	v_mul_lo_u32 v1, 0xf00, v1
	s_delay_alu instid0(VALU_DEP_2) | instskip(SKIP_3) | instid1(VALU_DEP_1)
	s_add_u32 s24, s8, s41
	s_addc_u32 s25, s1, 0
	s_add_u32 s4, s26, -1
	s_addc_u32 s5, s27, -1
	v_lshlrev_b64 v[5:6], 2, v[1:2]
	s_cmp_eq_u64 s[24:25], s[4:5]
	s_mul_i32 s33, s4, 0xfffff100
	s_cselect_b32 s17, -1, 0
	s_cmp_lg_u64 s[24:25], s[4:5]
	s_delay_alu instid0(VALU_DEP_1)
	v_add_co_u32 v4, vcc_lo, s9, v5
	v_add_co_ci_u32_e32 v2, vcc_lo, s10, v6, vcc_lo
	v_add_co_u32 v1, vcc_lo, s11, v5
	v_add_co_ci_u32_e32 v3, vcc_lo, s12, v6, vcc_lo
	s_cselect_b32 s26, -1, 0
	s_and_b32 vcc_lo, exec_lo, s17
	s_cbranch_vccnz .LBB126_6
; %bb.5:
	v_lshlrev_b32_e32 v29, 2, v0
	s_delay_alu instid0(VALU_DEP_1) | instskip(SKIP_1) | instid1(VALU_DEP_2)
	v_add_co_u32 v5, vcc_lo, v4, v29
	v_add_co_ci_u32_e32 v6, vcc_lo, 0, v2, vcc_lo
	v_add_co_u32 v7, vcc_lo, 0x1000, v5
	s_delay_alu instid0(VALU_DEP_2)
	v_add_co_ci_u32_e32 v8, vcc_lo, 0, v6, vcc_lo
	s_clause 0x7
	flat_load_b32 v9, v[5:6]
	flat_load_b32 v10, v[5:6] offset:1024
	flat_load_b32 v11, v[5:6] offset:2048
	;; [unrolled: 1-line block ×3, first 2 shown]
	flat_load_b32 v13, v[7:8]
	flat_load_b32 v14, v[7:8] offset:1024
	flat_load_b32 v15, v[7:8] offset:2048
	;; [unrolled: 1-line block ×3, first 2 shown]
	v_add_co_u32 v7, vcc_lo, 0x2000, v5
	v_add_co_ci_u32_e32 v8, vcc_lo, 0, v6, vcc_lo
	v_add_co_u32 v5, vcc_lo, 0x3000, v5
	v_add_co_ci_u32_e32 v6, vcc_lo, 0, v6, vcc_lo
	s_clause 0x6
	flat_load_b32 v17, v[7:8]
	flat_load_b32 v18, v[7:8] offset:1024
	flat_load_b32 v19, v[7:8] offset:2048
	;; [unrolled: 1-line block ×3, first 2 shown]
	flat_load_b32 v20, v[5:6]
	flat_load_b32 v21, v[5:6] offset:1024
	flat_load_b32 v22, v[5:6] offset:2048
	v_add_co_u32 v6, vcc_lo, v1, v29
	v_add_co_ci_u32_e32 v7, vcc_lo, 0, v3, vcc_lo
	v_mad_u32_u24 v5, v0, 56, v29
	s_delay_alu instid0(VALU_DEP_3) | instskip(NEXT) | instid1(VALU_DEP_3)
	v_add_co_u32 v23, vcc_lo, 0x1000, v6
	v_add_co_ci_u32_e32 v24, vcc_lo, 0, v7, vcc_lo
	v_add_co_u32 v25, vcc_lo, 0x2000, v6
	v_add_co_ci_u32_e32 v26, vcc_lo, 0, v7, vcc_lo
	;; [unrolled: 2-line block ×3, first 2 shown]
	s_waitcnt vmcnt(13) lgkmcnt(13)
	ds_store_2addr_stride64_b32 v29, v9, v10 offset1:4
	s_waitcnt vmcnt(11) lgkmcnt(12)
	ds_store_2addr_stride64_b32 v29, v11, v12 offset0:8 offset1:12
	s_waitcnt vmcnt(9) lgkmcnt(11)
	ds_store_2addr_stride64_b32 v29, v13, v14 offset0:16 offset1:20
	;; [unrolled: 2-line block ×6, first 2 shown]
	s_waitcnt vmcnt(0) lgkmcnt(7)
	ds_store_b32 v29, v22 offset:14336
	s_waitcnt lgkmcnt(0)
	s_barrier
	buffer_gl0_inv
	ds_load_2addr_b32 v[21:22], v5 offset1:1
	ds_load_2addr_b32 v[19:20], v5 offset0:2 offset1:3
	ds_load_2addr_b32 v[17:18], v5 offset0:4 offset1:5
	;; [unrolled: 1-line block ×6, first 2 shown]
	ds_load_b32 v58, v5 offset:56
	s_waitcnt lgkmcnt(0)
	s_barrier
	buffer_gl0_inv
	s_clause 0xe
	flat_load_b32 v8, v[6:7]
	flat_load_b32 v30, v[6:7] offset:1024
	flat_load_b32 v31, v[6:7] offset:2048
	flat_load_b32 v6, v[6:7] offset:3072
	flat_load_b32 v7, v[23:24]
	flat_load_b32 v32, v[23:24] offset:1024
	flat_load_b32 v33, v[23:24] offset:2048
	flat_load_b32 v23, v[23:24] offset:3072
	;; [unrolled: 4-line block ×3, first 2 shown]
	flat_load_b32 v26, v[27:28]
	flat_load_b32 v36, v[27:28] offset:1024
	flat_load_b32 v27, v[27:28] offset:2048
	s_waitcnt vmcnt(13) lgkmcnt(13)
	ds_store_2addr_stride64_b32 v29, v8, v30 offset1:4
	s_waitcnt vmcnt(11) lgkmcnt(12)
	ds_store_2addr_stride64_b32 v29, v31, v6 offset0:8 offset1:12
	s_waitcnt vmcnt(9) lgkmcnt(11)
	ds_store_2addr_stride64_b32 v29, v7, v32 offset0:16 offset1:20
	;; [unrolled: 2-line block ×6, first 2 shown]
	s_waitcnt vmcnt(0) lgkmcnt(7)
	ds_store_b32 v29, v27 offset:14336
	s_waitcnt lgkmcnt(0)
	s_barrier
	s_and_not1_b32 vcc_lo, exec_lo, s0
	s_add_i32 s33, s33, s36
	s_cbranch_vccz .LBB126_7
	s_branch .LBB126_54
.LBB126_6:
                                        ; implicit-def: $vgpr5
                                        ; implicit-def: $vgpr21
                                        ; implicit-def: $vgpr19
                                        ; implicit-def: $vgpr17
                                        ; implicit-def: $vgpr15
                                        ; implicit-def: $vgpr13
                                        ; implicit-def: $vgpr11
                                        ; implicit-def: $vgpr9
                                        ; implicit-def: $vgpr58
	s_add_i32 s33, s33, s36
.LBB126_7:
	s_delay_alu instid0(SALU_CYCLE_1)
	v_cmp_gt_u32_e32 vcc_lo, s33, v0
                                        ; implicit-def: $vgpr5
	s_and_saveexec_b32 s1, vcc_lo
	s_cbranch_execz .LBB126_9
; %bb.8:
	v_lshlrev_b32_e32 v5, 2, v0
	s_delay_alu instid0(VALU_DEP_1) | instskip(NEXT) | instid1(VALU_DEP_1)
	v_add_co_u32 v5, s0, v4, v5
	v_add_co_ci_u32_e64 v6, s0, 0, v2, s0
	flat_load_b32 v5, v[5:6]
.LBB126_9:
	s_or_b32 exec_lo, exec_lo, s1
	v_or_b32_e32 v6, 0x100, v0
                                        ; implicit-def: $vgpr9
	s_delay_alu instid0(VALU_DEP_1) | instskip(NEXT) | instid1(VALU_DEP_1)
	v_cmp_gt_u32_e64 s0, s33, v6
	s_and_saveexec_b32 s4, s0
	s_cbranch_execz .LBB126_11
; %bb.10:
	v_lshlrev_b32_e32 v6, 2, v0
	s_delay_alu instid0(VALU_DEP_1) | instskip(NEXT) | instid1(VALU_DEP_1)
	v_add_co_u32 v6, s1, v4, v6
	v_add_co_ci_u32_e64 v7, s1, 0, v2, s1
	flat_load_b32 v9, v[6:7] offset:1024
.LBB126_11:
	s_or_b32 exec_lo, exec_lo, s4
	v_or_b32_e32 v6, 0x200, v0
                                        ; implicit-def: $vgpr10
	s_delay_alu instid0(VALU_DEP_1) | instskip(NEXT) | instid1(VALU_DEP_1)
	v_cmp_gt_u32_e64 s1, s33, v6
	s_and_saveexec_b32 s5, s1
	s_cbranch_execz .LBB126_13
; %bb.12:
	v_lshlrev_b32_e32 v6, 2, v0
	s_delay_alu instid0(VALU_DEP_1) | instskip(NEXT) | instid1(VALU_DEP_1)
	v_add_co_u32 v6, s4, v4, v6
	v_add_co_ci_u32_e64 v7, s4, 0, v2, s4
	flat_load_b32 v10, v[6:7] offset:2048
.LBB126_13:
	s_or_b32 exec_lo, exec_lo, s5
	v_or_b32_e32 v6, 0x300, v0
                                        ; implicit-def: $vgpr11
	s_delay_alu instid0(VALU_DEP_1) | instskip(NEXT) | instid1(VALU_DEP_1)
	v_cmp_gt_u32_e64 s4, s33, v6
	s_and_saveexec_b32 s6, s4
	s_cbranch_execz .LBB126_15
; %bb.14:
	v_lshlrev_b32_e32 v6, 2, v0
	s_delay_alu instid0(VALU_DEP_1) | instskip(NEXT) | instid1(VALU_DEP_1)
	v_add_co_u32 v6, s5, v4, v6
	v_add_co_ci_u32_e64 v7, s5, 0, v2, s5
	flat_load_b32 v11, v[6:7] offset:3072
.LBB126_15:
	s_or_b32 exec_lo, exec_lo, s6
	v_or_b32_e32 v6, 0x400, v0
                                        ; implicit-def: $vgpr12
	s_delay_alu instid0(VALU_DEP_1) | instskip(SKIP_1) | instid1(VALU_DEP_2)
	v_cmp_gt_u32_e64 s5, s33, v6
	v_lshlrev_b32_e32 v6, 2, v6
	s_and_saveexec_b32 s7, s5
	s_cbranch_execz .LBB126_17
; %bb.16:
	s_delay_alu instid0(VALU_DEP_1) | instskip(NEXT) | instid1(VALU_DEP_1)
	v_add_co_u32 v7, s6, v4, v6
	v_add_co_ci_u32_e64 v8, s6, 0, v2, s6
	flat_load_b32 v12, v[7:8]
.LBB126_17:
	s_or_b32 exec_lo, exec_lo, s7
	v_or_b32_e32 v7, 0x500, v0
                                        ; implicit-def: $vgpr13
	s_delay_alu instid0(VALU_DEP_1) | instskip(SKIP_1) | instid1(VALU_DEP_2)
	v_cmp_gt_u32_e64 s6, s33, v7
	v_lshlrev_b32_e32 v7, 2, v7
	s_and_saveexec_b32 s8, s6
	s_cbranch_execz .LBB126_19
; %bb.18:
	s_delay_alu instid0(VALU_DEP_1) | instskip(NEXT) | instid1(VALU_DEP_1)
	v_add_co_u32 v13, s7, v4, v7
	v_add_co_ci_u32_e64 v14, s7, 0, v2, s7
	flat_load_b32 v13, v[13:14]
.LBB126_19:
	s_or_b32 exec_lo, exec_lo, s8
	v_or_b32_e32 v8, 0x600, v0
                                        ; implicit-def: $vgpr14
	s_delay_alu instid0(VALU_DEP_1) | instskip(SKIP_1) | instid1(VALU_DEP_2)
	v_cmp_gt_u32_e64 s7, s33, v8
	v_lshlrev_b32_e32 v8, 2, v8
	s_and_saveexec_b32 s9, s7
	s_cbranch_execz .LBB126_21
; %bb.20:
	s_delay_alu instid0(VALU_DEP_1) | instskip(NEXT) | instid1(VALU_DEP_1)
	v_add_co_u32 v14, s8, v4, v8
	v_add_co_ci_u32_e64 v15, s8, 0, v2, s8
	flat_load_b32 v14, v[14:15]
.LBB126_21:
	s_or_b32 exec_lo, exec_lo, s9
	v_or_b32_e32 v15, 0x700, v0
	s_delay_alu instid0(VALU_DEP_1) | instskip(SKIP_1) | instid1(VALU_DEP_2)
	v_cmp_gt_u32_e64 s8, s33, v15
	v_lshlrev_b32_e32 v23, 2, v15
                                        ; implicit-def: $vgpr15
	s_and_saveexec_b32 s10, s8
	s_cbranch_execz .LBB126_23
; %bb.22:
	s_delay_alu instid0(VALU_DEP_1) | instskip(NEXT) | instid1(VALU_DEP_1)
	v_add_co_u32 v15, s9, v4, v23
	v_add_co_ci_u32_e64 v16, s9, 0, v2, s9
	flat_load_b32 v15, v[15:16]
.LBB126_23:
	s_or_b32 exec_lo, exec_lo, s10
	v_or_b32_e32 v16, 0x800, v0
	s_delay_alu instid0(VALU_DEP_1) | instskip(SKIP_1) | instid1(VALU_DEP_2)
	v_cmp_gt_u32_e64 s9, s33, v16
	v_lshlrev_b32_e32 v24, 2, v16
                                        ; implicit-def: $vgpr16
	s_and_saveexec_b32 s11, s9
	s_cbranch_execz .LBB126_25
; %bb.24:
	s_delay_alu instid0(VALU_DEP_1) | instskip(NEXT) | instid1(VALU_DEP_1)
	v_add_co_u32 v16, s10, v4, v24
	v_add_co_ci_u32_e64 v17, s10, 0, v2, s10
	flat_load_b32 v16, v[16:17]
.LBB126_25:
	s_or_b32 exec_lo, exec_lo, s11
	v_or_b32_e32 v17, 0x900, v0
	s_delay_alu instid0(VALU_DEP_1) | instskip(SKIP_1) | instid1(VALU_DEP_2)
	v_cmp_gt_u32_e64 s10, s33, v17
	v_lshlrev_b32_e32 v25, 2, v17
                                        ; implicit-def: $vgpr17
	s_and_saveexec_b32 s12, s10
	s_cbranch_execz .LBB126_27
; %bb.26:
	s_delay_alu instid0(VALU_DEP_1) | instskip(NEXT) | instid1(VALU_DEP_1)
	v_add_co_u32 v17, s11, v4, v25
	v_add_co_ci_u32_e64 v18, s11, 0, v2, s11
	flat_load_b32 v17, v[17:18]
.LBB126_27:
	s_or_b32 exec_lo, exec_lo, s12
	v_or_b32_e32 v18, 0xa00, v0
	s_delay_alu instid0(VALU_DEP_1) | instskip(SKIP_1) | instid1(VALU_DEP_2)
	v_cmp_gt_u32_e64 s11, s33, v18
	v_lshlrev_b32_e32 v27, 2, v18
                                        ; implicit-def: $vgpr18
	s_and_saveexec_b32 s13, s11
	s_cbranch_execz .LBB126_29
; %bb.28:
	s_delay_alu instid0(VALU_DEP_1) | instskip(NEXT) | instid1(VALU_DEP_1)
	v_add_co_u32 v18, s12, v4, v27
	v_add_co_ci_u32_e64 v19, s12, 0, v2, s12
	flat_load_b32 v18, v[18:19]
.LBB126_29:
	s_or_b32 exec_lo, exec_lo, s13
	v_or_b32_e32 v19, 0xb00, v0
	s_delay_alu instid0(VALU_DEP_1) | instskip(SKIP_1) | instid1(VALU_DEP_2)
	v_cmp_gt_u32_e64 s12, s33, v19
	v_lshlrev_b32_e32 v28, 2, v19
                                        ; implicit-def: $vgpr19
	s_and_saveexec_b32 s14, s12
	s_cbranch_execz .LBB126_31
; %bb.30:
	s_delay_alu instid0(VALU_DEP_1) | instskip(NEXT) | instid1(VALU_DEP_1)
	v_add_co_u32 v19, s13, v4, v28
	v_add_co_ci_u32_e64 v20, s13, 0, v2, s13
	flat_load_b32 v19, v[19:20]
.LBB126_31:
	s_or_b32 exec_lo, exec_lo, s14
	v_or_b32_e32 v20, 0xc00, v0
	s_delay_alu instid0(VALU_DEP_1) | instskip(SKIP_1) | instid1(VALU_DEP_2)
	v_cmp_gt_u32_e64 s13, s33, v20
	v_lshlrev_b32_e32 v29, 2, v20
                                        ; implicit-def: $vgpr20
	s_and_saveexec_b32 s15, s13
	s_cbranch_execz .LBB126_33
; %bb.32:
	s_delay_alu instid0(VALU_DEP_1) | instskip(NEXT) | instid1(VALU_DEP_1)
	v_add_co_u32 v20, s14, v4, v29
	v_add_co_ci_u32_e64 v21, s14, 0, v2, s14
	flat_load_b32 v20, v[20:21]
.LBB126_33:
	s_or_b32 exec_lo, exec_lo, s15
	v_or_b32_e32 v21, 0xd00, v0
	s_delay_alu instid0(VALU_DEP_1) | instskip(SKIP_1) | instid1(VALU_DEP_2)
	v_cmp_gt_u32_e64 s14, s33, v21
	v_lshlrev_b32_e32 v30, 2, v21
                                        ; implicit-def: $vgpr21
	s_and_saveexec_b32 s16, s14
	s_cbranch_execz .LBB126_35
; %bb.34:
	s_delay_alu instid0(VALU_DEP_1) | instskip(NEXT) | instid1(VALU_DEP_1)
	v_add_co_u32 v21, s15, v4, v30
	v_add_co_ci_u32_e64 v22, s15, 0, v2, s15
	flat_load_b32 v21, v[21:22]
.LBB126_35:
	s_or_b32 exec_lo, exec_lo, s16
	v_or_b32_e32 v22, 0xe00, v0
	s_delay_alu instid0(VALU_DEP_1) | instskip(SKIP_1) | instid1(VALU_DEP_2)
	v_cmp_gt_u32_e64 s15, s33, v22
	v_lshlrev_b32_e32 v31, 2, v22
                                        ; implicit-def: $vgpr22
	s_and_saveexec_b32 s27, s15
	s_cbranch_execz .LBB126_37
; %bb.36:
	s_delay_alu instid0(VALU_DEP_1) | instskip(NEXT) | instid1(VALU_DEP_1)
	v_add_co_u32 v32, s16, v4, v31
	v_add_co_ci_u32_e64 v33, s16, 0, v2, s16
	flat_load_b32 v22, v[32:33]
.LBB126_37:
	s_or_b32 exec_lo, exec_lo, s27
	v_lshlrev_b32_e32 v26, 2, v0
                                        ; implicit-def: $vgpr32
	s_waitcnt vmcnt(0) lgkmcnt(0)
	ds_store_2addr_stride64_b32 v26, v5, v9 offset1:4
	ds_store_2addr_stride64_b32 v26, v10, v11 offset0:8 offset1:12
	ds_store_2addr_stride64_b32 v26, v12, v13 offset0:16 offset1:20
	;; [unrolled: 1-line block ×6, first 2 shown]
	v_mad_u32_u24 v5, v0, 56, v26
	ds_store_b32 v26, v22 offset:14336
	s_waitcnt lgkmcnt(0)
	s_barrier
	buffer_gl0_inv
	ds_load_2addr_b32 v[21:22], v5 offset1:1
	ds_load_2addr_b32 v[19:20], v5 offset0:2 offset1:3
	ds_load_2addr_b32 v[17:18], v5 offset0:4 offset1:5
	;; [unrolled: 1-line block ×6, first 2 shown]
	ds_load_b32 v58, v5 offset:56
	s_waitcnt lgkmcnt(0)
	s_barrier
	buffer_gl0_inv
	s_and_saveexec_b32 s16, vcc_lo
	s_cbranch_execz .LBB126_60
; %bb.38:
	v_add_co_u32 v32, vcc_lo, v1, v26
	v_add_co_ci_u32_e32 v33, vcc_lo, 0, v3, vcc_lo
	flat_load_b32 v32, v[32:33]
	s_or_b32 exec_lo, exec_lo, s16
                                        ; implicit-def: $vgpr33
	s_and_saveexec_b32 s16, s0
	s_cbranch_execnz .LBB126_61
.LBB126_39:
	s_or_b32 exec_lo, exec_lo, s16
                                        ; implicit-def: $vgpr34
	s_and_saveexec_b32 s0, s1
	s_cbranch_execz .LBB126_62
.LBB126_40:
	v_add_co_u32 v34, vcc_lo, v1, v26
	v_add_co_ci_u32_e32 v35, vcc_lo, 0, v3, vcc_lo
	flat_load_b32 v34, v[34:35] offset:2048
	s_or_b32 exec_lo, exec_lo, s0
                                        ; implicit-def: $vgpr35
	s_and_saveexec_b32 s0, s4
	s_cbranch_execnz .LBB126_63
.LBB126_41:
	s_or_b32 exec_lo, exec_lo, s0
                                        ; implicit-def: $vgpr36
	s_and_saveexec_b32 s0, s5
	s_cbranch_execz .LBB126_64
.LBB126_42:
	v_add_co_u32 v36, vcc_lo, v1, v6
	v_add_co_ci_u32_e32 v37, vcc_lo, 0, v3, vcc_lo
	flat_load_b32 v36, v[36:37]
	s_or_b32 exec_lo, exec_lo, s0
                                        ; implicit-def: $vgpr6
	s_and_saveexec_b32 s0, s6
	s_cbranch_execnz .LBB126_65
.LBB126_43:
	s_or_b32 exec_lo, exec_lo, s0
                                        ; implicit-def: $vgpr7
	s_and_saveexec_b32 s0, s7
	s_cbranch_execz .LBB126_66
.LBB126_44:
	v_add_co_u32 v7, vcc_lo, v1, v8
	v_add_co_ci_u32_e32 v8, vcc_lo, 0, v3, vcc_lo
	flat_load_b32 v7, v[7:8]
	s_or_b32 exec_lo, exec_lo, s0
                                        ; implicit-def: $vgpr8
	s_and_saveexec_b32 s0, s8
	s_cbranch_execnz .LBB126_67
.LBB126_45:
	s_or_b32 exec_lo, exec_lo, s0
                                        ; implicit-def: $vgpr23
	s_and_saveexec_b32 s0, s9
	s_cbranch_execz .LBB126_68
.LBB126_46:
	v_add_co_u32 v23, vcc_lo, v1, v24
	v_add_co_ci_u32_e32 v24, vcc_lo, 0, v3, vcc_lo
	flat_load_b32 v23, v[23:24]
	s_or_b32 exec_lo, exec_lo, s0
                                        ; implicit-def: $vgpr24
	s_and_saveexec_b32 s0, s10
	s_cbranch_execnz .LBB126_69
.LBB126_47:
	s_or_b32 exec_lo, exec_lo, s0
                                        ; implicit-def: $vgpr25
	s_and_saveexec_b32 s0, s11
	s_cbranch_execz .LBB126_70
.LBB126_48:
	v_add_co_u32 v37, vcc_lo, v1, v27
	v_add_co_ci_u32_e32 v38, vcc_lo, 0, v3, vcc_lo
	flat_load_b32 v25, v[37:38]
	s_or_b32 exec_lo, exec_lo, s0
                                        ; implicit-def: $vgpr27
	s_and_saveexec_b32 s0, s12
	s_cbranch_execnz .LBB126_71
.LBB126_49:
	s_or_b32 exec_lo, exec_lo, s0
                                        ; implicit-def: $vgpr28
	s_and_saveexec_b32 s0, s13
	s_cbranch_execz .LBB126_72
.LBB126_50:
	v_add_co_u32 v28, vcc_lo, v1, v29
	v_add_co_ci_u32_e32 v29, vcc_lo, 0, v3, vcc_lo
	flat_load_b32 v28, v[28:29]
	s_or_b32 exec_lo, exec_lo, s0
                                        ; implicit-def: $vgpr29
	s_and_saveexec_b32 s0, s14
	s_cbranch_execnz .LBB126_73
.LBB126_51:
	s_or_b32 exec_lo, exec_lo, s0
                                        ; implicit-def: $vgpr30
	s_and_saveexec_b32 s0, s15
	s_cbranch_execz .LBB126_53
.LBB126_52:
	v_add_co_u32 v30, vcc_lo, v1, v31
	v_add_co_ci_u32_e32 v31, vcc_lo, 0, v3, vcc_lo
	flat_load_b32 v30, v[30:31]
.LBB126_53:
	s_or_b32 exec_lo, exec_lo, s0
	s_waitcnt vmcnt(0) lgkmcnt(0)
	ds_store_2addr_stride64_b32 v26, v32, v33 offset1:4
	ds_store_2addr_stride64_b32 v26, v34, v35 offset0:8 offset1:12
	ds_store_2addr_stride64_b32 v26, v36, v6 offset0:16 offset1:20
	;; [unrolled: 1-line block ×6, first 2 shown]
	ds_store_b32 v26, v30 offset:14336
	s_waitcnt lgkmcnt(0)
	s_barrier
.LBB126_54:
	buffer_gl0_inv
	ds_load_2addr_b32 v[35:36], v5 offset1:1
	ds_load_2addr_b32 v[33:34], v5 offset0:2 offset1:3
	ds_load_2addr_b32 v[31:32], v5 offset0:4 offset1:5
	;; [unrolled: 1-line block ×6, first 2 shown]
	ds_load_b32 v65, v5 offset:56
	s_cmp_eq_u64 s[24:25], 0
	s_waitcnt lgkmcnt(0)
	s_cselect_b32 s40, -1, 0
	s_cmp_lg_u64 s[24:25], 0
	s_barrier
	s_cselect_b32 s15, -1, 0
	s_and_b32 vcc_lo, exec_lo, s26
	buffer_gl0_inv
	s_cbranch_vccz .LBB126_74
; %bb.55:
	s_and_b32 vcc_lo, exec_lo, s15
	s_cbranch_vccz .LBB126_107
; %bb.56:
	v_add_co_u32 v5, vcc_lo, -4, v4
	v_add_co_ci_u32_e32 v6, vcc_lo, -1, v2, vcc_lo
	v_lshlrev_b32_e32 v3, 2, v0
	v_cmp_neq_f32_e32 vcc_lo, v10, v58
	v_cmp_neq_f32_e64 s0, v9, v10
	flat_load_b32 v1, v[5:6]
	v_cmp_neq_f32_e64 s1, v12, v9
	v_cmp_neq_f32_e64 s4, v11, v12
	;; [unrolled: 1-line block ×12, first 2 shown]
	s_mov_b32 s26, -1
	ds_store_b32 v3, v58
	s_waitcnt vmcnt(0) lgkmcnt(0)
	s_barrier
	buffer_gl0_inv
	s_and_saveexec_b32 s16, s3
	s_cbranch_execz .LBB126_58
; %bb.57:
	v_add_nc_u32_e32 v1, -4, v3
	ds_load_b32 v1, v1
.LBB126_58:
	s_or_b32 exec_lo, exec_lo, s16
	v_cndmask_b32_e64 v59, 0, 1, vcc_lo
	v_cndmask_b32_e64 v54, 0, 1, s0
	v_cndmask_b32_e64 v52, 0, 1, s1
	;; [unrolled: 1-line block ×13, first 2 shown]
	s_waitcnt lgkmcnt(0)
	v_cmp_neq_f32_e64 s0, v1, v21
.LBB126_59:
                                        ; implicit-def: $sgpr1
	s_branch .LBB126_75
.LBB126_60:
	s_or_b32 exec_lo, exec_lo, s16
                                        ; implicit-def: $vgpr33
	s_and_saveexec_b32 s16, s0
	s_cbranch_execz .LBB126_39
.LBB126_61:
	v_add_co_u32 v33, vcc_lo, v1, v26
	v_add_co_ci_u32_e32 v34, vcc_lo, 0, v3, vcc_lo
	flat_load_b32 v33, v[33:34] offset:1024
	s_or_b32 exec_lo, exec_lo, s16
                                        ; implicit-def: $vgpr34
	s_and_saveexec_b32 s0, s1
	s_cbranch_execnz .LBB126_40
.LBB126_62:
	s_or_b32 exec_lo, exec_lo, s0
                                        ; implicit-def: $vgpr35
	s_and_saveexec_b32 s0, s4
	s_cbranch_execz .LBB126_41
.LBB126_63:
	v_add_co_u32 v35, vcc_lo, v1, v26
	v_add_co_ci_u32_e32 v36, vcc_lo, 0, v3, vcc_lo
	flat_load_b32 v35, v[35:36] offset:3072
	s_or_b32 exec_lo, exec_lo, s0
                                        ; implicit-def: $vgpr36
	s_and_saveexec_b32 s0, s5
	s_cbranch_execnz .LBB126_42
.LBB126_64:
	s_or_b32 exec_lo, exec_lo, s0
                                        ; implicit-def: $vgpr6
	s_and_saveexec_b32 s0, s6
	s_cbranch_execz .LBB126_43
.LBB126_65:
	v_add_co_u32 v6, vcc_lo, v1, v7
	v_add_co_ci_u32_e32 v7, vcc_lo, 0, v3, vcc_lo
	flat_load_b32 v6, v[6:7]
	s_or_b32 exec_lo, exec_lo, s0
                                        ; implicit-def: $vgpr7
	s_and_saveexec_b32 s0, s7
	s_cbranch_execnz .LBB126_44
.LBB126_66:
	s_or_b32 exec_lo, exec_lo, s0
                                        ; implicit-def: $vgpr8
	s_and_saveexec_b32 s0, s8
	s_cbranch_execz .LBB126_45
.LBB126_67:
	v_add_co_u32 v37, vcc_lo, v1, v23
	v_add_co_ci_u32_e32 v38, vcc_lo, 0, v3, vcc_lo
	flat_load_b32 v8, v[37:38]
	s_or_b32 exec_lo, exec_lo, s0
                                        ; implicit-def: $vgpr23
	s_and_saveexec_b32 s0, s9
	s_cbranch_execnz .LBB126_46
.LBB126_68:
	s_or_b32 exec_lo, exec_lo, s0
                                        ; implicit-def: $vgpr24
	s_and_saveexec_b32 s0, s10
	s_cbranch_execz .LBB126_47
.LBB126_69:
	v_add_co_u32 v24, vcc_lo, v1, v25
	v_add_co_ci_u32_e32 v25, vcc_lo, 0, v3, vcc_lo
	flat_load_b32 v24, v[24:25]
	s_or_b32 exec_lo, exec_lo, s0
                                        ; implicit-def: $vgpr25
	s_and_saveexec_b32 s0, s11
	s_cbranch_execnz .LBB126_48
.LBB126_70:
	s_or_b32 exec_lo, exec_lo, s0
                                        ; implicit-def: $vgpr27
	s_and_saveexec_b32 s0, s12
	s_cbranch_execz .LBB126_49
.LBB126_71:
	v_add_co_u32 v27, vcc_lo, v1, v28
	v_add_co_ci_u32_e32 v28, vcc_lo, 0, v3, vcc_lo
	flat_load_b32 v27, v[27:28]
	s_or_b32 exec_lo, exec_lo, s0
                                        ; implicit-def: $vgpr28
	s_and_saveexec_b32 s0, s13
	s_cbranch_execnz .LBB126_50
.LBB126_72:
	s_or_b32 exec_lo, exec_lo, s0
                                        ; implicit-def: $vgpr29
	s_and_saveexec_b32 s0, s14
	s_cbranch_execz .LBB126_51
.LBB126_73:
	v_add_co_u32 v29, vcc_lo, v1, v30
	v_add_co_ci_u32_e32 v30, vcc_lo, 0, v3, vcc_lo
	flat_load_b32 v29, v[29:30]
	s_or_b32 exec_lo, exec_lo, s0
                                        ; implicit-def: $vgpr30
	s_and_saveexec_b32 s0, s15
	s_cbranch_execnz .LBB126_52
	s_branch .LBB126_53
.LBB126_74:
	s_mov_b32 s26, 0
                                        ; implicit-def: $sgpr0
                                        ; implicit-def: $vgpr59
                                        ; implicit-def: $vgpr54
                                        ; implicit-def: $vgpr52
                                        ; implicit-def: $vgpr50
                                        ; implicit-def: $vgpr48
                                        ; implicit-def: $vgpr46
                                        ; implicit-def: $vgpr44
                                        ; implicit-def: $vgpr60
                                        ; implicit-def: $vgpr61
                                        ; implicit-def: $vgpr62
                                        ; implicit-def: $vgpr63
                                        ; implicit-def: $vgpr64
                                        ; implicit-def: $vgpr56
                                        ; implicit-def: $vgpr57
                                        ; implicit-def: $sgpr1
	s_cbranch_execnz .LBB126_111
.LBB126_75:
	v_mov_b32_e32 v43, s1
	s_and_saveexec_b32 s1, s26
.LBB126_76:
	s_delay_alu instid0(VALU_DEP_2)
	v_cndmask_b32_e64 v43, 0, 1, s0
.LBB126_77:
	s_or_b32 exec_lo, exec_lo, s1
	s_delay_alu instid0(VALU_DEP_1)
	v_add3_u32 v1, v57, v43, v56
	v_add_f32_e32 v76, v35, v36
	v_cmp_eq_u32_e64 s13, 0, v57
	v_cmp_eq_u32_e64 s12, 0, v56
	;; [unrolled: 1-line block ×3, first 2 shown]
	v_add3_u32 v75, v1, v64, v63
	v_cmp_eq_u32_e64 s11, 0, v63
	v_cmp_eq_u32_e64 s9, 0, v62
	;; [unrolled: 1-line block ×10, first 2 shown]
	v_cmp_eq_u32_e32 vcc_lo, 0, v59
	v_mbcnt_lo_u32_b32 v72, -1, 0
	v_lshrrev_b32_e32 v73, 5, v0
	v_or_b32_e32 v74, 31, v0
	s_cmp_eq_u64 s[22:23], 0
	s_mov_b32 s22, 0
	s_cselect_b32 s16, -1, 0
	s_cmp_lg_u32 s41, 0
	s_cbranch_scc0 .LBB126_105
; %bb.78:
	v_add3_u32 v2, v75, v62, v61
	v_cndmask_b32_e64 v1, v36, v76, s13
	s_mov_b32 s15, exec_lo
	v_and_b32_e32 v4, 15, v72
	v_and_b32_e32 v6, 16, v72
	v_add3_u32 v2, v2, v60, v44
	v_add_f32_e32 v1, v33, v1
	s_delay_alu instid0(VALU_DEP_2) | instskip(NEXT) | instid1(VALU_DEP_2)
	v_add3_u32 v2, v2, v46, v48
	v_cndmask_b32_e64 v1, v33, v1, s12
	s_delay_alu instid0(VALU_DEP_2) | instskip(NEXT) | instid1(VALU_DEP_1)
	v_add3_u32 v2, v2, v50, v52
	v_add3_u32 v2, v2, v54, v59
	s_delay_alu instid0(VALU_DEP_3) | instskip(NEXT) | instid1(VALU_DEP_2)
	v_add_f32_e32 v1, v34, v1
	v_mov_b32_dpp v5, v2 row_shr:1 row_mask:0xf bank_mask:0xf
	s_delay_alu instid0(VALU_DEP_2) | instskip(NEXT) | instid1(VALU_DEP_1)
	v_cndmask_b32_e64 v1, v34, v1, s10
	v_add_f32_e32 v1, v31, v1
	s_delay_alu instid0(VALU_DEP_1) | instskip(NEXT) | instid1(VALU_DEP_1)
	v_cndmask_b32_e64 v1, v31, v1, s11
	v_add_f32_e32 v1, v32, v1
	s_delay_alu instid0(VALU_DEP_1) | instskip(NEXT) | instid1(VALU_DEP_1)
	;; [unrolled: 3-line block ×10, first 2 shown]
	v_cndmask_b32_e64 v1, v24, v1, s0
	v_add_f32_e32 v1, v65, v1
	s_delay_alu instid0(VALU_DEP_1) | instskip(SKIP_1) | instid1(VALU_DEP_2)
	v_cndmask_b32_e32 v1, v65, v1, vcc_lo
	v_cmp_eq_u32_e32 vcc_lo, 0, v2
	v_mov_b32_dpp v3, v1 row_shr:1 row_mask:0xf bank_mask:0xf
	s_delay_alu instid0(VALU_DEP_1) | instskip(NEXT) | instid1(VALU_DEP_1)
	v_add_f32_e32 v3, v1, v3
	v_cndmask_b32_e32 v3, v1, v3, vcc_lo
	v_cmp_eq_u32_e32 vcc_lo, 0, v4
	v_cndmask_b32_e64 v5, v5, 0, vcc_lo
	s_delay_alu instid0(VALU_DEP_1) | instskip(NEXT) | instid1(VALU_DEP_1)
	v_dual_cndmask_b32 v1, v3, v1 :: v_dual_add_nc_u32 v2, v5, v2
	v_mov_b32_dpp v3, v1 row_shr:2 row_mask:0xf bank_mask:0xf
	s_delay_alu instid0(VALU_DEP_2) | instskip(NEXT) | instid1(VALU_DEP_2)
	v_cmp_eq_u32_e32 vcc_lo, 0, v2
	v_add_f32_e32 v3, v1, v3
	v_mov_b32_dpp v5, v2 row_shr:2 row_mask:0xf bank_mask:0xf
	s_delay_alu instid0(VALU_DEP_2) | instskip(SKIP_1) | instid1(VALU_DEP_2)
	v_cndmask_b32_e32 v3, v1, v3, vcc_lo
	v_cmp_lt_u32_e32 vcc_lo, 1, v4
	v_cndmask_b32_e32 v1, v1, v3, vcc_lo
	s_delay_alu instid0(VALU_DEP_4) | instskip(NEXT) | instid1(VALU_DEP_2)
	v_cndmask_b32_e32 v3, 0, v5, vcc_lo
	v_mov_b32_dpp v5, v1 row_shr:4 row_mask:0xf bank_mask:0xf
	s_delay_alu instid0(VALU_DEP_1) | instskip(NEXT) | instid1(VALU_DEP_1)
	v_dual_add_f32 v3, v1, v5 :: v_dual_add_nc_u32 v2, v2, v3
	v_cmp_eq_u32_e32 vcc_lo, 0, v2
	v_mov_b32_dpp v5, v2 row_shr:4 row_mask:0xf bank_mask:0xf
	s_delay_alu instid0(VALU_DEP_3) | instskip(SKIP_1) | instid1(VALU_DEP_2)
	v_cndmask_b32_e32 v3, v1, v3, vcc_lo
	v_cmp_lt_u32_e32 vcc_lo, 3, v4
	v_cndmask_b32_e32 v1, v1, v3, vcc_lo
	s_delay_alu instid0(VALU_DEP_4) | instskip(NEXT) | instid1(VALU_DEP_2)
	v_cndmask_b32_e32 v3, 0, v5, vcc_lo
	v_mov_b32_dpp v5, v1 row_shr:8 row_mask:0xf bank_mask:0xf
	s_delay_alu instid0(VALU_DEP_1) | instskip(NEXT) | instid1(VALU_DEP_1)
	v_dual_add_f32 v2, v1, v5 :: v_dual_add_nc_u32 v3, v3, v2
	v_cmp_eq_u32_e32 vcc_lo, 0, v3
	v_mov_b32_dpp v5, v3 row_shr:8 row_mask:0xf bank_mask:0xf
	s_delay_alu instid0(VALU_DEP_3) | instskip(SKIP_1) | instid1(VALU_DEP_2)
	v_cndmask_b32_e32 v2, v1, v2, vcc_lo
	v_cmp_lt_u32_e32 vcc_lo, 7, v4
	v_dual_cndmask_b32 v2, v1, v2 :: v_dual_cndmask_b32 v1, 0, v5
	v_bfe_i32 v5, v72, 4, 1
	s_delay_alu instid0(VALU_DEP_2)
	v_add_nc_u32_e32 v1, v1, v3
	ds_swizzle_b32 v3, v2 offset:swizzle(BROADCAST,32,15)
	ds_swizzle_b32 v4, v1 offset:swizzle(BROADCAST,32,15)
	v_cmp_eq_u32_e32 vcc_lo, 0, v1
	s_waitcnt lgkmcnt(1)
	v_add_f32_e32 v3, v2, v3
	s_waitcnt lgkmcnt(0)
	v_and_b32_e32 v7, v5, v4
	s_delay_alu instid0(VALU_DEP_2) | instskip(SKIP_2) | instid1(VALU_DEP_4)
	v_cndmask_b32_e32 v5, v2, v3, vcc_lo
	v_cmp_eq_u32_e32 vcc_lo, 0, v6
	v_lshlrev_b32_e32 v4, 3, v73
	v_add_nc_u32_e32 v1, v7, v1
	s_delay_alu instid0(VALU_DEP_4)
	v_cndmask_b32_e32 v3, v5, v2, vcc_lo
	v_cmpx_eq_u32_e64 v74, v0
	s_cbranch_execz .LBB126_80
; %bb.79:
	v_cndmask_b32_e32 v2, v5, v2, vcc_lo
	ds_store_b64 v4, v[1:2] offset:2064
.LBB126_80:
	s_or_b32 exec_lo, exec_lo, s15
	s_delay_alu instid0(SALU_CYCLE_1)
	s_mov_b32 s15, exec_lo
	s_waitcnt lgkmcnt(0)
	s_barrier
	buffer_gl0_inv
	v_cmpx_gt_u32_e32 8, v0
	s_cbranch_execz .LBB126_82
; %bb.81:
	v_lshlrev_b32_e32 v2, 3, v0
	ds_load_b64 v[5:6], v2 offset:2064
	s_waitcnt lgkmcnt(0)
	v_mov_b32_dpp v7, v6 row_shr:1 row_mask:0xf bank_mask:0xf
	v_cmp_eq_u32_e32 vcc_lo, 0, v5
	v_mov_b32_dpp v37, v5 row_shr:1 row_mask:0xf bank_mask:0xf
	s_delay_alu instid0(VALU_DEP_3) | instskip(NEXT) | instid1(VALU_DEP_1)
	v_dual_add_f32 v7, v6, v7 :: v_dual_and_b32 v8, 7, v72
	v_cndmask_b32_e32 v7, v6, v7, vcc_lo
	s_delay_alu instid0(VALU_DEP_2) | instskip(NEXT) | instid1(VALU_DEP_4)
	v_cmp_eq_u32_e32 vcc_lo, 0, v8
	v_cndmask_b32_e64 v37, v37, 0, vcc_lo
	s_delay_alu instid0(VALU_DEP_1) | instskip(NEXT) | instid1(VALU_DEP_1)
	v_dual_cndmask_b32 v6, v7, v6 :: v_dual_add_nc_u32 v5, v37, v5
	v_mov_b32_dpp v7, v6 row_shr:2 row_mask:0xf bank_mask:0xf
	s_delay_alu instid0(VALU_DEP_2) | instskip(NEXT) | instid1(VALU_DEP_2)
	v_cmp_eq_u32_e32 vcc_lo, 0, v5
	v_add_f32_e32 v7, v6, v7
	v_mov_b32_dpp v37, v5 row_shr:2 row_mask:0xf bank_mask:0xf
	s_delay_alu instid0(VALU_DEP_2) | instskip(SKIP_1) | instid1(VALU_DEP_2)
	v_cndmask_b32_e32 v7, v6, v7, vcc_lo
	v_cmp_lt_u32_e32 vcc_lo, 1, v8
	v_dual_cndmask_b32 v6, v6, v7 :: v_dual_cndmask_b32 v7, 0, v37
	v_cmp_lt_u32_e32 vcc_lo, 3, v8
	s_delay_alu instid0(VALU_DEP_2) | instskip(NEXT) | instid1(VALU_DEP_1)
	v_mov_b32_dpp v37, v6 row_shr:4 row_mask:0xf bank_mask:0xf
	v_add_f32_e32 v8, v6, v37
	s_delay_alu instid0(VALU_DEP_4) | instskip(NEXT) | instid1(VALU_DEP_1)
	v_add_nc_u32_e32 v5, v7, v5
	v_mov_b32_dpp v7, v5 row_shr:4 row_mask:0xf bank_mask:0xf
	v_cmp_eq_u32_e64 s14, 0, v5
	s_delay_alu instid0(VALU_DEP_2) | instskip(NEXT) | instid1(VALU_DEP_2)
	v_cndmask_b32_e32 v7, 0, v7, vcc_lo
	s_and_b32 vcc_lo, vcc_lo, s14
	s_delay_alu instid0(VALU_DEP_1)
	v_dual_cndmask_b32 v6, v6, v8 :: v_dual_add_nc_u32 v5, v7, v5
	ds_store_b64 v2, v[5:6] offset:2064
.LBB126_82:
	s_or_b32 exec_lo, exec_lo, s15
	v_cmp_gt_u32_e32 vcc_lo, 32, v0
	v_dual_mov_b32 v37, 0 :: v_dual_mov_b32 v38, 0
	s_mov_b32 s15, exec_lo
	s_waitcnt lgkmcnt(0)
	s_barrier
	buffer_gl0_inv
	v_cmpx_lt_u32_e32 31, v0
	s_cbranch_execz .LBB126_84
; %bb.83:
	ds_load_b64 v[37:38], v4 offset:2056
	v_cmp_eq_u32_e64 s14, 0, v1
	s_waitcnt lgkmcnt(0)
	v_add_nc_u32_e32 v4, v37, v1
	s_delay_alu instid0(VALU_DEP_1) | instskip(NEXT) | instid1(VALU_DEP_1)
	v_dual_add_f32 v2, v3, v38 :: v_dual_mov_b32 v1, v4
	v_cndmask_b32_e64 v3, v3, v2, s14
.LBB126_84:
	s_or_b32 exec_lo, exec_lo, s15
	v_add_nc_u32_e32 v2, -1, v72
	s_mov_b32 s24, -1
	s_mov_b32 s15, 0
	s_delay_alu instid0(VALU_DEP_1) | instskip(NEXT) | instid1(VALU_DEP_1)
	v_cmp_gt_i32_e64 s14, 0, v2
	v_cndmask_b32_e64 v2, v2, v72, s14
	v_cmp_eq_u32_e64 s14, 0, v72
	s_delay_alu instid0(VALU_DEP_2)
	v_lshlrev_b32_e32 v2, 2, v2
	ds_bpermute_b32 v77, v2, v1
	ds_bpermute_b32 v78, v2, v3
	s_and_saveexec_b32 s23, vcc_lo
                                        ; implicit-def: $vgpr2_vgpr3_vgpr4
	s_cbranch_execz .LBB126_136
; %bb.85:
	v_mov_b32_e32 v4, 0
	ds_load_b64 v[1:2], v4 offset:2120
	s_waitcnt lgkmcnt(0)
	v_readfirstlane_b32 s36, v2
	s_and_saveexec_b32 s15, s14
	s_cbranch_execz .LBB126_87
; %bb.86:
	s_add_i32 s24, s41, 32
	s_mov_b32 s25, 0
	v_mov_b32_e32 v3, 1
	s_lshl_b64 s[26:27], s[24:25], 4
	s_mov_b32 s42, s25
	s_add_u32 s26, s20, s26
	s_addc_u32 s27, s21, s27
	s_and_b32 s43, s36, 0xff000000
	s_and_b32 s45, s36, 0xff0000
	s_mov_b32 s44, s25
	v_dual_mov_b32 v5, s26 :: v_dual_mov_b32 v6, s27
	s_or_b64 s[42:43], s[44:45], s[42:43]
	s_and_b32 s45, s36, 0xff00
	s_delay_alu instid0(SALU_CYCLE_1) | instskip(SKIP_1) | instid1(SALU_CYCLE_1)
	s_or_b64 s[42:43], s[42:43], s[44:45]
	s_and_b32 s45, s36, 0xff
	s_or_b64 s[24:25], s[42:43], s[44:45]
	s_delay_alu instid0(SALU_CYCLE_1)
	v_mov_b32_e32 v2, s25
	;;#ASMSTART
	global_store_dwordx4 v[5:6], v[1:4] off	
s_waitcnt vmcnt(0)
	;;#ASMEND
.LBB126_87:
	s_or_b32 exec_lo, exec_lo, s15
	v_xad_u32 v41, v72, -1, s41
	s_mov_b32 s24, 0
	s_mov_b32 s15, exec_lo
	s_mov_b32 s25, s24
	s_mov_b32 s26, s24
	;; [unrolled: 1-line block ×3, first 2 shown]
	v_add_nc_u32_e32 v3, 32, v41
	v_dual_mov_b32 v5, s24 :: v_dual_mov_b32 v8, s27
	v_dual_mov_b32 v6, s25 :: v_dual_mov_b32 v7, s26
	s_delay_alu instid0(VALU_DEP_3)
	v_lshlrev_b64 v[2:3], 4, v[3:4]
	s_clause 0x5
	scratch_store_b128 off, v[5:8], off
	scratch_store_b128 off, v[5:8], off offset:16
	scratch_store_b32 off, v4, off offset:4
	scratch_store_b32 off, v4, off offset:12
	;; [unrolled: 1-line block ×4, first 2 shown]
	v_add_co_u32 v2, vcc_lo, s20, v2
	v_add_co_ci_u32_e32 v3, vcc_lo, s21, v3, vcc_lo
	;;#ASMSTART
	global_load_dwordx4 v[5:8], v[2:3] off glc	
s_waitcnt vmcnt(0)
	;;#ASMEND
	v_perm_b32 v4, v6, v7, 0x70605
	v_perm_b32 v8, v6, v7, 0x1000706
	v_perm_b32 v39, v6, v7, 0x2010007
	v_and_b32_e32 v42, 0xff, v7
	v_alignbit_b32 v47, v6, v5, 16
	v_lshlrev_b32_e32 v4, 8, v4
	v_lshlrev_b32_e32 v8, 16, v8
	;; [unrolled: 1-line block ×3, first 2 shown]
	v_alignbit_b32 v45, v6, v5, 24
	s_delay_alu instid0(VALU_DEP_4) | instskip(NEXT) | instid1(VALU_DEP_4)
	v_perm_b32 v4, v4, v6, 0xc0c0500
	v_and_b32_e32 v40, 0xff0000, v8
	v_alignbit_b32 v8, v6, v5, 8
	s_delay_alu instid0(VALU_DEP_2)
	v_or3_b32 v6, v4, v40, v39
	v_cmpx_eq_u16_e32 0, v42
	s_cbranch_execz .LBB126_90
.LBB126_88:                             ; =>This Inner Loop Header: Depth=1
	;;#ASMSTART
	global_load_dwordx4 v[5:8], v[2:3] off glc	
s_waitcnt vmcnt(0)
	;;#ASMEND
	v_and_b32_e32 v4, 0xff, v7
	s_delay_alu instid0(VALU_DEP_1) | instskip(SKIP_1) | instid1(SALU_CYCLE_1)
	v_cmp_ne_u16_e32 vcc_lo, 0, v4
	s_or_b32 s24, vcc_lo, s24
	s_and_not1_b32 exec_lo, exec_lo, s24
	s_cbranch_execnz .LBB126_88
; %bb.89:
	s_or_b32 exec_lo, exec_lo, s24
	v_perm_b32 v2, v6, v7, 0x70605
	v_perm_b32 v3, v6, v7, 0x1000706
	v_perm_b32 v4, v6, v7, 0x2010007
	v_alignbit_b32 v8, v6, v5, 8
	v_alignbit_b32 v47, v6, v5, 16
	v_lshlrev_b32_e32 v2, 8, v2
	v_lshlrev_b32_e32 v3, 16, v3
	v_lshlrev_b32_e32 v4, 24, v4
	v_alignbit_b32 v45, v6, v5, 24
	s_delay_alu instid0(VALU_DEP_4) | instskip(NEXT) | instid1(VALU_DEP_4)
	v_perm_b32 v2, v2, v6, 0xc0c0500
	v_and_b32_e32 v3, 0xff0000, v3
	s_delay_alu instid0(VALU_DEP_1)
	v_or3_b32 v6, v2, v3, v4
.LBB126_90:
	s_or_b32 exec_lo, exec_lo, s15
	v_mov_b32_e32 v40, 0
	s_mov_b32 s25, 0
	s_branch .LBB126_92
.LBB126_91:                             ;   in Loop: Header=BB126_92 Depth=1
	s_or_b32 exec_lo, exec_lo, s25
	v_subrev_nc_u32_e32 v41, 32, v39
	s_add_i32 s25, s24, 1
	s_cbranch_execz .LBB126_98
.LBB126_92:                             ; =>This Loop Header: Depth=1
                                        ;     Child Loop BB126_95 Depth 2
	v_dual_mov_b32 v4, v7 :: v_dual_lshlrev_b32 v3, 8, v8
	v_and_b32_e32 v5, 0xff, v5
	s_delay_alu instid0(VALU_DEP_2) | instskip(NEXT) | instid1(VALU_DEP_3)
	v_dual_mov_b32 v39, v41 :: v_dual_and_b32 v2, 0xff, v4
	v_and_b32_e32 v7, 0xff00, v3
	v_mov_b32_e32 v3, v6
	s_delay_alu instid0(VALU_DEP_3) | instskip(SKIP_1) | instid1(VALU_DEP_2)
	v_cmp_ne_u16_e64 s15, 2, v2
	v_cmp_ne_u16_e32 vcc_lo, 0xff, v2
	s_and_b32 s24, s15, vcc_lo
	s_delay_alu instid0(SALU_CYCLE_1) | instskip(SKIP_1) | instid1(VALU_DEP_1)
	v_cndmask_b32_e64 v2, 0, 1, s24
	;;#ASMSTART
	;;#ASMEND
	v_cmp_ne_u32_e32 vcc_lo, 0, v2
	v_lshlrev_b32_e32 v2, 16, v47
	s_mov_b32 s24, s25
	s_cmp_eq_u32 vcc_lo, exec_lo
	s_delay_alu instid0(VALU_DEP_1) | instskip(SKIP_3) | instid1(VALU_DEP_1)
	v_perm_b32 v2, v45, v2, 0x4020c0c
	s_cselect_b32 s25, -1, 0
	s_cmp_lt_u32 s24, 4
	s_cselect_b32 s26, -1, 0
	v_or3_b32 v2, v2, v7, v5
	s_and_b32 s25, s25, s26
	s_delay_alu instid0(SALU_CYCLE_1)
	s_and_not1_b32 vcc_lo, exec_lo, s25
	s_cbranch_vccnz .LBB126_97
; %bb.93:                               ;   in Loop: Header=BB126_92 Depth=1
	v_lshlrev_b64 v[5:6], 4, v[39:40]
	s_lshl_b32 s25, s24, 3
	s_delay_alu instid0(SALU_CYCLE_1)
	s_add_i32 s25, s25, 0
	scratch_store_b64 off, v[2:3], s25
	v_add_co_u32 v41, vcc_lo, s20, v5
	v_add_co_ci_u32_e32 v42, vcc_lo, s21, v6, vcc_lo
	;;#ASMSTART
	global_load_dwordx4 v[5:8], v[41:42] off glc	
s_waitcnt vmcnt(0)
	;;#ASMEND
	v_perm_b32 v8, v6, v7, 0x70605
	v_perm_b32 v45, v6, v7, 0x1000706
	;; [unrolled: 1-line block ×3, first 2 shown]
	v_and_b32_e32 v55, 0xff, v7
	s_mov_b32 s25, exec_lo
	v_lshlrev_b32_e32 v8, 8, v8
	v_lshlrev_b32_e32 v45, 16, v45
	;; [unrolled: 1-line block ×3, first 2 shown]
	v_alignbit_b32 v47, v6, v5, 16
	s_delay_alu instid0(VALU_DEP_4) | instskip(NEXT) | instid1(VALU_DEP_4)
	v_perm_b32 v51, v8, v6, 0xc0c0500
	v_and_b32_e32 v53, 0xff0000, v45
	v_alignbit_b32 v8, v6, v5, 8
	v_alignbit_b32 v45, v6, v5, 24
	s_delay_alu instid0(VALU_DEP_3)
	v_or3_b32 v6, v51, v53, v49
	v_cmpx_eq_u16_e32 0, v55
	s_cbranch_execz .LBB126_91
; %bb.94:                               ;   in Loop: Header=BB126_92 Depth=1
	s_mov_b32 s26, 0
.LBB126_95:                             ;   Parent Loop BB126_92 Depth=1
                                        ; =>  This Inner Loop Header: Depth=2
	;;#ASMSTART
	global_load_dwordx4 v[5:8], v[41:42] off glc	
s_waitcnt vmcnt(0)
	;;#ASMEND
	v_and_b32_e32 v8, 0xff, v7
	s_delay_alu instid0(VALU_DEP_1) | instskip(SKIP_1) | instid1(SALU_CYCLE_1)
	v_cmp_ne_u16_e32 vcc_lo, 0, v8
	s_or_b32 s26, vcc_lo, s26
	s_and_not1_b32 exec_lo, exec_lo, s26
	s_cbranch_execnz .LBB126_95
; %bb.96:                               ;   in Loop: Header=BB126_92 Depth=1
	s_or_b32 exec_lo, exec_lo, s26
	v_perm_b32 v8, v6, v7, 0x70605
	v_perm_b32 v41, v6, v7, 0x1000706
	;; [unrolled: 1-line block ×3, first 2 shown]
	v_alignbit_b32 v47, v6, v5, 16
	v_alignbit_b32 v45, v6, v5, 24
	v_lshlrev_b32_e32 v8, 8, v8
	v_lshlrev_b32_e32 v41, 16, v41
	;; [unrolled: 1-line block ×3, first 2 shown]
	s_delay_alu instid0(VALU_DEP_3) | instskip(NEXT) | instid1(VALU_DEP_3)
	v_perm_b32 v49, v8, v6, 0xc0c0500
	v_and_b32_e32 v41, 0xff0000, v41
	v_alignbit_b32 v8, v6, v5, 8
	s_delay_alu instid0(VALU_DEP_2)
	v_or3_b32 v6, v49, v41, v42
	s_branch .LBB126_91
.LBB126_97:
                                        ; implicit-def: $vgpr41
                                        ; implicit-def: $sgpr25
                                        ; implicit-def: $vgpr7
                                        ; implicit-def: $vgpr6
                                        ; implicit-def: $vgpr8
                                        ; implicit-def: $vgpr47
                                        ; implicit-def: $vgpr45
.LBB126_98:
	v_cndmask_b32_e64 v5, 0, 1, s15
	;;#ASMSTART
	;;#ASMEND
	s_delay_alu instid0(VALU_DEP_1)
	v_cmp_ne_u32_e32 vcc_lo, 0, v5
	s_cmp_lg_u32 vcc_lo, exec_lo
	s_cbranch_scc1 .LBB126_120
; %bb.99:
	v_dual_mov_b32 v3, 0 :: v_dual_and_b32 v2, 0xff, v4
	s_delay_alu instid0(VALU_DEP_1) | instskip(SKIP_2) | instid1(VALU_DEP_1)
	v_cmp_eq_u16_e32 vcc_lo, 0xff, v2
	v_cndmask_b32_e64 v2, 0, 1, vcc_lo
	;;#ASMSTART
	;;#ASMEND
	v_cmp_ne_u32_e32 vcc_lo, 0, v2
	v_add_nc_u32_e32 v2, 32, v39
	s_cmp_eq_u32 vcc_lo, exec_lo
	s_cselect_b32 vcc_lo, -1, 0
	s_delay_alu instid0(VALU_DEP_1) | instskip(NEXT) | instid1(VALU_DEP_1)
	v_cndmask_b32_e32 v2, v39, v2, vcc_lo
	v_add_nc_u32_e32 v2, 32, v2
	s_delay_alu instid0(VALU_DEP_1) | instskip(NEXT) | instid1(VALU_DEP_1)
	v_lshlrev_b64 v[2:3], 4, v[2:3]
	v_add_co_u32 v6, s15, s20, v2
	s_delay_alu instid0(VALU_DEP_1)
	v_add_co_ci_u32_e64 v7, s15, s21, v3, s15
	s_branch .LBB126_101
.LBB126_100:                            ;   in Loop: Header=BB126_101 Depth=1
	s_or_b32 exec_lo, exec_lo, s25
	v_and_b32_e32 v40, 0xff, v4
	s_delay_alu instid0(VALU_DEP_1) | instskip(NEXT) | instid1(VALU_DEP_1)
	v_cmp_ne_u16_e64 s15, 2, v40
	v_cndmask_b32_e64 v40, 0, 1, s15
	;;#ASMSTART
	;;#ASMEND
	s_delay_alu instid0(VALU_DEP_1) | instskip(NEXT) | instid1(VALU_DEP_1)
	v_cmp_ne_u32_e64 s15, 0, v40
	s_cmp_eq_u32 s15, exec_lo
	s_cbranch_scc0 .LBB126_119
.LBB126_101:                            ; =>This Loop Header: Depth=1
                                        ;     Child Loop BB126_103 Depth 2
	;;#ASMSTART
	global_load_dwordx4 v[2:5], v[6:7] off glc	
s_waitcnt vmcnt(0)
	;;#ASMEND
	v_perm_b32 v5, v3, v4, 0x70605
	v_perm_b32 v8, v3, v4, 0x1000706
	;; [unrolled: 1-line block ×3, first 2 shown]
	v_and_b32_e32 v45, 0xff, v4
	s_mov_b32 s25, exec_lo
	v_lshlrev_b32_e32 v5, 8, v5
	v_lshlrev_b32_e32 v8, 16, v8
	v_lshlrev_b32_e32 v40, 24, v39
	v_alignbit_b32 v39, v3, v2, 16
	s_delay_alu instid0(VALU_DEP_4) | instskip(NEXT) | instid1(VALU_DEP_4)
	v_perm_b32 v41, v5, v3, 0xc0c0500
	v_and_b32_e32 v42, 0xff0000, v8
	v_alignbit_b32 v5, v3, v2, 8
	v_alignbit_b32 v8, v3, v2, 24
	s_delay_alu instid0(VALU_DEP_3)
	v_or3_b32 v3, v41, v42, v40
	v_cmpx_eq_u16_e32 0, v45
	s_cbranch_execz .LBB126_100
; %bb.102:                              ;   in Loop: Header=BB126_101 Depth=1
	s_mov_b32 s26, 0
	.p2align	6
.LBB126_103:                            ;   Parent Loop BB126_101 Depth=1
                                        ; =>  This Inner Loop Header: Depth=2
	;;#ASMSTART
	global_load_dwordx4 v[2:5], v[6:7] off glc	
s_waitcnt vmcnt(0)
	;;#ASMEND
	v_and_b32_e32 v5, 0xff, v4
	s_delay_alu instid0(VALU_DEP_1) | instskip(NEXT) | instid1(VALU_DEP_1)
	v_cmp_ne_u16_e64 s15, 0, v5
	s_or_b32 s26, s15, s26
	s_delay_alu instid0(SALU_CYCLE_1)
	s_and_not1_b32 exec_lo, exec_lo, s26
	s_cbranch_execnz .LBB126_103
; %bb.104:                              ;   in Loop: Header=BB126_101 Depth=1
	s_or_b32 exec_lo, exec_lo, s26
	v_perm_b32 v5, v3, v4, 0x70605
	v_perm_b32 v8, v3, v4, 0x1000706
	;; [unrolled: 1-line block ×3, first 2 shown]
	s_delay_alu instid0(VALU_DEP_3) | instskip(NEXT) | instid1(VALU_DEP_3)
	v_lshlrev_b32_e32 v5, 8, v5
	v_lshlrev_b32_e32 v8, 16, v8
	s_delay_alu instid0(VALU_DEP_3) | instskip(SKIP_1) | instid1(VALU_DEP_4)
	v_lshlrev_b32_e32 v40, 24, v39
	v_alignbit_b32 v39, v3, v2, 16
	v_perm_b32 v41, v5, v3, 0xc0c0500
	s_delay_alu instid0(VALU_DEP_4) | instskip(SKIP_2) | instid1(VALU_DEP_3)
	v_and_b32_e32 v42, 0xff0000, v8
	v_alignbit_b32 v5, v3, v2, 8
	v_alignbit_b32 v8, v3, v2, 24
	v_or3_b32 v3, v41, v42, v40
	s_branch .LBB126_100
.LBB126_105:
                                        ; implicit-def: $vgpr1
                                        ; implicit-def: $vgpr39
                                        ; implicit-def: $vgpr5
                                        ; implicit-def: $vgpr49
                                        ; implicit-def: $vgpr40
                                        ; implicit-def: $vgpr42
                                        ; implicit-def: $vgpr41
                                        ; implicit-def: $vgpr45
                                        ; implicit-def: $vgpr47
                                        ; implicit-def: $vgpr51
                                        ; implicit-def: $vgpr53
                                        ; implicit-def: $vgpr55
                                        ; implicit-def: $vgpr66
                                        ; implicit-def: $vgpr67
                                        ; implicit-def: $vgpr68
                                        ; implicit-def: $vgpr69
                                        ; implicit-def: $vgpr70
                                        ; implicit-def: $vgpr71
	s_cbranch_execnz .LBB126_139
.LBB126_106:
	s_and_saveexec_b32 s0, s22
	s_cbranch_execz .LBB126_312
	s_branch .LBB126_150
.LBB126_107:
	s_mov_b32 s26, 0
                                        ; implicit-def: $sgpr0
                                        ; implicit-def: $vgpr59
                                        ; implicit-def: $vgpr54
                                        ; implicit-def: $vgpr52
                                        ; implicit-def: $vgpr50
                                        ; implicit-def: $vgpr48
                                        ; implicit-def: $vgpr46
                                        ; implicit-def: $vgpr44
                                        ; implicit-def: $vgpr60
                                        ; implicit-def: $vgpr61
                                        ; implicit-def: $vgpr62
                                        ; implicit-def: $vgpr63
                                        ; implicit-def: $vgpr64
                                        ; implicit-def: $vgpr56
                                        ; implicit-def: $vgpr57
	s_cbranch_execz .LBB126_59
; %bb.108:
	v_cmp_neq_f32_e32 vcc_lo, v10, v58
	v_lshlrev_b32_e32 v1, 2, v0
                                        ; implicit-def: $sgpr0
	v_cndmask_b32_e64 v59, 0, 1, vcc_lo
	v_cmp_neq_f32_e32 vcc_lo, v9, v10
	ds_store_b32 v1, v58
	s_waitcnt lgkmcnt(0)
	s_barrier
	buffer_gl0_inv
	v_cndmask_b32_e64 v54, 0, 1, vcc_lo
	v_cmp_neq_f32_e32 vcc_lo, v12, v9
	v_cndmask_b32_e64 v52, 0, 1, vcc_lo
	v_cmp_neq_f32_e32 vcc_lo, v11, v12
	;; [unrolled: 2-line block ×12, first 2 shown]
	v_cndmask_b32_e64 v57, 0, 1, vcc_lo
	s_and_saveexec_b32 s1, s3
	s_delay_alu instid0(SALU_CYCLE_1)
	s_xor_b32 s1, exec_lo, s1
	s_cbranch_execz .LBB126_110
; %bb.109:
	v_add_nc_u32_e32 v1, -4, v1
	s_or_b32 s26, s26, exec_lo
	ds_load_b32 v1, v1
	s_waitcnt lgkmcnt(0)
	v_cmp_neq_f32_e32 vcc_lo, v1, v21
	s_and_b32 s0, vcc_lo, exec_lo
.LBB126_110:
	s_or_b32 exec_lo, exec_lo, s1
	s_mov_b32 s1, 1
	s_branch .LBB126_75
.LBB126_111:
	s_mul_hi_u32 s0, s24, 0xfffff100
	s_mul_i32 s1, s25, 0xfffff100
	s_sub_i32 s0, s0, s24
	s_mul_i32 s4, s24, 0xfffff100
	s_add_i32 s0, s0, s1
	s_add_u32 s24, s4, s36
	s_addc_u32 s25, s0, s37
	s_and_b32 vcc_lo, exec_lo, s15
	v_cmp_neq_f32_e64 s14, v10, v58
	v_cmp_neq_f32_e64 s15, v9, v10
	;; [unrolled: 1-line block ×14, first 2 shown]
	v_mad_u32_u24 v1, v0, 15, 14
	v_mad_u32_u24 v55, v0, 15, 13
	;; [unrolled: 1-line block ×14, first 2 shown]
	s_cbranch_vccz .LBB126_116
; %bb.112:
	v_add_co_u32 v56, vcc_lo, -4, v4
	v_add_co_ci_u32_e32 v57, vcc_lo, -1, v2, vcc_lo
	v_mov_b32_e32 v2, 0
	s_mov_b32 s26, -1
	s_mov_b32 s27, 0
	flat_load_b32 v66, v[56:57]
	v_lshlrev_b32_e32 v57, 2, v0
	v_cmp_gt_u64_e32 vcc_lo, s[24:25], v[1:2]
	v_mov_b32_e32 v56, v2
	v_mov_b32_e32 v54, v2
	;; [unrolled: 1-line block ×5, first 2 shown]
	v_cmp_gt_u64_e64 s16, s[24:25], v[55:56]
	s_and_b32 s36, vcc_lo, s14
	v_cmp_gt_u64_e32 vcc_lo, s[24:25], v[53:54]
	v_mov_b32_e32 v46, v2
	v_mov_b32_e32 v44, v2
	v_cmp_gt_u64_e64 s14, s[24:25], v[51:52]
	s_and_b32 s37, s16, s15
	v_mov_b32_e32 v42, v2
	s_and_b32 s42, vcc_lo, s13
	v_cmp_gt_u64_e32 vcc_lo, s[24:25], v[49:50]
	v_cmp_gt_u64_e64 s13, s[24:25], v[47:48]
	v_cmp_gt_u64_e64 s15, s[24:25], v[45:46]
	;; [unrolled: 1-line block ×3, first 2 shown]
	v_mov_b32_e32 v40, v2
	v_mov_b32_e32 v38, v2
	;; [unrolled: 1-line block ×5, first 2 shown]
	s_and_b32 s14, s14, s12
	s_and_b32 s43, vcc_lo, s8
	s_and_b32 s13, s13, s9
	s_and_b32 s15, s15, s10
	;; [unrolled: 1-line block ×3, first 2 shown]
	v_cmp_gt_u64_e32 vcc_lo, s[24:25], v[41:42]
	v_cmp_gt_u64_e64 s8, s[24:25], v[39:40]
	v_cmp_gt_u64_e64 s9, s[24:25], v[37:38]
	v_cmp_gt_u64_e64 s10, s[24:25], v[7:8]
	v_cmp_gt_u64_e64 s11, s[24:25], v[5:6]
	v_cmp_gt_u64_e64 s12, s[24:25], v[3:4]
	v_mul_u32_u24_e32 v56, 15, v0
	s_and_b32 s0, vcc_lo, s0
	s_and_b32 s8, s8, s1
	s_and_b32 s9, s9, s4
	;; [unrolled: 1-line block ×5, first 2 shown]
	ds_store_b32 v57, v58
	s_waitcnt vmcnt(0) lgkmcnt(0)
	s_barrier
	buffer_gl0_inv
	s_and_saveexec_b32 s6, s3
	s_cbranch_execz .LBB126_114
; %bb.113:
	v_add_nc_u32_e32 v4, -4, v57
	ds_load_b32 v66, v4
.LBB126_114:
	s_or_b32 exec_lo, exec_lo, s6
	v_mov_b32_e32 v57, v2
	v_cndmask_b32_e64 v61, 0, 1, s0
	s_waitcnt lgkmcnt(0)
	v_cmp_neq_f32_e64 s0, v66, v21
	v_cndmask_b32_e64 v59, 0, 1, s36
	v_cndmask_b32_e64 v54, 0, 1, s37
	v_cmp_gt_u64_e32 vcc_lo, s[24:25], v[56:57]
	v_cndmask_b32_e64 v52, 0, 1, s42
	v_cndmask_b32_e64 v50, 0, 1, s14
	;; [unrolled: 1-line block ×11, first 2 shown]
	s_and_b32 s0, vcc_lo, s0
	s_and_b32 vcc_lo, exec_lo, s27
	s_cbranch_vccnz .LBB126_117
.LBB126_115:
                                        ; implicit-def: $sgpr1
	v_mov_b32_e32 v43, s1
	s_and_saveexec_b32 s1, s26
	s_cbranch_execnz .LBB126_76
	s_branch .LBB126_77
.LBB126_116:
                                        ; implicit-def: $sgpr0
                                        ; implicit-def: $vgpr59
                                        ; implicit-def: $vgpr54
                                        ; implicit-def: $vgpr52
                                        ; implicit-def: $vgpr50
                                        ; implicit-def: $vgpr48
                                        ; implicit-def: $vgpr46
                                        ; implicit-def: $vgpr44
                                        ; implicit-def: $vgpr60
                                        ; implicit-def: $vgpr61
                                        ; implicit-def: $vgpr62
                                        ; implicit-def: $vgpr63
                                        ; implicit-def: $vgpr64
                                        ; implicit-def: $vgpr56
                                        ; implicit-def: $vgpr57
	s_cbranch_execz .LBB126_115
.LBB126_117:
	v_mov_b32_e32 v2, 0
	v_cmp_neq_f32_e64 s1, v12, v9
	v_cmp_neq_f32_e32 vcc_lo, v10, v58
	v_cmp_neq_f32_e64 s0, v9, v10
	v_lshlrev_b32_e32 v66, 2, v0
	v_mov_b32_e32 v54, v2
	v_mov_b32_e32 v56, v2
	v_cmp_gt_u64_e64 s4, s[24:25], v[1:2]
	v_mov_b32_e32 v52, v2
	v_mov_b32_e32 v50, v2
	v_cmp_gt_u64_e64 s6, s[24:25], v[53:54]
	v_cmp_gt_u64_e64 s5, s[24:25], v[55:56]
	v_mov_b32_e32 v48, v2
	s_and_b32 s4, s4, vcc_lo
	v_cmp_gt_u64_e32 vcc_lo, s[24:25], v[51:52]
	v_cndmask_b32_e64 v59, 0, 1, s4
	s_and_b32 s1, s6, s1
	s_and_b32 s0, s5, s0
	v_cndmask_b32_e64 v52, 0, 1, s1
	v_cmp_gt_u64_e64 s1, s[24:25], v[49:50]
	v_cmp_neq_f32_e64 s4, v14, v11
	v_cndmask_b32_e64 v54, 0, 1, s0
	v_cmp_neq_f32_e64 s0, v11, v12
	v_mov_b32_e32 v46, v2
	v_mov_b32_e32 v44, v2
	s_and_b32 s1, s1, s4
	v_cmp_neq_f32_e64 s4, v16, v13
	s_and_b32 s0, vcc_lo, s0
	v_cmp_gt_u64_e32 vcc_lo, s[24:25], v[47:48]
	v_cndmask_b32_e64 v48, 0, 1, s1
	v_cmp_gt_u64_e64 s1, s[24:25], v[45:46]
	v_cndmask_b32_e64 v50, 0, 1, s0
	v_cmp_neq_f32_e64 s0, v13, v14
	v_mov_b32_e32 v42, v2
	v_mov_b32_e32 v40, v2
	;; [unrolled: 1-line block ×3, first 2 shown]
	s_and_b32 s1, s1, s4
	s_and_b32 s0, vcc_lo, s0
	v_cmp_gt_u64_e32 vcc_lo, s[24:25], v[43:44]
	v_cndmask_b32_e64 v46, 0, 1, s0
	v_cmp_neq_f32_e64 s0, v15, v16
	v_cndmask_b32_e64 v44, 0, 1, s1
	v_cmp_gt_u64_e64 s1, s[24:25], v[41:42]
	v_cmp_neq_f32_e64 s4, v18, v15
	v_mov_b32_e32 v8, v2
	s_and_b32 s0, vcc_lo, s0
	v_cmp_gt_u64_e32 vcc_lo, s[24:25], v[39:40]
	v_cndmask_b32_e64 v60, 0, 1, s0
	s_and_b32 s1, s1, s4
	v_cmp_neq_f32_e64 s0, v17, v18
	v_cndmask_b32_e64 v61, 0, 1, s1
	v_cmp_gt_u64_e64 s1, s[24:25], v[37:38]
	v_cmp_neq_f32_e64 s4, v20, v17
	v_mov_b32_e32 v6, v2
	s_and_b32 s0, vcc_lo, s0
	v_mov_b32_e32 v4, v2
	v_cndmask_b32_e64 v62, 0, 1, s0
	s_and_b32 s0, s1, s4
	v_cmp_gt_u64_e32 vcc_lo, s[24:25], v[7:8]
	v_cndmask_b32_e64 v63, 0, 1, s0
	v_cmp_neq_f32_e64 s0, v19, v20
	v_cmp_gt_u64_e64 s1, s[24:25], v[5:6]
	v_cmp_neq_f32_e64 s4, v22, v19
	v_cmp_gt_u64_e64 s5, s[24:25], v[3:4]
	v_cmp_neq_f32_e64 s6, v21, v22
	s_and_b32 s0, vcc_lo, s0
	ds_store_b32 v66, v58
	v_cndmask_b32_e64 v64, 0, 1, s0
	s_and_b32 s0, s1, s4
	s_mov_b32 s1, 1
	v_cndmask_b32_e64 v56, 0, 1, s0
	s_and_b32 s0, s5, s6
	s_waitcnt lgkmcnt(0)
	v_cndmask_b32_e64 v57, 0, 1, s0
	s_barrier
	buffer_gl0_inv
                                        ; implicit-def: $sgpr0
	s_and_saveexec_b32 s4, s3
	s_cbranch_execz .LBB126_125
; %bb.118:
	v_add_nc_u32_e32 v1, -4, v66
	s_or_b32 s26, s26, exec_lo
	ds_load_b32 v3, v1
	v_mul_u32_u24_e32 v1, 15, v0
	s_delay_alu instid0(VALU_DEP_1) | instskip(SKIP_2) | instid1(VALU_DEP_1)
	v_cmp_gt_u64_e32 vcc_lo, s[24:25], v[1:2]
	s_waitcnt lgkmcnt(0)
	v_cmp_neq_f32_e64 s0, v3, v21
	s_and_b32 s0, vcc_lo, s0
	s_delay_alu instid0(SALU_CYCLE_1)
	s_and_b32 s0, s0, exec_lo
	s_or_b32 exec_lo, exec_lo, s4
	v_mov_b32_e32 v43, s1
	s_and_saveexec_b32 s1, s26
	s_cbranch_execz .LBB126_77
	s_branch .LBB126_76
.LBB126_119:
	v_lshlrev_b32_e32 v6, 16, v39
	v_lshlrev_b32_e32 v5, 8, v5
	v_cndmask_b32_e64 v7, 0, 1, vcc_lo
	v_and_b32_e32 v2, 0xff, v2
	s_delay_alu instid0(VALU_DEP_4) | instskip(NEXT) | instid1(VALU_DEP_4)
	v_perm_b32 v6, v8, v6, 0x4020c0c
	v_and_b32_e32 v5, 0xff00, v5
	s_delay_alu instid0(VALU_DEP_4) | instskip(NEXT) | instid1(VALU_DEP_2)
	v_readfirstlane_b32 s15, v7
	v_or3_b32 v2, v6, v5, v2
	s_delay_alu instid0(VALU_DEP_2)
	s_sub_i32 s24, s24, s15
.LBB126_120:
	v_and_b32_e32 v4, 0xff, v4
	s_delay_alu instid0(VALU_DEP_1)
	v_cmp_eq_u16_e32 vcc_lo, 2, v4
	s_cbranch_vccz .LBB126_126
; %bb.121:
	s_ctz_i32_b32 s15, vcc_lo
	s_delay_alu instid0(SALU_CYCLE_1)
	s_cmp_eq_u32 s15, 0
	s_cbranch_scc1 .LBB126_127
; %bb.122:
	v_cmp_ne_u32_e32 vcc_lo, 31, v72
	v_add_co_ci_u32_e32 v4, vcc_lo, 0, v72, vcc_lo
	v_cmp_eq_u32_e32 vcc_lo, 0, v2
	s_delay_alu instid0(VALU_DEP_2)
	v_dual_mov_b32 v5, v3 :: v_dual_lshlrev_b32 v6, 2, v4
	v_mov_b32_e32 v4, v2
.LBB126_123:                            ; =>This Inner Loop Header: Depth=1
	ds_bpermute_b32 v5, v6, v5
	ds_bpermute_b32 v4, v6, v4
	s_add_i32 s15, s15, -1
	s_delay_alu instid0(SALU_CYCLE_1) | instskip(SKIP_2) | instid1(VALU_DEP_1)
	s_cmp_lg_u32 s15, 0
	s_waitcnt lgkmcnt(0)
	v_dual_add_f32 v5, v3, v5 :: v_dual_add_nc_u32 v4, v4, v2
	v_cndmask_b32_e32 v5, v3, v5, vcc_lo
	s_cbranch_scc1 .LBB126_123
; %bb.124:
	s_cmp_lt_i32 s24, 1
	s_cbranch_scc0 .LBB126_128
	s_branch .LBB126_130
.LBB126_125:
	s_or_b32 exec_lo, exec_lo, s4
	v_mov_b32_e32 v43, s1
	s_and_saveexec_b32 s1, s26
	s_cbranch_execnz .LBB126_76
	s_branch .LBB126_77
.LBB126_126:
	s_mov_b32 s24, 0
	s_mov_b32 s15, -1
	s_branch .LBB126_135
.LBB126_127:
	v_dual_mov_b32 v5, v3 :: v_dual_mov_b32 v4, v2
	s_cmp_lt_i32 s24, 1
	s_cbranch_scc1 .LBB126_130
.LBB126_128:
	s_lshl_b32 s15, s24, 3
	s_delay_alu instid0(SALU_CYCLE_1) | instskip(SKIP_1) | instid1(VALU_DEP_1)
	v_add_nc_u32_e64 v2, s15, 0
	s_add_i32 s15, s24, 1
	v_add_nc_u32_e32 v2, -4, v2
.LBB126_129:                            ; =>This Inner Loop Header: Depth=1
	scratch_load_b64 v[6:7], v2, off offset:-4
	v_readlane_b32 s24, v5, 32
	s_add_i32 s15, s15, -1
	v_add_nc_u32_e32 v2, -8, v2
	s_cmp_gt_u32 s15, 1
	s_waitcnt vmcnt(0)
	v_add_f32_e32 v3, s24, v7
	v_readlane_b32 s24, v4, 32
	v_cmp_eq_u32_e32 vcc_lo, 0, v6
	s_delay_alu instid0(VALU_DEP_2) | instskip(NEXT) | instid1(VALU_DEP_1)
	v_add_nc_u32_e32 v4, s24, v6
	v_mov_b32_dpp v4, v4 row_shl:1 row_mask:0xf bank_mask:0xf
	s_delay_alu instid0(VALU_DEP_1) | instskip(NEXT) | instid1(VALU_DEP_1)
	v_dual_cndmask_b32 v3, v7, v3 :: v_dual_add_nc_u32 v4, v4, v6
	v_mov_b32_dpp v3, v3 row_shl:1 row_mask:0xf bank_mask:0xf
	s_delay_alu instid0(VALU_DEP_2) | instskip(NEXT) | instid1(VALU_DEP_1)
	v_mov_b32_dpp v4, v4 row_shl:1 row_mask:0xf bank_mask:0xf
	v_dual_add_f32 v3, v7, v3 :: v_dual_add_nc_u32 v4, v4, v6
	s_delay_alu instid0(VALU_DEP_1) | instskip(NEXT) | instid1(VALU_DEP_1)
	v_mov_b32_dpp v4, v4 row_shl:1 row_mask:0xf bank_mask:0xf
	v_dual_cndmask_b32 v3, v7, v3 :: v_dual_add_nc_u32 v4, v4, v6
	s_delay_alu instid0(VALU_DEP_1) | instskip(NEXT) | instid1(VALU_DEP_2)
	v_mov_b32_dpp v3, v3 row_shl:1 row_mask:0xf bank_mask:0xf
	v_mov_b32_dpp v4, v4 row_shl:1 row_mask:0xf bank_mask:0xf
	s_delay_alu instid0(VALU_DEP_1) | instskip(NEXT) | instid1(VALU_DEP_1)
	v_dual_add_f32 v3, v7, v3 :: v_dual_add_nc_u32 v4, v4, v6
	v_mov_b32_dpp v4, v4 row_shl:1 row_mask:0xf bank_mask:0xf
	s_delay_alu instid0(VALU_DEP_1) | instskip(NEXT) | instid1(VALU_DEP_1)
	v_dual_cndmask_b32 v3, v7, v3 :: v_dual_add_nc_u32 v4, v4, v6
	v_mov_b32_dpp v3, v3 row_shl:1 row_mask:0xf bank_mask:0xf
	s_delay_alu instid0(VALU_DEP_2) | instskip(NEXT) | instid1(VALU_DEP_1)
	v_mov_b32_dpp v4, v4 row_shl:1 row_mask:0xf bank_mask:0xf
	v_dual_add_f32 v3, v7, v3 :: v_dual_add_nc_u32 v4, v4, v6
	s_delay_alu instid0(VALU_DEP_1) | instskip(NEXT) | instid1(VALU_DEP_1)
	v_mov_b32_dpp v4, v4 row_shl:1 row_mask:0xf bank_mask:0xf
	v_dual_cndmask_b32 v3, v7, v3 :: v_dual_add_nc_u32 v4, v4, v6
	s_delay_alu instid0(VALU_DEP_1) | instskip(NEXT) | instid1(VALU_DEP_2)
	v_mov_b32_dpp v3, v3 row_shl:1 row_mask:0xf bank_mask:0xf
	v_mov_b32_dpp v4, v4 row_shl:1 row_mask:0xf bank_mask:0xf
	s_delay_alu instid0(VALU_DEP_2) | instskip(NEXT) | instid1(VALU_DEP_1)
	v_add_f32_e32 v3, v7, v3
	v_cndmask_b32_e32 v3, v7, v3, vcc_lo
	s_delay_alu instid0(VALU_DEP_1) | instskip(NEXT) | instid1(VALU_DEP_1)
	v_mov_b32_dpp v3, v3 row_shl:1 row_mask:0xf bank_mask:0xf
	v_add_f32_e32 v3, v7, v3
	s_delay_alu instid0(VALU_DEP_1) | instskip(NEXT) | instid1(VALU_DEP_1)
	v_cndmask_b32_e32 v3, v7, v3, vcc_lo
	v_mov_b32_dpp v3, v3 row_shl:1 row_mask:0xf bank_mask:0xf
	s_delay_alu instid0(VALU_DEP_1) | instskip(NEXT) | instid1(VALU_DEP_1)
	v_add_f32_e32 v3, v7, v3
	v_cndmask_b32_e32 v3, v7, v3, vcc_lo
	s_delay_alu instid0(VALU_DEP_1) | instskip(NEXT) | instid1(VALU_DEP_1)
	v_mov_b32_dpp v3, v3 row_shl:1 row_mask:0xf bank_mask:0xf
	v_add_f32_e32 v3, v7, v3
	s_delay_alu instid0(VALU_DEP_1) | instskip(NEXT) | instid1(VALU_DEP_1)
	v_cndmask_b32_e32 v3, v7, v3, vcc_lo
	v_mov_b32_dpp v3, v3 row_shl:1 row_mask:0xf bank_mask:0xf
	s_delay_alu instid0(VALU_DEP_1) | instskip(NEXT) | instid1(VALU_DEP_1)
	;; [unrolled: 9-line block ×5, first 2 shown]
	v_add_f32_e32 v3, v7, v3
	v_cndmask_b32_e32 v3, v7, v3, vcc_lo
	s_delay_alu instid0(VALU_DEP_1) | instskip(NEXT) | instid1(VALU_DEP_1)
	v_mov_b32_dpp v3, v3 row_shl:1 row_mask:0xf bank_mask:0xf
	v_add_f32_e32 v3, v7, v3
	s_delay_alu instid0(VALU_DEP_1) | instskip(NEXT) | instid1(VALU_DEP_1)
	v_cndmask_b32_e32 v3, v7, v3, vcc_lo
	v_readlane_b32 s24, v3, 16
	s_delay_alu instid0(VALU_DEP_1) | instskip(NEXT) | instid1(VALU_DEP_1)
	v_dual_add_f32 v4, s24, v7 :: v_dual_add_nc_u32 v3, v4, v6
	v_mov_b32_dpp v3, v3 row_shl:1 row_mask:0xf bank_mask:0xf
	s_delay_alu instid0(VALU_DEP_2) | instskip(NEXT) | instid1(VALU_DEP_2)
	v_cndmask_b32_e32 v4, v7, v4, vcc_lo
	v_add_nc_u32_e32 v3, v3, v6
	s_delay_alu instid0(VALU_DEP_2) | instskip(NEXT) | instid1(VALU_DEP_2)
	v_mov_b32_dpp v4, v4 row_shl:1 row_mask:0xf bank_mask:0xf
	v_mov_b32_dpp v3, v3 row_shl:1 row_mask:0xf bank_mask:0xf
	s_delay_alu instid0(VALU_DEP_2) | instskip(NEXT) | instid1(VALU_DEP_2)
	v_add_f32_e32 v4, v7, v4
	v_add_nc_u32_e32 v3, v3, v6
	s_delay_alu instid0(VALU_DEP_2) | instskip(NEXT) | instid1(VALU_DEP_2)
	v_cndmask_b32_e32 v4, v7, v4, vcc_lo
	v_mov_b32_dpp v3, v3 row_shl:1 row_mask:0xf bank_mask:0xf
	s_delay_alu instid0(VALU_DEP_2) | instskip(NEXT) | instid1(VALU_DEP_2)
	v_mov_b32_dpp v4, v4 row_shl:1 row_mask:0xf bank_mask:0xf
	v_add_nc_u32_e32 v3, v3, v6
	s_delay_alu instid0(VALU_DEP_2) | instskip(NEXT) | instid1(VALU_DEP_2)
	v_add_f32_e32 v4, v7, v4
	v_mov_b32_dpp v3, v3 row_shl:1 row_mask:0xf bank_mask:0xf
	s_delay_alu instid0(VALU_DEP_2) | instskip(NEXT) | instid1(VALU_DEP_2)
	v_cndmask_b32_e32 v4, v7, v4, vcc_lo
	v_add_nc_u32_e32 v3, v3, v6
	s_delay_alu instid0(VALU_DEP_2) | instskip(NEXT) | instid1(VALU_DEP_2)
	v_mov_b32_dpp v4, v4 row_shl:1 row_mask:0xf bank_mask:0xf
	v_mov_b32_dpp v3, v3 row_shl:1 row_mask:0xf bank_mask:0xf
	s_delay_alu instid0(VALU_DEP_2) | instskip(NEXT) | instid1(VALU_DEP_2)
	v_add_f32_e32 v4, v7, v4
	v_add_nc_u32_e32 v3, v3, v6
	s_delay_alu instid0(VALU_DEP_2) | instskip(NEXT) | instid1(VALU_DEP_2)
	v_cndmask_b32_e32 v4, v7, v4, vcc_lo
	v_mov_b32_dpp v3, v3 row_shl:1 row_mask:0xf bank_mask:0xf
	s_delay_alu instid0(VALU_DEP_2) | instskip(NEXT) | instid1(VALU_DEP_2)
	v_mov_b32_dpp v4, v4 row_shl:1 row_mask:0xf bank_mask:0xf
	v_add_nc_u32_e32 v3, v3, v6
	s_delay_alu instid0(VALU_DEP_2) | instskip(NEXT) | instid1(VALU_DEP_2)
	v_add_f32_e32 v4, v7, v4
	v_mov_b32_dpp v3, v3 row_shl:1 row_mask:0xf bank_mask:0xf
	s_delay_alu instid0(VALU_DEP_2) | instskip(NEXT) | instid1(VALU_DEP_2)
	v_cndmask_b32_e32 v4, v7, v4, vcc_lo
	v_add_nc_u32_e32 v3, v3, v6
	s_delay_alu instid0(VALU_DEP_2) | instskip(NEXT) | instid1(VALU_DEP_2)
	v_mov_b32_dpp v4, v4 row_shl:1 row_mask:0xf bank_mask:0xf
	v_readlane_b32 s24, v3, 16
	s_delay_alu instid0(VALU_DEP_1) | instskip(NEXT) | instid1(VALU_DEP_1)
	v_dual_add_f32 v3, v7, v4 :: v_dual_add_nc_u32 v4, s24, v6
	v_cndmask_b32_e32 v3, v7, v3, vcc_lo
	s_delay_alu instid0(VALU_DEP_2) | instskip(NEXT) | instid1(VALU_DEP_2)
	v_mov_b32_dpp v4, v4 row_shl:1 row_mask:0xf bank_mask:0xf
	v_mov_b32_dpp v3, v3 row_shl:1 row_mask:0xf bank_mask:0xf
	s_delay_alu instid0(VALU_DEP_1) | instskip(NEXT) | instid1(VALU_DEP_1)
	v_dual_add_f32 v3, v7, v3 :: v_dual_add_nc_u32 v4, v4, v6
	v_mov_b32_dpp v4, v4 row_shl:1 row_mask:0xf bank_mask:0xf
	s_delay_alu instid0(VALU_DEP_1) | instskip(NEXT) | instid1(VALU_DEP_1)
	v_dual_cndmask_b32 v3, v7, v3 :: v_dual_add_nc_u32 v4, v4, v6
	v_mov_b32_dpp v3, v3 row_shl:1 row_mask:0xf bank_mask:0xf
	s_delay_alu instid0(VALU_DEP_2) | instskip(NEXT) | instid1(VALU_DEP_1)
	v_mov_b32_dpp v4, v4 row_shl:1 row_mask:0xf bank_mask:0xf
	v_dual_add_f32 v3, v7, v3 :: v_dual_add_nc_u32 v4, v4, v6
	s_delay_alu instid0(VALU_DEP_1) | instskip(NEXT) | instid1(VALU_DEP_2)
	v_cndmask_b32_e32 v3, v7, v3, vcc_lo
	v_mov_b32_dpp v4, v4 row_shl:1 row_mask:0xf bank_mask:0xf
	s_delay_alu instid0(VALU_DEP_2) | instskip(NEXT) | instid1(VALU_DEP_1)
	v_mov_b32_dpp v3, v3 row_shl:1 row_mask:0xf bank_mask:0xf
	v_dual_add_f32 v3, v7, v3 :: v_dual_add_nc_u32 v4, v4, v6
	s_delay_alu instid0(VALU_DEP_1) | instskip(NEXT) | instid1(VALU_DEP_1)
	v_mov_b32_dpp v4, v4 row_shl:1 row_mask:0xf bank_mask:0xf
	v_dual_cndmask_b32 v3, v7, v3 :: v_dual_add_nc_u32 v4, v4, v6
	s_delay_alu instid0(VALU_DEP_1) | instskip(NEXT) | instid1(VALU_DEP_2)
	v_mov_b32_dpp v3, v3 row_shl:1 row_mask:0xf bank_mask:0xf
	v_mov_b32_dpp v4, v4 row_shl:1 row_mask:0xf bank_mask:0xf
	s_delay_alu instid0(VALU_DEP_1) | instskip(NEXT) | instid1(VALU_DEP_1)
	v_dual_add_f32 v3, v7, v3 :: v_dual_add_nc_u32 v4, v4, v6
	v_cndmask_b32_e32 v3, v7, v3, vcc_lo
	s_delay_alu instid0(VALU_DEP_2) | instskip(NEXT) | instid1(VALU_DEP_2)
	v_mov_b32_dpp v4, v4 row_shl:1 row_mask:0xf bank_mask:0xf
	v_mov_b32_dpp v3, v3 row_shl:1 row_mask:0xf bank_mask:0xf
	s_delay_alu instid0(VALU_DEP_1) | instskip(NEXT) | instid1(VALU_DEP_1)
	v_dual_add_f32 v3, v7, v3 :: v_dual_add_nc_u32 v4, v4, v6
	v_mov_b32_dpp v4, v4 row_shl:1 row_mask:0xf bank_mask:0xf
	s_delay_alu instid0(VALU_DEP_1) | instskip(NEXT) | instid1(VALU_DEP_1)
	v_dual_cndmask_b32 v3, v7, v3 :: v_dual_add_nc_u32 v4, v4, v6
	v_mov_b32_dpp v3, v3 row_shl:1 row_mask:0xf bank_mask:0xf
	s_delay_alu instid0(VALU_DEP_2) | instskip(NEXT) | instid1(VALU_DEP_1)
	v_mov_b32_dpp v4, v4 row_shl:1 row_mask:0xf bank_mask:0xf
	v_dual_add_f32 v3, v7, v3 :: v_dual_add_nc_u32 v4, v4, v6
	s_delay_alu instid0(VALU_DEP_1) | instskip(NEXT) | instid1(VALU_DEP_2)
	v_cndmask_b32_e32 v3, v7, v3, vcc_lo
	v_mov_b32_dpp v4, v4 row_shl:1 row_mask:0xf bank_mask:0xf
	s_delay_alu instid0(VALU_DEP_2) | instskip(NEXT) | instid1(VALU_DEP_1)
	v_mov_b32_dpp v3, v3 row_shl:1 row_mask:0xf bank_mask:0xf
	v_dual_add_f32 v3, v7, v3 :: v_dual_add_nc_u32 v4, v4, v6
	s_delay_alu instid0(VALU_DEP_1) | instskip(NEXT) | instid1(VALU_DEP_1)
	v_mov_b32_dpp v4, v4 row_shl:1 row_mask:0xf bank_mask:0xf
	v_dual_cndmask_b32 v3, v7, v3 :: v_dual_add_nc_u32 v4, v4, v6
	s_delay_alu instid0(VALU_DEP_1) | instskip(NEXT) | instid1(VALU_DEP_2)
	v_mov_b32_dpp v3, v3 row_shl:1 row_mask:0xf bank_mask:0xf
	v_mov_b32_dpp v4, v4 row_shl:1 row_mask:0xf bank_mask:0xf
	s_delay_alu instid0(VALU_DEP_1) | instskip(NEXT) | instid1(VALU_DEP_1)
	v_dual_add_f32 v3, v7, v3 :: v_dual_add_nc_u32 v4, v4, v6
	v_cndmask_b32_e32 v3, v7, v3, vcc_lo
	s_delay_alu instid0(VALU_DEP_2) | instskip(NEXT) | instid1(VALU_DEP_2)
	v_mov_b32_dpp v4, v4 row_shl:1 row_mask:0xf bank_mask:0xf
	v_mov_b32_dpp v3, v3 row_shl:1 row_mask:0xf bank_mask:0xf
	s_delay_alu instid0(VALU_DEP_1) | instskip(NEXT) | instid1(VALU_DEP_1)
	v_dual_add_f32 v3, v7, v3 :: v_dual_add_nc_u32 v4, v4, v6
	v_mov_b32_dpp v4, v4 row_shl:1 row_mask:0xf bank_mask:0xf
	s_delay_alu instid0(VALU_DEP_1) | instskip(NEXT) | instid1(VALU_DEP_1)
	v_dual_cndmask_b32 v3, v7, v3 :: v_dual_add_nc_u32 v4, v4, v6
	v_mov_b32_dpp v3, v3 row_shl:1 row_mask:0xf bank_mask:0xf
	s_delay_alu instid0(VALU_DEP_2) | instskip(NEXT) | instid1(VALU_DEP_1)
	v_mov_b32_dpp v4, v4 row_shl:1 row_mask:0xf bank_mask:0xf
	v_dual_add_f32 v3, v7, v3 :: v_dual_add_nc_u32 v4, v4, v6
	s_delay_alu instid0(VALU_DEP_1)
	v_cndmask_b32_e32 v5, v7, v3, vcc_lo
	s_cbranch_scc1 .LBB126_129
.LBB126_130:
	s_delay_alu instid0(VALU_DEP_1) | instskip(NEXT) | instid1(VALU_DEP_2)
	v_readfirstlane_b32 s15, v4
	v_readfirstlane_b32 s24, v5
	s_and_saveexec_b32 s25, s14
	s_cbranch_execz .LBB126_132
; %bb.131:
	s_delay_alu instid0(VALU_DEP_1)
	v_add_f32_e64 v2, s36, s24
	v_cmp_eq_u32_e32 vcc_lo, 0, v1
	s_mov_b32 s27, 0
	s_add_i32 s26, s41, 32
	v_mov_b32_e32 v7, 2
	s_lshl_b64 s[26:27], s[26:27], 4
	v_cndmask_b32_e32 v2, s36, v2, vcc_lo
	s_add_u32 s26, s20, s26
	s_addc_u32 s27, s21, s27
	s_delay_alu instid0(SALU_CYCLE_1) | instskip(NEXT) | instid1(VALU_DEP_2)
	v_dual_mov_b32 v40, s27 :: v_dual_add_nc_u32 v5, s15, v1
	v_dual_mov_b32 v8, 0 :: v_dual_and_b32 v3, 0xff000000, v2
	v_dual_mov_b32 v39, s26 :: v_dual_and_b32 v4, 0xff0000, v2
	v_and_b32_e32 v6, 0xff00, v2
	v_and_b32_e32 v2, 0xff, v2
	s_delay_alu instid0(VALU_DEP_3) | instskip(SKIP_1) | instid1(VALU_DEP_2)
	v_or_b32_e32 v3, v4, v3
	v_mov_b32_e32 v4, s24
	v_or_b32_e32 v3, v3, v6
	s_delay_alu instid0(VALU_DEP_1)
	v_or_b32_e32 v6, v3, v2
	v_dual_mov_b32 v3, s15 :: v_dual_mov_b32 v2, s36
	;;#ASMSTART
	global_store_dwordx4 v[39:40], v[5:8] off	
s_waitcnt vmcnt(0)
	;;#ASMEND
	ds_store_b128 v8, v[1:4] offset:2048
.LBB126_132:
	s_or_b32 exec_lo, exec_lo, s25
	s_and_saveexec_b32 s25, s2
	s_cbranch_execz .LBB126_134
; %bb.133:
	v_dual_mov_b32 v1, s15 :: v_dual_mov_b32 v2, s24
	v_mov_b32_e32 v3, 0
	ds_store_b64 v3, v[1:2] offset:2120
.LBB126_134:
	s_or_b32 exec_lo, exec_lo, s25
	s_mov_b32 s24, -1
	s_mov_b32 s15, 0
.LBB126_135:
	s_delay_alu instid0(SALU_CYCLE_1)
	s_and_b32 s15, s15, exec_lo
	s_or_not1_b32 s24, s24, exec_lo
.LBB126_136:
	s_or_b32 exec_lo, exec_lo, s23
                                        ; implicit-def: $vgpr1
                                        ; implicit-def: $vgpr39
                                        ; implicit-def: $vgpr5
                                        ; implicit-def: $vgpr49
                                        ; implicit-def: $vgpr40
                                        ; implicit-def: $vgpr42
                                        ; implicit-def: $vgpr41
                                        ; implicit-def: $vgpr45
                                        ; implicit-def: $vgpr47
                                        ; implicit-def: $vgpr51
                                        ; implicit-def: $vgpr53
                                        ; implicit-def: $vgpr55
                                        ; implicit-def: $vgpr66
                                        ; implicit-def: $vgpr67
                                        ; implicit-def: $vgpr68
                                        ; implicit-def: $vgpr69
                                        ; implicit-def: $vgpr70
                                        ; implicit-def: $vgpr71
	s_and_saveexec_b32 s23, s24
	s_cbranch_execz .LBB126_169
; %bb.137:
	s_waitcnt lgkmcnt(1)
	v_cndmask_b32_e64 v7, v77, v37, s14
	s_waitcnt lgkmcnt(0)
	v_cndmask_b32_e64 v2, v78, v38, s14
	s_waitcnt_vscnt null, 0x0
	s_barrier
	buffer_gl0_inv
	v_cmp_eq_u32_e32 vcc_lo, 0, v7
	v_mov_b32_e32 v1, 0
	s_mov_b32 s22, exec_lo
	ds_load_b64 v[5:6], v1 offset:2120
	s_waitcnt lgkmcnt(0)
	s_barrier
	buffer_gl0_inv
	v_add_f32_e32 v3, v2, v6
	s_delay_alu instid0(VALU_DEP_1) | instskip(SKIP_1) | instid1(VALU_DEP_2)
	v_cndmask_b32_e32 v2, v2, v3, vcc_lo
	v_cmp_eq_u32_e32 vcc_lo, 0, v43
	v_cndmask_b32_e64 v71, v2, v6, s2
	s_delay_alu instid0(VALU_DEP_1) | instskip(NEXT) | instid1(VALU_DEP_1)
	v_add_f32_e32 v2, v35, v71
	v_cndmask_b32_e32 v70, v35, v2, vcc_lo
	s_delay_alu instid0(VALU_DEP_1) | instskip(NEXT) | instid1(VALU_DEP_1)
	v_add_f32_e32 v2, v36, v70
	v_cndmask_b32_e64 v69, v36, v2, s13
	s_delay_alu instid0(VALU_DEP_1) | instskip(NEXT) | instid1(VALU_DEP_1)
	v_add_f32_e32 v2, v33, v69
	v_cndmask_b32_e64 v68, v33, v2, s12
	;; [unrolled: 3-line block ×10, first 2 shown]
	ds_load_b128 v[1:4], v1 offset:2048
	v_add_f32_e32 v6, v26, v41
	s_delay_alu instid0(VALU_DEP_1) | instskip(SKIP_3) | instid1(VALU_DEP_2)
	v_cndmask_b32_e64 v42, v26, v6, s3
	s_waitcnt lgkmcnt(0)
	v_add_f32_e32 v4, v4, v2
	v_cmp_eq_u32_e32 vcc_lo, 0, v1
	v_dual_add_f32 v6, v23, v42 :: v_dual_cndmask_b32 v39, v2, v4
	s_delay_alu instid0(VALU_DEP_1) | instskip(SKIP_1) | instid1(VALU_DEP_1)
	v_cndmask_b32_e64 v40, v23, v6, s1
	v_cndmask_b32_e64 v6, v7, 0, s2
	v_dual_add_f32 v7, v24, v40 :: v_dual_add_nc_u32 v6, v5, v6
	v_mov_b32_e32 v5, v3
	s_delay_alu instid0(VALU_DEP_2) | instskip(NEXT) | instid1(VALU_DEP_3)
	v_cndmask_b32_e64 v49, v24, v7, s0
	v_mov_b32_e32 v4, v6
	s_or_b32 exec_lo, exec_lo, s23
	s_and_saveexec_b32 s0, s15
	s_delay_alu instid0(SALU_CYCLE_1)
	s_xor_b32 s0, exec_lo, s0
	s_cbranch_execnz .LBB126_170
.LBB126_138:
	s_or_b32 exec_lo, exec_lo, s0
	s_branch .LBB126_106
.LBB126_139:
	s_and_b32 s0, s16, exec_lo
	v_mov_b32_e32 v5, v35
	s_cselect_b32 s1, 0, s35
	s_cselect_b32 s0, 0, s34
	s_delay_alu instid0(SALU_CYCLE_1)
	s_cmp_eq_u64 s[0:1], 0
	s_cbranch_scc1 .LBB126_141
; %bb.140:
	v_mov_b32_e32 v1, 0
	global_load_b32 v5, v1, s[0:1]
.LBB126_141:
	v_cmp_eq_u32_e64 s0, 0, v57
	v_cmp_eq_u32_e64 s1, 0, v56
	v_add3_u32 v2, v75, v62, v61
	v_cmp_eq_u32_e64 s3, 0, v64
	v_cmp_eq_u32_e64 s4, 0, v63
	v_cndmask_b32_e64 v1, v36, v76, s0
	v_cmp_eq_u32_e64 s5, 0, v62
	v_add3_u32 v2, v2, v60, v44
	v_cmp_eq_u32_e64 s6, 0, v61
	v_cmp_eq_u32_e64 s7, 0, v60
	v_dual_add_f32 v1, v33, v1 :: v_dual_and_b32 v4, 15, v72
	s_delay_alu instid0(VALU_DEP_4) | instskip(SKIP_2) | instid1(VALU_DEP_4)
	v_add3_u32 v2, v2, v46, v48
	v_cmp_eq_u32_e64 s8, 0, v44
	v_cmp_eq_u32_e64 s10, 0, v46
	v_cndmask_b32_e64 v1, v33, v1, s1
	v_cmp_eq_u32_e64 s12, 0, v48
	v_add3_u32 v2, v2, v50, v52
	v_cmp_eq_u32_e64 s9, 0, v50
	v_cmp_eq_u32_e64 s11, 0, v52
	v_add_f32_e32 v1, v34, v1
	v_cmp_eq_u32_e32 vcc_lo, 0, v54
	v_add3_u32 v2, v2, v54, v59
	v_cmp_eq_u32_e64 s13, 0, v59
	v_and_b32_e32 v7, 16, v72
	v_cndmask_b32_e64 v1, v34, v1, s3
	s_delay_alu instid0(VALU_DEP_4) | instskip(NEXT) | instid1(VALU_DEP_3)
	v_mov_b32_dpp v6, v2 row_shr:1 row_mask:0xf bank_mask:0xf
	v_cmp_eq_u32_e64 s14, 0, v7
	s_delay_alu instid0(VALU_DEP_3) | instskip(NEXT) | instid1(VALU_DEP_1)
	v_add_f32_e32 v1, v31, v1
	v_cndmask_b32_e64 v1, v31, v1, s4
	s_delay_alu instid0(VALU_DEP_1) | instskip(NEXT) | instid1(VALU_DEP_1)
	v_add_f32_e32 v1, v32, v1
	v_cndmask_b32_e64 v1, v32, v1, s5
	s_delay_alu instid0(VALU_DEP_1) | instskip(NEXT) | instid1(VALU_DEP_1)
	;; [unrolled: 3-line block ×9, first 2 shown]
	v_add_f32_e32 v1, v24, v1
	v_cndmask_b32_e32 v1, v24, v1, vcc_lo
	s_delay_alu instid0(VALU_DEP_1) | instskip(NEXT) | instid1(VALU_DEP_1)
	v_add_f32_e32 v1, v65, v1
	v_cndmask_b32_e64 v1, v65, v1, s13
	v_cmp_eq_u32_e64 s13, 0, v2
	s_delay_alu instid0(VALU_DEP_2) | instskip(NEXT) | instid1(VALU_DEP_1)
	v_mov_b32_dpp v3, v1 row_shr:1 row_mask:0xf bank_mask:0xf
	v_add_f32_e32 v3, v1, v3
	s_delay_alu instid0(VALU_DEP_1) | instskip(SKIP_1) | instid1(VALU_DEP_1)
	v_cndmask_b32_e64 v3, v1, v3, s13
	v_cmp_eq_u32_e64 s13, 0, v4
	v_cndmask_b32_e64 v6, v6, 0, s13
	s_delay_alu instid0(VALU_DEP_3) | instskip(NEXT) | instid1(VALU_DEP_2)
	v_cndmask_b32_e64 v1, v3, v1, s13
	v_add_nc_u32_e32 v2, v6, v2
	s_delay_alu instid0(VALU_DEP_2) | instskip(NEXT) | instid1(VALU_DEP_2)
	v_mov_b32_dpp v3, v1 row_shr:2 row_mask:0xf bank_mask:0xf
	v_cmp_eq_u32_e64 s13, 0, v2
	s_delay_alu instid0(VALU_DEP_2) | instskip(SKIP_1) | instid1(VALU_DEP_2)
	v_add_f32_e32 v3, v1, v3
	v_mov_b32_dpp v6, v2 row_shr:2 row_mask:0xf bank_mask:0xf
	v_cndmask_b32_e64 v3, v1, v3, s13
	v_cmp_lt_u32_e64 s13, 1, v4
	s_delay_alu instid0(VALU_DEP_1) | instskip(NEXT) | instid1(VALU_DEP_4)
	v_cndmask_b32_e64 v1, v1, v3, s13
	v_cndmask_b32_e64 v3, 0, v6, s13
	s_delay_alu instid0(VALU_DEP_2) | instskip(NEXT) | instid1(VALU_DEP_1)
	v_mov_b32_dpp v6, v1 row_shr:4 row_mask:0xf bank_mask:0xf
	v_dual_add_f32 v3, v1, v6 :: v_dual_add_nc_u32 v2, v2, v3
	s_delay_alu instid0(VALU_DEP_1) | instskip(SKIP_1) | instid1(VALU_DEP_2)
	v_cmp_eq_u32_e64 s13, 0, v2
	v_mov_b32_dpp v6, v2 row_shr:4 row_mask:0xf bank_mask:0xf
	v_cndmask_b32_e64 v3, v1, v3, s13
	v_cmp_lt_u32_e64 s13, 3, v4
	s_delay_alu instid0(VALU_DEP_1) | instskip(NEXT) | instid1(VALU_DEP_4)
	v_cndmask_b32_e64 v1, v1, v3, s13
	v_cndmask_b32_e64 v3, 0, v6, s13
	s_delay_alu instid0(VALU_DEP_2) | instskip(NEXT) | instid1(VALU_DEP_2)
	v_mov_b32_dpp v6, v1 row_shr:8 row_mask:0xf bank_mask:0xf
	v_add_nc_u32_e32 v2, v3, v2
	s_delay_alu instid0(VALU_DEP_2) | instskip(NEXT) | instid1(VALU_DEP_2)
	v_add_f32_e32 v3, v1, v6
	v_cmp_eq_u32_e64 s13, 0, v2
	v_mov_b32_dpp v6, v2 row_shr:8 row_mask:0xf bank_mask:0xf
	s_delay_alu instid0(VALU_DEP_2) | instskip(SKIP_1) | instid1(VALU_DEP_1)
	v_cndmask_b32_e64 v3, v1, v3, s13
	v_cmp_lt_u32_e64 s13, 7, v4
	v_cndmask_b32_e64 v3, v1, v3, s13
	s_delay_alu instid0(VALU_DEP_4) | instskip(SKIP_1) | instid1(VALU_DEP_2)
	v_cndmask_b32_e64 v1, 0, v6, s13
	v_bfe_i32 v6, v72, 4, 1
	v_add_nc_u32_e32 v1, v1, v2
	ds_swizzle_b32 v2, v3 offset:swizzle(BROADCAST,32,15)
	ds_swizzle_b32 v4, v1 offset:swizzle(BROADCAST,32,15)
	v_cmp_eq_u32_e64 s13, 0, v1
	s_waitcnt lgkmcnt(1)
	v_add_f32_e32 v2, v3, v2
	s_waitcnt lgkmcnt(0)
	v_and_b32_e32 v4, v6, v4
	s_delay_alu instid0(VALU_DEP_2) | instskip(NEXT) | instid1(VALU_DEP_2)
	v_cndmask_b32_e64 v2, v3, v2, s13
	v_add_nc_u32_e32 v1, v4, v1
	v_lshlrev_b32_e32 v4, 3, v73
	s_delay_alu instid0(VALU_DEP_3)
	v_cndmask_b32_e64 v2, v2, v3, s14
	s_mov_b32 s14, exec_lo
	v_cmpx_eq_u32_e64 v74, v0
	s_cbranch_execz .LBB126_143
; %bb.142:
	ds_store_b64 v4, v[1:2] offset:2064
.LBB126_143:
	s_or_b32 exec_lo, exec_lo, s14
	s_delay_alu instid0(SALU_CYCLE_1)
	s_mov_b32 s15, exec_lo
	s_waitcnt vmcnt(0) lgkmcnt(0)
	s_waitcnt_vscnt null, 0x0
	s_barrier
	buffer_gl0_inv
	v_cmpx_gt_u32_e32 8, v0
	s_cbranch_execz .LBB126_145
; %bb.144:
	v_lshlrev_b32_e32 v3, 3, v0
	v_and_b32_e32 v37, 7, v72
	ds_load_b64 v[6:7], v3 offset:2064
	s_waitcnt lgkmcnt(0)
	v_mov_b32_dpp v8, v7 row_shr:1 row_mask:0xf bank_mask:0xf
	v_cmp_eq_u32_e64 s13, 0, v6
	v_mov_b32_dpp v38, v6 row_shr:1 row_mask:0xf bank_mask:0xf
	s_delay_alu instid0(VALU_DEP_3) | instskip(NEXT) | instid1(VALU_DEP_1)
	v_add_f32_e32 v8, v7, v8
	v_cndmask_b32_e64 v8, v7, v8, s13
	v_cmp_eq_u32_e64 s13, 0, v37
	s_delay_alu instid0(VALU_DEP_1) | instskip(NEXT) | instid1(VALU_DEP_3)
	v_cndmask_b32_e64 v38, v38, 0, s13
	v_cndmask_b32_e64 v7, v8, v7, s13
	s_delay_alu instid0(VALU_DEP_2) | instskip(NEXT) | instid1(VALU_DEP_2)
	v_add_nc_u32_e32 v6, v38, v6
	v_mov_b32_dpp v8, v7 row_shr:2 row_mask:0xf bank_mask:0xf
	s_delay_alu instid0(VALU_DEP_2) | instskip(NEXT) | instid1(VALU_DEP_2)
	v_cmp_eq_u32_e64 s13, 0, v6
	v_add_f32_e32 v8, v7, v8
	v_mov_b32_dpp v38, v6 row_shr:2 row_mask:0xf bank_mask:0xf
	s_delay_alu instid0(VALU_DEP_2) | instskip(SKIP_1) | instid1(VALU_DEP_1)
	v_cndmask_b32_e64 v8, v7, v8, s13
	v_cmp_lt_u32_e64 s13, 1, v37
	v_cndmask_b32_e64 v7, v7, v8, s13
	s_delay_alu instid0(VALU_DEP_4) | instskip(SKIP_1) | instid1(VALU_DEP_3)
	v_cndmask_b32_e64 v8, 0, v38, s13
	v_cmp_lt_u32_e64 s13, 3, v37
	v_mov_b32_dpp v38, v7 row_shr:4 row_mask:0xf bank_mask:0xf
	s_delay_alu instid0(VALU_DEP_3) | instskip(NEXT) | instid1(VALU_DEP_2)
	v_add_nc_u32_e32 v6, v8, v6
	v_add_f32_e32 v37, v7, v38
	s_delay_alu instid0(VALU_DEP_2) | instskip(SKIP_1) | instid1(VALU_DEP_2)
	v_mov_b32_dpp v8, v6 row_shr:4 row_mask:0xf bank_mask:0xf
	v_cmp_eq_u32_e64 s14, 0, v6
	v_cndmask_b32_e64 v8, 0, v8, s13
	s_delay_alu instid0(VALU_DEP_2) | instskip(NEXT) | instid1(SALU_CYCLE_1)
	s_and_b32 s13, s13, s14
	v_cndmask_b32_e64 v7, v7, v37, s13
	s_delay_alu instid0(VALU_DEP_2)
	v_add_nc_u32_e32 v6, v8, v6
	ds_store_b64 v3, v[6:7] offset:2064
.LBB126_145:
	s_or_b32 exec_lo, exec_lo, s15
	v_dual_mov_b32 v6, 0 :: v_dual_mov_b32 v3, 0
	v_mov_b32_e32 v7, v5
	s_mov_b32 s14, exec_lo
	s_waitcnt lgkmcnt(0)
	s_barrier
	buffer_gl0_inv
	v_cmpx_lt_u32_e32 31, v0
	s_cbranch_execz .LBB126_147
; %bb.146:
	ds_load_b64 v[3:4], v4 offset:2056
	s_waitcnt lgkmcnt(0)
	v_add_f32_e32 v7, v5, v4
	v_cmp_eq_u32_e64 s13, 0, v3
	s_delay_alu instid0(VALU_DEP_1)
	v_cndmask_b32_e64 v7, v4, v7, s13
.LBB126_147:
	s_or_b32 exec_lo, exec_lo, s14
	v_add_nc_u32_e32 v4, -1, v72
	s_delay_alu instid0(VALU_DEP_2) | instskip(SKIP_1) | instid1(VALU_DEP_2)
	v_dual_add_f32 v8, v2, v7 :: v_dual_add_nc_u32 v37, v3, v1
	s_mov_b32 s22, -1
	v_cmp_gt_i32_e64 s13, 0, v4
	s_delay_alu instid0(VALU_DEP_1) | instskip(SKIP_1) | instid1(VALU_DEP_2)
	v_cndmask_b32_e64 v4, v4, v72, s13
	v_cmp_eq_u32_e64 s13, 0, v1
	v_lshlrev_b32_e32 v4, 2, v4
	s_delay_alu instid0(VALU_DEP_2)
	v_cndmask_b32_e64 v1, v2, v8, s13
	v_cmp_eq_u32_e64 s13, 0, v72
	ds_bpermute_b32 v2, v4, v37
	ds_bpermute_b32 v1, v4, v1
	s_waitcnt lgkmcnt(1)
	v_cndmask_b32_e64 v4, v2, v3, s13
	s_waitcnt lgkmcnt(0)
	v_cndmask_b32_e64 v71, v1, v7, s13
	v_cmp_eq_u32_e64 s13, 0, v43
	s_delay_alu instid0(VALU_DEP_2) | instskip(NEXT) | instid1(VALU_DEP_1)
	v_cndmask_b32_e64 v1, v71, v5, s2
	v_add_f32_e32 v1, v35, v1
	s_delay_alu instid0(VALU_DEP_1) | instskip(NEXT) | instid1(VALU_DEP_1)
	v_cndmask_b32_e64 v70, v35, v1, s13
	v_add_f32_e32 v1, v36, v70
	s_delay_alu instid0(VALU_DEP_1) | instskip(NEXT) | instid1(VALU_DEP_1)
	;; [unrolled: 3-line block ×10, first 2 shown]
	v_cndmask_b32_e64 v45, v28, v1, s10
	v_add_f32_e32 v1, v25, v45
	s_delay_alu instid0(VALU_DEP_1) | instskip(SKIP_2) | instid1(VALU_DEP_1)
	v_cndmask_b32_e64 v41, v25, v1, s12
	ds_load_b64 v[1:2], v6 offset:2120
	v_add_f32_e32 v3, v26, v41
	v_cndmask_b32_e64 v42, v26, v3, s9
	s_delay_alu instid0(VALU_DEP_1) | instskip(NEXT) | instid1(VALU_DEP_1)
	v_add_f32_e32 v3, v23, v42
	v_cndmask_b32_e64 v40, v23, v3, s11
	s_waitcnt lgkmcnt(0)
	v_add_f32_e32 v3, v5, v2
	v_cmp_eq_u32_e64 s0, 0, v1
	s_delay_alu instid0(VALU_DEP_3) | instskip(NEXT) | instid1(VALU_DEP_2)
	v_add_f32_e32 v6, v24, v40
	v_cndmask_b32_e64 v39, v2, v3, s0
	s_and_saveexec_b32 s0, s2
	s_cbranch_execz .LBB126_149
; %bb.148:
	s_delay_alu instid0(VALU_DEP_1)
	v_and_b32_e32 v2, 0xff000000, v39
	v_dual_mov_b32 v4, 0 :: v_dual_and_b32 v3, 0xff0000, v39
	s_add_u32 s4, s20, 0x200
	v_and_b32_e32 v7, 0xff00, v39
	s_addc_u32 s5, s21, 0
	v_and_b32_e32 v8, 0xff, v39
	v_or_b32_e32 v2, v3, v2
	v_mov_b32_e32 v3, 2
	v_mov_b32_e32 v71, v5
	s_delay_alu instid0(VALU_DEP_3)
	v_or3_b32 v2, v2, v7, v8
	v_dual_mov_b32 v8, s5 :: v_dual_mov_b32 v7, s4
	;;#ASMSTART
	global_store_dwordx4 v[7:8], v[1:4] off	
s_waitcnt vmcnt(0)
	;;#ASMEND
.LBB126_149:
	s_or_b32 exec_lo, exec_lo, s0
	v_cndmask_b32_e32 v49, v24, v6, vcc_lo
	v_mov_b32_e32 v5, 0
	s_and_saveexec_b32 s0, s22
	s_cbranch_execz .LBB126_312
.LBB126_150:
	v_mov_b32_e32 v7, 0
	s_and_b32 s0, s16, exec_lo
	v_mov_b32_e32 v8, 0
	s_cselect_b32 s1, 0, s39
	s_cselect_b32 s0, 0, s38
	s_waitcnt lgkmcnt(0)
	s_waitcnt_vscnt null, 0x0
	s_cmp_eq_u64 s[0:1], 0
	s_barrier
	buffer_gl0_inv
	s_cbranch_scc1 .LBB126_152
; %bb.151:
	v_mov_b32_e32 v2, 0
	global_load_b64 v[7:8], v2, s[0:1]
.LBB126_152:
	v_cmp_eq_u32_e32 vcc_lo, 0, v43
	v_add_nc_u32_e32 v35, v4, v43
	v_cmp_ne_u32_e64 s13, 0, v43
	v_cmp_ne_u32_e64 s12, 0, v57
	v_cmp_ne_u32_e64 s10, 0, v56
	v_cndmask_b32_e64 v2, 1, 2, vcc_lo
	v_cmp_eq_u32_e32 vcc_lo, 0, v57
	v_cmp_ne_u32_e64 s9, 0, v64
	v_cmp_ne_u32_e64 s15, 0, v63
	;; [unrolled: 1-line block ×4, first 2 shown]
	v_cndmask_b32_e64 v3, 1, 2, vcc_lo
	v_cmp_eq_u32_e32 vcc_lo, 0, v56
	v_cmp_ne_u32_e64 s8, 0, v60
	v_cmp_ne_u32_e64 s7, 0, v44
	;; [unrolled: 1-line block ×3, first 2 shown]
	v_and_b32_e32 v2, v3, v2
	v_cndmask_b32_e64 v6, 1, 2, vcc_lo
	v_cmp_eq_u32_e32 vcc_lo, 0, v64
	v_cmp_ne_u32_e64 s5, 0, v48
	v_cmp_ne_u32_e64 s4, 0, v50
	;; [unrolled: 1-line block ×3, first 2 shown]
	v_and_b32_e32 v6, v2, v6
	v_cndmask_b32_e64 v23, 1, 2, vcc_lo
	v_cmp_eq_u32_e32 vcc_lo, 0, v63
	s_waitcnt vmcnt(0)
	v_lshlrev_b64 v[2:3], 2, v[7:8]
	v_cmp_ne_u32_e64 s1, 0, v54
	v_cmp_ne_u32_e64 s0, 0, v59
	v_dual_mov_b32 v6, 0 :: v_dual_and_b32 v23, v6, v23
	v_cndmask_b32_e64 v24, 1, 2, vcc_lo
	v_cmp_eq_u32_e32 vcc_lo, 0, v62
	v_add_nc_u32_e32 v37, v35, v57
	s_delay_alu instid0(VALU_DEP_3) | instskip(SKIP_2) | instid1(VALU_DEP_4)
	v_and_b32_e32 v23, v23, v24
	v_cndmask_b32_e64 v25, 1, 2, vcc_lo
	v_cmp_eq_u32_e32 vcc_lo, 0, v61
	v_add_nc_u32_e32 v36, v37, v56
	s_delay_alu instid0(VALU_DEP_3) | instskip(SKIP_2) | instid1(VALU_DEP_4)
	v_and_b32_e32 v23, v23, v25
	;; [unrolled: 5-line block ×6, first 2 shown]
	v_cndmask_b32_e64 v26, 1, 2, vcc_lo
	v_cmp_eq_u32_e32 vcc_lo, 0, v50
	v_add_nc_u32_e32 v30, v31, v60
	v_lshlrev_b64 v[23:24], 2, v[5:6]
	s_delay_alu instid0(VALU_DEP_4) | instskip(SKIP_3) | instid1(VALU_DEP_3)
	v_and_b32_e32 v6, v25, v26
	v_cndmask_b32_e64 v38, 1, 2, vcc_lo
	v_cmp_eq_u32_e32 vcc_lo, 0, v52
	v_add_nc_u32_e32 v29, v30, v44
	v_and_b32_e32 v74, v6, v38
	v_cndmask_b32_e64 v72, 1, 2, vcc_lo
	v_add_co_u32 v65, vcc_lo, s18, v2
	v_add_co_ci_u32_e32 v73, vcc_lo, s19, v3, vcc_lo
	v_add_nc_u32_e32 v28, v29, v46
	s_delay_alu instid0(VALU_DEP_3) | instskip(NEXT) | instid1(VALU_DEP_3)
	v_add_co_u32 v38, vcc_lo, v65, v23
	v_add_co_ci_u32_e32 v65, vcc_lo, v73, v24, vcc_lo
	v_cmp_eq_u32_e32 vcc_lo, 0, v54
	s_delay_alu instid0(VALU_DEP_4)
	v_add_nc_u32_e32 v27, v28, v48
	v_and_b32_e32 v72, v74, v72
	s_mov_b32 s18, -1
	v_cndmask_b32_e64 v73, 1, 2, vcc_lo
	v_cmp_eq_u32_e32 vcc_lo, 0, v59
	v_add_nc_u32_e32 v26, v27, v50
	s_delay_alu instid0(VALU_DEP_3) | instskip(SKIP_1) | instid1(VALU_DEP_3)
	v_and_b32_e32 v72, v72, v73
	v_cndmask_b32_e64 v73, 1, 2, vcc_lo
	v_add_nc_u32_e32 v25, v26, v52
	v_cmp_gt_u32_e32 vcc_lo, 0x100, v1
	s_delay_alu instid0(VALU_DEP_3) | instskip(NEXT) | instid1(VALU_DEP_3)
	v_and_b32_e32 v72, v72, v73
	v_add_nc_u32_e32 v6, v25, v54
	s_delay_alu instid0(VALU_DEP_2)
	v_cmp_gt_i16_e64 s16, 2, v72
	s_cbranch_vccz .LBB126_192
; %bb.153:
	s_delay_alu instid0(VALU_DEP_1)
	s_and_saveexec_b32 s18, s16
	s_cbranch_execz .LBB126_191
; %bb.154:
	s_mov_b32 s19, 0
	s_mov_b32 s16, exec_lo
	v_cmpx_ne_u16_e32 1, v72
	s_xor_b32 s16, exec_lo, s16
	s_cbranch_execz .LBB126_172
; %bb.155:
	s_and_saveexec_b32 s19, s13
	s_cbranch_execz .LBB126_174
; %bb.156:
	v_sub_nc_u32_e32 v73, v4, v5
	v_mov_b32_e32 v74, 0
	s_delay_alu instid0(VALU_DEP_1) | instskip(NEXT) | instid1(VALU_DEP_1)
	v_lshlrev_b64 v[73:74], 2, v[73:74]
	v_add_co_u32 v73, vcc_lo, v38, v73
	s_delay_alu instid0(VALU_DEP_2)
	v_add_co_ci_u32_e32 v74, vcc_lo, v65, v74, vcc_lo
	global_store_b32 v[73:74], v21, off
	s_or_b32 exec_lo, exec_lo, s19
	s_and_saveexec_b32 s19, s12
	s_cbranch_execnz .LBB126_175
.LBB126_157:
	s_or_b32 exec_lo, exec_lo, s19
	s_and_saveexec_b32 s19, s10
	s_cbranch_execz .LBB126_176
.LBB126_158:
	v_sub_nc_u32_e32 v73, v37, v5
	v_mov_b32_e32 v74, 0
	s_delay_alu instid0(VALU_DEP_1) | instskip(NEXT) | instid1(VALU_DEP_1)
	v_lshlrev_b64 v[73:74], 2, v[73:74]
	v_add_co_u32 v73, vcc_lo, v38, v73
	s_delay_alu instid0(VALU_DEP_2)
	v_add_co_ci_u32_e32 v74, vcc_lo, v65, v74, vcc_lo
	global_store_b32 v[73:74], v19, off
	s_or_b32 exec_lo, exec_lo, s19
	s_and_saveexec_b32 s19, s9
	s_cbranch_execnz .LBB126_177
.LBB126_159:
	s_or_b32 exec_lo, exec_lo, s19
	s_and_saveexec_b32 s19, s15
	s_cbranch_execz .LBB126_178
.LBB126_160:
	v_sub_nc_u32_e32 v73, v34, v5
	v_mov_b32_e32 v74, 0
	s_delay_alu instid0(VALU_DEP_1) | instskip(NEXT) | instid1(VALU_DEP_1)
	v_lshlrev_b64 v[73:74], 2, v[73:74]
	v_add_co_u32 v73, vcc_lo, v38, v73
	s_delay_alu instid0(VALU_DEP_2)
	v_add_co_ci_u32_e32 v74, vcc_lo, v65, v74, vcc_lo
	global_store_b32 v[73:74], v17, off
	s_or_b32 exec_lo, exec_lo, s19
	s_and_saveexec_b32 s19, s14
	s_cbranch_execnz .LBB126_179
.LBB126_161:
	s_or_b32 exec_lo, exec_lo, s19
	s_and_saveexec_b32 s19, s11
	s_cbranch_execz .LBB126_180
.LBB126_162:
	v_sub_nc_u32_e32 v73, v32, v5
	v_mov_b32_e32 v74, 0
	s_delay_alu instid0(VALU_DEP_1) | instskip(NEXT) | instid1(VALU_DEP_1)
	v_lshlrev_b64 v[73:74], 2, v[73:74]
	v_add_co_u32 v73, vcc_lo, v38, v73
	s_delay_alu instid0(VALU_DEP_2)
	v_add_co_ci_u32_e32 v74, vcc_lo, v65, v74, vcc_lo
	global_store_b32 v[73:74], v15, off
	s_or_b32 exec_lo, exec_lo, s19
	s_and_saveexec_b32 s19, s8
	s_cbranch_execnz .LBB126_181
.LBB126_163:
	s_or_b32 exec_lo, exec_lo, s19
	s_and_saveexec_b32 s19, s7
	s_cbranch_execz .LBB126_182
.LBB126_164:
	v_sub_nc_u32_e32 v73, v30, v5
	v_mov_b32_e32 v74, 0
	s_delay_alu instid0(VALU_DEP_1) | instskip(NEXT) | instid1(VALU_DEP_1)
	v_lshlrev_b64 v[73:74], 2, v[73:74]
	v_add_co_u32 v73, vcc_lo, v38, v73
	s_delay_alu instid0(VALU_DEP_2)
	v_add_co_ci_u32_e32 v74, vcc_lo, v65, v74, vcc_lo
	global_store_b32 v[73:74], v13, off
	s_or_b32 exec_lo, exec_lo, s19
	s_and_saveexec_b32 s19, s6
	s_cbranch_execnz .LBB126_183
.LBB126_165:
	s_or_b32 exec_lo, exec_lo, s19
	s_and_saveexec_b32 s19, s5
	s_cbranch_execz .LBB126_184
.LBB126_166:
	v_sub_nc_u32_e32 v73, v28, v5
	v_mov_b32_e32 v74, 0
	s_delay_alu instid0(VALU_DEP_1) | instskip(NEXT) | instid1(VALU_DEP_1)
	v_lshlrev_b64 v[73:74], 2, v[73:74]
	v_add_co_u32 v73, vcc_lo, v38, v73
	s_delay_alu instid0(VALU_DEP_2)
	v_add_co_ci_u32_e32 v74, vcc_lo, v65, v74, vcc_lo
	global_store_b32 v[73:74], v11, off
	s_or_b32 exec_lo, exec_lo, s19
	s_and_saveexec_b32 s19, s4
	s_cbranch_execnz .LBB126_185
.LBB126_167:
	s_or_b32 exec_lo, exec_lo, s19
	s_and_saveexec_b32 s19, s3
	s_cbranch_execz .LBB126_186
.LBB126_168:
	v_sub_nc_u32_e32 v73, v26, v5
	v_mov_b32_e32 v74, 0
	s_delay_alu instid0(VALU_DEP_1) | instskip(NEXT) | instid1(VALU_DEP_1)
	v_lshlrev_b64 v[73:74], 2, v[73:74]
	v_add_co_u32 v73, vcc_lo, v38, v73
	s_delay_alu instid0(VALU_DEP_2)
	v_add_co_ci_u32_e32 v74, vcc_lo, v65, v74, vcc_lo
	global_store_b32 v[73:74], v9, off
	s_or_b32 exec_lo, exec_lo, s19
	s_and_saveexec_b32 s19, s1
	s_cbranch_execnz .LBB126_187
	s_branch .LBB126_188
.LBB126_169:
	s_or_b32 exec_lo, exec_lo, s23
	s_and_saveexec_b32 s0, s15
	s_delay_alu instid0(SALU_CYCLE_1)
	s_xor_b32 s0, exec_lo, s0
	s_cbranch_execz .LBB126_138
.LBB126_170:
	s_cbranch_execnz .LBB126_313
; %bb.171:
	; divergent unreachable
                                        ; implicit-def: $vgpr49
                                        ; implicit-def: $vgpr40
                                        ; implicit-def: $vgpr42
                                        ; implicit-def: $vgpr41
                                        ; implicit-def: $vgpr45
                                        ; implicit-def: $vgpr47
                                        ; implicit-def: $vgpr51
                                        ; implicit-def: $vgpr53
                                        ; implicit-def: $vgpr55
                                        ; implicit-def: $vgpr66
                                        ; implicit-def: $vgpr67
                                        ; implicit-def: $vgpr68
                                        ; implicit-def: $vgpr69
                                        ; implicit-def: $vgpr70
                                        ; implicit-def: $vgpr71
	s_or_b32 exec_lo, exec_lo, s0
	s_branch .LBB126_106
.LBB126_172:
	s_and_not1_saveexec_b32 s16, s16
	s_cbranch_execz .LBB126_189
.LBB126_173:
	v_sub_nc_u32_e32 v73, v4, v5
	v_mov_b32_e32 v74, 0
	s_or_b32 s19, s19, exec_lo
	s_delay_alu instid0(VALU_DEP_1) | instskip(SKIP_1) | instid1(VALU_DEP_1)
	v_lshlrev_b64 v[75:76], 2, v[73:74]
	v_sub_nc_u32_e32 v73, v35, v5
	v_lshlrev_b64 v[77:78], 2, v[73:74]
	v_sub_nc_u32_e32 v73, v37, v5
	s_delay_alu instid0(VALU_DEP_4) | instskip(SKIP_1) | instid1(VALU_DEP_3)
	v_add_co_u32 v75, vcc_lo, v38, v75
	v_add_co_ci_u32_e32 v76, vcc_lo, v65, v76, vcc_lo
	v_lshlrev_b64 v[79:80], 2, v[73:74]
	v_sub_nc_u32_e32 v73, v36, v5
	v_add_co_u32 v77, vcc_lo, v38, v77
	v_add_co_ci_u32_e32 v78, vcc_lo, v65, v78, vcc_lo
	global_store_b32 v[75:76], v21, off
	v_lshlrev_b64 v[75:76], 2, v[73:74]
	v_sub_nc_u32_e32 v73, v34, v5
	global_store_b32 v[77:78], v22, off
	v_add_co_u32 v77, vcc_lo, v38, v79
	v_add_co_ci_u32_e32 v78, vcc_lo, v65, v80, vcc_lo
	v_lshlrev_b64 v[79:80], 2, v[73:74]
	v_sub_nc_u32_e32 v73, v33, v5
	v_add_co_u32 v75, vcc_lo, v38, v75
	v_add_co_ci_u32_e32 v76, vcc_lo, v65, v76, vcc_lo
	s_delay_alu instid0(VALU_DEP_3) | instskip(SKIP_3) | instid1(VALU_DEP_3)
	v_lshlrev_b64 v[81:82], 2, v[73:74]
	v_sub_nc_u32_e32 v73, v32, v5
	v_add_co_u32 v79, vcc_lo, v38, v79
	v_add_co_ci_u32_e32 v80, vcc_lo, v65, v80, vcc_lo
	v_lshlrev_b64 v[83:84], 2, v[73:74]
	v_sub_nc_u32_e32 v73, v31, v5
	v_add_co_u32 v81, vcc_lo, v38, v81
	v_add_co_ci_u32_e32 v82, vcc_lo, v65, v82, vcc_lo
	s_clause 0x3
	global_store_b32 v[77:78], v19, off
	global_store_b32 v[75:76], v20, off
	;; [unrolled: 1-line block ×4, first 2 shown]
	v_lshlrev_b64 v[75:76], 2, v[73:74]
	v_sub_nc_u32_e32 v73, v30, v5
	v_add_co_u32 v77, vcc_lo, v38, v83
	v_add_co_ci_u32_e32 v78, vcc_lo, v65, v84, vcc_lo
	s_delay_alu instid0(VALU_DEP_3) | instskip(SKIP_3) | instid1(VALU_DEP_3)
	v_lshlrev_b64 v[79:80], 2, v[73:74]
	v_sub_nc_u32_e32 v73, v29, v5
	v_add_co_u32 v75, vcc_lo, v38, v75
	v_add_co_ci_u32_e32 v76, vcc_lo, v65, v76, vcc_lo
	v_lshlrev_b64 v[81:82], 2, v[73:74]
	v_sub_nc_u32_e32 v73, v28, v5
	v_add_co_u32 v79, vcc_lo, v38, v79
	v_add_co_ci_u32_e32 v80, vcc_lo, v65, v80, vcc_lo
	s_delay_alu instid0(VALU_DEP_3)
	v_lshlrev_b64 v[83:84], 2, v[73:74]
	v_sub_nc_u32_e32 v73, v27, v5
	v_add_co_u32 v81, vcc_lo, v38, v81
	v_add_co_ci_u32_e32 v82, vcc_lo, v65, v82, vcc_lo
	s_clause 0x3
	global_store_b32 v[77:78], v15, off
	global_store_b32 v[75:76], v16, off
	;; [unrolled: 1-line block ×4, first 2 shown]
	v_lshlrev_b64 v[75:76], 2, v[73:74]
	v_sub_nc_u32_e32 v73, v26, v5
	v_add_co_u32 v77, vcc_lo, v38, v83
	v_add_co_ci_u32_e32 v78, vcc_lo, v65, v84, vcc_lo
	s_delay_alu instid0(VALU_DEP_3) | instskip(SKIP_3) | instid1(VALU_DEP_3)
	v_lshlrev_b64 v[79:80], 2, v[73:74]
	v_sub_nc_u32_e32 v73, v25, v5
	v_add_co_u32 v75, vcc_lo, v38, v75
	v_add_co_ci_u32_e32 v76, vcc_lo, v65, v76, vcc_lo
	v_lshlrev_b64 v[73:74], 2, v[73:74]
	v_add_co_u32 v79, vcc_lo, v38, v79
	v_add_co_ci_u32_e32 v80, vcc_lo, v65, v80, vcc_lo
	s_clause 0x2
	global_store_b32 v[77:78], v11, off
	global_store_b32 v[75:76], v12, off
	;; [unrolled: 1-line block ×3, first 2 shown]
	v_add_co_u32 v73, vcc_lo, v38, v73
	v_add_co_ci_u32_e32 v74, vcc_lo, v65, v74, vcc_lo
	global_store_b32 v[73:74], v10, off
	s_or_b32 exec_lo, exec_lo, s16
	s_delay_alu instid0(SALU_CYCLE_1)
	s_and_b32 exec_lo, exec_lo, s19
	s_cbranch_execnz .LBB126_190
	s_branch .LBB126_191
.LBB126_174:
	s_or_b32 exec_lo, exec_lo, s19
	s_and_saveexec_b32 s19, s12
	s_cbranch_execz .LBB126_157
.LBB126_175:
	v_sub_nc_u32_e32 v73, v35, v5
	v_mov_b32_e32 v74, 0
	s_delay_alu instid0(VALU_DEP_1) | instskip(NEXT) | instid1(VALU_DEP_1)
	v_lshlrev_b64 v[73:74], 2, v[73:74]
	v_add_co_u32 v73, vcc_lo, v38, v73
	s_delay_alu instid0(VALU_DEP_2)
	v_add_co_ci_u32_e32 v74, vcc_lo, v65, v74, vcc_lo
	global_store_b32 v[73:74], v22, off
	s_or_b32 exec_lo, exec_lo, s19
	s_and_saveexec_b32 s19, s10
	s_cbranch_execnz .LBB126_158
.LBB126_176:
	s_or_b32 exec_lo, exec_lo, s19
	s_and_saveexec_b32 s19, s9
	s_cbranch_execz .LBB126_159
.LBB126_177:
	v_sub_nc_u32_e32 v73, v36, v5
	v_mov_b32_e32 v74, 0
	s_delay_alu instid0(VALU_DEP_1) | instskip(NEXT) | instid1(VALU_DEP_1)
	v_lshlrev_b64 v[73:74], 2, v[73:74]
	v_add_co_u32 v73, vcc_lo, v38, v73
	s_delay_alu instid0(VALU_DEP_2)
	v_add_co_ci_u32_e32 v74, vcc_lo, v65, v74, vcc_lo
	global_store_b32 v[73:74], v20, off
	s_or_b32 exec_lo, exec_lo, s19
	s_and_saveexec_b32 s19, s15
	s_cbranch_execnz .LBB126_160
.LBB126_178:
	s_or_b32 exec_lo, exec_lo, s19
	s_and_saveexec_b32 s19, s14
	s_cbranch_execz .LBB126_161
.LBB126_179:
	v_sub_nc_u32_e32 v73, v33, v5
	v_mov_b32_e32 v74, 0
	s_delay_alu instid0(VALU_DEP_1) | instskip(NEXT) | instid1(VALU_DEP_1)
	v_lshlrev_b64 v[73:74], 2, v[73:74]
	v_add_co_u32 v73, vcc_lo, v38, v73
	s_delay_alu instid0(VALU_DEP_2)
	v_add_co_ci_u32_e32 v74, vcc_lo, v65, v74, vcc_lo
	global_store_b32 v[73:74], v18, off
	s_or_b32 exec_lo, exec_lo, s19
	s_and_saveexec_b32 s19, s11
	s_cbranch_execnz .LBB126_162
.LBB126_180:
	s_or_b32 exec_lo, exec_lo, s19
	s_and_saveexec_b32 s19, s8
	s_cbranch_execz .LBB126_163
.LBB126_181:
	v_sub_nc_u32_e32 v73, v31, v5
	v_mov_b32_e32 v74, 0
	s_delay_alu instid0(VALU_DEP_1) | instskip(NEXT) | instid1(VALU_DEP_1)
	v_lshlrev_b64 v[73:74], 2, v[73:74]
	v_add_co_u32 v73, vcc_lo, v38, v73
	s_delay_alu instid0(VALU_DEP_2)
	v_add_co_ci_u32_e32 v74, vcc_lo, v65, v74, vcc_lo
	global_store_b32 v[73:74], v16, off
	s_or_b32 exec_lo, exec_lo, s19
	s_and_saveexec_b32 s19, s7
	s_cbranch_execnz .LBB126_164
.LBB126_182:
	s_or_b32 exec_lo, exec_lo, s19
	s_and_saveexec_b32 s19, s6
	s_cbranch_execz .LBB126_165
.LBB126_183:
	v_sub_nc_u32_e32 v73, v29, v5
	v_mov_b32_e32 v74, 0
	s_delay_alu instid0(VALU_DEP_1) | instskip(NEXT) | instid1(VALU_DEP_1)
	v_lshlrev_b64 v[73:74], 2, v[73:74]
	v_add_co_u32 v73, vcc_lo, v38, v73
	s_delay_alu instid0(VALU_DEP_2)
	v_add_co_ci_u32_e32 v74, vcc_lo, v65, v74, vcc_lo
	global_store_b32 v[73:74], v14, off
	s_or_b32 exec_lo, exec_lo, s19
	s_and_saveexec_b32 s19, s5
	s_cbranch_execnz .LBB126_166
.LBB126_184:
	s_or_b32 exec_lo, exec_lo, s19
	s_and_saveexec_b32 s19, s4
	s_cbranch_execz .LBB126_167
.LBB126_185:
	v_sub_nc_u32_e32 v73, v27, v5
	v_mov_b32_e32 v74, 0
	s_delay_alu instid0(VALU_DEP_1) | instskip(NEXT) | instid1(VALU_DEP_1)
	v_lshlrev_b64 v[73:74], 2, v[73:74]
	v_add_co_u32 v73, vcc_lo, v38, v73
	s_delay_alu instid0(VALU_DEP_2)
	v_add_co_ci_u32_e32 v74, vcc_lo, v65, v74, vcc_lo
	global_store_b32 v[73:74], v12, off
	s_or_b32 exec_lo, exec_lo, s19
	s_and_saveexec_b32 s19, s3
	s_cbranch_execnz .LBB126_168
.LBB126_186:
	s_or_b32 exec_lo, exec_lo, s19
	s_and_saveexec_b32 s19, s1
	s_cbranch_execz .LBB126_188
.LBB126_187:
	v_sub_nc_u32_e32 v73, v25, v5
	v_mov_b32_e32 v74, 0
	s_delay_alu instid0(VALU_DEP_1) | instskip(NEXT) | instid1(VALU_DEP_1)
	v_lshlrev_b64 v[73:74], 2, v[73:74]
	v_add_co_u32 v73, vcc_lo, v38, v73
	s_delay_alu instid0(VALU_DEP_2)
	v_add_co_ci_u32_e32 v74, vcc_lo, v65, v74, vcc_lo
	global_store_b32 v[73:74], v10, off
.LBB126_188:
	s_or_b32 exec_lo, exec_lo, s19
	s_delay_alu instid0(SALU_CYCLE_1)
	s_and_b32 s19, s0, exec_lo
	s_and_not1_saveexec_b32 s16, s16
	s_cbranch_execnz .LBB126_173
.LBB126_189:
	s_or_b32 exec_lo, exec_lo, s16
	s_delay_alu instid0(SALU_CYCLE_1)
	s_and_b32 exec_lo, exec_lo, s19
	s_cbranch_execz .LBB126_191
.LBB126_190:
	v_sub_nc_u32_e32 v73, v6, v5
	v_mov_b32_e32 v74, 0
	s_delay_alu instid0(VALU_DEP_1) | instskip(NEXT) | instid1(VALU_DEP_1)
	v_lshlrev_b64 v[73:74], 2, v[73:74]
	v_add_co_u32 v73, vcc_lo, v38, v73
	s_delay_alu instid0(VALU_DEP_2)
	v_add_co_ci_u32_e32 v74, vcc_lo, v65, v74, vcc_lo
	global_store_b32 v[73:74], v58, off
.LBB126_191:
	s_or_b32 exec_lo, exec_lo, s18
	s_mov_b32 s18, 0
.LBB126_192:
	s_delay_alu instid0(SALU_CYCLE_1)
	s_and_b32 vcc_lo, exec_lo, s18
	s_cbranch_vccz .LBB126_232
; %bb.193:
	s_mov_b32 s16, exec_lo
	v_cmpx_gt_i16_e32 2, v72
	s_cbranch_execz .LBB126_228
; %bb.194:
	s_mov_b32 s19, 0
	s_mov_b32 s18, exec_lo
	v_cmpx_ne_u16_e32 1, v72
	s_xor_b32 s18, exec_lo, s18
	s_cbranch_execz .LBB126_209
; %bb.195:
	s_and_saveexec_b32 s19, s13
	s_cbranch_execz .LBB126_211
; %bb.196:
	v_sub_nc_u32_e32 v72, v4, v5
	s_delay_alu instid0(VALU_DEP_1)
	v_lshlrev_b32_e32 v72, 2, v72
	ds_store_b32 v72, v21
	s_or_b32 exec_lo, exec_lo, s19
	s_and_saveexec_b32 s13, s12
	s_cbranch_execnz .LBB126_212
.LBB126_197:
	s_or_b32 exec_lo, exec_lo, s13
	s_and_saveexec_b32 s12, s10
	s_cbranch_execz .LBB126_213
.LBB126_198:
	v_sub_nc_u32_e32 v21, v37, v5
	s_delay_alu instid0(VALU_DEP_1)
	v_lshlrev_b32_e32 v21, 2, v21
	ds_store_b32 v21, v19
	s_or_b32 exec_lo, exec_lo, s12
	s_and_saveexec_b32 s10, s9
	s_cbranch_execnz .LBB126_214
.LBB126_199:
	s_or_b32 exec_lo, exec_lo, s10
	s_and_saveexec_b32 s9, s15
	s_cbranch_execz .LBB126_215
.LBB126_200:
	v_sub_nc_u32_e32 v19, v34, v5
	s_delay_alu instid0(VALU_DEP_1)
	v_lshlrev_b32_e32 v19, 2, v19
	ds_store_b32 v19, v17
	s_or_b32 exec_lo, exec_lo, s9
	s_and_saveexec_b32 s9, s14
	s_cbranch_execnz .LBB126_216
.LBB126_201:
	s_or_b32 exec_lo, exec_lo, s9
	s_and_saveexec_b32 s9, s11
	s_cbranch_execz .LBB126_217
.LBB126_202:
	v_sub_nc_u32_e32 v17, v32, v5
	s_delay_alu instid0(VALU_DEP_1)
	v_lshlrev_b32_e32 v17, 2, v17
	ds_store_b32 v17, v15
	s_or_b32 exec_lo, exec_lo, s9
	s_and_saveexec_b32 s9, s8
	s_cbranch_execnz .LBB126_218
.LBB126_203:
	s_or_b32 exec_lo, exec_lo, s9
	s_and_saveexec_b32 s8, s7
	s_cbranch_execz .LBB126_219
.LBB126_204:
	v_sub_nc_u32_e32 v15, v30, v5
	s_delay_alu instid0(VALU_DEP_1)
	v_lshlrev_b32_e32 v15, 2, v15
	ds_store_b32 v15, v13
	s_or_b32 exec_lo, exec_lo, s8
	s_and_saveexec_b32 s7, s6
	s_cbranch_execnz .LBB126_220
.LBB126_205:
	s_or_b32 exec_lo, exec_lo, s7
	s_and_saveexec_b32 s6, s5
	s_cbranch_execz .LBB126_221
.LBB126_206:
	v_sub_nc_u32_e32 v13, v28, v5
	s_delay_alu instid0(VALU_DEP_1)
	v_lshlrev_b32_e32 v13, 2, v13
	ds_store_b32 v13, v11
	s_or_b32 exec_lo, exec_lo, s6
	s_and_saveexec_b32 s5, s4
	s_cbranch_execnz .LBB126_222
.LBB126_207:
	s_or_b32 exec_lo, exec_lo, s5
	s_and_saveexec_b32 s4, s3
	s_cbranch_execz .LBB126_223
.LBB126_208:
	v_sub_nc_u32_e32 v11, v26, v5
	s_delay_alu instid0(VALU_DEP_1)
	v_lshlrev_b32_e32 v11, 2, v11
	ds_store_b32 v11, v9
	s_or_b32 exec_lo, exec_lo, s4
	s_and_saveexec_b32 s3, s1
	s_cbranch_execnz .LBB126_224
	s_branch .LBB126_225
.LBB126_209:
	s_and_not1_saveexec_b32 s0, s18
	s_cbranch_execz .LBB126_226
.LBB126_210:
	v_sub_nc_u32_e32 v72, v4, v5
	v_sub_nc_u32_e32 v75, v36, v5
	;; [unrolled: 1-line block ×4, first 2 shown]
	s_or_b32 s19, s19, exec_lo
	v_lshlrev_b32_e32 v72, 2, v72
	v_lshlrev_b32_e32 v75, 2, v75
	;; [unrolled: 1-line block ×4, first 2 shown]
	ds_store_b32 v72, v21
	ds_store_b32 v73, v22
	;; [unrolled: 1-line block ×3, first 2 shown]
	v_sub_nc_u32_e32 v19, v34, v5
	ds_store_b32 v75, v20
	v_sub_nc_u32_e32 v20, v33, v5
	v_sub_nc_u32_e32 v21, v32, v5
	;; [unrolled: 1-line block ×3, first 2 shown]
	v_lshlrev_b32_e32 v19, 2, v19
	v_sub_nc_u32_e32 v72, v30, v5
	v_lshlrev_b32_e32 v20, 2, v20
	v_lshlrev_b32_e32 v21, 2, v21
	;; [unrolled: 1-line block ×3, first 2 shown]
	ds_store_b32 v19, v17
	v_lshlrev_b32_e32 v17, 2, v72
	ds_store_b32 v20, v18
	ds_store_b32 v21, v15
	;; [unrolled: 1-line block ×3, first 2 shown]
	v_sub_nc_u32_e32 v15, v29, v5
	v_sub_nc_u32_e32 v18, v25, v5
	;; [unrolled: 1-line block ×3, first 2 shown]
	ds_store_b32 v17, v13
	v_sub_nc_u32_e32 v13, v28, v5
	v_lshlrev_b32_e32 v15, 2, v15
	v_sub_nc_u32_e32 v17, v26, v5
	v_lshlrev_b32_e32 v16, 2, v16
	s_delay_alu instid0(VALU_DEP_4)
	v_lshlrev_b32_e32 v13, 2, v13
	ds_store_b32 v15, v14
	v_lshlrev_b32_e32 v14, 2, v18
	v_lshlrev_b32_e32 v17, 2, v17
	ds_store_b32 v13, v11
	ds_store_b32 v16, v12
	ds_store_b32 v17, v9
	ds_store_b32 v14, v10
	s_or_b32 exec_lo, exec_lo, s0
	s_delay_alu instid0(SALU_CYCLE_1)
	s_and_b32 exec_lo, exec_lo, s19
	s_cbranch_execnz .LBB126_227
	s_branch .LBB126_228
.LBB126_211:
	s_or_b32 exec_lo, exec_lo, s19
	s_and_saveexec_b32 s13, s12
	s_cbranch_execz .LBB126_197
.LBB126_212:
	v_sub_nc_u32_e32 v21, v35, v5
	s_delay_alu instid0(VALU_DEP_1)
	v_lshlrev_b32_e32 v21, 2, v21
	ds_store_b32 v21, v22
	s_or_b32 exec_lo, exec_lo, s13
	s_and_saveexec_b32 s12, s10
	s_cbranch_execnz .LBB126_198
.LBB126_213:
	s_or_b32 exec_lo, exec_lo, s12
	s_and_saveexec_b32 s10, s9
	s_cbranch_execz .LBB126_199
.LBB126_214:
	v_sub_nc_u32_e32 v19, v36, v5
	s_delay_alu instid0(VALU_DEP_1)
	v_lshlrev_b32_e32 v19, 2, v19
	ds_store_b32 v19, v20
	s_or_b32 exec_lo, exec_lo, s10
	s_and_saveexec_b32 s9, s15
	s_cbranch_execnz .LBB126_200
.LBB126_215:
	s_or_b32 exec_lo, exec_lo, s9
	s_and_saveexec_b32 s9, s14
	s_cbranch_execz .LBB126_201
.LBB126_216:
	v_sub_nc_u32_e32 v17, v33, v5
	s_delay_alu instid0(VALU_DEP_1)
	v_lshlrev_b32_e32 v17, 2, v17
	ds_store_b32 v17, v18
	s_or_b32 exec_lo, exec_lo, s9
	s_and_saveexec_b32 s9, s11
	s_cbranch_execnz .LBB126_202
.LBB126_217:
	s_or_b32 exec_lo, exec_lo, s9
	s_and_saveexec_b32 s9, s8
	s_cbranch_execz .LBB126_203
.LBB126_218:
	v_sub_nc_u32_e32 v15, v31, v5
	s_delay_alu instid0(VALU_DEP_1)
	v_lshlrev_b32_e32 v15, 2, v15
	ds_store_b32 v15, v16
	s_or_b32 exec_lo, exec_lo, s9
	s_and_saveexec_b32 s8, s7
	s_cbranch_execnz .LBB126_204
.LBB126_219:
	s_or_b32 exec_lo, exec_lo, s8
	s_and_saveexec_b32 s7, s6
	s_cbranch_execz .LBB126_205
.LBB126_220:
	v_sub_nc_u32_e32 v13, v29, v5
	s_delay_alu instid0(VALU_DEP_1)
	v_lshlrev_b32_e32 v13, 2, v13
	ds_store_b32 v13, v14
	s_or_b32 exec_lo, exec_lo, s7
	s_and_saveexec_b32 s6, s5
	s_cbranch_execnz .LBB126_206
.LBB126_221:
	s_or_b32 exec_lo, exec_lo, s6
	s_and_saveexec_b32 s5, s4
	s_cbranch_execz .LBB126_207
.LBB126_222:
	v_sub_nc_u32_e32 v11, v27, v5
	s_delay_alu instid0(VALU_DEP_1)
	v_lshlrev_b32_e32 v11, 2, v11
	ds_store_b32 v11, v12
	s_or_b32 exec_lo, exec_lo, s5
	s_and_saveexec_b32 s4, s3
	s_cbranch_execnz .LBB126_208
.LBB126_223:
	s_or_b32 exec_lo, exec_lo, s4
	s_and_saveexec_b32 s3, s1
	s_cbranch_execz .LBB126_225
.LBB126_224:
	v_sub_nc_u32_e32 v9, v25, v5
	s_delay_alu instid0(VALU_DEP_1)
	v_lshlrev_b32_e32 v9, 2, v9
	ds_store_b32 v9, v10
.LBB126_225:
	s_or_b32 exec_lo, exec_lo, s3
	s_delay_alu instid0(SALU_CYCLE_1)
	s_and_b32 s19, s0, exec_lo
                                        ; implicit-def: $vgpr21
                                        ; implicit-def: $vgpr19
                                        ; implicit-def: $vgpr17
                                        ; implicit-def: $vgpr15
                                        ; implicit-def: $vgpr13
                                        ; implicit-def: $vgpr11
                                        ; implicit-def: $vgpr9
	s_and_not1_saveexec_b32 s0, s18
	s_cbranch_execnz .LBB126_210
.LBB126_226:
	s_or_b32 exec_lo, exec_lo, s0
	s_delay_alu instid0(SALU_CYCLE_1)
	s_and_b32 exec_lo, exec_lo, s19
	s_cbranch_execz .LBB126_228
.LBB126_227:
	v_sub_nc_u32_e32 v9, v6, v5
	s_delay_alu instid0(VALU_DEP_1)
	v_lshlrev_b32_e32 v9, 2, v9
	ds_store_b32 v9, v58
.LBB126_228:
	s_or_b32 exec_lo, exec_lo, s16
	s_delay_alu instid0(SALU_CYCLE_1)
	s_mov_b32 s1, exec_lo
	s_waitcnt lgkmcnt(0)
	s_waitcnt_vscnt null, 0x0
	s_barrier
	buffer_gl0_inv
	v_cmpx_lt_u32_e64 v0, v1
	s_cbranch_execz .LBB126_231
; %bb.229:
	v_dual_mov_b32 v10, 0 :: v_dual_lshlrev_b32 v11, 2, v0
	v_mov_b32_e32 v9, v0
	s_mov_b32 s3, 0
	.p2align	6
.LBB126_230:                            ; =>This Inner Loop Header: Depth=1
	ds_load_b32 v14, v11
	v_lshlrev_b64 v[12:13], 2, v[9:10]
	v_add_nc_u32_e32 v9, 0x100, v9
	v_add_nc_u32_e32 v11, 0x400, v11
	s_delay_alu instid0(VALU_DEP_2) | instskip(NEXT) | instid1(VALU_DEP_4)
	v_cmp_ge_u32_e32 vcc_lo, v9, v1
	v_add_co_u32 v12, s0, v38, v12
	s_delay_alu instid0(VALU_DEP_1)
	v_add_co_ci_u32_e64 v13, s0, v65, v13, s0
	s_or_b32 s3, vcc_lo, s3
	s_waitcnt lgkmcnt(0)
	global_store_b32 v[12:13], v14, off
	s_and_not1_b32 exec_lo, exec_lo, s3
	s_cbranch_execnz .LBB126_230
.LBB126_231:
	s_or_b32 exec_lo, exec_lo, s1
.LBB126_232:
	s_cmpk_lg_i32 s33, 0xf00
	v_cndmask_b32_e64 v14, 0, 1, s40
	s_cselect_b32 s0, -1, 0
	v_mad_i32_i24 v11, v0, -15, s33
	s_and_b32 s0, s0, s17
	s_and_b32 s1, s2, s40
	v_cndmask_b32_e64 v10, 0, 1, s0
	s_mul_hi_u32 s0, s33, 0x88888889
	v_sub_nc_u32_e32 v9, v1, v14
	s_lshr_b32 s0, s0, 3
	v_cndmask_b32_e64 v12, v43, 0, s1
	v_cmp_eq_u32_e32 vcc_lo, s0, v0
	v_cmp_ne_u32_e64 s0, 0, v11
	s_mov_b32 s16, -1
	s_waitcnt_vscnt null, 0x0
	s_barrier
	s_and_b32 vcc_lo, vcc_lo, s17
	v_add_nc_u32_e32 v9, v9, v10
	v_cndmask_b32_e64 v10, 1, v12, s0
	v_cmp_ne_u32_e64 s0, 1, v11
	buffer_gl0_inv
	v_cndmask_b32_e32 v18, v12, v10, vcc_lo
	v_cndmask_b32_e64 v13, 1, v57, s0
	v_cmp_ne_u32_e64 s0, 14, v11
	s_delay_alu instid0(VALU_DEP_3) | instskip(NEXT) | instid1(VALU_DEP_2)
	v_cmp_ne_u32_e64 s14, 0, v18
	v_cndmask_b32_e64 v15, 1, v59, s0
	v_cmp_ne_u32_e64 s0, 2, v11
	s_delay_alu instid0(VALU_DEP_2) | instskip(NEXT) | instid1(VALU_DEP_2)
	v_cndmask_b32_e32 v15, v59, v15, vcc_lo
	v_cndmask_b32_e64 v16, 1, v56, s0
	v_cmp_ne_u32_e64 s0, 3, v11
	s_delay_alu instid0(VALU_DEP_2) | instskip(NEXT) | instid1(VALU_DEP_2)
	v_cndmask_b32_e32 v16, v56, v16, vcc_lo
	v_cndmask_b32_e64 v17, 1, v64, s0
	v_cmp_ne_u32_e64 s0, 4, v11
	s_delay_alu instid0(VALU_DEP_3) | instskip(NEXT) | instid1(VALU_DEP_2)
	v_cmp_ne_u32_e64 s12, 0, v16
	v_cndmask_b32_e64 v10, 1, v63, s0
	v_cmp_ne_u32_e64 s0, 5, v11
	s_delay_alu instid0(VALU_DEP_1) | instskip(SKIP_2) | instid1(VALU_DEP_3)
	v_cndmask_b32_e64 v12, 1, v62, s0
	v_cndmask_b32_e32 v19, v57, v13, vcc_lo
	v_cmp_eq_u32_e64 s0, 0, v18
	v_cndmask_b32_e32 v56, v62, v12, vcc_lo
	s_delay_alu instid0(VALU_DEP_3) | instskip(NEXT) | instid1(VALU_DEP_3)
	v_cmp_ne_u32_e64 s13, 0, v19
	v_cndmask_b32_e64 v13, 1, 2, s0
	v_cmp_eq_u32_e64 s0, 0, v19
	s_delay_alu instid0(VALU_DEP_4) | instskip(NEXT) | instid1(VALU_DEP_2)
	v_cmp_ne_u32_e64 s9, 0, v56
	v_cndmask_b32_e64 v20, 1, 2, s0
	v_cmp_ne_u32_e64 s0, 6, v11
	s_delay_alu instid0(VALU_DEP_2) | instskip(NEXT) | instid1(VALU_DEP_2)
	v_and_b32_e32 v13, v20, v13
	v_cndmask_b32_e64 v21, 1, v61, s0
	v_cmp_eq_u32_e64 s0, 0, v16
	s_delay_alu instid0(VALU_DEP_1) | instskip(SKIP_1) | instid1(VALU_DEP_1)
	v_cndmask_b32_e64 v20, 1, 2, s0
	v_cmp_ne_u32_e64 s0, 7, v11
	v_cndmask_b32_e64 v22, 1, v60, s0
	v_cmp_ne_u32_e64 s0, 8, v11
	s_delay_alu instid0(VALU_DEP_2) | instskip(SKIP_1) | instid1(VALU_DEP_3)
	v_dual_cndmask_b32 v22, v60, v22 :: v_dual_and_b32 v13, v13, v20
	v_cndmask_b32_e32 v17, v64, v17, vcc_lo
	v_cndmask_b32_e64 v38, 1, v44, s0
	v_cndmask_b32_e32 v21, v61, v21, vcc_lo
	s_delay_alu instid0(VALU_DEP_4) | instskip(NEXT) | instid1(VALU_DEP_4)
	v_cmp_ne_u32_e64 s7, 0, v22
	v_cmp_eq_u32_e64 s0, 0, v17
	s_delay_alu instid0(VALU_DEP_4) | instskip(NEXT) | instid1(VALU_DEP_4)
	v_cndmask_b32_e32 v38, v44, v38, vcc_lo
	v_cmp_ne_u32_e64 s8, 0, v21
	s_delay_alu instid0(VALU_DEP_3) | instskip(SKIP_1) | instid1(VALU_DEP_4)
	v_cndmask_b32_e64 v20, 1, 2, s0
	v_cmp_ne_u32_e64 s0, 9, v11
	v_cmp_ne_u32_e64 s6, 0, v38
	s_delay_alu instid0(VALU_DEP_3) | instskip(NEXT) | instid1(VALU_DEP_3)
	v_dual_cndmask_b32 v43, v63, v10 :: v_dual_and_b32 v12, v13, v20
	v_cndmask_b32_e64 v10, 1, v46, s0
	v_cmp_ne_u32_e64 s11, 0, v17
	s_delay_alu instid0(VALU_DEP_3) | instskip(NEXT) | instid1(VALU_DEP_3)
	v_cmp_eq_u32_e64 s0, 0, v43
	v_cndmask_b32_e32 v46, v46, v10, vcc_lo
	s_delay_alu instid0(VALU_DEP_2) | instskip(SKIP_1) | instid1(VALU_DEP_3)
	v_cndmask_b32_e64 v13, 1, 2, s0
	v_cmp_ne_u32_e64 s0, 10, v11
	v_cmp_ne_u32_e64 s5, 0, v46
	s_delay_alu instid0(VALU_DEP_3) | instskip(NEXT) | instid1(VALU_DEP_3)
	v_and_b32_e32 v12, v12, v13
	v_cndmask_b32_e64 v20, 1, v48, s0
	v_cmp_ne_u32_e64 s0, 12, v11
	v_cmp_ne_u32_e64 s10, 0, v43
	s_delay_alu instid0(VALU_DEP_3) | instskip(NEXT) | instid1(VALU_DEP_3)
	v_cndmask_b32_e32 v20, v48, v20, vcc_lo
	v_cndmask_b32_e64 v57, 1, v52, s0
	v_cmp_eq_u32_e64 s0, 0, v56
	s_delay_alu instid0(VALU_DEP_2) | instskip(NEXT) | instid1(VALU_DEP_2)
	v_cndmask_b32_e32 v52, v52, v57, vcc_lo
	v_cndmask_b32_e64 v13, 1, 2, s0
	v_cmp_ne_u32_e64 s0, 13, v11
	s_delay_alu instid0(VALU_DEP_2) | instskip(NEXT) | instid1(VALU_DEP_2)
	v_and_b32_e32 v12, v12, v13
	v_cndmask_b32_e64 v58, 1, v54, s0
	v_cmp_eq_u32_e64 s0, 0, v21
	s_delay_alu instid0(VALU_DEP_2) | instskip(NEXT) | instid1(VALU_DEP_2)
	v_cndmask_b32_e32 v54, v54, v58, vcc_lo
	v_cndmask_b32_e64 v13, 1, 2, s0
	v_cmp_ne_u32_e64 s0, 11, v11
	s_delay_alu instid0(VALU_DEP_3) | instskip(NEXT) | instid1(VALU_DEP_3)
	v_cmp_ne_u32_e64 s1, 0, v54
	v_and_b32_e32 v12, v12, v13
	s_delay_alu instid0(VALU_DEP_3) | instskip(SKIP_1) | instid1(VALU_DEP_2)
	v_cndmask_b32_e64 v11, 1, v50, s0
	v_cmp_eq_u32_e64 s0, 0, v22
	v_cndmask_b32_e32 v44, v50, v11, vcc_lo
	v_cmp_eq_u32_e32 vcc_lo, 0, v38
	s_delay_alu instid0(VALU_DEP_3)
	v_cndmask_b32_e64 v13, 1, 2, s0
	v_cmp_ne_u32_e64 s0, 0, v15
	v_cndmask_b32_e64 v11, 1, 2, vcc_lo
	v_add_co_u32 v2, vcc_lo, s28, v2
	v_add_co_ci_u32_e32 v3, vcc_lo, s29, v3, vcc_lo
	v_and_b32_e32 v10, v12, v13
	v_cmp_eq_u32_e32 vcc_lo, 0, v46
	s_delay_alu instid0(VALU_DEP_2) | instskip(SKIP_3) | instid1(VALU_DEP_3)
	v_and_b32_e32 v12, v10, v11
	v_cndmask_b32_e64 v13, 1, 2, vcc_lo
	v_add_co_u32 v10, vcc_lo, v2, v23
	v_add_co_ci_u32_e32 v11, vcc_lo, v3, v24, vcc_lo
	v_and_b32_e32 v3, v12, v13
	v_lshlrev_b32_e32 v2, 2, v14
	v_cmp_eq_u32_e32 vcc_lo, 0, v20
	v_cmp_ne_u32_e64 s3, 0, v44
	v_cndmask_b32_e64 v12, 1, 2, vcc_lo
	s_delay_alu instid0(VALU_DEP_4) | instskip(SKIP_2) | instid1(VALU_DEP_4)
	v_add_co_u32 v2, vcc_lo, v2, v10
	v_add_co_ci_u32_e32 v13, vcc_lo, 0, v11, vcc_lo
	v_cmp_eq_u32_e32 vcc_lo, 0, v44
	v_and_b32_e32 v3, v3, v12
	v_cmp_ne_u32_e64 s2, 0, v52
	v_cndmask_b32_e64 v23, 1, 2, vcc_lo
	v_add_co_u32 v12, vcc_lo, v2, -4
	v_add_co_ci_u32_e32 v13, vcc_lo, -1, v13, vcc_lo
	v_cmp_eq_u32_e32 vcc_lo, 0, v52
	v_add_nc_u32_e32 v2, v5, v14
	v_and_b32_e32 v3, v3, v23
	v_cmp_ne_u32_e64 s4, 0, v20
	v_cndmask_b32_e64 v14, 1, 2, vcc_lo
	v_cmp_eq_u32_e32 vcc_lo, 0, v54
	s_delay_alu instid0(VALU_DEP_2) | instskip(SKIP_2) | instid1(VALU_DEP_2)
	v_and_b32_e32 v3, v3, v14
	v_cndmask_b32_e64 v14, 1, 2, vcc_lo
	v_cmp_eq_u32_e32 vcc_lo, 0, v15
	v_and_b32_e32 v3, v3, v14
	v_cndmask_b32_e64 v14, 1, 2, vcc_lo
	v_cmp_gt_u32_e32 vcc_lo, 0x100, v9
	s_delay_alu instid0(VALU_DEP_2) | instskip(NEXT) | instid1(VALU_DEP_1)
	v_and_b32_e32 v3, v3, v14
	v_cmp_gt_i16_e64 s15, 2, v3
	s_cbranch_vccz .LBB126_249
; %bb.233:
	s_delay_alu instid0(VALU_DEP_1)
	s_and_saveexec_b32 s16, s15
	s_cbranch_execz .LBB126_287
; %bb.234:
	s_mov_b32 s18, 0
	s_mov_b32 s15, exec_lo
	v_cmpx_ne_u16_e32 1, v3
	s_xor_b32 s15, exec_lo, s15
	s_cbranch_execz .LBB126_266
; %bb.235:
	s_and_saveexec_b32 s18, s14
	s_cbranch_execz .LBB126_270
; %bb.236:
	v_sub_nc_u32_e32 v14, v4, v2
	v_mov_b32_e32 v15, 0
	s_delay_alu instid0(VALU_DEP_1) | instskip(NEXT) | instid1(VALU_DEP_1)
	v_lshlrev_b64 v[14:15], 2, v[14:15]
	v_add_co_u32 v14, vcc_lo, v12, v14
	s_delay_alu instid0(VALU_DEP_2)
	v_add_co_ci_u32_e32 v15, vcc_lo, v13, v15, vcc_lo
	global_store_b32 v[14:15], v71, off
	s_or_b32 exec_lo, exec_lo, s18
	s_and_saveexec_b32 s18, s13
	s_cbranch_execnz .LBB126_271
.LBB126_237:
	s_or_b32 exec_lo, exec_lo, s18
	s_and_saveexec_b32 s18, s12
	s_cbranch_execz .LBB126_272
.LBB126_238:
	v_sub_nc_u32_e32 v14, v37, v2
	v_mov_b32_e32 v15, 0
	s_delay_alu instid0(VALU_DEP_1) | instskip(NEXT) | instid1(VALU_DEP_1)
	v_lshlrev_b64 v[14:15], 2, v[14:15]
	v_add_co_u32 v14, vcc_lo, v12, v14
	s_delay_alu instid0(VALU_DEP_2)
	v_add_co_ci_u32_e32 v15, vcc_lo, v13, v15, vcc_lo
	global_store_b32 v[14:15], v69, off
	s_or_b32 exec_lo, exec_lo, s18
	s_and_saveexec_b32 s18, s11
	s_cbranch_execnz .LBB126_273
.LBB126_239:
	s_or_b32 exec_lo, exec_lo, s18
	s_and_saveexec_b32 s18, s10
	s_cbranch_execz .LBB126_274
.LBB126_240:
	v_sub_nc_u32_e32 v14, v34, v2
	v_mov_b32_e32 v15, 0
	s_delay_alu instid0(VALU_DEP_1) | instskip(NEXT) | instid1(VALU_DEP_1)
	v_lshlrev_b64 v[14:15], 2, v[14:15]
	v_add_co_u32 v14, vcc_lo, v12, v14
	s_delay_alu instid0(VALU_DEP_2)
	v_add_co_ci_u32_e32 v15, vcc_lo, v13, v15, vcc_lo
	global_store_b32 v[14:15], v67, off
	s_or_b32 exec_lo, exec_lo, s18
	s_and_saveexec_b32 s18, s9
	s_cbranch_execnz .LBB126_275
.LBB126_241:
	s_or_b32 exec_lo, exec_lo, s18
	s_and_saveexec_b32 s18, s8
	s_cbranch_execz .LBB126_276
.LBB126_242:
	v_sub_nc_u32_e32 v14, v32, v2
	v_mov_b32_e32 v15, 0
	s_delay_alu instid0(VALU_DEP_1) | instskip(NEXT) | instid1(VALU_DEP_1)
	v_lshlrev_b64 v[14:15], 2, v[14:15]
	v_add_co_u32 v14, vcc_lo, v12, v14
	s_delay_alu instid0(VALU_DEP_2)
	v_add_co_ci_u32_e32 v15, vcc_lo, v13, v15, vcc_lo
	global_store_b32 v[14:15], v55, off
	s_or_b32 exec_lo, exec_lo, s18
	s_and_saveexec_b32 s18, s7
	s_cbranch_execnz .LBB126_277
.LBB126_243:
	s_or_b32 exec_lo, exec_lo, s18
	s_and_saveexec_b32 s18, s6
	s_cbranch_execz .LBB126_278
.LBB126_244:
	v_sub_nc_u32_e32 v14, v30, v2
	v_mov_b32_e32 v15, 0
	s_delay_alu instid0(VALU_DEP_1) | instskip(NEXT) | instid1(VALU_DEP_1)
	v_lshlrev_b64 v[14:15], 2, v[14:15]
	v_add_co_u32 v14, vcc_lo, v12, v14
	s_delay_alu instid0(VALU_DEP_2)
	v_add_co_ci_u32_e32 v15, vcc_lo, v13, v15, vcc_lo
	global_store_b32 v[14:15], v51, off
	s_or_b32 exec_lo, exec_lo, s18
	s_and_saveexec_b32 s18, s5
	s_cbranch_execnz .LBB126_279
.LBB126_245:
	s_or_b32 exec_lo, exec_lo, s18
	s_and_saveexec_b32 s18, s4
	s_cbranch_execz .LBB126_280
.LBB126_246:
	v_sub_nc_u32_e32 v14, v28, v2
	v_mov_b32_e32 v15, 0
	s_delay_alu instid0(VALU_DEP_1) | instskip(NEXT) | instid1(VALU_DEP_1)
	v_lshlrev_b64 v[14:15], 2, v[14:15]
	v_add_co_u32 v14, vcc_lo, v12, v14
	s_delay_alu instid0(VALU_DEP_2)
	v_add_co_ci_u32_e32 v15, vcc_lo, v13, v15, vcc_lo
	global_store_b32 v[14:15], v45, off
	s_or_b32 exec_lo, exec_lo, s18
	s_and_saveexec_b32 s18, s3
	s_cbranch_execnz .LBB126_281
.LBB126_247:
	s_or_b32 exec_lo, exec_lo, s18
	s_and_saveexec_b32 s18, s2
	s_cbranch_execz .LBB126_282
.LBB126_248:
	v_sub_nc_u32_e32 v14, v26, v2
	v_mov_b32_e32 v15, 0
	s_delay_alu instid0(VALU_DEP_1) | instskip(NEXT) | instid1(VALU_DEP_1)
	v_lshlrev_b64 v[14:15], 2, v[14:15]
	v_add_co_u32 v14, vcc_lo, v12, v14
	s_delay_alu instid0(VALU_DEP_2)
	v_add_co_ci_u32_e32 v15, vcc_lo, v13, v15, vcc_lo
	global_store_b32 v[14:15], v42, off
	s_or_b32 exec_lo, exec_lo, s18
	s_and_saveexec_b32 s18, s1
	s_cbranch_execnz .LBB126_283
	s_branch .LBB126_284
.LBB126_249:
	s_and_b32 vcc_lo, exec_lo, s16
	s_cbranch_vccz .LBB126_288
; %bb.250:
	s_mov_b32 s15, exec_lo
	v_cmpx_gt_i16_e32 2, v3
	s_cbranch_execz .LBB126_306
; %bb.251:
	s_mov_b32 s18, 0
	s_mov_b32 s16, exec_lo
	v_cmpx_ne_u16_e32 1, v3
	s_xor_b32 s16, exec_lo, s16
	s_cbranch_execz .LBB126_268
; %bb.252:
	s_and_saveexec_b32 s18, s14
	s_cbranch_execz .LBB126_289
; %bb.253:
	v_sub_nc_u32_e32 v3, v4, v2
	s_delay_alu instid0(VALU_DEP_1)
	v_lshlrev_b32_e32 v3, 2, v3
	ds_store_b32 v3, v71
	s_or_b32 exec_lo, exec_lo, s18
	s_and_saveexec_b32 s14, s13
	s_cbranch_execnz .LBB126_290
.LBB126_254:
	s_or_b32 exec_lo, exec_lo, s14
	s_and_saveexec_b32 s13, s12
	s_cbranch_execz .LBB126_291
.LBB126_255:
	v_sub_nc_u32_e32 v3, v37, v2
	s_delay_alu instid0(VALU_DEP_1)
	v_lshlrev_b32_e32 v3, 2, v3
	ds_store_b32 v3, v69
	s_or_b32 exec_lo, exec_lo, s13
	s_and_saveexec_b32 s12, s11
	s_cbranch_execnz .LBB126_292
.LBB126_256:
	s_or_b32 exec_lo, exec_lo, s12
	s_and_saveexec_b32 s11, s10
	s_cbranch_execz .LBB126_293
.LBB126_257:
	v_sub_nc_u32_e32 v3, v34, v2
	s_delay_alu instid0(VALU_DEP_1)
	v_lshlrev_b32_e32 v3, 2, v3
	ds_store_b32 v3, v67
	s_or_b32 exec_lo, exec_lo, s11
	s_and_saveexec_b32 s10, s9
	s_cbranch_execnz .LBB126_294
.LBB126_258:
	s_or_b32 exec_lo, exec_lo, s10
	s_and_saveexec_b32 s9, s8
	s_cbranch_execz .LBB126_295
.LBB126_259:
	v_sub_nc_u32_e32 v3, v32, v2
	s_delay_alu instid0(VALU_DEP_1)
	v_lshlrev_b32_e32 v3, 2, v3
	ds_store_b32 v3, v55
	s_or_b32 exec_lo, exec_lo, s9
	s_and_saveexec_b32 s8, s7
	s_cbranch_execnz .LBB126_296
.LBB126_260:
	s_or_b32 exec_lo, exec_lo, s8
	s_and_saveexec_b32 s7, s6
	s_cbranch_execz .LBB126_297
.LBB126_261:
	v_sub_nc_u32_e32 v3, v30, v2
	s_delay_alu instid0(VALU_DEP_1)
	v_lshlrev_b32_e32 v3, 2, v3
	ds_store_b32 v3, v51
	s_or_b32 exec_lo, exec_lo, s7
	s_and_saveexec_b32 s6, s5
	s_cbranch_execnz .LBB126_298
.LBB126_262:
	s_or_b32 exec_lo, exec_lo, s6
	s_and_saveexec_b32 s5, s4
	s_cbranch_execz .LBB126_299
.LBB126_263:
	v_sub_nc_u32_e32 v3, v28, v2
	s_delay_alu instid0(VALU_DEP_1)
	v_lshlrev_b32_e32 v3, 2, v3
	ds_store_b32 v3, v45
	s_or_b32 exec_lo, exec_lo, s5
	s_and_saveexec_b32 s4, s3
	s_cbranch_execnz .LBB126_300
.LBB126_264:
	s_or_b32 exec_lo, exec_lo, s4
	s_and_saveexec_b32 s3, s2
	s_cbranch_execz .LBB126_301
.LBB126_265:
	v_sub_nc_u32_e32 v3, v26, v2
	s_delay_alu instid0(VALU_DEP_1)
	v_lshlrev_b32_e32 v3, 2, v3
	ds_store_b32 v3, v42
	s_or_b32 exec_lo, exec_lo, s3
	s_and_saveexec_b32 s2, s1
	s_cbranch_execnz .LBB126_302
	s_branch .LBB126_303
.LBB126_266:
	s_and_not1_saveexec_b32 s15, s15
	s_cbranch_execz .LBB126_285
.LBB126_267:
	v_sub_nc_u32_e32 v14, v4, v2
	v_mov_b32_e32 v15, 0
	s_or_b32 s18, s18, exec_lo
	s_delay_alu instid0(VALU_DEP_1) | instskip(SKIP_1) | instid1(VALU_DEP_1)
	v_lshlrev_b64 v[16:17], 2, v[14:15]
	v_sub_nc_u32_e32 v14, v35, v2
	v_lshlrev_b64 v[18:19], 2, v[14:15]
	v_sub_nc_u32_e32 v14, v37, v2
	s_delay_alu instid0(VALU_DEP_4) | instskip(SKIP_1) | instid1(VALU_DEP_3)
	v_add_co_u32 v16, vcc_lo, v12, v16
	v_add_co_ci_u32_e32 v17, vcc_lo, v13, v17, vcc_lo
	v_lshlrev_b64 v[20:21], 2, v[14:15]
	v_sub_nc_u32_e32 v14, v36, v2
	v_add_co_u32 v18, vcc_lo, v12, v18
	v_add_co_ci_u32_e32 v19, vcc_lo, v13, v19, vcc_lo
	global_store_b32 v[16:17], v71, off
	v_lshlrev_b64 v[16:17], 2, v[14:15]
	v_sub_nc_u32_e32 v14, v34, v2
	global_store_b32 v[18:19], v70, off
	v_add_co_u32 v18, vcc_lo, v12, v20
	v_add_co_ci_u32_e32 v19, vcc_lo, v13, v21, vcc_lo
	v_lshlrev_b64 v[20:21], 2, v[14:15]
	v_sub_nc_u32_e32 v14, v33, v2
	v_add_co_u32 v16, vcc_lo, v12, v16
	v_add_co_ci_u32_e32 v17, vcc_lo, v13, v17, vcc_lo
	s_delay_alu instid0(VALU_DEP_3) | instskip(SKIP_3) | instid1(VALU_DEP_3)
	v_lshlrev_b64 v[22:23], 2, v[14:15]
	v_sub_nc_u32_e32 v14, v32, v2
	v_add_co_u32 v20, vcc_lo, v12, v20
	v_add_co_ci_u32_e32 v21, vcc_lo, v13, v21, vcc_lo
	v_lshlrev_b64 v[43:44], 2, v[14:15]
	v_sub_nc_u32_e32 v14, v31, v2
	v_add_co_u32 v22, vcc_lo, v12, v22
	v_add_co_ci_u32_e32 v23, vcc_lo, v13, v23, vcc_lo
	s_clause 0x3
	global_store_b32 v[18:19], v69, off
	global_store_b32 v[16:17], v68, off
	;; [unrolled: 1-line block ×4, first 2 shown]
	v_lshlrev_b64 v[16:17], 2, v[14:15]
	v_sub_nc_u32_e32 v14, v30, v2
	v_add_co_u32 v18, vcc_lo, v12, v43
	v_add_co_ci_u32_e32 v19, vcc_lo, v13, v44, vcc_lo
	s_delay_alu instid0(VALU_DEP_3) | instskip(SKIP_3) | instid1(VALU_DEP_3)
	v_lshlrev_b64 v[20:21], 2, v[14:15]
	v_sub_nc_u32_e32 v14, v29, v2
	v_add_co_u32 v16, vcc_lo, v12, v16
	v_add_co_ci_u32_e32 v17, vcc_lo, v13, v17, vcc_lo
	v_lshlrev_b64 v[22:23], 2, v[14:15]
	v_sub_nc_u32_e32 v14, v28, v2
	v_add_co_u32 v20, vcc_lo, v12, v20
	v_add_co_ci_u32_e32 v21, vcc_lo, v13, v21, vcc_lo
	s_delay_alu instid0(VALU_DEP_3)
	v_lshlrev_b64 v[43:44], 2, v[14:15]
	v_sub_nc_u32_e32 v14, v27, v2
	v_add_co_u32 v22, vcc_lo, v12, v22
	v_add_co_ci_u32_e32 v23, vcc_lo, v13, v23, vcc_lo
	s_clause 0x3
	global_store_b32 v[18:19], v55, off
	global_store_b32 v[16:17], v53, off
	;; [unrolled: 1-line block ×4, first 2 shown]
	v_lshlrev_b64 v[16:17], 2, v[14:15]
	v_sub_nc_u32_e32 v14, v26, v2
	v_add_co_u32 v18, vcc_lo, v12, v43
	v_add_co_ci_u32_e32 v19, vcc_lo, v13, v44, vcc_lo
	s_delay_alu instid0(VALU_DEP_3) | instskip(SKIP_3) | instid1(VALU_DEP_3)
	v_lshlrev_b64 v[20:21], 2, v[14:15]
	v_sub_nc_u32_e32 v14, v25, v2
	v_add_co_u32 v16, vcc_lo, v12, v16
	v_add_co_ci_u32_e32 v17, vcc_lo, v13, v17, vcc_lo
	v_lshlrev_b64 v[14:15], 2, v[14:15]
	v_add_co_u32 v20, vcc_lo, v12, v20
	v_add_co_ci_u32_e32 v21, vcc_lo, v13, v21, vcc_lo
	s_clause 0x2
	global_store_b32 v[18:19], v45, off
	global_store_b32 v[16:17], v41, off
	;; [unrolled: 1-line block ×3, first 2 shown]
	v_add_co_u32 v14, vcc_lo, v12, v14
	v_add_co_ci_u32_e32 v15, vcc_lo, v13, v15, vcc_lo
	global_store_b32 v[14:15], v40, off
	s_or_b32 exec_lo, exec_lo, s15
	s_delay_alu instid0(SALU_CYCLE_1)
	s_and_b32 exec_lo, exec_lo, s18
	s_cbranch_execnz .LBB126_286
	s_branch .LBB126_287
.LBB126_268:
	s_and_not1_saveexec_b32 s0, s16
	s_cbranch_execz .LBB126_304
.LBB126_269:
	v_sub_nc_u32_e32 v3, v4, v2
	v_sub_nc_u32_e32 v4, v35, v2
	;; [unrolled: 1-line block ×5, first 2 shown]
	v_lshlrev_b32_e32 v3, 2, v3
	v_lshlrev_b32_e32 v4, 2, v4
	;; [unrolled: 1-line block ×4, first 2 shown]
	s_or_b32 s18, s18, exec_lo
	ds_store_b32 v3, v71
	ds_store_b32 v4, v70
	;; [unrolled: 1-line block ×3, first 2 shown]
	v_sub_nc_u32_e32 v3, v34, v2
	v_sub_nc_u32_e32 v4, v33, v2
	;; [unrolled: 1-line block ×3, first 2 shown]
	ds_store_b32 v15, v68
	v_sub_nc_u32_e32 v15, v31, v2
	v_lshlrev_b32_e32 v3, 2, v3
	v_lshlrev_b32_e32 v4, 2, v4
	;; [unrolled: 1-line block ×3, first 2 shown]
	s_delay_alu instid0(VALU_DEP_4)
	v_lshlrev_b32_e32 v15, 2, v15
	ds_store_b32 v3, v67
	v_lshlrev_b32_e32 v3, 2, v16
	ds_store_b32 v4, v66
	ds_store_b32 v14, v55
	;; [unrolled: 1-line block ×3, first 2 shown]
	v_sub_nc_u32_e32 v4, v29, v2
	v_sub_nc_u32_e32 v16, v25, v2
	;; [unrolled: 1-line block ×3, first 2 shown]
	ds_store_b32 v3, v51
	v_sub_nc_u32_e32 v3, v28, v2
	v_lshlrev_b32_e32 v4, 2, v4
	v_sub_nc_u32_e32 v15, v26, v2
	v_lshlrev_b32_e32 v14, 2, v14
	s_delay_alu instid0(VALU_DEP_4)
	v_lshlrev_b32_e32 v3, 2, v3
	ds_store_b32 v4, v47
	v_lshlrev_b32_e32 v4, 2, v16
	v_lshlrev_b32_e32 v15, 2, v15
	ds_store_b32 v3, v45
	ds_store_b32 v14, v41
	;; [unrolled: 1-line block ×4, first 2 shown]
	s_or_b32 exec_lo, exec_lo, s0
	s_delay_alu instid0(SALU_CYCLE_1)
	s_and_b32 exec_lo, exec_lo, s18
	s_cbranch_execnz .LBB126_305
	s_branch .LBB126_306
.LBB126_270:
	s_or_b32 exec_lo, exec_lo, s18
	s_and_saveexec_b32 s18, s13
	s_cbranch_execz .LBB126_237
.LBB126_271:
	v_sub_nc_u32_e32 v14, v35, v2
	v_mov_b32_e32 v15, 0
	s_delay_alu instid0(VALU_DEP_1) | instskip(NEXT) | instid1(VALU_DEP_1)
	v_lshlrev_b64 v[14:15], 2, v[14:15]
	v_add_co_u32 v14, vcc_lo, v12, v14
	s_delay_alu instid0(VALU_DEP_2)
	v_add_co_ci_u32_e32 v15, vcc_lo, v13, v15, vcc_lo
	global_store_b32 v[14:15], v70, off
	s_or_b32 exec_lo, exec_lo, s18
	s_and_saveexec_b32 s18, s12
	s_cbranch_execnz .LBB126_238
.LBB126_272:
	s_or_b32 exec_lo, exec_lo, s18
	s_and_saveexec_b32 s18, s11
	s_cbranch_execz .LBB126_239
.LBB126_273:
	v_sub_nc_u32_e32 v14, v36, v2
	v_mov_b32_e32 v15, 0
	s_delay_alu instid0(VALU_DEP_1) | instskip(NEXT) | instid1(VALU_DEP_1)
	v_lshlrev_b64 v[14:15], 2, v[14:15]
	v_add_co_u32 v14, vcc_lo, v12, v14
	s_delay_alu instid0(VALU_DEP_2)
	v_add_co_ci_u32_e32 v15, vcc_lo, v13, v15, vcc_lo
	global_store_b32 v[14:15], v68, off
	s_or_b32 exec_lo, exec_lo, s18
	s_and_saveexec_b32 s18, s10
	s_cbranch_execnz .LBB126_240
.LBB126_274:
	s_or_b32 exec_lo, exec_lo, s18
	s_and_saveexec_b32 s18, s9
	s_cbranch_execz .LBB126_241
.LBB126_275:
	v_sub_nc_u32_e32 v14, v33, v2
	v_mov_b32_e32 v15, 0
	s_delay_alu instid0(VALU_DEP_1) | instskip(NEXT) | instid1(VALU_DEP_1)
	v_lshlrev_b64 v[14:15], 2, v[14:15]
	v_add_co_u32 v14, vcc_lo, v12, v14
	s_delay_alu instid0(VALU_DEP_2)
	v_add_co_ci_u32_e32 v15, vcc_lo, v13, v15, vcc_lo
	global_store_b32 v[14:15], v66, off
	s_or_b32 exec_lo, exec_lo, s18
	s_and_saveexec_b32 s18, s8
	s_cbranch_execnz .LBB126_242
.LBB126_276:
	s_or_b32 exec_lo, exec_lo, s18
	s_and_saveexec_b32 s18, s7
	s_cbranch_execz .LBB126_243
.LBB126_277:
	v_sub_nc_u32_e32 v14, v31, v2
	v_mov_b32_e32 v15, 0
	s_delay_alu instid0(VALU_DEP_1) | instskip(NEXT) | instid1(VALU_DEP_1)
	v_lshlrev_b64 v[14:15], 2, v[14:15]
	v_add_co_u32 v14, vcc_lo, v12, v14
	s_delay_alu instid0(VALU_DEP_2)
	v_add_co_ci_u32_e32 v15, vcc_lo, v13, v15, vcc_lo
	global_store_b32 v[14:15], v53, off
	s_or_b32 exec_lo, exec_lo, s18
	s_and_saveexec_b32 s18, s6
	s_cbranch_execnz .LBB126_244
.LBB126_278:
	s_or_b32 exec_lo, exec_lo, s18
	s_and_saveexec_b32 s18, s5
	s_cbranch_execz .LBB126_245
.LBB126_279:
	v_sub_nc_u32_e32 v14, v29, v2
	v_mov_b32_e32 v15, 0
	s_delay_alu instid0(VALU_DEP_1) | instskip(NEXT) | instid1(VALU_DEP_1)
	v_lshlrev_b64 v[14:15], 2, v[14:15]
	v_add_co_u32 v14, vcc_lo, v12, v14
	s_delay_alu instid0(VALU_DEP_2)
	v_add_co_ci_u32_e32 v15, vcc_lo, v13, v15, vcc_lo
	global_store_b32 v[14:15], v47, off
	s_or_b32 exec_lo, exec_lo, s18
	s_and_saveexec_b32 s18, s4
	s_cbranch_execnz .LBB126_246
.LBB126_280:
	s_or_b32 exec_lo, exec_lo, s18
	s_and_saveexec_b32 s18, s3
	s_cbranch_execz .LBB126_247
.LBB126_281:
	v_sub_nc_u32_e32 v14, v27, v2
	v_mov_b32_e32 v15, 0
	s_delay_alu instid0(VALU_DEP_1) | instskip(NEXT) | instid1(VALU_DEP_1)
	v_lshlrev_b64 v[14:15], 2, v[14:15]
	v_add_co_u32 v14, vcc_lo, v12, v14
	s_delay_alu instid0(VALU_DEP_2)
	v_add_co_ci_u32_e32 v15, vcc_lo, v13, v15, vcc_lo
	global_store_b32 v[14:15], v41, off
	s_or_b32 exec_lo, exec_lo, s18
	s_and_saveexec_b32 s18, s2
	s_cbranch_execnz .LBB126_248
.LBB126_282:
	s_or_b32 exec_lo, exec_lo, s18
	s_and_saveexec_b32 s18, s1
	s_cbranch_execz .LBB126_284
.LBB126_283:
	v_sub_nc_u32_e32 v14, v25, v2
	v_mov_b32_e32 v15, 0
	s_delay_alu instid0(VALU_DEP_1) | instskip(NEXT) | instid1(VALU_DEP_1)
	v_lshlrev_b64 v[14:15], 2, v[14:15]
	v_add_co_u32 v14, vcc_lo, v12, v14
	s_delay_alu instid0(VALU_DEP_2)
	v_add_co_ci_u32_e32 v15, vcc_lo, v13, v15, vcc_lo
	global_store_b32 v[14:15], v40, off
.LBB126_284:
	s_or_b32 exec_lo, exec_lo, s18
	s_delay_alu instid0(SALU_CYCLE_1)
	s_and_b32 s18, s0, exec_lo
	s_and_not1_saveexec_b32 s15, s15
	s_cbranch_execnz .LBB126_267
.LBB126_285:
	s_or_b32 exec_lo, exec_lo, s15
	s_delay_alu instid0(SALU_CYCLE_1)
	s_and_b32 exec_lo, exec_lo, s18
	s_cbranch_execz .LBB126_287
.LBB126_286:
	v_sub_nc_u32_e32 v14, v6, v2
	v_mov_b32_e32 v15, 0
	s_delay_alu instid0(VALU_DEP_1) | instskip(NEXT) | instid1(VALU_DEP_1)
	v_lshlrev_b64 v[14:15], 2, v[14:15]
	v_add_co_u32 v14, vcc_lo, v12, v14
	s_delay_alu instid0(VALU_DEP_2)
	v_add_co_ci_u32_e32 v15, vcc_lo, v13, v15, vcc_lo
	global_store_b32 v[14:15], v49, off
.LBB126_287:
	s_or_b32 exec_lo, exec_lo, s16
.LBB126_288:
	v_cmp_eq_u32_e32 vcc_lo, 0xff, v0
	s_and_b32 s0, vcc_lo, s17
	s_delay_alu instid0(SALU_CYCLE_1)
	s_and_b32 exec_lo, exec_lo, s0
	s_cbranch_execnz .LBB126_310
	s_branch .LBB126_312
.LBB126_289:
	s_or_b32 exec_lo, exec_lo, s18
	s_and_saveexec_b32 s14, s13
	s_cbranch_execz .LBB126_254
.LBB126_290:
	v_sub_nc_u32_e32 v3, v35, v2
	s_delay_alu instid0(VALU_DEP_1)
	v_lshlrev_b32_e32 v3, 2, v3
	ds_store_b32 v3, v70
	s_or_b32 exec_lo, exec_lo, s14
	s_and_saveexec_b32 s13, s12
	s_cbranch_execnz .LBB126_255
.LBB126_291:
	s_or_b32 exec_lo, exec_lo, s13
	s_and_saveexec_b32 s12, s11
	s_cbranch_execz .LBB126_256
.LBB126_292:
	v_sub_nc_u32_e32 v3, v36, v2
	s_delay_alu instid0(VALU_DEP_1)
	v_lshlrev_b32_e32 v3, 2, v3
	ds_store_b32 v3, v68
	s_or_b32 exec_lo, exec_lo, s12
	s_and_saveexec_b32 s11, s10
	s_cbranch_execnz .LBB126_257
.LBB126_293:
	s_or_b32 exec_lo, exec_lo, s11
	s_and_saveexec_b32 s10, s9
	s_cbranch_execz .LBB126_258
.LBB126_294:
	v_sub_nc_u32_e32 v3, v33, v2
	s_delay_alu instid0(VALU_DEP_1)
	v_lshlrev_b32_e32 v3, 2, v3
	ds_store_b32 v3, v66
	s_or_b32 exec_lo, exec_lo, s10
	s_and_saveexec_b32 s9, s8
	s_cbranch_execnz .LBB126_259
.LBB126_295:
	s_or_b32 exec_lo, exec_lo, s9
	s_and_saveexec_b32 s8, s7
	s_cbranch_execz .LBB126_260
.LBB126_296:
	v_sub_nc_u32_e32 v3, v31, v2
	s_delay_alu instid0(VALU_DEP_1)
	v_lshlrev_b32_e32 v3, 2, v3
	ds_store_b32 v3, v53
	s_or_b32 exec_lo, exec_lo, s8
	s_and_saveexec_b32 s7, s6
	s_cbranch_execnz .LBB126_261
.LBB126_297:
	s_or_b32 exec_lo, exec_lo, s7
	s_and_saveexec_b32 s6, s5
	s_cbranch_execz .LBB126_262
.LBB126_298:
	v_sub_nc_u32_e32 v3, v29, v2
	s_delay_alu instid0(VALU_DEP_1)
	v_lshlrev_b32_e32 v3, 2, v3
	ds_store_b32 v3, v47
	s_or_b32 exec_lo, exec_lo, s6
	s_and_saveexec_b32 s5, s4
	s_cbranch_execnz .LBB126_263
.LBB126_299:
	s_or_b32 exec_lo, exec_lo, s5
	s_and_saveexec_b32 s4, s3
	s_cbranch_execz .LBB126_264
.LBB126_300:
	v_sub_nc_u32_e32 v3, v27, v2
	s_delay_alu instid0(VALU_DEP_1)
	v_lshlrev_b32_e32 v3, 2, v3
	ds_store_b32 v3, v41
	s_or_b32 exec_lo, exec_lo, s4
	s_and_saveexec_b32 s3, s2
	s_cbranch_execnz .LBB126_265
.LBB126_301:
	s_or_b32 exec_lo, exec_lo, s3
	s_and_saveexec_b32 s2, s1
	s_cbranch_execz .LBB126_303
.LBB126_302:
	v_sub_nc_u32_e32 v3, v25, v2
	s_delay_alu instid0(VALU_DEP_1)
	v_lshlrev_b32_e32 v3, 2, v3
	ds_store_b32 v3, v40
.LBB126_303:
	s_or_b32 exec_lo, exec_lo, s2
	s_delay_alu instid0(SALU_CYCLE_1)
	s_and_b32 s18, s0, exec_lo
                                        ; implicit-def: $vgpr40
                                        ; implicit-def: $vgpr42
                                        ; implicit-def: $vgpr41
                                        ; implicit-def: $vgpr45
                                        ; implicit-def: $vgpr47
                                        ; implicit-def: $vgpr51
                                        ; implicit-def: $vgpr53
                                        ; implicit-def: $vgpr55
                                        ; implicit-def: $vgpr66
                                        ; implicit-def: $vgpr67
                                        ; implicit-def: $vgpr68
                                        ; implicit-def: $vgpr69
                                        ; implicit-def: $vgpr70
                                        ; implicit-def: $vgpr71
                                        ; implicit-def: $vgpr35
                                        ; implicit-def: $vgpr37
                                        ; implicit-def: $vgpr36
                                        ; implicit-def: $vgpr34
                                        ; implicit-def: $vgpr33
                                        ; implicit-def: $vgpr32
                                        ; implicit-def: $vgpr31
                                        ; implicit-def: $vgpr30
                                        ; implicit-def: $vgpr29
                                        ; implicit-def: $vgpr28
                                        ; implicit-def: $vgpr27
                                        ; implicit-def: $vgpr26
                                        ; implicit-def: $vgpr25
	s_and_not1_saveexec_b32 s0, s16
	s_cbranch_execnz .LBB126_269
.LBB126_304:
	s_or_b32 exec_lo, exec_lo, s0
	s_delay_alu instid0(SALU_CYCLE_1)
	s_and_b32 exec_lo, exec_lo, s18
	s_cbranch_execz .LBB126_306
.LBB126_305:
	v_sub_nc_u32_e32 v2, v6, v2
	s_delay_alu instid0(VALU_DEP_1)
	v_lshlrev_b32_e32 v2, 2, v2
	ds_store_b32 v2, v49
.LBB126_306:
	s_or_b32 exec_lo, exec_lo, s15
	s_delay_alu instid0(SALU_CYCLE_1)
	s_mov_b32 s1, exec_lo
	s_waitcnt lgkmcnt(0)
	s_waitcnt_vscnt null, 0x0
	s_barrier
	buffer_gl0_inv
	v_cmpx_lt_u32_e64 v0, v9
	s_cbranch_execz .LBB126_309
; %bb.307:
	v_dual_mov_b32 v3, 0 :: v_dual_lshlrev_b32 v4, 2, v0
	v_mov_b32_e32 v2, v0
	s_mov_b32 s2, 0
	.p2align	6
.LBB126_308:                            ; =>This Inner Loop Header: Depth=1
	ds_load_b32 v6, v4
	v_lshlrev_b64 v[14:15], 2, v[2:3]
	v_add_nc_u32_e32 v2, 0x100, v2
	v_add_nc_u32_e32 v4, 0x400, v4
	s_delay_alu instid0(VALU_DEP_2) | instskip(NEXT) | instid1(VALU_DEP_4)
	v_cmp_ge_u32_e32 vcc_lo, v2, v9
	v_add_co_u32 v14, s0, v12, v14
	s_delay_alu instid0(VALU_DEP_1)
	v_add_co_ci_u32_e64 v15, s0, v13, v15, s0
	s_or_b32 s2, vcc_lo, s2
	s_waitcnt lgkmcnt(0)
	global_store_b32 v[14:15], v6, off
	s_and_not1_b32 exec_lo, exec_lo, s2
	s_cbranch_execnz .LBB126_308
.LBB126_309:
	s_or_b32 exec_lo, exec_lo, s1
	v_cmp_eq_u32_e32 vcc_lo, 0xff, v0
	s_and_b32 s0, vcc_lo, s17
	s_delay_alu instid0(SALU_CYCLE_1)
	s_and_b32 exec_lo, exec_lo, s0
	s_cbranch_execz .LBB126_312
.LBB126_310:
	v_add_co_u32 v0, s0, v1, v5
	s_delay_alu instid0(VALU_DEP_1) | instskip(SKIP_1) | instid1(VALU_DEP_3)
	v_add_co_ci_u32_e64 v4, null, 0, 0, s0
	v_mov_b32_e32 v2, 0
	v_add_co_u32 v3, vcc_lo, v0, v7
	s_delay_alu instid0(VALU_DEP_3)
	v_add_co_ci_u32_e32 v4, vcc_lo, v4, v8, vcc_lo
	s_cmpk_lg_i32 s33, 0xf00
	global_store_b64 v2, v[3:4], s[30:31]
	s_cbranch_scc1 .LBB126_312
; %bb.311:
	v_lshlrev_b64 v[0:1], 2, v[1:2]
	s_delay_alu instid0(VALU_DEP_1) | instskip(NEXT) | instid1(VALU_DEP_2)
	v_add_co_u32 v0, vcc_lo, v10, v0
	v_add_co_ci_u32_e32 v1, vcc_lo, v11, v1, vcc_lo
	global_store_b32 v[0:1], v39, off offset:-4
	s_nop 0
	s_sendmsg sendmsg(MSG_DEALLOC_VGPRS)
	s_endpgm
.LBB126_312:
	s_endpgm
.LBB126_313:
	s_trap 2
	s_sendmsg_rtn_b32 s0, sendmsg(MSG_RTN_GET_DOORBELL)
	s_mov_b32 ttmp2, m0
	s_waitcnt lgkmcnt(0)
	s_and_b32 s0, s0, 0x3ff
	s_delay_alu instid0(SALU_CYCLE_1) | instskip(NEXT) | instid1(SALU_CYCLE_1)
	s_bitset1_b32 s0, 10
	s_mov_b32 m0, s0
	s_sendmsg sendmsg(MSG_INTERRUPT)
	s_mov_b32 m0, ttmp2
.LBB126_314:                            ; =>This Inner Loop Header: Depth=1
	s_sethalt 5
	s_branch .LBB126_314
	.section	.rodata,"a",@progbits
	.p2align	6, 0x0
	.amdhsa_kernel _ZN7rocprim17ROCPRIM_400000_NS6detail17trampoline_kernelINS0_14default_configENS1_29reduce_by_key_config_selectorIffN6thrust23THRUST_200600_302600_NS4plusIfEEEEZZNS1_33reduce_by_key_impl_wrapped_configILNS1_25lookback_scan_determinismE1ES3_S9_NS6_6detail15normal_iteratorINS6_10device_ptrIfEEEESG_SG_SG_PmS8_NS6_8equal_toIfEEEE10hipError_tPvRmT2_T3_mT4_T5_T6_T7_T8_P12ihipStream_tbENKUlT_T0_E_clISt17integral_constantIbLb0EES10_IbLb1EEEEDaSW_SX_EUlSW_E_NS1_11comp_targetILNS1_3genE9ELNS1_11target_archE1100ELNS1_3gpuE3ELNS1_3repE0EEENS1_30default_config_static_selectorELNS0_4arch9wavefront6targetE0EEEvT1_
		.amdhsa_group_segment_fixed_size 15360
		.amdhsa_private_segment_fixed_size 48
		.amdhsa_kernarg_size 120
		.amdhsa_user_sgpr_count 15
		.amdhsa_user_sgpr_dispatch_ptr 0
		.amdhsa_user_sgpr_queue_ptr 0
		.amdhsa_user_sgpr_kernarg_segment_ptr 1
		.amdhsa_user_sgpr_dispatch_id 0
		.amdhsa_user_sgpr_private_segment_size 0
		.amdhsa_wavefront_size32 1
		.amdhsa_uses_dynamic_stack 0
		.amdhsa_enable_private_segment 1
		.amdhsa_system_sgpr_workgroup_id_x 1
		.amdhsa_system_sgpr_workgroup_id_y 0
		.amdhsa_system_sgpr_workgroup_id_z 0
		.amdhsa_system_sgpr_workgroup_info 0
		.amdhsa_system_vgpr_workitem_id 0
		.amdhsa_next_free_vgpr 85
		.amdhsa_next_free_sgpr 46
		.amdhsa_reserve_vcc 1
		.amdhsa_float_round_mode_32 0
		.amdhsa_float_round_mode_16_64 0
		.amdhsa_float_denorm_mode_32 3
		.amdhsa_float_denorm_mode_16_64 3
		.amdhsa_dx10_clamp 1
		.amdhsa_ieee_mode 1
		.amdhsa_fp16_overflow 0
		.amdhsa_workgroup_processor_mode 1
		.amdhsa_memory_ordered 1
		.amdhsa_forward_progress 0
		.amdhsa_shared_vgpr_count 0
		.amdhsa_exception_fp_ieee_invalid_op 0
		.amdhsa_exception_fp_denorm_src 0
		.amdhsa_exception_fp_ieee_div_zero 0
		.amdhsa_exception_fp_ieee_overflow 0
		.amdhsa_exception_fp_ieee_underflow 0
		.amdhsa_exception_fp_ieee_inexact 0
		.amdhsa_exception_int_div_zero 0
	.end_amdhsa_kernel
	.section	.text._ZN7rocprim17ROCPRIM_400000_NS6detail17trampoline_kernelINS0_14default_configENS1_29reduce_by_key_config_selectorIffN6thrust23THRUST_200600_302600_NS4plusIfEEEEZZNS1_33reduce_by_key_impl_wrapped_configILNS1_25lookback_scan_determinismE1ES3_S9_NS6_6detail15normal_iteratorINS6_10device_ptrIfEEEESG_SG_SG_PmS8_NS6_8equal_toIfEEEE10hipError_tPvRmT2_T3_mT4_T5_T6_T7_T8_P12ihipStream_tbENKUlT_T0_E_clISt17integral_constantIbLb0EES10_IbLb1EEEEDaSW_SX_EUlSW_E_NS1_11comp_targetILNS1_3genE9ELNS1_11target_archE1100ELNS1_3gpuE3ELNS1_3repE0EEENS1_30default_config_static_selectorELNS0_4arch9wavefront6targetE0EEEvT1_,"axG",@progbits,_ZN7rocprim17ROCPRIM_400000_NS6detail17trampoline_kernelINS0_14default_configENS1_29reduce_by_key_config_selectorIffN6thrust23THRUST_200600_302600_NS4plusIfEEEEZZNS1_33reduce_by_key_impl_wrapped_configILNS1_25lookback_scan_determinismE1ES3_S9_NS6_6detail15normal_iteratorINS6_10device_ptrIfEEEESG_SG_SG_PmS8_NS6_8equal_toIfEEEE10hipError_tPvRmT2_T3_mT4_T5_T6_T7_T8_P12ihipStream_tbENKUlT_T0_E_clISt17integral_constantIbLb0EES10_IbLb1EEEEDaSW_SX_EUlSW_E_NS1_11comp_targetILNS1_3genE9ELNS1_11target_archE1100ELNS1_3gpuE3ELNS1_3repE0EEENS1_30default_config_static_selectorELNS0_4arch9wavefront6targetE0EEEvT1_,comdat
.Lfunc_end126:
	.size	_ZN7rocprim17ROCPRIM_400000_NS6detail17trampoline_kernelINS0_14default_configENS1_29reduce_by_key_config_selectorIffN6thrust23THRUST_200600_302600_NS4plusIfEEEEZZNS1_33reduce_by_key_impl_wrapped_configILNS1_25lookback_scan_determinismE1ES3_S9_NS6_6detail15normal_iteratorINS6_10device_ptrIfEEEESG_SG_SG_PmS8_NS6_8equal_toIfEEEE10hipError_tPvRmT2_T3_mT4_T5_T6_T7_T8_P12ihipStream_tbENKUlT_T0_E_clISt17integral_constantIbLb0EES10_IbLb1EEEEDaSW_SX_EUlSW_E_NS1_11comp_targetILNS1_3genE9ELNS1_11target_archE1100ELNS1_3gpuE3ELNS1_3repE0EEENS1_30default_config_static_selectorELNS0_4arch9wavefront6targetE0EEEvT1_, .Lfunc_end126-_ZN7rocprim17ROCPRIM_400000_NS6detail17trampoline_kernelINS0_14default_configENS1_29reduce_by_key_config_selectorIffN6thrust23THRUST_200600_302600_NS4plusIfEEEEZZNS1_33reduce_by_key_impl_wrapped_configILNS1_25lookback_scan_determinismE1ES3_S9_NS6_6detail15normal_iteratorINS6_10device_ptrIfEEEESG_SG_SG_PmS8_NS6_8equal_toIfEEEE10hipError_tPvRmT2_T3_mT4_T5_T6_T7_T8_P12ihipStream_tbENKUlT_T0_E_clISt17integral_constantIbLb0EES10_IbLb1EEEEDaSW_SX_EUlSW_E_NS1_11comp_targetILNS1_3genE9ELNS1_11target_archE1100ELNS1_3gpuE3ELNS1_3repE0EEENS1_30default_config_static_selectorELNS0_4arch9wavefront6targetE0EEEvT1_
                                        ; -- End function
	.section	.AMDGPU.csdata,"",@progbits
; Kernel info:
; codeLenInByte = 18892
; NumSgprs: 48
; NumVgprs: 85
; ScratchSize: 48
; MemoryBound: 0
; FloatMode: 240
; IeeeMode: 1
; LDSByteSize: 15360 bytes/workgroup (compile time only)
; SGPRBlocks: 5
; VGPRBlocks: 10
; NumSGPRsForWavesPerEU: 48
; NumVGPRsForWavesPerEU: 85
; Occupancy: 16
; WaveLimiterHint : 1
; COMPUTE_PGM_RSRC2:SCRATCH_EN: 1
; COMPUTE_PGM_RSRC2:USER_SGPR: 15
; COMPUTE_PGM_RSRC2:TRAP_HANDLER: 0
; COMPUTE_PGM_RSRC2:TGID_X_EN: 1
; COMPUTE_PGM_RSRC2:TGID_Y_EN: 0
; COMPUTE_PGM_RSRC2:TGID_Z_EN: 0
; COMPUTE_PGM_RSRC2:TIDIG_COMP_CNT: 0
	.section	.text._ZN7rocprim17ROCPRIM_400000_NS6detail17trampoline_kernelINS0_14default_configENS1_29reduce_by_key_config_selectorIffN6thrust23THRUST_200600_302600_NS4plusIfEEEEZZNS1_33reduce_by_key_impl_wrapped_configILNS1_25lookback_scan_determinismE1ES3_S9_NS6_6detail15normal_iteratorINS6_10device_ptrIfEEEESG_SG_SG_PmS8_NS6_8equal_toIfEEEE10hipError_tPvRmT2_T3_mT4_T5_T6_T7_T8_P12ihipStream_tbENKUlT_T0_E_clISt17integral_constantIbLb0EES10_IbLb1EEEEDaSW_SX_EUlSW_E_NS1_11comp_targetILNS1_3genE8ELNS1_11target_archE1030ELNS1_3gpuE2ELNS1_3repE0EEENS1_30default_config_static_selectorELNS0_4arch9wavefront6targetE0EEEvT1_,"axG",@progbits,_ZN7rocprim17ROCPRIM_400000_NS6detail17trampoline_kernelINS0_14default_configENS1_29reduce_by_key_config_selectorIffN6thrust23THRUST_200600_302600_NS4plusIfEEEEZZNS1_33reduce_by_key_impl_wrapped_configILNS1_25lookback_scan_determinismE1ES3_S9_NS6_6detail15normal_iteratorINS6_10device_ptrIfEEEESG_SG_SG_PmS8_NS6_8equal_toIfEEEE10hipError_tPvRmT2_T3_mT4_T5_T6_T7_T8_P12ihipStream_tbENKUlT_T0_E_clISt17integral_constantIbLb0EES10_IbLb1EEEEDaSW_SX_EUlSW_E_NS1_11comp_targetILNS1_3genE8ELNS1_11target_archE1030ELNS1_3gpuE2ELNS1_3repE0EEENS1_30default_config_static_selectorELNS0_4arch9wavefront6targetE0EEEvT1_,comdat
	.protected	_ZN7rocprim17ROCPRIM_400000_NS6detail17trampoline_kernelINS0_14default_configENS1_29reduce_by_key_config_selectorIffN6thrust23THRUST_200600_302600_NS4plusIfEEEEZZNS1_33reduce_by_key_impl_wrapped_configILNS1_25lookback_scan_determinismE1ES3_S9_NS6_6detail15normal_iteratorINS6_10device_ptrIfEEEESG_SG_SG_PmS8_NS6_8equal_toIfEEEE10hipError_tPvRmT2_T3_mT4_T5_T6_T7_T8_P12ihipStream_tbENKUlT_T0_E_clISt17integral_constantIbLb0EES10_IbLb1EEEEDaSW_SX_EUlSW_E_NS1_11comp_targetILNS1_3genE8ELNS1_11target_archE1030ELNS1_3gpuE2ELNS1_3repE0EEENS1_30default_config_static_selectorELNS0_4arch9wavefront6targetE0EEEvT1_ ; -- Begin function _ZN7rocprim17ROCPRIM_400000_NS6detail17trampoline_kernelINS0_14default_configENS1_29reduce_by_key_config_selectorIffN6thrust23THRUST_200600_302600_NS4plusIfEEEEZZNS1_33reduce_by_key_impl_wrapped_configILNS1_25lookback_scan_determinismE1ES3_S9_NS6_6detail15normal_iteratorINS6_10device_ptrIfEEEESG_SG_SG_PmS8_NS6_8equal_toIfEEEE10hipError_tPvRmT2_T3_mT4_T5_T6_T7_T8_P12ihipStream_tbENKUlT_T0_E_clISt17integral_constantIbLb0EES10_IbLb1EEEEDaSW_SX_EUlSW_E_NS1_11comp_targetILNS1_3genE8ELNS1_11target_archE1030ELNS1_3gpuE2ELNS1_3repE0EEENS1_30default_config_static_selectorELNS0_4arch9wavefront6targetE0EEEvT1_
	.globl	_ZN7rocprim17ROCPRIM_400000_NS6detail17trampoline_kernelINS0_14default_configENS1_29reduce_by_key_config_selectorIffN6thrust23THRUST_200600_302600_NS4plusIfEEEEZZNS1_33reduce_by_key_impl_wrapped_configILNS1_25lookback_scan_determinismE1ES3_S9_NS6_6detail15normal_iteratorINS6_10device_ptrIfEEEESG_SG_SG_PmS8_NS6_8equal_toIfEEEE10hipError_tPvRmT2_T3_mT4_T5_T6_T7_T8_P12ihipStream_tbENKUlT_T0_E_clISt17integral_constantIbLb0EES10_IbLb1EEEEDaSW_SX_EUlSW_E_NS1_11comp_targetILNS1_3genE8ELNS1_11target_archE1030ELNS1_3gpuE2ELNS1_3repE0EEENS1_30default_config_static_selectorELNS0_4arch9wavefront6targetE0EEEvT1_
	.p2align	8
	.type	_ZN7rocprim17ROCPRIM_400000_NS6detail17trampoline_kernelINS0_14default_configENS1_29reduce_by_key_config_selectorIffN6thrust23THRUST_200600_302600_NS4plusIfEEEEZZNS1_33reduce_by_key_impl_wrapped_configILNS1_25lookback_scan_determinismE1ES3_S9_NS6_6detail15normal_iteratorINS6_10device_ptrIfEEEESG_SG_SG_PmS8_NS6_8equal_toIfEEEE10hipError_tPvRmT2_T3_mT4_T5_T6_T7_T8_P12ihipStream_tbENKUlT_T0_E_clISt17integral_constantIbLb0EES10_IbLb1EEEEDaSW_SX_EUlSW_E_NS1_11comp_targetILNS1_3genE8ELNS1_11target_archE1030ELNS1_3gpuE2ELNS1_3repE0EEENS1_30default_config_static_selectorELNS0_4arch9wavefront6targetE0EEEvT1_,@function
_ZN7rocprim17ROCPRIM_400000_NS6detail17trampoline_kernelINS0_14default_configENS1_29reduce_by_key_config_selectorIffN6thrust23THRUST_200600_302600_NS4plusIfEEEEZZNS1_33reduce_by_key_impl_wrapped_configILNS1_25lookback_scan_determinismE1ES3_S9_NS6_6detail15normal_iteratorINS6_10device_ptrIfEEEESG_SG_SG_PmS8_NS6_8equal_toIfEEEE10hipError_tPvRmT2_T3_mT4_T5_T6_T7_T8_P12ihipStream_tbENKUlT_T0_E_clISt17integral_constantIbLb0EES10_IbLb1EEEEDaSW_SX_EUlSW_E_NS1_11comp_targetILNS1_3genE8ELNS1_11target_archE1030ELNS1_3gpuE2ELNS1_3repE0EEENS1_30default_config_static_selectorELNS0_4arch9wavefront6targetE0EEEvT1_: ; @_ZN7rocprim17ROCPRIM_400000_NS6detail17trampoline_kernelINS0_14default_configENS1_29reduce_by_key_config_selectorIffN6thrust23THRUST_200600_302600_NS4plusIfEEEEZZNS1_33reduce_by_key_impl_wrapped_configILNS1_25lookback_scan_determinismE1ES3_S9_NS6_6detail15normal_iteratorINS6_10device_ptrIfEEEESG_SG_SG_PmS8_NS6_8equal_toIfEEEE10hipError_tPvRmT2_T3_mT4_T5_T6_T7_T8_P12ihipStream_tbENKUlT_T0_E_clISt17integral_constantIbLb0EES10_IbLb1EEEEDaSW_SX_EUlSW_E_NS1_11comp_targetILNS1_3genE8ELNS1_11target_archE1030ELNS1_3gpuE2ELNS1_3repE0EEENS1_30default_config_static_selectorELNS0_4arch9wavefront6targetE0EEEvT1_
; %bb.0:
	.section	.rodata,"a",@progbits
	.p2align	6, 0x0
	.amdhsa_kernel _ZN7rocprim17ROCPRIM_400000_NS6detail17trampoline_kernelINS0_14default_configENS1_29reduce_by_key_config_selectorIffN6thrust23THRUST_200600_302600_NS4plusIfEEEEZZNS1_33reduce_by_key_impl_wrapped_configILNS1_25lookback_scan_determinismE1ES3_S9_NS6_6detail15normal_iteratorINS6_10device_ptrIfEEEESG_SG_SG_PmS8_NS6_8equal_toIfEEEE10hipError_tPvRmT2_T3_mT4_T5_T6_T7_T8_P12ihipStream_tbENKUlT_T0_E_clISt17integral_constantIbLb0EES10_IbLb1EEEEDaSW_SX_EUlSW_E_NS1_11comp_targetILNS1_3genE8ELNS1_11target_archE1030ELNS1_3gpuE2ELNS1_3repE0EEENS1_30default_config_static_selectorELNS0_4arch9wavefront6targetE0EEEvT1_
		.amdhsa_group_segment_fixed_size 0
		.amdhsa_private_segment_fixed_size 0
		.amdhsa_kernarg_size 120
		.amdhsa_user_sgpr_count 15
		.amdhsa_user_sgpr_dispatch_ptr 0
		.amdhsa_user_sgpr_queue_ptr 0
		.amdhsa_user_sgpr_kernarg_segment_ptr 1
		.amdhsa_user_sgpr_dispatch_id 0
		.amdhsa_user_sgpr_private_segment_size 0
		.amdhsa_wavefront_size32 1
		.amdhsa_uses_dynamic_stack 0
		.amdhsa_enable_private_segment 0
		.amdhsa_system_sgpr_workgroup_id_x 1
		.amdhsa_system_sgpr_workgroup_id_y 0
		.amdhsa_system_sgpr_workgroup_id_z 0
		.amdhsa_system_sgpr_workgroup_info 0
		.amdhsa_system_vgpr_workitem_id 0
		.amdhsa_next_free_vgpr 1
		.amdhsa_next_free_sgpr 1
		.amdhsa_reserve_vcc 0
		.amdhsa_float_round_mode_32 0
		.amdhsa_float_round_mode_16_64 0
		.amdhsa_float_denorm_mode_32 3
		.amdhsa_float_denorm_mode_16_64 3
		.amdhsa_dx10_clamp 1
		.amdhsa_ieee_mode 1
		.amdhsa_fp16_overflow 0
		.amdhsa_workgroup_processor_mode 1
		.amdhsa_memory_ordered 1
		.amdhsa_forward_progress 0
		.amdhsa_shared_vgpr_count 0
		.amdhsa_exception_fp_ieee_invalid_op 0
		.amdhsa_exception_fp_denorm_src 0
		.amdhsa_exception_fp_ieee_div_zero 0
		.amdhsa_exception_fp_ieee_overflow 0
		.amdhsa_exception_fp_ieee_underflow 0
		.amdhsa_exception_fp_ieee_inexact 0
		.amdhsa_exception_int_div_zero 0
	.end_amdhsa_kernel
	.section	.text._ZN7rocprim17ROCPRIM_400000_NS6detail17trampoline_kernelINS0_14default_configENS1_29reduce_by_key_config_selectorIffN6thrust23THRUST_200600_302600_NS4plusIfEEEEZZNS1_33reduce_by_key_impl_wrapped_configILNS1_25lookback_scan_determinismE1ES3_S9_NS6_6detail15normal_iteratorINS6_10device_ptrIfEEEESG_SG_SG_PmS8_NS6_8equal_toIfEEEE10hipError_tPvRmT2_T3_mT4_T5_T6_T7_T8_P12ihipStream_tbENKUlT_T0_E_clISt17integral_constantIbLb0EES10_IbLb1EEEEDaSW_SX_EUlSW_E_NS1_11comp_targetILNS1_3genE8ELNS1_11target_archE1030ELNS1_3gpuE2ELNS1_3repE0EEENS1_30default_config_static_selectorELNS0_4arch9wavefront6targetE0EEEvT1_,"axG",@progbits,_ZN7rocprim17ROCPRIM_400000_NS6detail17trampoline_kernelINS0_14default_configENS1_29reduce_by_key_config_selectorIffN6thrust23THRUST_200600_302600_NS4plusIfEEEEZZNS1_33reduce_by_key_impl_wrapped_configILNS1_25lookback_scan_determinismE1ES3_S9_NS6_6detail15normal_iteratorINS6_10device_ptrIfEEEESG_SG_SG_PmS8_NS6_8equal_toIfEEEE10hipError_tPvRmT2_T3_mT4_T5_T6_T7_T8_P12ihipStream_tbENKUlT_T0_E_clISt17integral_constantIbLb0EES10_IbLb1EEEEDaSW_SX_EUlSW_E_NS1_11comp_targetILNS1_3genE8ELNS1_11target_archE1030ELNS1_3gpuE2ELNS1_3repE0EEENS1_30default_config_static_selectorELNS0_4arch9wavefront6targetE0EEEvT1_,comdat
.Lfunc_end127:
	.size	_ZN7rocprim17ROCPRIM_400000_NS6detail17trampoline_kernelINS0_14default_configENS1_29reduce_by_key_config_selectorIffN6thrust23THRUST_200600_302600_NS4plusIfEEEEZZNS1_33reduce_by_key_impl_wrapped_configILNS1_25lookback_scan_determinismE1ES3_S9_NS6_6detail15normal_iteratorINS6_10device_ptrIfEEEESG_SG_SG_PmS8_NS6_8equal_toIfEEEE10hipError_tPvRmT2_T3_mT4_T5_T6_T7_T8_P12ihipStream_tbENKUlT_T0_E_clISt17integral_constantIbLb0EES10_IbLb1EEEEDaSW_SX_EUlSW_E_NS1_11comp_targetILNS1_3genE8ELNS1_11target_archE1030ELNS1_3gpuE2ELNS1_3repE0EEENS1_30default_config_static_selectorELNS0_4arch9wavefront6targetE0EEEvT1_, .Lfunc_end127-_ZN7rocprim17ROCPRIM_400000_NS6detail17trampoline_kernelINS0_14default_configENS1_29reduce_by_key_config_selectorIffN6thrust23THRUST_200600_302600_NS4plusIfEEEEZZNS1_33reduce_by_key_impl_wrapped_configILNS1_25lookback_scan_determinismE1ES3_S9_NS6_6detail15normal_iteratorINS6_10device_ptrIfEEEESG_SG_SG_PmS8_NS6_8equal_toIfEEEE10hipError_tPvRmT2_T3_mT4_T5_T6_T7_T8_P12ihipStream_tbENKUlT_T0_E_clISt17integral_constantIbLb0EES10_IbLb1EEEEDaSW_SX_EUlSW_E_NS1_11comp_targetILNS1_3genE8ELNS1_11target_archE1030ELNS1_3gpuE2ELNS1_3repE0EEENS1_30default_config_static_selectorELNS0_4arch9wavefront6targetE0EEEvT1_
                                        ; -- End function
	.section	.AMDGPU.csdata,"",@progbits
; Kernel info:
; codeLenInByte = 0
; NumSgprs: 0
; NumVgprs: 0
; ScratchSize: 0
; MemoryBound: 0
; FloatMode: 240
; IeeeMode: 1
; LDSByteSize: 0 bytes/workgroup (compile time only)
; SGPRBlocks: 0
; VGPRBlocks: 0
; NumSGPRsForWavesPerEU: 1
; NumVGPRsForWavesPerEU: 1
; Occupancy: 16
; WaveLimiterHint : 0
; COMPUTE_PGM_RSRC2:SCRATCH_EN: 0
; COMPUTE_PGM_RSRC2:USER_SGPR: 15
; COMPUTE_PGM_RSRC2:TRAP_HANDLER: 0
; COMPUTE_PGM_RSRC2:TGID_X_EN: 1
; COMPUTE_PGM_RSRC2:TGID_Y_EN: 0
; COMPUTE_PGM_RSRC2:TGID_Z_EN: 0
; COMPUTE_PGM_RSRC2:TIDIG_COMP_CNT: 0
	.section	.text._ZN7rocprim17ROCPRIM_400000_NS6detail17trampoline_kernelINS0_14default_configENS1_29reduce_by_key_config_selectorIffN6thrust23THRUST_200600_302600_NS4plusIfEEEEZZNS1_33reduce_by_key_impl_wrapped_configILNS1_25lookback_scan_determinismE1ES3_S9_NS6_6detail15normal_iteratorINS6_10device_ptrIfEEEESG_SG_SG_PmS8_22is_equal_div_10_reduceIfEEE10hipError_tPvRmT2_T3_mT4_T5_T6_T7_T8_P12ihipStream_tbENKUlT_T0_E_clISt17integral_constantIbLb0EES11_EEDaSW_SX_EUlSW_E_NS1_11comp_targetILNS1_3genE0ELNS1_11target_archE4294967295ELNS1_3gpuE0ELNS1_3repE0EEENS1_30default_config_static_selectorELNS0_4arch9wavefront6targetE0EEEvT1_,"axG",@progbits,_ZN7rocprim17ROCPRIM_400000_NS6detail17trampoline_kernelINS0_14default_configENS1_29reduce_by_key_config_selectorIffN6thrust23THRUST_200600_302600_NS4plusIfEEEEZZNS1_33reduce_by_key_impl_wrapped_configILNS1_25lookback_scan_determinismE1ES3_S9_NS6_6detail15normal_iteratorINS6_10device_ptrIfEEEESG_SG_SG_PmS8_22is_equal_div_10_reduceIfEEE10hipError_tPvRmT2_T3_mT4_T5_T6_T7_T8_P12ihipStream_tbENKUlT_T0_E_clISt17integral_constantIbLb0EES11_EEDaSW_SX_EUlSW_E_NS1_11comp_targetILNS1_3genE0ELNS1_11target_archE4294967295ELNS1_3gpuE0ELNS1_3repE0EEENS1_30default_config_static_selectorELNS0_4arch9wavefront6targetE0EEEvT1_,comdat
	.protected	_ZN7rocprim17ROCPRIM_400000_NS6detail17trampoline_kernelINS0_14default_configENS1_29reduce_by_key_config_selectorIffN6thrust23THRUST_200600_302600_NS4plusIfEEEEZZNS1_33reduce_by_key_impl_wrapped_configILNS1_25lookback_scan_determinismE1ES3_S9_NS6_6detail15normal_iteratorINS6_10device_ptrIfEEEESG_SG_SG_PmS8_22is_equal_div_10_reduceIfEEE10hipError_tPvRmT2_T3_mT4_T5_T6_T7_T8_P12ihipStream_tbENKUlT_T0_E_clISt17integral_constantIbLb0EES11_EEDaSW_SX_EUlSW_E_NS1_11comp_targetILNS1_3genE0ELNS1_11target_archE4294967295ELNS1_3gpuE0ELNS1_3repE0EEENS1_30default_config_static_selectorELNS0_4arch9wavefront6targetE0EEEvT1_ ; -- Begin function _ZN7rocprim17ROCPRIM_400000_NS6detail17trampoline_kernelINS0_14default_configENS1_29reduce_by_key_config_selectorIffN6thrust23THRUST_200600_302600_NS4plusIfEEEEZZNS1_33reduce_by_key_impl_wrapped_configILNS1_25lookback_scan_determinismE1ES3_S9_NS6_6detail15normal_iteratorINS6_10device_ptrIfEEEESG_SG_SG_PmS8_22is_equal_div_10_reduceIfEEE10hipError_tPvRmT2_T3_mT4_T5_T6_T7_T8_P12ihipStream_tbENKUlT_T0_E_clISt17integral_constantIbLb0EES11_EEDaSW_SX_EUlSW_E_NS1_11comp_targetILNS1_3genE0ELNS1_11target_archE4294967295ELNS1_3gpuE0ELNS1_3repE0EEENS1_30default_config_static_selectorELNS0_4arch9wavefront6targetE0EEEvT1_
	.globl	_ZN7rocprim17ROCPRIM_400000_NS6detail17trampoline_kernelINS0_14default_configENS1_29reduce_by_key_config_selectorIffN6thrust23THRUST_200600_302600_NS4plusIfEEEEZZNS1_33reduce_by_key_impl_wrapped_configILNS1_25lookback_scan_determinismE1ES3_S9_NS6_6detail15normal_iteratorINS6_10device_ptrIfEEEESG_SG_SG_PmS8_22is_equal_div_10_reduceIfEEE10hipError_tPvRmT2_T3_mT4_T5_T6_T7_T8_P12ihipStream_tbENKUlT_T0_E_clISt17integral_constantIbLb0EES11_EEDaSW_SX_EUlSW_E_NS1_11comp_targetILNS1_3genE0ELNS1_11target_archE4294967295ELNS1_3gpuE0ELNS1_3repE0EEENS1_30default_config_static_selectorELNS0_4arch9wavefront6targetE0EEEvT1_
	.p2align	8
	.type	_ZN7rocprim17ROCPRIM_400000_NS6detail17trampoline_kernelINS0_14default_configENS1_29reduce_by_key_config_selectorIffN6thrust23THRUST_200600_302600_NS4plusIfEEEEZZNS1_33reduce_by_key_impl_wrapped_configILNS1_25lookback_scan_determinismE1ES3_S9_NS6_6detail15normal_iteratorINS6_10device_ptrIfEEEESG_SG_SG_PmS8_22is_equal_div_10_reduceIfEEE10hipError_tPvRmT2_T3_mT4_T5_T6_T7_T8_P12ihipStream_tbENKUlT_T0_E_clISt17integral_constantIbLb0EES11_EEDaSW_SX_EUlSW_E_NS1_11comp_targetILNS1_3genE0ELNS1_11target_archE4294967295ELNS1_3gpuE0ELNS1_3repE0EEENS1_30default_config_static_selectorELNS0_4arch9wavefront6targetE0EEEvT1_,@function
_ZN7rocprim17ROCPRIM_400000_NS6detail17trampoline_kernelINS0_14default_configENS1_29reduce_by_key_config_selectorIffN6thrust23THRUST_200600_302600_NS4plusIfEEEEZZNS1_33reduce_by_key_impl_wrapped_configILNS1_25lookback_scan_determinismE1ES3_S9_NS6_6detail15normal_iteratorINS6_10device_ptrIfEEEESG_SG_SG_PmS8_22is_equal_div_10_reduceIfEEE10hipError_tPvRmT2_T3_mT4_T5_T6_T7_T8_P12ihipStream_tbENKUlT_T0_E_clISt17integral_constantIbLb0EES11_EEDaSW_SX_EUlSW_E_NS1_11comp_targetILNS1_3genE0ELNS1_11target_archE4294967295ELNS1_3gpuE0ELNS1_3repE0EEENS1_30default_config_static_selectorELNS0_4arch9wavefront6targetE0EEEvT1_: ; @_ZN7rocprim17ROCPRIM_400000_NS6detail17trampoline_kernelINS0_14default_configENS1_29reduce_by_key_config_selectorIffN6thrust23THRUST_200600_302600_NS4plusIfEEEEZZNS1_33reduce_by_key_impl_wrapped_configILNS1_25lookback_scan_determinismE1ES3_S9_NS6_6detail15normal_iteratorINS6_10device_ptrIfEEEESG_SG_SG_PmS8_22is_equal_div_10_reduceIfEEE10hipError_tPvRmT2_T3_mT4_T5_T6_T7_T8_P12ihipStream_tbENKUlT_T0_E_clISt17integral_constantIbLb0EES11_EEDaSW_SX_EUlSW_E_NS1_11comp_targetILNS1_3genE0ELNS1_11target_archE4294967295ELNS1_3gpuE0ELNS1_3repE0EEENS1_30default_config_static_selectorELNS0_4arch9wavefront6targetE0EEEvT1_
; %bb.0:
	.section	.rodata,"a",@progbits
	.p2align	6, 0x0
	.amdhsa_kernel _ZN7rocprim17ROCPRIM_400000_NS6detail17trampoline_kernelINS0_14default_configENS1_29reduce_by_key_config_selectorIffN6thrust23THRUST_200600_302600_NS4plusIfEEEEZZNS1_33reduce_by_key_impl_wrapped_configILNS1_25lookback_scan_determinismE1ES3_S9_NS6_6detail15normal_iteratorINS6_10device_ptrIfEEEESG_SG_SG_PmS8_22is_equal_div_10_reduceIfEEE10hipError_tPvRmT2_T3_mT4_T5_T6_T7_T8_P12ihipStream_tbENKUlT_T0_E_clISt17integral_constantIbLb0EES11_EEDaSW_SX_EUlSW_E_NS1_11comp_targetILNS1_3genE0ELNS1_11target_archE4294967295ELNS1_3gpuE0ELNS1_3repE0EEENS1_30default_config_static_selectorELNS0_4arch9wavefront6targetE0EEEvT1_
		.amdhsa_group_segment_fixed_size 0
		.amdhsa_private_segment_fixed_size 0
		.amdhsa_kernarg_size 120
		.amdhsa_user_sgpr_count 15
		.amdhsa_user_sgpr_dispatch_ptr 0
		.amdhsa_user_sgpr_queue_ptr 0
		.amdhsa_user_sgpr_kernarg_segment_ptr 1
		.amdhsa_user_sgpr_dispatch_id 0
		.amdhsa_user_sgpr_private_segment_size 0
		.amdhsa_wavefront_size32 1
		.amdhsa_uses_dynamic_stack 0
		.amdhsa_enable_private_segment 0
		.amdhsa_system_sgpr_workgroup_id_x 1
		.amdhsa_system_sgpr_workgroup_id_y 0
		.amdhsa_system_sgpr_workgroup_id_z 0
		.amdhsa_system_sgpr_workgroup_info 0
		.amdhsa_system_vgpr_workitem_id 0
		.amdhsa_next_free_vgpr 1
		.amdhsa_next_free_sgpr 1
		.amdhsa_reserve_vcc 0
		.amdhsa_float_round_mode_32 0
		.amdhsa_float_round_mode_16_64 0
		.amdhsa_float_denorm_mode_32 3
		.amdhsa_float_denorm_mode_16_64 3
		.amdhsa_dx10_clamp 1
		.amdhsa_ieee_mode 1
		.amdhsa_fp16_overflow 0
		.amdhsa_workgroup_processor_mode 1
		.amdhsa_memory_ordered 1
		.amdhsa_forward_progress 0
		.amdhsa_shared_vgpr_count 0
		.amdhsa_exception_fp_ieee_invalid_op 0
		.amdhsa_exception_fp_denorm_src 0
		.amdhsa_exception_fp_ieee_div_zero 0
		.amdhsa_exception_fp_ieee_overflow 0
		.amdhsa_exception_fp_ieee_underflow 0
		.amdhsa_exception_fp_ieee_inexact 0
		.amdhsa_exception_int_div_zero 0
	.end_amdhsa_kernel
	.section	.text._ZN7rocprim17ROCPRIM_400000_NS6detail17trampoline_kernelINS0_14default_configENS1_29reduce_by_key_config_selectorIffN6thrust23THRUST_200600_302600_NS4plusIfEEEEZZNS1_33reduce_by_key_impl_wrapped_configILNS1_25lookback_scan_determinismE1ES3_S9_NS6_6detail15normal_iteratorINS6_10device_ptrIfEEEESG_SG_SG_PmS8_22is_equal_div_10_reduceIfEEE10hipError_tPvRmT2_T3_mT4_T5_T6_T7_T8_P12ihipStream_tbENKUlT_T0_E_clISt17integral_constantIbLb0EES11_EEDaSW_SX_EUlSW_E_NS1_11comp_targetILNS1_3genE0ELNS1_11target_archE4294967295ELNS1_3gpuE0ELNS1_3repE0EEENS1_30default_config_static_selectorELNS0_4arch9wavefront6targetE0EEEvT1_,"axG",@progbits,_ZN7rocprim17ROCPRIM_400000_NS6detail17trampoline_kernelINS0_14default_configENS1_29reduce_by_key_config_selectorIffN6thrust23THRUST_200600_302600_NS4plusIfEEEEZZNS1_33reduce_by_key_impl_wrapped_configILNS1_25lookback_scan_determinismE1ES3_S9_NS6_6detail15normal_iteratorINS6_10device_ptrIfEEEESG_SG_SG_PmS8_22is_equal_div_10_reduceIfEEE10hipError_tPvRmT2_T3_mT4_T5_T6_T7_T8_P12ihipStream_tbENKUlT_T0_E_clISt17integral_constantIbLb0EES11_EEDaSW_SX_EUlSW_E_NS1_11comp_targetILNS1_3genE0ELNS1_11target_archE4294967295ELNS1_3gpuE0ELNS1_3repE0EEENS1_30default_config_static_selectorELNS0_4arch9wavefront6targetE0EEEvT1_,comdat
.Lfunc_end128:
	.size	_ZN7rocprim17ROCPRIM_400000_NS6detail17trampoline_kernelINS0_14default_configENS1_29reduce_by_key_config_selectorIffN6thrust23THRUST_200600_302600_NS4plusIfEEEEZZNS1_33reduce_by_key_impl_wrapped_configILNS1_25lookback_scan_determinismE1ES3_S9_NS6_6detail15normal_iteratorINS6_10device_ptrIfEEEESG_SG_SG_PmS8_22is_equal_div_10_reduceIfEEE10hipError_tPvRmT2_T3_mT4_T5_T6_T7_T8_P12ihipStream_tbENKUlT_T0_E_clISt17integral_constantIbLb0EES11_EEDaSW_SX_EUlSW_E_NS1_11comp_targetILNS1_3genE0ELNS1_11target_archE4294967295ELNS1_3gpuE0ELNS1_3repE0EEENS1_30default_config_static_selectorELNS0_4arch9wavefront6targetE0EEEvT1_, .Lfunc_end128-_ZN7rocprim17ROCPRIM_400000_NS6detail17trampoline_kernelINS0_14default_configENS1_29reduce_by_key_config_selectorIffN6thrust23THRUST_200600_302600_NS4plusIfEEEEZZNS1_33reduce_by_key_impl_wrapped_configILNS1_25lookback_scan_determinismE1ES3_S9_NS6_6detail15normal_iteratorINS6_10device_ptrIfEEEESG_SG_SG_PmS8_22is_equal_div_10_reduceIfEEE10hipError_tPvRmT2_T3_mT4_T5_T6_T7_T8_P12ihipStream_tbENKUlT_T0_E_clISt17integral_constantIbLb0EES11_EEDaSW_SX_EUlSW_E_NS1_11comp_targetILNS1_3genE0ELNS1_11target_archE4294967295ELNS1_3gpuE0ELNS1_3repE0EEENS1_30default_config_static_selectorELNS0_4arch9wavefront6targetE0EEEvT1_
                                        ; -- End function
	.section	.AMDGPU.csdata,"",@progbits
; Kernel info:
; codeLenInByte = 0
; NumSgprs: 0
; NumVgprs: 0
; ScratchSize: 0
; MemoryBound: 0
; FloatMode: 240
; IeeeMode: 1
; LDSByteSize: 0 bytes/workgroup (compile time only)
; SGPRBlocks: 0
; VGPRBlocks: 0
; NumSGPRsForWavesPerEU: 1
; NumVGPRsForWavesPerEU: 1
; Occupancy: 16
; WaveLimiterHint : 0
; COMPUTE_PGM_RSRC2:SCRATCH_EN: 0
; COMPUTE_PGM_RSRC2:USER_SGPR: 15
; COMPUTE_PGM_RSRC2:TRAP_HANDLER: 0
; COMPUTE_PGM_RSRC2:TGID_X_EN: 1
; COMPUTE_PGM_RSRC2:TGID_Y_EN: 0
; COMPUTE_PGM_RSRC2:TGID_Z_EN: 0
; COMPUTE_PGM_RSRC2:TIDIG_COMP_CNT: 0
	.section	.text._ZN7rocprim17ROCPRIM_400000_NS6detail17trampoline_kernelINS0_14default_configENS1_29reduce_by_key_config_selectorIffN6thrust23THRUST_200600_302600_NS4plusIfEEEEZZNS1_33reduce_by_key_impl_wrapped_configILNS1_25lookback_scan_determinismE1ES3_S9_NS6_6detail15normal_iteratorINS6_10device_ptrIfEEEESG_SG_SG_PmS8_22is_equal_div_10_reduceIfEEE10hipError_tPvRmT2_T3_mT4_T5_T6_T7_T8_P12ihipStream_tbENKUlT_T0_E_clISt17integral_constantIbLb0EES11_EEDaSW_SX_EUlSW_E_NS1_11comp_targetILNS1_3genE5ELNS1_11target_archE942ELNS1_3gpuE9ELNS1_3repE0EEENS1_30default_config_static_selectorELNS0_4arch9wavefront6targetE0EEEvT1_,"axG",@progbits,_ZN7rocprim17ROCPRIM_400000_NS6detail17trampoline_kernelINS0_14default_configENS1_29reduce_by_key_config_selectorIffN6thrust23THRUST_200600_302600_NS4plusIfEEEEZZNS1_33reduce_by_key_impl_wrapped_configILNS1_25lookback_scan_determinismE1ES3_S9_NS6_6detail15normal_iteratorINS6_10device_ptrIfEEEESG_SG_SG_PmS8_22is_equal_div_10_reduceIfEEE10hipError_tPvRmT2_T3_mT4_T5_T6_T7_T8_P12ihipStream_tbENKUlT_T0_E_clISt17integral_constantIbLb0EES11_EEDaSW_SX_EUlSW_E_NS1_11comp_targetILNS1_3genE5ELNS1_11target_archE942ELNS1_3gpuE9ELNS1_3repE0EEENS1_30default_config_static_selectorELNS0_4arch9wavefront6targetE0EEEvT1_,comdat
	.protected	_ZN7rocprim17ROCPRIM_400000_NS6detail17trampoline_kernelINS0_14default_configENS1_29reduce_by_key_config_selectorIffN6thrust23THRUST_200600_302600_NS4plusIfEEEEZZNS1_33reduce_by_key_impl_wrapped_configILNS1_25lookback_scan_determinismE1ES3_S9_NS6_6detail15normal_iteratorINS6_10device_ptrIfEEEESG_SG_SG_PmS8_22is_equal_div_10_reduceIfEEE10hipError_tPvRmT2_T3_mT4_T5_T6_T7_T8_P12ihipStream_tbENKUlT_T0_E_clISt17integral_constantIbLb0EES11_EEDaSW_SX_EUlSW_E_NS1_11comp_targetILNS1_3genE5ELNS1_11target_archE942ELNS1_3gpuE9ELNS1_3repE0EEENS1_30default_config_static_selectorELNS0_4arch9wavefront6targetE0EEEvT1_ ; -- Begin function _ZN7rocprim17ROCPRIM_400000_NS6detail17trampoline_kernelINS0_14default_configENS1_29reduce_by_key_config_selectorIffN6thrust23THRUST_200600_302600_NS4plusIfEEEEZZNS1_33reduce_by_key_impl_wrapped_configILNS1_25lookback_scan_determinismE1ES3_S9_NS6_6detail15normal_iteratorINS6_10device_ptrIfEEEESG_SG_SG_PmS8_22is_equal_div_10_reduceIfEEE10hipError_tPvRmT2_T3_mT4_T5_T6_T7_T8_P12ihipStream_tbENKUlT_T0_E_clISt17integral_constantIbLb0EES11_EEDaSW_SX_EUlSW_E_NS1_11comp_targetILNS1_3genE5ELNS1_11target_archE942ELNS1_3gpuE9ELNS1_3repE0EEENS1_30default_config_static_selectorELNS0_4arch9wavefront6targetE0EEEvT1_
	.globl	_ZN7rocprim17ROCPRIM_400000_NS6detail17trampoline_kernelINS0_14default_configENS1_29reduce_by_key_config_selectorIffN6thrust23THRUST_200600_302600_NS4plusIfEEEEZZNS1_33reduce_by_key_impl_wrapped_configILNS1_25lookback_scan_determinismE1ES3_S9_NS6_6detail15normal_iteratorINS6_10device_ptrIfEEEESG_SG_SG_PmS8_22is_equal_div_10_reduceIfEEE10hipError_tPvRmT2_T3_mT4_T5_T6_T7_T8_P12ihipStream_tbENKUlT_T0_E_clISt17integral_constantIbLb0EES11_EEDaSW_SX_EUlSW_E_NS1_11comp_targetILNS1_3genE5ELNS1_11target_archE942ELNS1_3gpuE9ELNS1_3repE0EEENS1_30default_config_static_selectorELNS0_4arch9wavefront6targetE0EEEvT1_
	.p2align	8
	.type	_ZN7rocprim17ROCPRIM_400000_NS6detail17trampoline_kernelINS0_14default_configENS1_29reduce_by_key_config_selectorIffN6thrust23THRUST_200600_302600_NS4plusIfEEEEZZNS1_33reduce_by_key_impl_wrapped_configILNS1_25lookback_scan_determinismE1ES3_S9_NS6_6detail15normal_iteratorINS6_10device_ptrIfEEEESG_SG_SG_PmS8_22is_equal_div_10_reduceIfEEE10hipError_tPvRmT2_T3_mT4_T5_T6_T7_T8_P12ihipStream_tbENKUlT_T0_E_clISt17integral_constantIbLb0EES11_EEDaSW_SX_EUlSW_E_NS1_11comp_targetILNS1_3genE5ELNS1_11target_archE942ELNS1_3gpuE9ELNS1_3repE0EEENS1_30default_config_static_selectorELNS0_4arch9wavefront6targetE0EEEvT1_,@function
_ZN7rocprim17ROCPRIM_400000_NS6detail17trampoline_kernelINS0_14default_configENS1_29reduce_by_key_config_selectorIffN6thrust23THRUST_200600_302600_NS4plusIfEEEEZZNS1_33reduce_by_key_impl_wrapped_configILNS1_25lookback_scan_determinismE1ES3_S9_NS6_6detail15normal_iteratorINS6_10device_ptrIfEEEESG_SG_SG_PmS8_22is_equal_div_10_reduceIfEEE10hipError_tPvRmT2_T3_mT4_T5_T6_T7_T8_P12ihipStream_tbENKUlT_T0_E_clISt17integral_constantIbLb0EES11_EEDaSW_SX_EUlSW_E_NS1_11comp_targetILNS1_3genE5ELNS1_11target_archE942ELNS1_3gpuE9ELNS1_3repE0EEENS1_30default_config_static_selectorELNS0_4arch9wavefront6targetE0EEEvT1_: ; @_ZN7rocprim17ROCPRIM_400000_NS6detail17trampoline_kernelINS0_14default_configENS1_29reduce_by_key_config_selectorIffN6thrust23THRUST_200600_302600_NS4plusIfEEEEZZNS1_33reduce_by_key_impl_wrapped_configILNS1_25lookback_scan_determinismE1ES3_S9_NS6_6detail15normal_iteratorINS6_10device_ptrIfEEEESG_SG_SG_PmS8_22is_equal_div_10_reduceIfEEE10hipError_tPvRmT2_T3_mT4_T5_T6_T7_T8_P12ihipStream_tbENKUlT_T0_E_clISt17integral_constantIbLb0EES11_EEDaSW_SX_EUlSW_E_NS1_11comp_targetILNS1_3genE5ELNS1_11target_archE942ELNS1_3gpuE9ELNS1_3repE0EEENS1_30default_config_static_selectorELNS0_4arch9wavefront6targetE0EEEvT1_
; %bb.0:
	.section	.rodata,"a",@progbits
	.p2align	6, 0x0
	.amdhsa_kernel _ZN7rocprim17ROCPRIM_400000_NS6detail17trampoline_kernelINS0_14default_configENS1_29reduce_by_key_config_selectorIffN6thrust23THRUST_200600_302600_NS4plusIfEEEEZZNS1_33reduce_by_key_impl_wrapped_configILNS1_25lookback_scan_determinismE1ES3_S9_NS6_6detail15normal_iteratorINS6_10device_ptrIfEEEESG_SG_SG_PmS8_22is_equal_div_10_reduceIfEEE10hipError_tPvRmT2_T3_mT4_T5_T6_T7_T8_P12ihipStream_tbENKUlT_T0_E_clISt17integral_constantIbLb0EES11_EEDaSW_SX_EUlSW_E_NS1_11comp_targetILNS1_3genE5ELNS1_11target_archE942ELNS1_3gpuE9ELNS1_3repE0EEENS1_30default_config_static_selectorELNS0_4arch9wavefront6targetE0EEEvT1_
		.amdhsa_group_segment_fixed_size 0
		.amdhsa_private_segment_fixed_size 0
		.amdhsa_kernarg_size 120
		.amdhsa_user_sgpr_count 15
		.amdhsa_user_sgpr_dispatch_ptr 0
		.amdhsa_user_sgpr_queue_ptr 0
		.amdhsa_user_sgpr_kernarg_segment_ptr 1
		.amdhsa_user_sgpr_dispatch_id 0
		.amdhsa_user_sgpr_private_segment_size 0
		.amdhsa_wavefront_size32 1
		.amdhsa_uses_dynamic_stack 0
		.amdhsa_enable_private_segment 0
		.amdhsa_system_sgpr_workgroup_id_x 1
		.amdhsa_system_sgpr_workgroup_id_y 0
		.amdhsa_system_sgpr_workgroup_id_z 0
		.amdhsa_system_sgpr_workgroup_info 0
		.amdhsa_system_vgpr_workitem_id 0
		.amdhsa_next_free_vgpr 1
		.amdhsa_next_free_sgpr 1
		.amdhsa_reserve_vcc 0
		.amdhsa_float_round_mode_32 0
		.amdhsa_float_round_mode_16_64 0
		.amdhsa_float_denorm_mode_32 3
		.amdhsa_float_denorm_mode_16_64 3
		.amdhsa_dx10_clamp 1
		.amdhsa_ieee_mode 1
		.amdhsa_fp16_overflow 0
		.amdhsa_workgroup_processor_mode 1
		.amdhsa_memory_ordered 1
		.amdhsa_forward_progress 0
		.amdhsa_shared_vgpr_count 0
		.amdhsa_exception_fp_ieee_invalid_op 0
		.amdhsa_exception_fp_denorm_src 0
		.amdhsa_exception_fp_ieee_div_zero 0
		.amdhsa_exception_fp_ieee_overflow 0
		.amdhsa_exception_fp_ieee_underflow 0
		.amdhsa_exception_fp_ieee_inexact 0
		.amdhsa_exception_int_div_zero 0
	.end_amdhsa_kernel
	.section	.text._ZN7rocprim17ROCPRIM_400000_NS6detail17trampoline_kernelINS0_14default_configENS1_29reduce_by_key_config_selectorIffN6thrust23THRUST_200600_302600_NS4plusIfEEEEZZNS1_33reduce_by_key_impl_wrapped_configILNS1_25lookback_scan_determinismE1ES3_S9_NS6_6detail15normal_iteratorINS6_10device_ptrIfEEEESG_SG_SG_PmS8_22is_equal_div_10_reduceIfEEE10hipError_tPvRmT2_T3_mT4_T5_T6_T7_T8_P12ihipStream_tbENKUlT_T0_E_clISt17integral_constantIbLb0EES11_EEDaSW_SX_EUlSW_E_NS1_11comp_targetILNS1_3genE5ELNS1_11target_archE942ELNS1_3gpuE9ELNS1_3repE0EEENS1_30default_config_static_selectorELNS0_4arch9wavefront6targetE0EEEvT1_,"axG",@progbits,_ZN7rocprim17ROCPRIM_400000_NS6detail17trampoline_kernelINS0_14default_configENS1_29reduce_by_key_config_selectorIffN6thrust23THRUST_200600_302600_NS4plusIfEEEEZZNS1_33reduce_by_key_impl_wrapped_configILNS1_25lookback_scan_determinismE1ES3_S9_NS6_6detail15normal_iteratorINS6_10device_ptrIfEEEESG_SG_SG_PmS8_22is_equal_div_10_reduceIfEEE10hipError_tPvRmT2_T3_mT4_T5_T6_T7_T8_P12ihipStream_tbENKUlT_T0_E_clISt17integral_constantIbLb0EES11_EEDaSW_SX_EUlSW_E_NS1_11comp_targetILNS1_3genE5ELNS1_11target_archE942ELNS1_3gpuE9ELNS1_3repE0EEENS1_30default_config_static_selectorELNS0_4arch9wavefront6targetE0EEEvT1_,comdat
.Lfunc_end129:
	.size	_ZN7rocprim17ROCPRIM_400000_NS6detail17trampoline_kernelINS0_14default_configENS1_29reduce_by_key_config_selectorIffN6thrust23THRUST_200600_302600_NS4plusIfEEEEZZNS1_33reduce_by_key_impl_wrapped_configILNS1_25lookback_scan_determinismE1ES3_S9_NS6_6detail15normal_iteratorINS6_10device_ptrIfEEEESG_SG_SG_PmS8_22is_equal_div_10_reduceIfEEE10hipError_tPvRmT2_T3_mT4_T5_T6_T7_T8_P12ihipStream_tbENKUlT_T0_E_clISt17integral_constantIbLb0EES11_EEDaSW_SX_EUlSW_E_NS1_11comp_targetILNS1_3genE5ELNS1_11target_archE942ELNS1_3gpuE9ELNS1_3repE0EEENS1_30default_config_static_selectorELNS0_4arch9wavefront6targetE0EEEvT1_, .Lfunc_end129-_ZN7rocprim17ROCPRIM_400000_NS6detail17trampoline_kernelINS0_14default_configENS1_29reduce_by_key_config_selectorIffN6thrust23THRUST_200600_302600_NS4plusIfEEEEZZNS1_33reduce_by_key_impl_wrapped_configILNS1_25lookback_scan_determinismE1ES3_S9_NS6_6detail15normal_iteratorINS6_10device_ptrIfEEEESG_SG_SG_PmS8_22is_equal_div_10_reduceIfEEE10hipError_tPvRmT2_T3_mT4_T5_T6_T7_T8_P12ihipStream_tbENKUlT_T0_E_clISt17integral_constantIbLb0EES11_EEDaSW_SX_EUlSW_E_NS1_11comp_targetILNS1_3genE5ELNS1_11target_archE942ELNS1_3gpuE9ELNS1_3repE0EEENS1_30default_config_static_selectorELNS0_4arch9wavefront6targetE0EEEvT1_
                                        ; -- End function
	.section	.AMDGPU.csdata,"",@progbits
; Kernel info:
; codeLenInByte = 0
; NumSgprs: 0
; NumVgprs: 0
; ScratchSize: 0
; MemoryBound: 0
; FloatMode: 240
; IeeeMode: 1
; LDSByteSize: 0 bytes/workgroup (compile time only)
; SGPRBlocks: 0
; VGPRBlocks: 0
; NumSGPRsForWavesPerEU: 1
; NumVGPRsForWavesPerEU: 1
; Occupancy: 16
; WaveLimiterHint : 0
; COMPUTE_PGM_RSRC2:SCRATCH_EN: 0
; COMPUTE_PGM_RSRC2:USER_SGPR: 15
; COMPUTE_PGM_RSRC2:TRAP_HANDLER: 0
; COMPUTE_PGM_RSRC2:TGID_X_EN: 1
; COMPUTE_PGM_RSRC2:TGID_Y_EN: 0
; COMPUTE_PGM_RSRC2:TGID_Z_EN: 0
; COMPUTE_PGM_RSRC2:TIDIG_COMP_CNT: 0
	.section	.text._ZN7rocprim17ROCPRIM_400000_NS6detail17trampoline_kernelINS0_14default_configENS1_29reduce_by_key_config_selectorIffN6thrust23THRUST_200600_302600_NS4plusIfEEEEZZNS1_33reduce_by_key_impl_wrapped_configILNS1_25lookback_scan_determinismE1ES3_S9_NS6_6detail15normal_iteratorINS6_10device_ptrIfEEEESG_SG_SG_PmS8_22is_equal_div_10_reduceIfEEE10hipError_tPvRmT2_T3_mT4_T5_T6_T7_T8_P12ihipStream_tbENKUlT_T0_E_clISt17integral_constantIbLb0EES11_EEDaSW_SX_EUlSW_E_NS1_11comp_targetILNS1_3genE4ELNS1_11target_archE910ELNS1_3gpuE8ELNS1_3repE0EEENS1_30default_config_static_selectorELNS0_4arch9wavefront6targetE0EEEvT1_,"axG",@progbits,_ZN7rocprim17ROCPRIM_400000_NS6detail17trampoline_kernelINS0_14default_configENS1_29reduce_by_key_config_selectorIffN6thrust23THRUST_200600_302600_NS4plusIfEEEEZZNS1_33reduce_by_key_impl_wrapped_configILNS1_25lookback_scan_determinismE1ES3_S9_NS6_6detail15normal_iteratorINS6_10device_ptrIfEEEESG_SG_SG_PmS8_22is_equal_div_10_reduceIfEEE10hipError_tPvRmT2_T3_mT4_T5_T6_T7_T8_P12ihipStream_tbENKUlT_T0_E_clISt17integral_constantIbLb0EES11_EEDaSW_SX_EUlSW_E_NS1_11comp_targetILNS1_3genE4ELNS1_11target_archE910ELNS1_3gpuE8ELNS1_3repE0EEENS1_30default_config_static_selectorELNS0_4arch9wavefront6targetE0EEEvT1_,comdat
	.protected	_ZN7rocprim17ROCPRIM_400000_NS6detail17trampoline_kernelINS0_14default_configENS1_29reduce_by_key_config_selectorIffN6thrust23THRUST_200600_302600_NS4plusIfEEEEZZNS1_33reduce_by_key_impl_wrapped_configILNS1_25lookback_scan_determinismE1ES3_S9_NS6_6detail15normal_iteratorINS6_10device_ptrIfEEEESG_SG_SG_PmS8_22is_equal_div_10_reduceIfEEE10hipError_tPvRmT2_T3_mT4_T5_T6_T7_T8_P12ihipStream_tbENKUlT_T0_E_clISt17integral_constantIbLb0EES11_EEDaSW_SX_EUlSW_E_NS1_11comp_targetILNS1_3genE4ELNS1_11target_archE910ELNS1_3gpuE8ELNS1_3repE0EEENS1_30default_config_static_selectorELNS0_4arch9wavefront6targetE0EEEvT1_ ; -- Begin function _ZN7rocprim17ROCPRIM_400000_NS6detail17trampoline_kernelINS0_14default_configENS1_29reduce_by_key_config_selectorIffN6thrust23THRUST_200600_302600_NS4plusIfEEEEZZNS1_33reduce_by_key_impl_wrapped_configILNS1_25lookback_scan_determinismE1ES3_S9_NS6_6detail15normal_iteratorINS6_10device_ptrIfEEEESG_SG_SG_PmS8_22is_equal_div_10_reduceIfEEE10hipError_tPvRmT2_T3_mT4_T5_T6_T7_T8_P12ihipStream_tbENKUlT_T0_E_clISt17integral_constantIbLb0EES11_EEDaSW_SX_EUlSW_E_NS1_11comp_targetILNS1_3genE4ELNS1_11target_archE910ELNS1_3gpuE8ELNS1_3repE0EEENS1_30default_config_static_selectorELNS0_4arch9wavefront6targetE0EEEvT1_
	.globl	_ZN7rocprim17ROCPRIM_400000_NS6detail17trampoline_kernelINS0_14default_configENS1_29reduce_by_key_config_selectorIffN6thrust23THRUST_200600_302600_NS4plusIfEEEEZZNS1_33reduce_by_key_impl_wrapped_configILNS1_25lookback_scan_determinismE1ES3_S9_NS6_6detail15normal_iteratorINS6_10device_ptrIfEEEESG_SG_SG_PmS8_22is_equal_div_10_reduceIfEEE10hipError_tPvRmT2_T3_mT4_T5_T6_T7_T8_P12ihipStream_tbENKUlT_T0_E_clISt17integral_constantIbLb0EES11_EEDaSW_SX_EUlSW_E_NS1_11comp_targetILNS1_3genE4ELNS1_11target_archE910ELNS1_3gpuE8ELNS1_3repE0EEENS1_30default_config_static_selectorELNS0_4arch9wavefront6targetE0EEEvT1_
	.p2align	8
	.type	_ZN7rocprim17ROCPRIM_400000_NS6detail17trampoline_kernelINS0_14default_configENS1_29reduce_by_key_config_selectorIffN6thrust23THRUST_200600_302600_NS4plusIfEEEEZZNS1_33reduce_by_key_impl_wrapped_configILNS1_25lookback_scan_determinismE1ES3_S9_NS6_6detail15normal_iteratorINS6_10device_ptrIfEEEESG_SG_SG_PmS8_22is_equal_div_10_reduceIfEEE10hipError_tPvRmT2_T3_mT4_T5_T6_T7_T8_P12ihipStream_tbENKUlT_T0_E_clISt17integral_constantIbLb0EES11_EEDaSW_SX_EUlSW_E_NS1_11comp_targetILNS1_3genE4ELNS1_11target_archE910ELNS1_3gpuE8ELNS1_3repE0EEENS1_30default_config_static_selectorELNS0_4arch9wavefront6targetE0EEEvT1_,@function
_ZN7rocprim17ROCPRIM_400000_NS6detail17trampoline_kernelINS0_14default_configENS1_29reduce_by_key_config_selectorIffN6thrust23THRUST_200600_302600_NS4plusIfEEEEZZNS1_33reduce_by_key_impl_wrapped_configILNS1_25lookback_scan_determinismE1ES3_S9_NS6_6detail15normal_iteratorINS6_10device_ptrIfEEEESG_SG_SG_PmS8_22is_equal_div_10_reduceIfEEE10hipError_tPvRmT2_T3_mT4_T5_T6_T7_T8_P12ihipStream_tbENKUlT_T0_E_clISt17integral_constantIbLb0EES11_EEDaSW_SX_EUlSW_E_NS1_11comp_targetILNS1_3genE4ELNS1_11target_archE910ELNS1_3gpuE8ELNS1_3repE0EEENS1_30default_config_static_selectorELNS0_4arch9wavefront6targetE0EEEvT1_: ; @_ZN7rocprim17ROCPRIM_400000_NS6detail17trampoline_kernelINS0_14default_configENS1_29reduce_by_key_config_selectorIffN6thrust23THRUST_200600_302600_NS4plusIfEEEEZZNS1_33reduce_by_key_impl_wrapped_configILNS1_25lookback_scan_determinismE1ES3_S9_NS6_6detail15normal_iteratorINS6_10device_ptrIfEEEESG_SG_SG_PmS8_22is_equal_div_10_reduceIfEEE10hipError_tPvRmT2_T3_mT4_T5_T6_T7_T8_P12ihipStream_tbENKUlT_T0_E_clISt17integral_constantIbLb0EES11_EEDaSW_SX_EUlSW_E_NS1_11comp_targetILNS1_3genE4ELNS1_11target_archE910ELNS1_3gpuE8ELNS1_3repE0EEENS1_30default_config_static_selectorELNS0_4arch9wavefront6targetE0EEEvT1_
; %bb.0:
	.section	.rodata,"a",@progbits
	.p2align	6, 0x0
	.amdhsa_kernel _ZN7rocprim17ROCPRIM_400000_NS6detail17trampoline_kernelINS0_14default_configENS1_29reduce_by_key_config_selectorIffN6thrust23THRUST_200600_302600_NS4plusIfEEEEZZNS1_33reduce_by_key_impl_wrapped_configILNS1_25lookback_scan_determinismE1ES3_S9_NS6_6detail15normal_iteratorINS6_10device_ptrIfEEEESG_SG_SG_PmS8_22is_equal_div_10_reduceIfEEE10hipError_tPvRmT2_T3_mT4_T5_T6_T7_T8_P12ihipStream_tbENKUlT_T0_E_clISt17integral_constantIbLb0EES11_EEDaSW_SX_EUlSW_E_NS1_11comp_targetILNS1_3genE4ELNS1_11target_archE910ELNS1_3gpuE8ELNS1_3repE0EEENS1_30default_config_static_selectorELNS0_4arch9wavefront6targetE0EEEvT1_
		.amdhsa_group_segment_fixed_size 0
		.amdhsa_private_segment_fixed_size 0
		.amdhsa_kernarg_size 120
		.amdhsa_user_sgpr_count 15
		.amdhsa_user_sgpr_dispatch_ptr 0
		.amdhsa_user_sgpr_queue_ptr 0
		.amdhsa_user_sgpr_kernarg_segment_ptr 1
		.amdhsa_user_sgpr_dispatch_id 0
		.amdhsa_user_sgpr_private_segment_size 0
		.amdhsa_wavefront_size32 1
		.amdhsa_uses_dynamic_stack 0
		.amdhsa_enable_private_segment 0
		.amdhsa_system_sgpr_workgroup_id_x 1
		.amdhsa_system_sgpr_workgroup_id_y 0
		.amdhsa_system_sgpr_workgroup_id_z 0
		.amdhsa_system_sgpr_workgroup_info 0
		.amdhsa_system_vgpr_workitem_id 0
		.amdhsa_next_free_vgpr 1
		.amdhsa_next_free_sgpr 1
		.amdhsa_reserve_vcc 0
		.amdhsa_float_round_mode_32 0
		.amdhsa_float_round_mode_16_64 0
		.amdhsa_float_denorm_mode_32 3
		.amdhsa_float_denorm_mode_16_64 3
		.amdhsa_dx10_clamp 1
		.amdhsa_ieee_mode 1
		.amdhsa_fp16_overflow 0
		.amdhsa_workgroup_processor_mode 1
		.amdhsa_memory_ordered 1
		.amdhsa_forward_progress 0
		.amdhsa_shared_vgpr_count 0
		.amdhsa_exception_fp_ieee_invalid_op 0
		.amdhsa_exception_fp_denorm_src 0
		.amdhsa_exception_fp_ieee_div_zero 0
		.amdhsa_exception_fp_ieee_overflow 0
		.amdhsa_exception_fp_ieee_underflow 0
		.amdhsa_exception_fp_ieee_inexact 0
		.amdhsa_exception_int_div_zero 0
	.end_amdhsa_kernel
	.section	.text._ZN7rocprim17ROCPRIM_400000_NS6detail17trampoline_kernelINS0_14default_configENS1_29reduce_by_key_config_selectorIffN6thrust23THRUST_200600_302600_NS4plusIfEEEEZZNS1_33reduce_by_key_impl_wrapped_configILNS1_25lookback_scan_determinismE1ES3_S9_NS6_6detail15normal_iteratorINS6_10device_ptrIfEEEESG_SG_SG_PmS8_22is_equal_div_10_reduceIfEEE10hipError_tPvRmT2_T3_mT4_T5_T6_T7_T8_P12ihipStream_tbENKUlT_T0_E_clISt17integral_constantIbLb0EES11_EEDaSW_SX_EUlSW_E_NS1_11comp_targetILNS1_3genE4ELNS1_11target_archE910ELNS1_3gpuE8ELNS1_3repE0EEENS1_30default_config_static_selectorELNS0_4arch9wavefront6targetE0EEEvT1_,"axG",@progbits,_ZN7rocprim17ROCPRIM_400000_NS6detail17trampoline_kernelINS0_14default_configENS1_29reduce_by_key_config_selectorIffN6thrust23THRUST_200600_302600_NS4plusIfEEEEZZNS1_33reduce_by_key_impl_wrapped_configILNS1_25lookback_scan_determinismE1ES3_S9_NS6_6detail15normal_iteratorINS6_10device_ptrIfEEEESG_SG_SG_PmS8_22is_equal_div_10_reduceIfEEE10hipError_tPvRmT2_T3_mT4_T5_T6_T7_T8_P12ihipStream_tbENKUlT_T0_E_clISt17integral_constantIbLb0EES11_EEDaSW_SX_EUlSW_E_NS1_11comp_targetILNS1_3genE4ELNS1_11target_archE910ELNS1_3gpuE8ELNS1_3repE0EEENS1_30default_config_static_selectorELNS0_4arch9wavefront6targetE0EEEvT1_,comdat
.Lfunc_end130:
	.size	_ZN7rocprim17ROCPRIM_400000_NS6detail17trampoline_kernelINS0_14default_configENS1_29reduce_by_key_config_selectorIffN6thrust23THRUST_200600_302600_NS4plusIfEEEEZZNS1_33reduce_by_key_impl_wrapped_configILNS1_25lookback_scan_determinismE1ES3_S9_NS6_6detail15normal_iteratorINS6_10device_ptrIfEEEESG_SG_SG_PmS8_22is_equal_div_10_reduceIfEEE10hipError_tPvRmT2_T3_mT4_T5_T6_T7_T8_P12ihipStream_tbENKUlT_T0_E_clISt17integral_constantIbLb0EES11_EEDaSW_SX_EUlSW_E_NS1_11comp_targetILNS1_3genE4ELNS1_11target_archE910ELNS1_3gpuE8ELNS1_3repE0EEENS1_30default_config_static_selectorELNS0_4arch9wavefront6targetE0EEEvT1_, .Lfunc_end130-_ZN7rocprim17ROCPRIM_400000_NS6detail17trampoline_kernelINS0_14default_configENS1_29reduce_by_key_config_selectorIffN6thrust23THRUST_200600_302600_NS4plusIfEEEEZZNS1_33reduce_by_key_impl_wrapped_configILNS1_25lookback_scan_determinismE1ES3_S9_NS6_6detail15normal_iteratorINS6_10device_ptrIfEEEESG_SG_SG_PmS8_22is_equal_div_10_reduceIfEEE10hipError_tPvRmT2_T3_mT4_T5_T6_T7_T8_P12ihipStream_tbENKUlT_T0_E_clISt17integral_constantIbLb0EES11_EEDaSW_SX_EUlSW_E_NS1_11comp_targetILNS1_3genE4ELNS1_11target_archE910ELNS1_3gpuE8ELNS1_3repE0EEENS1_30default_config_static_selectorELNS0_4arch9wavefront6targetE0EEEvT1_
                                        ; -- End function
	.section	.AMDGPU.csdata,"",@progbits
; Kernel info:
; codeLenInByte = 0
; NumSgprs: 0
; NumVgprs: 0
; ScratchSize: 0
; MemoryBound: 0
; FloatMode: 240
; IeeeMode: 1
; LDSByteSize: 0 bytes/workgroup (compile time only)
; SGPRBlocks: 0
; VGPRBlocks: 0
; NumSGPRsForWavesPerEU: 1
; NumVGPRsForWavesPerEU: 1
; Occupancy: 16
; WaveLimiterHint : 0
; COMPUTE_PGM_RSRC2:SCRATCH_EN: 0
; COMPUTE_PGM_RSRC2:USER_SGPR: 15
; COMPUTE_PGM_RSRC2:TRAP_HANDLER: 0
; COMPUTE_PGM_RSRC2:TGID_X_EN: 1
; COMPUTE_PGM_RSRC2:TGID_Y_EN: 0
; COMPUTE_PGM_RSRC2:TGID_Z_EN: 0
; COMPUTE_PGM_RSRC2:TIDIG_COMP_CNT: 0
	.section	.text._ZN7rocprim17ROCPRIM_400000_NS6detail17trampoline_kernelINS0_14default_configENS1_29reduce_by_key_config_selectorIffN6thrust23THRUST_200600_302600_NS4plusIfEEEEZZNS1_33reduce_by_key_impl_wrapped_configILNS1_25lookback_scan_determinismE1ES3_S9_NS6_6detail15normal_iteratorINS6_10device_ptrIfEEEESG_SG_SG_PmS8_22is_equal_div_10_reduceIfEEE10hipError_tPvRmT2_T3_mT4_T5_T6_T7_T8_P12ihipStream_tbENKUlT_T0_E_clISt17integral_constantIbLb0EES11_EEDaSW_SX_EUlSW_E_NS1_11comp_targetILNS1_3genE3ELNS1_11target_archE908ELNS1_3gpuE7ELNS1_3repE0EEENS1_30default_config_static_selectorELNS0_4arch9wavefront6targetE0EEEvT1_,"axG",@progbits,_ZN7rocprim17ROCPRIM_400000_NS6detail17trampoline_kernelINS0_14default_configENS1_29reduce_by_key_config_selectorIffN6thrust23THRUST_200600_302600_NS4plusIfEEEEZZNS1_33reduce_by_key_impl_wrapped_configILNS1_25lookback_scan_determinismE1ES3_S9_NS6_6detail15normal_iteratorINS6_10device_ptrIfEEEESG_SG_SG_PmS8_22is_equal_div_10_reduceIfEEE10hipError_tPvRmT2_T3_mT4_T5_T6_T7_T8_P12ihipStream_tbENKUlT_T0_E_clISt17integral_constantIbLb0EES11_EEDaSW_SX_EUlSW_E_NS1_11comp_targetILNS1_3genE3ELNS1_11target_archE908ELNS1_3gpuE7ELNS1_3repE0EEENS1_30default_config_static_selectorELNS0_4arch9wavefront6targetE0EEEvT1_,comdat
	.protected	_ZN7rocprim17ROCPRIM_400000_NS6detail17trampoline_kernelINS0_14default_configENS1_29reduce_by_key_config_selectorIffN6thrust23THRUST_200600_302600_NS4plusIfEEEEZZNS1_33reduce_by_key_impl_wrapped_configILNS1_25lookback_scan_determinismE1ES3_S9_NS6_6detail15normal_iteratorINS6_10device_ptrIfEEEESG_SG_SG_PmS8_22is_equal_div_10_reduceIfEEE10hipError_tPvRmT2_T3_mT4_T5_T6_T7_T8_P12ihipStream_tbENKUlT_T0_E_clISt17integral_constantIbLb0EES11_EEDaSW_SX_EUlSW_E_NS1_11comp_targetILNS1_3genE3ELNS1_11target_archE908ELNS1_3gpuE7ELNS1_3repE0EEENS1_30default_config_static_selectorELNS0_4arch9wavefront6targetE0EEEvT1_ ; -- Begin function _ZN7rocprim17ROCPRIM_400000_NS6detail17trampoline_kernelINS0_14default_configENS1_29reduce_by_key_config_selectorIffN6thrust23THRUST_200600_302600_NS4plusIfEEEEZZNS1_33reduce_by_key_impl_wrapped_configILNS1_25lookback_scan_determinismE1ES3_S9_NS6_6detail15normal_iteratorINS6_10device_ptrIfEEEESG_SG_SG_PmS8_22is_equal_div_10_reduceIfEEE10hipError_tPvRmT2_T3_mT4_T5_T6_T7_T8_P12ihipStream_tbENKUlT_T0_E_clISt17integral_constantIbLb0EES11_EEDaSW_SX_EUlSW_E_NS1_11comp_targetILNS1_3genE3ELNS1_11target_archE908ELNS1_3gpuE7ELNS1_3repE0EEENS1_30default_config_static_selectorELNS0_4arch9wavefront6targetE0EEEvT1_
	.globl	_ZN7rocprim17ROCPRIM_400000_NS6detail17trampoline_kernelINS0_14default_configENS1_29reduce_by_key_config_selectorIffN6thrust23THRUST_200600_302600_NS4plusIfEEEEZZNS1_33reduce_by_key_impl_wrapped_configILNS1_25lookback_scan_determinismE1ES3_S9_NS6_6detail15normal_iteratorINS6_10device_ptrIfEEEESG_SG_SG_PmS8_22is_equal_div_10_reduceIfEEE10hipError_tPvRmT2_T3_mT4_T5_T6_T7_T8_P12ihipStream_tbENKUlT_T0_E_clISt17integral_constantIbLb0EES11_EEDaSW_SX_EUlSW_E_NS1_11comp_targetILNS1_3genE3ELNS1_11target_archE908ELNS1_3gpuE7ELNS1_3repE0EEENS1_30default_config_static_selectorELNS0_4arch9wavefront6targetE0EEEvT1_
	.p2align	8
	.type	_ZN7rocprim17ROCPRIM_400000_NS6detail17trampoline_kernelINS0_14default_configENS1_29reduce_by_key_config_selectorIffN6thrust23THRUST_200600_302600_NS4plusIfEEEEZZNS1_33reduce_by_key_impl_wrapped_configILNS1_25lookback_scan_determinismE1ES3_S9_NS6_6detail15normal_iteratorINS6_10device_ptrIfEEEESG_SG_SG_PmS8_22is_equal_div_10_reduceIfEEE10hipError_tPvRmT2_T3_mT4_T5_T6_T7_T8_P12ihipStream_tbENKUlT_T0_E_clISt17integral_constantIbLb0EES11_EEDaSW_SX_EUlSW_E_NS1_11comp_targetILNS1_3genE3ELNS1_11target_archE908ELNS1_3gpuE7ELNS1_3repE0EEENS1_30default_config_static_selectorELNS0_4arch9wavefront6targetE0EEEvT1_,@function
_ZN7rocprim17ROCPRIM_400000_NS6detail17trampoline_kernelINS0_14default_configENS1_29reduce_by_key_config_selectorIffN6thrust23THRUST_200600_302600_NS4plusIfEEEEZZNS1_33reduce_by_key_impl_wrapped_configILNS1_25lookback_scan_determinismE1ES3_S9_NS6_6detail15normal_iteratorINS6_10device_ptrIfEEEESG_SG_SG_PmS8_22is_equal_div_10_reduceIfEEE10hipError_tPvRmT2_T3_mT4_T5_T6_T7_T8_P12ihipStream_tbENKUlT_T0_E_clISt17integral_constantIbLb0EES11_EEDaSW_SX_EUlSW_E_NS1_11comp_targetILNS1_3genE3ELNS1_11target_archE908ELNS1_3gpuE7ELNS1_3repE0EEENS1_30default_config_static_selectorELNS0_4arch9wavefront6targetE0EEEvT1_: ; @_ZN7rocprim17ROCPRIM_400000_NS6detail17trampoline_kernelINS0_14default_configENS1_29reduce_by_key_config_selectorIffN6thrust23THRUST_200600_302600_NS4plusIfEEEEZZNS1_33reduce_by_key_impl_wrapped_configILNS1_25lookback_scan_determinismE1ES3_S9_NS6_6detail15normal_iteratorINS6_10device_ptrIfEEEESG_SG_SG_PmS8_22is_equal_div_10_reduceIfEEE10hipError_tPvRmT2_T3_mT4_T5_T6_T7_T8_P12ihipStream_tbENKUlT_T0_E_clISt17integral_constantIbLb0EES11_EEDaSW_SX_EUlSW_E_NS1_11comp_targetILNS1_3genE3ELNS1_11target_archE908ELNS1_3gpuE7ELNS1_3repE0EEENS1_30default_config_static_selectorELNS0_4arch9wavefront6targetE0EEEvT1_
; %bb.0:
	.section	.rodata,"a",@progbits
	.p2align	6, 0x0
	.amdhsa_kernel _ZN7rocprim17ROCPRIM_400000_NS6detail17trampoline_kernelINS0_14default_configENS1_29reduce_by_key_config_selectorIffN6thrust23THRUST_200600_302600_NS4plusIfEEEEZZNS1_33reduce_by_key_impl_wrapped_configILNS1_25lookback_scan_determinismE1ES3_S9_NS6_6detail15normal_iteratorINS6_10device_ptrIfEEEESG_SG_SG_PmS8_22is_equal_div_10_reduceIfEEE10hipError_tPvRmT2_T3_mT4_T5_T6_T7_T8_P12ihipStream_tbENKUlT_T0_E_clISt17integral_constantIbLb0EES11_EEDaSW_SX_EUlSW_E_NS1_11comp_targetILNS1_3genE3ELNS1_11target_archE908ELNS1_3gpuE7ELNS1_3repE0EEENS1_30default_config_static_selectorELNS0_4arch9wavefront6targetE0EEEvT1_
		.amdhsa_group_segment_fixed_size 0
		.amdhsa_private_segment_fixed_size 0
		.amdhsa_kernarg_size 120
		.amdhsa_user_sgpr_count 15
		.amdhsa_user_sgpr_dispatch_ptr 0
		.amdhsa_user_sgpr_queue_ptr 0
		.amdhsa_user_sgpr_kernarg_segment_ptr 1
		.amdhsa_user_sgpr_dispatch_id 0
		.amdhsa_user_sgpr_private_segment_size 0
		.amdhsa_wavefront_size32 1
		.amdhsa_uses_dynamic_stack 0
		.amdhsa_enable_private_segment 0
		.amdhsa_system_sgpr_workgroup_id_x 1
		.amdhsa_system_sgpr_workgroup_id_y 0
		.amdhsa_system_sgpr_workgroup_id_z 0
		.amdhsa_system_sgpr_workgroup_info 0
		.amdhsa_system_vgpr_workitem_id 0
		.amdhsa_next_free_vgpr 1
		.amdhsa_next_free_sgpr 1
		.amdhsa_reserve_vcc 0
		.amdhsa_float_round_mode_32 0
		.amdhsa_float_round_mode_16_64 0
		.amdhsa_float_denorm_mode_32 3
		.amdhsa_float_denorm_mode_16_64 3
		.amdhsa_dx10_clamp 1
		.amdhsa_ieee_mode 1
		.amdhsa_fp16_overflow 0
		.amdhsa_workgroup_processor_mode 1
		.amdhsa_memory_ordered 1
		.amdhsa_forward_progress 0
		.amdhsa_shared_vgpr_count 0
		.amdhsa_exception_fp_ieee_invalid_op 0
		.amdhsa_exception_fp_denorm_src 0
		.amdhsa_exception_fp_ieee_div_zero 0
		.amdhsa_exception_fp_ieee_overflow 0
		.amdhsa_exception_fp_ieee_underflow 0
		.amdhsa_exception_fp_ieee_inexact 0
		.amdhsa_exception_int_div_zero 0
	.end_amdhsa_kernel
	.section	.text._ZN7rocprim17ROCPRIM_400000_NS6detail17trampoline_kernelINS0_14default_configENS1_29reduce_by_key_config_selectorIffN6thrust23THRUST_200600_302600_NS4plusIfEEEEZZNS1_33reduce_by_key_impl_wrapped_configILNS1_25lookback_scan_determinismE1ES3_S9_NS6_6detail15normal_iteratorINS6_10device_ptrIfEEEESG_SG_SG_PmS8_22is_equal_div_10_reduceIfEEE10hipError_tPvRmT2_T3_mT4_T5_T6_T7_T8_P12ihipStream_tbENKUlT_T0_E_clISt17integral_constantIbLb0EES11_EEDaSW_SX_EUlSW_E_NS1_11comp_targetILNS1_3genE3ELNS1_11target_archE908ELNS1_3gpuE7ELNS1_3repE0EEENS1_30default_config_static_selectorELNS0_4arch9wavefront6targetE0EEEvT1_,"axG",@progbits,_ZN7rocprim17ROCPRIM_400000_NS6detail17trampoline_kernelINS0_14default_configENS1_29reduce_by_key_config_selectorIffN6thrust23THRUST_200600_302600_NS4plusIfEEEEZZNS1_33reduce_by_key_impl_wrapped_configILNS1_25lookback_scan_determinismE1ES3_S9_NS6_6detail15normal_iteratorINS6_10device_ptrIfEEEESG_SG_SG_PmS8_22is_equal_div_10_reduceIfEEE10hipError_tPvRmT2_T3_mT4_T5_T6_T7_T8_P12ihipStream_tbENKUlT_T0_E_clISt17integral_constantIbLb0EES11_EEDaSW_SX_EUlSW_E_NS1_11comp_targetILNS1_3genE3ELNS1_11target_archE908ELNS1_3gpuE7ELNS1_3repE0EEENS1_30default_config_static_selectorELNS0_4arch9wavefront6targetE0EEEvT1_,comdat
.Lfunc_end131:
	.size	_ZN7rocprim17ROCPRIM_400000_NS6detail17trampoline_kernelINS0_14default_configENS1_29reduce_by_key_config_selectorIffN6thrust23THRUST_200600_302600_NS4plusIfEEEEZZNS1_33reduce_by_key_impl_wrapped_configILNS1_25lookback_scan_determinismE1ES3_S9_NS6_6detail15normal_iteratorINS6_10device_ptrIfEEEESG_SG_SG_PmS8_22is_equal_div_10_reduceIfEEE10hipError_tPvRmT2_T3_mT4_T5_T6_T7_T8_P12ihipStream_tbENKUlT_T0_E_clISt17integral_constantIbLb0EES11_EEDaSW_SX_EUlSW_E_NS1_11comp_targetILNS1_3genE3ELNS1_11target_archE908ELNS1_3gpuE7ELNS1_3repE0EEENS1_30default_config_static_selectorELNS0_4arch9wavefront6targetE0EEEvT1_, .Lfunc_end131-_ZN7rocprim17ROCPRIM_400000_NS6detail17trampoline_kernelINS0_14default_configENS1_29reduce_by_key_config_selectorIffN6thrust23THRUST_200600_302600_NS4plusIfEEEEZZNS1_33reduce_by_key_impl_wrapped_configILNS1_25lookback_scan_determinismE1ES3_S9_NS6_6detail15normal_iteratorINS6_10device_ptrIfEEEESG_SG_SG_PmS8_22is_equal_div_10_reduceIfEEE10hipError_tPvRmT2_T3_mT4_T5_T6_T7_T8_P12ihipStream_tbENKUlT_T0_E_clISt17integral_constantIbLb0EES11_EEDaSW_SX_EUlSW_E_NS1_11comp_targetILNS1_3genE3ELNS1_11target_archE908ELNS1_3gpuE7ELNS1_3repE0EEENS1_30default_config_static_selectorELNS0_4arch9wavefront6targetE0EEEvT1_
                                        ; -- End function
	.section	.AMDGPU.csdata,"",@progbits
; Kernel info:
; codeLenInByte = 0
; NumSgprs: 0
; NumVgprs: 0
; ScratchSize: 0
; MemoryBound: 0
; FloatMode: 240
; IeeeMode: 1
; LDSByteSize: 0 bytes/workgroup (compile time only)
; SGPRBlocks: 0
; VGPRBlocks: 0
; NumSGPRsForWavesPerEU: 1
; NumVGPRsForWavesPerEU: 1
; Occupancy: 16
; WaveLimiterHint : 0
; COMPUTE_PGM_RSRC2:SCRATCH_EN: 0
; COMPUTE_PGM_RSRC2:USER_SGPR: 15
; COMPUTE_PGM_RSRC2:TRAP_HANDLER: 0
; COMPUTE_PGM_RSRC2:TGID_X_EN: 1
; COMPUTE_PGM_RSRC2:TGID_Y_EN: 0
; COMPUTE_PGM_RSRC2:TGID_Z_EN: 0
; COMPUTE_PGM_RSRC2:TIDIG_COMP_CNT: 0
	.section	.text._ZN7rocprim17ROCPRIM_400000_NS6detail17trampoline_kernelINS0_14default_configENS1_29reduce_by_key_config_selectorIffN6thrust23THRUST_200600_302600_NS4plusIfEEEEZZNS1_33reduce_by_key_impl_wrapped_configILNS1_25lookback_scan_determinismE1ES3_S9_NS6_6detail15normal_iteratorINS6_10device_ptrIfEEEESG_SG_SG_PmS8_22is_equal_div_10_reduceIfEEE10hipError_tPvRmT2_T3_mT4_T5_T6_T7_T8_P12ihipStream_tbENKUlT_T0_E_clISt17integral_constantIbLb0EES11_EEDaSW_SX_EUlSW_E_NS1_11comp_targetILNS1_3genE2ELNS1_11target_archE906ELNS1_3gpuE6ELNS1_3repE0EEENS1_30default_config_static_selectorELNS0_4arch9wavefront6targetE0EEEvT1_,"axG",@progbits,_ZN7rocprim17ROCPRIM_400000_NS6detail17trampoline_kernelINS0_14default_configENS1_29reduce_by_key_config_selectorIffN6thrust23THRUST_200600_302600_NS4plusIfEEEEZZNS1_33reduce_by_key_impl_wrapped_configILNS1_25lookback_scan_determinismE1ES3_S9_NS6_6detail15normal_iteratorINS6_10device_ptrIfEEEESG_SG_SG_PmS8_22is_equal_div_10_reduceIfEEE10hipError_tPvRmT2_T3_mT4_T5_T6_T7_T8_P12ihipStream_tbENKUlT_T0_E_clISt17integral_constantIbLb0EES11_EEDaSW_SX_EUlSW_E_NS1_11comp_targetILNS1_3genE2ELNS1_11target_archE906ELNS1_3gpuE6ELNS1_3repE0EEENS1_30default_config_static_selectorELNS0_4arch9wavefront6targetE0EEEvT1_,comdat
	.protected	_ZN7rocprim17ROCPRIM_400000_NS6detail17trampoline_kernelINS0_14default_configENS1_29reduce_by_key_config_selectorIffN6thrust23THRUST_200600_302600_NS4plusIfEEEEZZNS1_33reduce_by_key_impl_wrapped_configILNS1_25lookback_scan_determinismE1ES3_S9_NS6_6detail15normal_iteratorINS6_10device_ptrIfEEEESG_SG_SG_PmS8_22is_equal_div_10_reduceIfEEE10hipError_tPvRmT2_T3_mT4_T5_T6_T7_T8_P12ihipStream_tbENKUlT_T0_E_clISt17integral_constantIbLb0EES11_EEDaSW_SX_EUlSW_E_NS1_11comp_targetILNS1_3genE2ELNS1_11target_archE906ELNS1_3gpuE6ELNS1_3repE0EEENS1_30default_config_static_selectorELNS0_4arch9wavefront6targetE0EEEvT1_ ; -- Begin function _ZN7rocprim17ROCPRIM_400000_NS6detail17trampoline_kernelINS0_14default_configENS1_29reduce_by_key_config_selectorIffN6thrust23THRUST_200600_302600_NS4plusIfEEEEZZNS1_33reduce_by_key_impl_wrapped_configILNS1_25lookback_scan_determinismE1ES3_S9_NS6_6detail15normal_iteratorINS6_10device_ptrIfEEEESG_SG_SG_PmS8_22is_equal_div_10_reduceIfEEE10hipError_tPvRmT2_T3_mT4_T5_T6_T7_T8_P12ihipStream_tbENKUlT_T0_E_clISt17integral_constantIbLb0EES11_EEDaSW_SX_EUlSW_E_NS1_11comp_targetILNS1_3genE2ELNS1_11target_archE906ELNS1_3gpuE6ELNS1_3repE0EEENS1_30default_config_static_selectorELNS0_4arch9wavefront6targetE0EEEvT1_
	.globl	_ZN7rocprim17ROCPRIM_400000_NS6detail17trampoline_kernelINS0_14default_configENS1_29reduce_by_key_config_selectorIffN6thrust23THRUST_200600_302600_NS4plusIfEEEEZZNS1_33reduce_by_key_impl_wrapped_configILNS1_25lookback_scan_determinismE1ES3_S9_NS6_6detail15normal_iteratorINS6_10device_ptrIfEEEESG_SG_SG_PmS8_22is_equal_div_10_reduceIfEEE10hipError_tPvRmT2_T3_mT4_T5_T6_T7_T8_P12ihipStream_tbENKUlT_T0_E_clISt17integral_constantIbLb0EES11_EEDaSW_SX_EUlSW_E_NS1_11comp_targetILNS1_3genE2ELNS1_11target_archE906ELNS1_3gpuE6ELNS1_3repE0EEENS1_30default_config_static_selectorELNS0_4arch9wavefront6targetE0EEEvT1_
	.p2align	8
	.type	_ZN7rocprim17ROCPRIM_400000_NS6detail17trampoline_kernelINS0_14default_configENS1_29reduce_by_key_config_selectorIffN6thrust23THRUST_200600_302600_NS4plusIfEEEEZZNS1_33reduce_by_key_impl_wrapped_configILNS1_25lookback_scan_determinismE1ES3_S9_NS6_6detail15normal_iteratorINS6_10device_ptrIfEEEESG_SG_SG_PmS8_22is_equal_div_10_reduceIfEEE10hipError_tPvRmT2_T3_mT4_T5_T6_T7_T8_P12ihipStream_tbENKUlT_T0_E_clISt17integral_constantIbLb0EES11_EEDaSW_SX_EUlSW_E_NS1_11comp_targetILNS1_3genE2ELNS1_11target_archE906ELNS1_3gpuE6ELNS1_3repE0EEENS1_30default_config_static_selectorELNS0_4arch9wavefront6targetE0EEEvT1_,@function
_ZN7rocprim17ROCPRIM_400000_NS6detail17trampoline_kernelINS0_14default_configENS1_29reduce_by_key_config_selectorIffN6thrust23THRUST_200600_302600_NS4plusIfEEEEZZNS1_33reduce_by_key_impl_wrapped_configILNS1_25lookback_scan_determinismE1ES3_S9_NS6_6detail15normal_iteratorINS6_10device_ptrIfEEEESG_SG_SG_PmS8_22is_equal_div_10_reduceIfEEE10hipError_tPvRmT2_T3_mT4_T5_T6_T7_T8_P12ihipStream_tbENKUlT_T0_E_clISt17integral_constantIbLb0EES11_EEDaSW_SX_EUlSW_E_NS1_11comp_targetILNS1_3genE2ELNS1_11target_archE906ELNS1_3gpuE6ELNS1_3repE0EEENS1_30default_config_static_selectorELNS0_4arch9wavefront6targetE0EEEvT1_: ; @_ZN7rocprim17ROCPRIM_400000_NS6detail17trampoline_kernelINS0_14default_configENS1_29reduce_by_key_config_selectorIffN6thrust23THRUST_200600_302600_NS4plusIfEEEEZZNS1_33reduce_by_key_impl_wrapped_configILNS1_25lookback_scan_determinismE1ES3_S9_NS6_6detail15normal_iteratorINS6_10device_ptrIfEEEESG_SG_SG_PmS8_22is_equal_div_10_reduceIfEEE10hipError_tPvRmT2_T3_mT4_T5_T6_T7_T8_P12ihipStream_tbENKUlT_T0_E_clISt17integral_constantIbLb0EES11_EEDaSW_SX_EUlSW_E_NS1_11comp_targetILNS1_3genE2ELNS1_11target_archE906ELNS1_3gpuE6ELNS1_3repE0EEENS1_30default_config_static_selectorELNS0_4arch9wavefront6targetE0EEEvT1_
; %bb.0:
	.section	.rodata,"a",@progbits
	.p2align	6, 0x0
	.amdhsa_kernel _ZN7rocprim17ROCPRIM_400000_NS6detail17trampoline_kernelINS0_14default_configENS1_29reduce_by_key_config_selectorIffN6thrust23THRUST_200600_302600_NS4plusIfEEEEZZNS1_33reduce_by_key_impl_wrapped_configILNS1_25lookback_scan_determinismE1ES3_S9_NS6_6detail15normal_iteratorINS6_10device_ptrIfEEEESG_SG_SG_PmS8_22is_equal_div_10_reduceIfEEE10hipError_tPvRmT2_T3_mT4_T5_T6_T7_T8_P12ihipStream_tbENKUlT_T0_E_clISt17integral_constantIbLb0EES11_EEDaSW_SX_EUlSW_E_NS1_11comp_targetILNS1_3genE2ELNS1_11target_archE906ELNS1_3gpuE6ELNS1_3repE0EEENS1_30default_config_static_selectorELNS0_4arch9wavefront6targetE0EEEvT1_
		.amdhsa_group_segment_fixed_size 0
		.amdhsa_private_segment_fixed_size 0
		.amdhsa_kernarg_size 120
		.amdhsa_user_sgpr_count 15
		.amdhsa_user_sgpr_dispatch_ptr 0
		.amdhsa_user_sgpr_queue_ptr 0
		.amdhsa_user_sgpr_kernarg_segment_ptr 1
		.amdhsa_user_sgpr_dispatch_id 0
		.amdhsa_user_sgpr_private_segment_size 0
		.amdhsa_wavefront_size32 1
		.amdhsa_uses_dynamic_stack 0
		.amdhsa_enable_private_segment 0
		.amdhsa_system_sgpr_workgroup_id_x 1
		.amdhsa_system_sgpr_workgroup_id_y 0
		.amdhsa_system_sgpr_workgroup_id_z 0
		.amdhsa_system_sgpr_workgroup_info 0
		.amdhsa_system_vgpr_workitem_id 0
		.amdhsa_next_free_vgpr 1
		.amdhsa_next_free_sgpr 1
		.amdhsa_reserve_vcc 0
		.amdhsa_float_round_mode_32 0
		.amdhsa_float_round_mode_16_64 0
		.amdhsa_float_denorm_mode_32 3
		.amdhsa_float_denorm_mode_16_64 3
		.amdhsa_dx10_clamp 1
		.amdhsa_ieee_mode 1
		.amdhsa_fp16_overflow 0
		.amdhsa_workgroup_processor_mode 1
		.amdhsa_memory_ordered 1
		.amdhsa_forward_progress 0
		.amdhsa_shared_vgpr_count 0
		.amdhsa_exception_fp_ieee_invalid_op 0
		.amdhsa_exception_fp_denorm_src 0
		.amdhsa_exception_fp_ieee_div_zero 0
		.amdhsa_exception_fp_ieee_overflow 0
		.amdhsa_exception_fp_ieee_underflow 0
		.amdhsa_exception_fp_ieee_inexact 0
		.amdhsa_exception_int_div_zero 0
	.end_amdhsa_kernel
	.section	.text._ZN7rocprim17ROCPRIM_400000_NS6detail17trampoline_kernelINS0_14default_configENS1_29reduce_by_key_config_selectorIffN6thrust23THRUST_200600_302600_NS4plusIfEEEEZZNS1_33reduce_by_key_impl_wrapped_configILNS1_25lookback_scan_determinismE1ES3_S9_NS6_6detail15normal_iteratorINS6_10device_ptrIfEEEESG_SG_SG_PmS8_22is_equal_div_10_reduceIfEEE10hipError_tPvRmT2_T3_mT4_T5_T6_T7_T8_P12ihipStream_tbENKUlT_T0_E_clISt17integral_constantIbLb0EES11_EEDaSW_SX_EUlSW_E_NS1_11comp_targetILNS1_3genE2ELNS1_11target_archE906ELNS1_3gpuE6ELNS1_3repE0EEENS1_30default_config_static_selectorELNS0_4arch9wavefront6targetE0EEEvT1_,"axG",@progbits,_ZN7rocprim17ROCPRIM_400000_NS6detail17trampoline_kernelINS0_14default_configENS1_29reduce_by_key_config_selectorIffN6thrust23THRUST_200600_302600_NS4plusIfEEEEZZNS1_33reduce_by_key_impl_wrapped_configILNS1_25lookback_scan_determinismE1ES3_S9_NS6_6detail15normal_iteratorINS6_10device_ptrIfEEEESG_SG_SG_PmS8_22is_equal_div_10_reduceIfEEE10hipError_tPvRmT2_T3_mT4_T5_T6_T7_T8_P12ihipStream_tbENKUlT_T0_E_clISt17integral_constantIbLb0EES11_EEDaSW_SX_EUlSW_E_NS1_11comp_targetILNS1_3genE2ELNS1_11target_archE906ELNS1_3gpuE6ELNS1_3repE0EEENS1_30default_config_static_selectorELNS0_4arch9wavefront6targetE0EEEvT1_,comdat
.Lfunc_end132:
	.size	_ZN7rocprim17ROCPRIM_400000_NS6detail17trampoline_kernelINS0_14default_configENS1_29reduce_by_key_config_selectorIffN6thrust23THRUST_200600_302600_NS4plusIfEEEEZZNS1_33reduce_by_key_impl_wrapped_configILNS1_25lookback_scan_determinismE1ES3_S9_NS6_6detail15normal_iteratorINS6_10device_ptrIfEEEESG_SG_SG_PmS8_22is_equal_div_10_reduceIfEEE10hipError_tPvRmT2_T3_mT4_T5_T6_T7_T8_P12ihipStream_tbENKUlT_T0_E_clISt17integral_constantIbLb0EES11_EEDaSW_SX_EUlSW_E_NS1_11comp_targetILNS1_3genE2ELNS1_11target_archE906ELNS1_3gpuE6ELNS1_3repE0EEENS1_30default_config_static_selectorELNS0_4arch9wavefront6targetE0EEEvT1_, .Lfunc_end132-_ZN7rocprim17ROCPRIM_400000_NS6detail17trampoline_kernelINS0_14default_configENS1_29reduce_by_key_config_selectorIffN6thrust23THRUST_200600_302600_NS4plusIfEEEEZZNS1_33reduce_by_key_impl_wrapped_configILNS1_25lookback_scan_determinismE1ES3_S9_NS6_6detail15normal_iteratorINS6_10device_ptrIfEEEESG_SG_SG_PmS8_22is_equal_div_10_reduceIfEEE10hipError_tPvRmT2_T3_mT4_T5_T6_T7_T8_P12ihipStream_tbENKUlT_T0_E_clISt17integral_constantIbLb0EES11_EEDaSW_SX_EUlSW_E_NS1_11comp_targetILNS1_3genE2ELNS1_11target_archE906ELNS1_3gpuE6ELNS1_3repE0EEENS1_30default_config_static_selectorELNS0_4arch9wavefront6targetE0EEEvT1_
                                        ; -- End function
	.section	.AMDGPU.csdata,"",@progbits
; Kernel info:
; codeLenInByte = 0
; NumSgprs: 0
; NumVgprs: 0
; ScratchSize: 0
; MemoryBound: 0
; FloatMode: 240
; IeeeMode: 1
; LDSByteSize: 0 bytes/workgroup (compile time only)
; SGPRBlocks: 0
; VGPRBlocks: 0
; NumSGPRsForWavesPerEU: 1
; NumVGPRsForWavesPerEU: 1
; Occupancy: 16
; WaveLimiterHint : 0
; COMPUTE_PGM_RSRC2:SCRATCH_EN: 0
; COMPUTE_PGM_RSRC2:USER_SGPR: 15
; COMPUTE_PGM_RSRC2:TRAP_HANDLER: 0
; COMPUTE_PGM_RSRC2:TGID_X_EN: 1
; COMPUTE_PGM_RSRC2:TGID_Y_EN: 0
; COMPUTE_PGM_RSRC2:TGID_Z_EN: 0
; COMPUTE_PGM_RSRC2:TIDIG_COMP_CNT: 0
	.section	.text._ZN7rocprim17ROCPRIM_400000_NS6detail17trampoline_kernelINS0_14default_configENS1_29reduce_by_key_config_selectorIffN6thrust23THRUST_200600_302600_NS4plusIfEEEEZZNS1_33reduce_by_key_impl_wrapped_configILNS1_25lookback_scan_determinismE1ES3_S9_NS6_6detail15normal_iteratorINS6_10device_ptrIfEEEESG_SG_SG_PmS8_22is_equal_div_10_reduceIfEEE10hipError_tPvRmT2_T3_mT4_T5_T6_T7_T8_P12ihipStream_tbENKUlT_T0_E_clISt17integral_constantIbLb0EES11_EEDaSW_SX_EUlSW_E_NS1_11comp_targetILNS1_3genE10ELNS1_11target_archE1201ELNS1_3gpuE5ELNS1_3repE0EEENS1_30default_config_static_selectorELNS0_4arch9wavefront6targetE0EEEvT1_,"axG",@progbits,_ZN7rocprim17ROCPRIM_400000_NS6detail17trampoline_kernelINS0_14default_configENS1_29reduce_by_key_config_selectorIffN6thrust23THRUST_200600_302600_NS4plusIfEEEEZZNS1_33reduce_by_key_impl_wrapped_configILNS1_25lookback_scan_determinismE1ES3_S9_NS6_6detail15normal_iteratorINS6_10device_ptrIfEEEESG_SG_SG_PmS8_22is_equal_div_10_reduceIfEEE10hipError_tPvRmT2_T3_mT4_T5_T6_T7_T8_P12ihipStream_tbENKUlT_T0_E_clISt17integral_constantIbLb0EES11_EEDaSW_SX_EUlSW_E_NS1_11comp_targetILNS1_3genE10ELNS1_11target_archE1201ELNS1_3gpuE5ELNS1_3repE0EEENS1_30default_config_static_selectorELNS0_4arch9wavefront6targetE0EEEvT1_,comdat
	.protected	_ZN7rocprim17ROCPRIM_400000_NS6detail17trampoline_kernelINS0_14default_configENS1_29reduce_by_key_config_selectorIffN6thrust23THRUST_200600_302600_NS4plusIfEEEEZZNS1_33reduce_by_key_impl_wrapped_configILNS1_25lookback_scan_determinismE1ES3_S9_NS6_6detail15normal_iteratorINS6_10device_ptrIfEEEESG_SG_SG_PmS8_22is_equal_div_10_reduceIfEEE10hipError_tPvRmT2_T3_mT4_T5_T6_T7_T8_P12ihipStream_tbENKUlT_T0_E_clISt17integral_constantIbLb0EES11_EEDaSW_SX_EUlSW_E_NS1_11comp_targetILNS1_3genE10ELNS1_11target_archE1201ELNS1_3gpuE5ELNS1_3repE0EEENS1_30default_config_static_selectorELNS0_4arch9wavefront6targetE0EEEvT1_ ; -- Begin function _ZN7rocprim17ROCPRIM_400000_NS6detail17trampoline_kernelINS0_14default_configENS1_29reduce_by_key_config_selectorIffN6thrust23THRUST_200600_302600_NS4plusIfEEEEZZNS1_33reduce_by_key_impl_wrapped_configILNS1_25lookback_scan_determinismE1ES3_S9_NS6_6detail15normal_iteratorINS6_10device_ptrIfEEEESG_SG_SG_PmS8_22is_equal_div_10_reduceIfEEE10hipError_tPvRmT2_T3_mT4_T5_T6_T7_T8_P12ihipStream_tbENKUlT_T0_E_clISt17integral_constantIbLb0EES11_EEDaSW_SX_EUlSW_E_NS1_11comp_targetILNS1_3genE10ELNS1_11target_archE1201ELNS1_3gpuE5ELNS1_3repE0EEENS1_30default_config_static_selectorELNS0_4arch9wavefront6targetE0EEEvT1_
	.globl	_ZN7rocprim17ROCPRIM_400000_NS6detail17trampoline_kernelINS0_14default_configENS1_29reduce_by_key_config_selectorIffN6thrust23THRUST_200600_302600_NS4plusIfEEEEZZNS1_33reduce_by_key_impl_wrapped_configILNS1_25lookback_scan_determinismE1ES3_S9_NS6_6detail15normal_iteratorINS6_10device_ptrIfEEEESG_SG_SG_PmS8_22is_equal_div_10_reduceIfEEE10hipError_tPvRmT2_T3_mT4_T5_T6_T7_T8_P12ihipStream_tbENKUlT_T0_E_clISt17integral_constantIbLb0EES11_EEDaSW_SX_EUlSW_E_NS1_11comp_targetILNS1_3genE10ELNS1_11target_archE1201ELNS1_3gpuE5ELNS1_3repE0EEENS1_30default_config_static_selectorELNS0_4arch9wavefront6targetE0EEEvT1_
	.p2align	8
	.type	_ZN7rocprim17ROCPRIM_400000_NS6detail17trampoline_kernelINS0_14default_configENS1_29reduce_by_key_config_selectorIffN6thrust23THRUST_200600_302600_NS4plusIfEEEEZZNS1_33reduce_by_key_impl_wrapped_configILNS1_25lookback_scan_determinismE1ES3_S9_NS6_6detail15normal_iteratorINS6_10device_ptrIfEEEESG_SG_SG_PmS8_22is_equal_div_10_reduceIfEEE10hipError_tPvRmT2_T3_mT4_T5_T6_T7_T8_P12ihipStream_tbENKUlT_T0_E_clISt17integral_constantIbLb0EES11_EEDaSW_SX_EUlSW_E_NS1_11comp_targetILNS1_3genE10ELNS1_11target_archE1201ELNS1_3gpuE5ELNS1_3repE0EEENS1_30default_config_static_selectorELNS0_4arch9wavefront6targetE0EEEvT1_,@function
_ZN7rocprim17ROCPRIM_400000_NS6detail17trampoline_kernelINS0_14default_configENS1_29reduce_by_key_config_selectorIffN6thrust23THRUST_200600_302600_NS4plusIfEEEEZZNS1_33reduce_by_key_impl_wrapped_configILNS1_25lookback_scan_determinismE1ES3_S9_NS6_6detail15normal_iteratorINS6_10device_ptrIfEEEESG_SG_SG_PmS8_22is_equal_div_10_reduceIfEEE10hipError_tPvRmT2_T3_mT4_T5_T6_T7_T8_P12ihipStream_tbENKUlT_T0_E_clISt17integral_constantIbLb0EES11_EEDaSW_SX_EUlSW_E_NS1_11comp_targetILNS1_3genE10ELNS1_11target_archE1201ELNS1_3gpuE5ELNS1_3repE0EEENS1_30default_config_static_selectorELNS0_4arch9wavefront6targetE0EEEvT1_: ; @_ZN7rocprim17ROCPRIM_400000_NS6detail17trampoline_kernelINS0_14default_configENS1_29reduce_by_key_config_selectorIffN6thrust23THRUST_200600_302600_NS4plusIfEEEEZZNS1_33reduce_by_key_impl_wrapped_configILNS1_25lookback_scan_determinismE1ES3_S9_NS6_6detail15normal_iteratorINS6_10device_ptrIfEEEESG_SG_SG_PmS8_22is_equal_div_10_reduceIfEEE10hipError_tPvRmT2_T3_mT4_T5_T6_T7_T8_P12ihipStream_tbENKUlT_T0_E_clISt17integral_constantIbLb0EES11_EEDaSW_SX_EUlSW_E_NS1_11comp_targetILNS1_3genE10ELNS1_11target_archE1201ELNS1_3gpuE5ELNS1_3repE0EEENS1_30default_config_static_selectorELNS0_4arch9wavefront6targetE0EEEvT1_
; %bb.0:
	.section	.rodata,"a",@progbits
	.p2align	6, 0x0
	.amdhsa_kernel _ZN7rocprim17ROCPRIM_400000_NS6detail17trampoline_kernelINS0_14default_configENS1_29reduce_by_key_config_selectorIffN6thrust23THRUST_200600_302600_NS4plusIfEEEEZZNS1_33reduce_by_key_impl_wrapped_configILNS1_25lookback_scan_determinismE1ES3_S9_NS6_6detail15normal_iteratorINS6_10device_ptrIfEEEESG_SG_SG_PmS8_22is_equal_div_10_reduceIfEEE10hipError_tPvRmT2_T3_mT4_T5_T6_T7_T8_P12ihipStream_tbENKUlT_T0_E_clISt17integral_constantIbLb0EES11_EEDaSW_SX_EUlSW_E_NS1_11comp_targetILNS1_3genE10ELNS1_11target_archE1201ELNS1_3gpuE5ELNS1_3repE0EEENS1_30default_config_static_selectorELNS0_4arch9wavefront6targetE0EEEvT1_
		.amdhsa_group_segment_fixed_size 0
		.amdhsa_private_segment_fixed_size 0
		.amdhsa_kernarg_size 120
		.amdhsa_user_sgpr_count 15
		.amdhsa_user_sgpr_dispatch_ptr 0
		.amdhsa_user_sgpr_queue_ptr 0
		.amdhsa_user_sgpr_kernarg_segment_ptr 1
		.amdhsa_user_sgpr_dispatch_id 0
		.amdhsa_user_sgpr_private_segment_size 0
		.amdhsa_wavefront_size32 1
		.amdhsa_uses_dynamic_stack 0
		.amdhsa_enable_private_segment 0
		.amdhsa_system_sgpr_workgroup_id_x 1
		.amdhsa_system_sgpr_workgroup_id_y 0
		.amdhsa_system_sgpr_workgroup_id_z 0
		.amdhsa_system_sgpr_workgroup_info 0
		.amdhsa_system_vgpr_workitem_id 0
		.amdhsa_next_free_vgpr 1
		.amdhsa_next_free_sgpr 1
		.amdhsa_reserve_vcc 0
		.amdhsa_float_round_mode_32 0
		.amdhsa_float_round_mode_16_64 0
		.amdhsa_float_denorm_mode_32 3
		.amdhsa_float_denorm_mode_16_64 3
		.amdhsa_dx10_clamp 1
		.amdhsa_ieee_mode 1
		.amdhsa_fp16_overflow 0
		.amdhsa_workgroup_processor_mode 1
		.amdhsa_memory_ordered 1
		.amdhsa_forward_progress 0
		.amdhsa_shared_vgpr_count 0
		.amdhsa_exception_fp_ieee_invalid_op 0
		.amdhsa_exception_fp_denorm_src 0
		.amdhsa_exception_fp_ieee_div_zero 0
		.amdhsa_exception_fp_ieee_overflow 0
		.amdhsa_exception_fp_ieee_underflow 0
		.amdhsa_exception_fp_ieee_inexact 0
		.amdhsa_exception_int_div_zero 0
	.end_amdhsa_kernel
	.section	.text._ZN7rocprim17ROCPRIM_400000_NS6detail17trampoline_kernelINS0_14default_configENS1_29reduce_by_key_config_selectorIffN6thrust23THRUST_200600_302600_NS4plusIfEEEEZZNS1_33reduce_by_key_impl_wrapped_configILNS1_25lookback_scan_determinismE1ES3_S9_NS6_6detail15normal_iteratorINS6_10device_ptrIfEEEESG_SG_SG_PmS8_22is_equal_div_10_reduceIfEEE10hipError_tPvRmT2_T3_mT4_T5_T6_T7_T8_P12ihipStream_tbENKUlT_T0_E_clISt17integral_constantIbLb0EES11_EEDaSW_SX_EUlSW_E_NS1_11comp_targetILNS1_3genE10ELNS1_11target_archE1201ELNS1_3gpuE5ELNS1_3repE0EEENS1_30default_config_static_selectorELNS0_4arch9wavefront6targetE0EEEvT1_,"axG",@progbits,_ZN7rocprim17ROCPRIM_400000_NS6detail17trampoline_kernelINS0_14default_configENS1_29reduce_by_key_config_selectorIffN6thrust23THRUST_200600_302600_NS4plusIfEEEEZZNS1_33reduce_by_key_impl_wrapped_configILNS1_25lookback_scan_determinismE1ES3_S9_NS6_6detail15normal_iteratorINS6_10device_ptrIfEEEESG_SG_SG_PmS8_22is_equal_div_10_reduceIfEEE10hipError_tPvRmT2_T3_mT4_T5_T6_T7_T8_P12ihipStream_tbENKUlT_T0_E_clISt17integral_constantIbLb0EES11_EEDaSW_SX_EUlSW_E_NS1_11comp_targetILNS1_3genE10ELNS1_11target_archE1201ELNS1_3gpuE5ELNS1_3repE0EEENS1_30default_config_static_selectorELNS0_4arch9wavefront6targetE0EEEvT1_,comdat
.Lfunc_end133:
	.size	_ZN7rocprim17ROCPRIM_400000_NS6detail17trampoline_kernelINS0_14default_configENS1_29reduce_by_key_config_selectorIffN6thrust23THRUST_200600_302600_NS4plusIfEEEEZZNS1_33reduce_by_key_impl_wrapped_configILNS1_25lookback_scan_determinismE1ES3_S9_NS6_6detail15normal_iteratorINS6_10device_ptrIfEEEESG_SG_SG_PmS8_22is_equal_div_10_reduceIfEEE10hipError_tPvRmT2_T3_mT4_T5_T6_T7_T8_P12ihipStream_tbENKUlT_T0_E_clISt17integral_constantIbLb0EES11_EEDaSW_SX_EUlSW_E_NS1_11comp_targetILNS1_3genE10ELNS1_11target_archE1201ELNS1_3gpuE5ELNS1_3repE0EEENS1_30default_config_static_selectorELNS0_4arch9wavefront6targetE0EEEvT1_, .Lfunc_end133-_ZN7rocprim17ROCPRIM_400000_NS6detail17trampoline_kernelINS0_14default_configENS1_29reduce_by_key_config_selectorIffN6thrust23THRUST_200600_302600_NS4plusIfEEEEZZNS1_33reduce_by_key_impl_wrapped_configILNS1_25lookback_scan_determinismE1ES3_S9_NS6_6detail15normal_iteratorINS6_10device_ptrIfEEEESG_SG_SG_PmS8_22is_equal_div_10_reduceIfEEE10hipError_tPvRmT2_T3_mT4_T5_T6_T7_T8_P12ihipStream_tbENKUlT_T0_E_clISt17integral_constantIbLb0EES11_EEDaSW_SX_EUlSW_E_NS1_11comp_targetILNS1_3genE10ELNS1_11target_archE1201ELNS1_3gpuE5ELNS1_3repE0EEENS1_30default_config_static_selectorELNS0_4arch9wavefront6targetE0EEEvT1_
                                        ; -- End function
	.section	.AMDGPU.csdata,"",@progbits
; Kernel info:
; codeLenInByte = 0
; NumSgprs: 0
; NumVgprs: 0
; ScratchSize: 0
; MemoryBound: 0
; FloatMode: 240
; IeeeMode: 1
; LDSByteSize: 0 bytes/workgroup (compile time only)
; SGPRBlocks: 0
; VGPRBlocks: 0
; NumSGPRsForWavesPerEU: 1
; NumVGPRsForWavesPerEU: 1
; Occupancy: 16
; WaveLimiterHint : 0
; COMPUTE_PGM_RSRC2:SCRATCH_EN: 0
; COMPUTE_PGM_RSRC2:USER_SGPR: 15
; COMPUTE_PGM_RSRC2:TRAP_HANDLER: 0
; COMPUTE_PGM_RSRC2:TGID_X_EN: 1
; COMPUTE_PGM_RSRC2:TGID_Y_EN: 0
; COMPUTE_PGM_RSRC2:TGID_Z_EN: 0
; COMPUTE_PGM_RSRC2:TIDIG_COMP_CNT: 0
	.section	.text._ZN7rocprim17ROCPRIM_400000_NS6detail17trampoline_kernelINS0_14default_configENS1_29reduce_by_key_config_selectorIffN6thrust23THRUST_200600_302600_NS4plusIfEEEEZZNS1_33reduce_by_key_impl_wrapped_configILNS1_25lookback_scan_determinismE1ES3_S9_NS6_6detail15normal_iteratorINS6_10device_ptrIfEEEESG_SG_SG_PmS8_22is_equal_div_10_reduceIfEEE10hipError_tPvRmT2_T3_mT4_T5_T6_T7_T8_P12ihipStream_tbENKUlT_T0_E_clISt17integral_constantIbLb0EES11_EEDaSW_SX_EUlSW_E_NS1_11comp_targetILNS1_3genE10ELNS1_11target_archE1200ELNS1_3gpuE4ELNS1_3repE0EEENS1_30default_config_static_selectorELNS0_4arch9wavefront6targetE0EEEvT1_,"axG",@progbits,_ZN7rocprim17ROCPRIM_400000_NS6detail17trampoline_kernelINS0_14default_configENS1_29reduce_by_key_config_selectorIffN6thrust23THRUST_200600_302600_NS4plusIfEEEEZZNS1_33reduce_by_key_impl_wrapped_configILNS1_25lookback_scan_determinismE1ES3_S9_NS6_6detail15normal_iteratorINS6_10device_ptrIfEEEESG_SG_SG_PmS8_22is_equal_div_10_reduceIfEEE10hipError_tPvRmT2_T3_mT4_T5_T6_T7_T8_P12ihipStream_tbENKUlT_T0_E_clISt17integral_constantIbLb0EES11_EEDaSW_SX_EUlSW_E_NS1_11comp_targetILNS1_3genE10ELNS1_11target_archE1200ELNS1_3gpuE4ELNS1_3repE0EEENS1_30default_config_static_selectorELNS0_4arch9wavefront6targetE0EEEvT1_,comdat
	.protected	_ZN7rocprim17ROCPRIM_400000_NS6detail17trampoline_kernelINS0_14default_configENS1_29reduce_by_key_config_selectorIffN6thrust23THRUST_200600_302600_NS4plusIfEEEEZZNS1_33reduce_by_key_impl_wrapped_configILNS1_25lookback_scan_determinismE1ES3_S9_NS6_6detail15normal_iteratorINS6_10device_ptrIfEEEESG_SG_SG_PmS8_22is_equal_div_10_reduceIfEEE10hipError_tPvRmT2_T3_mT4_T5_T6_T7_T8_P12ihipStream_tbENKUlT_T0_E_clISt17integral_constantIbLb0EES11_EEDaSW_SX_EUlSW_E_NS1_11comp_targetILNS1_3genE10ELNS1_11target_archE1200ELNS1_3gpuE4ELNS1_3repE0EEENS1_30default_config_static_selectorELNS0_4arch9wavefront6targetE0EEEvT1_ ; -- Begin function _ZN7rocprim17ROCPRIM_400000_NS6detail17trampoline_kernelINS0_14default_configENS1_29reduce_by_key_config_selectorIffN6thrust23THRUST_200600_302600_NS4plusIfEEEEZZNS1_33reduce_by_key_impl_wrapped_configILNS1_25lookback_scan_determinismE1ES3_S9_NS6_6detail15normal_iteratorINS6_10device_ptrIfEEEESG_SG_SG_PmS8_22is_equal_div_10_reduceIfEEE10hipError_tPvRmT2_T3_mT4_T5_T6_T7_T8_P12ihipStream_tbENKUlT_T0_E_clISt17integral_constantIbLb0EES11_EEDaSW_SX_EUlSW_E_NS1_11comp_targetILNS1_3genE10ELNS1_11target_archE1200ELNS1_3gpuE4ELNS1_3repE0EEENS1_30default_config_static_selectorELNS0_4arch9wavefront6targetE0EEEvT1_
	.globl	_ZN7rocprim17ROCPRIM_400000_NS6detail17trampoline_kernelINS0_14default_configENS1_29reduce_by_key_config_selectorIffN6thrust23THRUST_200600_302600_NS4plusIfEEEEZZNS1_33reduce_by_key_impl_wrapped_configILNS1_25lookback_scan_determinismE1ES3_S9_NS6_6detail15normal_iteratorINS6_10device_ptrIfEEEESG_SG_SG_PmS8_22is_equal_div_10_reduceIfEEE10hipError_tPvRmT2_T3_mT4_T5_T6_T7_T8_P12ihipStream_tbENKUlT_T0_E_clISt17integral_constantIbLb0EES11_EEDaSW_SX_EUlSW_E_NS1_11comp_targetILNS1_3genE10ELNS1_11target_archE1200ELNS1_3gpuE4ELNS1_3repE0EEENS1_30default_config_static_selectorELNS0_4arch9wavefront6targetE0EEEvT1_
	.p2align	8
	.type	_ZN7rocprim17ROCPRIM_400000_NS6detail17trampoline_kernelINS0_14default_configENS1_29reduce_by_key_config_selectorIffN6thrust23THRUST_200600_302600_NS4plusIfEEEEZZNS1_33reduce_by_key_impl_wrapped_configILNS1_25lookback_scan_determinismE1ES3_S9_NS6_6detail15normal_iteratorINS6_10device_ptrIfEEEESG_SG_SG_PmS8_22is_equal_div_10_reduceIfEEE10hipError_tPvRmT2_T3_mT4_T5_T6_T7_T8_P12ihipStream_tbENKUlT_T0_E_clISt17integral_constantIbLb0EES11_EEDaSW_SX_EUlSW_E_NS1_11comp_targetILNS1_3genE10ELNS1_11target_archE1200ELNS1_3gpuE4ELNS1_3repE0EEENS1_30default_config_static_selectorELNS0_4arch9wavefront6targetE0EEEvT1_,@function
_ZN7rocprim17ROCPRIM_400000_NS6detail17trampoline_kernelINS0_14default_configENS1_29reduce_by_key_config_selectorIffN6thrust23THRUST_200600_302600_NS4plusIfEEEEZZNS1_33reduce_by_key_impl_wrapped_configILNS1_25lookback_scan_determinismE1ES3_S9_NS6_6detail15normal_iteratorINS6_10device_ptrIfEEEESG_SG_SG_PmS8_22is_equal_div_10_reduceIfEEE10hipError_tPvRmT2_T3_mT4_T5_T6_T7_T8_P12ihipStream_tbENKUlT_T0_E_clISt17integral_constantIbLb0EES11_EEDaSW_SX_EUlSW_E_NS1_11comp_targetILNS1_3genE10ELNS1_11target_archE1200ELNS1_3gpuE4ELNS1_3repE0EEENS1_30default_config_static_selectorELNS0_4arch9wavefront6targetE0EEEvT1_: ; @_ZN7rocprim17ROCPRIM_400000_NS6detail17trampoline_kernelINS0_14default_configENS1_29reduce_by_key_config_selectorIffN6thrust23THRUST_200600_302600_NS4plusIfEEEEZZNS1_33reduce_by_key_impl_wrapped_configILNS1_25lookback_scan_determinismE1ES3_S9_NS6_6detail15normal_iteratorINS6_10device_ptrIfEEEESG_SG_SG_PmS8_22is_equal_div_10_reduceIfEEE10hipError_tPvRmT2_T3_mT4_T5_T6_T7_T8_P12ihipStream_tbENKUlT_T0_E_clISt17integral_constantIbLb0EES11_EEDaSW_SX_EUlSW_E_NS1_11comp_targetILNS1_3genE10ELNS1_11target_archE1200ELNS1_3gpuE4ELNS1_3repE0EEENS1_30default_config_static_selectorELNS0_4arch9wavefront6targetE0EEEvT1_
; %bb.0:
	.section	.rodata,"a",@progbits
	.p2align	6, 0x0
	.amdhsa_kernel _ZN7rocprim17ROCPRIM_400000_NS6detail17trampoline_kernelINS0_14default_configENS1_29reduce_by_key_config_selectorIffN6thrust23THRUST_200600_302600_NS4plusIfEEEEZZNS1_33reduce_by_key_impl_wrapped_configILNS1_25lookback_scan_determinismE1ES3_S9_NS6_6detail15normal_iteratorINS6_10device_ptrIfEEEESG_SG_SG_PmS8_22is_equal_div_10_reduceIfEEE10hipError_tPvRmT2_T3_mT4_T5_T6_T7_T8_P12ihipStream_tbENKUlT_T0_E_clISt17integral_constantIbLb0EES11_EEDaSW_SX_EUlSW_E_NS1_11comp_targetILNS1_3genE10ELNS1_11target_archE1200ELNS1_3gpuE4ELNS1_3repE0EEENS1_30default_config_static_selectorELNS0_4arch9wavefront6targetE0EEEvT1_
		.amdhsa_group_segment_fixed_size 0
		.amdhsa_private_segment_fixed_size 0
		.amdhsa_kernarg_size 120
		.amdhsa_user_sgpr_count 15
		.amdhsa_user_sgpr_dispatch_ptr 0
		.amdhsa_user_sgpr_queue_ptr 0
		.amdhsa_user_sgpr_kernarg_segment_ptr 1
		.amdhsa_user_sgpr_dispatch_id 0
		.amdhsa_user_sgpr_private_segment_size 0
		.amdhsa_wavefront_size32 1
		.amdhsa_uses_dynamic_stack 0
		.amdhsa_enable_private_segment 0
		.amdhsa_system_sgpr_workgroup_id_x 1
		.amdhsa_system_sgpr_workgroup_id_y 0
		.amdhsa_system_sgpr_workgroup_id_z 0
		.amdhsa_system_sgpr_workgroup_info 0
		.amdhsa_system_vgpr_workitem_id 0
		.amdhsa_next_free_vgpr 1
		.amdhsa_next_free_sgpr 1
		.amdhsa_reserve_vcc 0
		.amdhsa_float_round_mode_32 0
		.amdhsa_float_round_mode_16_64 0
		.amdhsa_float_denorm_mode_32 3
		.amdhsa_float_denorm_mode_16_64 3
		.amdhsa_dx10_clamp 1
		.amdhsa_ieee_mode 1
		.amdhsa_fp16_overflow 0
		.amdhsa_workgroup_processor_mode 1
		.amdhsa_memory_ordered 1
		.amdhsa_forward_progress 0
		.amdhsa_shared_vgpr_count 0
		.amdhsa_exception_fp_ieee_invalid_op 0
		.amdhsa_exception_fp_denorm_src 0
		.amdhsa_exception_fp_ieee_div_zero 0
		.amdhsa_exception_fp_ieee_overflow 0
		.amdhsa_exception_fp_ieee_underflow 0
		.amdhsa_exception_fp_ieee_inexact 0
		.amdhsa_exception_int_div_zero 0
	.end_amdhsa_kernel
	.section	.text._ZN7rocprim17ROCPRIM_400000_NS6detail17trampoline_kernelINS0_14default_configENS1_29reduce_by_key_config_selectorIffN6thrust23THRUST_200600_302600_NS4plusIfEEEEZZNS1_33reduce_by_key_impl_wrapped_configILNS1_25lookback_scan_determinismE1ES3_S9_NS6_6detail15normal_iteratorINS6_10device_ptrIfEEEESG_SG_SG_PmS8_22is_equal_div_10_reduceIfEEE10hipError_tPvRmT2_T3_mT4_T5_T6_T7_T8_P12ihipStream_tbENKUlT_T0_E_clISt17integral_constantIbLb0EES11_EEDaSW_SX_EUlSW_E_NS1_11comp_targetILNS1_3genE10ELNS1_11target_archE1200ELNS1_3gpuE4ELNS1_3repE0EEENS1_30default_config_static_selectorELNS0_4arch9wavefront6targetE0EEEvT1_,"axG",@progbits,_ZN7rocprim17ROCPRIM_400000_NS6detail17trampoline_kernelINS0_14default_configENS1_29reduce_by_key_config_selectorIffN6thrust23THRUST_200600_302600_NS4plusIfEEEEZZNS1_33reduce_by_key_impl_wrapped_configILNS1_25lookback_scan_determinismE1ES3_S9_NS6_6detail15normal_iteratorINS6_10device_ptrIfEEEESG_SG_SG_PmS8_22is_equal_div_10_reduceIfEEE10hipError_tPvRmT2_T3_mT4_T5_T6_T7_T8_P12ihipStream_tbENKUlT_T0_E_clISt17integral_constantIbLb0EES11_EEDaSW_SX_EUlSW_E_NS1_11comp_targetILNS1_3genE10ELNS1_11target_archE1200ELNS1_3gpuE4ELNS1_3repE0EEENS1_30default_config_static_selectorELNS0_4arch9wavefront6targetE0EEEvT1_,comdat
.Lfunc_end134:
	.size	_ZN7rocprim17ROCPRIM_400000_NS6detail17trampoline_kernelINS0_14default_configENS1_29reduce_by_key_config_selectorIffN6thrust23THRUST_200600_302600_NS4plusIfEEEEZZNS1_33reduce_by_key_impl_wrapped_configILNS1_25lookback_scan_determinismE1ES3_S9_NS6_6detail15normal_iteratorINS6_10device_ptrIfEEEESG_SG_SG_PmS8_22is_equal_div_10_reduceIfEEE10hipError_tPvRmT2_T3_mT4_T5_T6_T7_T8_P12ihipStream_tbENKUlT_T0_E_clISt17integral_constantIbLb0EES11_EEDaSW_SX_EUlSW_E_NS1_11comp_targetILNS1_3genE10ELNS1_11target_archE1200ELNS1_3gpuE4ELNS1_3repE0EEENS1_30default_config_static_selectorELNS0_4arch9wavefront6targetE0EEEvT1_, .Lfunc_end134-_ZN7rocprim17ROCPRIM_400000_NS6detail17trampoline_kernelINS0_14default_configENS1_29reduce_by_key_config_selectorIffN6thrust23THRUST_200600_302600_NS4plusIfEEEEZZNS1_33reduce_by_key_impl_wrapped_configILNS1_25lookback_scan_determinismE1ES3_S9_NS6_6detail15normal_iteratorINS6_10device_ptrIfEEEESG_SG_SG_PmS8_22is_equal_div_10_reduceIfEEE10hipError_tPvRmT2_T3_mT4_T5_T6_T7_T8_P12ihipStream_tbENKUlT_T0_E_clISt17integral_constantIbLb0EES11_EEDaSW_SX_EUlSW_E_NS1_11comp_targetILNS1_3genE10ELNS1_11target_archE1200ELNS1_3gpuE4ELNS1_3repE0EEENS1_30default_config_static_selectorELNS0_4arch9wavefront6targetE0EEEvT1_
                                        ; -- End function
	.section	.AMDGPU.csdata,"",@progbits
; Kernel info:
; codeLenInByte = 0
; NumSgprs: 0
; NumVgprs: 0
; ScratchSize: 0
; MemoryBound: 0
; FloatMode: 240
; IeeeMode: 1
; LDSByteSize: 0 bytes/workgroup (compile time only)
; SGPRBlocks: 0
; VGPRBlocks: 0
; NumSGPRsForWavesPerEU: 1
; NumVGPRsForWavesPerEU: 1
; Occupancy: 16
; WaveLimiterHint : 0
; COMPUTE_PGM_RSRC2:SCRATCH_EN: 0
; COMPUTE_PGM_RSRC2:USER_SGPR: 15
; COMPUTE_PGM_RSRC2:TRAP_HANDLER: 0
; COMPUTE_PGM_RSRC2:TGID_X_EN: 1
; COMPUTE_PGM_RSRC2:TGID_Y_EN: 0
; COMPUTE_PGM_RSRC2:TGID_Z_EN: 0
; COMPUTE_PGM_RSRC2:TIDIG_COMP_CNT: 0
	.section	.text._ZN7rocprim17ROCPRIM_400000_NS6detail17trampoline_kernelINS0_14default_configENS1_29reduce_by_key_config_selectorIffN6thrust23THRUST_200600_302600_NS4plusIfEEEEZZNS1_33reduce_by_key_impl_wrapped_configILNS1_25lookback_scan_determinismE1ES3_S9_NS6_6detail15normal_iteratorINS6_10device_ptrIfEEEESG_SG_SG_PmS8_22is_equal_div_10_reduceIfEEE10hipError_tPvRmT2_T3_mT4_T5_T6_T7_T8_P12ihipStream_tbENKUlT_T0_E_clISt17integral_constantIbLb0EES11_EEDaSW_SX_EUlSW_E_NS1_11comp_targetILNS1_3genE9ELNS1_11target_archE1100ELNS1_3gpuE3ELNS1_3repE0EEENS1_30default_config_static_selectorELNS0_4arch9wavefront6targetE0EEEvT1_,"axG",@progbits,_ZN7rocprim17ROCPRIM_400000_NS6detail17trampoline_kernelINS0_14default_configENS1_29reduce_by_key_config_selectorIffN6thrust23THRUST_200600_302600_NS4plusIfEEEEZZNS1_33reduce_by_key_impl_wrapped_configILNS1_25lookback_scan_determinismE1ES3_S9_NS6_6detail15normal_iteratorINS6_10device_ptrIfEEEESG_SG_SG_PmS8_22is_equal_div_10_reduceIfEEE10hipError_tPvRmT2_T3_mT4_T5_T6_T7_T8_P12ihipStream_tbENKUlT_T0_E_clISt17integral_constantIbLb0EES11_EEDaSW_SX_EUlSW_E_NS1_11comp_targetILNS1_3genE9ELNS1_11target_archE1100ELNS1_3gpuE3ELNS1_3repE0EEENS1_30default_config_static_selectorELNS0_4arch9wavefront6targetE0EEEvT1_,comdat
	.protected	_ZN7rocprim17ROCPRIM_400000_NS6detail17trampoline_kernelINS0_14default_configENS1_29reduce_by_key_config_selectorIffN6thrust23THRUST_200600_302600_NS4plusIfEEEEZZNS1_33reduce_by_key_impl_wrapped_configILNS1_25lookback_scan_determinismE1ES3_S9_NS6_6detail15normal_iteratorINS6_10device_ptrIfEEEESG_SG_SG_PmS8_22is_equal_div_10_reduceIfEEE10hipError_tPvRmT2_T3_mT4_T5_T6_T7_T8_P12ihipStream_tbENKUlT_T0_E_clISt17integral_constantIbLb0EES11_EEDaSW_SX_EUlSW_E_NS1_11comp_targetILNS1_3genE9ELNS1_11target_archE1100ELNS1_3gpuE3ELNS1_3repE0EEENS1_30default_config_static_selectorELNS0_4arch9wavefront6targetE0EEEvT1_ ; -- Begin function _ZN7rocprim17ROCPRIM_400000_NS6detail17trampoline_kernelINS0_14default_configENS1_29reduce_by_key_config_selectorIffN6thrust23THRUST_200600_302600_NS4plusIfEEEEZZNS1_33reduce_by_key_impl_wrapped_configILNS1_25lookback_scan_determinismE1ES3_S9_NS6_6detail15normal_iteratorINS6_10device_ptrIfEEEESG_SG_SG_PmS8_22is_equal_div_10_reduceIfEEE10hipError_tPvRmT2_T3_mT4_T5_T6_T7_T8_P12ihipStream_tbENKUlT_T0_E_clISt17integral_constantIbLb0EES11_EEDaSW_SX_EUlSW_E_NS1_11comp_targetILNS1_3genE9ELNS1_11target_archE1100ELNS1_3gpuE3ELNS1_3repE0EEENS1_30default_config_static_selectorELNS0_4arch9wavefront6targetE0EEEvT1_
	.globl	_ZN7rocprim17ROCPRIM_400000_NS6detail17trampoline_kernelINS0_14default_configENS1_29reduce_by_key_config_selectorIffN6thrust23THRUST_200600_302600_NS4plusIfEEEEZZNS1_33reduce_by_key_impl_wrapped_configILNS1_25lookback_scan_determinismE1ES3_S9_NS6_6detail15normal_iteratorINS6_10device_ptrIfEEEESG_SG_SG_PmS8_22is_equal_div_10_reduceIfEEE10hipError_tPvRmT2_T3_mT4_T5_T6_T7_T8_P12ihipStream_tbENKUlT_T0_E_clISt17integral_constantIbLb0EES11_EEDaSW_SX_EUlSW_E_NS1_11comp_targetILNS1_3genE9ELNS1_11target_archE1100ELNS1_3gpuE3ELNS1_3repE0EEENS1_30default_config_static_selectorELNS0_4arch9wavefront6targetE0EEEvT1_
	.p2align	8
	.type	_ZN7rocprim17ROCPRIM_400000_NS6detail17trampoline_kernelINS0_14default_configENS1_29reduce_by_key_config_selectorIffN6thrust23THRUST_200600_302600_NS4plusIfEEEEZZNS1_33reduce_by_key_impl_wrapped_configILNS1_25lookback_scan_determinismE1ES3_S9_NS6_6detail15normal_iteratorINS6_10device_ptrIfEEEESG_SG_SG_PmS8_22is_equal_div_10_reduceIfEEE10hipError_tPvRmT2_T3_mT4_T5_T6_T7_T8_P12ihipStream_tbENKUlT_T0_E_clISt17integral_constantIbLb0EES11_EEDaSW_SX_EUlSW_E_NS1_11comp_targetILNS1_3genE9ELNS1_11target_archE1100ELNS1_3gpuE3ELNS1_3repE0EEENS1_30default_config_static_selectorELNS0_4arch9wavefront6targetE0EEEvT1_,@function
_ZN7rocprim17ROCPRIM_400000_NS6detail17trampoline_kernelINS0_14default_configENS1_29reduce_by_key_config_selectorIffN6thrust23THRUST_200600_302600_NS4plusIfEEEEZZNS1_33reduce_by_key_impl_wrapped_configILNS1_25lookback_scan_determinismE1ES3_S9_NS6_6detail15normal_iteratorINS6_10device_ptrIfEEEESG_SG_SG_PmS8_22is_equal_div_10_reduceIfEEE10hipError_tPvRmT2_T3_mT4_T5_T6_T7_T8_P12ihipStream_tbENKUlT_T0_E_clISt17integral_constantIbLb0EES11_EEDaSW_SX_EUlSW_E_NS1_11comp_targetILNS1_3genE9ELNS1_11target_archE1100ELNS1_3gpuE3ELNS1_3repE0EEENS1_30default_config_static_selectorELNS0_4arch9wavefront6targetE0EEEvT1_: ; @_ZN7rocprim17ROCPRIM_400000_NS6detail17trampoline_kernelINS0_14default_configENS1_29reduce_by_key_config_selectorIffN6thrust23THRUST_200600_302600_NS4plusIfEEEEZZNS1_33reduce_by_key_impl_wrapped_configILNS1_25lookback_scan_determinismE1ES3_S9_NS6_6detail15normal_iteratorINS6_10device_ptrIfEEEESG_SG_SG_PmS8_22is_equal_div_10_reduceIfEEE10hipError_tPvRmT2_T3_mT4_T5_T6_T7_T8_P12ihipStream_tbENKUlT_T0_E_clISt17integral_constantIbLb0EES11_EEDaSW_SX_EUlSW_E_NS1_11comp_targetILNS1_3genE9ELNS1_11target_archE1100ELNS1_3gpuE3ELNS1_3repE0EEENS1_30default_config_static_selectorELNS0_4arch9wavefront6targetE0EEEvT1_
; %bb.0:
	s_clause 0x4
	s_load_b256 s[16:23], s[0:1], 0x0
	s_load_b256 s[24:31], s[0:1], 0x38
	s_load_b128 s[36:39], s[0:1], 0x20
	s_load_b64 s[34:35], s[0:1], 0x68
	s_load_b128 s[40:43], s[0:1], 0x58
	s_mov_b32 s3, 0
	s_mul_i32 s2, s15, 0xf00
	s_waitcnt lgkmcnt(0)
	s_lshl_b64 s[0:1], s[18:19], 2
	s_mul_i32 s4, s28, s27
	s_add_u32 s8, s16, s0
	s_mul_hi_u32 s5, s28, s26
	s_addc_u32 s9, s17, s1
	s_add_u32 s10, s20, s0
	s_mul_i32 s6, s29, s26
	s_addc_u32 s11, s21, s1
	s_add_i32 s4, s5, s4
	s_lshl_b64 s[0:1], s[2:3], 2
	s_add_i32 s4, s4, s6
	s_add_u32 s14, s8, s0
	s_addc_u32 s18, s9, s1
	s_mul_i32 s7, s28, s26
	s_add_u32 s28, s10, s0
	s_addc_u32 s29, s11, s1
	s_add_u32 s16, s7, s15
	s_addc_u32 s17, s4, 0
	s_add_u32 s0, s30, -1
	s_addc_u32 s1, s31, -1
	s_mul_i32 s21, s0, 0xfffff100
	s_cmp_eq_u64 s[16:17], s[0:1]
	s_cselect_b32 s20, -1, 0
	s_cmp_lg_u64 s[16:17], s[0:1]
	s_cselect_b32 s19, -1, 0
	s_and_b32 vcc_lo, exec_lo, s20
	s_cbranch_vccnz .LBB135_2
; %bb.1:
	v_lshlrev_b32_e32 v8, 2, v0
	s_delay_alu instid0(VALU_DEP_1) | instskip(NEXT) | instid1(VALU_DEP_1)
	v_add_co_u32 v1, s0, s14, v8
	v_add_co_ci_u32_e64 v2, null, s18, 0, s0
	s_delay_alu instid0(VALU_DEP_2) | instskip(NEXT) | instid1(VALU_DEP_2)
	v_add_co_u32 v3, vcc_lo, 0x1000, v1
	v_add_co_ci_u32_e32 v4, vcc_lo, 0, v2, vcc_lo
	s_clause 0x7
	flat_load_b32 v9, v[1:2]
	flat_load_b32 v10, v[1:2] offset:1024
	flat_load_b32 v11, v[1:2] offset:2048
	;; [unrolled: 1-line block ×3, first 2 shown]
	flat_load_b32 v13, v[3:4]
	flat_load_b32 v14, v[3:4] offset:1024
	flat_load_b32 v15, v[3:4] offset:2048
	;; [unrolled: 1-line block ×3, first 2 shown]
	v_add_co_u32 v3, vcc_lo, 0x2000, v1
	v_add_co_ci_u32_e32 v4, vcc_lo, 0, v2, vcc_lo
	v_add_co_u32 v1, vcc_lo, 0x3000, v1
	v_add_co_ci_u32_e32 v2, vcc_lo, 0, v2, vcc_lo
	s_clause 0x6
	flat_load_b32 v17, v[3:4]
	flat_load_b32 v18, v[3:4] offset:1024
	flat_load_b32 v19, v[3:4] offset:2048
	;; [unrolled: 1-line block ×3, first 2 shown]
	flat_load_b32 v21, v[1:2]
	flat_load_b32 v22, v[1:2] offset:1024
	flat_load_b32 v25, v[1:2] offset:2048
	v_add_co_u32 v2, s0, s28, v8
	s_delay_alu instid0(VALU_DEP_1) | instskip(SKIP_1) | instid1(VALU_DEP_3)
	v_add_co_ci_u32_e64 v3, null, s29, 0, s0
	v_mad_u32_u24 v1, v0, 56, v8
	v_add_co_u32 v4, vcc_lo, 0x1000, v2
	s_delay_alu instid0(VALU_DEP_3)
	v_add_co_ci_u32_e32 v5, vcc_lo, 0, v3, vcc_lo
	v_add_co_u32 v6, vcc_lo, 0x2000, v2
	v_add_co_ci_u32_e32 v7, vcc_lo, 0, v3, vcc_lo
	v_add_co_u32 v23, vcc_lo, 0x3000, v2
	v_add_co_ci_u32_e32 v24, vcc_lo, 0, v3, vcc_lo
	s_waitcnt vmcnt(13) lgkmcnt(13)
	ds_store_2addr_stride64_b32 v8, v9, v10 offset1:4
	s_waitcnt vmcnt(11) lgkmcnt(12)
	ds_store_2addr_stride64_b32 v8, v11, v12 offset0:8 offset1:12
	s_waitcnt vmcnt(9) lgkmcnt(11)
	ds_store_2addr_stride64_b32 v8, v13, v14 offset0:16 offset1:20
	;; [unrolled: 2-line block ×6, first 2 shown]
	s_waitcnt vmcnt(0) lgkmcnt(7)
	ds_store_b32 v8, v25 offset:14336
	s_waitcnt lgkmcnt(0)
	s_barrier
	buffer_gl0_inv
	ds_load_2addr_b32 v[21:22], v1 offset1:1
	ds_load_2addr_b32 v[19:20], v1 offset0:2 offset1:3
	ds_load_2addr_b32 v[17:18], v1 offset0:4 offset1:5
	;; [unrolled: 1-line block ×6, first 2 shown]
	ds_load_b32 v57, v1 offset:56
	s_waitcnt lgkmcnt(0)
	s_barrier
	buffer_gl0_inv
	s_clause 0xe
	flat_load_b32 v25, v[2:3]
	flat_load_b32 v26, v[2:3] offset:1024
	flat_load_b32 v27, v[2:3] offset:2048
	flat_load_b32 v2, v[2:3] offset:3072
	flat_load_b32 v3, v[4:5]
	flat_load_b32 v28, v[4:5] offset:1024
	flat_load_b32 v29, v[4:5] offset:2048
	flat_load_b32 v4, v[4:5] offset:3072
	;; [unrolled: 4-line block ×3, first 2 shown]
	flat_load_b32 v7, v[23:24]
	flat_load_b32 v32, v[23:24] offset:1024
	flat_load_b32 v23, v[23:24] offset:2048
	s_waitcnt vmcnt(13) lgkmcnt(13)
	ds_store_2addr_stride64_b32 v8, v25, v26 offset1:4
	s_waitcnt vmcnt(11) lgkmcnt(12)
	ds_store_2addr_stride64_b32 v8, v27, v2 offset0:8 offset1:12
	s_waitcnt vmcnt(9) lgkmcnt(11)
	ds_store_2addr_stride64_b32 v8, v3, v28 offset0:16 offset1:20
	;; [unrolled: 2-line block ×6, first 2 shown]
	s_waitcnt vmcnt(0) lgkmcnt(7)
	ds_store_b32 v8, v23 offset:14336
	s_waitcnt lgkmcnt(0)
	s_barrier
	s_and_not1_b32 vcc_lo, exec_lo, s3
	s_add_i32 s21, s21, s40
	s_cbranch_vccz .LBB135_3
	s_branch .LBB135_50
.LBB135_2:
                                        ; implicit-def: $vgpr1
                                        ; implicit-def: $vgpr21
                                        ; implicit-def: $vgpr19
                                        ; implicit-def: $vgpr17
                                        ; implicit-def: $vgpr15
                                        ; implicit-def: $vgpr13
                                        ; implicit-def: $vgpr11
                                        ; implicit-def: $vgpr9
                                        ; implicit-def: $vgpr57
	s_add_i32 s21, s21, s40
.LBB135_3:
	s_delay_alu instid0(SALU_CYCLE_1)
	v_cmp_gt_u32_e32 vcc_lo, s21, v0
                                        ; implicit-def: $vgpr1
	s_and_saveexec_b32 s0, vcc_lo
	s_cbranch_execz .LBB135_5
; %bb.4:
	v_lshlrev_b32_e32 v1, 2, v0
	s_delay_alu instid0(VALU_DEP_1) | instskip(NEXT) | instid1(VALU_DEP_1)
	v_add_co_u32 v1, s1, s14, v1
	v_add_co_ci_u32_e64 v2, null, s18, 0, s1
	flat_load_b32 v1, v[1:2]
.LBB135_5:
	s_or_b32 exec_lo, exec_lo, s0
	v_or_b32_e32 v2, 0x100, v0
                                        ; implicit-def: $vgpr9
	s_delay_alu instid0(VALU_DEP_1) | instskip(NEXT) | instid1(VALU_DEP_1)
	v_cmp_gt_u32_e64 s0, s21, v2
	s_and_saveexec_b32 s1, s0
	s_cbranch_execz .LBB135_7
; %bb.6:
	v_lshlrev_b32_e32 v2, 2, v0
	s_delay_alu instid0(VALU_DEP_1) | instskip(NEXT) | instid1(VALU_DEP_1)
	v_add_co_u32 v2, s2, s14, v2
	v_add_co_ci_u32_e64 v3, null, s18, 0, s2
	flat_load_b32 v9, v[2:3] offset:1024
.LBB135_7:
	s_or_b32 exec_lo, exec_lo, s1
	v_or_b32_e32 v2, 0x200, v0
                                        ; implicit-def: $vgpr10
	s_delay_alu instid0(VALU_DEP_1) | instskip(NEXT) | instid1(VALU_DEP_1)
	v_cmp_gt_u32_e64 s1, s21, v2
	s_and_saveexec_b32 s2, s1
	s_cbranch_execz .LBB135_9
; %bb.8:
	v_lshlrev_b32_e32 v2, 2, v0
	s_delay_alu instid0(VALU_DEP_1) | instskip(NEXT) | instid1(VALU_DEP_1)
	v_add_co_u32 v2, s3, s14, v2
	v_add_co_ci_u32_e64 v3, null, s18, 0, s3
	flat_load_b32 v10, v[2:3] offset:2048
.LBB135_9:
	s_or_b32 exec_lo, exec_lo, s2
	v_or_b32_e32 v2, 0x300, v0
                                        ; implicit-def: $vgpr11
	s_delay_alu instid0(VALU_DEP_1) | instskip(NEXT) | instid1(VALU_DEP_1)
	v_cmp_gt_u32_e64 s2, s21, v2
	s_and_saveexec_b32 s3, s2
	s_cbranch_execz .LBB135_11
; %bb.10:
	v_lshlrev_b32_e32 v2, 2, v0
	s_delay_alu instid0(VALU_DEP_1) | instskip(NEXT) | instid1(VALU_DEP_1)
	v_add_co_u32 v2, s4, s14, v2
	v_add_co_ci_u32_e64 v3, null, s18, 0, s4
	flat_load_b32 v11, v[2:3] offset:3072
.LBB135_11:
	s_or_b32 exec_lo, exec_lo, s3
	v_or_b32_e32 v2, 0x400, v0
                                        ; implicit-def: $vgpr12
	s_delay_alu instid0(VALU_DEP_1) | instskip(SKIP_1) | instid1(VALU_DEP_2)
	v_cmp_gt_u32_e64 s3, s21, v2
	v_lshlrev_b32_e32 v2, 2, v2
	s_and_saveexec_b32 s4, s3
	s_cbranch_execz .LBB135_13
; %bb.12:
	s_delay_alu instid0(VALU_DEP_1) | instskip(NEXT) | instid1(VALU_DEP_1)
	v_add_co_u32 v3, s5, s14, v2
	v_add_co_ci_u32_e64 v4, null, s18, 0, s5
	flat_load_b32 v12, v[3:4]
.LBB135_13:
	s_or_b32 exec_lo, exec_lo, s4
	v_or_b32_e32 v3, 0x500, v0
                                        ; implicit-def: $vgpr13
	s_delay_alu instid0(VALU_DEP_1) | instskip(SKIP_1) | instid1(VALU_DEP_2)
	v_cmp_gt_u32_e64 s4, s21, v3
	v_lshlrev_b32_e32 v3, 2, v3
	s_and_saveexec_b32 s5, s4
	s_cbranch_execz .LBB135_15
; %bb.14:
	s_delay_alu instid0(VALU_DEP_1) | instskip(NEXT) | instid1(VALU_DEP_1)
	v_add_co_u32 v4, s6, s14, v3
	v_add_co_ci_u32_e64 v5, null, s18, 0, s6
	flat_load_b32 v13, v[4:5]
.LBB135_15:
	s_or_b32 exec_lo, exec_lo, s5
	v_or_b32_e32 v4, 0x600, v0
                                        ; implicit-def: $vgpr14
	s_delay_alu instid0(VALU_DEP_1) | instskip(SKIP_1) | instid1(VALU_DEP_2)
	v_cmp_gt_u32_e64 s5, s21, v4
	v_lshlrev_b32_e32 v4, 2, v4
	s_and_saveexec_b32 s6, s5
	s_cbranch_execz .LBB135_17
; %bb.16:
	s_delay_alu instid0(VALU_DEP_1) | instskip(NEXT) | instid1(VALU_DEP_1)
	v_add_co_u32 v5, s7, s14, v4
	v_add_co_ci_u32_e64 v6, null, s18, 0, s7
	flat_load_b32 v14, v[5:6]
.LBB135_17:
	s_or_b32 exec_lo, exec_lo, s6
	v_or_b32_e32 v5, 0x700, v0
                                        ; implicit-def: $vgpr15
	s_delay_alu instid0(VALU_DEP_1) | instskip(SKIP_1) | instid1(VALU_DEP_2)
	v_cmp_gt_u32_e64 s6, s21, v5
	v_lshlrev_b32_e32 v5, 2, v5
	s_and_saveexec_b32 s7, s6
	s_cbranch_execz .LBB135_19
; %bb.18:
	s_delay_alu instid0(VALU_DEP_1) | instskip(NEXT) | instid1(VALU_DEP_1)
	v_add_co_u32 v6, s8, s14, v5
	v_add_co_ci_u32_e64 v7, null, s18, 0, s8
	flat_load_b32 v15, v[6:7]
.LBB135_19:
	s_or_b32 exec_lo, exec_lo, s7
	v_or_b32_e32 v6, 0x800, v0
                                        ; implicit-def: $vgpr16
	s_delay_alu instid0(VALU_DEP_1) | instskip(SKIP_1) | instid1(VALU_DEP_2)
	v_cmp_gt_u32_e64 s7, s21, v6
	v_lshlrev_b32_e32 v6, 2, v6
	s_and_saveexec_b32 s8, s7
	s_cbranch_execz .LBB135_21
; %bb.20:
	s_delay_alu instid0(VALU_DEP_1) | instskip(NEXT) | instid1(VALU_DEP_1)
	v_add_co_u32 v7, s9, s14, v6
	v_add_co_ci_u32_e64 v8, null, s18, 0, s9
	flat_load_b32 v16, v[7:8]
.LBB135_21:
	s_or_b32 exec_lo, exec_lo, s8
	v_or_b32_e32 v7, 0x900, v0
                                        ; implicit-def: $vgpr17
	s_delay_alu instid0(VALU_DEP_1) | instskip(SKIP_1) | instid1(VALU_DEP_2)
	v_cmp_gt_u32_e64 s8, s21, v7
	v_lshlrev_b32_e32 v7, 2, v7
	s_and_saveexec_b32 s9, s8
	s_cbranch_execz .LBB135_23
; %bb.22:
	s_delay_alu instid0(VALU_DEP_1) | instskip(NEXT) | instid1(VALU_DEP_1)
	v_add_co_u32 v17, s10, s14, v7
	v_add_co_ci_u32_e64 v18, null, s18, 0, s10
	flat_load_b32 v17, v[17:18]
.LBB135_23:
	s_or_b32 exec_lo, exec_lo, s9
	v_or_b32_e32 v8, 0xa00, v0
                                        ; implicit-def: $vgpr18
	s_delay_alu instid0(VALU_DEP_1) | instskip(SKIP_1) | instid1(VALU_DEP_2)
	v_cmp_gt_u32_e64 s9, s21, v8
	v_lshlrev_b32_e32 v23, 2, v8
	s_and_saveexec_b32 s10, s9
	s_cbranch_execz .LBB135_25
; %bb.24:
	s_delay_alu instid0(VALU_DEP_1) | instskip(NEXT) | instid1(VALU_DEP_1)
	v_add_co_u32 v18, s11, s14, v23
	v_add_co_ci_u32_e64 v19, null, s18, 0, s11
	flat_load_b32 v18, v[18:19]
.LBB135_25:
	s_or_b32 exec_lo, exec_lo, s10
	v_or_b32_e32 v8, 0xb00, v0
                                        ; implicit-def: $vgpr19
	s_delay_alu instid0(VALU_DEP_1) | instskip(SKIP_1) | instid1(VALU_DEP_2)
	v_cmp_gt_u32_e64 s10, s21, v8
	v_lshlrev_b32_e32 v24, 2, v8
	s_and_saveexec_b32 s11, s10
	s_cbranch_execz .LBB135_27
; %bb.26:
	s_delay_alu instid0(VALU_DEP_1) | instskip(NEXT) | instid1(VALU_DEP_1)
	v_add_co_u32 v19, s12, s14, v24
	v_add_co_ci_u32_e64 v20, null, s18, 0, s12
	flat_load_b32 v19, v[19:20]
.LBB135_27:
	s_or_b32 exec_lo, exec_lo, s11
	v_or_b32_e32 v8, 0xc00, v0
                                        ; implicit-def: $vgpr20
	s_delay_alu instid0(VALU_DEP_1) | instskip(SKIP_1) | instid1(VALU_DEP_2)
	v_cmp_gt_u32_e64 s11, s21, v8
	v_lshlrev_b32_e32 v25, 2, v8
	s_and_saveexec_b32 s12, s11
	s_cbranch_execz .LBB135_29
; %bb.28:
	s_delay_alu instid0(VALU_DEP_1) | instskip(NEXT) | instid1(VALU_DEP_1)
	v_add_co_u32 v20, s13, s14, v25
	v_add_co_ci_u32_e64 v21, null, s18, 0, s13
	flat_load_b32 v20, v[20:21]
.LBB135_29:
	s_or_b32 exec_lo, exec_lo, s12
	v_or_b32_e32 v8, 0xd00, v0
                                        ; implicit-def: $vgpr21
	s_delay_alu instid0(VALU_DEP_1) | instskip(SKIP_1) | instid1(VALU_DEP_2)
	v_cmp_gt_u32_e64 s12, s21, v8
	v_lshlrev_b32_e32 v26, 2, v8
	s_and_saveexec_b32 s13, s12
	s_cbranch_execz .LBB135_31
; %bb.30:
	s_delay_alu instid0(VALU_DEP_1) | instskip(NEXT) | instid1(VALU_DEP_1)
	v_add_co_u32 v21, s30, s14, v26
	v_add_co_ci_u32_e64 v22, null, s18, 0, s30
	flat_load_b32 v21, v[21:22]
.LBB135_31:
	s_or_b32 exec_lo, exec_lo, s13
	v_or_b32_e32 v8, 0xe00, v0
                                        ; implicit-def: $vgpr22
	s_delay_alu instid0(VALU_DEP_1) | instskip(SKIP_1) | instid1(VALU_DEP_2)
	v_cmp_gt_u32_e64 s13, s21, v8
	v_lshlrev_b32_e32 v27, 2, v8
	s_and_saveexec_b32 s30, s13
	s_cbranch_execz .LBB135_33
; %bb.32:
	s_delay_alu instid0(VALU_DEP_1) | instskip(NEXT) | instid1(VALU_DEP_1)
	v_add_co_u32 v28, s31, s14, v27
	v_add_co_ci_u32_e64 v29, null, s18, 0, s31
	flat_load_b32 v22, v[28:29]
.LBB135_33:
	s_or_b32 exec_lo, exec_lo, s30
	v_lshlrev_b32_e32 v8, 2, v0
                                        ; implicit-def: $vgpr28
	s_waitcnt vmcnt(0) lgkmcnt(0)
	ds_store_2addr_stride64_b32 v8, v1, v9 offset1:4
	ds_store_2addr_stride64_b32 v8, v10, v11 offset0:8 offset1:12
	ds_store_2addr_stride64_b32 v8, v12, v13 offset0:16 offset1:20
	;; [unrolled: 1-line block ×6, first 2 shown]
	v_mad_u32_u24 v1, v0, 56, v8
	ds_store_b32 v8, v22 offset:14336
	s_waitcnt lgkmcnt(0)
	s_barrier
	buffer_gl0_inv
	ds_load_2addr_b32 v[21:22], v1 offset1:1
	ds_load_2addr_b32 v[19:20], v1 offset0:2 offset1:3
	ds_load_2addr_b32 v[17:18], v1 offset0:4 offset1:5
	;; [unrolled: 1-line block ×6, first 2 shown]
	ds_load_b32 v57, v1 offset:56
	s_waitcnt lgkmcnt(0)
	s_barrier
	buffer_gl0_inv
	s_and_saveexec_b32 s30, vcc_lo
	s_cbranch_execz .LBB135_56
; %bb.34:
	v_add_co_u32 v28, s31, s28, v8
	s_delay_alu instid0(VALU_DEP_1)
	v_add_co_ci_u32_e64 v29, null, s29, 0, s31
	flat_load_b32 v28, v[28:29]
	s_or_b32 exec_lo, exec_lo, s30
                                        ; implicit-def: $vgpr29
	s_and_saveexec_b32 s30, s0
	s_cbranch_execnz .LBB135_57
.LBB135_35:
	s_or_b32 exec_lo, exec_lo, s30
                                        ; implicit-def: $vgpr30
	s_and_saveexec_b32 s0, s1
	s_cbranch_execz .LBB135_58
.LBB135_36:
	v_add_co_u32 v30, s1, s28, v8
	s_delay_alu instid0(VALU_DEP_1)
	v_add_co_ci_u32_e64 v31, null, s29, 0, s1
	flat_load_b32 v30, v[30:31] offset:2048
	s_or_b32 exec_lo, exec_lo, s0
                                        ; implicit-def: $vgpr31
	s_and_saveexec_b32 s0, s2
	s_cbranch_execnz .LBB135_59
.LBB135_37:
	s_or_b32 exec_lo, exec_lo, s0
                                        ; implicit-def: $vgpr32
	s_and_saveexec_b32 s0, s3
	s_cbranch_execz .LBB135_60
.LBB135_38:
	v_add_co_u32 v32, s1, s28, v2
	s_delay_alu instid0(VALU_DEP_1)
	v_add_co_ci_u32_e64 v33, null, s29, 0, s1
	flat_load_b32 v32, v[32:33]
	s_or_b32 exec_lo, exec_lo, s0
                                        ; implicit-def: $vgpr2
	s_and_saveexec_b32 s0, s4
	s_cbranch_execnz .LBB135_61
.LBB135_39:
	s_or_b32 exec_lo, exec_lo, s0
                                        ; implicit-def: $vgpr3
	s_and_saveexec_b32 s0, s5
	s_cbranch_execz .LBB135_62
.LBB135_40:
	v_add_co_u32 v3, s1, s28, v4
	s_delay_alu instid0(VALU_DEP_1)
	v_add_co_ci_u32_e64 v4, null, s29, 0, s1
	flat_load_b32 v3, v[3:4]
	s_or_b32 exec_lo, exec_lo, s0
                                        ; implicit-def: $vgpr4
	s_and_saveexec_b32 s0, s6
	s_cbranch_execnz .LBB135_63
.LBB135_41:
	s_or_b32 exec_lo, exec_lo, s0
                                        ; implicit-def: $vgpr5
	s_and_saveexec_b32 s0, s7
	s_cbranch_execz .LBB135_64
.LBB135_42:
	v_add_co_u32 v5, s1, s28, v6
	s_delay_alu instid0(VALU_DEP_1)
	v_add_co_ci_u32_e64 v6, null, s29, 0, s1
	flat_load_b32 v5, v[5:6]
	s_or_b32 exec_lo, exec_lo, s0
                                        ; implicit-def: $vgpr6
	s_and_saveexec_b32 s0, s8
	s_cbranch_execnz .LBB135_65
.LBB135_43:
	s_or_b32 exec_lo, exec_lo, s0
                                        ; implicit-def: $vgpr7
	s_and_saveexec_b32 s0, s9
	s_cbranch_execz .LBB135_66
.LBB135_44:
	v_add_co_u32 v33, s1, s28, v23
	s_delay_alu instid0(VALU_DEP_1)
	v_add_co_ci_u32_e64 v34, null, s29, 0, s1
	flat_load_b32 v7, v[33:34]
	s_or_b32 exec_lo, exec_lo, s0
                                        ; implicit-def: $vgpr23
	s_and_saveexec_b32 s0, s10
	s_cbranch_execnz .LBB135_67
.LBB135_45:
	s_or_b32 exec_lo, exec_lo, s0
                                        ; implicit-def: $vgpr24
	s_and_saveexec_b32 s0, s11
	s_cbranch_execz .LBB135_68
.LBB135_46:
	v_add_co_u32 v24, s1, s28, v25
	s_delay_alu instid0(VALU_DEP_1)
	v_add_co_ci_u32_e64 v25, null, s29, 0, s1
	flat_load_b32 v24, v[24:25]
	s_or_b32 exec_lo, exec_lo, s0
                                        ; implicit-def: $vgpr25
	s_and_saveexec_b32 s0, s12
	s_cbranch_execnz .LBB135_69
.LBB135_47:
	s_or_b32 exec_lo, exec_lo, s0
                                        ; implicit-def: $vgpr26
	s_and_saveexec_b32 s0, s13
	s_cbranch_execz .LBB135_49
.LBB135_48:
	v_add_co_u32 v26, s1, s28, v27
	s_delay_alu instid0(VALU_DEP_1)
	v_add_co_ci_u32_e64 v27, null, s29, 0, s1
	flat_load_b32 v26, v[26:27]
.LBB135_49:
	s_or_b32 exec_lo, exec_lo, s0
	s_waitcnt vmcnt(0) lgkmcnt(0)
	ds_store_2addr_stride64_b32 v8, v28, v29 offset1:4
	ds_store_2addr_stride64_b32 v8, v30, v31 offset0:8 offset1:12
	ds_store_2addr_stride64_b32 v8, v32, v2 offset0:16 offset1:20
	;; [unrolled: 1-line block ×6, first 2 shown]
	ds_store_b32 v8, v26 offset:14336
	s_waitcnt lgkmcnt(0)
	s_barrier
.LBB135_50:
	buffer_gl0_inv
	ds_load_2addr_b32 v[47:48], v1 offset1:1
	ds_load_2addr_b32 v[45:46], v1 offset0:2 offset1:3
	ds_load_2addr_b32 v[43:44], v1 offset0:4 offset1:5
	;; [unrolled: 1-line block ×6, first 2 shown]
	ds_load_b32 v60, v1 offset:56
	s_cmp_eq_u64 s[16:17], 0
	s_waitcnt lgkmcnt(0)
	s_cselect_b32 s28, -1, 0
	s_cmp_lg_u64 s[16:17], 0
	s_barrier
	s_cselect_b32 s29, -1, 0
	s_and_b32 vcc_lo, exec_lo, s19
	buffer_gl0_inv
	s_cbranch_vccz .LBB135_70
; %bb.51:
	s_and_b32 vcc_lo, exec_lo, s29
	s_cbranch_vccz .LBB135_103
; %bb.52:
	v_add_co_u32 v1, s0, -4, s14
	s_delay_alu instid0(VALU_DEP_1)
	v_add_co_ci_u32_e64 v2, null, -1, s18, s0
	v_cvt_i32_f32_e32 v4, v57
	v_cvt_i32_f32_e32 v5, v9
	;; [unrolled: 1-line block ×3, first 2 shown]
	flat_load_b32 v1, v[1:2]
	v_cvt_i32_f32_e32 v2, v10
	v_mul_hi_i32 v4, 0x66666667, v4
	v_mul_hi_i32 v5, 0x66666667, v5
	;; [unrolled: 1-line block ×3, first 2 shown]
	v_cvt_i32_f32_e32 v23, v11
	v_mul_hi_i32 v3, 0x66666667, v2
	v_cvt_i32_f32_e32 v25, v18
	v_lshlrev_b32_e32 v2, 2, v0
	s_mov_b32 s19, -1
	s_mov_b32 s30, 0
	v_lshrrev_b32_e32 v8, 31, v5
	v_ashrrev_i32_e32 v5, 2, v5
	v_lshrrev_b32_e32 v24, 31, v7
	v_lshrrev_b32_e32 v6, 31, v3
	v_ashrrev_i32_e32 v3, 2, v3
	v_ashrrev_i32_e32 v7, 2, v7
	v_add_nc_u32_e32 v5, v5, v8
	v_cvt_i32_f32_e32 v8, v14
	v_mul_hi_i32 v25, 0x66666667, v25
	v_add_nc_u32_e32 v3, v3, v6
	v_lshrrev_b32_e32 v6, 31, v4
	v_ashrrev_i32_e32 v4, 2, v4
	v_add_nc_u32_e32 v7, v7, v24
	s_mov_b32 s31, exec_lo
	v_cmp_ne_u32_e64 s0, v5, v3
	ds_store_b32 v2, v57
	v_add_nc_u32_e32 v4, v4, v6
	v_mul_hi_i32 v6, 0x66666667, v23
	v_cmp_ne_u32_e64 s1, v7, v5
	v_cvt_i32_f32_e32 v5, v16
	v_cvt_i32_f32_e32 v23, v15
	v_cmp_ne_u32_e32 vcc_lo, v3, v4
	v_cvt_i32_f32_e32 v3, v13
	v_mul_hi_i32 v4, 0x66666667, v8
	v_mul_hi_i32 v5, 0x66666667, v5
	v_lshrrev_b32_e32 v8, 31, v6
	v_ashrrev_i32_e32 v6, 2, v6
	v_mul_hi_i32 v3, 0x66666667, v3
	s_waitcnt vmcnt(0) lgkmcnt(0)
	s_barrier
	buffer_gl0_inv
	v_add_nc_u32_e32 v6, v6, v8
	v_mul_hi_i32 v8, 0x66666667, v23
	v_lshrrev_b32_e32 v24, 31, v4
	v_ashrrev_i32_e32 v4, 2, v4
	v_lshrrev_b32_e32 v23, 31, v3
	v_ashrrev_i32_e32 v3, 2, v3
	v_cmp_ne_u32_e64 s3, v6, v7
	v_ashrrev_i32_e32 v7, 2, v25
	v_add_nc_u32_e32 v4, v4, v24
	v_lshrrev_b32_e32 v24, 31, v5
	v_ashrrev_i32_e32 v5, 2, v5
	v_add_nc_u32_e32 v3, v3, v23
	v_lshrrev_b32_e32 v23, 31, v8
	v_ashrrev_i32_e32 v8, 2, v8
	v_cmp_ne_u32_e64 s4, v4, v6
	v_add_nc_u32_e32 v5, v5, v24
	v_cmp_ne_u32_e64 s5, v3, v4
	v_lshrrev_b32_e32 v6, 31, v25
	v_add_nc_u32_e32 v4, v8, v23
	v_cvt_i32_f32_e32 v8, v19
	v_cmp_ne_u32_e64 s2, v5, v3
	v_cvt_i32_f32_e32 v3, v17
	v_add_nc_u32_e32 v6, v7, v6
	v_cmp_ne_u32_e64 s6, v4, v5
	v_cvt_i32_f32_e32 v5, v20
	v_cvt_i32_f32_e32 v7, v22
	v_cvt_i32_f32_e32 v23, v21
	v_mul_hi_i32 v3, 0x66666667, v3
	v_mul_hi_i32 v8, 0x66666667, v8
	;; [unrolled: 1-line block ×3, first 2 shown]
	v_cmp_ne_u32_e64 s7, v6, v4
	v_mul_hi_i32 v4, 0x66666667, v7
	v_mul_hi_i32 v23, 0x66666667, v23
	v_lshrrev_b32_e32 v7, 31, v3
	v_ashrrev_i32_e32 v3, 2, v3
	v_lshrrev_b32_e32 v24, 31, v5
	v_ashrrev_i32_e32 v5, 2, v5
	;; [unrolled: 2-line block ×5, first 2 shown]
	v_add_nc_u32_e32 v7, v3, v7
	v_add_nc_u32_e32 v5, v5, v24
	;; [unrolled: 1-line block ×5, first 2 shown]
	v_cmp_ne_u32_e64 s12, v7, v6
	v_cmp_ne_u32_e64 s8, v5, v7
	;; [unrolled: 1-line block ×5, first 2 shown]
	v_cmpx_ne_u32_e32 0, v0
	s_cbranch_execz .LBB135_54
; %bb.53:
	v_add_nc_u32_e32 v1, -4, v2
	ds_load_b32 v1, v1
.LBB135_54:
	s_or_b32 exec_lo, exec_lo, s31
	s_waitcnt lgkmcnt(0)
	v_cvt_i32_f32_e32 v1, v1
	v_cndmask_b32_e64 v58, 0, 1, vcc_lo
	v_cndmask_b32_e64 v2, 0, 1, s0
	v_cndmask_b32_e64 v59, 0, 1, s1
	v_cndmask_b32_e64 v24, 0, 1, s3
	v_mul_hi_i32 v1, 0x66666667, v1
	v_cndmask_b32_e64 v23, 0, 1, s4
	v_cndmask_b32_e64 v26, 0, 1, s5
	;; [unrolled: 1-line block ×7, first 2 shown]
	v_lshrrev_b32_e32 v4, 31, v1
	v_ashrrev_i32_e32 v1, 2, v1
	v_cndmask_b32_e64 v34, 0, 1, s9
	v_cndmask_b32_e64 v33, 0, 1, s10
	;; [unrolled: 1-line block ×3, first 2 shown]
	s_delay_alu instid0(VALU_DEP_4) | instskip(NEXT) | instid1(VALU_DEP_1)
	v_add_nc_u32_e32 v1, v1, v4
	v_cmp_ne_u32_e64 s2, v1, v3
	s_and_b32 vcc_lo, exec_lo, s30
	s_cbranch_vccnz .LBB135_104
.LBB135_55:
                                        ; implicit-def: $sgpr0
	v_mov_b32_e32 v28, v2
	s_branch .LBB135_71
.LBB135_56:
	s_or_b32 exec_lo, exec_lo, s30
                                        ; implicit-def: $vgpr29
	s_and_saveexec_b32 s30, s0
	s_cbranch_execz .LBB135_35
.LBB135_57:
	v_add_co_u32 v29, s0, s28, v8
	s_delay_alu instid0(VALU_DEP_1)
	v_add_co_ci_u32_e64 v30, null, s29, 0, s0
	flat_load_b32 v29, v[29:30] offset:1024
	s_or_b32 exec_lo, exec_lo, s30
                                        ; implicit-def: $vgpr30
	s_and_saveexec_b32 s0, s1
	s_cbranch_execnz .LBB135_36
.LBB135_58:
	s_or_b32 exec_lo, exec_lo, s0
                                        ; implicit-def: $vgpr31
	s_and_saveexec_b32 s0, s2
	s_cbranch_execz .LBB135_37
.LBB135_59:
	v_add_co_u32 v31, s1, s28, v8
	s_delay_alu instid0(VALU_DEP_1)
	v_add_co_ci_u32_e64 v32, null, s29, 0, s1
	flat_load_b32 v31, v[31:32] offset:3072
	s_or_b32 exec_lo, exec_lo, s0
                                        ; implicit-def: $vgpr32
	s_and_saveexec_b32 s0, s3
	s_cbranch_execnz .LBB135_38
.LBB135_60:
	s_or_b32 exec_lo, exec_lo, s0
                                        ; implicit-def: $vgpr2
	s_and_saveexec_b32 s0, s4
	s_cbranch_execz .LBB135_39
.LBB135_61:
	v_add_co_u32 v2, s1, s28, v3
	s_delay_alu instid0(VALU_DEP_1)
	v_add_co_ci_u32_e64 v3, null, s29, 0, s1
	flat_load_b32 v2, v[2:3]
	s_or_b32 exec_lo, exec_lo, s0
                                        ; implicit-def: $vgpr3
	s_and_saveexec_b32 s0, s5
	s_cbranch_execnz .LBB135_40
.LBB135_62:
	s_or_b32 exec_lo, exec_lo, s0
                                        ; implicit-def: $vgpr4
	s_and_saveexec_b32 s0, s6
	s_cbranch_execz .LBB135_41
.LBB135_63:
	v_add_co_u32 v4, s1, s28, v5
	s_delay_alu instid0(VALU_DEP_1)
	v_add_co_ci_u32_e64 v5, null, s29, 0, s1
	flat_load_b32 v4, v[4:5]
	s_or_b32 exec_lo, exec_lo, s0
                                        ; implicit-def: $vgpr5
	s_and_saveexec_b32 s0, s7
	s_cbranch_execnz .LBB135_42
.LBB135_64:
	s_or_b32 exec_lo, exec_lo, s0
                                        ; implicit-def: $vgpr6
	s_and_saveexec_b32 s0, s8
	s_cbranch_execz .LBB135_43
.LBB135_65:
	v_add_co_u32 v6, s1, s28, v7
	s_delay_alu instid0(VALU_DEP_1)
	v_add_co_ci_u32_e64 v7, null, s29, 0, s1
	flat_load_b32 v6, v[6:7]
	s_or_b32 exec_lo, exec_lo, s0
                                        ; implicit-def: $vgpr7
	s_and_saveexec_b32 s0, s9
	s_cbranch_execnz .LBB135_44
.LBB135_66:
	s_or_b32 exec_lo, exec_lo, s0
                                        ; implicit-def: $vgpr23
	s_and_saveexec_b32 s0, s10
	s_cbranch_execz .LBB135_45
.LBB135_67:
	v_add_co_u32 v23, s1, s28, v24
	s_delay_alu instid0(VALU_DEP_1)
	v_add_co_ci_u32_e64 v24, null, s29, 0, s1
	flat_load_b32 v23, v[23:24]
	s_or_b32 exec_lo, exec_lo, s0
                                        ; implicit-def: $vgpr24
	s_and_saveexec_b32 s0, s11
	s_cbranch_execnz .LBB135_46
.LBB135_68:
	s_or_b32 exec_lo, exec_lo, s0
                                        ; implicit-def: $vgpr25
	s_and_saveexec_b32 s0, s12
	s_cbranch_execz .LBB135_47
.LBB135_69:
	v_add_co_u32 v25, s1, s28, v26
	s_delay_alu instid0(VALU_DEP_1)
	v_add_co_ci_u32_e64 v26, null, s29, 0, s1
	flat_load_b32 v25, v[25:26]
	s_or_b32 exec_lo, exec_lo, s0
                                        ; implicit-def: $vgpr26
	s_and_saveexec_b32 s0, s13
	s_cbranch_execnz .LBB135_48
	s_branch .LBB135_49
.LBB135_70:
	s_mov_b32 s19, 0
                                        ; implicit-def: $sgpr2
                                        ; implicit-def: $vgpr58
                                        ; implicit-def: $vgpr2
                                        ; implicit-def: $vgpr59
                                        ; implicit-def: $vgpr24
                                        ; implicit-def: $vgpr23
                                        ; implicit-def: $vgpr26
                                        ; implicit-def: $vgpr25
                                        ; implicit-def: $vgpr30
                                        ; implicit-def: $vgpr29
                                        ; implicit-def: $vgpr32
                                        ; implicit-def: $vgpr31
                                        ; implicit-def: $vgpr34
                                        ; implicit-def: $vgpr33
                                        ; implicit-def: $vgpr50
                                        ; implicit-def: $vgpr28
                                        ; implicit-def: $sgpr0
	s_cbranch_execnz .LBB135_107
.LBB135_71:
	v_mov_b32_e32 v27, s0
	s_and_saveexec_b32 s0, s19
.LBB135_72:
	v_cndmask_b32_e64 v27, 0, 1, s2
	v_mov_b32_e32 v28, v2
.LBB135_73:
	s_or_b32 exec_lo, exec_lo, s0
	s_delay_alu instid0(VALU_DEP_1)
	v_add3_u32 v1, v50, v27, v33
	v_add_f32_e32 v76, v47, v48
	v_cmp_eq_u32_e64 s12, 0, v50
	v_cmp_eq_u32_e64 s11, 0, v33
	;; [unrolled: 1-line block ×3, first 2 shown]
	v_add3_u32 v75, v1, v34, v31
	v_cmp_eq_u32_e64 s10, 0, v31
	v_cmp_eq_u32_e64 s8, 0, v32
	;; [unrolled: 1-line block ×10, first 2 shown]
	v_cmp_eq_u32_e32 vcc_lo, 0, v58
	v_mbcnt_lo_u32_b32 v72, -1, 0
	v_lshrrev_b32_e32 v73, 5, v0
	v_or_b32_e32 v74, 31, v0
	s_cmp_eq_u64 s[26:27], 0
	s_cselect_b32 s26, -1, 0
	s_cmp_lg_u32 s15, 0
	s_cbranch_scc0 .LBB135_101
; %bb.74:
	v_add3_u32 v2, v75, v32, v29
	v_cndmask_b32_e64 v1, v48, v76, s12
	s_mov_b32 s14, exec_lo
	v_and_b32_e32 v4, 15, v72
	v_and_b32_e32 v6, 16, v72
	v_add3_u32 v2, v2, v30, v25
	v_add_f32_e32 v1, v45, v1
	s_delay_alu instid0(VALU_DEP_2) | instskip(NEXT) | instid1(VALU_DEP_2)
	v_add3_u32 v2, v2, v26, v23
	v_cndmask_b32_e64 v1, v45, v1, s11
	s_delay_alu instid0(VALU_DEP_2) | instskip(NEXT) | instid1(VALU_DEP_1)
	v_add3_u32 v2, v2, v24, v59
	v_add3_u32 v2, v2, v28, v58
	s_delay_alu instid0(VALU_DEP_3) | instskip(SKIP_1) | instid1(VALU_DEP_2)
	v_add_f32_e32 v1, v46, v1
	s_waitcnt lgkmcnt(0)
	v_mov_b32_dpp v5, v2 row_shr:1 row_mask:0xf bank_mask:0xf
	s_delay_alu instid0(VALU_DEP_2) | instskip(NEXT) | instid1(VALU_DEP_1)
	v_cndmask_b32_e64 v1, v46, v1, s9
	v_add_f32_e32 v1, v43, v1
	s_delay_alu instid0(VALU_DEP_1) | instskip(NEXT) | instid1(VALU_DEP_1)
	v_cndmask_b32_e64 v1, v43, v1, s10
	v_add_f32_e32 v1, v44, v1
	s_delay_alu instid0(VALU_DEP_1) | instskip(NEXT) | instid1(VALU_DEP_1)
	;; [unrolled: 3-line block ×10, first 2 shown]
	v_cndmask_b32_e64 v1, v36, v1, s0
	v_add_f32_e32 v1, v60, v1
	s_delay_alu instid0(VALU_DEP_1) | instskip(SKIP_1) | instid1(VALU_DEP_2)
	v_cndmask_b32_e32 v1, v60, v1, vcc_lo
	v_cmp_eq_u32_e32 vcc_lo, 0, v2
	v_mov_b32_dpp v3, v1 row_shr:1 row_mask:0xf bank_mask:0xf
	s_delay_alu instid0(VALU_DEP_1) | instskip(NEXT) | instid1(VALU_DEP_1)
	v_add_f32_e32 v3, v1, v3
	v_cndmask_b32_e32 v3, v1, v3, vcc_lo
	v_cmp_eq_u32_e32 vcc_lo, 0, v4
	v_cndmask_b32_e64 v5, v5, 0, vcc_lo
	s_delay_alu instid0(VALU_DEP_1) | instskip(NEXT) | instid1(VALU_DEP_1)
	v_dual_cndmask_b32 v1, v3, v1 :: v_dual_add_nc_u32 v2, v5, v2
	v_mov_b32_dpp v3, v1 row_shr:2 row_mask:0xf bank_mask:0xf
	s_delay_alu instid0(VALU_DEP_2) | instskip(NEXT) | instid1(VALU_DEP_2)
	v_cmp_eq_u32_e32 vcc_lo, 0, v2
	v_add_f32_e32 v3, v1, v3
	v_mov_b32_dpp v5, v2 row_shr:2 row_mask:0xf bank_mask:0xf
	s_delay_alu instid0(VALU_DEP_2) | instskip(SKIP_1) | instid1(VALU_DEP_2)
	v_cndmask_b32_e32 v3, v1, v3, vcc_lo
	v_cmp_lt_u32_e32 vcc_lo, 1, v4
	v_cndmask_b32_e32 v1, v1, v3, vcc_lo
	s_delay_alu instid0(VALU_DEP_4) | instskip(NEXT) | instid1(VALU_DEP_2)
	v_cndmask_b32_e32 v3, 0, v5, vcc_lo
	v_mov_b32_dpp v5, v1 row_shr:4 row_mask:0xf bank_mask:0xf
	s_delay_alu instid0(VALU_DEP_1) | instskip(NEXT) | instid1(VALU_DEP_1)
	v_dual_add_f32 v3, v1, v5 :: v_dual_add_nc_u32 v2, v2, v3
	v_cmp_eq_u32_e32 vcc_lo, 0, v2
	v_mov_b32_dpp v5, v2 row_shr:4 row_mask:0xf bank_mask:0xf
	s_delay_alu instid0(VALU_DEP_3) | instskip(SKIP_1) | instid1(VALU_DEP_2)
	v_cndmask_b32_e32 v3, v1, v3, vcc_lo
	v_cmp_lt_u32_e32 vcc_lo, 3, v4
	v_cndmask_b32_e32 v1, v1, v3, vcc_lo
	s_delay_alu instid0(VALU_DEP_4) | instskip(NEXT) | instid1(VALU_DEP_2)
	v_cndmask_b32_e32 v3, 0, v5, vcc_lo
	v_mov_b32_dpp v5, v1 row_shr:8 row_mask:0xf bank_mask:0xf
	s_delay_alu instid0(VALU_DEP_1) | instskip(NEXT) | instid1(VALU_DEP_1)
	v_dual_add_f32 v2, v1, v5 :: v_dual_add_nc_u32 v3, v3, v2
	v_cmp_eq_u32_e32 vcc_lo, 0, v3
	v_mov_b32_dpp v5, v3 row_shr:8 row_mask:0xf bank_mask:0xf
	s_delay_alu instid0(VALU_DEP_3) | instskip(SKIP_1) | instid1(VALU_DEP_2)
	v_cndmask_b32_e32 v2, v1, v2, vcc_lo
	v_cmp_lt_u32_e32 vcc_lo, 7, v4
	v_dual_cndmask_b32 v2, v1, v2 :: v_dual_cndmask_b32 v1, 0, v5
	v_bfe_i32 v5, v72, 4, 1
	s_delay_alu instid0(VALU_DEP_2)
	v_add_nc_u32_e32 v1, v1, v3
	ds_swizzle_b32 v3, v2 offset:swizzle(BROADCAST,32,15)
	ds_swizzle_b32 v4, v1 offset:swizzle(BROADCAST,32,15)
	v_cmp_eq_u32_e32 vcc_lo, 0, v1
	s_waitcnt lgkmcnt(1)
	v_add_f32_e32 v3, v2, v3
	s_waitcnt lgkmcnt(0)
	v_and_b32_e32 v7, v5, v4
	s_delay_alu instid0(VALU_DEP_2) | instskip(SKIP_2) | instid1(VALU_DEP_4)
	v_cndmask_b32_e32 v5, v2, v3, vcc_lo
	v_cmp_eq_u32_e32 vcc_lo, 0, v6
	v_lshlrev_b32_e32 v4, 3, v73
	v_add_nc_u32_e32 v1, v7, v1
	s_delay_alu instid0(VALU_DEP_4)
	v_cndmask_b32_e32 v3, v5, v2, vcc_lo
	v_cmpx_eq_u32_e64 v74, v0
	s_cbranch_execz .LBB135_76
; %bb.75:
	v_cndmask_b32_e32 v2, v5, v2, vcc_lo
	ds_store_b64 v4, v[1:2] offset:2064
.LBB135_76:
	s_or_b32 exec_lo, exec_lo, s14
	s_delay_alu instid0(SALU_CYCLE_1)
	s_mov_b32 s14, exec_lo
	s_waitcnt lgkmcnt(0)
	s_barrier
	buffer_gl0_inv
	v_cmpx_gt_u32_e32 8, v0
	s_cbranch_execz .LBB135_78
; %bb.77:
	v_lshlrev_b32_e32 v2, 3, v0
	ds_load_b64 v[5:6], v2 offset:2064
	s_waitcnt lgkmcnt(0)
	v_mov_b32_dpp v7, v6 row_shr:1 row_mask:0xf bank_mask:0xf
	v_cmp_eq_u32_e32 vcc_lo, 0, v5
	v_mov_b32_dpp v49, v5 row_shr:1 row_mask:0xf bank_mask:0xf
	s_delay_alu instid0(VALU_DEP_3) | instskip(NEXT) | instid1(VALU_DEP_1)
	v_dual_add_f32 v7, v6, v7 :: v_dual_and_b32 v8, 7, v72
	v_cndmask_b32_e32 v7, v6, v7, vcc_lo
	s_delay_alu instid0(VALU_DEP_2) | instskip(NEXT) | instid1(VALU_DEP_4)
	v_cmp_eq_u32_e32 vcc_lo, 0, v8
	v_cndmask_b32_e64 v49, v49, 0, vcc_lo
	s_delay_alu instid0(VALU_DEP_1) | instskip(NEXT) | instid1(VALU_DEP_1)
	v_dual_cndmask_b32 v6, v7, v6 :: v_dual_add_nc_u32 v5, v49, v5
	v_mov_b32_dpp v7, v6 row_shr:2 row_mask:0xf bank_mask:0xf
	s_delay_alu instid0(VALU_DEP_2) | instskip(NEXT) | instid1(VALU_DEP_2)
	v_cmp_eq_u32_e32 vcc_lo, 0, v5
	v_add_f32_e32 v7, v6, v7
	v_mov_b32_dpp v49, v5 row_shr:2 row_mask:0xf bank_mask:0xf
	s_delay_alu instid0(VALU_DEP_2) | instskip(SKIP_1) | instid1(VALU_DEP_2)
	v_cndmask_b32_e32 v7, v6, v7, vcc_lo
	v_cmp_lt_u32_e32 vcc_lo, 1, v8
	v_dual_cndmask_b32 v6, v6, v7 :: v_dual_cndmask_b32 v7, 0, v49
	v_cmp_lt_u32_e32 vcc_lo, 3, v8
	s_delay_alu instid0(VALU_DEP_2) | instskip(NEXT) | instid1(VALU_DEP_1)
	v_mov_b32_dpp v49, v6 row_shr:4 row_mask:0xf bank_mask:0xf
	v_add_f32_e32 v8, v6, v49
	s_delay_alu instid0(VALU_DEP_4) | instskip(NEXT) | instid1(VALU_DEP_1)
	v_add_nc_u32_e32 v5, v7, v5
	v_mov_b32_dpp v7, v5 row_shr:4 row_mask:0xf bank_mask:0xf
	v_cmp_eq_u32_e64 s13, 0, v5
	s_delay_alu instid0(VALU_DEP_2) | instskip(NEXT) | instid1(VALU_DEP_2)
	v_cndmask_b32_e32 v7, 0, v7, vcc_lo
	s_and_b32 vcc_lo, vcc_lo, s13
	s_delay_alu instid0(VALU_DEP_1)
	v_dual_cndmask_b32 v6, v6, v8 :: v_dual_add_nc_u32 v5, v7, v5
	ds_store_b64 v2, v[5:6] offset:2064
.LBB135_78:
	s_or_b32 exec_lo, exec_lo, s14
	v_cmp_gt_u32_e32 vcc_lo, 32, v0
	v_dual_mov_b32 v51, 0 :: v_dual_mov_b32 v52, 0
	s_mov_b32 s14, exec_lo
	s_waitcnt lgkmcnt(0)
	s_barrier
	buffer_gl0_inv
	v_cmpx_lt_u32_e32 31, v0
	s_cbranch_execz .LBB135_80
; %bb.79:
	ds_load_b64 v[51:52], v4 offset:2056
	v_cmp_eq_u32_e64 s13, 0, v1
	s_waitcnt lgkmcnt(0)
	v_add_nc_u32_e32 v4, v51, v1
	s_delay_alu instid0(VALU_DEP_1) | instskip(NEXT) | instid1(VALU_DEP_1)
	v_dual_add_f32 v2, v3, v52 :: v_dual_mov_b32 v1, v4
	v_cndmask_b32_e64 v3, v3, v2, s13
.LBB135_80:
	s_or_b32 exec_lo, exec_lo, s14
	v_add_nc_u32_e32 v2, -1, v72
	s_mov_b32 s16, -1
	s_mov_b32 s27, 0
	s_mov_b32 s14, 0
	s_delay_alu instid0(VALU_DEP_1) | instskip(NEXT) | instid1(VALU_DEP_1)
	v_cmp_gt_i32_e64 s13, 0, v2
	v_cndmask_b32_e64 v2, v2, v72, s13
	v_cmp_eq_u32_e64 s13, 0, v72
	s_delay_alu instid0(VALU_DEP_2)
	v_lshlrev_b32_e32 v2, 2, v2
	ds_bpermute_b32 v77, v2, v1
	ds_bpermute_b32 v78, v2, v3
	s_and_saveexec_b32 s29, vcc_lo
                                        ; implicit-def: $vgpr2_vgpr3_vgpr4
	s_cbranch_execz .LBB135_192
; %bb.81:
	v_mov_b32_e32 v4, 0
	ds_load_b64 v[1:2], v4 offset:2120
	s_waitcnt lgkmcnt(0)
	v_readfirstlane_b32 s30, v2
	s_and_saveexec_b32 s14, s13
	s_cbranch_execz .LBB135_83
; %bb.82:
	s_add_i32 s16, s15, 32
	s_mov_b32 s17, 0
	v_mov_b32_e32 v3, 1
	s_lshl_b64 s[18:19], s[16:17], 4
	s_mov_b32 s40, s17
	s_add_u32 s18, s24, s18
	s_addc_u32 s19, s25, s19
	s_and_b32 s41, s30, 0xff000000
	s_and_b32 s45, s30, 0xff0000
	s_mov_b32 s44, s17
	v_dual_mov_b32 v5, s18 :: v_dual_mov_b32 v6, s19
	s_or_b64 s[40:41], s[44:45], s[40:41]
	s_and_b32 s45, s30, 0xff00
	s_delay_alu instid0(SALU_CYCLE_1) | instskip(SKIP_1) | instid1(SALU_CYCLE_1)
	s_or_b64 s[40:41], s[40:41], s[44:45]
	s_and_b32 s45, s30, 0xff
	s_or_b64 s[16:17], s[40:41], s[44:45]
	s_delay_alu instid0(SALU_CYCLE_1)
	v_mov_b32_e32 v2, s17
	;;#ASMSTART
	global_store_dwordx4 v[5:6], v[1:4] off	
s_waitcnt vmcnt(0)
	;;#ASMEND
.LBB135_83:
	s_or_b32 exec_lo, exec_lo, s14
	v_xad_u32 v49, v72, -1, s15
	s_mov_b32 s16, 0
	s_mov_b32 s14, exec_lo
	s_mov_b32 s17, s16
	s_mov_b32 s18, s16
	;; [unrolled: 1-line block ×3, first 2 shown]
	v_add_nc_u32_e32 v3, 32, v49
	v_dual_mov_b32 v5, s16 :: v_dual_mov_b32 v8, s19
	v_dual_mov_b32 v6, s17 :: v_dual_mov_b32 v7, s18
	s_delay_alu instid0(VALU_DEP_3)
	v_lshlrev_b64 v[2:3], 4, v[3:4]
	s_clause 0x5
	scratch_store_b128 off, v[5:8], off
	scratch_store_b128 off, v[5:8], off offset:16
	scratch_store_b32 off, v4, off offset:4
	scratch_store_b32 off, v4, off offset:12
	;; [unrolled: 1-line block ×4, first 2 shown]
	v_add_co_u32 v2, vcc_lo, s24, v2
	v_add_co_ci_u32_e32 v3, vcc_lo, s25, v3, vcc_lo
	;;#ASMSTART
	global_load_dwordx4 v[5:8], v[2:3] off glc	
s_waitcnt vmcnt(0)
	;;#ASMEND
	v_perm_b32 v4, v6, v7, 0x70605
	v_perm_b32 v8, v6, v7, 0x1000706
	;; [unrolled: 1-line block ×3, first 2 shown]
	v_and_b32_e32 v55, 0xff, v7
	v_alignbit_b32 v62, v6, v5, 16
	v_lshlrev_b32_e32 v4, 8, v4
	v_lshlrev_b32_e32 v8, 16, v8
	;; [unrolled: 1-line block ×3, first 2 shown]
	v_alignbit_b32 v61, v6, v5, 24
	s_delay_alu instid0(VALU_DEP_4) | instskip(NEXT) | instid1(VALU_DEP_4)
	v_perm_b32 v4, v4, v6, 0xc0c0500
	v_and_b32_e32 v54, 0xff0000, v8
	v_alignbit_b32 v8, v6, v5, 8
	s_delay_alu instid0(VALU_DEP_2)
	v_or3_b32 v6, v4, v54, v53
	v_cmpx_eq_u16_e32 0, v55
	s_cbranch_execz .LBB135_86
.LBB135_84:                             ; =>This Inner Loop Header: Depth=1
	;;#ASMSTART
	global_load_dwordx4 v[5:8], v[2:3] off glc	
s_waitcnt vmcnt(0)
	;;#ASMEND
	v_and_b32_e32 v4, 0xff, v7
	s_delay_alu instid0(VALU_DEP_1) | instskip(SKIP_1) | instid1(SALU_CYCLE_1)
	v_cmp_ne_u16_e32 vcc_lo, 0, v4
	s_or_b32 s16, vcc_lo, s16
	s_and_not1_b32 exec_lo, exec_lo, s16
	s_cbranch_execnz .LBB135_84
; %bb.85:
	s_or_b32 exec_lo, exec_lo, s16
	v_perm_b32 v2, v6, v7, 0x70605
	v_perm_b32 v3, v6, v7, 0x1000706
	;; [unrolled: 1-line block ×3, first 2 shown]
	v_alignbit_b32 v8, v6, v5, 8
	v_alignbit_b32 v62, v6, v5, 16
	v_lshlrev_b32_e32 v2, 8, v2
	v_lshlrev_b32_e32 v3, 16, v3
	;; [unrolled: 1-line block ×3, first 2 shown]
	v_alignbit_b32 v61, v6, v5, 24
	s_delay_alu instid0(VALU_DEP_4) | instskip(NEXT) | instid1(VALU_DEP_4)
	v_perm_b32 v2, v2, v6, 0xc0c0500
	v_and_b32_e32 v3, 0xff0000, v3
	s_delay_alu instid0(VALU_DEP_1)
	v_or3_b32 v6, v2, v3, v4
.LBB135_86:
	s_or_b32 exec_lo, exec_lo, s14
	v_mov_b32_e32 v54, 0
	s_mov_b32 s17, 0
	s_branch .LBB135_88
.LBB135_87:                             ;   in Loop: Header=BB135_88 Depth=1
	s_or_b32 exec_lo, exec_lo, s17
	v_subrev_nc_u32_e32 v49, 32, v53
	s_add_i32 s17, s16, 1
	s_cbranch_execz .LBB135_94
.LBB135_88:                             ; =>This Loop Header: Depth=1
                                        ;     Child Loop BB135_91 Depth 2
	v_dual_mov_b32 v4, v7 :: v_dual_lshlrev_b32 v3, 8, v8
	v_and_b32_e32 v5, 0xff, v5
	s_delay_alu instid0(VALU_DEP_2) | instskip(NEXT) | instid1(VALU_DEP_3)
	v_dual_mov_b32 v53, v49 :: v_dual_and_b32 v2, 0xff, v4
	v_and_b32_e32 v7, 0xff00, v3
	v_mov_b32_e32 v3, v6
	s_delay_alu instid0(VALU_DEP_3) | instskip(SKIP_1) | instid1(VALU_DEP_2)
	v_cmp_ne_u16_e64 s14, 2, v2
	v_cmp_ne_u16_e32 vcc_lo, 0xff, v2
	s_and_b32 s16, s14, vcc_lo
	s_delay_alu instid0(SALU_CYCLE_1) | instskip(SKIP_1) | instid1(VALU_DEP_1)
	v_cndmask_b32_e64 v2, 0, 1, s16
	;;#ASMSTART
	;;#ASMEND
	v_cmp_ne_u32_e32 vcc_lo, 0, v2
	v_lshlrev_b32_e32 v2, 16, v62
	s_mov_b32 s16, s17
	s_cmp_eq_u32 vcc_lo, exec_lo
	s_delay_alu instid0(VALU_DEP_1) | instskip(SKIP_3) | instid1(VALU_DEP_1)
	v_perm_b32 v2, v61, v2, 0x4020c0c
	s_cselect_b32 s17, -1, 0
	s_cmp_lt_u32 s16, 4
	s_cselect_b32 s18, -1, 0
	v_or3_b32 v2, v2, v7, v5
	s_and_b32 s17, s17, s18
	s_delay_alu instid0(SALU_CYCLE_1)
	s_and_not1_b32 vcc_lo, exec_lo, s17
	s_cbranch_vccnz .LBB135_93
; %bb.89:                               ;   in Loop: Header=BB135_88 Depth=1
	v_lshlrev_b64 v[5:6], 4, v[53:54]
	s_lshl_b32 s17, s16, 3
	s_delay_alu instid0(SALU_CYCLE_1)
	s_add_i32 s17, s17, 0
	scratch_store_b64 off, v[2:3], s17
	v_add_co_u32 v55, vcc_lo, s24, v5
	v_add_co_ci_u32_e32 v56, vcc_lo, s25, v6, vcc_lo
	;;#ASMSTART
	global_load_dwordx4 v[5:8], v[55:56] off glc	
s_waitcnt vmcnt(0)
	;;#ASMEND
	v_perm_b32 v8, v6, v7, 0x70605
	v_perm_b32 v49, v6, v7, 0x1000706
	v_perm_b32 v61, v6, v7, 0x2010007
	v_and_b32_e32 v65, 0xff, v7
	v_alignbit_b32 v62, v6, v5, 16
	v_lshlrev_b32_e32 v8, 8, v8
	v_lshlrev_b32_e32 v49, 16, v49
	;; [unrolled: 1-line block ×3, first 2 shown]
	v_alignbit_b32 v61, v6, v5, 24
	s_mov_b32 s17, exec_lo
	v_perm_b32 v64, v8, v6, 0xc0c0500
	v_and_b32_e32 v49, 0xff0000, v49
	v_alignbit_b32 v8, v6, v5, 8
	s_delay_alu instid0(VALU_DEP_2)
	v_or3_b32 v6, v64, v49, v63
	v_cmpx_eq_u16_e32 0, v65
	s_cbranch_execz .LBB135_87
; %bb.90:                               ;   in Loop: Header=BB135_88 Depth=1
	s_mov_b32 s18, 0
.LBB135_91:                             ;   Parent Loop BB135_88 Depth=1
                                        ; =>  This Inner Loop Header: Depth=2
	;;#ASMSTART
	global_load_dwordx4 v[5:8], v[55:56] off glc	
s_waitcnt vmcnt(0)
	;;#ASMEND
	v_and_b32_e32 v8, 0xff, v7
	s_delay_alu instid0(VALU_DEP_1) | instskip(SKIP_1) | instid1(SALU_CYCLE_1)
	v_cmp_ne_u16_e32 vcc_lo, 0, v8
	s_or_b32 s18, vcc_lo, s18
	s_and_not1_b32 exec_lo, exec_lo, s18
	s_cbranch_execnz .LBB135_91
; %bb.92:                               ;   in Loop: Header=BB135_88 Depth=1
	s_or_b32 exec_lo, exec_lo, s18
	v_perm_b32 v8, v6, v7, 0x70605
	v_perm_b32 v49, v6, v7, 0x1000706
	;; [unrolled: 1-line block ×3, first 2 shown]
	v_alignbit_b32 v62, v6, v5, 16
	v_alignbit_b32 v61, v6, v5, 24
	v_lshlrev_b32_e32 v8, 8, v8
	v_lshlrev_b32_e32 v49, 16, v49
	;; [unrolled: 1-line block ×3, first 2 shown]
	s_delay_alu instid0(VALU_DEP_3) | instskip(NEXT) | instid1(VALU_DEP_3)
	v_perm_b32 v56, v8, v6, 0xc0c0500
	v_and_b32_e32 v49, 0xff0000, v49
	v_alignbit_b32 v8, v6, v5, 8
	s_delay_alu instid0(VALU_DEP_2)
	v_or3_b32 v6, v56, v49, v55
	s_branch .LBB135_87
.LBB135_93:
                                        ; implicit-def: $vgpr49
                                        ; implicit-def: $sgpr17
                                        ; implicit-def: $vgpr7
                                        ; implicit-def: $vgpr6
                                        ; implicit-def: $vgpr8
                                        ; implicit-def: $vgpr62
                                        ; implicit-def: $vgpr61
.LBB135_94:
	v_cndmask_b32_e64 v5, 0, 1, s14
	;;#ASMSTART
	;;#ASMEND
	s_delay_alu instid0(VALU_DEP_1)
	v_cmp_ne_u32_e32 vcc_lo, 0, v5
	s_cmp_lg_u32 vcc_lo, exec_lo
	s_cbranch_scc1 .LBB135_177
; %bb.95:
	v_dual_mov_b32 v3, 0 :: v_dual_and_b32 v2, 0xff, v4
	s_delay_alu instid0(VALU_DEP_1) | instskip(SKIP_2) | instid1(VALU_DEP_1)
	v_cmp_eq_u16_e32 vcc_lo, 0xff, v2
	v_cndmask_b32_e64 v2, 0, 1, vcc_lo
	;;#ASMSTART
	;;#ASMEND
	v_cmp_ne_u32_e32 vcc_lo, 0, v2
	v_add_nc_u32_e32 v2, 32, v53
	s_cmp_eq_u32 vcc_lo, exec_lo
	s_cselect_b32 vcc_lo, -1, 0
	s_delay_alu instid0(VALU_DEP_1) | instskip(NEXT) | instid1(VALU_DEP_1)
	v_cndmask_b32_e32 v2, v53, v2, vcc_lo
	v_add_nc_u32_e32 v2, 32, v2
	s_delay_alu instid0(VALU_DEP_1) | instskip(NEXT) | instid1(VALU_DEP_1)
	v_lshlrev_b64 v[2:3], 4, v[2:3]
	v_add_co_u32 v6, s14, s24, v2
	s_delay_alu instid0(VALU_DEP_1)
	v_add_co_ci_u32_e64 v7, s14, s25, v3, s14
	s_branch .LBB135_97
.LBB135_96:                             ;   in Loop: Header=BB135_97 Depth=1
	s_or_b32 exec_lo, exec_lo, s17
	v_and_b32_e32 v53, 0xff, v4
	s_delay_alu instid0(VALU_DEP_1) | instskip(NEXT) | instid1(VALU_DEP_1)
	v_cmp_ne_u16_e64 s14, 2, v53
	v_cndmask_b32_e64 v53, 0, 1, s14
	;;#ASMSTART
	;;#ASMEND
	s_delay_alu instid0(VALU_DEP_1) | instskip(NEXT) | instid1(VALU_DEP_1)
	v_cmp_ne_u32_e64 s14, 0, v53
	s_cmp_eq_u32 s14, exec_lo
	s_cbranch_scc0 .LBB135_176
.LBB135_97:                             ; =>This Loop Header: Depth=1
                                        ;     Child Loop BB135_99 Depth 2
	;;#ASMSTART
	global_load_dwordx4 v[2:5], v[6:7] off glc	
s_waitcnt vmcnt(0)
	;;#ASMEND
	v_perm_b32 v5, v3, v4, 0x70605
	v_perm_b32 v8, v3, v4, 0x1000706
	;; [unrolled: 1-line block ×3, first 2 shown]
	v_and_b32_e32 v56, 0xff, v4
	s_mov_b32 s17, exec_lo
	v_lshlrev_b32_e32 v5, 8, v5
	v_lshlrev_b32_e32 v8, 16, v8
	;; [unrolled: 1-line block ×3, first 2 shown]
	v_alignbit_b32 v49, v3, v2, 16
	s_delay_alu instid0(VALU_DEP_4) | instskip(NEXT) | instid1(VALU_DEP_4)
	v_perm_b32 v54, v5, v3, 0xc0c0500
	v_and_b32_e32 v55, 0xff0000, v8
	v_alignbit_b32 v5, v3, v2, 8
	v_alignbit_b32 v8, v3, v2, 24
	s_delay_alu instid0(VALU_DEP_3)
	v_or3_b32 v3, v54, v55, v53
	v_cmpx_eq_u16_e32 0, v56
	s_cbranch_execz .LBB135_96
; %bb.98:                               ;   in Loop: Header=BB135_97 Depth=1
	s_mov_b32 s18, 0
	.p2align	6
.LBB135_99:                             ;   Parent Loop BB135_97 Depth=1
                                        ; =>  This Inner Loop Header: Depth=2
	;;#ASMSTART
	global_load_dwordx4 v[2:5], v[6:7] off glc	
s_waitcnt vmcnt(0)
	;;#ASMEND
	v_and_b32_e32 v5, 0xff, v4
	s_delay_alu instid0(VALU_DEP_1) | instskip(NEXT) | instid1(VALU_DEP_1)
	v_cmp_ne_u16_e64 s14, 0, v5
	s_or_b32 s18, s14, s18
	s_delay_alu instid0(SALU_CYCLE_1)
	s_and_not1_b32 exec_lo, exec_lo, s18
	s_cbranch_execnz .LBB135_99
; %bb.100:                              ;   in Loop: Header=BB135_97 Depth=1
	s_or_b32 exec_lo, exec_lo, s18
	v_perm_b32 v5, v3, v4, 0x70605
	v_perm_b32 v8, v3, v4, 0x1000706
	;; [unrolled: 1-line block ×3, first 2 shown]
	s_delay_alu instid0(VALU_DEP_3) | instskip(NEXT) | instid1(VALU_DEP_3)
	v_lshlrev_b32_e32 v5, 8, v5
	v_lshlrev_b32_e32 v8, 16, v8
	s_delay_alu instid0(VALU_DEP_3) | instskip(SKIP_1) | instid1(VALU_DEP_4)
	v_lshlrev_b32_e32 v53, 24, v49
	v_alignbit_b32 v49, v3, v2, 16
	v_perm_b32 v54, v5, v3, 0xc0c0500
	s_delay_alu instid0(VALU_DEP_4) | instskip(SKIP_2) | instid1(VALU_DEP_3)
	v_and_b32_e32 v55, 0xff0000, v8
	v_alignbit_b32 v5, v3, v2, 8
	v_alignbit_b32 v8, v3, v2, 24
	v_or3_b32 v3, v54, v55, v53
	s_branch .LBB135_96
.LBB135_101:
	s_mov_b32 s27, 0
                                        ; implicit-def: $vgpr1
                                        ; implicit-def: $vgpr49
                                        ; implicit-def: $vgpr5
                                        ; implicit-def: $vgpr62
                                        ; implicit-def: $vgpr53
                                        ; implicit-def: $vgpr55
                                        ; implicit-def: $vgpr54
                                        ; implicit-def: $vgpr56
                                        ; implicit-def: $vgpr61
                                        ; implicit-def: $vgpr63
                                        ; implicit-def: $vgpr64
                                        ; implicit-def: $vgpr65
                                        ; implicit-def: $vgpr66
                                        ; implicit-def: $vgpr67
                                        ; implicit-def: $vgpr68
                                        ; implicit-def: $vgpr69
                                        ; implicit-def: $vgpr70
                                        ; implicit-def: $vgpr71
	s_cbranch_execnz .LBB135_195
.LBB135_102:
	s_and_saveexec_b32 s0, s27
	s_cbranch_execz .LBB135_368
	s_branch .LBB135_206
.LBB135_103:
	s_mov_b32 s19, 0
                                        ; implicit-def: $sgpr2
                                        ; implicit-def: $vgpr58
                                        ; implicit-def: $vgpr2
                                        ; implicit-def: $vgpr59
                                        ; implicit-def: $vgpr24
                                        ; implicit-def: $vgpr23
                                        ; implicit-def: $vgpr26
                                        ; implicit-def: $vgpr25
                                        ; implicit-def: $vgpr30
                                        ; implicit-def: $vgpr29
                                        ; implicit-def: $vgpr32
                                        ; implicit-def: $vgpr31
                                        ; implicit-def: $vgpr34
                                        ; implicit-def: $vgpr33
                                        ; implicit-def: $vgpr50
	s_cbranch_execz .LBB135_55
.LBB135_104:
	v_cvt_i32_f32_e32 v1, v10
	v_cvt_i32_f32_e32 v2, v57
	;; [unrolled: 1-line block ×5, first 2 shown]
	v_mul_hi_i32 v1, 0x66666667, v1
	v_mul_hi_i32 v2, 0x66666667, v2
	;; [unrolled: 1-line block ×5, first 2 shown]
	s_mov_b32 s0, exec_lo
                                        ; implicit-def: $sgpr2
	v_lshrrev_b32_e32 v6, 31, v1
	v_ashrrev_i32_e32 v1, 2, v1
	v_lshrrev_b32_e32 v7, 31, v2
	v_ashrrev_i32_e32 v2, 2, v2
	;; [unrolled: 2-line block ×3, first 2 shown]
	v_add_nc_u32_e32 v6, v1, v6
	v_lshrrev_b32_e32 v23, 31, v4
	v_add_nc_u32_e32 v2, v2, v7
	v_cvt_i32_f32_e32 v7, v14
	v_add_nc_u32_e32 v3, v3, v8
	v_ashrrev_i32_e32 v4, 2, v4
	v_lshrrev_b32_e32 v8, 31, v5
	v_cmp_ne_u32_e32 vcc_lo, v6, v2
	v_mul_hi_i32 v7, 0x66666667, v7
	v_ashrrev_i32_e32 v5, 2, v5
	v_add_nc_u32_e32 v4, v4, v23
	v_cvt_i32_f32_e32 v23, v16
	v_cndmask_b32_e64 v58, 0, 1, vcc_lo
	v_cmp_ne_u32_e32 vcc_lo, v3, v6
	v_cvt_i32_f32_e32 v6, v13
	v_add_nc_u32_e32 v5, v5, v8
	v_lshrrev_b32_e32 v8, 31, v7
	v_ashrrev_i32_e32 v7, 2, v7
	v_cndmask_b32_e64 v2, 0, 1, vcc_lo
	v_mul_hi_i32 v6, 0x66666667, v6
	v_cmp_ne_u32_e32 vcc_lo, v4, v3
	v_mul_hi_i32 v23, 0x66666667, v23
	v_cvt_i32_f32_e32 v3, v15
	v_lshlrev_b32_e32 v1, 2, v0
	v_cndmask_b32_e64 v59, 0, 1, vcc_lo
	v_cmp_ne_u32_e32 vcc_lo, v5, v4
	v_add_nc_u32_e32 v4, v7, v8
	v_lshrrev_b32_e32 v7, 31, v6
	v_ashrrev_i32_e32 v6, 2, v6
	v_mul_hi_i32 v3, 0x66666667, v3
	v_cndmask_b32_e64 v24, 0, 1, vcc_lo
	v_cmp_ne_u32_e32 vcc_lo, v4, v5
	v_cvt_i32_f32_e32 v5, v18
	v_add_nc_u32_e32 v6, v6, v7
	v_cvt_i32_f32_e32 v7, v17
	v_lshrrev_b32_e32 v8, 31, v23
	v_ashrrev_i32_e32 v25, 2, v23
	v_mul_hi_i32 v5, 0x66666667, v5
	v_cndmask_b32_e64 v23, 0, 1, vcc_lo
	v_mul_hi_i32 v7, 0x66666667, v7
	v_lshrrev_b32_e32 v27, 31, v3
	v_add_nc_u32_e32 v8, v25, v8
	v_ashrrev_i32_e32 v3, 2, v3
	v_cmp_ne_u32_e32 vcc_lo, v6, v4
	ds_store_b32 v1, v57
	v_lshrrev_b32_e32 v4, 31, v5
	v_ashrrev_i32_e32 v5, 2, v5
	v_add_nc_u32_e32 v3, v3, v27
	v_cndmask_b32_e64 v26, 0, 1, vcc_lo
	v_cmp_ne_u32_e32 vcc_lo, v8, v6
	v_lshrrev_b32_e32 v6, 31, v7
	v_ashrrev_i32_e32 v7, 2, v7
	v_cvt_i32_f32_e32 v27, v20
	v_add_nc_u32_e32 v4, v5, v4
	v_cndmask_b32_e64 v25, 0, 1, vcc_lo
	v_cmp_ne_u32_e32 vcc_lo, v3, v8
	v_cvt_i32_f32_e32 v8, v19
	v_add_nc_u32_e32 v5, v7, v6
	v_mul_hi_i32 v6, 0x66666667, v27
	v_cvt_i32_f32_e32 v7, v22
	v_cndmask_b32_e64 v30, 0, 1, vcc_lo
	v_mul_hi_i32 v8, 0x66666667, v8
	v_cvt_i32_f32_e32 v27, v21
	v_cmp_ne_u32_e32 vcc_lo, v4, v3
	v_mul_hi_i32 v3, 0x66666667, v7
	s_waitcnt lgkmcnt(0)
	v_lshrrev_b32_e32 v7, 31, v6
	v_ashrrev_i32_e32 v6, 2, v6
	v_cndmask_b32_e64 v29, 0, 1, vcc_lo
	v_cmp_ne_u32_e32 vcc_lo, v5, v4
	v_mul_hi_i32 v4, 0x66666667, v27
	v_lshrrev_b32_e32 v27, 31, v8
	v_ashrrev_i32_e32 v8, 2, v8
	v_add_nc_u32_e32 v6, v6, v7
	v_cndmask_b32_e64 v32, 0, 1, vcc_lo
	v_lshrrev_b32_e32 v28, 31, v3
	v_ashrrev_i32_e32 v3, 2, v3
	v_add_nc_u32_e32 v8, v8, v27
	v_cmp_ne_u32_e32 vcc_lo, v6, v5
	v_lshrrev_b32_e32 v7, 31, v4
	v_ashrrev_i32_e32 v4, 2, v4
	v_add_nc_u32_e32 v27, v3, v28
	s_barrier
	v_cndmask_b32_e64 v31, 0, 1, vcc_lo
	v_cmp_ne_u32_e32 vcc_lo, v8, v6
	v_add_nc_u32_e32 v3, v4, v7
	buffer_gl0_inv
	v_cndmask_b32_e64 v34, 0, 1, vcc_lo
	v_cmp_ne_u32_e32 vcc_lo, v27, v8
	v_cndmask_b32_e64 v33, 0, 1, vcc_lo
	v_cmp_ne_u32_e32 vcc_lo, v3, v27
	v_cndmask_b32_e64 v50, 0, 1, vcc_lo
	v_cmpx_ne_u32_e32 0, v0
	s_xor_b32 s0, exec_lo, s0
	s_cbranch_execz .LBB135_106
; %bb.105:
	v_add_nc_u32_e32 v1, -4, v1
	s_or_b32 s19, s19, exec_lo
	ds_load_b32 v1, v1
	s_waitcnt lgkmcnt(0)
	v_cvt_i32_f32_e32 v1, v1
	s_delay_alu instid0(VALU_DEP_1) | instskip(NEXT) | instid1(VALU_DEP_1)
	v_mul_hi_i32 v1, 0x66666667, v1
	v_lshrrev_b32_e32 v4, 31, v1
	v_ashrrev_i32_e32 v1, 2, v1
	s_delay_alu instid0(VALU_DEP_1) | instskip(NEXT) | instid1(VALU_DEP_1)
	v_add_nc_u32_e32 v1, v1, v4
	v_cmp_ne_u32_e32 vcc_lo, v1, v3
	s_and_b32 s2, vcc_lo, exec_lo
.LBB135_106:
	s_or_b32 exec_lo, exec_lo, s0
	s_mov_b32 s0, 1
	v_mov_b32_e32 v28, v2
	s_branch .LBB135_71
.LBB135_107:
	s_mul_hi_u32 s0, s16, 0xfffff100
	s_mul_i32 s1, s17, 0xfffff100
	s_sub_i32 s0, s0, s16
	s_mul_i32 s2, s16, 0xfffff100
	v_mul_u32_u24_e32 v3, 15, v0
	v_mad_u32_u24 v27, v0, 15, 14
	s_add_i32 s1, s0, s1
	s_add_u32 s0, s2, s40
	s_addc_u32 s1, s1, s41
	s_and_b32 vcc_lo, exec_lo, s29
	s_cbranch_vccz .LBB135_142
; %bb.108:
	v_add_co_u32 v1, s2, -4, s14
	s_delay_alu instid0(VALU_DEP_1)
	v_add_co_ci_u32_e64 v2, null, -1, s18, s2
	v_lshlrev_b32_e32 v4, 2, v0
	v_mov_b32_e32 v58, 0
	s_mov_b32 s2, exec_lo
	flat_load_b32 v5, v[1:2]
	v_mov_b32_e32 v2, 0
	ds_store_b32 v4, v57
	v_mov_b32_e32 v28, v2
	s_delay_alu instid0(VALU_DEP_1)
	v_cmpx_gt_u64_e64 s[0:1], v[27:28]
	s_cbranch_execz .LBB135_110
; %bb.109:
	v_cvt_i32_f32_e32 v1, v10
	v_cvt_i32_f32_e32 v6, v57
	s_delay_alu instid0(VALU_DEP_2) | instskip(NEXT) | instid1(VALU_DEP_2)
	v_mul_hi_i32 v1, 0x66666667, v1
	v_mul_hi_i32 v6, 0x66666667, v6
	s_delay_alu instid0(VALU_DEP_2) | instskip(SKIP_1) | instid1(VALU_DEP_3)
	v_lshrrev_b32_e32 v7, 31, v1
	v_ashrrev_i32_e32 v1, 2, v1
	v_lshrrev_b32_e32 v8, 31, v6
	v_ashrrev_i32_e32 v6, 2, v6
	s_delay_alu instid0(VALU_DEP_3) | instskip(NEXT) | instid1(VALU_DEP_2)
	v_add_nc_u32_e32 v1, v1, v7
	v_add_nc_u32_e32 v6, v6, v8
	s_delay_alu instid0(VALU_DEP_1)
	v_cmp_ne_u32_e32 vcc_lo, v1, v6
	v_cndmask_b32_e64 v58, 0, 1, vcc_lo
.LBB135_110:
	s_or_b32 exec_lo, exec_lo, s2
	v_add_nc_u32_e32 v1, 13, v3
	s_mov_b32 s2, exec_lo
	s_delay_alu instid0(VALU_DEP_1)
	v_cmpx_gt_u64_e64 s[0:1], v[1:2]
	s_cbranch_execz .LBB135_112
; %bb.111:
	v_cvt_i32_f32_e32 v1, v9
	v_cvt_i32_f32_e32 v2, v10
	s_delay_alu instid0(VALU_DEP_2) | instskip(NEXT) | instid1(VALU_DEP_2)
	v_mul_hi_i32 v1, 0x66666667, v1
	v_mul_hi_i32 v2, 0x66666667, v2
	s_delay_alu instid0(VALU_DEP_2) | instskip(SKIP_1) | instid1(VALU_DEP_3)
	v_lshrrev_b32_e32 v6, 31, v1
	v_ashrrev_i32_e32 v1, 2, v1
	v_lshrrev_b32_e32 v7, 31, v2
	v_ashrrev_i32_e32 v2, 2, v2
	s_delay_alu instid0(VALU_DEP_3) | instskip(NEXT) | instid1(VALU_DEP_2)
	v_add_nc_u32_e32 v1, v1, v6
	v_add_nc_u32_e32 v2, v2, v7
	s_delay_alu instid0(VALU_DEP_1)
	v_cmp_ne_u32_e32 vcc_lo, v1, v2
	v_cndmask_b32_e64 v2, 0, 1, vcc_lo
.LBB135_112:
	s_or_b32 exec_lo, exec_lo, s2
	v_dual_mov_b32 v24, 0 :: v_dual_add_nc_u32 v23, 12, v3
	v_mov_b32_e32 v59, 0
	s_mov_b32 s2, exec_lo
	s_delay_alu instid0(VALU_DEP_2)
	v_cmpx_gt_u64_e64 s[0:1], v[23:24]
	s_cbranch_execz .LBB135_114
; %bb.113:
	v_cvt_i32_f32_e32 v1, v12
	v_cvt_i32_f32_e32 v6, v9
	s_delay_alu instid0(VALU_DEP_2) | instskip(NEXT) | instid1(VALU_DEP_2)
	v_mul_hi_i32 v1, 0x66666667, v1
	v_mul_hi_i32 v6, 0x66666667, v6
	s_delay_alu instid0(VALU_DEP_2) | instskip(SKIP_1) | instid1(VALU_DEP_3)
	v_lshrrev_b32_e32 v7, 31, v1
	v_ashrrev_i32_e32 v1, 2, v1
	v_lshrrev_b32_e32 v8, 31, v6
	v_ashrrev_i32_e32 v6, 2, v6
	s_delay_alu instid0(VALU_DEP_3) | instskip(NEXT) | instid1(VALU_DEP_2)
	v_add_nc_u32_e32 v1, v1, v7
	v_add_nc_u32_e32 v6, v6, v8
	s_delay_alu instid0(VALU_DEP_1)
	v_cmp_ne_u32_e32 vcc_lo, v1, v6
	v_cndmask_b32_e64 v59, 0, 1, vcc_lo
.LBB135_114:
	s_or_b32 exec_lo, exec_lo, s2
	v_add_nc_u32_e32 v23, 11, v3
	s_mov_b32 s2, exec_lo
	s_delay_alu instid0(VALU_DEP_1)
	v_cmpx_gt_u64_e64 s[0:1], v[23:24]
	s_cbranch_execz .LBB135_116
; %bb.115:
	v_cvt_i32_f32_e32 v1, v11
	v_cvt_i32_f32_e32 v6, v12
	s_delay_alu instid0(VALU_DEP_2) | instskip(NEXT) | instid1(VALU_DEP_2)
	v_mul_hi_i32 v1, 0x66666667, v1
	v_mul_hi_i32 v6, 0x66666667, v6
	s_delay_alu instid0(VALU_DEP_2) | instskip(SKIP_1) | instid1(VALU_DEP_3)
	v_lshrrev_b32_e32 v7, 31, v1
	v_ashrrev_i32_e32 v1, 2, v1
	v_lshrrev_b32_e32 v8, 31, v6
	v_ashrrev_i32_e32 v6, 2, v6
	s_delay_alu instid0(VALU_DEP_3) | instskip(NEXT) | instid1(VALU_DEP_2)
	v_add_nc_u32_e32 v1, v1, v7
	v_add_nc_u32_e32 v6, v6, v8
	s_delay_alu instid0(VALU_DEP_1)
	v_cmp_ne_u32_e32 vcc_lo, v1, v6
	v_cndmask_b32_e64 v24, 0, 1, vcc_lo
.LBB135_116:
	s_or_b32 exec_lo, exec_lo, s2
	v_dual_mov_b32 v26, 0 :: v_dual_add_nc_u32 v25, 10, v3
	v_mov_b32_e32 v23, 0
	s_mov_b32 s2, exec_lo
	s_delay_alu instid0(VALU_DEP_2)
	v_cmpx_gt_u64_e64 s[0:1], v[25:26]
	s_cbranch_execz .LBB135_118
; %bb.117:
	v_cvt_i32_f32_e32 v1, v14
	v_cvt_i32_f32_e32 v6, v11
	s_delay_alu instid0(VALU_DEP_2) | instskip(NEXT) | instid1(VALU_DEP_2)
	v_mul_hi_i32 v1, 0x66666667, v1
	v_mul_hi_i32 v6, 0x66666667, v6
	s_delay_alu instid0(VALU_DEP_2) | instskip(SKIP_1) | instid1(VALU_DEP_3)
	v_lshrrev_b32_e32 v7, 31, v1
	v_ashrrev_i32_e32 v1, 2, v1
	v_lshrrev_b32_e32 v8, 31, v6
	v_ashrrev_i32_e32 v6, 2, v6
	s_delay_alu instid0(VALU_DEP_3) | instskip(NEXT) | instid1(VALU_DEP_2)
	v_add_nc_u32_e32 v1, v1, v7
	v_add_nc_u32_e32 v6, v6, v8
	s_delay_alu instid0(VALU_DEP_1)
	v_cmp_ne_u32_e32 vcc_lo, v1, v6
	v_cndmask_b32_e64 v23, 0, 1, vcc_lo
.LBB135_118:
	s_or_b32 exec_lo, exec_lo, s2
	v_add_nc_u32_e32 v25, 9, v3
	s_mov_b32 s2, exec_lo
	s_delay_alu instid0(VALU_DEP_1)
	v_cmpx_gt_u64_e64 s[0:1], v[25:26]
	s_cbranch_execz .LBB135_120
; %bb.119:
	v_cvt_i32_f32_e32 v1, v13
	v_cvt_i32_f32_e32 v6, v14
	s_delay_alu instid0(VALU_DEP_2) | instskip(NEXT) | instid1(VALU_DEP_2)
	v_mul_hi_i32 v1, 0x66666667, v1
	v_mul_hi_i32 v6, 0x66666667, v6
	s_delay_alu instid0(VALU_DEP_2) | instskip(SKIP_1) | instid1(VALU_DEP_3)
	v_lshrrev_b32_e32 v7, 31, v1
	v_ashrrev_i32_e32 v1, 2, v1
	v_lshrrev_b32_e32 v8, 31, v6
	v_ashrrev_i32_e32 v6, 2, v6
	s_delay_alu instid0(VALU_DEP_3) | instskip(NEXT) | instid1(VALU_DEP_2)
	v_add_nc_u32_e32 v1, v1, v7
	v_add_nc_u32_e32 v6, v6, v8
	s_delay_alu instid0(VALU_DEP_1)
	v_cmp_ne_u32_e32 vcc_lo, v1, v6
	v_cndmask_b32_e64 v26, 0, 1, vcc_lo
.LBB135_120:
	s_or_b32 exec_lo, exec_lo, s2
	v_dual_mov_b32 v30, 0 :: v_dual_add_nc_u32 v29, 8, v3
	v_mov_b32_e32 v25, 0
	s_mov_b32 s2, exec_lo
	s_delay_alu instid0(VALU_DEP_2)
	v_cmpx_gt_u64_e64 s[0:1], v[29:30]
	s_cbranch_execz .LBB135_122
; %bb.121:
	v_cvt_i32_f32_e32 v1, v16
	v_cvt_i32_f32_e32 v6, v13
	s_delay_alu instid0(VALU_DEP_2) | instskip(NEXT) | instid1(VALU_DEP_2)
	v_mul_hi_i32 v1, 0x66666667, v1
	v_mul_hi_i32 v6, 0x66666667, v6
	s_delay_alu instid0(VALU_DEP_2) | instskip(SKIP_1) | instid1(VALU_DEP_3)
	v_lshrrev_b32_e32 v7, 31, v1
	v_ashrrev_i32_e32 v1, 2, v1
	v_lshrrev_b32_e32 v8, 31, v6
	v_ashrrev_i32_e32 v6, 2, v6
	s_delay_alu instid0(VALU_DEP_3) | instskip(NEXT) | instid1(VALU_DEP_2)
	v_add_nc_u32_e32 v1, v1, v7
	v_add_nc_u32_e32 v6, v6, v8
	s_delay_alu instid0(VALU_DEP_1)
	v_cmp_ne_u32_e32 vcc_lo, v1, v6
	v_cndmask_b32_e64 v25, 0, 1, vcc_lo
.LBB135_122:
	s_or_b32 exec_lo, exec_lo, s2
	v_add_nc_u32_e32 v29, 7, v3
	s_mov_b32 s2, exec_lo
	s_delay_alu instid0(VALU_DEP_1)
	v_cmpx_gt_u64_e64 s[0:1], v[29:30]
	s_cbranch_execz .LBB135_124
; %bb.123:
	v_cvt_i32_f32_e32 v1, v15
	v_cvt_i32_f32_e32 v6, v16
	s_delay_alu instid0(VALU_DEP_2) | instskip(NEXT) | instid1(VALU_DEP_2)
	v_mul_hi_i32 v1, 0x66666667, v1
	v_mul_hi_i32 v6, 0x66666667, v6
	s_delay_alu instid0(VALU_DEP_2) | instskip(SKIP_1) | instid1(VALU_DEP_3)
	v_lshrrev_b32_e32 v7, 31, v1
	v_ashrrev_i32_e32 v1, 2, v1
	v_lshrrev_b32_e32 v8, 31, v6
	v_ashrrev_i32_e32 v6, 2, v6
	s_delay_alu instid0(VALU_DEP_3) | instskip(NEXT) | instid1(VALU_DEP_2)
	v_add_nc_u32_e32 v1, v1, v7
	v_add_nc_u32_e32 v6, v6, v8
	s_delay_alu instid0(VALU_DEP_1)
	v_cmp_ne_u32_e32 vcc_lo, v1, v6
	v_cndmask_b32_e64 v30, 0, 1, vcc_lo
.LBB135_124:
	s_or_b32 exec_lo, exec_lo, s2
	v_dual_mov_b32 v32, 0 :: v_dual_add_nc_u32 v31, 6, v3
	v_mov_b32_e32 v29, 0
	s_mov_b32 s2, exec_lo
	s_delay_alu instid0(VALU_DEP_2)
	v_cmpx_gt_u64_e64 s[0:1], v[31:32]
	s_cbranch_execz .LBB135_126
; %bb.125:
	v_cvt_i32_f32_e32 v1, v18
	v_cvt_i32_f32_e32 v6, v15
	s_delay_alu instid0(VALU_DEP_2) | instskip(NEXT) | instid1(VALU_DEP_2)
	v_mul_hi_i32 v1, 0x66666667, v1
	v_mul_hi_i32 v6, 0x66666667, v6
	s_delay_alu instid0(VALU_DEP_2) | instskip(SKIP_1) | instid1(VALU_DEP_3)
	v_lshrrev_b32_e32 v7, 31, v1
	v_ashrrev_i32_e32 v1, 2, v1
	v_lshrrev_b32_e32 v8, 31, v6
	v_ashrrev_i32_e32 v6, 2, v6
	s_delay_alu instid0(VALU_DEP_3) | instskip(NEXT) | instid1(VALU_DEP_2)
	v_add_nc_u32_e32 v1, v1, v7
	v_add_nc_u32_e32 v6, v6, v8
	s_delay_alu instid0(VALU_DEP_1)
	v_cmp_ne_u32_e32 vcc_lo, v1, v6
	v_cndmask_b32_e64 v29, 0, 1, vcc_lo
.LBB135_126:
	s_or_b32 exec_lo, exec_lo, s2
	v_add_nc_u32_e32 v31, 5, v3
	s_mov_b32 s2, exec_lo
	s_delay_alu instid0(VALU_DEP_1)
	v_cmpx_gt_u64_e64 s[0:1], v[31:32]
	s_cbranch_execz .LBB135_128
; %bb.127:
	v_cvt_i32_f32_e32 v1, v17
	v_cvt_i32_f32_e32 v6, v18
	s_delay_alu instid0(VALU_DEP_2) | instskip(NEXT) | instid1(VALU_DEP_2)
	v_mul_hi_i32 v1, 0x66666667, v1
	v_mul_hi_i32 v6, 0x66666667, v6
	s_delay_alu instid0(VALU_DEP_2) | instskip(SKIP_1) | instid1(VALU_DEP_3)
	v_lshrrev_b32_e32 v7, 31, v1
	v_ashrrev_i32_e32 v1, 2, v1
	v_lshrrev_b32_e32 v8, 31, v6
	v_ashrrev_i32_e32 v6, 2, v6
	s_delay_alu instid0(VALU_DEP_3) | instskip(NEXT) | instid1(VALU_DEP_2)
	v_add_nc_u32_e32 v1, v1, v7
	v_add_nc_u32_e32 v6, v6, v8
	s_delay_alu instid0(VALU_DEP_1)
	v_cmp_ne_u32_e32 vcc_lo, v1, v6
	v_cndmask_b32_e64 v32, 0, 1, vcc_lo
.LBB135_128:
	s_or_b32 exec_lo, exec_lo, s2
	v_dual_mov_b32 v34, 0 :: v_dual_add_nc_u32 v33, 4, v3
	v_mov_b32_e32 v31, 0
	s_mov_b32 s2, exec_lo
	s_delay_alu instid0(VALU_DEP_2)
	v_cmpx_gt_u64_e64 s[0:1], v[33:34]
	s_cbranch_execz .LBB135_130
; %bb.129:
	v_cvt_i32_f32_e32 v1, v20
	v_cvt_i32_f32_e32 v6, v17
	s_delay_alu instid0(VALU_DEP_2) | instskip(NEXT) | instid1(VALU_DEP_2)
	v_mul_hi_i32 v1, 0x66666667, v1
	v_mul_hi_i32 v6, 0x66666667, v6
	s_delay_alu instid0(VALU_DEP_2) | instskip(SKIP_1) | instid1(VALU_DEP_3)
	v_lshrrev_b32_e32 v7, 31, v1
	v_ashrrev_i32_e32 v1, 2, v1
	v_lshrrev_b32_e32 v8, 31, v6
	v_ashrrev_i32_e32 v6, 2, v6
	s_delay_alu instid0(VALU_DEP_3) | instskip(NEXT) | instid1(VALU_DEP_2)
	v_add_nc_u32_e32 v1, v1, v7
	v_add_nc_u32_e32 v6, v6, v8
	s_delay_alu instid0(VALU_DEP_1)
	v_cmp_ne_u32_e32 vcc_lo, v1, v6
	v_cndmask_b32_e64 v31, 0, 1, vcc_lo
.LBB135_130:
	s_or_b32 exec_lo, exec_lo, s2
	v_add_nc_u32_e32 v33, 3, v3
	s_mov_b32 s2, exec_lo
	s_delay_alu instid0(VALU_DEP_1)
	v_cmpx_gt_u64_e64 s[0:1], v[33:34]
	s_cbranch_execz .LBB135_132
; %bb.131:
	v_cvt_i32_f32_e32 v1, v19
	v_cvt_i32_f32_e32 v6, v20
	s_delay_alu instid0(VALU_DEP_2) | instskip(NEXT) | instid1(VALU_DEP_2)
	v_mul_hi_i32 v1, 0x66666667, v1
	v_mul_hi_i32 v6, 0x66666667, v6
	s_delay_alu instid0(VALU_DEP_2) | instskip(SKIP_1) | instid1(VALU_DEP_3)
	v_lshrrev_b32_e32 v7, 31, v1
	v_ashrrev_i32_e32 v1, 2, v1
	v_lshrrev_b32_e32 v8, 31, v6
	v_ashrrev_i32_e32 v6, 2, v6
	s_delay_alu instid0(VALU_DEP_3) | instskip(NEXT) | instid1(VALU_DEP_2)
	v_add_nc_u32_e32 v1, v1, v7
	v_add_nc_u32_e32 v6, v6, v8
	s_delay_alu instid0(VALU_DEP_1)
	v_cmp_ne_u32_e32 vcc_lo, v1, v6
	v_cndmask_b32_e64 v34, 0, 1, vcc_lo
.LBB135_132:
	s_or_b32 exec_lo, exec_lo, s2
	v_dual_mov_b32 v50, 0 :: v_dual_add_nc_u32 v49, 2, v3
	v_mov_b32_e32 v33, 0
	s_mov_b32 s2, exec_lo
	s_delay_alu instid0(VALU_DEP_2)
	v_cmpx_gt_u64_e64 s[0:1], v[49:50]
	s_cbranch_execz .LBB135_134
; %bb.133:
	v_cvt_i32_f32_e32 v1, v22
	v_cvt_i32_f32_e32 v6, v19
	s_delay_alu instid0(VALU_DEP_2) | instskip(NEXT) | instid1(VALU_DEP_2)
	v_mul_hi_i32 v1, 0x66666667, v1
	v_mul_hi_i32 v6, 0x66666667, v6
	s_delay_alu instid0(VALU_DEP_2) | instskip(SKIP_1) | instid1(VALU_DEP_3)
	v_lshrrev_b32_e32 v7, 31, v1
	v_ashrrev_i32_e32 v1, 2, v1
	v_lshrrev_b32_e32 v8, 31, v6
	v_ashrrev_i32_e32 v6, 2, v6
	s_delay_alu instid0(VALU_DEP_3) | instskip(NEXT) | instid1(VALU_DEP_2)
	v_add_nc_u32_e32 v1, v1, v7
	v_add_nc_u32_e32 v6, v6, v8
	s_delay_alu instid0(VALU_DEP_1)
	v_cmp_ne_u32_e32 vcc_lo, v1, v6
	v_cndmask_b32_e64 v33, 0, 1, vcc_lo
.LBB135_134:
	s_or_b32 exec_lo, exec_lo, s2
	v_add_nc_u32_e32 v49, 1, v3
	s_mov_b32 s2, exec_lo
	s_delay_alu instid0(VALU_DEP_1)
	v_cmpx_gt_u64_e64 s[0:1], v[49:50]
	s_cbranch_execz .LBB135_136
; %bb.135:
	v_cvt_i32_f32_e32 v1, v21
	v_cvt_i32_f32_e32 v6, v22
	s_delay_alu instid0(VALU_DEP_2) | instskip(NEXT) | instid1(VALU_DEP_2)
	v_mul_hi_i32 v1, 0x66666667, v1
	v_mul_hi_i32 v6, 0x66666667, v6
	s_delay_alu instid0(VALU_DEP_2) | instskip(SKIP_1) | instid1(VALU_DEP_3)
	v_lshrrev_b32_e32 v7, 31, v1
	v_ashrrev_i32_e32 v1, 2, v1
	v_lshrrev_b32_e32 v8, 31, v6
	v_ashrrev_i32_e32 v6, 2, v6
	s_delay_alu instid0(VALU_DEP_3) | instskip(NEXT) | instid1(VALU_DEP_2)
	v_add_nc_u32_e32 v1, v1, v7
	v_add_nc_u32_e32 v6, v6, v8
	s_delay_alu instid0(VALU_DEP_1)
	v_cmp_ne_u32_e32 vcc_lo, v1, v6
	v_cndmask_b32_e64 v50, 0, 1, vcc_lo
.LBB135_136:
	s_or_b32 exec_lo, exec_lo, s2
	s_mov_b32 s2, 0
	s_mov_b32 s3, exec_lo
	s_waitcnt vmcnt(0) lgkmcnt(0)
	s_barrier
	buffer_gl0_inv
	v_cmpx_ne_u32_e32 0, v0
	s_cbranch_execz .LBB135_138
; %bb.137:
	v_add_nc_u32_e32 v1, -4, v4
	ds_load_b32 v5, v1
.LBB135_138:
	s_or_b32 exec_lo, exec_lo, s3
	v_mov_b32_e32 v4, 0
	s_mov_b32 s3, exec_lo
	s_delay_alu instid0(VALU_DEP_1)
	v_cmpx_gt_u64_e64 s[0:1], v[3:4]
	s_cbranch_execz .LBB135_140
; %bb.139:
	s_waitcnt lgkmcnt(0)
	v_cvt_i32_f32_e32 v1, v5
	v_cvt_i32_f32_e32 v4, v21
	s_delay_alu instid0(VALU_DEP_2) | instskip(NEXT) | instid1(VALU_DEP_2)
	v_mul_hi_i32 v1, 0x66666667, v1
	v_mul_hi_i32 v4, 0x66666667, v4
	s_delay_alu instid0(VALU_DEP_2) | instskip(SKIP_1) | instid1(VALU_DEP_3)
	v_lshrrev_b32_e32 v5, 31, v1
	v_ashrrev_i32_e32 v1, 2, v1
	v_lshrrev_b32_e32 v6, 31, v4
	v_ashrrev_i32_e32 v4, 2, v4
	s_delay_alu instid0(VALU_DEP_3) | instskip(NEXT) | instid1(VALU_DEP_2)
	v_add_nc_u32_e32 v1, v1, v5
	v_add_nc_u32_e32 v4, v4, v6
	s_delay_alu instid0(VALU_DEP_1)
	v_cmp_ne_u32_e32 vcc_lo, v1, v4
	s_and_b32 s2, vcc_lo, exec_lo
.LBB135_140:
	s_or_b32 exec_lo, exec_lo, s3
	s_mov_b32 s19, -1
.LBB135_141:
                                        ; implicit-def: $vgpr28
                                        ; implicit-def: $sgpr0
	v_mov_b32_e32 v27, s0
	s_and_saveexec_b32 s0, s19
	s_cbranch_execz .LBB135_73
	s_branch .LBB135_72
.LBB135_142:
                                        ; implicit-def: $sgpr2
                                        ; implicit-def: $vgpr58
                                        ; implicit-def: $vgpr2
                                        ; implicit-def: $vgpr59
                                        ; implicit-def: $vgpr24
                                        ; implicit-def: $vgpr23
                                        ; implicit-def: $vgpr26
                                        ; implicit-def: $vgpr25
                                        ; implicit-def: $vgpr30
                                        ; implicit-def: $vgpr29
                                        ; implicit-def: $vgpr32
                                        ; implicit-def: $vgpr31
                                        ; implicit-def: $vgpr34
                                        ; implicit-def: $vgpr33
                                        ; implicit-def: $vgpr50
	s_cbranch_execz .LBB135_141
; %bb.143:
	v_dual_mov_b32 v28, 0 :: v_dual_lshlrev_b32 v1, 2, v0
	v_mov_b32_e32 v58, 0
	s_mov_b32 s2, exec_lo
	ds_store_b32 v1, v57
	v_cmpx_gt_u64_e64 s[0:1], v[27:28]
	s_cbranch_execz .LBB135_145
; %bb.144:
	v_cvt_i32_f32_e32 v2, v10
	v_cvt_i32_f32_e32 v4, v57
	s_delay_alu instid0(VALU_DEP_2) | instskip(NEXT) | instid1(VALU_DEP_2)
	v_mul_hi_i32 v2, 0x66666667, v2
	v_mul_hi_i32 v4, 0x66666667, v4
	s_waitcnt lgkmcnt(1)
	s_delay_alu instid0(VALU_DEP_2) | instskip(SKIP_1) | instid1(VALU_DEP_3)
	v_lshrrev_b32_e32 v5, 31, v2
	v_ashrrev_i32_e32 v2, 2, v2
	v_lshrrev_b32_e32 v6, 31, v4
	v_ashrrev_i32_e32 v4, 2, v4
	s_delay_alu instid0(VALU_DEP_3) | instskip(NEXT) | instid1(VALU_DEP_2)
	v_add_nc_u32_e32 v2, v2, v5
	v_add_nc_u32_e32 v4, v4, v6
	s_delay_alu instid0(VALU_DEP_1)
	v_cmp_ne_u32_e32 vcc_lo, v2, v4
	v_cndmask_b32_e64 v58, 0, 1, vcc_lo
.LBB135_145:
	s_or_b32 exec_lo, exec_lo, s2
	v_add_nc_u32_e32 v27, 13, v3
	s_mov_b32 s2, exec_lo
	s_delay_alu instid0(VALU_DEP_1)
	v_cmpx_gt_u64_e64 s[0:1], v[27:28]
	s_cbranch_execz .LBB135_147
; %bb.146:
	v_cvt_i32_f32_e32 v2, v9
	v_cvt_i32_f32_e32 v4, v10
	s_delay_alu instid0(VALU_DEP_2) | instskip(NEXT) | instid1(VALU_DEP_2)
	v_mul_hi_i32 v2, 0x66666667, v2
	v_mul_hi_i32 v4, 0x66666667, v4
	s_waitcnt lgkmcnt(1)
	s_delay_alu instid0(VALU_DEP_2) | instskip(SKIP_1) | instid1(VALU_DEP_3)
	v_lshrrev_b32_e32 v5, 31, v2
	v_ashrrev_i32_e32 v2, 2, v2
	v_lshrrev_b32_e32 v6, 31, v4
	v_ashrrev_i32_e32 v4, 2, v4
	s_delay_alu instid0(VALU_DEP_3) | instskip(NEXT) | instid1(VALU_DEP_2)
	v_add_nc_u32_e32 v2, v2, v5
	v_add_nc_u32_e32 v4, v4, v6
	s_delay_alu instid0(VALU_DEP_1)
	v_cmp_ne_u32_e32 vcc_lo, v2, v4
	v_cndmask_b32_e64 v28, 0, 1, vcc_lo
.LBB135_147:
	s_or_b32 exec_lo, exec_lo, s2
	v_dual_mov_b32 v24, 0 :: v_dual_add_nc_u32 v23, 12, v3
	v_mov_b32_e32 v59, 0
	s_mov_b32 s2, exec_lo
	s_delay_alu instid0(VALU_DEP_2)
	v_cmpx_gt_u64_e64 s[0:1], v[23:24]
	s_cbranch_execz .LBB135_149
; %bb.148:
	v_cvt_i32_f32_e32 v2, v12
	v_cvt_i32_f32_e32 v4, v9
	s_delay_alu instid0(VALU_DEP_2) | instskip(NEXT) | instid1(VALU_DEP_2)
	v_mul_hi_i32 v2, 0x66666667, v2
	v_mul_hi_i32 v4, 0x66666667, v4
	s_waitcnt lgkmcnt(1)
	s_delay_alu instid0(VALU_DEP_2) | instskip(SKIP_1) | instid1(VALU_DEP_3)
	v_lshrrev_b32_e32 v5, 31, v2
	v_ashrrev_i32_e32 v2, 2, v2
	v_lshrrev_b32_e32 v6, 31, v4
	v_ashrrev_i32_e32 v4, 2, v4
	s_delay_alu instid0(VALU_DEP_3) | instskip(NEXT) | instid1(VALU_DEP_2)
	v_add_nc_u32_e32 v2, v2, v5
	v_add_nc_u32_e32 v4, v4, v6
	s_delay_alu instid0(VALU_DEP_1)
	v_cmp_ne_u32_e32 vcc_lo, v2, v4
	v_cndmask_b32_e64 v59, 0, 1, vcc_lo
.LBB135_149:
	s_or_b32 exec_lo, exec_lo, s2
	v_add_nc_u32_e32 v23, 11, v3
	s_mov_b32 s2, exec_lo
	s_delay_alu instid0(VALU_DEP_1)
	v_cmpx_gt_u64_e64 s[0:1], v[23:24]
	s_cbranch_execz .LBB135_151
; %bb.150:
	v_cvt_i32_f32_e32 v2, v11
	v_cvt_i32_f32_e32 v4, v12
	s_delay_alu instid0(VALU_DEP_2) | instskip(NEXT) | instid1(VALU_DEP_2)
	v_mul_hi_i32 v2, 0x66666667, v2
	v_mul_hi_i32 v4, 0x66666667, v4
	s_waitcnt lgkmcnt(1)
	s_delay_alu instid0(VALU_DEP_2) | instskip(SKIP_1) | instid1(VALU_DEP_3)
	v_lshrrev_b32_e32 v5, 31, v2
	v_ashrrev_i32_e32 v2, 2, v2
	v_lshrrev_b32_e32 v6, 31, v4
	v_ashrrev_i32_e32 v4, 2, v4
	s_delay_alu instid0(VALU_DEP_3) | instskip(NEXT) | instid1(VALU_DEP_2)
	v_add_nc_u32_e32 v2, v2, v5
	v_add_nc_u32_e32 v4, v4, v6
	s_delay_alu instid0(VALU_DEP_1)
	v_cmp_ne_u32_e32 vcc_lo, v2, v4
	v_cndmask_b32_e64 v24, 0, 1, vcc_lo
.LBB135_151:
	s_or_b32 exec_lo, exec_lo, s2
	v_dual_mov_b32 v26, 0 :: v_dual_add_nc_u32 v25, 10, v3
	v_mov_b32_e32 v23, 0
	s_mov_b32 s2, exec_lo
	s_delay_alu instid0(VALU_DEP_2)
	;; [unrolled: 51-line block ×6, first 2 shown]
	v_cmpx_gt_u64_e64 s[0:1], v[49:50]
	s_cbranch_execz .LBB135_169
; %bb.168:
	v_cvt_i32_f32_e32 v2, v22
	v_cvt_i32_f32_e32 v4, v19
	s_delay_alu instid0(VALU_DEP_2) | instskip(NEXT) | instid1(VALU_DEP_2)
	v_mul_hi_i32 v2, 0x66666667, v2
	v_mul_hi_i32 v4, 0x66666667, v4
	s_waitcnt lgkmcnt(1)
	s_delay_alu instid0(VALU_DEP_2) | instskip(SKIP_1) | instid1(VALU_DEP_3)
	v_lshrrev_b32_e32 v5, 31, v2
	v_ashrrev_i32_e32 v2, 2, v2
	v_lshrrev_b32_e32 v6, 31, v4
	v_ashrrev_i32_e32 v4, 2, v4
	s_delay_alu instid0(VALU_DEP_3) | instskip(NEXT) | instid1(VALU_DEP_2)
	v_add_nc_u32_e32 v2, v2, v5
	v_add_nc_u32_e32 v4, v4, v6
	s_delay_alu instid0(VALU_DEP_1)
	v_cmp_ne_u32_e32 vcc_lo, v2, v4
	v_cndmask_b32_e64 v33, 0, 1, vcc_lo
.LBB135_169:
	s_or_b32 exec_lo, exec_lo, s2
	v_add_nc_u32_e32 v49, 1, v3
	s_mov_b32 s2, exec_lo
	s_delay_alu instid0(VALU_DEP_1)
	v_cmpx_gt_u64_e64 s[0:1], v[49:50]
	s_cbranch_execz .LBB135_171
; %bb.170:
	v_cvt_i32_f32_e32 v2, v21
	v_cvt_i32_f32_e32 v4, v22
	s_delay_alu instid0(VALU_DEP_2) | instskip(NEXT) | instid1(VALU_DEP_2)
	v_mul_hi_i32 v2, 0x66666667, v2
	v_mul_hi_i32 v4, 0x66666667, v4
	s_waitcnt lgkmcnt(1)
	s_delay_alu instid0(VALU_DEP_2) | instskip(SKIP_1) | instid1(VALU_DEP_3)
	v_lshrrev_b32_e32 v5, 31, v2
	v_ashrrev_i32_e32 v2, 2, v2
	v_lshrrev_b32_e32 v6, 31, v4
	v_ashrrev_i32_e32 v4, 2, v4
	s_delay_alu instid0(VALU_DEP_3) | instskip(NEXT) | instid1(VALU_DEP_2)
	v_add_nc_u32_e32 v2, v2, v5
	v_add_nc_u32_e32 v4, v4, v6
	s_delay_alu instid0(VALU_DEP_1)
	v_cmp_ne_u32_e32 vcc_lo, v2, v4
	v_cndmask_b32_e64 v50, 0, 1, vcc_lo
.LBB135_171:
	s_or_b32 exec_lo, exec_lo, s2
	s_mov_b32 s4, 0
	s_mov_b32 s3, exec_lo
	s_waitcnt lgkmcnt(0)
	s_barrier
	buffer_gl0_inv
                                        ; implicit-def: $sgpr2
	v_cmpx_ne_u32_e32 0, v0
	s_cbranch_execz .LBB135_175
; %bb.172:
	v_mov_b32_e32 v4, 0
	s_delay_alu instid0(VALU_DEP_1)
	v_cmp_gt_u64_e32 vcc_lo, s[0:1], v[3:4]
	s_and_saveexec_b32 s0, vcc_lo
	s_cbranch_execz .LBB135_174
; %bb.173:
	v_add_nc_u32_e32 v1, -4, v1
	v_cvt_i32_f32_e32 v2, v21
	ds_load_b32 v1, v1
	v_mul_hi_i32 v2, 0x66666667, v2
	s_delay_alu instid0(VALU_DEP_1) | instskip(SKIP_1) | instid1(VALU_DEP_1)
	v_lshrrev_b32_e32 v3, 31, v2
	v_ashrrev_i32_e32 v2, 2, v2
	v_add_nc_u32_e32 v2, v2, v3
	s_waitcnt lgkmcnt(0)
	v_cvt_i32_f32_e32 v1, v1
	s_delay_alu instid0(VALU_DEP_1) | instskip(NEXT) | instid1(VALU_DEP_1)
	v_mul_hi_i32 v1, 0x66666667, v1
	v_lshrrev_b32_e32 v4, 31, v1
	v_ashrrev_i32_e32 v1, 2, v1
	s_delay_alu instid0(VALU_DEP_1) | instskip(NEXT) | instid1(VALU_DEP_1)
	v_add_nc_u32_e32 v1, v1, v4
	v_cmp_ne_u32_e32 vcc_lo, v1, v2
	s_and_b32 s4, vcc_lo, exec_lo
.LBB135_174:
	s_or_b32 exec_lo, exec_lo, s0
	s_delay_alu instid0(SALU_CYCLE_1)
	s_and_b32 s2, s4, exec_lo
	s_or_b32 s19, s19, exec_lo
.LBB135_175:
	s_or_b32 exec_lo, exec_lo, s3
	v_mov_b32_e32 v2, v28
	s_mov_b32 s0, 1
	s_delay_alu instid0(SALU_CYCLE_1)
	v_mov_b32_e32 v27, s0
	s_and_saveexec_b32 s0, s19
	s_cbranch_execnz .LBB135_72
	s_branch .LBB135_73
.LBB135_176:
	v_lshlrev_b32_e32 v6, 16, v49
	v_lshlrev_b32_e32 v5, 8, v5
	v_cndmask_b32_e64 v7, 0, 1, vcc_lo
	v_and_b32_e32 v2, 0xff, v2
	s_delay_alu instid0(VALU_DEP_4) | instskip(NEXT) | instid1(VALU_DEP_4)
	v_perm_b32 v6, v8, v6, 0x4020c0c
	v_and_b32_e32 v5, 0xff00, v5
	s_delay_alu instid0(VALU_DEP_4) | instskip(NEXT) | instid1(VALU_DEP_2)
	v_readfirstlane_b32 s14, v7
	v_or3_b32 v2, v6, v5, v2
	s_delay_alu instid0(VALU_DEP_2)
	s_sub_i32 s16, s16, s14
.LBB135_177:
	v_and_b32_e32 v4, 0xff, v4
	s_delay_alu instid0(VALU_DEP_1)
	v_cmp_eq_u16_e32 vcc_lo, 2, v4
	s_cbranch_vccz .LBB135_182
; %bb.178:
	s_ctz_i32_b32 s14, vcc_lo
	s_delay_alu instid0(SALU_CYCLE_1)
	s_cmp_eq_u32 s14, 0
	s_cbranch_scc1 .LBB135_183
; %bb.179:
	v_cmp_ne_u32_e32 vcc_lo, 31, v72
	v_add_co_ci_u32_e32 v4, vcc_lo, 0, v72, vcc_lo
	v_cmp_eq_u32_e32 vcc_lo, 0, v2
	s_delay_alu instid0(VALU_DEP_2)
	v_dual_mov_b32 v5, v3 :: v_dual_lshlrev_b32 v6, 2, v4
	v_mov_b32_e32 v4, v2
.LBB135_180:                            ; =>This Inner Loop Header: Depth=1
	ds_bpermute_b32 v5, v6, v5
	ds_bpermute_b32 v4, v6, v4
	s_add_i32 s14, s14, -1
	s_delay_alu instid0(SALU_CYCLE_1) | instskip(SKIP_2) | instid1(VALU_DEP_1)
	s_cmp_lg_u32 s14, 0
	s_waitcnt lgkmcnt(0)
	v_dual_add_f32 v5, v3, v5 :: v_dual_add_nc_u32 v4, v4, v2
	v_cndmask_b32_e32 v5, v3, v5, vcc_lo
	s_cbranch_scc1 .LBB135_180
; %bb.181:
	s_cmp_lt_i32 s16, 1
	s_cbranch_scc0 .LBB135_184
	s_branch .LBB135_186
.LBB135_182:
	s_mov_b32 s16, 0
	s_mov_b32 s15, -1
	s_branch .LBB135_191
.LBB135_183:
	v_dual_mov_b32 v5, v3 :: v_dual_mov_b32 v4, v2
	s_cmp_lt_i32 s16, 1
	s_cbranch_scc1 .LBB135_186
.LBB135_184:
	s_lshl_b32 s14, s16, 3
	s_delay_alu instid0(SALU_CYCLE_1) | instskip(SKIP_1) | instid1(VALU_DEP_1)
	v_add_nc_u32_e64 v2, s14, 0
	s_add_i32 s14, s16, 1
	v_add_nc_u32_e32 v2, -4, v2
.LBB135_185:                            ; =>This Inner Loop Header: Depth=1
	scratch_load_b64 v[6:7], v2, off offset:-4
	v_readlane_b32 s16, v5, 32
	s_add_i32 s14, s14, -1
	v_add_nc_u32_e32 v2, -8, v2
	s_cmp_gt_u32 s14, 1
	s_waitcnt vmcnt(0)
	v_add_f32_e32 v3, s16, v7
	v_readlane_b32 s16, v4, 32
	v_cmp_eq_u32_e32 vcc_lo, 0, v6
	s_delay_alu instid0(VALU_DEP_2) | instskip(NEXT) | instid1(VALU_DEP_1)
	v_add_nc_u32_e32 v4, s16, v6
	v_mov_b32_dpp v4, v4 row_shl:1 row_mask:0xf bank_mask:0xf
	s_delay_alu instid0(VALU_DEP_1) | instskip(NEXT) | instid1(VALU_DEP_1)
	v_dual_cndmask_b32 v3, v7, v3 :: v_dual_add_nc_u32 v4, v4, v6
	v_mov_b32_dpp v3, v3 row_shl:1 row_mask:0xf bank_mask:0xf
	s_delay_alu instid0(VALU_DEP_2) | instskip(NEXT) | instid1(VALU_DEP_1)
	v_mov_b32_dpp v4, v4 row_shl:1 row_mask:0xf bank_mask:0xf
	v_dual_add_f32 v3, v7, v3 :: v_dual_add_nc_u32 v4, v4, v6
	s_delay_alu instid0(VALU_DEP_1) | instskip(NEXT) | instid1(VALU_DEP_1)
	v_mov_b32_dpp v4, v4 row_shl:1 row_mask:0xf bank_mask:0xf
	v_dual_cndmask_b32 v3, v7, v3 :: v_dual_add_nc_u32 v4, v4, v6
	s_delay_alu instid0(VALU_DEP_1) | instskip(NEXT) | instid1(VALU_DEP_2)
	v_mov_b32_dpp v3, v3 row_shl:1 row_mask:0xf bank_mask:0xf
	v_mov_b32_dpp v4, v4 row_shl:1 row_mask:0xf bank_mask:0xf
	s_delay_alu instid0(VALU_DEP_1) | instskip(NEXT) | instid1(VALU_DEP_1)
	v_dual_add_f32 v3, v7, v3 :: v_dual_add_nc_u32 v4, v4, v6
	v_mov_b32_dpp v4, v4 row_shl:1 row_mask:0xf bank_mask:0xf
	s_delay_alu instid0(VALU_DEP_1) | instskip(NEXT) | instid1(VALU_DEP_1)
	v_dual_cndmask_b32 v3, v7, v3 :: v_dual_add_nc_u32 v4, v4, v6
	v_mov_b32_dpp v3, v3 row_shl:1 row_mask:0xf bank_mask:0xf
	s_delay_alu instid0(VALU_DEP_2) | instskip(NEXT) | instid1(VALU_DEP_1)
	v_mov_b32_dpp v4, v4 row_shl:1 row_mask:0xf bank_mask:0xf
	v_dual_add_f32 v3, v7, v3 :: v_dual_add_nc_u32 v4, v4, v6
	s_delay_alu instid0(VALU_DEP_1) | instskip(NEXT) | instid1(VALU_DEP_1)
	v_mov_b32_dpp v4, v4 row_shl:1 row_mask:0xf bank_mask:0xf
	v_dual_cndmask_b32 v3, v7, v3 :: v_dual_add_nc_u32 v4, v4, v6
	s_delay_alu instid0(VALU_DEP_1) | instskip(NEXT) | instid1(VALU_DEP_2)
	v_mov_b32_dpp v3, v3 row_shl:1 row_mask:0xf bank_mask:0xf
	v_mov_b32_dpp v4, v4 row_shl:1 row_mask:0xf bank_mask:0xf
	s_delay_alu instid0(VALU_DEP_2) | instskip(NEXT) | instid1(VALU_DEP_1)
	v_add_f32_e32 v3, v7, v3
	v_cndmask_b32_e32 v3, v7, v3, vcc_lo
	s_delay_alu instid0(VALU_DEP_1) | instskip(NEXT) | instid1(VALU_DEP_1)
	v_mov_b32_dpp v3, v3 row_shl:1 row_mask:0xf bank_mask:0xf
	v_add_f32_e32 v3, v7, v3
	s_delay_alu instid0(VALU_DEP_1) | instskip(NEXT) | instid1(VALU_DEP_1)
	v_cndmask_b32_e32 v3, v7, v3, vcc_lo
	v_mov_b32_dpp v3, v3 row_shl:1 row_mask:0xf bank_mask:0xf
	s_delay_alu instid0(VALU_DEP_1) | instskip(NEXT) | instid1(VALU_DEP_1)
	v_add_f32_e32 v3, v7, v3
	v_cndmask_b32_e32 v3, v7, v3, vcc_lo
	s_delay_alu instid0(VALU_DEP_1) | instskip(NEXT) | instid1(VALU_DEP_1)
	v_mov_b32_dpp v3, v3 row_shl:1 row_mask:0xf bank_mask:0xf
	v_add_f32_e32 v3, v7, v3
	s_delay_alu instid0(VALU_DEP_1) | instskip(NEXT) | instid1(VALU_DEP_1)
	v_cndmask_b32_e32 v3, v7, v3, vcc_lo
	v_mov_b32_dpp v3, v3 row_shl:1 row_mask:0xf bank_mask:0xf
	s_delay_alu instid0(VALU_DEP_1) | instskip(NEXT) | instid1(VALU_DEP_1)
	;; [unrolled: 9-line block ×5, first 2 shown]
	v_add_f32_e32 v3, v7, v3
	v_cndmask_b32_e32 v3, v7, v3, vcc_lo
	s_delay_alu instid0(VALU_DEP_1) | instskip(NEXT) | instid1(VALU_DEP_1)
	v_mov_b32_dpp v3, v3 row_shl:1 row_mask:0xf bank_mask:0xf
	v_add_f32_e32 v3, v7, v3
	s_delay_alu instid0(VALU_DEP_1) | instskip(NEXT) | instid1(VALU_DEP_1)
	v_cndmask_b32_e32 v3, v7, v3, vcc_lo
	v_readlane_b32 s16, v3, 16
	s_delay_alu instid0(VALU_DEP_1) | instskip(NEXT) | instid1(VALU_DEP_1)
	v_dual_add_f32 v4, s16, v7 :: v_dual_add_nc_u32 v3, v4, v6
	v_mov_b32_dpp v3, v3 row_shl:1 row_mask:0xf bank_mask:0xf
	s_delay_alu instid0(VALU_DEP_2) | instskip(NEXT) | instid1(VALU_DEP_2)
	v_cndmask_b32_e32 v4, v7, v4, vcc_lo
	v_add_nc_u32_e32 v3, v3, v6
	s_delay_alu instid0(VALU_DEP_2) | instskip(NEXT) | instid1(VALU_DEP_2)
	v_mov_b32_dpp v4, v4 row_shl:1 row_mask:0xf bank_mask:0xf
	v_mov_b32_dpp v3, v3 row_shl:1 row_mask:0xf bank_mask:0xf
	s_delay_alu instid0(VALU_DEP_2) | instskip(NEXT) | instid1(VALU_DEP_2)
	v_add_f32_e32 v4, v7, v4
	v_add_nc_u32_e32 v3, v3, v6
	s_delay_alu instid0(VALU_DEP_2) | instskip(NEXT) | instid1(VALU_DEP_2)
	v_cndmask_b32_e32 v4, v7, v4, vcc_lo
	v_mov_b32_dpp v3, v3 row_shl:1 row_mask:0xf bank_mask:0xf
	s_delay_alu instid0(VALU_DEP_2) | instskip(NEXT) | instid1(VALU_DEP_2)
	v_mov_b32_dpp v4, v4 row_shl:1 row_mask:0xf bank_mask:0xf
	v_add_nc_u32_e32 v3, v3, v6
	s_delay_alu instid0(VALU_DEP_2) | instskip(NEXT) | instid1(VALU_DEP_2)
	v_add_f32_e32 v4, v7, v4
	v_mov_b32_dpp v3, v3 row_shl:1 row_mask:0xf bank_mask:0xf
	s_delay_alu instid0(VALU_DEP_2) | instskip(NEXT) | instid1(VALU_DEP_2)
	v_cndmask_b32_e32 v4, v7, v4, vcc_lo
	v_add_nc_u32_e32 v3, v3, v6
	s_delay_alu instid0(VALU_DEP_2) | instskip(NEXT) | instid1(VALU_DEP_2)
	v_mov_b32_dpp v4, v4 row_shl:1 row_mask:0xf bank_mask:0xf
	v_mov_b32_dpp v3, v3 row_shl:1 row_mask:0xf bank_mask:0xf
	s_delay_alu instid0(VALU_DEP_2) | instskip(NEXT) | instid1(VALU_DEP_2)
	v_add_f32_e32 v4, v7, v4
	v_add_nc_u32_e32 v3, v3, v6
	s_delay_alu instid0(VALU_DEP_2) | instskip(NEXT) | instid1(VALU_DEP_2)
	v_cndmask_b32_e32 v4, v7, v4, vcc_lo
	v_mov_b32_dpp v3, v3 row_shl:1 row_mask:0xf bank_mask:0xf
	s_delay_alu instid0(VALU_DEP_2) | instskip(NEXT) | instid1(VALU_DEP_2)
	v_mov_b32_dpp v4, v4 row_shl:1 row_mask:0xf bank_mask:0xf
	v_add_nc_u32_e32 v3, v3, v6
	s_delay_alu instid0(VALU_DEP_2) | instskip(NEXT) | instid1(VALU_DEP_2)
	v_add_f32_e32 v4, v7, v4
	v_mov_b32_dpp v3, v3 row_shl:1 row_mask:0xf bank_mask:0xf
	s_delay_alu instid0(VALU_DEP_2) | instskip(NEXT) | instid1(VALU_DEP_2)
	v_cndmask_b32_e32 v4, v7, v4, vcc_lo
	v_add_nc_u32_e32 v3, v3, v6
	s_delay_alu instid0(VALU_DEP_2) | instskip(NEXT) | instid1(VALU_DEP_2)
	v_mov_b32_dpp v4, v4 row_shl:1 row_mask:0xf bank_mask:0xf
	v_readlane_b32 s16, v3, 16
	s_delay_alu instid0(VALU_DEP_1) | instskip(NEXT) | instid1(VALU_DEP_1)
	v_dual_add_f32 v3, v7, v4 :: v_dual_add_nc_u32 v4, s16, v6
	v_cndmask_b32_e32 v3, v7, v3, vcc_lo
	s_delay_alu instid0(VALU_DEP_2) | instskip(NEXT) | instid1(VALU_DEP_2)
	v_mov_b32_dpp v4, v4 row_shl:1 row_mask:0xf bank_mask:0xf
	v_mov_b32_dpp v3, v3 row_shl:1 row_mask:0xf bank_mask:0xf
	s_delay_alu instid0(VALU_DEP_1) | instskip(NEXT) | instid1(VALU_DEP_1)
	v_dual_add_f32 v3, v7, v3 :: v_dual_add_nc_u32 v4, v4, v6
	v_mov_b32_dpp v4, v4 row_shl:1 row_mask:0xf bank_mask:0xf
	s_delay_alu instid0(VALU_DEP_1) | instskip(NEXT) | instid1(VALU_DEP_1)
	v_dual_cndmask_b32 v3, v7, v3 :: v_dual_add_nc_u32 v4, v4, v6
	v_mov_b32_dpp v3, v3 row_shl:1 row_mask:0xf bank_mask:0xf
	s_delay_alu instid0(VALU_DEP_2) | instskip(NEXT) | instid1(VALU_DEP_1)
	v_mov_b32_dpp v4, v4 row_shl:1 row_mask:0xf bank_mask:0xf
	v_dual_add_f32 v3, v7, v3 :: v_dual_add_nc_u32 v4, v4, v6
	s_delay_alu instid0(VALU_DEP_1) | instskip(NEXT) | instid1(VALU_DEP_2)
	v_cndmask_b32_e32 v3, v7, v3, vcc_lo
	v_mov_b32_dpp v4, v4 row_shl:1 row_mask:0xf bank_mask:0xf
	s_delay_alu instid0(VALU_DEP_2) | instskip(NEXT) | instid1(VALU_DEP_1)
	v_mov_b32_dpp v3, v3 row_shl:1 row_mask:0xf bank_mask:0xf
	v_dual_add_f32 v3, v7, v3 :: v_dual_add_nc_u32 v4, v4, v6
	s_delay_alu instid0(VALU_DEP_1) | instskip(NEXT) | instid1(VALU_DEP_1)
	v_mov_b32_dpp v4, v4 row_shl:1 row_mask:0xf bank_mask:0xf
	v_dual_cndmask_b32 v3, v7, v3 :: v_dual_add_nc_u32 v4, v4, v6
	s_delay_alu instid0(VALU_DEP_1) | instskip(NEXT) | instid1(VALU_DEP_2)
	v_mov_b32_dpp v3, v3 row_shl:1 row_mask:0xf bank_mask:0xf
	v_mov_b32_dpp v4, v4 row_shl:1 row_mask:0xf bank_mask:0xf
	s_delay_alu instid0(VALU_DEP_1) | instskip(NEXT) | instid1(VALU_DEP_1)
	v_dual_add_f32 v3, v7, v3 :: v_dual_add_nc_u32 v4, v4, v6
	v_cndmask_b32_e32 v3, v7, v3, vcc_lo
	s_delay_alu instid0(VALU_DEP_2) | instskip(NEXT) | instid1(VALU_DEP_2)
	v_mov_b32_dpp v4, v4 row_shl:1 row_mask:0xf bank_mask:0xf
	v_mov_b32_dpp v3, v3 row_shl:1 row_mask:0xf bank_mask:0xf
	s_delay_alu instid0(VALU_DEP_1) | instskip(NEXT) | instid1(VALU_DEP_1)
	v_dual_add_f32 v3, v7, v3 :: v_dual_add_nc_u32 v4, v4, v6
	v_mov_b32_dpp v4, v4 row_shl:1 row_mask:0xf bank_mask:0xf
	s_delay_alu instid0(VALU_DEP_1) | instskip(NEXT) | instid1(VALU_DEP_1)
	v_dual_cndmask_b32 v3, v7, v3 :: v_dual_add_nc_u32 v4, v4, v6
	v_mov_b32_dpp v3, v3 row_shl:1 row_mask:0xf bank_mask:0xf
	s_delay_alu instid0(VALU_DEP_2) | instskip(NEXT) | instid1(VALU_DEP_1)
	v_mov_b32_dpp v4, v4 row_shl:1 row_mask:0xf bank_mask:0xf
	v_dual_add_f32 v3, v7, v3 :: v_dual_add_nc_u32 v4, v4, v6
	s_delay_alu instid0(VALU_DEP_1) | instskip(NEXT) | instid1(VALU_DEP_2)
	v_cndmask_b32_e32 v3, v7, v3, vcc_lo
	v_mov_b32_dpp v4, v4 row_shl:1 row_mask:0xf bank_mask:0xf
	s_delay_alu instid0(VALU_DEP_2) | instskip(NEXT) | instid1(VALU_DEP_1)
	v_mov_b32_dpp v3, v3 row_shl:1 row_mask:0xf bank_mask:0xf
	v_dual_add_f32 v3, v7, v3 :: v_dual_add_nc_u32 v4, v4, v6
	s_delay_alu instid0(VALU_DEP_1) | instskip(NEXT) | instid1(VALU_DEP_1)
	v_mov_b32_dpp v4, v4 row_shl:1 row_mask:0xf bank_mask:0xf
	v_dual_cndmask_b32 v3, v7, v3 :: v_dual_add_nc_u32 v4, v4, v6
	s_delay_alu instid0(VALU_DEP_1) | instskip(NEXT) | instid1(VALU_DEP_2)
	v_mov_b32_dpp v3, v3 row_shl:1 row_mask:0xf bank_mask:0xf
	v_mov_b32_dpp v4, v4 row_shl:1 row_mask:0xf bank_mask:0xf
	s_delay_alu instid0(VALU_DEP_1) | instskip(NEXT) | instid1(VALU_DEP_1)
	v_dual_add_f32 v3, v7, v3 :: v_dual_add_nc_u32 v4, v4, v6
	v_cndmask_b32_e32 v3, v7, v3, vcc_lo
	s_delay_alu instid0(VALU_DEP_2) | instskip(NEXT) | instid1(VALU_DEP_2)
	v_mov_b32_dpp v4, v4 row_shl:1 row_mask:0xf bank_mask:0xf
	v_mov_b32_dpp v3, v3 row_shl:1 row_mask:0xf bank_mask:0xf
	s_delay_alu instid0(VALU_DEP_1) | instskip(NEXT) | instid1(VALU_DEP_1)
	v_dual_add_f32 v3, v7, v3 :: v_dual_add_nc_u32 v4, v4, v6
	v_mov_b32_dpp v4, v4 row_shl:1 row_mask:0xf bank_mask:0xf
	s_delay_alu instid0(VALU_DEP_1) | instskip(NEXT) | instid1(VALU_DEP_1)
	v_dual_cndmask_b32 v3, v7, v3 :: v_dual_add_nc_u32 v4, v4, v6
	v_mov_b32_dpp v3, v3 row_shl:1 row_mask:0xf bank_mask:0xf
	s_delay_alu instid0(VALU_DEP_2) | instskip(NEXT) | instid1(VALU_DEP_1)
	v_mov_b32_dpp v4, v4 row_shl:1 row_mask:0xf bank_mask:0xf
	v_dual_add_f32 v3, v7, v3 :: v_dual_add_nc_u32 v4, v4, v6
	s_delay_alu instid0(VALU_DEP_1)
	v_cndmask_b32_e32 v5, v7, v3, vcc_lo
	s_cbranch_scc1 .LBB135_185
.LBB135_186:
	s_delay_alu instid0(VALU_DEP_1) | instskip(NEXT) | instid1(VALU_DEP_2)
	v_readfirstlane_b32 s14, v4
	v_readfirstlane_b32 s16, v5
	s_and_saveexec_b32 s17, s13
	s_cbranch_execz .LBB135_188
; %bb.187:
	s_delay_alu instid0(VALU_DEP_1)
	v_add_f32_e64 v2, s30, s16
	v_cmp_eq_u32_e32 vcc_lo, 0, v1
	s_mov_b32 s19, 0
	s_add_i32 s18, s15, 32
	v_mov_b32_e32 v7, 2
	s_lshl_b64 s[18:19], s[18:19], 4
	v_cndmask_b32_e32 v2, s30, v2, vcc_lo
	s_add_u32 s18, s24, s18
	s_addc_u32 s19, s25, s19
	s_delay_alu instid0(SALU_CYCLE_1) | instskip(NEXT) | instid1(VALU_DEP_2)
	v_dual_mov_b32 v54, s19 :: v_dual_add_nc_u32 v5, s14, v1
	v_dual_mov_b32 v8, 0 :: v_dual_and_b32 v3, 0xff000000, v2
	v_dual_mov_b32 v53, s18 :: v_dual_and_b32 v4, 0xff0000, v2
	v_and_b32_e32 v6, 0xff00, v2
	v_and_b32_e32 v2, 0xff, v2
	s_delay_alu instid0(VALU_DEP_3) | instskip(SKIP_1) | instid1(VALU_DEP_2)
	v_or_b32_e32 v3, v4, v3
	v_mov_b32_e32 v4, s16
	v_or_b32_e32 v3, v3, v6
	s_delay_alu instid0(VALU_DEP_1)
	v_or_b32_e32 v6, v3, v2
	v_dual_mov_b32 v3, s14 :: v_dual_mov_b32 v2, s30
	;;#ASMSTART
	global_store_dwordx4 v[53:54], v[5:8] off	
s_waitcnt vmcnt(0)
	;;#ASMEND
	ds_store_b128 v8, v[1:4] offset:2048
.LBB135_188:
	s_or_b32 exec_lo, exec_lo, s17
	s_mov_b32 s15, 0
	s_mov_b32 s17, exec_lo
	v_cmpx_eq_u32_e32 0, v0
	s_cbranch_execz .LBB135_190
; %bb.189:
	v_dual_mov_b32 v1, s14 :: v_dual_mov_b32 v2, s16
	v_mov_b32_e32 v3, 0
	ds_store_b64 v3, v[1:2] offset:2120
.LBB135_190:
	s_or_b32 exec_lo, exec_lo, s17
	s_mov_b32 s16, -1
.LBB135_191:
	s_and_b32 s14, s15, exec_lo
	s_or_not1_b32 s16, s16, exec_lo
.LBB135_192:
	s_or_b32 exec_lo, exec_lo, s29
                                        ; implicit-def: $vgpr1
                                        ; implicit-def: $vgpr49
                                        ; implicit-def: $vgpr5
                                        ; implicit-def: $vgpr62
                                        ; implicit-def: $vgpr53
                                        ; implicit-def: $vgpr55
                                        ; implicit-def: $vgpr54
                                        ; implicit-def: $vgpr56
                                        ; implicit-def: $vgpr61
                                        ; implicit-def: $vgpr63
                                        ; implicit-def: $vgpr64
                                        ; implicit-def: $vgpr65
                                        ; implicit-def: $vgpr66
                                        ; implicit-def: $vgpr67
                                        ; implicit-def: $vgpr68
                                        ; implicit-def: $vgpr69
                                        ; implicit-def: $vgpr70
                                        ; implicit-def: $vgpr71
	s_and_saveexec_b32 s15, s16
	s_cbranch_execz .LBB135_225
; %bb.193:
	s_waitcnt lgkmcnt(1)
	v_cndmask_b32_e64 v7, v77, v51, s13
	s_waitcnt lgkmcnt(0)
	v_cndmask_b32_e64 v2, v78, v52, s13
	s_waitcnt_vscnt null, 0x0
	s_barrier
	buffer_gl0_inv
	v_cmp_eq_u32_e32 vcc_lo, 0, v7
	v_mov_b32_e32 v1, 0
	v_cmp_eq_u32_e64 s13, 0, v27
	s_mov_b32 s27, exec_lo
	ds_load_b64 v[5:6], v1 offset:2120
	s_waitcnt lgkmcnt(0)
	s_barrier
	buffer_gl0_inv
	v_add_f32_e32 v3, v2, v6
	s_delay_alu instid0(VALU_DEP_1) | instskip(SKIP_1) | instid1(VALU_DEP_2)
	v_cndmask_b32_e32 v2, v2, v3, vcc_lo
	v_cmp_eq_u32_e32 vcc_lo, 0, v0
	v_cndmask_b32_e32 v71, v2, v6, vcc_lo
	s_delay_alu instid0(VALU_DEP_1) | instskip(NEXT) | instid1(VALU_DEP_1)
	v_add_f32_e32 v2, v47, v71
	v_cndmask_b32_e64 v70, v47, v2, s13
	s_delay_alu instid0(VALU_DEP_1) | instskip(NEXT) | instid1(VALU_DEP_1)
	v_add_f32_e32 v2, v48, v70
	v_cndmask_b32_e64 v69, v48, v2, s12
	;; [unrolled: 3-line block ×11, first 2 shown]
	ds_load_b128 v[1:4], v1 offset:2048
	v_add_f32_e32 v6, v38, v54
	s_delay_alu instid0(VALU_DEP_1) | instskip(SKIP_2) | instid1(VALU_DEP_2)
	v_cndmask_b32_e64 v55, v38, v6, s2
	s_waitcnt lgkmcnt(0)
	v_add_f32_e32 v4, v4, v2
	v_add_f32_e32 v6, v35, v55
	s_delay_alu instid0(VALU_DEP_1) | instskip(SKIP_2) | instid1(VALU_DEP_2)
	v_cndmask_b32_e64 v53, v35, v6, s1
	v_cndmask_b32_e64 v6, v7, 0, vcc_lo
	v_cmp_eq_u32_e32 vcc_lo, 0, v1
	v_dual_add_f32 v7, v36, v53 :: v_dual_add_nc_u32 v6, v5, v6
	v_cndmask_b32_e32 v49, v2, v4, vcc_lo
	v_mov_b32_e32 v5, v3
	s_delay_alu instid0(VALU_DEP_3) | instskip(NEXT) | instid1(VALU_DEP_4)
	v_cndmask_b32_e64 v62, v36, v7, s0
	v_mov_b32_e32 v4, v6
	s_or_b32 exec_lo, exec_lo, s15
	s_and_saveexec_b32 s0, s14
	s_delay_alu instid0(SALU_CYCLE_1)
	s_xor_b32 s0, exec_lo, s0
	s_cbranch_execnz .LBB135_226
.LBB135_194:
	s_or_b32 exec_lo, exec_lo, s0
	s_branch .LBB135_102
.LBB135_195:
	s_and_b32 s0, s26, exec_lo
	s_waitcnt lgkmcnt(0)
	v_mov_b32_e32 v5, v47
	s_cselect_b32 s1, 0, s35
	s_cselect_b32 s0, 0, s34
	s_delay_alu instid0(SALU_CYCLE_1)
	s_cmp_eq_u64 s[0:1], 0
	s_cbranch_scc1 .LBB135_197
; %bb.196:
	v_mov_b32_e32 v1, 0
	global_load_b32 v5, v1, s[0:1]
.LBB135_197:
	v_cmp_eq_u32_e64 s0, 0, v50
	v_cmp_eq_u32_e64 s1, 0, v33
	v_add3_u32 v2, v75, v32, v29
	v_cmp_eq_u32_e64 s2, 0, v34
	v_cmp_eq_u32_e64 s3, 0, v31
	v_cndmask_b32_e64 v1, v48, v76, s0
	v_cmp_eq_u32_e64 s4, 0, v32
	v_add3_u32 v2, v2, v30, v25
	v_cmp_eq_u32_e64 s5, 0, v29
	v_cmp_eq_u32_e64 s6, 0, v30
	v_dual_add_f32 v1, v45, v1 :: v_dual_and_b32 v4, 15, v72
	s_delay_alu instid0(VALU_DEP_4) | instskip(SKIP_2) | instid1(VALU_DEP_4)
	v_add3_u32 v2, v2, v26, v23
	v_cmp_eq_u32_e64 s7, 0, v25
	v_cmp_eq_u32_e64 s9, 0, v26
	v_cndmask_b32_e64 v1, v45, v1, s1
	v_cmp_eq_u32_e64 s11, 0, v23
	v_add3_u32 v2, v2, v24, v59
	v_cmp_eq_u32_e64 s8, 0, v24
	v_cmp_eq_u32_e64 s10, 0, v59
	v_add_f32_e32 v1, v46, v1
	v_cmp_eq_u32_e32 vcc_lo, 0, v28
	v_add3_u32 v2, v2, v28, v58
	v_cmp_eq_u32_e64 s12, 0, v58
	v_and_b32_e32 v7, 16, v72
	v_cndmask_b32_e64 v1, v46, v1, s2
	s_delay_alu instid0(VALU_DEP_4) | instskip(NEXT) | instid1(VALU_DEP_3)
	v_mov_b32_dpp v6, v2 row_shr:1 row_mask:0xf bank_mask:0xf
	v_cmp_eq_u32_e64 s13, 0, v7
	s_delay_alu instid0(VALU_DEP_3) | instskip(NEXT) | instid1(VALU_DEP_1)
	v_add_f32_e32 v1, v43, v1
	v_cndmask_b32_e64 v1, v43, v1, s3
	s_delay_alu instid0(VALU_DEP_1) | instskip(NEXT) | instid1(VALU_DEP_1)
	v_add_f32_e32 v1, v44, v1
	v_cndmask_b32_e64 v1, v44, v1, s4
	s_delay_alu instid0(VALU_DEP_1) | instskip(NEXT) | instid1(VALU_DEP_1)
	;; [unrolled: 3-line block ×9, first 2 shown]
	v_add_f32_e32 v1, v36, v1
	v_cndmask_b32_e32 v1, v36, v1, vcc_lo
	s_delay_alu instid0(VALU_DEP_1) | instskip(NEXT) | instid1(VALU_DEP_1)
	v_add_f32_e32 v1, v60, v1
	v_cndmask_b32_e64 v1, v60, v1, s12
	v_cmp_eq_u32_e64 s12, 0, v2
	s_delay_alu instid0(VALU_DEP_2) | instskip(NEXT) | instid1(VALU_DEP_1)
	v_mov_b32_dpp v3, v1 row_shr:1 row_mask:0xf bank_mask:0xf
	v_add_f32_e32 v3, v1, v3
	s_delay_alu instid0(VALU_DEP_1) | instskip(SKIP_1) | instid1(VALU_DEP_1)
	v_cndmask_b32_e64 v3, v1, v3, s12
	v_cmp_eq_u32_e64 s12, 0, v4
	v_cndmask_b32_e64 v6, v6, 0, s12
	s_delay_alu instid0(VALU_DEP_3) | instskip(NEXT) | instid1(VALU_DEP_2)
	v_cndmask_b32_e64 v1, v3, v1, s12
	v_add_nc_u32_e32 v2, v6, v2
	s_delay_alu instid0(VALU_DEP_2) | instskip(NEXT) | instid1(VALU_DEP_2)
	v_mov_b32_dpp v3, v1 row_shr:2 row_mask:0xf bank_mask:0xf
	v_cmp_eq_u32_e64 s12, 0, v2
	s_delay_alu instid0(VALU_DEP_2) | instskip(SKIP_1) | instid1(VALU_DEP_2)
	v_add_f32_e32 v3, v1, v3
	v_mov_b32_dpp v6, v2 row_shr:2 row_mask:0xf bank_mask:0xf
	v_cndmask_b32_e64 v3, v1, v3, s12
	v_cmp_lt_u32_e64 s12, 1, v4
	s_delay_alu instid0(VALU_DEP_1) | instskip(NEXT) | instid1(VALU_DEP_4)
	v_cndmask_b32_e64 v1, v1, v3, s12
	v_cndmask_b32_e64 v3, 0, v6, s12
	s_delay_alu instid0(VALU_DEP_2) | instskip(NEXT) | instid1(VALU_DEP_1)
	v_mov_b32_dpp v6, v1 row_shr:4 row_mask:0xf bank_mask:0xf
	v_dual_add_f32 v3, v1, v6 :: v_dual_add_nc_u32 v2, v2, v3
	s_delay_alu instid0(VALU_DEP_1) | instskip(SKIP_1) | instid1(VALU_DEP_2)
	v_cmp_eq_u32_e64 s12, 0, v2
	v_mov_b32_dpp v6, v2 row_shr:4 row_mask:0xf bank_mask:0xf
	v_cndmask_b32_e64 v3, v1, v3, s12
	v_cmp_lt_u32_e64 s12, 3, v4
	s_delay_alu instid0(VALU_DEP_1) | instskip(NEXT) | instid1(VALU_DEP_4)
	v_cndmask_b32_e64 v1, v1, v3, s12
	v_cndmask_b32_e64 v3, 0, v6, s12
	s_delay_alu instid0(VALU_DEP_2) | instskip(NEXT) | instid1(VALU_DEP_2)
	v_mov_b32_dpp v6, v1 row_shr:8 row_mask:0xf bank_mask:0xf
	v_add_nc_u32_e32 v2, v3, v2
	s_delay_alu instid0(VALU_DEP_2) | instskip(NEXT) | instid1(VALU_DEP_2)
	v_add_f32_e32 v3, v1, v6
	v_cmp_eq_u32_e64 s12, 0, v2
	v_mov_b32_dpp v6, v2 row_shr:8 row_mask:0xf bank_mask:0xf
	s_delay_alu instid0(VALU_DEP_2) | instskip(SKIP_1) | instid1(VALU_DEP_1)
	v_cndmask_b32_e64 v3, v1, v3, s12
	v_cmp_lt_u32_e64 s12, 7, v4
	v_cndmask_b32_e64 v3, v1, v3, s12
	s_delay_alu instid0(VALU_DEP_4) | instskip(SKIP_1) | instid1(VALU_DEP_2)
	v_cndmask_b32_e64 v1, 0, v6, s12
	v_bfe_i32 v6, v72, 4, 1
	v_add_nc_u32_e32 v1, v1, v2
	ds_swizzle_b32 v2, v3 offset:swizzle(BROADCAST,32,15)
	ds_swizzle_b32 v4, v1 offset:swizzle(BROADCAST,32,15)
	v_cmp_eq_u32_e64 s12, 0, v1
	s_waitcnt lgkmcnt(1)
	v_add_f32_e32 v2, v3, v2
	s_waitcnt lgkmcnt(0)
	v_and_b32_e32 v4, v6, v4
	s_delay_alu instid0(VALU_DEP_2) | instskip(NEXT) | instid1(VALU_DEP_2)
	v_cndmask_b32_e64 v2, v3, v2, s12
	v_add_nc_u32_e32 v1, v4, v1
	v_lshlrev_b32_e32 v4, 3, v73
	s_delay_alu instid0(VALU_DEP_3)
	v_cndmask_b32_e64 v2, v2, v3, s13
	s_mov_b32 s13, exec_lo
	v_cmpx_eq_u32_e64 v74, v0
	s_cbranch_execz .LBB135_199
; %bb.198:
	ds_store_b64 v4, v[1:2] offset:2064
.LBB135_199:
	s_or_b32 exec_lo, exec_lo, s13
	s_delay_alu instid0(SALU_CYCLE_1)
	s_mov_b32 s14, exec_lo
	s_waitcnt vmcnt(0) lgkmcnt(0)
	s_waitcnt_vscnt null, 0x0
	s_barrier
	buffer_gl0_inv
	v_cmpx_gt_u32_e32 8, v0
	s_cbranch_execz .LBB135_201
; %bb.200:
	v_lshlrev_b32_e32 v3, 3, v0
	v_and_b32_e32 v49, 7, v72
	ds_load_b64 v[6:7], v3 offset:2064
	s_waitcnt lgkmcnt(0)
	v_mov_b32_dpp v8, v7 row_shr:1 row_mask:0xf bank_mask:0xf
	v_cmp_eq_u32_e64 s12, 0, v6
	v_mov_b32_dpp v51, v6 row_shr:1 row_mask:0xf bank_mask:0xf
	s_delay_alu instid0(VALU_DEP_3) | instskip(NEXT) | instid1(VALU_DEP_1)
	v_add_f32_e32 v8, v7, v8
	v_cndmask_b32_e64 v8, v7, v8, s12
	v_cmp_eq_u32_e64 s12, 0, v49
	s_delay_alu instid0(VALU_DEP_1) | instskip(NEXT) | instid1(VALU_DEP_3)
	v_cndmask_b32_e64 v51, v51, 0, s12
	v_cndmask_b32_e64 v7, v8, v7, s12
	s_delay_alu instid0(VALU_DEP_2) | instskip(NEXT) | instid1(VALU_DEP_2)
	v_add_nc_u32_e32 v6, v51, v6
	v_mov_b32_dpp v8, v7 row_shr:2 row_mask:0xf bank_mask:0xf
	s_delay_alu instid0(VALU_DEP_2) | instskip(NEXT) | instid1(VALU_DEP_2)
	v_cmp_eq_u32_e64 s12, 0, v6
	v_add_f32_e32 v8, v7, v8
	v_mov_b32_dpp v51, v6 row_shr:2 row_mask:0xf bank_mask:0xf
	s_delay_alu instid0(VALU_DEP_2) | instskip(SKIP_1) | instid1(VALU_DEP_1)
	v_cndmask_b32_e64 v8, v7, v8, s12
	v_cmp_lt_u32_e64 s12, 1, v49
	v_cndmask_b32_e64 v7, v7, v8, s12
	s_delay_alu instid0(VALU_DEP_4) | instskip(SKIP_1) | instid1(VALU_DEP_3)
	v_cndmask_b32_e64 v8, 0, v51, s12
	v_cmp_lt_u32_e64 s12, 3, v49
	v_mov_b32_dpp v51, v7 row_shr:4 row_mask:0xf bank_mask:0xf
	s_delay_alu instid0(VALU_DEP_1) | instskip(NEXT) | instid1(VALU_DEP_1)
	v_dual_add_f32 v49, v7, v51 :: v_dual_add_nc_u32 v6, v8, v6
	v_mov_b32_dpp v8, v6 row_shr:4 row_mask:0xf bank_mask:0xf
	v_cmp_eq_u32_e64 s13, 0, v6
	s_delay_alu instid0(VALU_DEP_2) | instskip(NEXT) | instid1(VALU_DEP_2)
	v_cndmask_b32_e64 v8, 0, v8, s12
	s_and_b32 s12, s12, s13
	s_delay_alu instid0(SALU_CYCLE_1) | instskip(NEXT) | instid1(VALU_DEP_2)
	v_cndmask_b32_e64 v7, v7, v49, s12
	v_add_nc_u32_e32 v6, v8, v6
	ds_store_b64 v3, v[6:7] offset:2064
.LBB135_201:
	s_or_b32 exec_lo, exec_lo, s14
	v_dual_mov_b32 v6, 0 :: v_dual_mov_b32 v3, 0
	v_mov_b32_e32 v7, v5
	s_mov_b32 s13, exec_lo
	s_waitcnt lgkmcnt(0)
	s_barrier
	buffer_gl0_inv
	v_cmpx_lt_u32_e32 31, v0
	s_cbranch_execz .LBB135_203
; %bb.202:
	ds_load_b64 v[3:4], v4 offset:2056
	s_waitcnt lgkmcnt(0)
	v_add_f32_e32 v7, v5, v4
	v_cmp_eq_u32_e64 s12, 0, v3
	s_delay_alu instid0(VALU_DEP_1)
	v_cndmask_b32_e64 v7, v4, v7, s12
.LBB135_203:
	s_or_b32 exec_lo, exec_lo, s13
	v_add_nc_u32_e32 v4, -1, v72
	s_delay_alu instid0(VALU_DEP_2) | instskip(SKIP_2) | instid1(VALU_DEP_3)
	v_dual_add_f32 v8, v2, v7 :: v_dual_add_nc_u32 v49, v3, v1
	v_cmp_eq_u32_e64 s13, 0, v27
	s_mov_b32 s27, -1
	v_cmp_gt_i32_e64 s12, 0, v4
	s_delay_alu instid0(VALU_DEP_1) | instskip(SKIP_1) | instid1(VALU_DEP_2)
	v_cndmask_b32_e64 v4, v4, v72, s12
	v_cmp_eq_u32_e64 s12, 0, v1
	v_lshlrev_b32_e32 v4, 2, v4
	s_delay_alu instid0(VALU_DEP_2)
	v_cndmask_b32_e64 v1, v2, v8, s12
	v_cmp_eq_u32_e64 s12, 0, v72
	ds_bpermute_b32 v2, v4, v49
	ds_bpermute_b32 v1, v4, v1
	s_waitcnt lgkmcnt(1)
	v_cndmask_b32_e64 v4, v2, v3, s12
	s_waitcnt lgkmcnt(0)
	v_cndmask_b32_e64 v71, v1, v7, s12
	v_cmp_eq_u32_e64 s12, 0, v0
	s_delay_alu instid0(VALU_DEP_1) | instskip(NEXT) | instid1(VALU_DEP_1)
	v_cndmask_b32_e64 v1, v71, v5, s12
	v_add_f32_e32 v1, v47, v1
	s_delay_alu instid0(VALU_DEP_1) | instskip(NEXT) | instid1(VALU_DEP_1)
	v_cndmask_b32_e64 v70, v47, v1, s13
	v_add_f32_e32 v1, v48, v70
	;; [unrolled: 3-line block ×11, first 2 shown]
	s_delay_alu instid0(VALU_DEP_1) | instskip(SKIP_2) | instid1(VALU_DEP_1)
	v_cndmask_b32_e64 v54, v37, v1, s11
	ds_load_b64 v[1:2], v6 offset:2120
	v_add_f32_e32 v3, v38, v54
	v_cndmask_b32_e64 v55, v38, v3, s8
	s_delay_alu instid0(VALU_DEP_1) | instskip(NEXT) | instid1(VALU_DEP_1)
	v_add_f32_e32 v3, v35, v55
	v_cndmask_b32_e64 v53, v35, v3, s10
	s_waitcnt lgkmcnt(0)
	v_add_f32_e32 v3, v5, v2
	v_cmp_eq_u32_e64 s0, 0, v1
	s_delay_alu instid0(VALU_DEP_3) | instskip(NEXT) | instid1(VALU_DEP_2)
	v_add_f32_e32 v6, v36, v53
	v_cndmask_b32_e64 v49, v2, v3, s0
	s_and_saveexec_b32 s0, s12
	s_cbranch_execz .LBB135_205
; %bb.204:
	s_delay_alu instid0(VALU_DEP_1)
	v_and_b32_e32 v2, 0xff000000, v49
	v_dual_mov_b32 v4, 0 :: v_dual_and_b32 v3, 0xff0000, v49
	s_add_u32 s2, s24, 0x200
	v_and_b32_e32 v7, 0xff00, v49
	s_addc_u32 s3, s25, 0
	v_and_b32_e32 v8, 0xff, v49
	v_or_b32_e32 v2, v3, v2
	v_mov_b32_e32 v3, 2
	v_mov_b32_e32 v71, v5
	s_delay_alu instid0(VALU_DEP_3)
	v_or3_b32 v2, v2, v7, v8
	v_dual_mov_b32 v8, s3 :: v_dual_mov_b32 v7, s2
	;;#ASMSTART
	global_store_dwordx4 v[7:8], v[1:4] off	
s_waitcnt vmcnt(0)
	;;#ASMEND
.LBB135_205:
	s_or_b32 exec_lo, exec_lo, s0
	v_dual_cndmask_b32 v62, v36, v6 :: v_dual_mov_b32 v5, 0
	s_and_saveexec_b32 s0, s27
	s_cbranch_execz .LBB135_368
.LBB135_206:
	v_mov_b32_e32 v7, 0
	s_and_b32 s0, s26, exec_lo
	v_mov_b32_e32 v8, 0
	s_cselect_b32 s1, 0, s43
	s_cselect_b32 s0, 0, s42
	s_waitcnt lgkmcnt(0)
	s_waitcnt_vscnt null, 0x0
	s_cmp_eq_u64 s[0:1], 0
	s_barrier
	buffer_gl0_inv
	s_cbranch_scc1 .LBB135_208
; %bb.207:
	v_mov_b32_e32 v2, 0
	global_load_b64 v[7:8], v2, s[0:1]
.LBB135_208:
	v_cmp_eq_u32_e32 vcc_lo, 0, v27
	v_add_nc_u32_e32 v47, v4, v27
	v_cmp_ne_u32_e64 s12, 0, v27
	v_cmp_ne_u32_e64 s11, 0, v50
	;; [unrolled: 1-line block ×3, first 2 shown]
	v_cndmask_b32_e64 v2, 1, 2, vcc_lo
	v_cmp_eq_u32_e32 vcc_lo, 0, v50
	v_cmp_ne_u32_e64 s8, 0, v34
	v_cmp_ne_u32_e64 s14, 0, v31
	;; [unrolled: 1-line block ×4, first 2 shown]
	v_cndmask_b32_e64 v3, 1, 2, vcc_lo
	v_cmp_eq_u32_e32 vcc_lo, 0, v33
	v_cmp_ne_u32_e64 s7, 0, v30
	v_cmp_ne_u32_e64 s6, 0, v25
	;; [unrolled: 1-line block ×3, first 2 shown]
	v_and_b32_e32 v2, v3, v2
	v_cndmask_b32_e64 v6, 1, 2, vcc_lo
	v_cmp_eq_u32_e32 vcc_lo, 0, v34
	v_cmp_ne_u32_e64 s4, 0, v23
	v_cmp_ne_u32_e64 s3, 0, v24
	;; [unrolled: 1-line block ×3, first 2 shown]
	v_and_b32_e32 v6, v2, v6
	v_cndmask_b32_e64 v35, 1, 2, vcc_lo
	v_cmp_eq_u32_e32 vcc_lo, 0, v31
	s_waitcnt vmcnt(0)
	v_lshlrev_b64 v[2:3], 2, v[7:8]
	v_cmp_ne_u32_e64 s1, 0, v28
	v_cmp_ne_u32_e64 s0, 0, v58
	v_dual_mov_b32 v6, 0 :: v_dual_and_b32 v35, v6, v35
	v_cndmask_b32_e64 v36, 1, 2, vcc_lo
	v_cmp_eq_u32_e32 vcc_lo, 0, v32
	v_add_nc_u32_e32 v51, v47, v50
	s_mov_b32 s16, -1
	s_delay_alu instid0(VALU_DEP_3) | instskip(SKIP_3) | instid1(VALU_DEP_3)
	v_and_b32_e32 v35, v35, v36
	v_cndmask_b32_e64 v37, 1, 2, vcc_lo
	v_cmp_eq_u32_e32 vcc_lo, 0, v29
	v_add_nc_u32_e32 v48, v51, v33
	v_and_b32_e32 v35, v35, v37
	v_cndmask_b32_e64 v36, 1, 2, vcc_lo
	v_cmp_eq_u32_e32 vcc_lo, 0, v30
	s_delay_alu instid0(VALU_DEP_4) | instskip(NEXT) | instid1(VALU_DEP_3)
	v_add_nc_u32_e32 v46, v48, v34
	v_and_b32_e32 v35, v35, v36
	v_cndmask_b32_e64 v37, 1, 2, vcc_lo
	v_cmp_eq_u32_e32 vcc_lo, 0, v25
	s_delay_alu instid0(VALU_DEP_4) | instskip(NEXT) | instid1(VALU_DEP_3)
	v_add_nc_u32_e32 v45, v46, v31
	v_and_b32_e32 v35, v35, v37
	v_cndmask_b32_e64 v36, 1, 2, vcc_lo
	v_cmp_eq_u32_e32 vcc_lo, 0, v26
	s_delay_alu instid0(VALU_DEP_4) | instskip(NEXT) | instid1(VALU_DEP_3)
	v_add_nc_u32_e32 v44, v45, v32
	v_and_b32_e32 v35, v35, v36
	v_cndmask_b32_e64 v37, 1, 2, vcc_lo
	v_cmp_eq_u32_e32 vcc_lo, 0, v23
	s_delay_alu instid0(VALU_DEP_4) | instskip(NEXT) | instid1(VALU_DEP_3)
	v_add_nc_u32_e32 v43, v44, v29
	v_and_b32_e32 v37, v35, v37
	v_cndmask_b32_e64 v38, 1, 2, vcc_lo
	v_cmp_eq_u32_e32 vcc_lo, 0, v24
	s_delay_alu instid0(VALU_DEP_4) | instskip(SKIP_1) | instid1(VALU_DEP_4)
	v_add_nc_u32_e32 v42, v43, v30
	v_lshlrev_b64 v[35:36], 2, v[5:6]
	v_and_b32_e32 v6, v37, v38
	v_cndmask_b32_e64 v52, 1, 2, vcc_lo
	v_cmp_eq_u32_e32 vcc_lo, 0, v59
	v_add_nc_u32_e32 v41, v42, v25
	s_delay_alu instid0(VALU_DEP_3) | instskip(SKIP_4) | instid1(VALU_DEP_3)
	v_and_b32_e32 v74, v6, v52
	v_cndmask_b32_e64 v72, 1, 2, vcc_lo
	v_add_co_u32 v60, vcc_lo, s22, v2
	v_add_co_ci_u32_e32 v73, vcc_lo, s23, v3, vcc_lo
	v_add_nc_u32_e32 v40, v41, v26
	v_add_co_u32 v52, vcc_lo, v60, v35
	s_delay_alu instid0(VALU_DEP_3) | instskip(SKIP_1) | instid1(VALU_DEP_4)
	v_add_co_ci_u32_e32 v60, vcc_lo, v73, v36, vcc_lo
	v_cmp_eq_u32_e32 vcc_lo, 0, v28
	v_add_nc_u32_e32 v39, v40, v23
	v_and_b32_e32 v72, v74, v72
	v_cndmask_b32_e64 v73, 1, 2, vcc_lo
	v_cmp_eq_u32_e32 vcc_lo, 0, v58
	s_delay_alu instid0(VALU_DEP_4) | instskip(NEXT) | instid1(VALU_DEP_3)
	v_add_nc_u32_e32 v38, v39, v24
	v_and_b32_e32 v72, v72, v73
	v_cndmask_b32_e64 v73, 1, 2, vcc_lo
	s_delay_alu instid0(VALU_DEP_3) | instskip(SKIP_1) | instid1(VALU_DEP_3)
	v_add_nc_u32_e32 v37, v38, v59
	v_cmp_gt_u32_e32 vcc_lo, 0x100, v1
	v_and_b32_e32 v72, v72, v73
	s_delay_alu instid0(VALU_DEP_3) | instskip(NEXT) | instid1(VALU_DEP_2)
	v_add_nc_u32_e32 v6, v37, v28
	v_cmp_gt_i16_e64 s15, 2, v72
	s_cbranch_vccz .LBB135_248
; %bb.209:
	s_delay_alu instid0(VALU_DEP_1)
	s_and_saveexec_b32 s16, s15
	s_cbranch_execz .LBB135_247
; %bb.210:
	s_mov_b32 s17, 0
	s_mov_b32 s15, exec_lo
	v_cmpx_ne_u16_e32 1, v72
	s_xor_b32 s15, exec_lo, s15
	s_cbranch_execz .LBB135_228
; %bb.211:
	s_and_saveexec_b32 s17, s12
	s_cbranch_execz .LBB135_230
; %bb.212:
	v_sub_nc_u32_e32 v73, v4, v5
	v_mov_b32_e32 v74, 0
	s_delay_alu instid0(VALU_DEP_1) | instskip(NEXT) | instid1(VALU_DEP_1)
	v_lshlrev_b64 v[73:74], 2, v[73:74]
	v_add_co_u32 v73, vcc_lo, v52, v73
	s_delay_alu instid0(VALU_DEP_2)
	v_add_co_ci_u32_e32 v74, vcc_lo, v60, v74, vcc_lo
	global_store_b32 v[73:74], v21, off
	s_or_b32 exec_lo, exec_lo, s17
	s_and_saveexec_b32 s17, s11
	s_cbranch_execnz .LBB135_231
.LBB135_213:
	s_or_b32 exec_lo, exec_lo, s17
	s_and_saveexec_b32 s17, s9
	s_cbranch_execz .LBB135_232
.LBB135_214:
	v_sub_nc_u32_e32 v73, v51, v5
	v_mov_b32_e32 v74, 0
	s_delay_alu instid0(VALU_DEP_1) | instskip(NEXT) | instid1(VALU_DEP_1)
	v_lshlrev_b64 v[73:74], 2, v[73:74]
	v_add_co_u32 v73, vcc_lo, v52, v73
	s_delay_alu instid0(VALU_DEP_2)
	v_add_co_ci_u32_e32 v74, vcc_lo, v60, v74, vcc_lo
	global_store_b32 v[73:74], v19, off
	s_or_b32 exec_lo, exec_lo, s17
	s_and_saveexec_b32 s17, s8
	s_cbranch_execnz .LBB135_233
.LBB135_215:
	s_or_b32 exec_lo, exec_lo, s17
	s_and_saveexec_b32 s17, s14
	s_cbranch_execz .LBB135_234
.LBB135_216:
	v_sub_nc_u32_e32 v73, v46, v5
	v_mov_b32_e32 v74, 0
	s_delay_alu instid0(VALU_DEP_1) | instskip(NEXT) | instid1(VALU_DEP_1)
	v_lshlrev_b64 v[73:74], 2, v[73:74]
	v_add_co_u32 v73, vcc_lo, v52, v73
	s_delay_alu instid0(VALU_DEP_2)
	v_add_co_ci_u32_e32 v74, vcc_lo, v60, v74, vcc_lo
	global_store_b32 v[73:74], v17, off
	s_or_b32 exec_lo, exec_lo, s17
	s_and_saveexec_b32 s17, s13
	s_cbranch_execnz .LBB135_235
.LBB135_217:
	s_or_b32 exec_lo, exec_lo, s17
	s_and_saveexec_b32 s17, s10
	s_cbranch_execz .LBB135_236
.LBB135_218:
	v_sub_nc_u32_e32 v73, v44, v5
	v_mov_b32_e32 v74, 0
	s_delay_alu instid0(VALU_DEP_1) | instskip(NEXT) | instid1(VALU_DEP_1)
	v_lshlrev_b64 v[73:74], 2, v[73:74]
	v_add_co_u32 v73, vcc_lo, v52, v73
	s_delay_alu instid0(VALU_DEP_2)
	v_add_co_ci_u32_e32 v74, vcc_lo, v60, v74, vcc_lo
	global_store_b32 v[73:74], v15, off
	s_or_b32 exec_lo, exec_lo, s17
	s_and_saveexec_b32 s17, s7
	s_cbranch_execnz .LBB135_237
.LBB135_219:
	s_or_b32 exec_lo, exec_lo, s17
	s_and_saveexec_b32 s17, s6
	s_cbranch_execz .LBB135_238
.LBB135_220:
	v_sub_nc_u32_e32 v73, v42, v5
	v_mov_b32_e32 v74, 0
	s_delay_alu instid0(VALU_DEP_1) | instskip(NEXT) | instid1(VALU_DEP_1)
	v_lshlrev_b64 v[73:74], 2, v[73:74]
	v_add_co_u32 v73, vcc_lo, v52, v73
	s_delay_alu instid0(VALU_DEP_2)
	v_add_co_ci_u32_e32 v74, vcc_lo, v60, v74, vcc_lo
	global_store_b32 v[73:74], v13, off
	s_or_b32 exec_lo, exec_lo, s17
	s_and_saveexec_b32 s17, s5
	s_cbranch_execnz .LBB135_239
.LBB135_221:
	s_or_b32 exec_lo, exec_lo, s17
	s_and_saveexec_b32 s17, s4
	s_cbranch_execz .LBB135_240
.LBB135_222:
	v_sub_nc_u32_e32 v73, v40, v5
	v_mov_b32_e32 v74, 0
	s_delay_alu instid0(VALU_DEP_1) | instskip(NEXT) | instid1(VALU_DEP_1)
	v_lshlrev_b64 v[73:74], 2, v[73:74]
	v_add_co_u32 v73, vcc_lo, v52, v73
	s_delay_alu instid0(VALU_DEP_2)
	v_add_co_ci_u32_e32 v74, vcc_lo, v60, v74, vcc_lo
	global_store_b32 v[73:74], v11, off
	s_or_b32 exec_lo, exec_lo, s17
	s_and_saveexec_b32 s17, s3
	s_cbranch_execnz .LBB135_241
.LBB135_223:
	s_or_b32 exec_lo, exec_lo, s17
	s_and_saveexec_b32 s17, s2
	s_cbranch_execz .LBB135_242
.LBB135_224:
	v_sub_nc_u32_e32 v73, v38, v5
	v_mov_b32_e32 v74, 0
	s_delay_alu instid0(VALU_DEP_1) | instskip(NEXT) | instid1(VALU_DEP_1)
	v_lshlrev_b64 v[73:74], 2, v[73:74]
	v_add_co_u32 v73, vcc_lo, v52, v73
	s_delay_alu instid0(VALU_DEP_2)
	v_add_co_ci_u32_e32 v74, vcc_lo, v60, v74, vcc_lo
	global_store_b32 v[73:74], v9, off
	s_or_b32 exec_lo, exec_lo, s17
	s_and_saveexec_b32 s17, s1
	s_cbranch_execnz .LBB135_243
	s_branch .LBB135_244
.LBB135_225:
	s_or_b32 exec_lo, exec_lo, s15
	s_and_saveexec_b32 s0, s14
	s_delay_alu instid0(SALU_CYCLE_1)
	s_xor_b32 s0, exec_lo, s0
	s_cbranch_execz .LBB135_194
.LBB135_226:
	s_cbranch_execnz .LBB135_369
; %bb.227:
	; divergent unreachable
                                        ; implicit-def: $vgpr62
                                        ; implicit-def: $vgpr53
                                        ; implicit-def: $vgpr55
                                        ; implicit-def: $vgpr54
                                        ; implicit-def: $vgpr56
                                        ; implicit-def: $vgpr61
                                        ; implicit-def: $vgpr63
                                        ; implicit-def: $vgpr64
                                        ; implicit-def: $vgpr65
                                        ; implicit-def: $vgpr66
                                        ; implicit-def: $vgpr67
                                        ; implicit-def: $vgpr68
                                        ; implicit-def: $vgpr69
                                        ; implicit-def: $vgpr70
                                        ; implicit-def: $vgpr71
	s_or_b32 exec_lo, exec_lo, s0
	s_branch .LBB135_102
.LBB135_228:
	s_and_not1_saveexec_b32 s15, s15
	s_cbranch_execz .LBB135_245
.LBB135_229:
	v_sub_nc_u32_e32 v73, v4, v5
	v_mov_b32_e32 v74, 0
	s_or_b32 s17, s17, exec_lo
	s_delay_alu instid0(VALU_DEP_1) | instskip(SKIP_1) | instid1(VALU_DEP_1)
	v_lshlrev_b64 v[75:76], 2, v[73:74]
	v_sub_nc_u32_e32 v73, v47, v5
	v_lshlrev_b64 v[77:78], 2, v[73:74]
	v_sub_nc_u32_e32 v73, v51, v5
	s_delay_alu instid0(VALU_DEP_4) | instskip(SKIP_1) | instid1(VALU_DEP_3)
	v_add_co_u32 v75, vcc_lo, v52, v75
	v_add_co_ci_u32_e32 v76, vcc_lo, v60, v76, vcc_lo
	v_lshlrev_b64 v[79:80], 2, v[73:74]
	v_sub_nc_u32_e32 v73, v48, v5
	v_add_co_u32 v77, vcc_lo, v52, v77
	v_add_co_ci_u32_e32 v78, vcc_lo, v60, v78, vcc_lo
	global_store_b32 v[75:76], v21, off
	v_lshlrev_b64 v[75:76], 2, v[73:74]
	v_sub_nc_u32_e32 v73, v46, v5
	global_store_b32 v[77:78], v22, off
	v_add_co_u32 v77, vcc_lo, v52, v79
	v_add_co_ci_u32_e32 v78, vcc_lo, v60, v80, vcc_lo
	v_lshlrev_b64 v[79:80], 2, v[73:74]
	v_sub_nc_u32_e32 v73, v45, v5
	v_add_co_u32 v75, vcc_lo, v52, v75
	v_add_co_ci_u32_e32 v76, vcc_lo, v60, v76, vcc_lo
	s_delay_alu instid0(VALU_DEP_3) | instskip(SKIP_3) | instid1(VALU_DEP_3)
	v_lshlrev_b64 v[81:82], 2, v[73:74]
	v_sub_nc_u32_e32 v73, v44, v5
	v_add_co_u32 v79, vcc_lo, v52, v79
	v_add_co_ci_u32_e32 v80, vcc_lo, v60, v80, vcc_lo
	v_lshlrev_b64 v[83:84], 2, v[73:74]
	v_sub_nc_u32_e32 v73, v43, v5
	v_add_co_u32 v81, vcc_lo, v52, v81
	v_add_co_ci_u32_e32 v82, vcc_lo, v60, v82, vcc_lo
	s_clause 0x3
	global_store_b32 v[77:78], v19, off
	global_store_b32 v[75:76], v20, off
	;; [unrolled: 1-line block ×4, first 2 shown]
	v_lshlrev_b64 v[75:76], 2, v[73:74]
	v_sub_nc_u32_e32 v73, v42, v5
	v_add_co_u32 v77, vcc_lo, v52, v83
	v_add_co_ci_u32_e32 v78, vcc_lo, v60, v84, vcc_lo
	s_delay_alu instid0(VALU_DEP_3) | instskip(SKIP_3) | instid1(VALU_DEP_3)
	v_lshlrev_b64 v[79:80], 2, v[73:74]
	v_sub_nc_u32_e32 v73, v41, v5
	v_add_co_u32 v75, vcc_lo, v52, v75
	v_add_co_ci_u32_e32 v76, vcc_lo, v60, v76, vcc_lo
	v_lshlrev_b64 v[81:82], 2, v[73:74]
	v_sub_nc_u32_e32 v73, v40, v5
	v_add_co_u32 v79, vcc_lo, v52, v79
	v_add_co_ci_u32_e32 v80, vcc_lo, v60, v80, vcc_lo
	s_delay_alu instid0(VALU_DEP_3)
	v_lshlrev_b64 v[83:84], 2, v[73:74]
	v_sub_nc_u32_e32 v73, v39, v5
	v_add_co_u32 v81, vcc_lo, v52, v81
	v_add_co_ci_u32_e32 v82, vcc_lo, v60, v82, vcc_lo
	s_clause 0x3
	global_store_b32 v[77:78], v15, off
	global_store_b32 v[75:76], v16, off
	;; [unrolled: 1-line block ×4, first 2 shown]
	v_lshlrev_b64 v[75:76], 2, v[73:74]
	v_sub_nc_u32_e32 v73, v38, v5
	v_add_co_u32 v77, vcc_lo, v52, v83
	v_add_co_ci_u32_e32 v78, vcc_lo, v60, v84, vcc_lo
	s_delay_alu instid0(VALU_DEP_3) | instskip(SKIP_3) | instid1(VALU_DEP_3)
	v_lshlrev_b64 v[79:80], 2, v[73:74]
	v_sub_nc_u32_e32 v73, v37, v5
	v_add_co_u32 v75, vcc_lo, v52, v75
	v_add_co_ci_u32_e32 v76, vcc_lo, v60, v76, vcc_lo
	v_lshlrev_b64 v[73:74], 2, v[73:74]
	v_add_co_u32 v79, vcc_lo, v52, v79
	v_add_co_ci_u32_e32 v80, vcc_lo, v60, v80, vcc_lo
	s_clause 0x2
	global_store_b32 v[77:78], v11, off
	global_store_b32 v[75:76], v12, off
	global_store_b32 v[79:80], v9, off
	v_add_co_u32 v73, vcc_lo, v52, v73
	v_add_co_ci_u32_e32 v74, vcc_lo, v60, v74, vcc_lo
	global_store_b32 v[73:74], v10, off
	s_or_b32 exec_lo, exec_lo, s15
	s_delay_alu instid0(SALU_CYCLE_1)
	s_and_b32 exec_lo, exec_lo, s17
	s_cbranch_execnz .LBB135_246
	s_branch .LBB135_247
.LBB135_230:
	s_or_b32 exec_lo, exec_lo, s17
	s_and_saveexec_b32 s17, s11
	s_cbranch_execz .LBB135_213
.LBB135_231:
	v_sub_nc_u32_e32 v73, v47, v5
	v_mov_b32_e32 v74, 0
	s_delay_alu instid0(VALU_DEP_1) | instskip(NEXT) | instid1(VALU_DEP_1)
	v_lshlrev_b64 v[73:74], 2, v[73:74]
	v_add_co_u32 v73, vcc_lo, v52, v73
	s_delay_alu instid0(VALU_DEP_2)
	v_add_co_ci_u32_e32 v74, vcc_lo, v60, v74, vcc_lo
	global_store_b32 v[73:74], v22, off
	s_or_b32 exec_lo, exec_lo, s17
	s_and_saveexec_b32 s17, s9
	s_cbranch_execnz .LBB135_214
.LBB135_232:
	s_or_b32 exec_lo, exec_lo, s17
	s_and_saveexec_b32 s17, s8
	s_cbranch_execz .LBB135_215
.LBB135_233:
	v_sub_nc_u32_e32 v73, v48, v5
	v_mov_b32_e32 v74, 0
	s_delay_alu instid0(VALU_DEP_1) | instskip(NEXT) | instid1(VALU_DEP_1)
	v_lshlrev_b64 v[73:74], 2, v[73:74]
	v_add_co_u32 v73, vcc_lo, v52, v73
	s_delay_alu instid0(VALU_DEP_2)
	v_add_co_ci_u32_e32 v74, vcc_lo, v60, v74, vcc_lo
	global_store_b32 v[73:74], v20, off
	s_or_b32 exec_lo, exec_lo, s17
	s_and_saveexec_b32 s17, s14
	s_cbranch_execnz .LBB135_216
.LBB135_234:
	s_or_b32 exec_lo, exec_lo, s17
	s_and_saveexec_b32 s17, s13
	s_cbranch_execz .LBB135_217
.LBB135_235:
	v_sub_nc_u32_e32 v73, v45, v5
	v_mov_b32_e32 v74, 0
	s_delay_alu instid0(VALU_DEP_1) | instskip(NEXT) | instid1(VALU_DEP_1)
	v_lshlrev_b64 v[73:74], 2, v[73:74]
	v_add_co_u32 v73, vcc_lo, v52, v73
	s_delay_alu instid0(VALU_DEP_2)
	v_add_co_ci_u32_e32 v74, vcc_lo, v60, v74, vcc_lo
	global_store_b32 v[73:74], v18, off
	s_or_b32 exec_lo, exec_lo, s17
	s_and_saveexec_b32 s17, s10
	s_cbranch_execnz .LBB135_218
.LBB135_236:
	s_or_b32 exec_lo, exec_lo, s17
	s_and_saveexec_b32 s17, s7
	s_cbranch_execz .LBB135_219
.LBB135_237:
	v_sub_nc_u32_e32 v73, v43, v5
	v_mov_b32_e32 v74, 0
	s_delay_alu instid0(VALU_DEP_1) | instskip(NEXT) | instid1(VALU_DEP_1)
	v_lshlrev_b64 v[73:74], 2, v[73:74]
	v_add_co_u32 v73, vcc_lo, v52, v73
	s_delay_alu instid0(VALU_DEP_2)
	v_add_co_ci_u32_e32 v74, vcc_lo, v60, v74, vcc_lo
	global_store_b32 v[73:74], v16, off
	s_or_b32 exec_lo, exec_lo, s17
	s_and_saveexec_b32 s17, s6
	s_cbranch_execnz .LBB135_220
.LBB135_238:
	s_or_b32 exec_lo, exec_lo, s17
	s_and_saveexec_b32 s17, s5
	s_cbranch_execz .LBB135_221
.LBB135_239:
	v_sub_nc_u32_e32 v73, v41, v5
	v_mov_b32_e32 v74, 0
	s_delay_alu instid0(VALU_DEP_1) | instskip(NEXT) | instid1(VALU_DEP_1)
	v_lshlrev_b64 v[73:74], 2, v[73:74]
	v_add_co_u32 v73, vcc_lo, v52, v73
	s_delay_alu instid0(VALU_DEP_2)
	v_add_co_ci_u32_e32 v74, vcc_lo, v60, v74, vcc_lo
	global_store_b32 v[73:74], v14, off
	s_or_b32 exec_lo, exec_lo, s17
	s_and_saveexec_b32 s17, s4
	s_cbranch_execnz .LBB135_222
.LBB135_240:
	s_or_b32 exec_lo, exec_lo, s17
	s_and_saveexec_b32 s17, s3
	s_cbranch_execz .LBB135_223
.LBB135_241:
	v_sub_nc_u32_e32 v73, v39, v5
	v_mov_b32_e32 v74, 0
	s_delay_alu instid0(VALU_DEP_1) | instskip(NEXT) | instid1(VALU_DEP_1)
	v_lshlrev_b64 v[73:74], 2, v[73:74]
	v_add_co_u32 v73, vcc_lo, v52, v73
	s_delay_alu instid0(VALU_DEP_2)
	v_add_co_ci_u32_e32 v74, vcc_lo, v60, v74, vcc_lo
	global_store_b32 v[73:74], v12, off
	s_or_b32 exec_lo, exec_lo, s17
	s_and_saveexec_b32 s17, s2
	s_cbranch_execnz .LBB135_224
.LBB135_242:
	s_or_b32 exec_lo, exec_lo, s17
	s_and_saveexec_b32 s17, s1
	s_cbranch_execz .LBB135_244
.LBB135_243:
	v_sub_nc_u32_e32 v73, v37, v5
	v_mov_b32_e32 v74, 0
	s_delay_alu instid0(VALU_DEP_1) | instskip(NEXT) | instid1(VALU_DEP_1)
	v_lshlrev_b64 v[73:74], 2, v[73:74]
	v_add_co_u32 v73, vcc_lo, v52, v73
	s_delay_alu instid0(VALU_DEP_2)
	v_add_co_ci_u32_e32 v74, vcc_lo, v60, v74, vcc_lo
	global_store_b32 v[73:74], v10, off
.LBB135_244:
	s_or_b32 exec_lo, exec_lo, s17
	s_delay_alu instid0(SALU_CYCLE_1)
	s_and_b32 s17, s0, exec_lo
	s_and_not1_saveexec_b32 s15, s15
	s_cbranch_execnz .LBB135_229
.LBB135_245:
	s_or_b32 exec_lo, exec_lo, s15
	s_delay_alu instid0(SALU_CYCLE_1)
	s_and_b32 exec_lo, exec_lo, s17
	s_cbranch_execz .LBB135_247
.LBB135_246:
	v_sub_nc_u32_e32 v73, v6, v5
	v_mov_b32_e32 v74, 0
	s_delay_alu instid0(VALU_DEP_1) | instskip(NEXT) | instid1(VALU_DEP_1)
	v_lshlrev_b64 v[73:74], 2, v[73:74]
	v_add_co_u32 v73, vcc_lo, v52, v73
	s_delay_alu instid0(VALU_DEP_2)
	v_add_co_ci_u32_e32 v74, vcc_lo, v60, v74, vcc_lo
	global_store_b32 v[73:74], v57, off
.LBB135_247:
	s_or_b32 exec_lo, exec_lo, s16
	s_mov_b32 s16, 0
.LBB135_248:
	s_delay_alu instid0(SALU_CYCLE_1)
	s_and_b32 vcc_lo, exec_lo, s16
	s_cbranch_vccz .LBB135_288
; %bb.249:
	s_mov_b32 s15, exec_lo
	v_cmpx_gt_i16_e32 2, v72
	s_cbranch_execz .LBB135_284
; %bb.250:
	s_mov_b32 s17, 0
	s_mov_b32 s16, exec_lo
	v_cmpx_ne_u16_e32 1, v72
	s_xor_b32 s16, exec_lo, s16
	s_cbranch_execz .LBB135_265
; %bb.251:
	s_and_saveexec_b32 s17, s12
	s_cbranch_execz .LBB135_267
; %bb.252:
	v_sub_nc_u32_e32 v72, v4, v5
	s_delay_alu instid0(VALU_DEP_1)
	v_lshlrev_b32_e32 v72, 2, v72
	ds_store_b32 v72, v21
	s_or_b32 exec_lo, exec_lo, s17
	s_and_saveexec_b32 s12, s11
	s_cbranch_execnz .LBB135_268
.LBB135_253:
	s_or_b32 exec_lo, exec_lo, s12
	s_and_saveexec_b32 s11, s9
	s_cbranch_execz .LBB135_269
.LBB135_254:
	v_sub_nc_u32_e32 v21, v51, v5
	s_delay_alu instid0(VALU_DEP_1)
	v_lshlrev_b32_e32 v21, 2, v21
	ds_store_b32 v21, v19
	s_or_b32 exec_lo, exec_lo, s11
	s_and_saveexec_b32 s9, s8
	s_cbranch_execnz .LBB135_270
.LBB135_255:
	s_or_b32 exec_lo, exec_lo, s9
	s_and_saveexec_b32 s8, s14
	s_cbranch_execz .LBB135_271
.LBB135_256:
	v_sub_nc_u32_e32 v19, v46, v5
	s_delay_alu instid0(VALU_DEP_1)
	v_lshlrev_b32_e32 v19, 2, v19
	ds_store_b32 v19, v17
	s_or_b32 exec_lo, exec_lo, s8
	s_and_saveexec_b32 s8, s13
	s_cbranch_execnz .LBB135_272
.LBB135_257:
	s_or_b32 exec_lo, exec_lo, s8
	s_and_saveexec_b32 s8, s10
	s_cbranch_execz .LBB135_273
.LBB135_258:
	v_sub_nc_u32_e32 v17, v44, v5
	s_delay_alu instid0(VALU_DEP_1)
	v_lshlrev_b32_e32 v17, 2, v17
	ds_store_b32 v17, v15
	s_or_b32 exec_lo, exec_lo, s8
	s_and_saveexec_b32 s8, s7
	s_cbranch_execnz .LBB135_274
.LBB135_259:
	s_or_b32 exec_lo, exec_lo, s8
	s_and_saveexec_b32 s7, s6
	s_cbranch_execz .LBB135_275
.LBB135_260:
	v_sub_nc_u32_e32 v15, v42, v5
	s_delay_alu instid0(VALU_DEP_1)
	v_lshlrev_b32_e32 v15, 2, v15
	ds_store_b32 v15, v13
	s_or_b32 exec_lo, exec_lo, s7
	s_and_saveexec_b32 s6, s5
	s_cbranch_execnz .LBB135_276
.LBB135_261:
	s_or_b32 exec_lo, exec_lo, s6
	s_and_saveexec_b32 s5, s4
	s_cbranch_execz .LBB135_277
.LBB135_262:
	v_sub_nc_u32_e32 v13, v40, v5
	s_delay_alu instid0(VALU_DEP_1)
	v_lshlrev_b32_e32 v13, 2, v13
	ds_store_b32 v13, v11
	s_or_b32 exec_lo, exec_lo, s5
	s_and_saveexec_b32 s4, s3
	s_cbranch_execnz .LBB135_278
.LBB135_263:
	s_or_b32 exec_lo, exec_lo, s4
	s_and_saveexec_b32 s3, s2
	s_cbranch_execz .LBB135_279
.LBB135_264:
	v_sub_nc_u32_e32 v11, v38, v5
	s_delay_alu instid0(VALU_DEP_1)
	v_lshlrev_b32_e32 v11, 2, v11
	ds_store_b32 v11, v9
	s_or_b32 exec_lo, exec_lo, s3
	s_and_saveexec_b32 s2, s1
	s_cbranch_execnz .LBB135_280
	s_branch .LBB135_281
.LBB135_265:
	s_and_not1_saveexec_b32 s0, s16
	s_cbranch_execz .LBB135_282
.LBB135_266:
	v_sub_nc_u32_e32 v72, v4, v5
	v_sub_nc_u32_e32 v75, v48, v5
	;; [unrolled: 1-line block ×4, first 2 shown]
	s_or_b32 s17, s17, exec_lo
	v_lshlrev_b32_e32 v72, 2, v72
	v_lshlrev_b32_e32 v75, 2, v75
	;; [unrolled: 1-line block ×4, first 2 shown]
	ds_store_b32 v72, v21
	ds_store_b32 v73, v22
	;; [unrolled: 1-line block ×3, first 2 shown]
	v_sub_nc_u32_e32 v19, v46, v5
	ds_store_b32 v75, v20
	v_sub_nc_u32_e32 v20, v45, v5
	v_sub_nc_u32_e32 v21, v44, v5
	v_sub_nc_u32_e32 v22, v43, v5
	v_lshlrev_b32_e32 v19, 2, v19
	v_sub_nc_u32_e32 v72, v42, v5
	v_lshlrev_b32_e32 v20, 2, v20
	v_lshlrev_b32_e32 v21, 2, v21
	;; [unrolled: 1-line block ×3, first 2 shown]
	ds_store_b32 v19, v17
	v_lshlrev_b32_e32 v17, 2, v72
	ds_store_b32 v20, v18
	ds_store_b32 v21, v15
	;; [unrolled: 1-line block ×3, first 2 shown]
	v_sub_nc_u32_e32 v15, v41, v5
	v_sub_nc_u32_e32 v18, v37, v5
	;; [unrolled: 1-line block ×3, first 2 shown]
	ds_store_b32 v17, v13
	v_sub_nc_u32_e32 v13, v40, v5
	v_lshlrev_b32_e32 v15, 2, v15
	v_sub_nc_u32_e32 v17, v38, v5
	v_lshlrev_b32_e32 v16, 2, v16
	s_delay_alu instid0(VALU_DEP_4)
	v_lshlrev_b32_e32 v13, 2, v13
	ds_store_b32 v15, v14
	v_lshlrev_b32_e32 v14, 2, v18
	v_lshlrev_b32_e32 v17, 2, v17
	ds_store_b32 v13, v11
	ds_store_b32 v16, v12
	;; [unrolled: 1-line block ×4, first 2 shown]
	s_or_b32 exec_lo, exec_lo, s0
	s_delay_alu instid0(SALU_CYCLE_1)
	s_and_b32 exec_lo, exec_lo, s17
	s_cbranch_execnz .LBB135_283
	s_branch .LBB135_284
.LBB135_267:
	s_or_b32 exec_lo, exec_lo, s17
	s_and_saveexec_b32 s12, s11
	s_cbranch_execz .LBB135_253
.LBB135_268:
	v_sub_nc_u32_e32 v21, v47, v5
	s_delay_alu instid0(VALU_DEP_1)
	v_lshlrev_b32_e32 v21, 2, v21
	ds_store_b32 v21, v22
	s_or_b32 exec_lo, exec_lo, s12
	s_and_saveexec_b32 s11, s9
	s_cbranch_execnz .LBB135_254
.LBB135_269:
	s_or_b32 exec_lo, exec_lo, s11
	s_and_saveexec_b32 s9, s8
	s_cbranch_execz .LBB135_255
.LBB135_270:
	v_sub_nc_u32_e32 v19, v48, v5
	s_delay_alu instid0(VALU_DEP_1)
	v_lshlrev_b32_e32 v19, 2, v19
	ds_store_b32 v19, v20
	s_or_b32 exec_lo, exec_lo, s9
	s_and_saveexec_b32 s8, s14
	s_cbranch_execnz .LBB135_256
.LBB135_271:
	s_or_b32 exec_lo, exec_lo, s8
	s_and_saveexec_b32 s8, s13
	s_cbranch_execz .LBB135_257
.LBB135_272:
	v_sub_nc_u32_e32 v17, v45, v5
	s_delay_alu instid0(VALU_DEP_1)
	v_lshlrev_b32_e32 v17, 2, v17
	ds_store_b32 v17, v18
	s_or_b32 exec_lo, exec_lo, s8
	s_and_saveexec_b32 s8, s10
	s_cbranch_execnz .LBB135_258
.LBB135_273:
	s_or_b32 exec_lo, exec_lo, s8
	s_and_saveexec_b32 s8, s7
	s_cbranch_execz .LBB135_259
.LBB135_274:
	v_sub_nc_u32_e32 v15, v43, v5
	s_delay_alu instid0(VALU_DEP_1)
	v_lshlrev_b32_e32 v15, 2, v15
	ds_store_b32 v15, v16
	s_or_b32 exec_lo, exec_lo, s8
	s_and_saveexec_b32 s7, s6
	s_cbranch_execnz .LBB135_260
.LBB135_275:
	s_or_b32 exec_lo, exec_lo, s7
	s_and_saveexec_b32 s6, s5
	s_cbranch_execz .LBB135_261
.LBB135_276:
	v_sub_nc_u32_e32 v13, v41, v5
	s_delay_alu instid0(VALU_DEP_1)
	v_lshlrev_b32_e32 v13, 2, v13
	ds_store_b32 v13, v14
	s_or_b32 exec_lo, exec_lo, s6
	s_and_saveexec_b32 s5, s4
	s_cbranch_execnz .LBB135_262
.LBB135_277:
	s_or_b32 exec_lo, exec_lo, s5
	s_and_saveexec_b32 s4, s3
	s_cbranch_execz .LBB135_263
.LBB135_278:
	v_sub_nc_u32_e32 v11, v39, v5
	s_delay_alu instid0(VALU_DEP_1)
	v_lshlrev_b32_e32 v11, 2, v11
	ds_store_b32 v11, v12
	s_or_b32 exec_lo, exec_lo, s4
	s_and_saveexec_b32 s3, s2
	s_cbranch_execnz .LBB135_264
.LBB135_279:
	s_or_b32 exec_lo, exec_lo, s3
	s_and_saveexec_b32 s2, s1
	s_cbranch_execz .LBB135_281
.LBB135_280:
	v_sub_nc_u32_e32 v9, v37, v5
	s_delay_alu instid0(VALU_DEP_1)
	v_lshlrev_b32_e32 v9, 2, v9
	ds_store_b32 v9, v10
.LBB135_281:
	s_or_b32 exec_lo, exec_lo, s2
	s_delay_alu instid0(SALU_CYCLE_1)
	s_and_b32 s17, s0, exec_lo
                                        ; implicit-def: $vgpr21
                                        ; implicit-def: $vgpr19
                                        ; implicit-def: $vgpr17
                                        ; implicit-def: $vgpr15
                                        ; implicit-def: $vgpr13
                                        ; implicit-def: $vgpr11
                                        ; implicit-def: $vgpr9
	s_and_not1_saveexec_b32 s0, s16
	s_cbranch_execnz .LBB135_266
.LBB135_282:
	s_or_b32 exec_lo, exec_lo, s0
	s_delay_alu instid0(SALU_CYCLE_1)
	s_and_b32 exec_lo, exec_lo, s17
	s_cbranch_execz .LBB135_284
.LBB135_283:
	v_sub_nc_u32_e32 v9, v6, v5
	s_delay_alu instid0(VALU_DEP_1)
	v_lshlrev_b32_e32 v9, 2, v9
	ds_store_b32 v9, v57
.LBB135_284:
	s_or_b32 exec_lo, exec_lo, s15
	s_delay_alu instid0(SALU_CYCLE_1)
	s_mov_b32 s1, exec_lo
	s_waitcnt lgkmcnt(0)
	s_waitcnt_vscnt null, 0x0
	s_barrier
	buffer_gl0_inv
	v_cmpx_lt_u32_e64 v0, v1
	s_cbranch_execz .LBB135_287
; %bb.285:
	v_dual_mov_b32 v10, 0 :: v_dual_lshlrev_b32 v11, 2, v0
	v_mov_b32_e32 v9, v0
	s_mov_b32 s2, 0
	.p2align	6
.LBB135_286:                            ; =>This Inner Loop Header: Depth=1
	ds_load_b32 v14, v11
	v_lshlrev_b64 v[12:13], 2, v[9:10]
	v_add_nc_u32_e32 v9, 0x100, v9
	v_add_nc_u32_e32 v11, 0x400, v11
	s_delay_alu instid0(VALU_DEP_2) | instskip(NEXT) | instid1(VALU_DEP_4)
	v_cmp_ge_u32_e32 vcc_lo, v9, v1
	v_add_co_u32 v12, s0, v52, v12
	s_delay_alu instid0(VALU_DEP_1)
	v_add_co_ci_u32_e64 v13, s0, v60, v13, s0
	s_or_b32 s2, vcc_lo, s2
	s_waitcnt lgkmcnt(0)
	global_store_b32 v[12:13], v14, off
	s_and_not1_b32 exec_lo, exec_lo, s2
	s_cbranch_execnz .LBB135_286
.LBB135_287:
	s_or_b32 exec_lo, exec_lo, s1
.LBB135_288:
	s_cmpk_lg_i32 s21, 0xf00
	v_cmp_eq_u32_e32 vcc_lo, 0, v0
	s_cselect_b32 s0, -1, 0
	v_cndmask_b32_e64 v14, 0, 1, s28
	s_and_b32 s0, s20, s0
	v_mad_i32_i24 v11, v0, -15, s21
	v_cndmask_b32_e64 v10, 0, 1, s0
	s_mul_hi_u32 s0, s21, 0x88888889
	s_and_b32 s1, vcc_lo, s28
	s_lshr_b32 s0, s0, 3
	v_sub_nc_u32_e32 v9, v1, v14
	v_cndmask_b32_e64 v12, v27, 0, s1
	v_cmp_eq_u32_e32 vcc_lo, s0, v0
	v_cmp_ne_u32_e64 s0, 0, v11
	s_mov_b32 s16, -1
	s_waitcnt_vscnt null, 0x0
	s_barrier
	s_and_b32 vcc_lo, s20, vcc_lo
	v_add_nc_u32_e32 v9, v9, v10
	v_cndmask_b32_e64 v10, 1, v12, s0
	v_cmp_ne_u32_e64 s0, 1, v11
	buffer_gl0_inv
	v_cndmask_b32_e32 v18, v12, v10, vcc_lo
	v_cndmask_b32_e64 v13, 1, v50, s0
	v_cmp_ne_u32_e64 s0, 14, v11
	s_delay_alu instid0(VALU_DEP_3) | instskip(NEXT) | instid1(VALU_DEP_2)
	v_cmp_ne_u32_e64 s14, 0, v18
	v_cndmask_b32_e64 v15, 1, v58, s0
	v_cmp_ne_u32_e64 s0, 2, v11
	s_delay_alu instid0(VALU_DEP_2) | instskip(NEXT) | instid1(VALU_DEP_2)
	v_cndmask_b32_e32 v15, v58, v15, vcc_lo
	v_cndmask_b32_e64 v16, 1, v33, s0
	v_cmp_ne_u32_e64 s0, 3, v11
	s_delay_alu instid0(VALU_DEP_2) | instskip(NEXT) | instid1(VALU_DEP_2)
	v_dual_cndmask_b32 v19, v50, v13 :: v_dual_cndmask_b32 v16, v33, v16
	v_cndmask_b32_e64 v17, 1, v34, s0
	v_cmp_ne_u32_e64 s0, 4, v11
	s_delay_alu instid0(VALU_DEP_3) | instskip(NEXT) | instid1(VALU_DEP_4)
	v_cmp_ne_u32_e64 s13, 0, v19
	v_cmp_ne_u32_e64 s12, 0, v16
	s_delay_alu instid0(VALU_DEP_3) | instskip(SKIP_1) | instid1(VALU_DEP_1)
	v_cndmask_b32_e64 v10, 1, v31, s0
	v_cmp_ne_u32_e64 s0, 5, v11
	v_cndmask_b32_e64 v12, 1, v32, s0
	v_cmp_eq_u32_e64 s0, 0, v18
	s_delay_alu instid0(VALU_DEP_2) | instskip(NEXT) | instid1(VALU_DEP_2)
	v_cndmask_b32_e32 v32, v32, v12, vcc_lo
	v_cndmask_b32_e64 v13, 1, 2, s0
	v_cmp_eq_u32_e64 s0, 0, v19
	s_delay_alu instid0(VALU_DEP_3) | instskip(NEXT) | instid1(VALU_DEP_2)
	v_cmp_ne_u32_e64 s9, 0, v32
	v_cndmask_b32_e64 v20, 1, 2, s0
	v_cmp_ne_u32_e64 s0, 6, v11
	s_delay_alu instid0(VALU_DEP_2) | instskip(NEXT) | instid1(VALU_DEP_2)
	v_and_b32_e32 v13, v20, v13
	v_cndmask_b32_e64 v21, 1, v29, s0
	v_cmp_eq_u32_e64 s0, 0, v16
	s_delay_alu instid0(VALU_DEP_2) | instskip(NEXT) | instid1(VALU_DEP_2)
	v_cndmask_b32_e32 v21, v29, v21, vcc_lo
	v_cndmask_b32_e64 v20, 1, 2, s0
	v_cmp_ne_u32_e64 s0, 7, v11
	s_delay_alu instid0(VALU_DEP_1) | instskip(SKIP_1) | instid1(VALU_DEP_2)
	v_cndmask_b32_e64 v22, 1, v30, s0
	v_cmp_ne_u32_e64 s0, 8, v11
	v_dual_cndmask_b32 v22, v30, v22 :: v_dual_and_b32 v13, v13, v20
	v_cndmask_b32_e32 v17, v34, v17, vcc_lo
	s_delay_alu instid0(VALU_DEP_3) | instskip(NEXT) | instid1(VALU_DEP_3)
	v_cndmask_b32_e64 v27, 1, v25, s0
	v_cmp_ne_u32_e64 s7, 0, v22
	s_delay_alu instid0(VALU_DEP_3) | instskip(NEXT) | instid1(VALU_DEP_3)
	v_cmp_eq_u32_e64 s0, 0, v17
	v_cndmask_b32_e32 v25, v25, v27, vcc_lo
	s_delay_alu instid0(VALU_DEP_2) | instskip(SKIP_1) | instid1(VALU_DEP_3)
	v_cndmask_b32_e64 v20, 1, 2, s0
	v_cmp_ne_u32_e64 s0, 9, v11
	v_cmp_ne_u32_e64 s6, 0, v25
	s_delay_alu instid0(VALU_DEP_3) | instskip(NEXT) | instid1(VALU_DEP_3)
	v_dual_cndmask_b32 v31, v31, v10 :: v_dual_and_b32 v12, v13, v20
	v_cndmask_b32_e64 v10, 1, v26, s0
	v_cmp_ne_u32_e64 s11, 0, v17
	s_delay_alu instid0(VALU_DEP_3) | instskip(NEXT) | instid1(VALU_DEP_1)
	v_cmp_eq_u32_e64 s0, 0, v31
	v_cndmask_b32_e64 v13, 1, 2, s0
	v_cmp_ne_u32_e64 s0, 10, v11
	s_delay_alu instid0(VALU_DEP_2) | instskip(NEXT) | instid1(VALU_DEP_2)
	v_and_b32_e32 v12, v12, v13
	v_cndmask_b32_e64 v20, 1, v23, s0
	v_cmp_ne_u32_e64 s0, 12, v11
	v_cmp_ne_u32_e64 s10, 0, v31
	s_delay_alu instid0(VALU_DEP_3) | instskip(NEXT) | instid1(VALU_DEP_3)
	v_cndmask_b32_e32 v20, v23, v20, vcc_lo
	v_cndmask_b32_e64 v33, 1, v59, s0
	v_cmp_eq_u32_e64 s0, 0, v32
	v_cndmask_b32_e32 v23, v26, v10, vcc_lo
	s_delay_alu instid0(VALU_DEP_2) | instskip(SKIP_1) | instid1(VALU_DEP_3)
	v_cndmask_b32_e64 v13, 1, 2, s0
	v_cmp_ne_u32_e64 s0, 13, v11
	v_cmp_ne_u32_e64 s5, 0, v23
	s_delay_alu instid0(VALU_DEP_3) | instskip(NEXT) | instid1(VALU_DEP_3)
	v_and_b32_e32 v12, v12, v13
	v_cndmask_b32_e64 v29, 1, v28, s0
	v_cmp_eq_u32_e64 s0, 0, v21
	s_delay_alu instid0(VALU_DEP_2) | instskip(NEXT) | instid1(VALU_DEP_2)
	v_cndmask_b32_e32 v28, v28, v29, vcc_lo
	v_cndmask_b32_e64 v13, 1, 2, s0
	v_cmp_ne_u32_e64 s0, 11, v11
	s_delay_alu instid0(VALU_DEP_3) | instskip(NEXT) | instid1(VALU_DEP_3)
	v_cmp_ne_u32_e64 s1, 0, v28
	v_and_b32_e32 v12, v12, v13
	s_delay_alu instid0(VALU_DEP_3) | instskip(SKIP_1) | instid1(VALU_DEP_2)
	v_cndmask_b32_e64 v11, 1, v24, s0
	v_cmp_eq_u32_e64 s0, 0, v22
	v_cndmask_b32_e32 v24, v24, v11, vcc_lo
	s_delay_alu instid0(VALU_DEP_2) | instskip(SKIP_2) | instid1(VALU_DEP_4)
	v_cndmask_b32_e64 v13, 1, 2, s0
	v_cmp_ne_u32_e64 s8, 0, v21
	v_cmp_ne_u32_e64 s0, 0, v15
	;; [unrolled: 1-line block ×3, first 2 shown]
	s_delay_alu instid0(VALU_DEP_4)
	v_and_b32_e32 v10, v12, v13
	v_cndmask_b32_e32 v29, v59, v33, vcc_lo
	v_cmp_eq_u32_e32 vcc_lo, 0, v25
	v_cndmask_b32_e64 v11, 1, 2, vcc_lo
	v_add_co_u32 v2, vcc_lo, s36, v2
	v_add_co_ci_u32_e32 v3, vcc_lo, s37, v3, vcc_lo
	s_delay_alu instid0(VALU_DEP_3)
	v_and_b32_e32 v12, v10, v11
	v_cmp_eq_u32_e32 vcc_lo, 0, v23
	v_cmp_ne_u32_e64 s2, 0, v29
	v_cndmask_b32_e64 v13, 1, 2, vcc_lo
	v_add_co_u32 v10, vcc_lo, v2, v35
	v_add_co_ci_u32_e32 v11, vcc_lo, v3, v36, vcc_lo
	v_lshlrev_b32_e32 v2, 2, v14
	s_delay_alu instid0(VALU_DEP_4)
	v_and_b32_e32 v3, v12, v13
	v_cmp_eq_u32_e32 vcc_lo, 0, v20
	v_cmp_ne_u32_e64 s4, 0, v20
	v_cndmask_b32_e64 v12, 1, 2, vcc_lo
	v_add_co_u32 v2, vcc_lo, v2, v10
	v_add_co_ci_u32_e32 v13, vcc_lo, 0, v11, vcc_lo
	v_cmp_eq_u32_e32 vcc_lo, 0, v24
	s_delay_alu instid0(VALU_DEP_4)
	v_and_b32_e32 v3, v3, v12
	v_cndmask_b32_e64 v26, 1, 2, vcc_lo
	v_add_co_u32 v12, vcc_lo, v2, -4
	v_add_co_ci_u32_e32 v13, vcc_lo, -1, v13, vcc_lo
	v_cmp_eq_u32_e32 vcc_lo, 0, v29
	v_add_nc_u32_e32 v2, v5, v14
	v_and_b32_e32 v3, v3, v26
	v_cndmask_b32_e64 v14, 1, 2, vcc_lo
	v_cmp_eq_u32_e32 vcc_lo, 0, v28
	s_delay_alu instid0(VALU_DEP_2) | instskip(SKIP_2) | instid1(VALU_DEP_2)
	v_and_b32_e32 v3, v3, v14
	v_cndmask_b32_e64 v14, 1, 2, vcc_lo
	v_cmp_eq_u32_e32 vcc_lo, 0, v15
	v_and_b32_e32 v3, v3, v14
	v_cndmask_b32_e64 v14, 1, 2, vcc_lo
	v_cmp_gt_u32_e32 vcc_lo, 0x100, v9
	s_delay_alu instid0(VALU_DEP_2) | instskip(NEXT) | instid1(VALU_DEP_1)
	v_and_b32_e32 v3, v3, v14
	v_cmp_gt_i16_e64 s15, 2, v3
	s_cbranch_vccz .LBB135_305
; %bb.289:
	s_delay_alu instid0(VALU_DEP_1)
	s_and_saveexec_b32 s16, s15
	s_cbranch_execz .LBB135_343
; %bb.290:
	s_mov_b32 s17, 0
	s_mov_b32 s15, exec_lo
	v_cmpx_ne_u16_e32 1, v3
	s_xor_b32 s15, exec_lo, s15
	s_cbranch_execz .LBB135_322
; %bb.291:
	s_and_saveexec_b32 s17, s14
	s_cbranch_execz .LBB135_326
; %bb.292:
	v_sub_nc_u32_e32 v14, v4, v2
	v_mov_b32_e32 v15, 0
	s_delay_alu instid0(VALU_DEP_1) | instskip(NEXT) | instid1(VALU_DEP_1)
	v_lshlrev_b64 v[14:15], 2, v[14:15]
	v_add_co_u32 v14, vcc_lo, v12, v14
	s_delay_alu instid0(VALU_DEP_2)
	v_add_co_ci_u32_e32 v15, vcc_lo, v13, v15, vcc_lo
	global_store_b32 v[14:15], v71, off
	s_or_b32 exec_lo, exec_lo, s17
	s_and_saveexec_b32 s17, s13
	s_cbranch_execnz .LBB135_327
.LBB135_293:
	s_or_b32 exec_lo, exec_lo, s17
	s_and_saveexec_b32 s17, s12
	s_cbranch_execz .LBB135_328
.LBB135_294:
	v_sub_nc_u32_e32 v14, v51, v2
	v_mov_b32_e32 v15, 0
	s_delay_alu instid0(VALU_DEP_1) | instskip(NEXT) | instid1(VALU_DEP_1)
	v_lshlrev_b64 v[14:15], 2, v[14:15]
	v_add_co_u32 v14, vcc_lo, v12, v14
	s_delay_alu instid0(VALU_DEP_2)
	v_add_co_ci_u32_e32 v15, vcc_lo, v13, v15, vcc_lo
	global_store_b32 v[14:15], v69, off
	s_or_b32 exec_lo, exec_lo, s17
	s_and_saveexec_b32 s17, s11
	s_cbranch_execnz .LBB135_329
.LBB135_295:
	s_or_b32 exec_lo, exec_lo, s17
	s_and_saveexec_b32 s17, s10
	s_cbranch_execz .LBB135_330
.LBB135_296:
	v_sub_nc_u32_e32 v14, v46, v2
	v_mov_b32_e32 v15, 0
	s_delay_alu instid0(VALU_DEP_1) | instskip(NEXT) | instid1(VALU_DEP_1)
	v_lshlrev_b64 v[14:15], 2, v[14:15]
	v_add_co_u32 v14, vcc_lo, v12, v14
	s_delay_alu instid0(VALU_DEP_2)
	v_add_co_ci_u32_e32 v15, vcc_lo, v13, v15, vcc_lo
	global_store_b32 v[14:15], v67, off
	s_or_b32 exec_lo, exec_lo, s17
	s_and_saveexec_b32 s17, s9
	s_cbranch_execnz .LBB135_331
.LBB135_297:
	s_or_b32 exec_lo, exec_lo, s17
	s_and_saveexec_b32 s17, s8
	s_cbranch_execz .LBB135_332
.LBB135_298:
	v_sub_nc_u32_e32 v14, v44, v2
	v_mov_b32_e32 v15, 0
	s_delay_alu instid0(VALU_DEP_1) | instskip(NEXT) | instid1(VALU_DEP_1)
	v_lshlrev_b64 v[14:15], 2, v[14:15]
	v_add_co_u32 v14, vcc_lo, v12, v14
	s_delay_alu instid0(VALU_DEP_2)
	v_add_co_ci_u32_e32 v15, vcc_lo, v13, v15, vcc_lo
	global_store_b32 v[14:15], v65, off
	s_or_b32 exec_lo, exec_lo, s17
	s_and_saveexec_b32 s17, s7
	s_cbranch_execnz .LBB135_333
.LBB135_299:
	s_or_b32 exec_lo, exec_lo, s17
	s_and_saveexec_b32 s17, s6
	s_cbranch_execz .LBB135_334
.LBB135_300:
	v_sub_nc_u32_e32 v14, v42, v2
	v_mov_b32_e32 v15, 0
	s_delay_alu instid0(VALU_DEP_1) | instskip(NEXT) | instid1(VALU_DEP_1)
	v_lshlrev_b64 v[14:15], 2, v[14:15]
	v_add_co_u32 v14, vcc_lo, v12, v14
	s_delay_alu instid0(VALU_DEP_2)
	v_add_co_ci_u32_e32 v15, vcc_lo, v13, v15, vcc_lo
	global_store_b32 v[14:15], v63, off
	s_or_b32 exec_lo, exec_lo, s17
	s_and_saveexec_b32 s17, s5
	s_cbranch_execnz .LBB135_335
.LBB135_301:
	s_or_b32 exec_lo, exec_lo, s17
	s_and_saveexec_b32 s17, s4
	s_cbranch_execz .LBB135_336
.LBB135_302:
	v_sub_nc_u32_e32 v14, v40, v2
	v_mov_b32_e32 v15, 0
	s_delay_alu instid0(VALU_DEP_1) | instskip(NEXT) | instid1(VALU_DEP_1)
	v_lshlrev_b64 v[14:15], 2, v[14:15]
	v_add_co_u32 v14, vcc_lo, v12, v14
	s_delay_alu instid0(VALU_DEP_2)
	v_add_co_ci_u32_e32 v15, vcc_lo, v13, v15, vcc_lo
	global_store_b32 v[14:15], v56, off
	s_or_b32 exec_lo, exec_lo, s17
	s_and_saveexec_b32 s17, s3
	s_cbranch_execnz .LBB135_337
.LBB135_303:
	s_or_b32 exec_lo, exec_lo, s17
	s_and_saveexec_b32 s17, s2
	s_cbranch_execz .LBB135_338
.LBB135_304:
	v_sub_nc_u32_e32 v14, v38, v2
	v_mov_b32_e32 v15, 0
	s_delay_alu instid0(VALU_DEP_1) | instskip(NEXT) | instid1(VALU_DEP_1)
	v_lshlrev_b64 v[14:15], 2, v[14:15]
	v_add_co_u32 v14, vcc_lo, v12, v14
	s_delay_alu instid0(VALU_DEP_2)
	v_add_co_ci_u32_e32 v15, vcc_lo, v13, v15, vcc_lo
	global_store_b32 v[14:15], v55, off
	s_or_b32 exec_lo, exec_lo, s17
	s_and_saveexec_b32 s17, s1
	s_cbranch_execnz .LBB135_339
	s_branch .LBB135_340
.LBB135_305:
	s_and_b32 vcc_lo, exec_lo, s16
	s_cbranch_vccz .LBB135_344
; %bb.306:
	s_mov_b32 s15, exec_lo
	v_cmpx_gt_i16_e32 2, v3
	s_cbranch_execz .LBB135_362
; %bb.307:
	s_mov_b32 s17, 0
	s_mov_b32 s16, exec_lo
	v_cmpx_ne_u16_e32 1, v3
	s_xor_b32 s16, exec_lo, s16
	s_cbranch_execz .LBB135_324
; %bb.308:
	s_and_saveexec_b32 s17, s14
	s_cbranch_execz .LBB135_345
; %bb.309:
	v_sub_nc_u32_e32 v3, v4, v2
	s_delay_alu instid0(VALU_DEP_1)
	v_lshlrev_b32_e32 v3, 2, v3
	ds_store_b32 v3, v71
	s_or_b32 exec_lo, exec_lo, s17
	s_and_saveexec_b32 s14, s13
	s_cbranch_execnz .LBB135_346
.LBB135_310:
	s_or_b32 exec_lo, exec_lo, s14
	s_and_saveexec_b32 s13, s12
	s_cbranch_execz .LBB135_347
.LBB135_311:
	v_sub_nc_u32_e32 v3, v51, v2
	s_delay_alu instid0(VALU_DEP_1)
	v_lshlrev_b32_e32 v3, 2, v3
	ds_store_b32 v3, v69
	s_or_b32 exec_lo, exec_lo, s13
	s_and_saveexec_b32 s12, s11
	s_cbranch_execnz .LBB135_348
.LBB135_312:
	s_or_b32 exec_lo, exec_lo, s12
	s_and_saveexec_b32 s11, s10
	s_cbranch_execz .LBB135_349
.LBB135_313:
	v_sub_nc_u32_e32 v3, v46, v2
	s_delay_alu instid0(VALU_DEP_1)
	v_lshlrev_b32_e32 v3, 2, v3
	ds_store_b32 v3, v67
	s_or_b32 exec_lo, exec_lo, s11
	s_and_saveexec_b32 s10, s9
	s_cbranch_execnz .LBB135_350
.LBB135_314:
	s_or_b32 exec_lo, exec_lo, s10
	s_and_saveexec_b32 s9, s8
	s_cbranch_execz .LBB135_351
.LBB135_315:
	v_sub_nc_u32_e32 v3, v44, v2
	s_delay_alu instid0(VALU_DEP_1)
	v_lshlrev_b32_e32 v3, 2, v3
	ds_store_b32 v3, v65
	s_or_b32 exec_lo, exec_lo, s9
	s_and_saveexec_b32 s8, s7
	s_cbranch_execnz .LBB135_352
.LBB135_316:
	s_or_b32 exec_lo, exec_lo, s8
	s_and_saveexec_b32 s7, s6
	s_cbranch_execz .LBB135_353
.LBB135_317:
	v_sub_nc_u32_e32 v3, v42, v2
	s_delay_alu instid0(VALU_DEP_1)
	v_lshlrev_b32_e32 v3, 2, v3
	ds_store_b32 v3, v63
	s_or_b32 exec_lo, exec_lo, s7
	s_and_saveexec_b32 s6, s5
	s_cbranch_execnz .LBB135_354
.LBB135_318:
	s_or_b32 exec_lo, exec_lo, s6
	s_and_saveexec_b32 s5, s4
	s_cbranch_execz .LBB135_355
.LBB135_319:
	v_sub_nc_u32_e32 v3, v40, v2
	s_delay_alu instid0(VALU_DEP_1)
	v_lshlrev_b32_e32 v3, 2, v3
	ds_store_b32 v3, v56
	s_or_b32 exec_lo, exec_lo, s5
	s_and_saveexec_b32 s4, s3
	s_cbranch_execnz .LBB135_356
.LBB135_320:
	s_or_b32 exec_lo, exec_lo, s4
	s_and_saveexec_b32 s3, s2
	s_cbranch_execz .LBB135_357
.LBB135_321:
	v_sub_nc_u32_e32 v3, v38, v2
	s_delay_alu instid0(VALU_DEP_1)
	v_lshlrev_b32_e32 v3, 2, v3
	ds_store_b32 v3, v55
	s_or_b32 exec_lo, exec_lo, s3
	s_and_saveexec_b32 s2, s1
	s_cbranch_execnz .LBB135_358
	s_branch .LBB135_359
.LBB135_322:
	s_and_not1_saveexec_b32 s15, s15
	s_cbranch_execz .LBB135_341
.LBB135_323:
	v_sub_nc_u32_e32 v14, v4, v2
	v_mov_b32_e32 v15, 0
	s_or_b32 s17, s17, exec_lo
	s_delay_alu instid0(VALU_DEP_1) | instskip(SKIP_1) | instid1(VALU_DEP_1)
	v_lshlrev_b64 v[16:17], 2, v[14:15]
	v_sub_nc_u32_e32 v14, v47, v2
	v_lshlrev_b64 v[18:19], 2, v[14:15]
	v_sub_nc_u32_e32 v14, v51, v2
	s_delay_alu instid0(VALU_DEP_4) | instskip(SKIP_1) | instid1(VALU_DEP_3)
	v_add_co_u32 v16, vcc_lo, v12, v16
	v_add_co_ci_u32_e32 v17, vcc_lo, v13, v17, vcc_lo
	v_lshlrev_b64 v[20:21], 2, v[14:15]
	v_sub_nc_u32_e32 v14, v48, v2
	v_add_co_u32 v18, vcc_lo, v12, v18
	v_add_co_ci_u32_e32 v19, vcc_lo, v13, v19, vcc_lo
	global_store_b32 v[16:17], v71, off
	v_lshlrev_b64 v[16:17], 2, v[14:15]
	v_sub_nc_u32_e32 v14, v46, v2
	global_store_b32 v[18:19], v70, off
	v_add_co_u32 v18, vcc_lo, v12, v20
	v_add_co_ci_u32_e32 v19, vcc_lo, v13, v21, vcc_lo
	v_lshlrev_b64 v[20:21], 2, v[14:15]
	v_sub_nc_u32_e32 v14, v45, v2
	v_add_co_u32 v16, vcc_lo, v12, v16
	v_add_co_ci_u32_e32 v17, vcc_lo, v13, v17, vcc_lo
	s_delay_alu instid0(VALU_DEP_3) | instskip(SKIP_3) | instid1(VALU_DEP_3)
	v_lshlrev_b64 v[22:23], 2, v[14:15]
	v_sub_nc_u32_e32 v14, v44, v2
	v_add_co_u32 v20, vcc_lo, v12, v20
	v_add_co_ci_u32_e32 v21, vcc_lo, v13, v21, vcc_lo
	v_lshlrev_b64 v[24:25], 2, v[14:15]
	v_sub_nc_u32_e32 v14, v43, v2
	v_add_co_u32 v22, vcc_lo, v12, v22
	v_add_co_ci_u32_e32 v23, vcc_lo, v13, v23, vcc_lo
	s_clause 0x3
	global_store_b32 v[18:19], v69, off
	global_store_b32 v[16:17], v68, off
	;; [unrolled: 1-line block ×4, first 2 shown]
	v_lshlrev_b64 v[16:17], 2, v[14:15]
	v_sub_nc_u32_e32 v14, v42, v2
	v_add_co_u32 v18, vcc_lo, v12, v24
	v_add_co_ci_u32_e32 v19, vcc_lo, v13, v25, vcc_lo
	s_delay_alu instid0(VALU_DEP_3) | instskip(SKIP_3) | instid1(VALU_DEP_3)
	v_lshlrev_b64 v[20:21], 2, v[14:15]
	v_sub_nc_u32_e32 v14, v41, v2
	v_add_co_u32 v16, vcc_lo, v12, v16
	v_add_co_ci_u32_e32 v17, vcc_lo, v13, v17, vcc_lo
	v_lshlrev_b64 v[22:23], 2, v[14:15]
	v_sub_nc_u32_e32 v14, v40, v2
	v_add_co_u32 v20, vcc_lo, v12, v20
	v_add_co_ci_u32_e32 v21, vcc_lo, v13, v21, vcc_lo
	s_delay_alu instid0(VALU_DEP_3)
	v_lshlrev_b64 v[24:25], 2, v[14:15]
	v_sub_nc_u32_e32 v14, v39, v2
	v_add_co_u32 v22, vcc_lo, v12, v22
	v_add_co_ci_u32_e32 v23, vcc_lo, v13, v23, vcc_lo
	s_clause 0x3
	global_store_b32 v[18:19], v65, off
	global_store_b32 v[16:17], v64, off
	;; [unrolled: 1-line block ×4, first 2 shown]
	v_lshlrev_b64 v[16:17], 2, v[14:15]
	v_sub_nc_u32_e32 v14, v38, v2
	v_add_co_u32 v18, vcc_lo, v12, v24
	v_add_co_ci_u32_e32 v19, vcc_lo, v13, v25, vcc_lo
	s_delay_alu instid0(VALU_DEP_3) | instskip(SKIP_3) | instid1(VALU_DEP_3)
	v_lshlrev_b64 v[20:21], 2, v[14:15]
	v_sub_nc_u32_e32 v14, v37, v2
	v_add_co_u32 v16, vcc_lo, v12, v16
	v_add_co_ci_u32_e32 v17, vcc_lo, v13, v17, vcc_lo
	v_lshlrev_b64 v[14:15], 2, v[14:15]
	v_add_co_u32 v20, vcc_lo, v12, v20
	v_add_co_ci_u32_e32 v21, vcc_lo, v13, v21, vcc_lo
	s_clause 0x2
	global_store_b32 v[18:19], v56, off
	global_store_b32 v[16:17], v54, off
	;; [unrolled: 1-line block ×3, first 2 shown]
	v_add_co_u32 v14, vcc_lo, v12, v14
	v_add_co_ci_u32_e32 v15, vcc_lo, v13, v15, vcc_lo
	global_store_b32 v[14:15], v53, off
	s_or_b32 exec_lo, exec_lo, s15
	s_delay_alu instid0(SALU_CYCLE_1)
	s_and_b32 exec_lo, exec_lo, s17
	s_cbranch_execnz .LBB135_342
	s_branch .LBB135_343
.LBB135_324:
	s_and_not1_saveexec_b32 s0, s16
	s_cbranch_execz .LBB135_360
.LBB135_325:
	v_sub_nc_u32_e32 v3, v4, v2
	v_sub_nc_u32_e32 v4, v47, v2
	;; [unrolled: 1-line block ×5, first 2 shown]
	v_lshlrev_b32_e32 v3, 2, v3
	v_lshlrev_b32_e32 v4, 2, v4
	;; [unrolled: 1-line block ×4, first 2 shown]
	s_or_b32 s17, s17, exec_lo
	ds_store_b32 v3, v71
	ds_store_b32 v4, v70
	;; [unrolled: 1-line block ×3, first 2 shown]
	v_sub_nc_u32_e32 v3, v46, v2
	v_sub_nc_u32_e32 v4, v45, v2
	;; [unrolled: 1-line block ×3, first 2 shown]
	ds_store_b32 v15, v68
	v_sub_nc_u32_e32 v15, v43, v2
	v_lshlrev_b32_e32 v3, 2, v3
	v_lshlrev_b32_e32 v4, 2, v4
	;; [unrolled: 1-line block ×3, first 2 shown]
	s_delay_alu instid0(VALU_DEP_4)
	v_lshlrev_b32_e32 v15, 2, v15
	ds_store_b32 v3, v67
	v_lshlrev_b32_e32 v3, 2, v16
	ds_store_b32 v4, v66
	ds_store_b32 v14, v65
	;; [unrolled: 1-line block ×3, first 2 shown]
	v_sub_nc_u32_e32 v4, v41, v2
	v_sub_nc_u32_e32 v16, v37, v2
	;; [unrolled: 1-line block ×3, first 2 shown]
	ds_store_b32 v3, v63
	v_sub_nc_u32_e32 v3, v40, v2
	v_lshlrev_b32_e32 v4, 2, v4
	v_sub_nc_u32_e32 v15, v38, v2
	v_lshlrev_b32_e32 v14, 2, v14
	s_delay_alu instid0(VALU_DEP_4)
	v_lshlrev_b32_e32 v3, 2, v3
	ds_store_b32 v4, v61
	v_lshlrev_b32_e32 v4, 2, v16
	v_lshlrev_b32_e32 v15, 2, v15
	ds_store_b32 v3, v56
	ds_store_b32 v14, v54
	;; [unrolled: 1-line block ×4, first 2 shown]
	s_or_b32 exec_lo, exec_lo, s0
	s_delay_alu instid0(SALU_CYCLE_1)
	s_and_b32 exec_lo, exec_lo, s17
	s_cbranch_execnz .LBB135_361
	s_branch .LBB135_362
.LBB135_326:
	s_or_b32 exec_lo, exec_lo, s17
	s_and_saveexec_b32 s17, s13
	s_cbranch_execz .LBB135_293
.LBB135_327:
	v_sub_nc_u32_e32 v14, v47, v2
	v_mov_b32_e32 v15, 0
	s_delay_alu instid0(VALU_DEP_1) | instskip(NEXT) | instid1(VALU_DEP_1)
	v_lshlrev_b64 v[14:15], 2, v[14:15]
	v_add_co_u32 v14, vcc_lo, v12, v14
	s_delay_alu instid0(VALU_DEP_2)
	v_add_co_ci_u32_e32 v15, vcc_lo, v13, v15, vcc_lo
	global_store_b32 v[14:15], v70, off
	s_or_b32 exec_lo, exec_lo, s17
	s_and_saveexec_b32 s17, s12
	s_cbranch_execnz .LBB135_294
.LBB135_328:
	s_or_b32 exec_lo, exec_lo, s17
	s_and_saveexec_b32 s17, s11
	s_cbranch_execz .LBB135_295
.LBB135_329:
	v_sub_nc_u32_e32 v14, v48, v2
	v_mov_b32_e32 v15, 0
	s_delay_alu instid0(VALU_DEP_1) | instskip(NEXT) | instid1(VALU_DEP_1)
	v_lshlrev_b64 v[14:15], 2, v[14:15]
	v_add_co_u32 v14, vcc_lo, v12, v14
	s_delay_alu instid0(VALU_DEP_2)
	v_add_co_ci_u32_e32 v15, vcc_lo, v13, v15, vcc_lo
	global_store_b32 v[14:15], v68, off
	s_or_b32 exec_lo, exec_lo, s17
	s_and_saveexec_b32 s17, s10
	s_cbranch_execnz .LBB135_296
.LBB135_330:
	s_or_b32 exec_lo, exec_lo, s17
	s_and_saveexec_b32 s17, s9
	s_cbranch_execz .LBB135_297
.LBB135_331:
	v_sub_nc_u32_e32 v14, v45, v2
	v_mov_b32_e32 v15, 0
	s_delay_alu instid0(VALU_DEP_1) | instskip(NEXT) | instid1(VALU_DEP_1)
	v_lshlrev_b64 v[14:15], 2, v[14:15]
	v_add_co_u32 v14, vcc_lo, v12, v14
	s_delay_alu instid0(VALU_DEP_2)
	v_add_co_ci_u32_e32 v15, vcc_lo, v13, v15, vcc_lo
	global_store_b32 v[14:15], v66, off
	s_or_b32 exec_lo, exec_lo, s17
	s_and_saveexec_b32 s17, s8
	s_cbranch_execnz .LBB135_298
.LBB135_332:
	s_or_b32 exec_lo, exec_lo, s17
	s_and_saveexec_b32 s17, s7
	s_cbranch_execz .LBB135_299
.LBB135_333:
	v_sub_nc_u32_e32 v14, v43, v2
	v_mov_b32_e32 v15, 0
	s_delay_alu instid0(VALU_DEP_1) | instskip(NEXT) | instid1(VALU_DEP_1)
	v_lshlrev_b64 v[14:15], 2, v[14:15]
	v_add_co_u32 v14, vcc_lo, v12, v14
	s_delay_alu instid0(VALU_DEP_2)
	v_add_co_ci_u32_e32 v15, vcc_lo, v13, v15, vcc_lo
	global_store_b32 v[14:15], v64, off
	s_or_b32 exec_lo, exec_lo, s17
	s_and_saveexec_b32 s17, s6
	s_cbranch_execnz .LBB135_300
.LBB135_334:
	s_or_b32 exec_lo, exec_lo, s17
	s_and_saveexec_b32 s17, s5
	s_cbranch_execz .LBB135_301
.LBB135_335:
	v_sub_nc_u32_e32 v14, v41, v2
	v_mov_b32_e32 v15, 0
	s_delay_alu instid0(VALU_DEP_1) | instskip(NEXT) | instid1(VALU_DEP_1)
	v_lshlrev_b64 v[14:15], 2, v[14:15]
	v_add_co_u32 v14, vcc_lo, v12, v14
	s_delay_alu instid0(VALU_DEP_2)
	v_add_co_ci_u32_e32 v15, vcc_lo, v13, v15, vcc_lo
	global_store_b32 v[14:15], v61, off
	s_or_b32 exec_lo, exec_lo, s17
	s_and_saveexec_b32 s17, s4
	s_cbranch_execnz .LBB135_302
.LBB135_336:
	s_or_b32 exec_lo, exec_lo, s17
	s_and_saveexec_b32 s17, s3
	s_cbranch_execz .LBB135_303
.LBB135_337:
	v_sub_nc_u32_e32 v14, v39, v2
	v_mov_b32_e32 v15, 0
	s_delay_alu instid0(VALU_DEP_1) | instskip(NEXT) | instid1(VALU_DEP_1)
	v_lshlrev_b64 v[14:15], 2, v[14:15]
	v_add_co_u32 v14, vcc_lo, v12, v14
	s_delay_alu instid0(VALU_DEP_2)
	v_add_co_ci_u32_e32 v15, vcc_lo, v13, v15, vcc_lo
	global_store_b32 v[14:15], v54, off
	s_or_b32 exec_lo, exec_lo, s17
	s_and_saveexec_b32 s17, s2
	s_cbranch_execnz .LBB135_304
.LBB135_338:
	s_or_b32 exec_lo, exec_lo, s17
	s_and_saveexec_b32 s17, s1
	s_cbranch_execz .LBB135_340
.LBB135_339:
	v_sub_nc_u32_e32 v14, v37, v2
	v_mov_b32_e32 v15, 0
	s_delay_alu instid0(VALU_DEP_1) | instskip(NEXT) | instid1(VALU_DEP_1)
	v_lshlrev_b64 v[14:15], 2, v[14:15]
	v_add_co_u32 v14, vcc_lo, v12, v14
	s_delay_alu instid0(VALU_DEP_2)
	v_add_co_ci_u32_e32 v15, vcc_lo, v13, v15, vcc_lo
	global_store_b32 v[14:15], v53, off
.LBB135_340:
	s_or_b32 exec_lo, exec_lo, s17
	s_delay_alu instid0(SALU_CYCLE_1)
	s_and_b32 s17, s0, exec_lo
	s_and_not1_saveexec_b32 s15, s15
	s_cbranch_execnz .LBB135_323
.LBB135_341:
	s_or_b32 exec_lo, exec_lo, s15
	s_delay_alu instid0(SALU_CYCLE_1)
	s_and_b32 exec_lo, exec_lo, s17
	s_cbranch_execz .LBB135_343
.LBB135_342:
	v_sub_nc_u32_e32 v14, v6, v2
	v_mov_b32_e32 v15, 0
	s_delay_alu instid0(VALU_DEP_1) | instskip(NEXT) | instid1(VALU_DEP_1)
	v_lshlrev_b64 v[14:15], 2, v[14:15]
	v_add_co_u32 v14, vcc_lo, v12, v14
	s_delay_alu instid0(VALU_DEP_2)
	v_add_co_ci_u32_e32 v15, vcc_lo, v13, v15, vcc_lo
	global_store_b32 v[14:15], v62, off
.LBB135_343:
	s_or_b32 exec_lo, exec_lo, s16
.LBB135_344:
	v_cmp_eq_u32_e32 vcc_lo, 0xff, v0
	s_and_b32 s0, vcc_lo, s20
	s_delay_alu instid0(SALU_CYCLE_1)
	s_and_b32 exec_lo, exec_lo, s0
	s_cbranch_execnz .LBB135_366
	s_branch .LBB135_368
.LBB135_345:
	s_or_b32 exec_lo, exec_lo, s17
	s_and_saveexec_b32 s14, s13
	s_cbranch_execz .LBB135_310
.LBB135_346:
	v_sub_nc_u32_e32 v3, v47, v2
	s_delay_alu instid0(VALU_DEP_1)
	v_lshlrev_b32_e32 v3, 2, v3
	ds_store_b32 v3, v70
	s_or_b32 exec_lo, exec_lo, s14
	s_and_saveexec_b32 s13, s12
	s_cbranch_execnz .LBB135_311
.LBB135_347:
	s_or_b32 exec_lo, exec_lo, s13
	s_and_saveexec_b32 s12, s11
	s_cbranch_execz .LBB135_312
.LBB135_348:
	v_sub_nc_u32_e32 v3, v48, v2
	s_delay_alu instid0(VALU_DEP_1)
	v_lshlrev_b32_e32 v3, 2, v3
	ds_store_b32 v3, v68
	s_or_b32 exec_lo, exec_lo, s12
	s_and_saveexec_b32 s11, s10
	s_cbranch_execnz .LBB135_313
.LBB135_349:
	s_or_b32 exec_lo, exec_lo, s11
	s_and_saveexec_b32 s10, s9
	s_cbranch_execz .LBB135_314
.LBB135_350:
	v_sub_nc_u32_e32 v3, v45, v2
	s_delay_alu instid0(VALU_DEP_1)
	v_lshlrev_b32_e32 v3, 2, v3
	ds_store_b32 v3, v66
	s_or_b32 exec_lo, exec_lo, s10
	s_and_saveexec_b32 s9, s8
	s_cbranch_execnz .LBB135_315
.LBB135_351:
	s_or_b32 exec_lo, exec_lo, s9
	s_and_saveexec_b32 s8, s7
	s_cbranch_execz .LBB135_316
.LBB135_352:
	v_sub_nc_u32_e32 v3, v43, v2
	s_delay_alu instid0(VALU_DEP_1)
	v_lshlrev_b32_e32 v3, 2, v3
	ds_store_b32 v3, v64
	s_or_b32 exec_lo, exec_lo, s8
	s_and_saveexec_b32 s7, s6
	s_cbranch_execnz .LBB135_317
.LBB135_353:
	s_or_b32 exec_lo, exec_lo, s7
	s_and_saveexec_b32 s6, s5
	s_cbranch_execz .LBB135_318
.LBB135_354:
	v_sub_nc_u32_e32 v3, v41, v2
	s_delay_alu instid0(VALU_DEP_1)
	v_lshlrev_b32_e32 v3, 2, v3
	ds_store_b32 v3, v61
	s_or_b32 exec_lo, exec_lo, s6
	s_and_saveexec_b32 s5, s4
	s_cbranch_execnz .LBB135_319
.LBB135_355:
	s_or_b32 exec_lo, exec_lo, s5
	s_and_saveexec_b32 s4, s3
	s_cbranch_execz .LBB135_320
.LBB135_356:
	v_sub_nc_u32_e32 v3, v39, v2
	s_delay_alu instid0(VALU_DEP_1)
	v_lshlrev_b32_e32 v3, 2, v3
	ds_store_b32 v3, v54
	s_or_b32 exec_lo, exec_lo, s4
	s_and_saveexec_b32 s3, s2
	s_cbranch_execnz .LBB135_321
.LBB135_357:
	s_or_b32 exec_lo, exec_lo, s3
	s_and_saveexec_b32 s2, s1
	s_cbranch_execz .LBB135_359
.LBB135_358:
	v_sub_nc_u32_e32 v3, v37, v2
	s_delay_alu instid0(VALU_DEP_1)
	v_lshlrev_b32_e32 v3, 2, v3
	ds_store_b32 v3, v53
.LBB135_359:
	s_or_b32 exec_lo, exec_lo, s2
	s_delay_alu instid0(SALU_CYCLE_1)
	s_and_b32 s17, s0, exec_lo
                                        ; implicit-def: $vgpr53
                                        ; implicit-def: $vgpr55
                                        ; implicit-def: $vgpr54
                                        ; implicit-def: $vgpr56
                                        ; implicit-def: $vgpr61
                                        ; implicit-def: $vgpr63
                                        ; implicit-def: $vgpr64
                                        ; implicit-def: $vgpr65
                                        ; implicit-def: $vgpr66
                                        ; implicit-def: $vgpr67
                                        ; implicit-def: $vgpr68
                                        ; implicit-def: $vgpr69
                                        ; implicit-def: $vgpr70
                                        ; implicit-def: $vgpr71
                                        ; implicit-def: $vgpr47
                                        ; implicit-def: $vgpr51
                                        ; implicit-def: $vgpr48
                                        ; implicit-def: $vgpr46
                                        ; implicit-def: $vgpr45
                                        ; implicit-def: $vgpr44
                                        ; implicit-def: $vgpr43
                                        ; implicit-def: $vgpr42
                                        ; implicit-def: $vgpr41
                                        ; implicit-def: $vgpr40
                                        ; implicit-def: $vgpr39
                                        ; implicit-def: $vgpr38
                                        ; implicit-def: $vgpr37
	s_and_not1_saveexec_b32 s0, s16
	s_cbranch_execnz .LBB135_325
.LBB135_360:
	s_or_b32 exec_lo, exec_lo, s0
	s_delay_alu instid0(SALU_CYCLE_1)
	s_and_b32 exec_lo, exec_lo, s17
	s_cbranch_execz .LBB135_362
.LBB135_361:
	v_sub_nc_u32_e32 v2, v6, v2
	s_delay_alu instid0(VALU_DEP_1)
	v_lshlrev_b32_e32 v2, 2, v2
	ds_store_b32 v2, v62
.LBB135_362:
	s_or_b32 exec_lo, exec_lo, s15
	s_delay_alu instid0(SALU_CYCLE_1)
	s_mov_b32 s1, exec_lo
	s_waitcnt lgkmcnt(0)
	s_waitcnt_vscnt null, 0x0
	s_barrier
	buffer_gl0_inv
	v_cmpx_lt_u32_e64 v0, v9
	s_cbranch_execz .LBB135_365
; %bb.363:
	v_dual_mov_b32 v3, 0 :: v_dual_lshlrev_b32 v4, 2, v0
	v_mov_b32_e32 v2, v0
	s_mov_b32 s2, 0
	.p2align	6
.LBB135_364:                            ; =>This Inner Loop Header: Depth=1
	ds_load_b32 v6, v4
	v_lshlrev_b64 v[14:15], 2, v[2:3]
	v_add_nc_u32_e32 v2, 0x100, v2
	v_add_nc_u32_e32 v4, 0x400, v4
	s_delay_alu instid0(VALU_DEP_2) | instskip(NEXT) | instid1(VALU_DEP_4)
	v_cmp_ge_u32_e32 vcc_lo, v2, v9
	v_add_co_u32 v14, s0, v12, v14
	s_delay_alu instid0(VALU_DEP_1)
	v_add_co_ci_u32_e64 v15, s0, v13, v15, s0
	s_or_b32 s2, vcc_lo, s2
	s_waitcnt lgkmcnt(0)
	global_store_b32 v[14:15], v6, off
	s_and_not1_b32 exec_lo, exec_lo, s2
	s_cbranch_execnz .LBB135_364
.LBB135_365:
	s_or_b32 exec_lo, exec_lo, s1
	v_cmp_eq_u32_e32 vcc_lo, 0xff, v0
	s_and_b32 s0, vcc_lo, s20
	s_delay_alu instid0(SALU_CYCLE_1)
	s_and_b32 exec_lo, exec_lo, s0
	s_cbranch_execz .LBB135_368
.LBB135_366:
	v_add_co_u32 v0, s0, v1, v5
	s_delay_alu instid0(VALU_DEP_1) | instskip(SKIP_1) | instid1(VALU_DEP_3)
	v_add_co_ci_u32_e64 v4, null, 0, 0, s0
	v_mov_b32_e32 v2, 0
	v_add_co_u32 v3, vcc_lo, v0, v7
	s_delay_alu instid0(VALU_DEP_3)
	v_add_co_ci_u32_e32 v4, vcc_lo, v4, v8, vcc_lo
	s_cmpk_lg_i32 s21, 0xf00
	global_store_b64 v2, v[3:4], s[38:39]
	s_cbranch_scc1 .LBB135_368
; %bb.367:
	v_lshlrev_b64 v[0:1], 2, v[1:2]
	s_delay_alu instid0(VALU_DEP_1) | instskip(NEXT) | instid1(VALU_DEP_2)
	v_add_co_u32 v0, vcc_lo, v10, v0
	v_add_co_ci_u32_e32 v1, vcc_lo, v11, v1, vcc_lo
	global_store_b32 v[0:1], v49, off offset:-4
	s_nop 0
	s_sendmsg sendmsg(MSG_DEALLOC_VGPRS)
	s_endpgm
.LBB135_368:
	s_endpgm
.LBB135_369:
	s_trap 2
	s_sendmsg_rtn_b32 s0, sendmsg(MSG_RTN_GET_DOORBELL)
	s_mov_b32 ttmp2, m0
	s_waitcnt lgkmcnt(0)
	s_and_b32 s0, s0, 0x3ff
	s_delay_alu instid0(SALU_CYCLE_1) | instskip(NEXT) | instid1(SALU_CYCLE_1)
	s_bitset1_b32 s0, 10
	s_mov_b32 m0, s0
	s_sendmsg sendmsg(MSG_INTERRUPT)
	s_mov_b32 m0, ttmp2
.LBB135_370:                            ; =>This Inner Loop Header: Depth=1
	s_sethalt 5
	s_branch .LBB135_370
	.section	.rodata,"a",@progbits
	.p2align	6, 0x0
	.amdhsa_kernel _ZN7rocprim17ROCPRIM_400000_NS6detail17trampoline_kernelINS0_14default_configENS1_29reduce_by_key_config_selectorIffN6thrust23THRUST_200600_302600_NS4plusIfEEEEZZNS1_33reduce_by_key_impl_wrapped_configILNS1_25lookback_scan_determinismE1ES3_S9_NS6_6detail15normal_iteratorINS6_10device_ptrIfEEEESG_SG_SG_PmS8_22is_equal_div_10_reduceIfEEE10hipError_tPvRmT2_T3_mT4_T5_T6_T7_T8_P12ihipStream_tbENKUlT_T0_E_clISt17integral_constantIbLb0EES11_EEDaSW_SX_EUlSW_E_NS1_11comp_targetILNS1_3genE9ELNS1_11target_archE1100ELNS1_3gpuE3ELNS1_3repE0EEENS1_30default_config_static_selectorELNS0_4arch9wavefront6targetE0EEEvT1_
		.amdhsa_group_segment_fixed_size 15360
		.amdhsa_private_segment_fixed_size 48
		.amdhsa_kernarg_size 120
		.amdhsa_user_sgpr_count 15
		.amdhsa_user_sgpr_dispatch_ptr 0
		.amdhsa_user_sgpr_queue_ptr 0
		.amdhsa_user_sgpr_kernarg_segment_ptr 1
		.amdhsa_user_sgpr_dispatch_id 0
		.amdhsa_user_sgpr_private_segment_size 0
		.amdhsa_wavefront_size32 1
		.amdhsa_uses_dynamic_stack 0
		.amdhsa_enable_private_segment 1
		.amdhsa_system_sgpr_workgroup_id_x 1
		.amdhsa_system_sgpr_workgroup_id_y 0
		.amdhsa_system_sgpr_workgroup_id_z 0
		.amdhsa_system_sgpr_workgroup_info 0
		.amdhsa_system_vgpr_workitem_id 0
		.amdhsa_next_free_vgpr 85
		.amdhsa_next_free_sgpr 46
		.amdhsa_reserve_vcc 1
		.amdhsa_float_round_mode_32 0
		.amdhsa_float_round_mode_16_64 0
		.amdhsa_float_denorm_mode_32 3
		.amdhsa_float_denorm_mode_16_64 3
		.amdhsa_dx10_clamp 1
		.amdhsa_ieee_mode 1
		.amdhsa_fp16_overflow 0
		.amdhsa_workgroup_processor_mode 1
		.amdhsa_memory_ordered 1
		.amdhsa_forward_progress 0
		.amdhsa_shared_vgpr_count 0
		.amdhsa_exception_fp_ieee_invalid_op 0
		.amdhsa_exception_fp_denorm_src 0
		.amdhsa_exception_fp_ieee_div_zero 0
		.amdhsa_exception_fp_ieee_overflow 0
		.amdhsa_exception_fp_ieee_underflow 0
		.amdhsa_exception_fp_ieee_inexact 0
		.amdhsa_exception_int_div_zero 0
	.end_amdhsa_kernel
	.section	.text._ZN7rocprim17ROCPRIM_400000_NS6detail17trampoline_kernelINS0_14default_configENS1_29reduce_by_key_config_selectorIffN6thrust23THRUST_200600_302600_NS4plusIfEEEEZZNS1_33reduce_by_key_impl_wrapped_configILNS1_25lookback_scan_determinismE1ES3_S9_NS6_6detail15normal_iteratorINS6_10device_ptrIfEEEESG_SG_SG_PmS8_22is_equal_div_10_reduceIfEEE10hipError_tPvRmT2_T3_mT4_T5_T6_T7_T8_P12ihipStream_tbENKUlT_T0_E_clISt17integral_constantIbLb0EES11_EEDaSW_SX_EUlSW_E_NS1_11comp_targetILNS1_3genE9ELNS1_11target_archE1100ELNS1_3gpuE3ELNS1_3repE0EEENS1_30default_config_static_selectorELNS0_4arch9wavefront6targetE0EEEvT1_,"axG",@progbits,_ZN7rocprim17ROCPRIM_400000_NS6detail17trampoline_kernelINS0_14default_configENS1_29reduce_by_key_config_selectorIffN6thrust23THRUST_200600_302600_NS4plusIfEEEEZZNS1_33reduce_by_key_impl_wrapped_configILNS1_25lookback_scan_determinismE1ES3_S9_NS6_6detail15normal_iteratorINS6_10device_ptrIfEEEESG_SG_SG_PmS8_22is_equal_div_10_reduceIfEEE10hipError_tPvRmT2_T3_mT4_T5_T6_T7_T8_P12ihipStream_tbENKUlT_T0_E_clISt17integral_constantIbLb0EES11_EEDaSW_SX_EUlSW_E_NS1_11comp_targetILNS1_3genE9ELNS1_11target_archE1100ELNS1_3gpuE3ELNS1_3repE0EEENS1_30default_config_static_selectorELNS0_4arch9wavefront6targetE0EEEvT1_,comdat
.Lfunc_end135:
	.size	_ZN7rocprim17ROCPRIM_400000_NS6detail17trampoline_kernelINS0_14default_configENS1_29reduce_by_key_config_selectorIffN6thrust23THRUST_200600_302600_NS4plusIfEEEEZZNS1_33reduce_by_key_impl_wrapped_configILNS1_25lookback_scan_determinismE1ES3_S9_NS6_6detail15normal_iteratorINS6_10device_ptrIfEEEESG_SG_SG_PmS8_22is_equal_div_10_reduceIfEEE10hipError_tPvRmT2_T3_mT4_T5_T6_T7_T8_P12ihipStream_tbENKUlT_T0_E_clISt17integral_constantIbLb0EES11_EEDaSW_SX_EUlSW_E_NS1_11comp_targetILNS1_3genE9ELNS1_11target_archE1100ELNS1_3gpuE3ELNS1_3repE0EEENS1_30default_config_static_selectorELNS0_4arch9wavefront6targetE0EEEvT1_, .Lfunc_end135-_ZN7rocprim17ROCPRIM_400000_NS6detail17trampoline_kernelINS0_14default_configENS1_29reduce_by_key_config_selectorIffN6thrust23THRUST_200600_302600_NS4plusIfEEEEZZNS1_33reduce_by_key_impl_wrapped_configILNS1_25lookback_scan_determinismE1ES3_S9_NS6_6detail15normal_iteratorINS6_10device_ptrIfEEEESG_SG_SG_PmS8_22is_equal_div_10_reduceIfEEE10hipError_tPvRmT2_T3_mT4_T5_T6_T7_T8_P12ihipStream_tbENKUlT_T0_E_clISt17integral_constantIbLb0EES11_EEDaSW_SX_EUlSW_E_NS1_11comp_targetILNS1_3genE9ELNS1_11target_archE1100ELNS1_3gpuE3ELNS1_3repE0EEENS1_30default_config_static_selectorELNS0_4arch9wavefront6targetE0EEEvT1_
                                        ; -- End function
	.section	.AMDGPU.csdata,"",@progbits
; Kernel info:
; codeLenInByte = 22292
; NumSgprs: 48
; NumVgprs: 85
; ScratchSize: 48
; MemoryBound: 0
; FloatMode: 240
; IeeeMode: 1
; LDSByteSize: 15360 bytes/workgroup (compile time only)
; SGPRBlocks: 5
; VGPRBlocks: 10
; NumSGPRsForWavesPerEU: 48
; NumVGPRsForWavesPerEU: 85
; Occupancy: 16
; WaveLimiterHint : 1
; COMPUTE_PGM_RSRC2:SCRATCH_EN: 1
; COMPUTE_PGM_RSRC2:USER_SGPR: 15
; COMPUTE_PGM_RSRC2:TRAP_HANDLER: 0
; COMPUTE_PGM_RSRC2:TGID_X_EN: 1
; COMPUTE_PGM_RSRC2:TGID_Y_EN: 0
; COMPUTE_PGM_RSRC2:TGID_Z_EN: 0
; COMPUTE_PGM_RSRC2:TIDIG_COMP_CNT: 0
	.section	.text._ZN7rocprim17ROCPRIM_400000_NS6detail17trampoline_kernelINS0_14default_configENS1_29reduce_by_key_config_selectorIffN6thrust23THRUST_200600_302600_NS4plusIfEEEEZZNS1_33reduce_by_key_impl_wrapped_configILNS1_25lookback_scan_determinismE1ES3_S9_NS6_6detail15normal_iteratorINS6_10device_ptrIfEEEESG_SG_SG_PmS8_22is_equal_div_10_reduceIfEEE10hipError_tPvRmT2_T3_mT4_T5_T6_T7_T8_P12ihipStream_tbENKUlT_T0_E_clISt17integral_constantIbLb0EES11_EEDaSW_SX_EUlSW_E_NS1_11comp_targetILNS1_3genE8ELNS1_11target_archE1030ELNS1_3gpuE2ELNS1_3repE0EEENS1_30default_config_static_selectorELNS0_4arch9wavefront6targetE0EEEvT1_,"axG",@progbits,_ZN7rocprim17ROCPRIM_400000_NS6detail17trampoline_kernelINS0_14default_configENS1_29reduce_by_key_config_selectorIffN6thrust23THRUST_200600_302600_NS4plusIfEEEEZZNS1_33reduce_by_key_impl_wrapped_configILNS1_25lookback_scan_determinismE1ES3_S9_NS6_6detail15normal_iteratorINS6_10device_ptrIfEEEESG_SG_SG_PmS8_22is_equal_div_10_reduceIfEEE10hipError_tPvRmT2_T3_mT4_T5_T6_T7_T8_P12ihipStream_tbENKUlT_T0_E_clISt17integral_constantIbLb0EES11_EEDaSW_SX_EUlSW_E_NS1_11comp_targetILNS1_3genE8ELNS1_11target_archE1030ELNS1_3gpuE2ELNS1_3repE0EEENS1_30default_config_static_selectorELNS0_4arch9wavefront6targetE0EEEvT1_,comdat
	.protected	_ZN7rocprim17ROCPRIM_400000_NS6detail17trampoline_kernelINS0_14default_configENS1_29reduce_by_key_config_selectorIffN6thrust23THRUST_200600_302600_NS4plusIfEEEEZZNS1_33reduce_by_key_impl_wrapped_configILNS1_25lookback_scan_determinismE1ES3_S9_NS6_6detail15normal_iteratorINS6_10device_ptrIfEEEESG_SG_SG_PmS8_22is_equal_div_10_reduceIfEEE10hipError_tPvRmT2_T3_mT4_T5_T6_T7_T8_P12ihipStream_tbENKUlT_T0_E_clISt17integral_constantIbLb0EES11_EEDaSW_SX_EUlSW_E_NS1_11comp_targetILNS1_3genE8ELNS1_11target_archE1030ELNS1_3gpuE2ELNS1_3repE0EEENS1_30default_config_static_selectorELNS0_4arch9wavefront6targetE0EEEvT1_ ; -- Begin function _ZN7rocprim17ROCPRIM_400000_NS6detail17trampoline_kernelINS0_14default_configENS1_29reduce_by_key_config_selectorIffN6thrust23THRUST_200600_302600_NS4plusIfEEEEZZNS1_33reduce_by_key_impl_wrapped_configILNS1_25lookback_scan_determinismE1ES3_S9_NS6_6detail15normal_iteratorINS6_10device_ptrIfEEEESG_SG_SG_PmS8_22is_equal_div_10_reduceIfEEE10hipError_tPvRmT2_T3_mT4_T5_T6_T7_T8_P12ihipStream_tbENKUlT_T0_E_clISt17integral_constantIbLb0EES11_EEDaSW_SX_EUlSW_E_NS1_11comp_targetILNS1_3genE8ELNS1_11target_archE1030ELNS1_3gpuE2ELNS1_3repE0EEENS1_30default_config_static_selectorELNS0_4arch9wavefront6targetE0EEEvT1_
	.globl	_ZN7rocprim17ROCPRIM_400000_NS6detail17trampoline_kernelINS0_14default_configENS1_29reduce_by_key_config_selectorIffN6thrust23THRUST_200600_302600_NS4plusIfEEEEZZNS1_33reduce_by_key_impl_wrapped_configILNS1_25lookback_scan_determinismE1ES3_S9_NS6_6detail15normal_iteratorINS6_10device_ptrIfEEEESG_SG_SG_PmS8_22is_equal_div_10_reduceIfEEE10hipError_tPvRmT2_T3_mT4_T5_T6_T7_T8_P12ihipStream_tbENKUlT_T0_E_clISt17integral_constantIbLb0EES11_EEDaSW_SX_EUlSW_E_NS1_11comp_targetILNS1_3genE8ELNS1_11target_archE1030ELNS1_3gpuE2ELNS1_3repE0EEENS1_30default_config_static_selectorELNS0_4arch9wavefront6targetE0EEEvT1_
	.p2align	8
	.type	_ZN7rocprim17ROCPRIM_400000_NS6detail17trampoline_kernelINS0_14default_configENS1_29reduce_by_key_config_selectorIffN6thrust23THRUST_200600_302600_NS4plusIfEEEEZZNS1_33reduce_by_key_impl_wrapped_configILNS1_25lookback_scan_determinismE1ES3_S9_NS6_6detail15normal_iteratorINS6_10device_ptrIfEEEESG_SG_SG_PmS8_22is_equal_div_10_reduceIfEEE10hipError_tPvRmT2_T3_mT4_T5_T6_T7_T8_P12ihipStream_tbENKUlT_T0_E_clISt17integral_constantIbLb0EES11_EEDaSW_SX_EUlSW_E_NS1_11comp_targetILNS1_3genE8ELNS1_11target_archE1030ELNS1_3gpuE2ELNS1_3repE0EEENS1_30default_config_static_selectorELNS0_4arch9wavefront6targetE0EEEvT1_,@function
_ZN7rocprim17ROCPRIM_400000_NS6detail17trampoline_kernelINS0_14default_configENS1_29reduce_by_key_config_selectorIffN6thrust23THRUST_200600_302600_NS4plusIfEEEEZZNS1_33reduce_by_key_impl_wrapped_configILNS1_25lookback_scan_determinismE1ES3_S9_NS6_6detail15normal_iteratorINS6_10device_ptrIfEEEESG_SG_SG_PmS8_22is_equal_div_10_reduceIfEEE10hipError_tPvRmT2_T3_mT4_T5_T6_T7_T8_P12ihipStream_tbENKUlT_T0_E_clISt17integral_constantIbLb0EES11_EEDaSW_SX_EUlSW_E_NS1_11comp_targetILNS1_3genE8ELNS1_11target_archE1030ELNS1_3gpuE2ELNS1_3repE0EEENS1_30default_config_static_selectorELNS0_4arch9wavefront6targetE0EEEvT1_: ; @_ZN7rocprim17ROCPRIM_400000_NS6detail17trampoline_kernelINS0_14default_configENS1_29reduce_by_key_config_selectorIffN6thrust23THRUST_200600_302600_NS4plusIfEEEEZZNS1_33reduce_by_key_impl_wrapped_configILNS1_25lookback_scan_determinismE1ES3_S9_NS6_6detail15normal_iteratorINS6_10device_ptrIfEEEESG_SG_SG_PmS8_22is_equal_div_10_reduceIfEEE10hipError_tPvRmT2_T3_mT4_T5_T6_T7_T8_P12ihipStream_tbENKUlT_T0_E_clISt17integral_constantIbLb0EES11_EEDaSW_SX_EUlSW_E_NS1_11comp_targetILNS1_3genE8ELNS1_11target_archE1030ELNS1_3gpuE2ELNS1_3repE0EEENS1_30default_config_static_selectorELNS0_4arch9wavefront6targetE0EEEvT1_
; %bb.0:
	.section	.rodata,"a",@progbits
	.p2align	6, 0x0
	.amdhsa_kernel _ZN7rocprim17ROCPRIM_400000_NS6detail17trampoline_kernelINS0_14default_configENS1_29reduce_by_key_config_selectorIffN6thrust23THRUST_200600_302600_NS4plusIfEEEEZZNS1_33reduce_by_key_impl_wrapped_configILNS1_25lookback_scan_determinismE1ES3_S9_NS6_6detail15normal_iteratorINS6_10device_ptrIfEEEESG_SG_SG_PmS8_22is_equal_div_10_reduceIfEEE10hipError_tPvRmT2_T3_mT4_T5_T6_T7_T8_P12ihipStream_tbENKUlT_T0_E_clISt17integral_constantIbLb0EES11_EEDaSW_SX_EUlSW_E_NS1_11comp_targetILNS1_3genE8ELNS1_11target_archE1030ELNS1_3gpuE2ELNS1_3repE0EEENS1_30default_config_static_selectorELNS0_4arch9wavefront6targetE0EEEvT1_
		.amdhsa_group_segment_fixed_size 0
		.amdhsa_private_segment_fixed_size 0
		.amdhsa_kernarg_size 120
		.amdhsa_user_sgpr_count 15
		.amdhsa_user_sgpr_dispatch_ptr 0
		.amdhsa_user_sgpr_queue_ptr 0
		.amdhsa_user_sgpr_kernarg_segment_ptr 1
		.amdhsa_user_sgpr_dispatch_id 0
		.amdhsa_user_sgpr_private_segment_size 0
		.amdhsa_wavefront_size32 1
		.amdhsa_uses_dynamic_stack 0
		.amdhsa_enable_private_segment 0
		.amdhsa_system_sgpr_workgroup_id_x 1
		.amdhsa_system_sgpr_workgroup_id_y 0
		.amdhsa_system_sgpr_workgroup_id_z 0
		.amdhsa_system_sgpr_workgroup_info 0
		.amdhsa_system_vgpr_workitem_id 0
		.amdhsa_next_free_vgpr 1
		.amdhsa_next_free_sgpr 1
		.amdhsa_reserve_vcc 0
		.amdhsa_float_round_mode_32 0
		.amdhsa_float_round_mode_16_64 0
		.amdhsa_float_denorm_mode_32 3
		.amdhsa_float_denorm_mode_16_64 3
		.amdhsa_dx10_clamp 1
		.amdhsa_ieee_mode 1
		.amdhsa_fp16_overflow 0
		.amdhsa_workgroup_processor_mode 1
		.amdhsa_memory_ordered 1
		.amdhsa_forward_progress 0
		.amdhsa_shared_vgpr_count 0
		.amdhsa_exception_fp_ieee_invalid_op 0
		.amdhsa_exception_fp_denorm_src 0
		.amdhsa_exception_fp_ieee_div_zero 0
		.amdhsa_exception_fp_ieee_overflow 0
		.amdhsa_exception_fp_ieee_underflow 0
		.amdhsa_exception_fp_ieee_inexact 0
		.amdhsa_exception_int_div_zero 0
	.end_amdhsa_kernel
	.section	.text._ZN7rocprim17ROCPRIM_400000_NS6detail17trampoline_kernelINS0_14default_configENS1_29reduce_by_key_config_selectorIffN6thrust23THRUST_200600_302600_NS4plusIfEEEEZZNS1_33reduce_by_key_impl_wrapped_configILNS1_25lookback_scan_determinismE1ES3_S9_NS6_6detail15normal_iteratorINS6_10device_ptrIfEEEESG_SG_SG_PmS8_22is_equal_div_10_reduceIfEEE10hipError_tPvRmT2_T3_mT4_T5_T6_T7_T8_P12ihipStream_tbENKUlT_T0_E_clISt17integral_constantIbLb0EES11_EEDaSW_SX_EUlSW_E_NS1_11comp_targetILNS1_3genE8ELNS1_11target_archE1030ELNS1_3gpuE2ELNS1_3repE0EEENS1_30default_config_static_selectorELNS0_4arch9wavefront6targetE0EEEvT1_,"axG",@progbits,_ZN7rocprim17ROCPRIM_400000_NS6detail17trampoline_kernelINS0_14default_configENS1_29reduce_by_key_config_selectorIffN6thrust23THRUST_200600_302600_NS4plusIfEEEEZZNS1_33reduce_by_key_impl_wrapped_configILNS1_25lookback_scan_determinismE1ES3_S9_NS6_6detail15normal_iteratorINS6_10device_ptrIfEEEESG_SG_SG_PmS8_22is_equal_div_10_reduceIfEEE10hipError_tPvRmT2_T3_mT4_T5_T6_T7_T8_P12ihipStream_tbENKUlT_T0_E_clISt17integral_constantIbLb0EES11_EEDaSW_SX_EUlSW_E_NS1_11comp_targetILNS1_3genE8ELNS1_11target_archE1030ELNS1_3gpuE2ELNS1_3repE0EEENS1_30default_config_static_selectorELNS0_4arch9wavefront6targetE0EEEvT1_,comdat
.Lfunc_end136:
	.size	_ZN7rocprim17ROCPRIM_400000_NS6detail17trampoline_kernelINS0_14default_configENS1_29reduce_by_key_config_selectorIffN6thrust23THRUST_200600_302600_NS4plusIfEEEEZZNS1_33reduce_by_key_impl_wrapped_configILNS1_25lookback_scan_determinismE1ES3_S9_NS6_6detail15normal_iteratorINS6_10device_ptrIfEEEESG_SG_SG_PmS8_22is_equal_div_10_reduceIfEEE10hipError_tPvRmT2_T3_mT4_T5_T6_T7_T8_P12ihipStream_tbENKUlT_T0_E_clISt17integral_constantIbLb0EES11_EEDaSW_SX_EUlSW_E_NS1_11comp_targetILNS1_3genE8ELNS1_11target_archE1030ELNS1_3gpuE2ELNS1_3repE0EEENS1_30default_config_static_selectorELNS0_4arch9wavefront6targetE0EEEvT1_, .Lfunc_end136-_ZN7rocprim17ROCPRIM_400000_NS6detail17trampoline_kernelINS0_14default_configENS1_29reduce_by_key_config_selectorIffN6thrust23THRUST_200600_302600_NS4plusIfEEEEZZNS1_33reduce_by_key_impl_wrapped_configILNS1_25lookback_scan_determinismE1ES3_S9_NS6_6detail15normal_iteratorINS6_10device_ptrIfEEEESG_SG_SG_PmS8_22is_equal_div_10_reduceIfEEE10hipError_tPvRmT2_T3_mT4_T5_T6_T7_T8_P12ihipStream_tbENKUlT_T0_E_clISt17integral_constantIbLb0EES11_EEDaSW_SX_EUlSW_E_NS1_11comp_targetILNS1_3genE8ELNS1_11target_archE1030ELNS1_3gpuE2ELNS1_3repE0EEENS1_30default_config_static_selectorELNS0_4arch9wavefront6targetE0EEEvT1_
                                        ; -- End function
	.section	.AMDGPU.csdata,"",@progbits
; Kernel info:
; codeLenInByte = 0
; NumSgprs: 0
; NumVgprs: 0
; ScratchSize: 0
; MemoryBound: 0
; FloatMode: 240
; IeeeMode: 1
; LDSByteSize: 0 bytes/workgroup (compile time only)
; SGPRBlocks: 0
; VGPRBlocks: 0
; NumSGPRsForWavesPerEU: 1
; NumVGPRsForWavesPerEU: 1
; Occupancy: 16
; WaveLimiterHint : 0
; COMPUTE_PGM_RSRC2:SCRATCH_EN: 0
; COMPUTE_PGM_RSRC2:USER_SGPR: 15
; COMPUTE_PGM_RSRC2:TRAP_HANDLER: 0
; COMPUTE_PGM_RSRC2:TGID_X_EN: 1
; COMPUTE_PGM_RSRC2:TGID_Y_EN: 0
; COMPUTE_PGM_RSRC2:TGID_Z_EN: 0
; COMPUTE_PGM_RSRC2:TIDIG_COMP_CNT: 0
	.section	.text._ZN7rocprim17ROCPRIM_400000_NS6detail17trampoline_kernelINS0_14default_configENS1_29reduce_by_key_config_selectorIffN6thrust23THRUST_200600_302600_NS4plusIfEEEEZZNS1_33reduce_by_key_impl_wrapped_configILNS1_25lookback_scan_determinismE1ES3_S9_NS6_6detail15normal_iteratorINS6_10device_ptrIfEEEESG_SG_SG_PmS8_22is_equal_div_10_reduceIfEEE10hipError_tPvRmT2_T3_mT4_T5_T6_T7_T8_P12ihipStream_tbENKUlT_T0_E_clISt17integral_constantIbLb1EES11_EEDaSW_SX_EUlSW_E_NS1_11comp_targetILNS1_3genE0ELNS1_11target_archE4294967295ELNS1_3gpuE0ELNS1_3repE0EEENS1_30default_config_static_selectorELNS0_4arch9wavefront6targetE0EEEvT1_,"axG",@progbits,_ZN7rocprim17ROCPRIM_400000_NS6detail17trampoline_kernelINS0_14default_configENS1_29reduce_by_key_config_selectorIffN6thrust23THRUST_200600_302600_NS4plusIfEEEEZZNS1_33reduce_by_key_impl_wrapped_configILNS1_25lookback_scan_determinismE1ES3_S9_NS6_6detail15normal_iteratorINS6_10device_ptrIfEEEESG_SG_SG_PmS8_22is_equal_div_10_reduceIfEEE10hipError_tPvRmT2_T3_mT4_T5_T6_T7_T8_P12ihipStream_tbENKUlT_T0_E_clISt17integral_constantIbLb1EES11_EEDaSW_SX_EUlSW_E_NS1_11comp_targetILNS1_3genE0ELNS1_11target_archE4294967295ELNS1_3gpuE0ELNS1_3repE0EEENS1_30default_config_static_selectorELNS0_4arch9wavefront6targetE0EEEvT1_,comdat
	.protected	_ZN7rocprim17ROCPRIM_400000_NS6detail17trampoline_kernelINS0_14default_configENS1_29reduce_by_key_config_selectorIffN6thrust23THRUST_200600_302600_NS4plusIfEEEEZZNS1_33reduce_by_key_impl_wrapped_configILNS1_25lookback_scan_determinismE1ES3_S9_NS6_6detail15normal_iteratorINS6_10device_ptrIfEEEESG_SG_SG_PmS8_22is_equal_div_10_reduceIfEEE10hipError_tPvRmT2_T3_mT4_T5_T6_T7_T8_P12ihipStream_tbENKUlT_T0_E_clISt17integral_constantIbLb1EES11_EEDaSW_SX_EUlSW_E_NS1_11comp_targetILNS1_3genE0ELNS1_11target_archE4294967295ELNS1_3gpuE0ELNS1_3repE0EEENS1_30default_config_static_selectorELNS0_4arch9wavefront6targetE0EEEvT1_ ; -- Begin function _ZN7rocprim17ROCPRIM_400000_NS6detail17trampoline_kernelINS0_14default_configENS1_29reduce_by_key_config_selectorIffN6thrust23THRUST_200600_302600_NS4plusIfEEEEZZNS1_33reduce_by_key_impl_wrapped_configILNS1_25lookback_scan_determinismE1ES3_S9_NS6_6detail15normal_iteratorINS6_10device_ptrIfEEEESG_SG_SG_PmS8_22is_equal_div_10_reduceIfEEE10hipError_tPvRmT2_T3_mT4_T5_T6_T7_T8_P12ihipStream_tbENKUlT_T0_E_clISt17integral_constantIbLb1EES11_EEDaSW_SX_EUlSW_E_NS1_11comp_targetILNS1_3genE0ELNS1_11target_archE4294967295ELNS1_3gpuE0ELNS1_3repE0EEENS1_30default_config_static_selectorELNS0_4arch9wavefront6targetE0EEEvT1_
	.globl	_ZN7rocprim17ROCPRIM_400000_NS6detail17trampoline_kernelINS0_14default_configENS1_29reduce_by_key_config_selectorIffN6thrust23THRUST_200600_302600_NS4plusIfEEEEZZNS1_33reduce_by_key_impl_wrapped_configILNS1_25lookback_scan_determinismE1ES3_S9_NS6_6detail15normal_iteratorINS6_10device_ptrIfEEEESG_SG_SG_PmS8_22is_equal_div_10_reduceIfEEE10hipError_tPvRmT2_T3_mT4_T5_T6_T7_T8_P12ihipStream_tbENKUlT_T0_E_clISt17integral_constantIbLb1EES11_EEDaSW_SX_EUlSW_E_NS1_11comp_targetILNS1_3genE0ELNS1_11target_archE4294967295ELNS1_3gpuE0ELNS1_3repE0EEENS1_30default_config_static_selectorELNS0_4arch9wavefront6targetE0EEEvT1_
	.p2align	8
	.type	_ZN7rocprim17ROCPRIM_400000_NS6detail17trampoline_kernelINS0_14default_configENS1_29reduce_by_key_config_selectorIffN6thrust23THRUST_200600_302600_NS4plusIfEEEEZZNS1_33reduce_by_key_impl_wrapped_configILNS1_25lookback_scan_determinismE1ES3_S9_NS6_6detail15normal_iteratorINS6_10device_ptrIfEEEESG_SG_SG_PmS8_22is_equal_div_10_reduceIfEEE10hipError_tPvRmT2_T3_mT4_T5_T6_T7_T8_P12ihipStream_tbENKUlT_T0_E_clISt17integral_constantIbLb1EES11_EEDaSW_SX_EUlSW_E_NS1_11comp_targetILNS1_3genE0ELNS1_11target_archE4294967295ELNS1_3gpuE0ELNS1_3repE0EEENS1_30default_config_static_selectorELNS0_4arch9wavefront6targetE0EEEvT1_,@function
_ZN7rocprim17ROCPRIM_400000_NS6detail17trampoline_kernelINS0_14default_configENS1_29reduce_by_key_config_selectorIffN6thrust23THRUST_200600_302600_NS4plusIfEEEEZZNS1_33reduce_by_key_impl_wrapped_configILNS1_25lookback_scan_determinismE1ES3_S9_NS6_6detail15normal_iteratorINS6_10device_ptrIfEEEESG_SG_SG_PmS8_22is_equal_div_10_reduceIfEEE10hipError_tPvRmT2_T3_mT4_T5_T6_T7_T8_P12ihipStream_tbENKUlT_T0_E_clISt17integral_constantIbLb1EES11_EEDaSW_SX_EUlSW_E_NS1_11comp_targetILNS1_3genE0ELNS1_11target_archE4294967295ELNS1_3gpuE0ELNS1_3repE0EEENS1_30default_config_static_selectorELNS0_4arch9wavefront6targetE0EEEvT1_: ; @_ZN7rocprim17ROCPRIM_400000_NS6detail17trampoline_kernelINS0_14default_configENS1_29reduce_by_key_config_selectorIffN6thrust23THRUST_200600_302600_NS4plusIfEEEEZZNS1_33reduce_by_key_impl_wrapped_configILNS1_25lookback_scan_determinismE1ES3_S9_NS6_6detail15normal_iteratorINS6_10device_ptrIfEEEESG_SG_SG_PmS8_22is_equal_div_10_reduceIfEEE10hipError_tPvRmT2_T3_mT4_T5_T6_T7_T8_P12ihipStream_tbENKUlT_T0_E_clISt17integral_constantIbLb1EES11_EEDaSW_SX_EUlSW_E_NS1_11comp_targetILNS1_3genE0ELNS1_11target_archE4294967295ELNS1_3gpuE0ELNS1_3repE0EEENS1_30default_config_static_selectorELNS0_4arch9wavefront6targetE0EEEvT1_
; %bb.0:
	.section	.rodata,"a",@progbits
	.p2align	6, 0x0
	.amdhsa_kernel _ZN7rocprim17ROCPRIM_400000_NS6detail17trampoline_kernelINS0_14default_configENS1_29reduce_by_key_config_selectorIffN6thrust23THRUST_200600_302600_NS4plusIfEEEEZZNS1_33reduce_by_key_impl_wrapped_configILNS1_25lookback_scan_determinismE1ES3_S9_NS6_6detail15normal_iteratorINS6_10device_ptrIfEEEESG_SG_SG_PmS8_22is_equal_div_10_reduceIfEEE10hipError_tPvRmT2_T3_mT4_T5_T6_T7_T8_P12ihipStream_tbENKUlT_T0_E_clISt17integral_constantIbLb1EES11_EEDaSW_SX_EUlSW_E_NS1_11comp_targetILNS1_3genE0ELNS1_11target_archE4294967295ELNS1_3gpuE0ELNS1_3repE0EEENS1_30default_config_static_selectorELNS0_4arch9wavefront6targetE0EEEvT1_
		.amdhsa_group_segment_fixed_size 0
		.amdhsa_private_segment_fixed_size 0
		.amdhsa_kernarg_size 120
		.amdhsa_user_sgpr_count 15
		.amdhsa_user_sgpr_dispatch_ptr 0
		.amdhsa_user_sgpr_queue_ptr 0
		.amdhsa_user_sgpr_kernarg_segment_ptr 1
		.amdhsa_user_sgpr_dispatch_id 0
		.amdhsa_user_sgpr_private_segment_size 0
		.amdhsa_wavefront_size32 1
		.amdhsa_uses_dynamic_stack 0
		.amdhsa_enable_private_segment 0
		.amdhsa_system_sgpr_workgroup_id_x 1
		.amdhsa_system_sgpr_workgroup_id_y 0
		.amdhsa_system_sgpr_workgroup_id_z 0
		.amdhsa_system_sgpr_workgroup_info 0
		.amdhsa_system_vgpr_workitem_id 0
		.amdhsa_next_free_vgpr 1
		.amdhsa_next_free_sgpr 1
		.amdhsa_reserve_vcc 0
		.amdhsa_float_round_mode_32 0
		.amdhsa_float_round_mode_16_64 0
		.amdhsa_float_denorm_mode_32 3
		.amdhsa_float_denorm_mode_16_64 3
		.amdhsa_dx10_clamp 1
		.amdhsa_ieee_mode 1
		.amdhsa_fp16_overflow 0
		.amdhsa_workgroup_processor_mode 1
		.amdhsa_memory_ordered 1
		.amdhsa_forward_progress 0
		.amdhsa_shared_vgpr_count 0
		.amdhsa_exception_fp_ieee_invalid_op 0
		.amdhsa_exception_fp_denorm_src 0
		.amdhsa_exception_fp_ieee_div_zero 0
		.amdhsa_exception_fp_ieee_overflow 0
		.amdhsa_exception_fp_ieee_underflow 0
		.amdhsa_exception_fp_ieee_inexact 0
		.amdhsa_exception_int_div_zero 0
	.end_amdhsa_kernel
	.section	.text._ZN7rocprim17ROCPRIM_400000_NS6detail17trampoline_kernelINS0_14default_configENS1_29reduce_by_key_config_selectorIffN6thrust23THRUST_200600_302600_NS4plusIfEEEEZZNS1_33reduce_by_key_impl_wrapped_configILNS1_25lookback_scan_determinismE1ES3_S9_NS6_6detail15normal_iteratorINS6_10device_ptrIfEEEESG_SG_SG_PmS8_22is_equal_div_10_reduceIfEEE10hipError_tPvRmT2_T3_mT4_T5_T6_T7_T8_P12ihipStream_tbENKUlT_T0_E_clISt17integral_constantIbLb1EES11_EEDaSW_SX_EUlSW_E_NS1_11comp_targetILNS1_3genE0ELNS1_11target_archE4294967295ELNS1_3gpuE0ELNS1_3repE0EEENS1_30default_config_static_selectorELNS0_4arch9wavefront6targetE0EEEvT1_,"axG",@progbits,_ZN7rocprim17ROCPRIM_400000_NS6detail17trampoline_kernelINS0_14default_configENS1_29reduce_by_key_config_selectorIffN6thrust23THRUST_200600_302600_NS4plusIfEEEEZZNS1_33reduce_by_key_impl_wrapped_configILNS1_25lookback_scan_determinismE1ES3_S9_NS6_6detail15normal_iteratorINS6_10device_ptrIfEEEESG_SG_SG_PmS8_22is_equal_div_10_reduceIfEEE10hipError_tPvRmT2_T3_mT4_T5_T6_T7_T8_P12ihipStream_tbENKUlT_T0_E_clISt17integral_constantIbLb1EES11_EEDaSW_SX_EUlSW_E_NS1_11comp_targetILNS1_3genE0ELNS1_11target_archE4294967295ELNS1_3gpuE0ELNS1_3repE0EEENS1_30default_config_static_selectorELNS0_4arch9wavefront6targetE0EEEvT1_,comdat
.Lfunc_end137:
	.size	_ZN7rocprim17ROCPRIM_400000_NS6detail17trampoline_kernelINS0_14default_configENS1_29reduce_by_key_config_selectorIffN6thrust23THRUST_200600_302600_NS4plusIfEEEEZZNS1_33reduce_by_key_impl_wrapped_configILNS1_25lookback_scan_determinismE1ES3_S9_NS6_6detail15normal_iteratorINS6_10device_ptrIfEEEESG_SG_SG_PmS8_22is_equal_div_10_reduceIfEEE10hipError_tPvRmT2_T3_mT4_T5_T6_T7_T8_P12ihipStream_tbENKUlT_T0_E_clISt17integral_constantIbLb1EES11_EEDaSW_SX_EUlSW_E_NS1_11comp_targetILNS1_3genE0ELNS1_11target_archE4294967295ELNS1_3gpuE0ELNS1_3repE0EEENS1_30default_config_static_selectorELNS0_4arch9wavefront6targetE0EEEvT1_, .Lfunc_end137-_ZN7rocprim17ROCPRIM_400000_NS6detail17trampoline_kernelINS0_14default_configENS1_29reduce_by_key_config_selectorIffN6thrust23THRUST_200600_302600_NS4plusIfEEEEZZNS1_33reduce_by_key_impl_wrapped_configILNS1_25lookback_scan_determinismE1ES3_S9_NS6_6detail15normal_iteratorINS6_10device_ptrIfEEEESG_SG_SG_PmS8_22is_equal_div_10_reduceIfEEE10hipError_tPvRmT2_T3_mT4_T5_T6_T7_T8_P12ihipStream_tbENKUlT_T0_E_clISt17integral_constantIbLb1EES11_EEDaSW_SX_EUlSW_E_NS1_11comp_targetILNS1_3genE0ELNS1_11target_archE4294967295ELNS1_3gpuE0ELNS1_3repE0EEENS1_30default_config_static_selectorELNS0_4arch9wavefront6targetE0EEEvT1_
                                        ; -- End function
	.section	.AMDGPU.csdata,"",@progbits
; Kernel info:
; codeLenInByte = 0
; NumSgprs: 0
; NumVgprs: 0
; ScratchSize: 0
; MemoryBound: 0
; FloatMode: 240
; IeeeMode: 1
; LDSByteSize: 0 bytes/workgroup (compile time only)
; SGPRBlocks: 0
; VGPRBlocks: 0
; NumSGPRsForWavesPerEU: 1
; NumVGPRsForWavesPerEU: 1
; Occupancy: 16
; WaveLimiterHint : 0
; COMPUTE_PGM_RSRC2:SCRATCH_EN: 0
; COMPUTE_PGM_RSRC2:USER_SGPR: 15
; COMPUTE_PGM_RSRC2:TRAP_HANDLER: 0
; COMPUTE_PGM_RSRC2:TGID_X_EN: 1
; COMPUTE_PGM_RSRC2:TGID_Y_EN: 0
; COMPUTE_PGM_RSRC2:TGID_Z_EN: 0
; COMPUTE_PGM_RSRC2:TIDIG_COMP_CNT: 0
	.section	.text._ZN7rocprim17ROCPRIM_400000_NS6detail17trampoline_kernelINS0_14default_configENS1_29reduce_by_key_config_selectorIffN6thrust23THRUST_200600_302600_NS4plusIfEEEEZZNS1_33reduce_by_key_impl_wrapped_configILNS1_25lookback_scan_determinismE1ES3_S9_NS6_6detail15normal_iteratorINS6_10device_ptrIfEEEESG_SG_SG_PmS8_22is_equal_div_10_reduceIfEEE10hipError_tPvRmT2_T3_mT4_T5_T6_T7_T8_P12ihipStream_tbENKUlT_T0_E_clISt17integral_constantIbLb1EES11_EEDaSW_SX_EUlSW_E_NS1_11comp_targetILNS1_3genE5ELNS1_11target_archE942ELNS1_3gpuE9ELNS1_3repE0EEENS1_30default_config_static_selectorELNS0_4arch9wavefront6targetE0EEEvT1_,"axG",@progbits,_ZN7rocprim17ROCPRIM_400000_NS6detail17trampoline_kernelINS0_14default_configENS1_29reduce_by_key_config_selectorIffN6thrust23THRUST_200600_302600_NS4plusIfEEEEZZNS1_33reduce_by_key_impl_wrapped_configILNS1_25lookback_scan_determinismE1ES3_S9_NS6_6detail15normal_iteratorINS6_10device_ptrIfEEEESG_SG_SG_PmS8_22is_equal_div_10_reduceIfEEE10hipError_tPvRmT2_T3_mT4_T5_T6_T7_T8_P12ihipStream_tbENKUlT_T0_E_clISt17integral_constantIbLb1EES11_EEDaSW_SX_EUlSW_E_NS1_11comp_targetILNS1_3genE5ELNS1_11target_archE942ELNS1_3gpuE9ELNS1_3repE0EEENS1_30default_config_static_selectorELNS0_4arch9wavefront6targetE0EEEvT1_,comdat
	.protected	_ZN7rocprim17ROCPRIM_400000_NS6detail17trampoline_kernelINS0_14default_configENS1_29reduce_by_key_config_selectorIffN6thrust23THRUST_200600_302600_NS4plusIfEEEEZZNS1_33reduce_by_key_impl_wrapped_configILNS1_25lookback_scan_determinismE1ES3_S9_NS6_6detail15normal_iteratorINS6_10device_ptrIfEEEESG_SG_SG_PmS8_22is_equal_div_10_reduceIfEEE10hipError_tPvRmT2_T3_mT4_T5_T6_T7_T8_P12ihipStream_tbENKUlT_T0_E_clISt17integral_constantIbLb1EES11_EEDaSW_SX_EUlSW_E_NS1_11comp_targetILNS1_3genE5ELNS1_11target_archE942ELNS1_3gpuE9ELNS1_3repE0EEENS1_30default_config_static_selectorELNS0_4arch9wavefront6targetE0EEEvT1_ ; -- Begin function _ZN7rocprim17ROCPRIM_400000_NS6detail17trampoline_kernelINS0_14default_configENS1_29reduce_by_key_config_selectorIffN6thrust23THRUST_200600_302600_NS4plusIfEEEEZZNS1_33reduce_by_key_impl_wrapped_configILNS1_25lookback_scan_determinismE1ES3_S9_NS6_6detail15normal_iteratorINS6_10device_ptrIfEEEESG_SG_SG_PmS8_22is_equal_div_10_reduceIfEEE10hipError_tPvRmT2_T3_mT4_T5_T6_T7_T8_P12ihipStream_tbENKUlT_T0_E_clISt17integral_constantIbLb1EES11_EEDaSW_SX_EUlSW_E_NS1_11comp_targetILNS1_3genE5ELNS1_11target_archE942ELNS1_3gpuE9ELNS1_3repE0EEENS1_30default_config_static_selectorELNS0_4arch9wavefront6targetE0EEEvT1_
	.globl	_ZN7rocprim17ROCPRIM_400000_NS6detail17trampoline_kernelINS0_14default_configENS1_29reduce_by_key_config_selectorIffN6thrust23THRUST_200600_302600_NS4plusIfEEEEZZNS1_33reduce_by_key_impl_wrapped_configILNS1_25lookback_scan_determinismE1ES3_S9_NS6_6detail15normal_iteratorINS6_10device_ptrIfEEEESG_SG_SG_PmS8_22is_equal_div_10_reduceIfEEE10hipError_tPvRmT2_T3_mT4_T5_T6_T7_T8_P12ihipStream_tbENKUlT_T0_E_clISt17integral_constantIbLb1EES11_EEDaSW_SX_EUlSW_E_NS1_11comp_targetILNS1_3genE5ELNS1_11target_archE942ELNS1_3gpuE9ELNS1_3repE0EEENS1_30default_config_static_selectorELNS0_4arch9wavefront6targetE0EEEvT1_
	.p2align	8
	.type	_ZN7rocprim17ROCPRIM_400000_NS6detail17trampoline_kernelINS0_14default_configENS1_29reduce_by_key_config_selectorIffN6thrust23THRUST_200600_302600_NS4plusIfEEEEZZNS1_33reduce_by_key_impl_wrapped_configILNS1_25lookback_scan_determinismE1ES3_S9_NS6_6detail15normal_iteratorINS6_10device_ptrIfEEEESG_SG_SG_PmS8_22is_equal_div_10_reduceIfEEE10hipError_tPvRmT2_T3_mT4_T5_T6_T7_T8_P12ihipStream_tbENKUlT_T0_E_clISt17integral_constantIbLb1EES11_EEDaSW_SX_EUlSW_E_NS1_11comp_targetILNS1_3genE5ELNS1_11target_archE942ELNS1_3gpuE9ELNS1_3repE0EEENS1_30default_config_static_selectorELNS0_4arch9wavefront6targetE0EEEvT1_,@function
_ZN7rocprim17ROCPRIM_400000_NS6detail17trampoline_kernelINS0_14default_configENS1_29reduce_by_key_config_selectorIffN6thrust23THRUST_200600_302600_NS4plusIfEEEEZZNS1_33reduce_by_key_impl_wrapped_configILNS1_25lookback_scan_determinismE1ES3_S9_NS6_6detail15normal_iteratorINS6_10device_ptrIfEEEESG_SG_SG_PmS8_22is_equal_div_10_reduceIfEEE10hipError_tPvRmT2_T3_mT4_T5_T6_T7_T8_P12ihipStream_tbENKUlT_T0_E_clISt17integral_constantIbLb1EES11_EEDaSW_SX_EUlSW_E_NS1_11comp_targetILNS1_3genE5ELNS1_11target_archE942ELNS1_3gpuE9ELNS1_3repE0EEENS1_30default_config_static_selectorELNS0_4arch9wavefront6targetE0EEEvT1_: ; @_ZN7rocprim17ROCPRIM_400000_NS6detail17trampoline_kernelINS0_14default_configENS1_29reduce_by_key_config_selectorIffN6thrust23THRUST_200600_302600_NS4plusIfEEEEZZNS1_33reduce_by_key_impl_wrapped_configILNS1_25lookback_scan_determinismE1ES3_S9_NS6_6detail15normal_iteratorINS6_10device_ptrIfEEEESG_SG_SG_PmS8_22is_equal_div_10_reduceIfEEE10hipError_tPvRmT2_T3_mT4_T5_T6_T7_T8_P12ihipStream_tbENKUlT_T0_E_clISt17integral_constantIbLb1EES11_EEDaSW_SX_EUlSW_E_NS1_11comp_targetILNS1_3genE5ELNS1_11target_archE942ELNS1_3gpuE9ELNS1_3repE0EEENS1_30default_config_static_selectorELNS0_4arch9wavefront6targetE0EEEvT1_
; %bb.0:
	.section	.rodata,"a",@progbits
	.p2align	6, 0x0
	.amdhsa_kernel _ZN7rocprim17ROCPRIM_400000_NS6detail17trampoline_kernelINS0_14default_configENS1_29reduce_by_key_config_selectorIffN6thrust23THRUST_200600_302600_NS4plusIfEEEEZZNS1_33reduce_by_key_impl_wrapped_configILNS1_25lookback_scan_determinismE1ES3_S9_NS6_6detail15normal_iteratorINS6_10device_ptrIfEEEESG_SG_SG_PmS8_22is_equal_div_10_reduceIfEEE10hipError_tPvRmT2_T3_mT4_T5_T6_T7_T8_P12ihipStream_tbENKUlT_T0_E_clISt17integral_constantIbLb1EES11_EEDaSW_SX_EUlSW_E_NS1_11comp_targetILNS1_3genE5ELNS1_11target_archE942ELNS1_3gpuE9ELNS1_3repE0EEENS1_30default_config_static_selectorELNS0_4arch9wavefront6targetE0EEEvT1_
		.amdhsa_group_segment_fixed_size 0
		.amdhsa_private_segment_fixed_size 0
		.amdhsa_kernarg_size 120
		.amdhsa_user_sgpr_count 15
		.amdhsa_user_sgpr_dispatch_ptr 0
		.amdhsa_user_sgpr_queue_ptr 0
		.amdhsa_user_sgpr_kernarg_segment_ptr 1
		.amdhsa_user_sgpr_dispatch_id 0
		.amdhsa_user_sgpr_private_segment_size 0
		.amdhsa_wavefront_size32 1
		.amdhsa_uses_dynamic_stack 0
		.amdhsa_enable_private_segment 0
		.amdhsa_system_sgpr_workgroup_id_x 1
		.amdhsa_system_sgpr_workgroup_id_y 0
		.amdhsa_system_sgpr_workgroup_id_z 0
		.amdhsa_system_sgpr_workgroup_info 0
		.amdhsa_system_vgpr_workitem_id 0
		.amdhsa_next_free_vgpr 1
		.amdhsa_next_free_sgpr 1
		.amdhsa_reserve_vcc 0
		.amdhsa_float_round_mode_32 0
		.amdhsa_float_round_mode_16_64 0
		.amdhsa_float_denorm_mode_32 3
		.amdhsa_float_denorm_mode_16_64 3
		.amdhsa_dx10_clamp 1
		.amdhsa_ieee_mode 1
		.amdhsa_fp16_overflow 0
		.amdhsa_workgroup_processor_mode 1
		.amdhsa_memory_ordered 1
		.amdhsa_forward_progress 0
		.amdhsa_shared_vgpr_count 0
		.amdhsa_exception_fp_ieee_invalid_op 0
		.amdhsa_exception_fp_denorm_src 0
		.amdhsa_exception_fp_ieee_div_zero 0
		.amdhsa_exception_fp_ieee_overflow 0
		.amdhsa_exception_fp_ieee_underflow 0
		.amdhsa_exception_fp_ieee_inexact 0
		.amdhsa_exception_int_div_zero 0
	.end_amdhsa_kernel
	.section	.text._ZN7rocprim17ROCPRIM_400000_NS6detail17trampoline_kernelINS0_14default_configENS1_29reduce_by_key_config_selectorIffN6thrust23THRUST_200600_302600_NS4plusIfEEEEZZNS1_33reduce_by_key_impl_wrapped_configILNS1_25lookback_scan_determinismE1ES3_S9_NS6_6detail15normal_iteratorINS6_10device_ptrIfEEEESG_SG_SG_PmS8_22is_equal_div_10_reduceIfEEE10hipError_tPvRmT2_T3_mT4_T5_T6_T7_T8_P12ihipStream_tbENKUlT_T0_E_clISt17integral_constantIbLb1EES11_EEDaSW_SX_EUlSW_E_NS1_11comp_targetILNS1_3genE5ELNS1_11target_archE942ELNS1_3gpuE9ELNS1_3repE0EEENS1_30default_config_static_selectorELNS0_4arch9wavefront6targetE0EEEvT1_,"axG",@progbits,_ZN7rocprim17ROCPRIM_400000_NS6detail17trampoline_kernelINS0_14default_configENS1_29reduce_by_key_config_selectorIffN6thrust23THRUST_200600_302600_NS4plusIfEEEEZZNS1_33reduce_by_key_impl_wrapped_configILNS1_25lookback_scan_determinismE1ES3_S9_NS6_6detail15normal_iteratorINS6_10device_ptrIfEEEESG_SG_SG_PmS8_22is_equal_div_10_reduceIfEEE10hipError_tPvRmT2_T3_mT4_T5_T6_T7_T8_P12ihipStream_tbENKUlT_T0_E_clISt17integral_constantIbLb1EES11_EEDaSW_SX_EUlSW_E_NS1_11comp_targetILNS1_3genE5ELNS1_11target_archE942ELNS1_3gpuE9ELNS1_3repE0EEENS1_30default_config_static_selectorELNS0_4arch9wavefront6targetE0EEEvT1_,comdat
.Lfunc_end138:
	.size	_ZN7rocprim17ROCPRIM_400000_NS6detail17trampoline_kernelINS0_14default_configENS1_29reduce_by_key_config_selectorIffN6thrust23THRUST_200600_302600_NS4plusIfEEEEZZNS1_33reduce_by_key_impl_wrapped_configILNS1_25lookback_scan_determinismE1ES3_S9_NS6_6detail15normal_iteratorINS6_10device_ptrIfEEEESG_SG_SG_PmS8_22is_equal_div_10_reduceIfEEE10hipError_tPvRmT2_T3_mT4_T5_T6_T7_T8_P12ihipStream_tbENKUlT_T0_E_clISt17integral_constantIbLb1EES11_EEDaSW_SX_EUlSW_E_NS1_11comp_targetILNS1_3genE5ELNS1_11target_archE942ELNS1_3gpuE9ELNS1_3repE0EEENS1_30default_config_static_selectorELNS0_4arch9wavefront6targetE0EEEvT1_, .Lfunc_end138-_ZN7rocprim17ROCPRIM_400000_NS6detail17trampoline_kernelINS0_14default_configENS1_29reduce_by_key_config_selectorIffN6thrust23THRUST_200600_302600_NS4plusIfEEEEZZNS1_33reduce_by_key_impl_wrapped_configILNS1_25lookback_scan_determinismE1ES3_S9_NS6_6detail15normal_iteratorINS6_10device_ptrIfEEEESG_SG_SG_PmS8_22is_equal_div_10_reduceIfEEE10hipError_tPvRmT2_T3_mT4_T5_T6_T7_T8_P12ihipStream_tbENKUlT_T0_E_clISt17integral_constantIbLb1EES11_EEDaSW_SX_EUlSW_E_NS1_11comp_targetILNS1_3genE5ELNS1_11target_archE942ELNS1_3gpuE9ELNS1_3repE0EEENS1_30default_config_static_selectorELNS0_4arch9wavefront6targetE0EEEvT1_
                                        ; -- End function
	.section	.AMDGPU.csdata,"",@progbits
; Kernel info:
; codeLenInByte = 0
; NumSgprs: 0
; NumVgprs: 0
; ScratchSize: 0
; MemoryBound: 0
; FloatMode: 240
; IeeeMode: 1
; LDSByteSize: 0 bytes/workgroup (compile time only)
; SGPRBlocks: 0
; VGPRBlocks: 0
; NumSGPRsForWavesPerEU: 1
; NumVGPRsForWavesPerEU: 1
; Occupancy: 16
; WaveLimiterHint : 0
; COMPUTE_PGM_RSRC2:SCRATCH_EN: 0
; COMPUTE_PGM_RSRC2:USER_SGPR: 15
; COMPUTE_PGM_RSRC2:TRAP_HANDLER: 0
; COMPUTE_PGM_RSRC2:TGID_X_EN: 1
; COMPUTE_PGM_RSRC2:TGID_Y_EN: 0
; COMPUTE_PGM_RSRC2:TGID_Z_EN: 0
; COMPUTE_PGM_RSRC2:TIDIG_COMP_CNT: 0
	.section	.text._ZN7rocprim17ROCPRIM_400000_NS6detail17trampoline_kernelINS0_14default_configENS1_29reduce_by_key_config_selectorIffN6thrust23THRUST_200600_302600_NS4plusIfEEEEZZNS1_33reduce_by_key_impl_wrapped_configILNS1_25lookback_scan_determinismE1ES3_S9_NS6_6detail15normal_iteratorINS6_10device_ptrIfEEEESG_SG_SG_PmS8_22is_equal_div_10_reduceIfEEE10hipError_tPvRmT2_T3_mT4_T5_T6_T7_T8_P12ihipStream_tbENKUlT_T0_E_clISt17integral_constantIbLb1EES11_EEDaSW_SX_EUlSW_E_NS1_11comp_targetILNS1_3genE4ELNS1_11target_archE910ELNS1_3gpuE8ELNS1_3repE0EEENS1_30default_config_static_selectorELNS0_4arch9wavefront6targetE0EEEvT1_,"axG",@progbits,_ZN7rocprim17ROCPRIM_400000_NS6detail17trampoline_kernelINS0_14default_configENS1_29reduce_by_key_config_selectorIffN6thrust23THRUST_200600_302600_NS4plusIfEEEEZZNS1_33reduce_by_key_impl_wrapped_configILNS1_25lookback_scan_determinismE1ES3_S9_NS6_6detail15normal_iteratorINS6_10device_ptrIfEEEESG_SG_SG_PmS8_22is_equal_div_10_reduceIfEEE10hipError_tPvRmT2_T3_mT4_T5_T6_T7_T8_P12ihipStream_tbENKUlT_T0_E_clISt17integral_constantIbLb1EES11_EEDaSW_SX_EUlSW_E_NS1_11comp_targetILNS1_3genE4ELNS1_11target_archE910ELNS1_3gpuE8ELNS1_3repE0EEENS1_30default_config_static_selectorELNS0_4arch9wavefront6targetE0EEEvT1_,comdat
	.protected	_ZN7rocprim17ROCPRIM_400000_NS6detail17trampoline_kernelINS0_14default_configENS1_29reduce_by_key_config_selectorIffN6thrust23THRUST_200600_302600_NS4plusIfEEEEZZNS1_33reduce_by_key_impl_wrapped_configILNS1_25lookback_scan_determinismE1ES3_S9_NS6_6detail15normal_iteratorINS6_10device_ptrIfEEEESG_SG_SG_PmS8_22is_equal_div_10_reduceIfEEE10hipError_tPvRmT2_T3_mT4_T5_T6_T7_T8_P12ihipStream_tbENKUlT_T0_E_clISt17integral_constantIbLb1EES11_EEDaSW_SX_EUlSW_E_NS1_11comp_targetILNS1_3genE4ELNS1_11target_archE910ELNS1_3gpuE8ELNS1_3repE0EEENS1_30default_config_static_selectorELNS0_4arch9wavefront6targetE0EEEvT1_ ; -- Begin function _ZN7rocprim17ROCPRIM_400000_NS6detail17trampoline_kernelINS0_14default_configENS1_29reduce_by_key_config_selectorIffN6thrust23THRUST_200600_302600_NS4plusIfEEEEZZNS1_33reduce_by_key_impl_wrapped_configILNS1_25lookback_scan_determinismE1ES3_S9_NS6_6detail15normal_iteratorINS6_10device_ptrIfEEEESG_SG_SG_PmS8_22is_equal_div_10_reduceIfEEE10hipError_tPvRmT2_T3_mT4_T5_T6_T7_T8_P12ihipStream_tbENKUlT_T0_E_clISt17integral_constantIbLb1EES11_EEDaSW_SX_EUlSW_E_NS1_11comp_targetILNS1_3genE4ELNS1_11target_archE910ELNS1_3gpuE8ELNS1_3repE0EEENS1_30default_config_static_selectorELNS0_4arch9wavefront6targetE0EEEvT1_
	.globl	_ZN7rocprim17ROCPRIM_400000_NS6detail17trampoline_kernelINS0_14default_configENS1_29reduce_by_key_config_selectorIffN6thrust23THRUST_200600_302600_NS4plusIfEEEEZZNS1_33reduce_by_key_impl_wrapped_configILNS1_25lookback_scan_determinismE1ES3_S9_NS6_6detail15normal_iteratorINS6_10device_ptrIfEEEESG_SG_SG_PmS8_22is_equal_div_10_reduceIfEEE10hipError_tPvRmT2_T3_mT4_T5_T6_T7_T8_P12ihipStream_tbENKUlT_T0_E_clISt17integral_constantIbLb1EES11_EEDaSW_SX_EUlSW_E_NS1_11comp_targetILNS1_3genE4ELNS1_11target_archE910ELNS1_3gpuE8ELNS1_3repE0EEENS1_30default_config_static_selectorELNS0_4arch9wavefront6targetE0EEEvT1_
	.p2align	8
	.type	_ZN7rocprim17ROCPRIM_400000_NS6detail17trampoline_kernelINS0_14default_configENS1_29reduce_by_key_config_selectorIffN6thrust23THRUST_200600_302600_NS4plusIfEEEEZZNS1_33reduce_by_key_impl_wrapped_configILNS1_25lookback_scan_determinismE1ES3_S9_NS6_6detail15normal_iteratorINS6_10device_ptrIfEEEESG_SG_SG_PmS8_22is_equal_div_10_reduceIfEEE10hipError_tPvRmT2_T3_mT4_T5_T6_T7_T8_P12ihipStream_tbENKUlT_T0_E_clISt17integral_constantIbLb1EES11_EEDaSW_SX_EUlSW_E_NS1_11comp_targetILNS1_3genE4ELNS1_11target_archE910ELNS1_3gpuE8ELNS1_3repE0EEENS1_30default_config_static_selectorELNS0_4arch9wavefront6targetE0EEEvT1_,@function
_ZN7rocprim17ROCPRIM_400000_NS6detail17trampoline_kernelINS0_14default_configENS1_29reduce_by_key_config_selectorIffN6thrust23THRUST_200600_302600_NS4plusIfEEEEZZNS1_33reduce_by_key_impl_wrapped_configILNS1_25lookback_scan_determinismE1ES3_S9_NS6_6detail15normal_iteratorINS6_10device_ptrIfEEEESG_SG_SG_PmS8_22is_equal_div_10_reduceIfEEE10hipError_tPvRmT2_T3_mT4_T5_T6_T7_T8_P12ihipStream_tbENKUlT_T0_E_clISt17integral_constantIbLb1EES11_EEDaSW_SX_EUlSW_E_NS1_11comp_targetILNS1_3genE4ELNS1_11target_archE910ELNS1_3gpuE8ELNS1_3repE0EEENS1_30default_config_static_selectorELNS0_4arch9wavefront6targetE0EEEvT1_: ; @_ZN7rocprim17ROCPRIM_400000_NS6detail17trampoline_kernelINS0_14default_configENS1_29reduce_by_key_config_selectorIffN6thrust23THRUST_200600_302600_NS4plusIfEEEEZZNS1_33reduce_by_key_impl_wrapped_configILNS1_25lookback_scan_determinismE1ES3_S9_NS6_6detail15normal_iteratorINS6_10device_ptrIfEEEESG_SG_SG_PmS8_22is_equal_div_10_reduceIfEEE10hipError_tPvRmT2_T3_mT4_T5_T6_T7_T8_P12ihipStream_tbENKUlT_T0_E_clISt17integral_constantIbLb1EES11_EEDaSW_SX_EUlSW_E_NS1_11comp_targetILNS1_3genE4ELNS1_11target_archE910ELNS1_3gpuE8ELNS1_3repE0EEENS1_30default_config_static_selectorELNS0_4arch9wavefront6targetE0EEEvT1_
; %bb.0:
	.section	.rodata,"a",@progbits
	.p2align	6, 0x0
	.amdhsa_kernel _ZN7rocprim17ROCPRIM_400000_NS6detail17trampoline_kernelINS0_14default_configENS1_29reduce_by_key_config_selectorIffN6thrust23THRUST_200600_302600_NS4plusIfEEEEZZNS1_33reduce_by_key_impl_wrapped_configILNS1_25lookback_scan_determinismE1ES3_S9_NS6_6detail15normal_iteratorINS6_10device_ptrIfEEEESG_SG_SG_PmS8_22is_equal_div_10_reduceIfEEE10hipError_tPvRmT2_T3_mT4_T5_T6_T7_T8_P12ihipStream_tbENKUlT_T0_E_clISt17integral_constantIbLb1EES11_EEDaSW_SX_EUlSW_E_NS1_11comp_targetILNS1_3genE4ELNS1_11target_archE910ELNS1_3gpuE8ELNS1_3repE0EEENS1_30default_config_static_selectorELNS0_4arch9wavefront6targetE0EEEvT1_
		.amdhsa_group_segment_fixed_size 0
		.amdhsa_private_segment_fixed_size 0
		.amdhsa_kernarg_size 120
		.amdhsa_user_sgpr_count 15
		.amdhsa_user_sgpr_dispatch_ptr 0
		.amdhsa_user_sgpr_queue_ptr 0
		.amdhsa_user_sgpr_kernarg_segment_ptr 1
		.amdhsa_user_sgpr_dispatch_id 0
		.amdhsa_user_sgpr_private_segment_size 0
		.amdhsa_wavefront_size32 1
		.amdhsa_uses_dynamic_stack 0
		.amdhsa_enable_private_segment 0
		.amdhsa_system_sgpr_workgroup_id_x 1
		.amdhsa_system_sgpr_workgroup_id_y 0
		.amdhsa_system_sgpr_workgroup_id_z 0
		.amdhsa_system_sgpr_workgroup_info 0
		.amdhsa_system_vgpr_workitem_id 0
		.amdhsa_next_free_vgpr 1
		.amdhsa_next_free_sgpr 1
		.amdhsa_reserve_vcc 0
		.amdhsa_float_round_mode_32 0
		.amdhsa_float_round_mode_16_64 0
		.amdhsa_float_denorm_mode_32 3
		.amdhsa_float_denorm_mode_16_64 3
		.amdhsa_dx10_clamp 1
		.amdhsa_ieee_mode 1
		.amdhsa_fp16_overflow 0
		.amdhsa_workgroup_processor_mode 1
		.amdhsa_memory_ordered 1
		.amdhsa_forward_progress 0
		.amdhsa_shared_vgpr_count 0
		.amdhsa_exception_fp_ieee_invalid_op 0
		.amdhsa_exception_fp_denorm_src 0
		.amdhsa_exception_fp_ieee_div_zero 0
		.amdhsa_exception_fp_ieee_overflow 0
		.amdhsa_exception_fp_ieee_underflow 0
		.amdhsa_exception_fp_ieee_inexact 0
		.amdhsa_exception_int_div_zero 0
	.end_amdhsa_kernel
	.section	.text._ZN7rocprim17ROCPRIM_400000_NS6detail17trampoline_kernelINS0_14default_configENS1_29reduce_by_key_config_selectorIffN6thrust23THRUST_200600_302600_NS4plusIfEEEEZZNS1_33reduce_by_key_impl_wrapped_configILNS1_25lookback_scan_determinismE1ES3_S9_NS6_6detail15normal_iteratorINS6_10device_ptrIfEEEESG_SG_SG_PmS8_22is_equal_div_10_reduceIfEEE10hipError_tPvRmT2_T3_mT4_T5_T6_T7_T8_P12ihipStream_tbENKUlT_T0_E_clISt17integral_constantIbLb1EES11_EEDaSW_SX_EUlSW_E_NS1_11comp_targetILNS1_3genE4ELNS1_11target_archE910ELNS1_3gpuE8ELNS1_3repE0EEENS1_30default_config_static_selectorELNS0_4arch9wavefront6targetE0EEEvT1_,"axG",@progbits,_ZN7rocprim17ROCPRIM_400000_NS6detail17trampoline_kernelINS0_14default_configENS1_29reduce_by_key_config_selectorIffN6thrust23THRUST_200600_302600_NS4plusIfEEEEZZNS1_33reduce_by_key_impl_wrapped_configILNS1_25lookback_scan_determinismE1ES3_S9_NS6_6detail15normal_iteratorINS6_10device_ptrIfEEEESG_SG_SG_PmS8_22is_equal_div_10_reduceIfEEE10hipError_tPvRmT2_T3_mT4_T5_T6_T7_T8_P12ihipStream_tbENKUlT_T0_E_clISt17integral_constantIbLb1EES11_EEDaSW_SX_EUlSW_E_NS1_11comp_targetILNS1_3genE4ELNS1_11target_archE910ELNS1_3gpuE8ELNS1_3repE0EEENS1_30default_config_static_selectorELNS0_4arch9wavefront6targetE0EEEvT1_,comdat
.Lfunc_end139:
	.size	_ZN7rocprim17ROCPRIM_400000_NS6detail17trampoline_kernelINS0_14default_configENS1_29reduce_by_key_config_selectorIffN6thrust23THRUST_200600_302600_NS4plusIfEEEEZZNS1_33reduce_by_key_impl_wrapped_configILNS1_25lookback_scan_determinismE1ES3_S9_NS6_6detail15normal_iteratorINS6_10device_ptrIfEEEESG_SG_SG_PmS8_22is_equal_div_10_reduceIfEEE10hipError_tPvRmT2_T3_mT4_T5_T6_T7_T8_P12ihipStream_tbENKUlT_T0_E_clISt17integral_constantIbLb1EES11_EEDaSW_SX_EUlSW_E_NS1_11comp_targetILNS1_3genE4ELNS1_11target_archE910ELNS1_3gpuE8ELNS1_3repE0EEENS1_30default_config_static_selectorELNS0_4arch9wavefront6targetE0EEEvT1_, .Lfunc_end139-_ZN7rocprim17ROCPRIM_400000_NS6detail17trampoline_kernelINS0_14default_configENS1_29reduce_by_key_config_selectorIffN6thrust23THRUST_200600_302600_NS4plusIfEEEEZZNS1_33reduce_by_key_impl_wrapped_configILNS1_25lookback_scan_determinismE1ES3_S9_NS6_6detail15normal_iteratorINS6_10device_ptrIfEEEESG_SG_SG_PmS8_22is_equal_div_10_reduceIfEEE10hipError_tPvRmT2_T3_mT4_T5_T6_T7_T8_P12ihipStream_tbENKUlT_T0_E_clISt17integral_constantIbLb1EES11_EEDaSW_SX_EUlSW_E_NS1_11comp_targetILNS1_3genE4ELNS1_11target_archE910ELNS1_3gpuE8ELNS1_3repE0EEENS1_30default_config_static_selectorELNS0_4arch9wavefront6targetE0EEEvT1_
                                        ; -- End function
	.section	.AMDGPU.csdata,"",@progbits
; Kernel info:
; codeLenInByte = 0
; NumSgprs: 0
; NumVgprs: 0
; ScratchSize: 0
; MemoryBound: 0
; FloatMode: 240
; IeeeMode: 1
; LDSByteSize: 0 bytes/workgroup (compile time only)
; SGPRBlocks: 0
; VGPRBlocks: 0
; NumSGPRsForWavesPerEU: 1
; NumVGPRsForWavesPerEU: 1
; Occupancy: 16
; WaveLimiterHint : 0
; COMPUTE_PGM_RSRC2:SCRATCH_EN: 0
; COMPUTE_PGM_RSRC2:USER_SGPR: 15
; COMPUTE_PGM_RSRC2:TRAP_HANDLER: 0
; COMPUTE_PGM_RSRC2:TGID_X_EN: 1
; COMPUTE_PGM_RSRC2:TGID_Y_EN: 0
; COMPUTE_PGM_RSRC2:TGID_Z_EN: 0
; COMPUTE_PGM_RSRC2:TIDIG_COMP_CNT: 0
	.section	.text._ZN7rocprim17ROCPRIM_400000_NS6detail17trampoline_kernelINS0_14default_configENS1_29reduce_by_key_config_selectorIffN6thrust23THRUST_200600_302600_NS4plusIfEEEEZZNS1_33reduce_by_key_impl_wrapped_configILNS1_25lookback_scan_determinismE1ES3_S9_NS6_6detail15normal_iteratorINS6_10device_ptrIfEEEESG_SG_SG_PmS8_22is_equal_div_10_reduceIfEEE10hipError_tPvRmT2_T3_mT4_T5_T6_T7_T8_P12ihipStream_tbENKUlT_T0_E_clISt17integral_constantIbLb1EES11_EEDaSW_SX_EUlSW_E_NS1_11comp_targetILNS1_3genE3ELNS1_11target_archE908ELNS1_3gpuE7ELNS1_3repE0EEENS1_30default_config_static_selectorELNS0_4arch9wavefront6targetE0EEEvT1_,"axG",@progbits,_ZN7rocprim17ROCPRIM_400000_NS6detail17trampoline_kernelINS0_14default_configENS1_29reduce_by_key_config_selectorIffN6thrust23THRUST_200600_302600_NS4plusIfEEEEZZNS1_33reduce_by_key_impl_wrapped_configILNS1_25lookback_scan_determinismE1ES3_S9_NS6_6detail15normal_iteratorINS6_10device_ptrIfEEEESG_SG_SG_PmS8_22is_equal_div_10_reduceIfEEE10hipError_tPvRmT2_T3_mT4_T5_T6_T7_T8_P12ihipStream_tbENKUlT_T0_E_clISt17integral_constantIbLb1EES11_EEDaSW_SX_EUlSW_E_NS1_11comp_targetILNS1_3genE3ELNS1_11target_archE908ELNS1_3gpuE7ELNS1_3repE0EEENS1_30default_config_static_selectorELNS0_4arch9wavefront6targetE0EEEvT1_,comdat
	.protected	_ZN7rocprim17ROCPRIM_400000_NS6detail17trampoline_kernelINS0_14default_configENS1_29reduce_by_key_config_selectorIffN6thrust23THRUST_200600_302600_NS4plusIfEEEEZZNS1_33reduce_by_key_impl_wrapped_configILNS1_25lookback_scan_determinismE1ES3_S9_NS6_6detail15normal_iteratorINS6_10device_ptrIfEEEESG_SG_SG_PmS8_22is_equal_div_10_reduceIfEEE10hipError_tPvRmT2_T3_mT4_T5_T6_T7_T8_P12ihipStream_tbENKUlT_T0_E_clISt17integral_constantIbLb1EES11_EEDaSW_SX_EUlSW_E_NS1_11comp_targetILNS1_3genE3ELNS1_11target_archE908ELNS1_3gpuE7ELNS1_3repE0EEENS1_30default_config_static_selectorELNS0_4arch9wavefront6targetE0EEEvT1_ ; -- Begin function _ZN7rocprim17ROCPRIM_400000_NS6detail17trampoline_kernelINS0_14default_configENS1_29reduce_by_key_config_selectorIffN6thrust23THRUST_200600_302600_NS4plusIfEEEEZZNS1_33reduce_by_key_impl_wrapped_configILNS1_25lookback_scan_determinismE1ES3_S9_NS6_6detail15normal_iteratorINS6_10device_ptrIfEEEESG_SG_SG_PmS8_22is_equal_div_10_reduceIfEEE10hipError_tPvRmT2_T3_mT4_T5_T6_T7_T8_P12ihipStream_tbENKUlT_T0_E_clISt17integral_constantIbLb1EES11_EEDaSW_SX_EUlSW_E_NS1_11comp_targetILNS1_3genE3ELNS1_11target_archE908ELNS1_3gpuE7ELNS1_3repE0EEENS1_30default_config_static_selectorELNS0_4arch9wavefront6targetE0EEEvT1_
	.globl	_ZN7rocprim17ROCPRIM_400000_NS6detail17trampoline_kernelINS0_14default_configENS1_29reduce_by_key_config_selectorIffN6thrust23THRUST_200600_302600_NS4plusIfEEEEZZNS1_33reduce_by_key_impl_wrapped_configILNS1_25lookback_scan_determinismE1ES3_S9_NS6_6detail15normal_iteratorINS6_10device_ptrIfEEEESG_SG_SG_PmS8_22is_equal_div_10_reduceIfEEE10hipError_tPvRmT2_T3_mT4_T5_T6_T7_T8_P12ihipStream_tbENKUlT_T0_E_clISt17integral_constantIbLb1EES11_EEDaSW_SX_EUlSW_E_NS1_11comp_targetILNS1_3genE3ELNS1_11target_archE908ELNS1_3gpuE7ELNS1_3repE0EEENS1_30default_config_static_selectorELNS0_4arch9wavefront6targetE0EEEvT1_
	.p2align	8
	.type	_ZN7rocprim17ROCPRIM_400000_NS6detail17trampoline_kernelINS0_14default_configENS1_29reduce_by_key_config_selectorIffN6thrust23THRUST_200600_302600_NS4plusIfEEEEZZNS1_33reduce_by_key_impl_wrapped_configILNS1_25lookback_scan_determinismE1ES3_S9_NS6_6detail15normal_iteratorINS6_10device_ptrIfEEEESG_SG_SG_PmS8_22is_equal_div_10_reduceIfEEE10hipError_tPvRmT2_T3_mT4_T5_T6_T7_T8_P12ihipStream_tbENKUlT_T0_E_clISt17integral_constantIbLb1EES11_EEDaSW_SX_EUlSW_E_NS1_11comp_targetILNS1_3genE3ELNS1_11target_archE908ELNS1_3gpuE7ELNS1_3repE0EEENS1_30default_config_static_selectorELNS0_4arch9wavefront6targetE0EEEvT1_,@function
_ZN7rocprim17ROCPRIM_400000_NS6detail17trampoline_kernelINS0_14default_configENS1_29reduce_by_key_config_selectorIffN6thrust23THRUST_200600_302600_NS4plusIfEEEEZZNS1_33reduce_by_key_impl_wrapped_configILNS1_25lookback_scan_determinismE1ES3_S9_NS6_6detail15normal_iteratorINS6_10device_ptrIfEEEESG_SG_SG_PmS8_22is_equal_div_10_reduceIfEEE10hipError_tPvRmT2_T3_mT4_T5_T6_T7_T8_P12ihipStream_tbENKUlT_T0_E_clISt17integral_constantIbLb1EES11_EEDaSW_SX_EUlSW_E_NS1_11comp_targetILNS1_3genE3ELNS1_11target_archE908ELNS1_3gpuE7ELNS1_3repE0EEENS1_30default_config_static_selectorELNS0_4arch9wavefront6targetE0EEEvT1_: ; @_ZN7rocprim17ROCPRIM_400000_NS6detail17trampoline_kernelINS0_14default_configENS1_29reduce_by_key_config_selectorIffN6thrust23THRUST_200600_302600_NS4plusIfEEEEZZNS1_33reduce_by_key_impl_wrapped_configILNS1_25lookback_scan_determinismE1ES3_S9_NS6_6detail15normal_iteratorINS6_10device_ptrIfEEEESG_SG_SG_PmS8_22is_equal_div_10_reduceIfEEE10hipError_tPvRmT2_T3_mT4_T5_T6_T7_T8_P12ihipStream_tbENKUlT_T0_E_clISt17integral_constantIbLb1EES11_EEDaSW_SX_EUlSW_E_NS1_11comp_targetILNS1_3genE3ELNS1_11target_archE908ELNS1_3gpuE7ELNS1_3repE0EEENS1_30default_config_static_selectorELNS0_4arch9wavefront6targetE0EEEvT1_
; %bb.0:
	.section	.rodata,"a",@progbits
	.p2align	6, 0x0
	.amdhsa_kernel _ZN7rocprim17ROCPRIM_400000_NS6detail17trampoline_kernelINS0_14default_configENS1_29reduce_by_key_config_selectorIffN6thrust23THRUST_200600_302600_NS4plusIfEEEEZZNS1_33reduce_by_key_impl_wrapped_configILNS1_25lookback_scan_determinismE1ES3_S9_NS6_6detail15normal_iteratorINS6_10device_ptrIfEEEESG_SG_SG_PmS8_22is_equal_div_10_reduceIfEEE10hipError_tPvRmT2_T3_mT4_T5_T6_T7_T8_P12ihipStream_tbENKUlT_T0_E_clISt17integral_constantIbLb1EES11_EEDaSW_SX_EUlSW_E_NS1_11comp_targetILNS1_3genE3ELNS1_11target_archE908ELNS1_3gpuE7ELNS1_3repE0EEENS1_30default_config_static_selectorELNS0_4arch9wavefront6targetE0EEEvT1_
		.amdhsa_group_segment_fixed_size 0
		.amdhsa_private_segment_fixed_size 0
		.amdhsa_kernarg_size 120
		.amdhsa_user_sgpr_count 15
		.amdhsa_user_sgpr_dispatch_ptr 0
		.amdhsa_user_sgpr_queue_ptr 0
		.amdhsa_user_sgpr_kernarg_segment_ptr 1
		.amdhsa_user_sgpr_dispatch_id 0
		.amdhsa_user_sgpr_private_segment_size 0
		.amdhsa_wavefront_size32 1
		.amdhsa_uses_dynamic_stack 0
		.amdhsa_enable_private_segment 0
		.amdhsa_system_sgpr_workgroup_id_x 1
		.amdhsa_system_sgpr_workgroup_id_y 0
		.amdhsa_system_sgpr_workgroup_id_z 0
		.amdhsa_system_sgpr_workgroup_info 0
		.amdhsa_system_vgpr_workitem_id 0
		.amdhsa_next_free_vgpr 1
		.amdhsa_next_free_sgpr 1
		.amdhsa_reserve_vcc 0
		.amdhsa_float_round_mode_32 0
		.amdhsa_float_round_mode_16_64 0
		.amdhsa_float_denorm_mode_32 3
		.amdhsa_float_denorm_mode_16_64 3
		.amdhsa_dx10_clamp 1
		.amdhsa_ieee_mode 1
		.amdhsa_fp16_overflow 0
		.amdhsa_workgroup_processor_mode 1
		.amdhsa_memory_ordered 1
		.amdhsa_forward_progress 0
		.amdhsa_shared_vgpr_count 0
		.amdhsa_exception_fp_ieee_invalid_op 0
		.amdhsa_exception_fp_denorm_src 0
		.amdhsa_exception_fp_ieee_div_zero 0
		.amdhsa_exception_fp_ieee_overflow 0
		.amdhsa_exception_fp_ieee_underflow 0
		.amdhsa_exception_fp_ieee_inexact 0
		.amdhsa_exception_int_div_zero 0
	.end_amdhsa_kernel
	.section	.text._ZN7rocprim17ROCPRIM_400000_NS6detail17trampoline_kernelINS0_14default_configENS1_29reduce_by_key_config_selectorIffN6thrust23THRUST_200600_302600_NS4plusIfEEEEZZNS1_33reduce_by_key_impl_wrapped_configILNS1_25lookback_scan_determinismE1ES3_S9_NS6_6detail15normal_iteratorINS6_10device_ptrIfEEEESG_SG_SG_PmS8_22is_equal_div_10_reduceIfEEE10hipError_tPvRmT2_T3_mT4_T5_T6_T7_T8_P12ihipStream_tbENKUlT_T0_E_clISt17integral_constantIbLb1EES11_EEDaSW_SX_EUlSW_E_NS1_11comp_targetILNS1_3genE3ELNS1_11target_archE908ELNS1_3gpuE7ELNS1_3repE0EEENS1_30default_config_static_selectorELNS0_4arch9wavefront6targetE0EEEvT1_,"axG",@progbits,_ZN7rocprim17ROCPRIM_400000_NS6detail17trampoline_kernelINS0_14default_configENS1_29reduce_by_key_config_selectorIffN6thrust23THRUST_200600_302600_NS4plusIfEEEEZZNS1_33reduce_by_key_impl_wrapped_configILNS1_25lookback_scan_determinismE1ES3_S9_NS6_6detail15normal_iteratorINS6_10device_ptrIfEEEESG_SG_SG_PmS8_22is_equal_div_10_reduceIfEEE10hipError_tPvRmT2_T3_mT4_T5_T6_T7_T8_P12ihipStream_tbENKUlT_T0_E_clISt17integral_constantIbLb1EES11_EEDaSW_SX_EUlSW_E_NS1_11comp_targetILNS1_3genE3ELNS1_11target_archE908ELNS1_3gpuE7ELNS1_3repE0EEENS1_30default_config_static_selectorELNS0_4arch9wavefront6targetE0EEEvT1_,comdat
.Lfunc_end140:
	.size	_ZN7rocprim17ROCPRIM_400000_NS6detail17trampoline_kernelINS0_14default_configENS1_29reduce_by_key_config_selectorIffN6thrust23THRUST_200600_302600_NS4plusIfEEEEZZNS1_33reduce_by_key_impl_wrapped_configILNS1_25lookback_scan_determinismE1ES3_S9_NS6_6detail15normal_iteratorINS6_10device_ptrIfEEEESG_SG_SG_PmS8_22is_equal_div_10_reduceIfEEE10hipError_tPvRmT2_T3_mT4_T5_T6_T7_T8_P12ihipStream_tbENKUlT_T0_E_clISt17integral_constantIbLb1EES11_EEDaSW_SX_EUlSW_E_NS1_11comp_targetILNS1_3genE3ELNS1_11target_archE908ELNS1_3gpuE7ELNS1_3repE0EEENS1_30default_config_static_selectorELNS0_4arch9wavefront6targetE0EEEvT1_, .Lfunc_end140-_ZN7rocprim17ROCPRIM_400000_NS6detail17trampoline_kernelINS0_14default_configENS1_29reduce_by_key_config_selectorIffN6thrust23THRUST_200600_302600_NS4plusIfEEEEZZNS1_33reduce_by_key_impl_wrapped_configILNS1_25lookback_scan_determinismE1ES3_S9_NS6_6detail15normal_iteratorINS6_10device_ptrIfEEEESG_SG_SG_PmS8_22is_equal_div_10_reduceIfEEE10hipError_tPvRmT2_T3_mT4_T5_T6_T7_T8_P12ihipStream_tbENKUlT_T0_E_clISt17integral_constantIbLb1EES11_EEDaSW_SX_EUlSW_E_NS1_11comp_targetILNS1_3genE3ELNS1_11target_archE908ELNS1_3gpuE7ELNS1_3repE0EEENS1_30default_config_static_selectorELNS0_4arch9wavefront6targetE0EEEvT1_
                                        ; -- End function
	.section	.AMDGPU.csdata,"",@progbits
; Kernel info:
; codeLenInByte = 0
; NumSgprs: 0
; NumVgprs: 0
; ScratchSize: 0
; MemoryBound: 0
; FloatMode: 240
; IeeeMode: 1
; LDSByteSize: 0 bytes/workgroup (compile time only)
; SGPRBlocks: 0
; VGPRBlocks: 0
; NumSGPRsForWavesPerEU: 1
; NumVGPRsForWavesPerEU: 1
; Occupancy: 16
; WaveLimiterHint : 0
; COMPUTE_PGM_RSRC2:SCRATCH_EN: 0
; COMPUTE_PGM_RSRC2:USER_SGPR: 15
; COMPUTE_PGM_RSRC2:TRAP_HANDLER: 0
; COMPUTE_PGM_RSRC2:TGID_X_EN: 1
; COMPUTE_PGM_RSRC2:TGID_Y_EN: 0
; COMPUTE_PGM_RSRC2:TGID_Z_EN: 0
; COMPUTE_PGM_RSRC2:TIDIG_COMP_CNT: 0
	.section	.text._ZN7rocprim17ROCPRIM_400000_NS6detail17trampoline_kernelINS0_14default_configENS1_29reduce_by_key_config_selectorIffN6thrust23THRUST_200600_302600_NS4plusIfEEEEZZNS1_33reduce_by_key_impl_wrapped_configILNS1_25lookback_scan_determinismE1ES3_S9_NS6_6detail15normal_iteratorINS6_10device_ptrIfEEEESG_SG_SG_PmS8_22is_equal_div_10_reduceIfEEE10hipError_tPvRmT2_T3_mT4_T5_T6_T7_T8_P12ihipStream_tbENKUlT_T0_E_clISt17integral_constantIbLb1EES11_EEDaSW_SX_EUlSW_E_NS1_11comp_targetILNS1_3genE2ELNS1_11target_archE906ELNS1_3gpuE6ELNS1_3repE0EEENS1_30default_config_static_selectorELNS0_4arch9wavefront6targetE0EEEvT1_,"axG",@progbits,_ZN7rocprim17ROCPRIM_400000_NS6detail17trampoline_kernelINS0_14default_configENS1_29reduce_by_key_config_selectorIffN6thrust23THRUST_200600_302600_NS4plusIfEEEEZZNS1_33reduce_by_key_impl_wrapped_configILNS1_25lookback_scan_determinismE1ES3_S9_NS6_6detail15normal_iteratorINS6_10device_ptrIfEEEESG_SG_SG_PmS8_22is_equal_div_10_reduceIfEEE10hipError_tPvRmT2_T3_mT4_T5_T6_T7_T8_P12ihipStream_tbENKUlT_T0_E_clISt17integral_constantIbLb1EES11_EEDaSW_SX_EUlSW_E_NS1_11comp_targetILNS1_3genE2ELNS1_11target_archE906ELNS1_3gpuE6ELNS1_3repE0EEENS1_30default_config_static_selectorELNS0_4arch9wavefront6targetE0EEEvT1_,comdat
	.protected	_ZN7rocprim17ROCPRIM_400000_NS6detail17trampoline_kernelINS0_14default_configENS1_29reduce_by_key_config_selectorIffN6thrust23THRUST_200600_302600_NS4plusIfEEEEZZNS1_33reduce_by_key_impl_wrapped_configILNS1_25lookback_scan_determinismE1ES3_S9_NS6_6detail15normal_iteratorINS6_10device_ptrIfEEEESG_SG_SG_PmS8_22is_equal_div_10_reduceIfEEE10hipError_tPvRmT2_T3_mT4_T5_T6_T7_T8_P12ihipStream_tbENKUlT_T0_E_clISt17integral_constantIbLb1EES11_EEDaSW_SX_EUlSW_E_NS1_11comp_targetILNS1_3genE2ELNS1_11target_archE906ELNS1_3gpuE6ELNS1_3repE0EEENS1_30default_config_static_selectorELNS0_4arch9wavefront6targetE0EEEvT1_ ; -- Begin function _ZN7rocprim17ROCPRIM_400000_NS6detail17trampoline_kernelINS0_14default_configENS1_29reduce_by_key_config_selectorIffN6thrust23THRUST_200600_302600_NS4plusIfEEEEZZNS1_33reduce_by_key_impl_wrapped_configILNS1_25lookback_scan_determinismE1ES3_S9_NS6_6detail15normal_iteratorINS6_10device_ptrIfEEEESG_SG_SG_PmS8_22is_equal_div_10_reduceIfEEE10hipError_tPvRmT2_T3_mT4_T5_T6_T7_T8_P12ihipStream_tbENKUlT_T0_E_clISt17integral_constantIbLb1EES11_EEDaSW_SX_EUlSW_E_NS1_11comp_targetILNS1_3genE2ELNS1_11target_archE906ELNS1_3gpuE6ELNS1_3repE0EEENS1_30default_config_static_selectorELNS0_4arch9wavefront6targetE0EEEvT1_
	.globl	_ZN7rocprim17ROCPRIM_400000_NS6detail17trampoline_kernelINS0_14default_configENS1_29reduce_by_key_config_selectorIffN6thrust23THRUST_200600_302600_NS4plusIfEEEEZZNS1_33reduce_by_key_impl_wrapped_configILNS1_25lookback_scan_determinismE1ES3_S9_NS6_6detail15normal_iteratorINS6_10device_ptrIfEEEESG_SG_SG_PmS8_22is_equal_div_10_reduceIfEEE10hipError_tPvRmT2_T3_mT4_T5_T6_T7_T8_P12ihipStream_tbENKUlT_T0_E_clISt17integral_constantIbLb1EES11_EEDaSW_SX_EUlSW_E_NS1_11comp_targetILNS1_3genE2ELNS1_11target_archE906ELNS1_3gpuE6ELNS1_3repE0EEENS1_30default_config_static_selectorELNS0_4arch9wavefront6targetE0EEEvT1_
	.p2align	8
	.type	_ZN7rocprim17ROCPRIM_400000_NS6detail17trampoline_kernelINS0_14default_configENS1_29reduce_by_key_config_selectorIffN6thrust23THRUST_200600_302600_NS4plusIfEEEEZZNS1_33reduce_by_key_impl_wrapped_configILNS1_25lookback_scan_determinismE1ES3_S9_NS6_6detail15normal_iteratorINS6_10device_ptrIfEEEESG_SG_SG_PmS8_22is_equal_div_10_reduceIfEEE10hipError_tPvRmT2_T3_mT4_T5_T6_T7_T8_P12ihipStream_tbENKUlT_T0_E_clISt17integral_constantIbLb1EES11_EEDaSW_SX_EUlSW_E_NS1_11comp_targetILNS1_3genE2ELNS1_11target_archE906ELNS1_3gpuE6ELNS1_3repE0EEENS1_30default_config_static_selectorELNS0_4arch9wavefront6targetE0EEEvT1_,@function
_ZN7rocprim17ROCPRIM_400000_NS6detail17trampoline_kernelINS0_14default_configENS1_29reduce_by_key_config_selectorIffN6thrust23THRUST_200600_302600_NS4plusIfEEEEZZNS1_33reduce_by_key_impl_wrapped_configILNS1_25lookback_scan_determinismE1ES3_S9_NS6_6detail15normal_iteratorINS6_10device_ptrIfEEEESG_SG_SG_PmS8_22is_equal_div_10_reduceIfEEE10hipError_tPvRmT2_T3_mT4_T5_T6_T7_T8_P12ihipStream_tbENKUlT_T0_E_clISt17integral_constantIbLb1EES11_EEDaSW_SX_EUlSW_E_NS1_11comp_targetILNS1_3genE2ELNS1_11target_archE906ELNS1_3gpuE6ELNS1_3repE0EEENS1_30default_config_static_selectorELNS0_4arch9wavefront6targetE0EEEvT1_: ; @_ZN7rocprim17ROCPRIM_400000_NS6detail17trampoline_kernelINS0_14default_configENS1_29reduce_by_key_config_selectorIffN6thrust23THRUST_200600_302600_NS4plusIfEEEEZZNS1_33reduce_by_key_impl_wrapped_configILNS1_25lookback_scan_determinismE1ES3_S9_NS6_6detail15normal_iteratorINS6_10device_ptrIfEEEESG_SG_SG_PmS8_22is_equal_div_10_reduceIfEEE10hipError_tPvRmT2_T3_mT4_T5_T6_T7_T8_P12ihipStream_tbENKUlT_T0_E_clISt17integral_constantIbLb1EES11_EEDaSW_SX_EUlSW_E_NS1_11comp_targetILNS1_3genE2ELNS1_11target_archE906ELNS1_3gpuE6ELNS1_3repE0EEENS1_30default_config_static_selectorELNS0_4arch9wavefront6targetE0EEEvT1_
; %bb.0:
	.section	.rodata,"a",@progbits
	.p2align	6, 0x0
	.amdhsa_kernel _ZN7rocprim17ROCPRIM_400000_NS6detail17trampoline_kernelINS0_14default_configENS1_29reduce_by_key_config_selectorIffN6thrust23THRUST_200600_302600_NS4plusIfEEEEZZNS1_33reduce_by_key_impl_wrapped_configILNS1_25lookback_scan_determinismE1ES3_S9_NS6_6detail15normal_iteratorINS6_10device_ptrIfEEEESG_SG_SG_PmS8_22is_equal_div_10_reduceIfEEE10hipError_tPvRmT2_T3_mT4_T5_T6_T7_T8_P12ihipStream_tbENKUlT_T0_E_clISt17integral_constantIbLb1EES11_EEDaSW_SX_EUlSW_E_NS1_11comp_targetILNS1_3genE2ELNS1_11target_archE906ELNS1_3gpuE6ELNS1_3repE0EEENS1_30default_config_static_selectorELNS0_4arch9wavefront6targetE0EEEvT1_
		.amdhsa_group_segment_fixed_size 0
		.amdhsa_private_segment_fixed_size 0
		.amdhsa_kernarg_size 120
		.amdhsa_user_sgpr_count 15
		.amdhsa_user_sgpr_dispatch_ptr 0
		.amdhsa_user_sgpr_queue_ptr 0
		.amdhsa_user_sgpr_kernarg_segment_ptr 1
		.amdhsa_user_sgpr_dispatch_id 0
		.amdhsa_user_sgpr_private_segment_size 0
		.amdhsa_wavefront_size32 1
		.amdhsa_uses_dynamic_stack 0
		.amdhsa_enable_private_segment 0
		.amdhsa_system_sgpr_workgroup_id_x 1
		.amdhsa_system_sgpr_workgroup_id_y 0
		.amdhsa_system_sgpr_workgroup_id_z 0
		.amdhsa_system_sgpr_workgroup_info 0
		.amdhsa_system_vgpr_workitem_id 0
		.amdhsa_next_free_vgpr 1
		.amdhsa_next_free_sgpr 1
		.amdhsa_reserve_vcc 0
		.amdhsa_float_round_mode_32 0
		.amdhsa_float_round_mode_16_64 0
		.amdhsa_float_denorm_mode_32 3
		.amdhsa_float_denorm_mode_16_64 3
		.amdhsa_dx10_clamp 1
		.amdhsa_ieee_mode 1
		.amdhsa_fp16_overflow 0
		.amdhsa_workgroup_processor_mode 1
		.amdhsa_memory_ordered 1
		.amdhsa_forward_progress 0
		.amdhsa_shared_vgpr_count 0
		.amdhsa_exception_fp_ieee_invalid_op 0
		.amdhsa_exception_fp_denorm_src 0
		.amdhsa_exception_fp_ieee_div_zero 0
		.amdhsa_exception_fp_ieee_overflow 0
		.amdhsa_exception_fp_ieee_underflow 0
		.amdhsa_exception_fp_ieee_inexact 0
		.amdhsa_exception_int_div_zero 0
	.end_amdhsa_kernel
	.section	.text._ZN7rocprim17ROCPRIM_400000_NS6detail17trampoline_kernelINS0_14default_configENS1_29reduce_by_key_config_selectorIffN6thrust23THRUST_200600_302600_NS4plusIfEEEEZZNS1_33reduce_by_key_impl_wrapped_configILNS1_25lookback_scan_determinismE1ES3_S9_NS6_6detail15normal_iteratorINS6_10device_ptrIfEEEESG_SG_SG_PmS8_22is_equal_div_10_reduceIfEEE10hipError_tPvRmT2_T3_mT4_T5_T6_T7_T8_P12ihipStream_tbENKUlT_T0_E_clISt17integral_constantIbLb1EES11_EEDaSW_SX_EUlSW_E_NS1_11comp_targetILNS1_3genE2ELNS1_11target_archE906ELNS1_3gpuE6ELNS1_3repE0EEENS1_30default_config_static_selectorELNS0_4arch9wavefront6targetE0EEEvT1_,"axG",@progbits,_ZN7rocprim17ROCPRIM_400000_NS6detail17trampoline_kernelINS0_14default_configENS1_29reduce_by_key_config_selectorIffN6thrust23THRUST_200600_302600_NS4plusIfEEEEZZNS1_33reduce_by_key_impl_wrapped_configILNS1_25lookback_scan_determinismE1ES3_S9_NS6_6detail15normal_iteratorINS6_10device_ptrIfEEEESG_SG_SG_PmS8_22is_equal_div_10_reduceIfEEE10hipError_tPvRmT2_T3_mT4_T5_T6_T7_T8_P12ihipStream_tbENKUlT_T0_E_clISt17integral_constantIbLb1EES11_EEDaSW_SX_EUlSW_E_NS1_11comp_targetILNS1_3genE2ELNS1_11target_archE906ELNS1_3gpuE6ELNS1_3repE0EEENS1_30default_config_static_selectorELNS0_4arch9wavefront6targetE0EEEvT1_,comdat
.Lfunc_end141:
	.size	_ZN7rocprim17ROCPRIM_400000_NS6detail17trampoline_kernelINS0_14default_configENS1_29reduce_by_key_config_selectorIffN6thrust23THRUST_200600_302600_NS4plusIfEEEEZZNS1_33reduce_by_key_impl_wrapped_configILNS1_25lookback_scan_determinismE1ES3_S9_NS6_6detail15normal_iteratorINS6_10device_ptrIfEEEESG_SG_SG_PmS8_22is_equal_div_10_reduceIfEEE10hipError_tPvRmT2_T3_mT4_T5_T6_T7_T8_P12ihipStream_tbENKUlT_T0_E_clISt17integral_constantIbLb1EES11_EEDaSW_SX_EUlSW_E_NS1_11comp_targetILNS1_3genE2ELNS1_11target_archE906ELNS1_3gpuE6ELNS1_3repE0EEENS1_30default_config_static_selectorELNS0_4arch9wavefront6targetE0EEEvT1_, .Lfunc_end141-_ZN7rocprim17ROCPRIM_400000_NS6detail17trampoline_kernelINS0_14default_configENS1_29reduce_by_key_config_selectorIffN6thrust23THRUST_200600_302600_NS4plusIfEEEEZZNS1_33reduce_by_key_impl_wrapped_configILNS1_25lookback_scan_determinismE1ES3_S9_NS6_6detail15normal_iteratorINS6_10device_ptrIfEEEESG_SG_SG_PmS8_22is_equal_div_10_reduceIfEEE10hipError_tPvRmT2_T3_mT4_T5_T6_T7_T8_P12ihipStream_tbENKUlT_T0_E_clISt17integral_constantIbLb1EES11_EEDaSW_SX_EUlSW_E_NS1_11comp_targetILNS1_3genE2ELNS1_11target_archE906ELNS1_3gpuE6ELNS1_3repE0EEENS1_30default_config_static_selectorELNS0_4arch9wavefront6targetE0EEEvT1_
                                        ; -- End function
	.section	.AMDGPU.csdata,"",@progbits
; Kernel info:
; codeLenInByte = 0
; NumSgprs: 0
; NumVgprs: 0
; ScratchSize: 0
; MemoryBound: 0
; FloatMode: 240
; IeeeMode: 1
; LDSByteSize: 0 bytes/workgroup (compile time only)
; SGPRBlocks: 0
; VGPRBlocks: 0
; NumSGPRsForWavesPerEU: 1
; NumVGPRsForWavesPerEU: 1
; Occupancy: 16
; WaveLimiterHint : 0
; COMPUTE_PGM_RSRC2:SCRATCH_EN: 0
; COMPUTE_PGM_RSRC2:USER_SGPR: 15
; COMPUTE_PGM_RSRC2:TRAP_HANDLER: 0
; COMPUTE_PGM_RSRC2:TGID_X_EN: 1
; COMPUTE_PGM_RSRC2:TGID_Y_EN: 0
; COMPUTE_PGM_RSRC2:TGID_Z_EN: 0
; COMPUTE_PGM_RSRC2:TIDIG_COMP_CNT: 0
	.section	.text._ZN7rocprim17ROCPRIM_400000_NS6detail17trampoline_kernelINS0_14default_configENS1_29reduce_by_key_config_selectorIffN6thrust23THRUST_200600_302600_NS4plusIfEEEEZZNS1_33reduce_by_key_impl_wrapped_configILNS1_25lookback_scan_determinismE1ES3_S9_NS6_6detail15normal_iteratorINS6_10device_ptrIfEEEESG_SG_SG_PmS8_22is_equal_div_10_reduceIfEEE10hipError_tPvRmT2_T3_mT4_T5_T6_T7_T8_P12ihipStream_tbENKUlT_T0_E_clISt17integral_constantIbLb1EES11_EEDaSW_SX_EUlSW_E_NS1_11comp_targetILNS1_3genE10ELNS1_11target_archE1201ELNS1_3gpuE5ELNS1_3repE0EEENS1_30default_config_static_selectorELNS0_4arch9wavefront6targetE0EEEvT1_,"axG",@progbits,_ZN7rocprim17ROCPRIM_400000_NS6detail17trampoline_kernelINS0_14default_configENS1_29reduce_by_key_config_selectorIffN6thrust23THRUST_200600_302600_NS4plusIfEEEEZZNS1_33reduce_by_key_impl_wrapped_configILNS1_25lookback_scan_determinismE1ES3_S9_NS6_6detail15normal_iteratorINS6_10device_ptrIfEEEESG_SG_SG_PmS8_22is_equal_div_10_reduceIfEEE10hipError_tPvRmT2_T3_mT4_T5_T6_T7_T8_P12ihipStream_tbENKUlT_T0_E_clISt17integral_constantIbLb1EES11_EEDaSW_SX_EUlSW_E_NS1_11comp_targetILNS1_3genE10ELNS1_11target_archE1201ELNS1_3gpuE5ELNS1_3repE0EEENS1_30default_config_static_selectorELNS0_4arch9wavefront6targetE0EEEvT1_,comdat
	.protected	_ZN7rocprim17ROCPRIM_400000_NS6detail17trampoline_kernelINS0_14default_configENS1_29reduce_by_key_config_selectorIffN6thrust23THRUST_200600_302600_NS4plusIfEEEEZZNS1_33reduce_by_key_impl_wrapped_configILNS1_25lookback_scan_determinismE1ES3_S9_NS6_6detail15normal_iteratorINS6_10device_ptrIfEEEESG_SG_SG_PmS8_22is_equal_div_10_reduceIfEEE10hipError_tPvRmT2_T3_mT4_T5_T6_T7_T8_P12ihipStream_tbENKUlT_T0_E_clISt17integral_constantIbLb1EES11_EEDaSW_SX_EUlSW_E_NS1_11comp_targetILNS1_3genE10ELNS1_11target_archE1201ELNS1_3gpuE5ELNS1_3repE0EEENS1_30default_config_static_selectorELNS0_4arch9wavefront6targetE0EEEvT1_ ; -- Begin function _ZN7rocprim17ROCPRIM_400000_NS6detail17trampoline_kernelINS0_14default_configENS1_29reduce_by_key_config_selectorIffN6thrust23THRUST_200600_302600_NS4plusIfEEEEZZNS1_33reduce_by_key_impl_wrapped_configILNS1_25lookback_scan_determinismE1ES3_S9_NS6_6detail15normal_iteratorINS6_10device_ptrIfEEEESG_SG_SG_PmS8_22is_equal_div_10_reduceIfEEE10hipError_tPvRmT2_T3_mT4_T5_T6_T7_T8_P12ihipStream_tbENKUlT_T0_E_clISt17integral_constantIbLb1EES11_EEDaSW_SX_EUlSW_E_NS1_11comp_targetILNS1_3genE10ELNS1_11target_archE1201ELNS1_3gpuE5ELNS1_3repE0EEENS1_30default_config_static_selectorELNS0_4arch9wavefront6targetE0EEEvT1_
	.globl	_ZN7rocprim17ROCPRIM_400000_NS6detail17trampoline_kernelINS0_14default_configENS1_29reduce_by_key_config_selectorIffN6thrust23THRUST_200600_302600_NS4plusIfEEEEZZNS1_33reduce_by_key_impl_wrapped_configILNS1_25lookback_scan_determinismE1ES3_S9_NS6_6detail15normal_iteratorINS6_10device_ptrIfEEEESG_SG_SG_PmS8_22is_equal_div_10_reduceIfEEE10hipError_tPvRmT2_T3_mT4_T5_T6_T7_T8_P12ihipStream_tbENKUlT_T0_E_clISt17integral_constantIbLb1EES11_EEDaSW_SX_EUlSW_E_NS1_11comp_targetILNS1_3genE10ELNS1_11target_archE1201ELNS1_3gpuE5ELNS1_3repE0EEENS1_30default_config_static_selectorELNS0_4arch9wavefront6targetE0EEEvT1_
	.p2align	8
	.type	_ZN7rocprim17ROCPRIM_400000_NS6detail17trampoline_kernelINS0_14default_configENS1_29reduce_by_key_config_selectorIffN6thrust23THRUST_200600_302600_NS4plusIfEEEEZZNS1_33reduce_by_key_impl_wrapped_configILNS1_25lookback_scan_determinismE1ES3_S9_NS6_6detail15normal_iteratorINS6_10device_ptrIfEEEESG_SG_SG_PmS8_22is_equal_div_10_reduceIfEEE10hipError_tPvRmT2_T3_mT4_T5_T6_T7_T8_P12ihipStream_tbENKUlT_T0_E_clISt17integral_constantIbLb1EES11_EEDaSW_SX_EUlSW_E_NS1_11comp_targetILNS1_3genE10ELNS1_11target_archE1201ELNS1_3gpuE5ELNS1_3repE0EEENS1_30default_config_static_selectorELNS0_4arch9wavefront6targetE0EEEvT1_,@function
_ZN7rocprim17ROCPRIM_400000_NS6detail17trampoline_kernelINS0_14default_configENS1_29reduce_by_key_config_selectorIffN6thrust23THRUST_200600_302600_NS4plusIfEEEEZZNS1_33reduce_by_key_impl_wrapped_configILNS1_25lookback_scan_determinismE1ES3_S9_NS6_6detail15normal_iteratorINS6_10device_ptrIfEEEESG_SG_SG_PmS8_22is_equal_div_10_reduceIfEEE10hipError_tPvRmT2_T3_mT4_T5_T6_T7_T8_P12ihipStream_tbENKUlT_T0_E_clISt17integral_constantIbLb1EES11_EEDaSW_SX_EUlSW_E_NS1_11comp_targetILNS1_3genE10ELNS1_11target_archE1201ELNS1_3gpuE5ELNS1_3repE0EEENS1_30default_config_static_selectorELNS0_4arch9wavefront6targetE0EEEvT1_: ; @_ZN7rocprim17ROCPRIM_400000_NS6detail17trampoline_kernelINS0_14default_configENS1_29reduce_by_key_config_selectorIffN6thrust23THRUST_200600_302600_NS4plusIfEEEEZZNS1_33reduce_by_key_impl_wrapped_configILNS1_25lookback_scan_determinismE1ES3_S9_NS6_6detail15normal_iteratorINS6_10device_ptrIfEEEESG_SG_SG_PmS8_22is_equal_div_10_reduceIfEEE10hipError_tPvRmT2_T3_mT4_T5_T6_T7_T8_P12ihipStream_tbENKUlT_T0_E_clISt17integral_constantIbLb1EES11_EEDaSW_SX_EUlSW_E_NS1_11comp_targetILNS1_3genE10ELNS1_11target_archE1201ELNS1_3gpuE5ELNS1_3repE0EEENS1_30default_config_static_selectorELNS0_4arch9wavefront6targetE0EEEvT1_
; %bb.0:
	.section	.rodata,"a",@progbits
	.p2align	6, 0x0
	.amdhsa_kernel _ZN7rocprim17ROCPRIM_400000_NS6detail17trampoline_kernelINS0_14default_configENS1_29reduce_by_key_config_selectorIffN6thrust23THRUST_200600_302600_NS4plusIfEEEEZZNS1_33reduce_by_key_impl_wrapped_configILNS1_25lookback_scan_determinismE1ES3_S9_NS6_6detail15normal_iteratorINS6_10device_ptrIfEEEESG_SG_SG_PmS8_22is_equal_div_10_reduceIfEEE10hipError_tPvRmT2_T3_mT4_T5_T6_T7_T8_P12ihipStream_tbENKUlT_T0_E_clISt17integral_constantIbLb1EES11_EEDaSW_SX_EUlSW_E_NS1_11comp_targetILNS1_3genE10ELNS1_11target_archE1201ELNS1_3gpuE5ELNS1_3repE0EEENS1_30default_config_static_selectorELNS0_4arch9wavefront6targetE0EEEvT1_
		.amdhsa_group_segment_fixed_size 0
		.amdhsa_private_segment_fixed_size 0
		.amdhsa_kernarg_size 120
		.amdhsa_user_sgpr_count 15
		.amdhsa_user_sgpr_dispatch_ptr 0
		.amdhsa_user_sgpr_queue_ptr 0
		.amdhsa_user_sgpr_kernarg_segment_ptr 1
		.amdhsa_user_sgpr_dispatch_id 0
		.amdhsa_user_sgpr_private_segment_size 0
		.amdhsa_wavefront_size32 1
		.amdhsa_uses_dynamic_stack 0
		.amdhsa_enable_private_segment 0
		.amdhsa_system_sgpr_workgroup_id_x 1
		.amdhsa_system_sgpr_workgroup_id_y 0
		.amdhsa_system_sgpr_workgroup_id_z 0
		.amdhsa_system_sgpr_workgroup_info 0
		.amdhsa_system_vgpr_workitem_id 0
		.amdhsa_next_free_vgpr 1
		.amdhsa_next_free_sgpr 1
		.amdhsa_reserve_vcc 0
		.amdhsa_float_round_mode_32 0
		.amdhsa_float_round_mode_16_64 0
		.amdhsa_float_denorm_mode_32 3
		.amdhsa_float_denorm_mode_16_64 3
		.amdhsa_dx10_clamp 1
		.amdhsa_ieee_mode 1
		.amdhsa_fp16_overflow 0
		.amdhsa_workgroup_processor_mode 1
		.amdhsa_memory_ordered 1
		.amdhsa_forward_progress 0
		.amdhsa_shared_vgpr_count 0
		.amdhsa_exception_fp_ieee_invalid_op 0
		.amdhsa_exception_fp_denorm_src 0
		.amdhsa_exception_fp_ieee_div_zero 0
		.amdhsa_exception_fp_ieee_overflow 0
		.amdhsa_exception_fp_ieee_underflow 0
		.amdhsa_exception_fp_ieee_inexact 0
		.amdhsa_exception_int_div_zero 0
	.end_amdhsa_kernel
	.section	.text._ZN7rocprim17ROCPRIM_400000_NS6detail17trampoline_kernelINS0_14default_configENS1_29reduce_by_key_config_selectorIffN6thrust23THRUST_200600_302600_NS4plusIfEEEEZZNS1_33reduce_by_key_impl_wrapped_configILNS1_25lookback_scan_determinismE1ES3_S9_NS6_6detail15normal_iteratorINS6_10device_ptrIfEEEESG_SG_SG_PmS8_22is_equal_div_10_reduceIfEEE10hipError_tPvRmT2_T3_mT4_T5_T6_T7_T8_P12ihipStream_tbENKUlT_T0_E_clISt17integral_constantIbLb1EES11_EEDaSW_SX_EUlSW_E_NS1_11comp_targetILNS1_3genE10ELNS1_11target_archE1201ELNS1_3gpuE5ELNS1_3repE0EEENS1_30default_config_static_selectorELNS0_4arch9wavefront6targetE0EEEvT1_,"axG",@progbits,_ZN7rocprim17ROCPRIM_400000_NS6detail17trampoline_kernelINS0_14default_configENS1_29reduce_by_key_config_selectorIffN6thrust23THRUST_200600_302600_NS4plusIfEEEEZZNS1_33reduce_by_key_impl_wrapped_configILNS1_25lookback_scan_determinismE1ES3_S9_NS6_6detail15normal_iteratorINS6_10device_ptrIfEEEESG_SG_SG_PmS8_22is_equal_div_10_reduceIfEEE10hipError_tPvRmT2_T3_mT4_T5_T6_T7_T8_P12ihipStream_tbENKUlT_T0_E_clISt17integral_constantIbLb1EES11_EEDaSW_SX_EUlSW_E_NS1_11comp_targetILNS1_3genE10ELNS1_11target_archE1201ELNS1_3gpuE5ELNS1_3repE0EEENS1_30default_config_static_selectorELNS0_4arch9wavefront6targetE0EEEvT1_,comdat
.Lfunc_end142:
	.size	_ZN7rocprim17ROCPRIM_400000_NS6detail17trampoline_kernelINS0_14default_configENS1_29reduce_by_key_config_selectorIffN6thrust23THRUST_200600_302600_NS4plusIfEEEEZZNS1_33reduce_by_key_impl_wrapped_configILNS1_25lookback_scan_determinismE1ES3_S9_NS6_6detail15normal_iteratorINS6_10device_ptrIfEEEESG_SG_SG_PmS8_22is_equal_div_10_reduceIfEEE10hipError_tPvRmT2_T3_mT4_T5_T6_T7_T8_P12ihipStream_tbENKUlT_T0_E_clISt17integral_constantIbLb1EES11_EEDaSW_SX_EUlSW_E_NS1_11comp_targetILNS1_3genE10ELNS1_11target_archE1201ELNS1_3gpuE5ELNS1_3repE0EEENS1_30default_config_static_selectorELNS0_4arch9wavefront6targetE0EEEvT1_, .Lfunc_end142-_ZN7rocprim17ROCPRIM_400000_NS6detail17trampoline_kernelINS0_14default_configENS1_29reduce_by_key_config_selectorIffN6thrust23THRUST_200600_302600_NS4plusIfEEEEZZNS1_33reduce_by_key_impl_wrapped_configILNS1_25lookback_scan_determinismE1ES3_S9_NS6_6detail15normal_iteratorINS6_10device_ptrIfEEEESG_SG_SG_PmS8_22is_equal_div_10_reduceIfEEE10hipError_tPvRmT2_T3_mT4_T5_T6_T7_T8_P12ihipStream_tbENKUlT_T0_E_clISt17integral_constantIbLb1EES11_EEDaSW_SX_EUlSW_E_NS1_11comp_targetILNS1_3genE10ELNS1_11target_archE1201ELNS1_3gpuE5ELNS1_3repE0EEENS1_30default_config_static_selectorELNS0_4arch9wavefront6targetE0EEEvT1_
                                        ; -- End function
	.section	.AMDGPU.csdata,"",@progbits
; Kernel info:
; codeLenInByte = 0
; NumSgprs: 0
; NumVgprs: 0
; ScratchSize: 0
; MemoryBound: 0
; FloatMode: 240
; IeeeMode: 1
; LDSByteSize: 0 bytes/workgroup (compile time only)
; SGPRBlocks: 0
; VGPRBlocks: 0
; NumSGPRsForWavesPerEU: 1
; NumVGPRsForWavesPerEU: 1
; Occupancy: 16
; WaveLimiterHint : 0
; COMPUTE_PGM_RSRC2:SCRATCH_EN: 0
; COMPUTE_PGM_RSRC2:USER_SGPR: 15
; COMPUTE_PGM_RSRC2:TRAP_HANDLER: 0
; COMPUTE_PGM_RSRC2:TGID_X_EN: 1
; COMPUTE_PGM_RSRC2:TGID_Y_EN: 0
; COMPUTE_PGM_RSRC2:TGID_Z_EN: 0
; COMPUTE_PGM_RSRC2:TIDIG_COMP_CNT: 0
	.section	.text._ZN7rocprim17ROCPRIM_400000_NS6detail17trampoline_kernelINS0_14default_configENS1_29reduce_by_key_config_selectorIffN6thrust23THRUST_200600_302600_NS4plusIfEEEEZZNS1_33reduce_by_key_impl_wrapped_configILNS1_25lookback_scan_determinismE1ES3_S9_NS6_6detail15normal_iteratorINS6_10device_ptrIfEEEESG_SG_SG_PmS8_22is_equal_div_10_reduceIfEEE10hipError_tPvRmT2_T3_mT4_T5_T6_T7_T8_P12ihipStream_tbENKUlT_T0_E_clISt17integral_constantIbLb1EES11_EEDaSW_SX_EUlSW_E_NS1_11comp_targetILNS1_3genE10ELNS1_11target_archE1200ELNS1_3gpuE4ELNS1_3repE0EEENS1_30default_config_static_selectorELNS0_4arch9wavefront6targetE0EEEvT1_,"axG",@progbits,_ZN7rocprim17ROCPRIM_400000_NS6detail17trampoline_kernelINS0_14default_configENS1_29reduce_by_key_config_selectorIffN6thrust23THRUST_200600_302600_NS4plusIfEEEEZZNS1_33reduce_by_key_impl_wrapped_configILNS1_25lookback_scan_determinismE1ES3_S9_NS6_6detail15normal_iteratorINS6_10device_ptrIfEEEESG_SG_SG_PmS8_22is_equal_div_10_reduceIfEEE10hipError_tPvRmT2_T3_mT4_T5_T6_T7_T8_P12ihipStream_tbENKUlT_T0_E_clISt17integral_constantIbLb1EES11_EEDaSW_SX_EUlSW_E_NS1_11comp_targetILNS1_3genE10ELNS1_11target_archE1200ELNS1_3gpuE4ELNS1_3repE0EEENS1_30default_config_static_selectorELNS0_4arch9wavefront6targetE0EEEvT1_,comdat
	.protected	_ZN7rocprim17ROCPRIM_400000_NS6detail17trampoline_kernelINS0_14default_configENS1_29reduce_by_key_config_selectorIffN6thrust23THRUST_200600_302600_NS4plusIfEEEEZZNS1_33reduce_by_key_impl_wrapped_configILNS1_25lookback_scan_determinismE1ES3_S9_NS6_6detail15normal_iteratorINS6_10device_ptrIfEEEESG_SG_SG_PmS8_22is_equal_div_10_reduceIfEEE10hipError_tPvRmT2_T3_mT4_T5_T6_T7_T8_P12ihipStream_tbENKUlT_T0_E_clISt17integral_constantIbLb1EES11_EEDaSW_SX_EUlSW_E_NS1_11comp_targetILNS1_3genE10ELNS1_11target_archE1200ELNS1_3gpuE4ELNS1_3repE0EEENS1_30default_config_static_selectorELNS0_4arch9wavefront6targetE0EEEvT1_ ; -- Begin function _ZN7rocprim17ROCPRIM_400000_NS6detail17trampoline_kernelINS0_14default_configENS1_29reduce_by_key_config_selectorIffN6thrust23THRUST_200600_302600_NS4plusIfEEEEZZNS1_33reduce_by_key_impl_wrapped_configILNS1_25lookback_scan_determinismE1ES3_S9_NS6_6detail15normal_iteratorINS6_10device_ptrIfEEEESG_SG_SG_PmS8_22is_equal_div_10_reduceIfEEE10hipError_tPvRmT2_T3_mT4_T5_T6_T7_T8_P12ihipStream_tbENKUlT_T0_E_clISt17integral_constantIbLb1EES11_EEDaSW_SX_EUlSW_E_NS1_11comp_targetILNS1_3genE10ELNS1_11target_archE1200ELNS1_3gpuE4ELNS1_3repE0EEENS1_30default_config_static_selectorELNS0_4arch9wavefront6targetE0EEEvT1_
	.globl	_ZN7rocprim17ROCPRIM_400000_NS6detail17trampoline_kernelINS0_14default_configENS1_29reduce_by_key_config_selectorIffN6thrust23THRUST_200600_302600_NS4plusIfEEEEZZNS1_33reduce_by_key_impl_wrapped_configILNS1_25lookback_scan_determinismE1ES3_S9_NS6_6detail15normal_iteratorINS6_10device_ptrIfEEEESG_SG_SG_PmS8_22is_equal_div_10_reduceIfEEE10hipError_tPvRmT2_T3_mT4_T5_T6_T7_T8_P12ihipStream_tbENKUlT_T0_E_clISt17integral_constantIbLb1EES11_EEDaSW_SX_EUlSW_E_NS1_11comp_targetILNS1_3genE10ELNS1_11target_archE1200ELNS1_3gpuE4ELNS1_3repE0EEENS1_30default_config_static_selectorELNS0_4arch9wavefront6targetE0EEEvT1_
	.p2align	8
	.type	_ZN7rocprim17ROCPRIM_400000_NS6detail17trampoline_kernelINS0_14default_configENS1_29reduce_by_key_config_selectorIffN6thrust23THRUST_200600_302600_NS4plusIfEEEEZZNS1_33reduce_by_key_impl_wrapped_configILNS1_25lookback_scan_determinismE1ES3_S9_NS6_6detail15normal_iteratorINS6_10device_ptrIfEEEESG_SG_SG_PmS8_22is_equal_div_10_reduceIfEEE10hipError_tPvRmT2_T3_mT4_T5_T6_T7_T8_P12ihipStream_tbENKUlT_T0_E_clISt17integral_constantIbLb1EES11_EEDaSW_SX_EUlSW_E_NS1_11comp_targetILNS1_3genE10ELNS1_11target_archE1200ELNS1_3gpuE4ELNS1_3repE0EEENS1_30default_config_static_selectorELNS0_4arch9wavefront6targetE0EEEvT1_,@function
_ZN7rocprim17ROCPRIM_400000_NS6detail17trampoline_kernelINS0_14default_configENS1_29reduce_by_key_config_selectorIffN6thrust23THRUST_200600_302600_NS4plusIfEEEEZZNS1_33reduce_by_key_impl_wrapped_configILNS1_25lookback_scan_determinismE1ES3_S9_NS6_6detail15normal_iteratorINS6_10device_ptrIfEEEESG_SG_SG_PmS8_22is_equal_div_10_reduceIfEEE10hipError_tPvRmT2_T3_mT4_T5_T6_T7_T8_P12ihipStream_tbENKUlT_T0_E_clISt17integral_constantIbLb1EES11_EEDaSW_SX_EUlSW_E_NS1_11comp_targetILNS1_3genE10ELNS1_11target_archE1200ELNS1_3gpuE4ELNS1_3repE0EEENS1_30default_config_static_selectorELNS0_4arch9wavefront6targetE0EEEvT1_: ; @_ZN7rocprim17ROCPRIM_400000_NS6detail17trampoline_kernelINS0_14default_configENS1_29reduce_by_key_config_selectorIffN6thrust23THRUST_200600_302600_NS4plusIfEEEEZZNS1_33reduce_by_key_impl_wrapped_configILNS1_25lookback_scan_determinismE1ES3_S9_NS6_6detail15normal_iteratorINS6_10device_ptrIfEEEESG_SG_SG_PmS8_22is_equal_div_10_reduceIfEEE10hipError_tPvRmT2_T3_mT4_T5_T6_T7_T8_P12ihipStream_tbENKUlT_T0_E_clISt17integral_constantIbLb1EES11_EEDaSW_SX_EUlSW_E_NS1_11comp_targetILNS1_3genE10ELNS1_11target_archE1200ELNS1_3gpuE4ELNS1_3repE0EEENS1_30default_config_static_selectorELNS0_4arch9wavefront6targetE0EEEvT1_
; %bb.0:
	.section	.rodata,"a",@progbits
	.p2align	6, 0x0
	.amdhsa_kernel _ZN7rocprim17ROCPRIM_400000_NS6detail17trampoline_kernelINS0_14default_configENS1_29reduce_by_key_config_selectorIffN6thrust23THRUST_200600_302600_NS4plusIfEEEEZZNS1_33reduce_by_key_impl_wrapped_configILNS1_25lookback_scan_determinismE1ES3_S9_NS6_6detail15normal_iteratorINS6_10device_ptrIfEEEESG_SG_SG_PmS8_22is_equal_div_10_reduceIfEEE10hipError_tPvRmT2_T3_mT4_T5_T6_T7_T8_P12ihipStream_tbENKUlT_T0_E_clISt17integral_constantIbLb1EES11_EEDaSW_SX_EUlSW_E_NS1_11comp_targetILNS1_3genE10ELNS1_11target_archE1200ELNS1_3gpuE4ELNS1_3repE0EEENS1_30default_config_static_selectorELNS0_4arch9wavefront6targetE0EEEvT1_
		.amdhsa_group_segment_fixed_size 0
		.amdhsa_private_segment_fixed_size 0
		.amdhsa_kernarg_size 120
		.amdhsa_user_sgpr_count 15
		.amdhsa_user_sgpr_dispatch_ptr 0
		.amdhsa_user_sgpr_queue_ptr 0
		.amdhsa_user_sgpr_kernarg_segment_ptr 1
		.amdhsa_user_sgpr_dispatch_id 0
		.amdhsa_user_sgpr_private_segment_size 0
		.amdhsa_wavefront_size32 1
		.amdhsa_uses_dynamic_stack 0
		.amdhsa_enable_private_segment 0
		.amdhsa_system_sgpr_workgroup_id_x 1
		.amdhsa_system_sgpr_workgroup_id_y 0
		.amdhsa_system_sgpr_workgroup_id_z 0
		.amdhsa_system_sgpr_workgroup_info 0
		.amdhsa_system_vgpr_workitem_id 0
		.amdhsa_next_free_vgpr 1
		.amdhsa_next_free_sgpr 1
		.amdhsa_reserve_vcc 0
		.amdhsa_float_round_mode_32 0
		.amdhsa_float_round_mode_16_64 0
		.amdhsa_float_denorm_mode_32 3
		.amdhsa_float_denorm_mode_16_64 3
		.amdhsa_dx10_clamp 1
		.amdhsa_ieee_mode 1
		.amdhsa_fp16_overflow 0
		.amdhsa_workgroup_processor_mode 1
		.amdhsa_memory_ordered 1
		.amdhsa_forward_progress 0
		.amdhsa_shared_vgpr_count 0
		.amdhsa_exception_fp_ieee_invalid_op 0
		.amdhsa_exception_fp_denorm_src 0
		.amdhsa_exception_fp_ieee_div_zero 0
		.amdhsa_exception_fp_ieee_overflow 0
		.amdhsa_exception_fp_ieee_underflow 0
		.amdhsa_exception_fp_ieee_inexact 0
		.amdhsa_exception_int_div_zero 0
	.end_amdhsa_kernel
	.section	.text._ZN7rocprim17ROCPRIM_400000_NS6detail17trampoline_kernelINS0_14default_configENS1_29reduce_by_key_config_selectorIffN6thrust23THRUST_200600_302600_NS4plusIfEEEEZZNS1_33reduce_by_key_impl_wrapped_configILNS1_25lookback_scan_determinismE1ES3_S9_NS6_6detail15normal_iteratorINS6_10device_ptrIfEEEESG_SG_SG_PmS8_22is_equal_div_10_reduceIfEEE10hipError_tPvRmT2_T3_mT4_T5_T6_T7_T8_P12ihipStream_tbENKUlT_T0_E_clISt17integral_constantIbLb1EES11_EEDaSW_SX_EUlSW_E_NS1_11comp_targetILNS1_3genE10ELNS1_11target_archE1200ELNS1_3gpuE4ELNS1_3repE0EEENS1_30default_config_static_selectorELNS0_4arch9wavefront6targetE0EEEvT1_,"axG",@progbits,_ZN7rocprim17ROCPRIM_400000_NS6detail17trampoline_kernelINS0_14default_configENS1_29reduce_by_key_config_selectorIffN6thrust23THRUST_200600_302600_NS4plusIfEEEEZZNS1_33reduce_by_key_impl_wrapped_configILNS1_25lookback_scan_determinismE1ES3_S9_NS6_6detail15normal_iteratorINS6_10device_ptrIfEEEESG_SG_SG_PmS8_22is_equal_div_10_reduceIfEEE10hipError_tPvRmT2_T3_mT4_T5_T6_T7_T8_P12ihipStream_tbENKUlT_T0_E_clISt17integral_constantIbLb1EES11_EEDaSW_SX_EUlSW_E_NS1_11comp_targetILNS1_3genE10ELNS1_11target_archE1200ELNS1_3gpuE4ELNS1_3repE0EEENS1_30default_config_static_selectorELNS0_4arch9wavefront6targetE0EEEvT1_,comdat
.Lfunc_end143:
	.size	_ZN7rocprim17ROCPRIM_400000_NS6detail17trampoline_kernelINS0_14default_configENS1_29reduce_by_key_config_selectorIffN6thrust23THRUST_200600_302600_NS4plusIfEEEEZZNS1_33reduce_by_key_impl_wrapped_configILNS1_25lookback_scan_determinismE1ES3_S9_NS6_6detail15normal_iteratorINS6_10device_ptrIfEEEESG_SG_SG_PmS8_22is_equal_div_10_reduceIfEEE10hipError_tPvRmT2_T3_mT4_T5_T6_T7_T8_P12ihipStream_tbENKUlT_T0_E_clISt17integral_constantIbLb1EES11_EEDaSW_SX_EUlSW_E_NS1_11comp_targetILNS1_3genE10ELNS1_11target_archE1200ELNS1_3gpuE4ELNS1_3repE0EEENS1_30default_config_static_selectorELNS0_4arch9wavefront6targetE0EEEvT1_, .Lfunc_end143-_ZN7rocprim17ROCPRIM_400000_NS6detail17trampoline_kernelINS0_14default_configENS1_29reduce_by_key_config_selectorIffN6thrust23THRUST_200600_302600_NS4plusIfEEEEZZNS1_33reduce_by_key_impl_wrapped_configILNS1_25lookback_scan_determinismE1ES3_S9_NS6_6detail15normal_iteratorINS6_10device_ptrIfEEEESG_SG_SG_PmS8_22is_equal_div_10_reduceIfEEE10hipError_tPvRmT2_T3_mT4_T5_T6_T7_T8_P12ihipStream_tbENKUlT_T0_E_clISt17integral_constantIbLb1EES11_EEDaSW_SX_EUlSW_E_NS1_11comp_targetILNS1_3genE10ELNS1_11target_archE1200ELNS1_3gpuE4ELNS1_3repE0EEENS1_30default_config_static_selectorELNS0_4arch9wavefront6targetE0EEEvT1_
                                        ; -- End function
	.section	.AMDGPU.csdata,"",@progbits
; Kernel info:
; codeLenInByte = 0
; NumSgprs: 0
; NumVgprs: 0
; ScratchSize: 0
; MemoryBound: 0
; FloatMode: 240
; IeeeMode: 1
; LDSByteSize: 0 bytes/workgroup (compile time only)
; SGPRBlocks: 0
; VGPRBlocks: 0
; NumSGPRsForWavesPerEU: 1
; NumVGPRsForWavesPerEU: 1
; Occupancy: 16
; WaveLimiterHint : 0
; COMPUTE_PGM_RSRC2:SCRATCH_EN: 0
; COMPUTE_PGM_RSRC2:USER_SGPR: 15
; COMPUTE_PGM_RSRC2:TRAP_HANDLER: 0
; COMPUTE_PGM_RSRC2:TGID_X_EN: 1
; COMPUTE_PGM_RSRC2:TGID_Y_EN: 0
; COMPUTE_PGM_RSRC2:TGID_Z_EN: 0
; COMPUTE_PGM_RSRC2:TIDIG_COMP_CNT: 0
	.section	.text._ZN7rocprim17ROCPRIM_400000_NS6detail17trampoline_kernelINS0_14default_configENS1_29reduce_by_key_config_selectorIffN6thrust23THRUST_200600_302600_NS4plusIfEEEEZZNS1_33reduce_by_key_impl_wrapped_configILNS1_25lookback_scan_determinismE1ES3_S9_NS6_6detail15normal_iteratorINS6_10device_ptrIfEEEESG_SG_SG_PmS8_22is_equal_div_10_reduceIfEEE10hipError_tPvRmT2_T3_mT4_T5_T6_T7_T8_P12ihipStream_tbENKUlT_T0_E_clISt17integral_constantIbLb1EES11_EEDaSW_SX_EUlSW_E_NS1_11comp_targetILNS1_3genE9ELNS1_11target_archE1100ELNS1_3gpuE3ELNS1_3repE0EEENS1_30default_config_static_selectorELNS0_4arch9wavefront6targetE0EEEvT1_,"axG",@progbits,_ZN7rocprim17ROCPRIM_400000_NS6detail17trampoline_kernelINS0_14default_configENS1_29reduce_by_key_config_selectorIffN6thrust23THRUST_200600_302600_NS4plusIfEEEEZZNS1_33reduce_by_key_impl_wrapped_configILNS1_25lookback_scan_determinismE1ES3_S9_NS6_6detail15normal_iteratorINS6_10device_ptrIfEEEESG_SG_SG_PmS8_22is_equal_div_10_reduceIfEEE10hipError_tPvRmT2_T3_mT4_T5_T6_T7_T8_P12ihipStream_tbENKUlT_T0_E_clISt17integral_constantIbLb1EES11_EEDaSW_SX_EUlSW_E_NS1_11comp_targetILNS1_3genE9ELNS1_11target_archE1100ELNS1_3gpuE3ELNS1_3repE0EEENS1_30default_config_static_selectorELNS0_4arch9wavefront6targetE0EEEvT1_,comdat
	.protected	_ZN7rocprim17ROCPRIM_400000_NS6detail17trampoline_kernelINS0_14default_configENS1_29reduce_by_key_config_selectorIffN6thrust23THRUST_200600_302600_NS4plusIfEEEEZZNS1_33reduce_by_key_impl_wrapped_configILNS1_25lookback_scan_determinismE1ES3_S9_NS6_6detail15normal_iteratorINS6_10device_ptrIfEEEESG_SG_SG_PmS8_22is_equal_div_10_reduceIfEEE10hipError_tPvRmT2_T3_mT4_T5_T6_T7_T8_P12ihipStream_tbENKUlT_T0_E_clISt17integral_constantIbLb1EES11_EEDaSW_SX_EUlSW_E_NS1_11comp_targetILNS1_3genE9ELNS1_11target_archE1100ELNS1_3gpuE3ELNS1_3repE0EEENS1_30default_config_static_selectorELNS0_4arch9wavefront6targetE0EEEvT1_ ; -- Begin function _ZN7rocprim17ROCPRIM_400000_NS6detail17trampoline_kernelINS0_14default_configENS1_29reduce_by_key_config_selectorIffN6thrust23THRUST_200600_302600_NS4plusIfEEEEZZNS1_33reduce_by_key_impl_wrapped_configILNS1_25lookback_scan_determinismE1ES3_S9_NS6_6detail15normal_iteratorINS6_10device_ptrIfEEEESG_SG_SG_PmS8_22is_equal_div_10_reduceIfEEE10hipError_tPvRmT2_T3_mT4_T5_T6_T7_T8_P12ihipStream_tbENKUlT_T0_E_clISt17integral_constantIbLb1EES11_EEDaSW_SX_EUlSW_E_NS1_11comp_targetILNS1_3genE9ELNS1_11target_archE1100ELNS1_3gpuE3ELNS1_3repE0EEENS1_30default_config_static_selectorELNS0_4arch9wavefront6targetE0EEEvT1_
	.globl	_ZN7rocprim17ROCPRIM_400000_NS6detail17trampoline_kernelINS0_14default_configENS1_29reduce_by_key_config_selectorIffN6thrust23THRUST_200600_302600_NS4plusIfEEEEZZNS1_33reduce_by_key_impl_wrapped_configILNS1_25lookback_scan_determinismE1ES3_S9_NS6_6detail15normal_iteratorINS6_10device_ptrIfEEEESG_SG_SG_PmS8_22is_equal_div_10_reduceIfEEE10hipError_tPvRmT2_T3_mT4_T5_T6_T7_T8_P12ihipStream_tbENKUlT_T0_E_clISt17integral_constantIbLb1EES11_EEDaSW_SX_EUlSW_E_NS1_11comp_targetILNS1_3genE9ELNS1_11target_archE1100ELNS1_3gpuE3ELNS1_3repE0EEENS1_30default_config_static_selectorELNS0_4arch9wavefront6targetE0EEEvT1_
	.p2align	8
	.type	_ZN7rocprim17ROCPRIM_400000_NS6detail17trampoline_kernelINS0_14default_configENS1_29reduce_by_key_config_selectorIffN6thrust23THRUST_200600_302600_NS4plusIfEEEEZZNS1_33reduce_by_key_impl_wrapped_configILNS1_25lookback_scan_determinismE1ES3_S9_NS6_6detail15normal_iteratorINS6_10device_ptrIfEEEESG_SG_SG_PmS8_22is_equal_div_10_reduceIfEEE10hipError_tPvRmT2_T3_mT4_T5_T6_T7_T8_P12ihipStream_tbENKUlT_T0_E_clISt17integral_constantIbLb1EES11_EEDaSW_SX_EUlSW_E_NS1_11comp_targetILNS1_3genE9ELNS1_11target_archE1100ELNS1_3gpuE3ELNS1_3repE0EEENS1_30default_config_static_selectorELNS0_4arch9wavefront6targetE0EEEvT1_,@function
_ZN7rocprim17ROCPRIM_400000_NS6detail17trampoline_kernelINS0_14default_configENS1_29reduce_by_key_config_selectorIffN6thrust23THRUST_200600_302600_NS4plusIfEEEEZZNS1_33reduce_by_key_impl_wrapped_configILNS1_25lookback_scan_determinismE1ES3_S9_NS6_6detail15normal_iteratorINS6_10device_ptrIfEEEESG_SG_SG_PmS8_22is_equal_div_10_reduceIfEEE10hipError_tPvRmT2_T3_mT4_T5_T6_T7_T8_P12ihipStream_tbENKUlT_T0_E_clISt17integral_constantIbLb1EES11_EEDaSW_SX_EUlSW_E_NS1_11comp_targetILNS1_3genE9ELNS1_11target_archE1100ELNS1_3gpuE3ELNS1_3repE0EEENS1_30default_config_static_selectorELNS0_4arch9wavefront6targetE0EEEvT1_: ; @_ZN7rocprim17ROCPRIM_400000_NS6detail17trampoline_kernelINS0_14default_configENS1_29reduce_by_key_config_selectorIffN6thrust23THRUST_200600_302600_NS4plusIfEEEEZZNS1_33reduce_by_key_impl_wrapped_configILNS1_25lookback_scan_determinismE1ES3_S9_NS6_6detail15normal_iteratorINS6_10device_ptrIfEEEESG_SG_SG_PmS8_22is_equal_div_10_reduceIfEEE10hipError_tPvRmT2_T3_mT4_T5_T6_T7_T8_P12ihipStream_tbENKUlT_T0_E_clISt17integral_constantIbLb1EES11_EEDaSW_SX_EUlSW_E_NS1_11comp_targetILNS1_3genE9ELNS1_11target_archE1100ELNS1_3gpuE3ELNS1_3repE0EEENS1_30default_config_static_selectorELNS0_4arch9wavefront6targetE0EEEvT1_
; %bb.0:
	s_clause 0x4
	s_load_b256 s[12:19], s[0:1], 0x0
	s_load_b128 s[28:31], s[0:1], 0x20
	s_load_b256 s[20:27], s[0:1], 0x38
	s_load_b64 s[34:35], s[0:1], 0x68
	s_load_b128 s[36:39], s[0:1], 0x58
	v_cmp_ne_u32_e64 s3, 0, v0
	v_cmp_eq_u32_e64 s2, 0, v0
	s_delay_alu instid0(VALU_DEP_1)
	s_and_saveexec_b32 s4, s2
	s_cbranch_execz .LBB144_4
; %bb.1:
	s_mov_b32 s6, exec_lo
	s_mov_b32 s5, exec_lo
	v_mbcnt_lo_u32_b32 v1, s6, 0
                                        ; implicit-def: $vgpr2
	s_delay_alu instid0(VALU_DEP_1)
	v_cmpx_eq_u32_e32 0, v1
	s_cbranch_execz .LBB144_3
; %bb.2:
	s_load_b64 s[0:1], s[0:1], 0x70
	s_bcnt1_i32_b32 s6, s6
	s_delay_alu instid0(SALU_CYCLE_1)
	v_dual_mov_b32 v2, 0 :: v_dual_mov_b32 v3, s6
	s_waitcnt lgkmcnt(0)
	global_atomic_add_u32 v2, v2, v3, s[0:1] glc
.LBB144_3:
	s_or_b32 exec_lo, exec_lo, s5
	s_waitcnt vmcnt(0)
	v_readfirstlane_b32 s0, v2
	s_delay_alu instid0(VALU_DEP_1)
	v_dual_mov_b32 v2, 0 :: v_dual_add_nc_u32 v1, s0, v1
	ds_store_b32 v2, v1
.LBB144_4:
	s_or_b32 exec_lo, exec_lo, s4
	v_mov_b32_e32 v2, 0
	s_waitcnt lgkmcnt(0)
	s_barrier
	buffer_gl0_inv
	s_lshl_b64 s[4:5], s[14:15], 2
	ds_load_b32 v1, v2
	s_add_u32 s9, s12, s4
	s_mul_i32 s1, s24, s23
	s_mul_hi_u32 s6, s24, s22
	s_addc_u32 s10, s13, s5
	s_add_u32 s11, s16, s4
	s_mul_i32 s7, s25, s22
	s_addc_u32 s12, s17, s5
	s_add_i32 s1, s6, s1
	s_mul_i32 s8, s24, s22
	s_add_i32 s1, s1, s7
	s_mov_b32 s0, 0
	s_waitcnt lgkmcnt(0)
	s_barrier
	buffer_gl0_inv
	v_readfirstlane_b32 s40, v1
	v_mul_lo_u32 v1, 0xf00, v1
	s_delay_alu instid0(VALU_DEP_2) | instskip(SKIP_3) | instid1(VALU_DEP_1)
	s_add_u32 s24, s8, s40
	s_addc_u32 s25, s1, 0
	s_add_u32 s4, s26, -1
	s_addc_u32 s5, s27, -1
	v_lshlrev_b64 v[3:4], 2, v[1:2]
	s_cmp_eq_u64 s[24:25], s[4:5]
	s_mul_i32 s33, s4, 0xfffff100
	s_cselect_b32 s17, -1, 0
	s_cmp_lg_u64 s[24:25], s[4:5]
	s_delay_alu instid0(VALU_DEP_1)
	v_add_co_u32 v1, vcc_lo, s9, v3
	v_add_co_ci_u32_e32 v2, vcc_lo, s10, v4, vcc_lo
	v_add_co_u32 v3, vcc_lo, s11, v3
	v_add_co_ci_u32_e32 v4, vcc_lo, s12, v4, vcc_lo
	s_cselect_b32 s26, -1, 0
	s_and_b32 vcc_lo, exec_lo, s17
	s_cbranch_vccnz .LBB144_6
; %bb.5:
	v_lshlrev_b32_e32 v29, 2, v0
	s_delay_alu instid0(VALU_DEP_1) | instskip(SKIP_1) | instid1(VALU_DEP_2)
	v_add_co_u32 v5, vcc_lo, v1, v29
	v_add_co_ci_u32_e32 v6, vcc_lo, 0, v2, vcc_lo
	v_add_co_u32 v7, vcc_lo, 0x1000, v5
	s_delay_alu instid0(VALU_DEP_2)
	v_add_co_ci_u32_e32 v8, vcc_lo, 0, v6, vcc_lo
	s_clause 0x7
	flat_load_b32 v9, v[5:6]
	flat_load_b32 v10, v[5:6] offset:1024
	flat_load_b32 v11, v[5:6] offset:2048
	;; [unrolled: 1-line block ×3, first 2 shown]
	flat_load_b32 v13, v[7:8]
	flat_load_b32 v14, v[7:8] offset:1024
	flat_load_b32 v15, v[7:8] offset:2048
	;; [unrolled: 1-line block ×3, first 2 shown]
	v_add_co_u32 v7, vcc_lo, 0x2000, v5
	v_add_co_ci_u32_e32 v8, vcc_lo, 0, v6, vcc_lo
	v_add_co_u32 v5, vcc_lo, 0x3000, v5
	v_add_co_ci_u32_e32 v6, vcc_lo, 0, v6, vcc_lo
	s_clause 0x6
	flat_load_b32 v17, v[7:8]
	flat_load_b32 v18, v[7:8] offset:1024
	flat_load_b32 v19, v[7:8] offset:2048
	;; [unrolled: 1-line block ×3, first 2 shown]
	flat_load_b32 v20, v[5:6]
	flat_load_b32 v21, v[5:6] offset:1024
	flat_load_b32 v22, v[5:6] offset:2048
	v_add_co_u32 v6, vcc_lo, v3, v29
	v_add_co_ci_u32_e32 v7, vcc_lo, 0, v4, vcc_lo
	v_mad_u32_u24 v5, v0, 56, v29
	s_delay_alu instid0(VALU_DEP_3) | instskip(NEXT) | instid1(VALU_DEP_3)
	v_add_co_u32 v23, vcc_lo, 0x1000, v6
	v_add_co_ci_u32_e32 v24, vcc_lo, 0, v7, vcc_lo
	v_add_co_u32 v25, vcc_lo, 0x2000, v6
	v_add_co_ci_u32_e32 v26, vcc_lo, 0, v7, vcc_lo
	v_add_co_u32 v27, vcc_lo, 0x3000, v6
	v_add_co_ci_u32_e32 v28, vcc_lo, 0, v7, vcc_lo
	s_waitcnt vmcnt(13) lgkmcnt(13)
	ds_store_2addr_stride64_b32 v29, v9, v10 offset1:4
	s_waitcnt vmcnt(11) lgkmcnt(12)
	ds_store_2addr_stride64_b32 v29, v11, v12 offset0:8 offset1:12
	s_waitcnt vmcnt(9) lgkmcnt(11)
	ds_store_2addr_stride64_b32 v29, v13, v14 offset0:16 offset1:20
	;; [unrolled: 2-line block ×6, first 2 shown]
	s_waitcnt vmcnt(0) lgkmcnt(7)
	ds_store_b32 v29, v22 offset:14336
	s_waitcnt lgkmcnt(0)
	s_barrier
	buffer_gl0_inv
	ds_load_2addr_b32 v[21:22], v5 offset1:1
	ds_load_2addr_b32 v[19:20], v5 offset0:2 offset1:3
	ds_load_2addr_b32 v[17:18], v5 offset0:4 offset1:5
	;; [unrolled: 1-line block ×6, first 2 shown]
	ds_load_b32 v57, v5 offset:56
	s_waitcnt lgkmcnt(0)
	s_barrier
	buffer_gl0_inv
	s_clause 0xe
	flat_load_b32 v8, v[6:7]
	flat_load_b32 v30, v[6:7] offset:1024
	flat_load_b32 v31, v[6:7] offset:2048
	flat_load_b32 v6, v[6:7] offset:3072
	flat_load_b32 v7, v[23:24]
	flat_load_b32 v32, v[23:24] offset:1024
	flat_load_b32 v33, v[23:24] offset:2048
	flat_load_b32 v23, v[23:24] offset:3072
	;; [unrolled: 4-line block ×3, first 2 shown]
	flat_load_b32 v26, v[27:28]
	flat_load_b32 v36, v[27:28] offset:1024
	flat_load_b32 v27, v[27:28] offset:2048
	s_waitcnt vmcnt(13) lgkmcnt(13)
	ds_store_2addr_stride64_b32 v29, v8, v30 offset1:4
	s_waitcnt vmcnt(11) lgkmcnt(12)
	ds_store_2addr_stride64_b32 v29, v31, v6 offset0:8 offset1:12
	s_waitcnt vmcnt(9) lgkmcnt(11)
	ds_store_2addr_stride64_b32 v29, v7, v32 offset0:16 offset1:20
	;; [unrolled: 2-line block ×6, first 2 shown]
	s_waitcnt vmcnt(0) lgkmcnt(7)
	ds_store_b32 v29, v27 offset:14336
	s_waitcnt lgkmcnt(0)
	s_barrier
	s_and_not1_b32 vcc_lo, exec_lo, s0
	s_add_i32 s33, s33, s36
	s_cbranch_vccz .LBB144_7
	s_branch .LBB144_54
.LBB144_6:
                                        ; implicit-def: $vgpr5
                                        ; implicit-def: $vgpr21
                                        ; implicit-def: $vgpr19
                                        ; implicit-def: $vgpr17
                                        ; implicit-def: $vgpr15
                                        ; implicit-def: $vgpr13
                                        ; implicit-def: $vgpr11
                                        ; implicit-def: $vgpr9
                                        ; implicit-def: $vgpr57
	s_add_i32 s33, s33, s36
.LBB144_7:
	s_delay_alu instid0(SALU_CYCLE_1)
	v_cmp_gt_u32_e32 vcc_lo, s33, v0
                                        ; implicit-def: $vgpr5
	s_and_saveexec_b32 s1, vcc_lo
	s_cbranch_execz .LBB144_9
; %bb.8:
	v_lshlrev_b32_e32 v5, 2, v0
	s_delay_alu instid0(VALU_DEP_1) | instskip(NEXT) | instid1(VALU_DEP_1)
	v_add_co_u32 v5, s0, v1, v5
	v_add_co_ci_u32_e64 v6, s0, 0, v2, s0
	flat_load_b32 v5, v[5:6]
.LBB144_9:
	s_or_b32 exec_lo, exec_lo, s1
	v_or_b32_e32 v6, 0x100, v0
                                        ; implicit-def: $vgpr9
	s_delay_alu instid0(VALU_DEP_1) | instskip(NEXT) | instid1(VALU_DEP_1)
	v_cmp_gt_u32_e64 s0, s33, v6
	s_and_saveexec_b32 s4, s0
	s_cbranch_execz .LBB144_11
; %bb.10:
	v_lshlrev_b32_e32 v6, 2, v0
	s_delay_alu instid0(VALU_DEP_1) | instskip(NEXT) | instid1(VALU_DEP_1)
	v_add_co_u32 v6, s1, v1, v6
	v_add_co_ci_u32_e64 v7, s1, 0, v2, s1
	flat_load_b32 v9, v[6:7] offset:1024
.LBB144_11:
	s_or_b32 exec_lo, exec_lo, s4
	v_or_b32_e32 v6, 0x200, v0
                                        ; implicit-def: $vgpr10
	s_delay_alu instid0(VALU_DEP_1) | instskip(NEXT) | instid1(VALU_DEP_1)
	v_cmp_gt_u32_e64 s1, s33, v6
	s_and_saveexec_b32 s5, s1
	s_cbranch_execz .LBB144_13
; %bb.12:
	v_lshlrev_b32_e32 v6, 2, v0
	s_delay_alu instid0(VALU_DEP_1) | instskip(NEXT) | instid1(VALU_DEP_1)
	v_add_co_u32 v6, s4, v1, v6
	v_add_co_ci_u32_e64 v7, s4, 0, v2, s4
	flat_load_b32 v10, v[6:7] offset:2048
.LBB144_13:
	s_or_b32 exec_lo, exec_lo, s5
	v_or_b32_e32 v6, 0x300, v0
                                        ; implicit-def: $vgpr11
	s_delay_alu instid0(VALU_DEP_1) | instskip(NEXT) | instid1(VALU_DEP_1)
	v_cmp_gt_u32_e64 s4, s33, v6
	s_and_saveexec_b32 s6, s4
	s_cbranch_execz .LBB144_15
; %bb.14:
	v_lshlrev_b32_e32 v6, 2, v0
	s_delay_alu instid0(VALU_DEP_1) | instskip(NEXT) | instid1(VALU_DEP_1)
	v_add_co_u32 v6, s5, v1, v6
	v_add_co_ci_u32_e64 v7, s5, 0, v2, s5
	flat_load_b32 v11, v[6:7] offset:3072
.LBB144_15:
	s_or_b32 exec_lo, exec_lo, s6
	v_or_b32_e32 v6, 0x400, v0
                                        ; implicit-def: $vgpr12
	s_delay_alu instid0(VALU_DEP_1) | instskip(NEXT) | instid1(VALU_DEP_1)
	v_cmp_gt_u32_e64 s5, s33, v6
	s_and_saveexec_b32 s7, s5
	s_cbranch_execz .LBB144_17
; %bb.16:
	v_lshlrev_b32_e32 v7, 2, v6
	s_delay_alu instid0(VALU_DEP_1) | instskip(NEXT) | instid1(VALU_DEP_1)
	v_add_co_u32 v7, s6, v1, v7
	v_add_co_ci_u32_e64 v8, s6, 0, v2, s6
	flat_load_b32 v12, v[7:8]
.LBB144_17:
	s_or_b32 exec_lo, exec_lo, s7
	v_or_b32_e32 v7, 0x500, v0
                                        ; implicit-def: $vgpr13
	s_delay_alu instid0(VALU_DEP_1) | instskip(NEXT) | instid1(VALU_DEP_1)
	v_cmp_gt_u32_e64 s6, s33, v7
	s_and_saveexec_b32 s8, s6
	s_cbranch_execz .LBB144_19
; %bb.18:
	v_lshlrev_b32_e32 v8, 2, v7
	s_delay_alu instid0(VALU_DEP_1) | instskip(NEXT) | instid1(VALU_DEP_1)
	v_add_co_u32 v13, s7, v1, v8
	v_add_co_ci_u32_e64 v14, s7, 0, v2, s7
	flat_load_b32 v13, v[13:14]
.LBB144_19:
	s_or_b32 exec_lo, exec_lo, s8
	v_or_b32_e32 v8, 0x600, v0
                                        ; implicit-def: $vgpr14
	s_delay_alu instid0(VALU_DEP_1) | instskip(NEXT) | instid1(VALU_DEP_1)
	v_cmp_gt_u32_e64 s7, s33, v8
	s_and_saveexec_b32 s9, s7
	s_cbranch_execz .LBB144_21
; %bb.20:
	v_lshlrev_b32_e32 v14, 2, v8
	s_delay_alu instid0(VALU_DEP_1) | instskip(NEXT) | instid1(VALU_DEP_1)
	v_add_co_u32 v14, s8, v1, v14
	v_add_co_ci_u32_e64 v15, s8, 0, v2, s8
	flat_load_b32 v14, v[14:15]
.LBB144_21:
	s_or_b32 exec_lo, exec_lo, s9
	v_or_b32_e32 v23, 0x700, v0
                                        ; implicit-def: $vgpr15
	s_delay_alu instid0(VALU_DEP_1) | instskip(NEXT) | instid1(VALU_DEP_1)
	v_cmp_gt_u32_e64 s8, s33, v23
	s_and_saveexec_b32 s10, s8
	s_cbranch_execz .LBB144_23
; %bb.22:
	v_lshlrev_b32_e32 v15, 2, v23
	s_delay_alu instid0(VALU_DEP_1) | instskip(NEXT) | instid1(VALU_DEP_1)
	v_add_co_u32 v15, s9, v1, v15
	v_add_co_ci_u32_e64 v16, s9, 0, v2, s9
	flat_load_b32 v15, v[15:16]
.LBB144_23:
	s_or_b32 exec_lo, exec_lo, s10
	v_or_b32_e32 v24, 0x800, v0
                                        ; implicit-def: $vgpr16
	s_delay_alu instid0(VALU_DEP_1) | instskip(NEXT) | instid1(VALU_DEP_1)
	v_cmp_gt_u32_e64 s9, s33, v24
	s_and_saveexec_b32 s11, s9
	s_cbranch_execz .LBB144_25
; %bb.24:
	v_lshlrev_b32_e32 v16, 2, v24
	s_delay_alu instid0(VALU_DEP_1) | instskip(NEXT) | instid1(VALU_DEP_1)
	v_add_co_u32 v16, s10, v1, v16
	v_add_co_ci_u32_e64 v17, s10, 0, v2, s10
	flat_load_b32 v16, v[16:17]
.LBB144_25:
	s_or_b32 exec_lo, exec_lo, s11
	v_or_b32_e32 v26, 0x900, v0
                                        ; implicit-def: $vgpr17
	s_delay_alu instid0(VALU_DEP_1) | instskip(NEXT) | instid1(VALU_DEP_1)
	v_cmp_gt_u32_e64 s10, s33, v26
	s_and_saveexec_b32 s12, s10
	s_cbranch_execz .LBB144_27
; %bb.26:
	v_lshlrev_b32_e32 v17, 2, v26
	s_delay_alu instid0(VALU_DEP_1) | instskip(NEXT) | instid1(VALU_DEP_1)
	v_add_co_u32 v17, s11, v1, v17
	v_add_co_ci_u32_e64 v18, s11, 0, v2, s11
	flat_load_b32 v17, v[17:18]
.LBB144_27:
	s_or_b32 exec_lo, exec_lo, s12
	v_or_b32_e32 v27, 0xa00, v0
                                        ; implicit-def: $vgpr18
	s_delay_alu instid0(VALU_DEP_1) | instskip(NEXT) | instid1(VALU_DEP_1)
	v_cmp_gt_u32_e64 s11, s33, v27
	s_and_saveexec_b32 s13, s11
	s_cbranch_execz .LBB144_29
; %bb.28:
	v_lshlrev_b32_e32 v18, 2, v27
	s_delay_alu instid0(VALU_DEP_1) | instskip(NEXT) | instid1(VALU_DEP_1)
	v_add_co_u32 v18, s12, v1, v18
	v_add_co_ci_u32_e64 v19, s12, 0, v2, s12
	flat_load_b32 v18, v[18:19]
.LBB144_29:
	s_or_b32 exec_lo, exec_lo, s13
	v_or_b32_e32 v28, 0xb00, v0
                                        ; implicit-def: $vgpr19
	s_delay_alu instid0(VALU_DEP_1) | instskip(NEXT) | instid1(VALU_DEP_1)
	v_cmp_gt_u32_e64 s12, s33, v28
	s_and_saveexec_b32 s14, s12
	s_cbranch_execz .LBB144_31
; %bb.30:
	v_lshlrev_b32_e32 v19, 2, v28
	s_delay_alu instid0(VALU_DEP_1) | instskip(NEXT) | instid1(VALU_DEP_1)
	v_add_co_u32 v19, s13, v1, v19
	v_add_co_ci_u32_e64 v20, s13, 0, v2, s13
	flat_load_b32 v19, v[19:20]
.LBB144_31:
	s_or_b32 exec_lo, exec_lo, s14
	v_or_b32_e32 v29, 0xc00, v0
                                        ; implicit-def: $vgpr20
	s_delay_alu instid0(VALU_DEP_1) | instskip(NEXT) | instid1(VALU_DEP_1)
	v_cmp_gt_u32_e64 s13, s33, v29
	s_and_saveexec_b32 s15, s13
	s_cbranch_execz .LBB144_33
; %bb.32:
	v_lshlrev_b32_e32 v20, 2, v29
	s_delay_alu instid0(VALU_DEP_1) | instskip(NEXT) | instid1(VALU_DEP_1)
	v_add_co_u32 v20, s14, v1, v20
	v_add_co_ci_u32_e64 v21, s14, 0, v2, s14
	flat_load_b32 v20, v[20:21]
.LBB144_33:
	s_or_b32 exec_lo, exec_lo, s15
	v_or_b32_e32 v30, 0xd00, v0
                                        ; implicit-def: $vgpr21
	s_delay_alu instid0(VALU_DEP_1) | instskip(NEXT) | instid1(VALU_DEP_1)
	v_cmp_gt_u32_e64 s14, s33, v30
	s_and_saveexec_b32 s16, s14
	s_cbranch_execz .LBB144_35
; %bb.34:
	v_lshlrev_b32_e32 v21, 2, v30
	s_delay_alu instid0(VALU_DEP_1) | instskip(NEXT) | instid1(VALU_DEP_1)
	v_add_co_u32 v21, s15, v1, v21
	v_add_co_ci_u32_e64 v22, s15, 0, v2, s15
	flat_load_b32 v21, v[21:22]
.LBB144_35:
	s_or_b32 exec_lo, exec_lo, s16
	v_or_b32_e32 v31, 0xe00, v0
                                        ; implicit-def: $vgpr22
	s_delay_alu instid0(VALU_DEP_1) | instskip(NEXT) | instid1(VALU_DEP_1)
	v_cmp_gt_u32_e64 s15, s33, v31
	s_and_saveexec_b32 s27, s15
	s_cbranch_execz .LBB144_37
; %bb.36:
	v_lshlrev_b32_e32 v22, 2, v31
	s_delay_alu instid0(VALU_DEP_1) | instskip(NEXT) | instid1(VALU_DEP_1)
	v_add_co_u32 v32, s16, v1, v22
	v_add_co_ci_u32_e64 v33, s16, 0, v2, s16
	flat_load_b32 v22, v[32:33]
.LBB144_37:
	s_or_b32 exec_lo, exec_lo, s27
	v_lshlrev_b32_e32 v25, 2, v0
                                        ; implicit-def: $vgpr32
	s_waitcnt vmcnt(0) lgkmcnt(0)
	ds_store_2addr_stride64_b32 v25, v5, v9 offset1:4
	ds_store_2addr_stride64_b32 v25, v10, v11 offset0:8 offset1:12
	ds_store_2addr_stride64_b32 v25, v12, v13 offset0:16 offset1:20
	;; [unrolled: 1-line block ×6, first 2 shown]
	v_mad_u32_u24 v5, v0, 56, v25
	ds_store_b32 v25, v22 offset:14336
	s_waitcnt lgkmcnt(0)
	s_barrier
	buffer_gl0_inv
	ds_load_2addr_b32 v[21:22], v5 offset1:1
	ds_load_2addr_b32 v[19:20], v5 offset0:2 offset1:3
	ds_load_2addr_b32 v[17:18], v5 offset0:4 offset1:5
	;; [unrolled: 1-line block ×6, first 2 shown]
	ds_load_b32 v57, v5 offset:56
	s_waitcnt lgkmcnt(0)
	s_barrier
	buffer_gl0_inv
	s_and_saveexec_b32 s16, vcc_lo
	s_cbranch_execz .LBB144_60
; %bb.38:
	v_add_co_u32 v32, vcc_lo, v3, v25
	v_add_co_ci_u32_e32 v33, vcc_lo, 0, v4, vcc_lo
	flat_load_b32 v32, v[32:33]
	s_or_b32 exec_lo, exec_lo, s16
                                        ; implicit-def: $vgpr33
	s_and_saveexec_b32 s16, s0
	s_cbranch_execnz .LBB144_61
.LBB144_39:
	s_or_b32 exec_lo, exec_lo, s16
                                        ; implicit-def: $vgpr34
	s_and_saveexec_b32 s0, s1
	s_cbranch_execz .LBB144_62
.LBB144_40:
	v_add_co_u32 v34, vcc_lo, v3, v25
	v_add_co_ci_u32_e32 v35, vcc_lo, 0, v4, vcc_lo
	flat_load_b32 v34, v[34:35] offset:2048
	s_or_b32 exec_lo, exec_lo, s0
                                        ; implicit-def: $vgpr35
	s_and_saveexec_b32 s0, s4
	s_cbranch_execnz .LBB144_63
.LBB144_41:
	s_or_b32 exec_lo, exec_lo, s0
                                        ; implicit-def: $vgpr36
	s_and_saveexec_b32 s0, s5
	s_cbranch_execz .LBB144_64
.LBB144_42:
	v_lshlrev_b32_e32 v6, 2, v6
	s_delay_alu instid0(VALU_DEP_1)
	v_add_co_u32 v36, vcc_lo, v3, v6
	v_add_co_ci_u32_e32 v37, vcc_lo, 0, v4, vcc_lo
	flat_load_b32 v36, v[36:37]
	s_or_b32 exec_lo, exec_lo, s0
                                        ; implicit-def: $vgpr6
	s_and_saveexec_b32 s0, s6
	s_cbranch_execnz .LBB144_65
.LBB144_43:
	s_or_b32 exec_lo, exec_lo, s0
                                        ; implicit-def: $vgpr7
	s_and_saveexec_b32 s0, s7
	s_cbranch_execz .LBB144_66
.LBB144_44:
	v_lshlrev_b32_e32 v7, 2, v8
	s_delay_alu instid0(VALU_DEP_1)
	v_add_co_u32 v7, vcc_lo, v3, v7
	v_add_co_ci_u32_e32 v8, vcc_lo, 0, v4, vcc_lo
	flat_load_b32 v7, v[7:8]
	s_or_b32 exec_lo, exec_lo, s0
                                        ; implicit-def: $vgpr8
	s_and_saveexec_b32 s0, s8
	s_cbranch_execnz .LBB144_67
.LBB144_45:
	s_or_b32 exec_lo, exec_lo, s0
                                        ; implicit-def: $vgpr23
	s_and_saveexec_b32 s0, s9
	s_cbranch_execz .LBB144_68
.LBB144_46:
	v_lshlrev_b32_e32 v23, 2, v24
	s_delay_alu instid0(VALU_DEP_1)
	v_add_co_u32 v23, vcc_lo, v3, v23
	v_add_co_ci_u32_e32 v24, vcc_lo, 0, v4, vcc_lo
	flat_load_b32 v23, v[23:24]
	s_or_b32 exec_lo, exec_lo, s0
                                        ; implicit-def: $vgpr24
	s_and_saveexec_b32 s0, s10
	s_cbranch_execnz .LBB144_69
.LBB144_47:
	s_or_b32 exec_lo, exec_lo, s0
                                        ; implicit-def: $vgpr26
	s_and_saveexec_b32 s0, s11
	s_cbranch_execz .LBB144_70
.LBB144_48:
	v_lshlrev_b32_e32 v26, 2, v27
	s_delay_alu instid0(VALU_DEP_1)
	v_add_co_u32 v26, vcc_lo, v3, v26
	v_add_co_ci_u32_e32 v27, vcc_lo, 0, v4, vcc_lo
	flat_load_b32 v26, v[26:27]
	s_or_b32 exec_lo, exec_lo, s0
                                        ; implicit-def: $vgpr27
	s_and_saveexec_b32 s0, s12
	s_cbranch_execnz .LBB144_71
.LBB144_49:
	s_or_b32 exec_lo, exec_lo, s0
                                        ; implicit-def: $vgpr28
	s_and_saveexec_b32 s0, s13
	s_cbranch_execz .LBB144_72
.LBB144_50:
	v_lshlrev_b32_e32 v28, 2, v29
	s_delay_alu instid0(VALU_DEP_1)
	v_add_co_u32 v28, vcc_lo, v3, v28
	v_add_co_ci_u32_e32 v29, vcc_lo, 0, v4, vcc_lo
	flat_load_b32 v28, v[28:29]
	s_or_b32 exec_lo, exec_lo, s0
                                        ; implicit-def: $vgpr29
	s_and_saveexec_b32 s0, s14
	s_cbranch_execnz .LBB144_73
.LBB144_51:
	s_or_b32 exec_lo, exec_lo, s0
                                        ; implicit-def: $vgpr30
	s_and_saveexec_b32 s0, s15
	s_cbranch_execz .LBB144_53
.LBB144_52:
	v_lshlrev_b32_e32 v30, 2, v31
	s_delay_alu instid0(VALU_DEP_1)
	v_add_co_u32 v3, vcc_lo, v3, v30
	v_add_co_ci_u32_e32 v4, vcc_lo, 0, v4, vcc_lo
	flat_load_b32 v30, v[3:4]
.LBB144_53:
	s_or_b32 exec_lo, exec_lo, s0
	s_waitcnt vmcnt(0) lgkmcnt(0)
	ds_store_2addr_stride64_b32 v25, v32, v33 offset1:4
	ds_store_2addr_stride64_b32 v25, v34, v35 offset0:8 offset1:12
	ds_store_2addr_stride64_b32 v25, v36, v6 offset0:16 offset1:20
	;; [unrolled: 1-line block ×6, first 2 shown]
	ds_store_b32 v25, v30 offset:14336
	s_waitcnt lgkmcnt(0)
	s_barrier
.LBB144_54:
	buffer_gl0_inv
	ds_load_2addr_b32 v[47:48], v5 offset1:1
	ds_load_2addr_b32 v[45:46], v5 offset0:2 offset1:3
	ds_load_2addr_b32 v[43:44], v5 offset0:4 offset1:5
	;; [unrolled: 1-line block ×6, first 2 shown]
	ds_load_b32 v59, v5 offset:56
	s_cmp_eq_u64 s[24:25], 0
	s_waitcnt lgkmcnt(0)
	s_cselect_b32 s16, -1, 0
	s_cmp_lg_u64 s[24:25], 0
	s_barrier
	s_cselect_b32 s27, -1, 0
	s_and_b32 vcc_lo, exec_lo, s26
	buffer_gl0_inv
	s_cbranch_vccz .LBB144_74
; %bb.55:
	s_and_b32 vcc_lo, exec_lo, s27
	s_cbranch_vccz .LBB144_114
; %bb.56:
	v_add_co_u32 v3, vcc_lo, -4, v1
	v_add_co_ci_u32_e32 v4, vcc_lo, -1, v2, vcc_lo
	v_cvt_i32_f32_e32 v5, v57
	v_cvt_i32_f32_e32 v6, v9
	;; [unrolled: 1-line block ×3, first 2 shown]
	flat_load_b32 v3, v[3:4]
	v_cvt_i32_f32_e32 v4, v10
	v_mul_hi_i32 v5, 0x66666667, v5
	v_mul_hi_i32 v6, 0x66666667, v6
	;; [unrolled: 1-line block ×3, first 2 shown]
	v_cvt_i32_f32_e32 v25, v11
	v_mul_hi_i32 v4, 0x66666667, v4
	v_cvt_i32_f32_e32 v27, v18
	s_mov_b32 s15, -1
	v_lshrrev_b32_e32 v24, 31, v6
	v_ashrrev_i32_e32 v6, 2, v6
	v_lshrrev_b32_e32 v26, 31, v8
	v_lshrrev_b32_e32 v7, 31, v4
	v_ashrrev_i32_e32 v23, 2, v4
	v_ashrrev_i32_e32 v8, 2, v8
	v_add_nc_u32_e32 v6, v6, v24
	v_cvt_i32_f32_e32 v24, v14
	v_mul_hi_i32 v27, 0x66666667, v27
	v_add_nc_u32_e32 v7, v23, v7
	v_lshrrev_b32_e32 v23, 31, v5
	v_ashrrev_i32_e32 v5, 2, v5
	v_add_nc_u32_e32 v8, v8, v26
	v_lshlrev_b32_e32 v4, 2, v0
	v_cmp_ne_u32_e64 s0, v6, v7
	s_delay_alu instid0(VALU_DEP_4)
	v_add_nc_u32_e32 v5, v5, v23
	v_mul_hi_i32 v23, 0x66666667, v25
	v_cmp_ne_u32_e64 s1, v8, v6
	v_cvt_i32_f32_e32 v6, v16
	v_cvt_i32_f32_e32 v25, v15
	v_cmp_ne_u32_e32 vcc_lo, v7, v5
	v_cvt_i32_f32_e32 v5, v13
	v_mul_hi_i32 v7, 0x66666667, v24
	v_mul_hi_i32 v6, 0x66666667, v6
	v_lshrrev_b32_e32 v24, 31, v23
	v_ashrrev_i32_e32 v23, 2, v23
	v_mul_hi_i32 v5, 0x66666667, v5
	ds_store_b32 v4, v57
	s_waitcnt vmcnt(0) lgkmcnt(0)
	s_barrier
	v_add_nc_u32_e32 v23, v23, v24
	v_mul_hi_i32 v24, 0x66666667, v25
	v_lshrrev_b32_e32 v26, 31, v7
	v_ashrrev_i32_e32 v7, 2, v7
	v_lshrrev_b32_e32 v25, 31, v5
	v_ashrrev_i32_e32 v5, 2, v5
	v_cmp_ne_u32_e64 s5, v23, v8
	v_lshrrev_b32_e32 v8, 31, v27
	v_add_nc_u32_e32 v7, v7, v26
	v_lshrrev_b32_e32 v26, 31, v6
	v_ashrrev_i32_e32 v6, 2, v6
	v_add_nc_u32_e32 v5, v5, v25
	v_lshrrev_b32_e32 v25, 31, v24
	v_ashrrev_i32_e32 v24, 2, v24
	v_cmp_ne_u32_e64 s6, v7, v23
	v_add_nc_u32_e32 v6, v6, v26
	v_cmp_ne_u32_e64 s7, v5, v7
	v_ashrrev_i32_e32 v23, 2, v27
	v_add_nc_u32_e32 v7, v24, v25
	v_cvt_i32_f32_e32 v24, v19
	v_cmp_ne_u32_e64 s4, v6, v5
	v_cvt_i32_f32_e32 v5, v17
	v_add_nc_u32_e32 v8, v23, v8
	v_cmp_ne_u32_e64 s8, v7, v6
	v_cvt_i32_f32_e32 v6, v20
	v_cvt_i32_f32_e32 v23, v22
	;; [unrolled: 1-line block ×3, first 2 shown]
	v_mul_hi_i32 v5, 0x66666667, v5
	v_mul_hi_i32 v24, 0x66666667, v24
	;; [unrolled: 1-line block ×3, first 2 shown]
	v_cmp_ne_u32_e64 s9, v8, v7
	v_mul_hi_i32 v7, 0x66666667, v23
	v_mul_hi_i32 v25, 0x66666667, v25
	buffer_gl0_inv
	v_lshrrev_b32_e32 v23, 31, v5
	v_ashrrev_i32_e32 v5, 2, v5
	v_lshrrev_b32_e32 v26, 31, v6
	v_ashrrev_i32_e32 v6, 2, v6
	;; [unrolled: 2-line block ×5, first 2 shown]
	v_add_nc_u32_e32 v23, v5, v23
	v_add_nc_u32_e32 v6, v6, v26
	;; [unrolled: 1-line block ×5, first 2 shown]
	v_cmp_ne_u32_e64 s14, v23, v8
	v_cmp_ne_u32_e64 s10, v6, v23
	;; [unrolled: 1-line block ×5, first 2 shown]
	s_and_saveexec_b32 s26, s3
	s_cbranch_execz .LBB144_58
; %bb.57:
	v_add_nc_u32_e32 v3, -4, v4
	ds_load_b32 v3, v3
.LBB144_58:
	s_or_b32 exec_lo, exec_lo, s26
	s_waitcnt lgkmcnt(0)
	v_cvt_i32_f32_e32 v3, v3
	v_cndmask_b32_e64 v58, 0, 1, vcc_lo
	v_cndmask_b32_e64 v24, 0, 1, s0
	v_cndmask_b32_e64 v23, 0, 1, s1
	;; [unrolled: 1-line block ×3, first 2 shown]
	v_mul_hi_i32 v3, 0x66666667, v3
	v_cndmask_b32_e64 v25, 0, 1, s6
	v_cndmask_b32_e64 v28, 0, 1, s7
	;; [unrolled: 1-line block ×7, first 2 shown]
	v_lshrrev_b32_e32 v4, 31, v3
	v_ashrrev_i32_e32 v3, 2, v3
	v_cndmask_b32_e64 v34, 0, 1, s11
	v_cndmask_b32_e64 v33, 0, 1, s12
	;; [unrolled: 1-line block ×3, first 2 shown]
	s_delay_alu instid0(VALU_DEP_4) | instskip(NEXT) | instid1(VALU_DEP_1)
	v_add_nc_u32_e32 v3, v3, v4
	v_cmp_ne_u32_e64 s4, v3, v5
.LBB144_59:
                                        ; implicit-def: $sgpr0
	s_branch .LBB144_75
.LBB144_60:
	s_or_b32 exec_lo, exec_lo, s16
                                        ; implicit-def: $vgpr33
	s_and_saveexec_b32 s16, s0
	s_cbranch_execz .LBB144_39
.LBB144_61:
	v_add_co_u32 v33, vcc_lo, v3, v25
	v_add_co_ci_u32_e32 v34, vcc_lo, 0, v4, vcc_lo
	flat_load_b32 v33, v[33:34] offset:1024
	s_or_b32 exec_lo, exec_lo, s16
                                        ; implicit-def: $vgpr34
	s_and_saveexec_b32 s0, s1
	s_cbranch_execnz .LBB144_40
.LBB144_62:
	s_or_b32 exec_lo, exec_lo, s0
                                        ; implicit-def: $vgpr35
	s_and_saveexec_b32 s0, s4
	s_cbranch_execz .LBB144_41
.LBB144_63:
	v_add_co_u32 v35, vcc_lo, v3, v25
	v_add_co_ci_u32_e32 v36, vcc_lo, 0, v4, vcc_lo
	flat_load_b32 v35, v[35:36] offset:3072
	s_or_b32 exec_lo, exec_lo, s0
                                        ; implicit-def: $vgpr36
	s_and_saveexec_b32 s0, s5
	s_cbranch_execnz .LBB144_42
.LBB144_64:
	s_or_b32 exec_lo, exec_lo, s0
                                        ; implicit-def: $vgpr6
	s_and_saveexec_b32 s0, s6
	s_cbranch_execz .LBB144_43
.LBB144_65:
	v_lshlrev_b32_e32 v6, 2, v7
	s_delay_alu instid0(VALU_DEP_1)
	v_add_co_u32 v6, vcc_lo, v3, v6
	v_add_co_ci_u32_e32 v7, vcc_lo, 0, v4, vcc_lo
	flat_load_b32 v6, v[6:7]
	s_or_b32 exec_lo, exec_lo, s0
                                        ; implicit-def: $vgpr7
	s_and_saveexec_b32 s0, s7
	s_cbranch_execnz .LBB144_44
.LBB144_66:
	s_or_b32 exec_lo, exec_lo, s0
                                        ; implicit-def: $vgpr8
	s_and_saveexec_b32 s0, s8
	s_cbranch_execz .LBB144_45
.LBB144_67:
	v_lshlrev_b32_e32 v8, 2, v23
	s_delay_alu instid0(VALU_DEP_1)
	v_add_co_u32 v37, vcc_lo, v3, v8
	v_add_co_ci_u32_e32 v38, vcc_lo, 0, v4, vcc_lo
	flat_load_b32 v8, v[37:38]
	s_or_b32 exec_lo, exec_lo, s0
                                        ; implicit-def: $vgpr23
	s_and_saveexec_b32 s0, s9
	s_cbranch_execnz .LBB144_46
.LBB144_68:
	s_or_b32 exec_lo, exec_lo, s0
                                        ; implicit-def: $vgpr24
	s_and_saveexec_b32 s0, s10
	s_cbranch_execz .LBB144_47
.LBB144_69:
	v_lshlrev_b32_e32 v24, 2, v26
	s_delay_alu instid0(VALU_DEP_1)
	v_add_co_u32 v37, vcc_lo, v3, v24
	v_add_co_ci_u32_e32 v38, vcc_lo, 0, v4, vcc_lo
	flat_load_b32 v24, v[37:38]
	s_or_b32 exec_lo, exec_lo, s0
                                        ; implicit-def: $vgpr26
	s_and_saveexec_b32 s0, s11
	s_cbranch_execnz .LBB144_48
.LBB144_70:
	s_or_b32 exec_lo, exec_lo, s0
                                        ; implicit-def: $vgpr27
	s_and_saveexec_b32 s0, s12
	s_cbranch_execz .LBB144_49
.LBB144_71:
	v_lshlrev_b32_e32 v27, 2, v28
	s_delay_alu instid0(VALU_DEP_1)
	v_add_co_u32 v27, vcc_lo, v3, v27
	v_add_co_ci_u32_e32 v28, vcc_lo, 0, v4, vcc_lo
	flat_load_b32 v27, v[27:28]
	s_or_b32 exec_lo, exec_lo, s0
                                        ; implicit-def: $vgpr28
	s_and_saveexec_b32 s0, s13
	s_cbranch_execnz .LBB144_50
.LBB144_72:
	s_or_b32 exec_lo, exec_lo, s0
                                        ; implicit-def: $vgpr29
	s_and_saveexec_b32 s0, s14
	s_cbranch_execz .LBB144_51
.LBB144_73:
	v_lshlrev_b32_e32 v29, 2, v30
	s_delay_alu instid0(VALU_DEP_1)
	v_add_co_u32 v29, vcc_lo, v3, v29
	v_add_co_ci_u32_e32 v30, vcc_lo, 0, v4, vcc_lo
	flat_load_b32 v29, v[29:30]
	s_or_b32 exec_lo, exec_lo, s0
                                        ; implicit-def: $vgpr30
	s_and_saveexec_b32 s0, s15
	s_cbranch_execnz .LBB144_52
	s_branch .LBB144_53
.LBB144_74:
	s_mov_b32 s15, 0
                                        ; implicit-def: $sgpr4
                                        ; implicit-def: $vgpr58
                                        ; implicit-def: $vgpr24
                                        ; implicit-def: $vgpr23
                                        ; implicit-def: $vgpr26
                                        ; implicit-def: $vgpr25
                                        ; implicit-def: $vgpr28
                                        ; implicit-def: $vgpr27
                                        ; implicit-def: $vgpr30
                                        ; implicit-def: $vgpr29
                                        ; implicit-def: $vgpr32
                                        ; implicit-def: $vgpr31
                                        ; implicit-def: $vgpr34
                                        ; implicit-def: $vgpr33
                                        ; implicit-def: $vgpr50
                                        ; implicit-def: $sgpr0
	s_cbranch_execnz .LBB144_118
.LBB144_75:
	v_mov_b32_e32 v49, s0
	s_and_saveexec_b32 s0, s15
.LBB144_76:
	s_delay_alu instid0(VALU_DEP_2)
	v_cndmask_b32_e64 v49, 0, 1, s4
.LBB144_77:
	s_or_b32 exec_lo, exec_lo, s0
	s_delay_alu instid0(VALU_DEP_1)
	v_add3_u32 v1, v50, v49, v33
	v_add_f32_e32 v76, v47, v48
	v_cmp_eq_u32_e64 s13, 0, v50
	v_cmp_eq_u32_e64 s12, 0, v33
	;; [unrolled: 1-line block ×3, first 2 shown]
	v_add3_u32 v75, v1, v34, v31
	v_cmp_eq_u32_e64 s11, 0, v31
	v_cmp_eq_u32_e64 s9, 0, v32
	;; [unrolled: 1-line block ×10, first 2 shown]
	v_cmp_eq_u32_e32 vcc_lo, 0, v58
	v_mbcnt_lo_u32_b32 v72, -1, 0
	v_lshrrev_b32_e32 v73, 5, v0
	v_or_b32_e32 v74, 31, v0
	s_cmp_eq_u64 s[22:23], 0
	s_mov_b32 s23, 0
	s_cselect_b32 s22, -1, 0
	s_cmp_lg_u32 s40, 0
	s_cbranch_scc0 .LBB144_112
; %bb.78:
	v_add3_u32 v2, v75, v32, v29
	v_cndmask_b32_e64 v1, v48, v76, s13
	s_mov_b32 s15, exec_lo
	v_and_b32_e32 v4, 15, v72
	v_and_b32_e32 v6, 16, v72
	v_add3_u32 v2, v2, v30, v27
	v_add_f32_e32 v1, v45, v1
	s_delay_alu instid0(VALU_DEP_2) | instskip(NEXT) | instid1(VALU_DEP_2)
	v_add3_u32 v2, v2, v28, v25
	v_cndmask_b32_e64 v1, v45, v1, s12
	s_delay_alu instid0(VALU_DEP_2) | instskip(NEXT) | instid1(VALU_DEP_1)
	v_add3_u32 v2, v2, v26, v23
	v_add3_u32 v2, v2, v24, v58
	s_delay_alu instid0(VALU_DEP_3) | instskip(NEXT) | instid1(VALU_DEP_2)
	v_add_f32_e32 v1, v46, v1
	v_mov_b32_dpp v5, v2 row_shr:1 row_mask:0xf bank_mask:0xf
	s_delay_alu instid0(VALU_DEP_2) | instskip(NEXT) | instid1(VALU_DEP_1)
	v_cndmask_b32_e64 v1, v46, v1, s10
	v_add_f32_e32 v1, v43, v1
	s_delay_alu instid0(VALU_DEP_1) | instskip(NEXT) | instid1(VALU_DEP_1)
	v_cndmask_b32_e64 v1, v43, v1, s11
	v_add_f32_e32 v1, v44, v1
	s_delay_alu instid0(VALU_DEP_1) | instskip(NEXT) | instid1(VALU_DEP_1)
	;; [unrolled: 3-line block ×10, first 2 shown]
	v_cndmask_b32_e64 v1, v36, v1, s0
	v_add_f32_e32 v1, v59, v1
	s_delay_alu instid0(VALU_DEP_1) | instskip(SKIP_2) | instid1(VALU_DEP_2)
	v_cndmask_b32_e32 v1, v59, v1, vcc_lo
	v_cmp_eq_u32_e32 vcc_lo, 0, v2
	s_waitcnt lgkmcnt(0)
	v_mov_b32_dpp v3, v1 row_shr:1 row_mask:0xf bank_mask:0xf
	s_delay_alu instid0(VALU_DEP_1) | instskip(NEXT) | instid1(VALU_DEP_1)
	v_add_f32_e32 v3, v1, v3
	v_cndmask_b32_e32 v3, v1, v3, vcc_lo
	v_cmp_eq_u32_e32 vcc_lo, 0, v4
	v_cndmask_b32_e64 v5, v5, 0, vcc_lo
	s_delay_alu instid0(VALU_DEP_1) | instskip(NEXT) | instid1(VALU_DEP_1)
	v_dual_cndmask_b32 v1, v3, v1 :: v_dual_add_nc_u32 v2, v5, v2
	v_mov_b32_dpp v3, v1 row_shr:2 row_mask:0xf bank_mask:0xf
	s_delay_alu instid0(VALU_DEP_2) | instskip(NEXT) | instid1(VALU_DEP_2)
	v_cmp_eq_u32_e32 vcc_lo, 0, v2
	v_add_f32_e32 v3, v1, v3
	v_mov_b32_dpp v5, v2 row_shr:2 row_mask:0xf bank_mask:0xf
	s_delay_alu instid0(VALU_DEP_2) | instskip(SKIP_1) | instid1(VALU_DEP_2)
	v_cndmask_b32_e32 v3, v1, v3, vcc_lo
	v_cmp_lt_u32_e32 vcc_lo, 1, v4
	v_cndmask_b32_e32 v1, v1, v3, vcc_lo
	s_delay_alu instid0(VALU_DEP_4) | instskip(NEXT) | instid1(VALU_DEP_2)
	v_cndmask_b32_e32 v3, 0, v5, vcc_lo
	v_mov_b32_dpp v5, v1 row_shr:4 row_mask:0xf bank_mask:0xf
	s_delay_alu instid0(VALU_DEP_1) | instskip(NEXT) | instid1(VALU_DEP_1)
	v_dual_add_f32 v3, v1, v5 :: v_dual_add_nc_u32 v2, v2, v3
	v_cmp_eq_u32_e32 vcc_lo, 0, v2
	v_mov_b32_dpp v5, v2 row_shr:4 row_mask:0xf bank_mask:0xf
	s_delay_alu instid0(VALU_DEP_3) | instskip(SKIP_1) | instid1(VALU_DEP_2)
	v_cndmask_b32_e32 v3, v1, v3, vcc_lo
	v_cmp_lt_u32_e32 vcc_lo, 3, v4
	v_cndmask_b32_e32 v1, v1, v3, vcc_lo
	s_delay_alu instid0(VALU_DEP_4) | instskip(NEXT) | instid1(VALU_DEP_2)
	v_cndmask_b32_e32 v3, 0, v5, vcc_lo
	v_mov_b32_dpp v5, v1 row_shr:8 row_mask:0xf bank_mask:0xf
	s_delay_alu instid0(VALU_DEP_1) | instskip(NEXT) | instid1(VALU_DEP_1)
	v_dual_add_f32 v2, v1, v5 :: v_dual_add_nc_u32 v3, v3, v2
	v_cmp_eq_u32_e32 vcc_lo, 0, v3
	v_mov_b32_dpp v5, v3 row_shr:8 row_mask:0xf bank_mask:0xf
	s_delay_alu instid0(VALU_DEP_3) | instskip(SKIP_1) | instid1(VALU_DEP_2)
	v_cndmask_b32_e32 v2, v1, v2, vcc_lo
	v_cmp_lt_u32_e32 vcc_lo, 7, v4
	v_dual_cndmask_b32 v2, v1, v2 :: v_dual_cndmask_b32 v1, 0, v5
	v_bfe_i32 v5, v72, 4, 1
	s_delay_alu instid0(VALU_DEP_2)
	v_add_nc_u32_e32 v1, v1, v3
	ds_swizzle_b32 v3, v2 offset:swizzle(BROADCAST,32,15)
	ds_swizzle_b32 v4, v1 offset:swizzle(BROADCAST,32,15)
	v_cmp_eq_u32_e32 vcc_lo, 0, v1
	s_waitcnt lgkmcnt(1)
	v_add_f32_e32 v3, v2, v3
	s_waitcnt lgkmcnt(0)
	v_and_b32_e32 v7, v5, v4
	s_delay_alu instid0(VALU_DEP_2) | instskip(SKIP_2) | instid1(VALU_DEP_4)
	v_cndmask_b32_e32 v5, v2, v3, vcc_lo
	v_cmp_eq_u32_e32 vcc_lo, 0, v6
	v_lshlrev_b32_e32 v4, 3, v73
	v_add_nc_u32_e32 v1, v7, v1
	s_delay_alu instid0(VALU_DEP_4)
	v_cndmask_b32_e32 v3, v5, v2, vcc_lo
	v_cmpx_eq_u32_e64 v74, v0
	s_cbranch_execz .LBB144_80
; %bb.79:
	v_cndmask_b32_e32 v2, v5, v2, vcc_lo
	ds_store_b64 v4, v[1:2] offset:2064
.LBB144_80:
	s_or_b32 exec_lo, exec_lo, s15
	s_delay_alu instid0(SALU_CYCLE_1)
	s_mov_b32 s15, exec_lo
	s_waitcnt lgkmcnt(0)
	s_barrier
	buffer_gl0_inv
	v_cmpx_gt_u32_e32 8, v0
	s_cbranch_execz .LBB144_82
; %bb.81:
	v_lshlrev_b32_e32 v2, 3, v0
	ds_load_b64 v[5:6], v2 offset:2064
	s_waitcnt lgkmcnt(0)
	v_mov_b32_dpp v7, v6 row_shr:1 row_mask:0xf bank_mask:0xf
	v_cmp_eq_u32_e32 vcc_lo, 0, v5
	v_mov_b32_dpp v51, v5 row_shr:1 row_mask:0xf bank_mask:0xf
	s_delay_alu instid0(VALU_DEP_3) | instskip(NEXT) | instid1(VALU_DEP_1)
	v_dual_add_f32 v7, v6, v7 :: v_dual_and_b32 v8, 7, v72
	v_cndmask_b32_e32 v7, v6, v7, vcc_lo
	s_delay_alu instid0(VALU_DEP_2) | instskip(NEXT) | instid1(VALU_DEP_4)
	v_cmp_eq_u32_e32 vcc_lo, 0, v8
	v_cndmask_b32_e64 v51, v51, 0, vcc_lo
	s_delay_alu instid0(VALU_DEP_1) | instskip(NEXT) | instid1(VALU_DEP_1)
	v_add_nc_u32_e32 v5, v51, v5
	v_mov_b32_dpp v51, v5 row_shr:2 row_mask:0xf bank_mask:0xf
	v_cndmask_b32_e32 v6, v7, v6, vcc_lo
	v_cmp_eq_u32_e32 vcc_lo, 0, v5
	s_delay_alu instid0(VALU_DEP_2) | instskip(NEXT) | instid1(VALU_DEP_1)
	v_mov_b32_dpp v7, v6 row_shr:2 row_mask:0xf bank_mask:0xf
	v_add_f32_e32 v7, v6, v7
	s_delay_alu instid0(VALU_DEP_1) | instskip(SKIP_1) | instid1(VALU_DEP_2)
	v_cndmask_b32_e32 v7, v6, v7, vcc_lo
	v_cmp_lt_u32_e32 vcc_lo, 1, v8
	v_cndmask_b32_e32 v6, v6, v7, vcc_lo
	v_cndmask_b32_e32 v7, 0, v51, vcc_lo
	v_cmp_lt_u32_e32 vcc_lo, 3, v8
	s_delay_alu instid0(VALU_DEP_3) | instskip(NEXT) | instid1(VALU_DEP_1)
	v_mov_b32_dpp v51, v6 row_shr:4 row_mask:0xf bank_mask:0xf
	v_dual_add_f32 v8, v6, v51 :: v_dual_add_nc_u32 v5, v7, v5
	s_delay_alu instid0(VALU_DEP_1) | instskip(SKIP_1) | instid1(VALU_DEP_2)
	v_mov_b32_dpp v7, v5 row_shr:4 row_mask:0xf bank_mask:0xf
	v_cmp_eq_u32_e64 s14, 0, v5
	v_cndmask_b32_e32 v7, 0, v7, vcc_lo
	s_delay_alu instid0(VALU_DEP_2) | instskip(NEXT) | instid1(VALU_DEP_1)
	s_and_b32 vcc_lo, vcc_lo, s14
	v_dual_cndmask_b32 v6, v6, v8 :: v_dual_add_nc_u32 v5, v7, v5
	ds_store_b64 v2, v[5:6] offset:2064
.LBB144_82:
	s_or_b32 exec_lo, exec_lo, s15
	v_cmp_gt_u32_e32 vcc_lo, 32, v0
	v_dual_mov_b32 v51, 0 :: v_dual_mov_b32 v52, 0
	s_mov_b32 s15, exec_lo
	s_waitcnt lgkmcnt(0)
	s_barrier
	buffer_gl0_inv
	v_cmpx_lt_u32_e32 31, v0
	s_cbranch_execz .LBB144_84
; %bb.83:
	ds_load_b64 v[51:52], v4 offset:2056
	v_cmp_eq_u32_e64 s14, 0, v1
	s_waitcnt lgkmcnt(0)
	v_add_nc_u32_e32 v4, v51, v1
	s_delay_alu instid0(VALU_DEP_1) | instskip(NEXT) | instid1(VALU_DEP_1)
	v_dual_add_f32 v2, v3, v52 :: v_dual_mov_b32 v1, v4
	v_cndmask_b32_e64 v3, v3, v2, s14
.LBB144_84:
	s_or_b32 exec_lo, exec_lo, s15
	v_add_nc_u32_e32 v2, -1, v72
	s_mov_b32 s25, -1
	s_mov_b32 s15, 0
	s_delay_alu instid0(VALU_DEP_1) | instskip(NEXT) | instid1(VALU_DEP_1)
	v_cmp_gt_i32_e64 s14, 0, v2
	v_cndmask_b32_e64 v2, v2, v72, s14
	v_cmp_eq_u32_e64 s14, 0, v72
	s_delay_alu instid0(VALU_DEP_2)
	v_lshlrev_b32_e32 v2, 2, v2
	ds_bpermute_b32 v77, v2, v1
	ds_bpermute_b32 v78, v2, v3
	s_and_saveexec_b32 s36, vcc_lo
                                        ; implicit-def: $vgpr2_vgpr3_vgpr4
	s_cbranch_execz .LBB144_203
; %bb.85:
	v_mov_b32_e32 v4, 0
	ds_load_b64 v[1:2], v4 offset:2120
	s_waitcnt lgkmcnt(0)
	v_readfirstlane_b32 s37, v2
	s_and_saveexec_b32 s15, s14
	s_cbranch_execz .LBB144_87
; %bb.86:
	s_add_i32 s24, s40, 32
	s_mov_b32 s25, 0
	v_mov_b32_e32 v3, 1
	s_lshl_b64 s[26:27], s[24:25], 4
	s_mov_b32 s42, s25
	s_add_u32 s26, s20, s26
	s_addc_u32 s27, s21, s27
	s_and_b32 s43, s37, 0xff000000
	s_and_b32 s45, s37, 0xff0000
	s_mov_b32 s44, s25
	v_dual_mov_b32 v5, s26 :: v_dual_mov_b32 v6, s27
	s_or_b64 s[42:43], s[44:45], s[42:43]
	s_and_b32 s45, s37, 0xff00
	s_delay_alu instid0(SALU_CYCLE_1) | instskip(SKIP_1) | instid1(SALU_CYCLE_1)
	s_or_b64 s[42:43], s[42:43], s[44:45]
	s_and_b32 s45, s37, 0xff
	s_or_b64 s[24:25], s[42:43], s[44:45]
	s_delay_alu instid0(SALU_CYCLE_1)
	v_mov_b32_e32 v2, s25
	;;#ASMSTART
	global_store_dwordx4 v[5:6], v[1:4] off	
s_waitcnt vmcnt(0)
	;;#ASMEND
.LBB144_87:
	s_or_b32 exec_lo, exec_lo, s15
	v_xad_u32 v55, v72, -1, s40
	s_mov_b32 s24, 0
	s_mov_b32 s15, exec_lo
	s_mov_b32 s25, s24
	s_mov_b32 s26, s24
	;; [unrolled: 1-line block ×3, first 2 shown]
	v_add_nc_u32_e32 v3, 32, v55
	v_dual_mov_b32 v5, s24 :: v_dual_mov_b32 v8, s27
	v_dual_mov_b32 v6, s25 :: v_dual_mov_b32 v7, s26
	s_delay_alu instid0(VALU_DEP_3)
	v_lshlrev_b64 v[2:3], 4, v[3:4]
	s_clause 0x5
	scratch_store_b128 off, v[5:8], off
	scratch_store_b128 off, v[5:8], off offset:16
	scratch_store_b32 off, v4, off offset:4
	scratch_store_b32 off, v4, off offset:12
	;; [unrolled: 1-line block ×4, first 2 shown]
	v_add_co_u32 v2, vcc_lo, s20, v2
	v_add_co_ci_u32_e32 v3, vcc_lo, s21, v3, vcc_lo
	;;#ASMSTART
	global_load_dwordx4 v[5:8], v[2:3] off glc	
s_waitcnt vmcnt(0)
	;;#ASMEND
	v_perm_b32 v4, v6, v7, 0x70605
	v_perm_b32 v8, v6, v7, 0x1000706
	;; [unrolled: 1-line block ×3, first 2 shown]
	v_and_b32_e32 v56, 0xff, v7
	v_alignbit_b32 v61, v6, v5, 16
	v_lshlrev_b32_e32 v4, 8, v4
	v_lshlrev_b32_e32 v8, 16, v8
	;; [unrolled: 1-line block ×3, first 2 shown]
	v_alignbit_b32 v60, v6, v5, 24
	s_delay_alu instid0(VALU_DEP_4) | instskip(NEXT) | instid1(VALU_DEP_4)
	v_perm_b32 v4, v4, v6, 0xc0c0500
	v_and_b32_e32 v54, 0xff0000, v8
	v_alignbit_b32 v8, v6, v5, 8
	s_delay_alu instid0(VALU_DEP_2)
	v_or3_b32 v6, v4, v54, v53
	v_cmpx_eq_u16_e32 0, v56
	s_cbranch_execz .LBB144_93
; %bb.88:
	s_mov_b32 s25, 1
	.p2align	6
.LBB144_89:                             ; =>This Loop Header: Depth=1
                                        ;     Child Loop BB144_90 Depth 2
	s_delay_alu instid0(SALU_CYCLE_1)
	s_max_u32 s26, s25, 1
.LBB144_90:                             ;   Parent Loop BB144_89 Depth=1
                                        ; =>  This Inner Loop Header: Depth=2
	s_delay_alu instid0(SALU_CYCLE_1)
	s_add_i32 s26, s26, -1
	s_sleep 1
	s_cmp_eq_u32 s26, 0
	s_cbranch_scc0 .LBB144_90
; %bb.91:                               ;   in Loop: Header=BB144_89 Depth=1
	;;#ASMSTART
	global_load_dwordx4 v[5:8], v[2:3] off glc	
s_waitcnt vmcnt(0)
	;;#ASMEND
	v_and_b32_e32 v4, 0xff, v7
	s_cmp_lt_u32 s25, 32
	s_cselect_b32 s26, -1, 0
	s_delay_alu instid0(VALU_DEP_1) | instskip(SKIP_3) | instid1(SALU_CYCLE_1)
	v_cmp_ne_u16_e32 vcc_lo, 0, v4
	s_cmp_lg_u32 s26, 0
	s_addc_u32 s25, s25, 0
	s_or_b32 s24, vcc_lo, s24
	s_and_not1_b32 exec_lo, exec_lo, s24
	s_cbranch_execnz .LBB144_89
; %bb.92:
	s_or_b32 exec_lo, exec_lo, s24
	v_perm_b32 v2, v6, v7, 0x70605
	v_perm_b32 v3, v6, v7, 0x1000706
	v_perm_b32 v4, v6, v7, 0x2010007
	v_alignbit_b32 v8, v6, v5, 8
	v_alignbit_b32 v61, v6, v5, 16
	v_lshlrev_b32_e32 v2, 8, v2
	v_lshlrev_b32_e32 v3, 16, v3
	;; [unrolled: 1-line block ×3, first 2 shown]
	v_alignbit_b32 v60, v6, v5, 24
	s_delay_alu instid0(VALU_DEP_4) | instskip(NEXT) | instid1(VALU_DEP_4)
	v_perm_b32 v2, v2, v6, 0xc0c0500
	v_and_b32_e32 v3, 0xff0000, v3
	s_delay_alu instid0(VALU_DEP_1)
	v_or3_b32 v6, v2, v3, v4
.LBB144_93:
	s_or_b32 exec_lo, exec_lo, s15
	v_mov_b32_e32 v54, 0
	s_mov_b32 s25, 0
	s_branch .LBB144_95
.LBB144_94:                             ;   in Loop: Header=BB144_95 Depth=1
	s_or_b32 exec_lo, exec_lo, s25
	v_subrev_nc_u32_e32 v55, 32, v53
	s_add_i32 s25, s24, 1
	s_cbranch_execz .LBB144_103
.LBB144_95:                             ; =>This Loop Header: Depth=1
                                        ;     Child Loop BB144_98 Depth 2
                                        ;       Child Loop BB144_99 Depth 3
	v_dual_mov_b32 v4, v7 :: v_dual_lshlrev_b32 v3, 8, v8
	v_and_b32_e32 v5, 0xff, v5
	s_delay_alu instid0(VALU_DEP_2) | instskip(NEXT) | instid1(VALU_DEP_3)
	v_dual_mov_b32 v53, v55 :: v_dual_and_b32 v2, 0xff, v4
	v_and_b32_e32 v7, 0xff00, v3
	v_mov_b32_e32 v3, v6
	s_delay_alu instid0(VALU_DEP_3) | instskip(SKIP_1) | instid1(VALU_DEP_2)
	v_cmp_ne_u16_e64 s15, 2, v2
	v_cmp_ne_u16_e32 vcc_lo, 0xff, v2
	s_and_b32 s24, s15, vcc_lo
	s_delay_alu instid0(SALU_CYCLE_1) | instskip(SKIP_1) | instid1(VALU_DEP_1)
	v_cndmask_b32_e64 v2, 0, 1, s24
	;;#ASMSTART
	;;#ASMEND
	v_cmp_ne_u32_e32 vcc_lo, 0, v2
	v_lshlrev_b32_e32 v2, 16, v61
	s_mov_b32 s24, s25
	s_cmp_eq_u32 vcc_lo, exec_lo
	s_delay_alu instid0(VALU_DEP_1) | instskip(SKIP_3) | instid1(VALU_DEP_1)
	v_perm_b32 v2, v60, v2, 0x4020c0c
	s_cselect_b32 s25, -1, 0
	s_cmp_lt_u32 s24, 4
	s_cselect_b32 s26, -1, 0
	v_or3_b32 v2, v2, v7, v5
	s_and_b32 s25, s25, s26
	s_delay_alu instid0(SALU_CYCLE_1)
	s_and_not1_b32 vcc_lo, exec_lo, s25
	s_cbranch_vccnz .LBB144_102
; %bb.96:                               ;   in Loop: Header=BB144_95 Depth=1
	v_lshlrev_b64 v[5:6], 4, v[53:54]
	s_lshl_b32 s25, s24, 3
	s_delay_alu instid0(SALU_CYCLE_1)
	s_add_i32 s25, s25, 0
	scratch_store_b64 off, v[2:3], s25
	v_add_co_u32 v55, vcc_lo, s20, v5
	v_add_co_ci_u32_e32 v56, vcc_lo, s21, v6, vcc_lo
	;;#ASMSTART
	global_load_dwordx4 v[5:8], v[55:56] off glc	
s_waitcnt vmcnt(0)
	;;#ASMEND
	v_perm_b32 v8, v6, v7, 0x70605
	v_perm_b32 v60, v6, v7, 0x1000706
	;; [unrolled: 1-line block ×3, first 2 shown]
	v_and_b32_e32 v65, 0xff, v7
	s_mov_b32 s25, exec_lo
	v_lshlrev_b32_e32 v8, 8, v8
	v_lshlrev_b32_e32 v60, 16, v60
	;; [unrolled: 1-line block ×3, first 2 shown]
	v_alignbit_b32 v61, v6, v5, 16
	s_delay_alu instid0(VALU_DEP_4) | instskip(NEXT) | instid1(VALU_DEP_4)
	v_perm_b32 v63, v8, v6, 0xc0c0500
	v_and_b32_e32 v64, 0xff0000, v60
	v_alignbit_b32 v8, v6, v5, 8
	v_alignbit_b32 v60, v6, v5, 24
	s_delay_alu instid0(VALU_DEP_3)
	v_or3_b32 v6, v63, v64, v62
	v_cmpx_eq_u16_e32 0, v65
	s_cbranch_execz .LBB144_94
; %bb.97:                               ;   in Loop: Header=BB144_95 Depth=1
	s_mov_b32 s27, 1
	s_mov_b32 s26, 0
	.p2align	6
.LBB144_98:                             ;   Parent Loop BB144_95 Depth=1
                                        ; =>  This Loop Header: Depth=2
                                        ;       Child Loop BB144_99 Depth 3
	s_max_u32 s41, s27, 1
.LBB144_99:                             ;   Parent Loop BB144_95 Depth=1
                                        ;     Parent Loop BB144_98 Depth=2
                                        ; =>    This Inner Loop Header: Depth=3
	s_delay_alu instid0(SALU_CYCLE_1)
	s_add_i32 s41, s41, -1
	s_sleep 1
	s_cmp_eq_u32 s41, 0
	s_cbranch_scc0 .LBB144_99
; %bb.100:                              ;   in Loop: Header=BB144_98 Depth=2
	;;#ASMSTART
	global_load_dwordx4 v[5:8], v[55:56] off glc	
s_waitcnt vmcnt(0)
	;;#ASMEND
	v_and_b32_e32 v8, 0xff, v7
	s_cmp_lt_u32 s27, 32
	s_cselect_b32 s41, -1, 0
	s_delay_alu instid0(SALU_CYCLE_1) | instskip(NEXT) | instid1(VALU_DEP_1)
	s_cmp_lg_u32 s41, 0
	v_cmp_ne_u16_e32 vcc_lo, 0, v8
	s_addc_u32 s27, s27, 0
	s_or_b32 s26, vcc_lo, s26
	s_delay_alu instid0(SALU_CYCLE_1)
	s_and_not1_b32 exec_lo, exec_lo, s26
	s_cbranch_execnz .LBB144_98
; %bb.101:                              ;   in Loop: Header=BB144_95 Depth=1
	s_or_b32 exec_lo, exec_lo, s26
	v_perm_b32 v8, v6, v7, 0x70605
	v_perm_b32 v55, v6, v7, 0x1000706
	;; [unrolled: 1-line block ×3, first 2 shown]
	v_alignbit_b32 v61, v6, v5, 16
	v_alignbit_b32 v60, v6, v5, 24
	v_lshlrev_b32_e32 v8, 8, v8
	v_lshlrev_b32_e32 v55, 16, v55
	;; [unrolled: 1-line block ×3, first 2 shown]
	s_delay_alu instid0(VALU_DEP_3) | instskip(NEXT) | instid1(VALU_DEP_3)
	v_perm_b32 v62, v8, v6, 0xc0c0500
	v_and_b32_e32 v55, 0xff0000, v55
	v_alignbit_b32 v8, v6, v5, 8
	s_delay_alu instid0(VALU_DEP_2)
	v_or3_b32 v6, v62, v55, v56
	s_branch .LBB144_94
.LBB144_102:
                                        ; implicit-def: $vgpr55
                                        ; implicit-def: $sgpr25
                                        ; implicit-def: $vgpr7
                                        ; implicit-def: $vgpr6
                                        ; implicit-def: $vgpr8
                                        ; implicit-def: $vgpr61
                                        ; implicit-def: $vgpr60
.LBB144_103:
	v_cndmask_b32_e64 v5, 0, 1, s15
	;;#ASMSTART
	;;#ASMEND
	s_delay_alu instid0(VALU_DEP_1)
	v_cmp_ne_u32_e32 vcc_lo, 0, v5
	s_cmp_lg_u32 vcc_lo, exec_lo
	s_cbranch_scc1 .LBB144_188
; %bb.104:
	v_dual_mov_b32 v3, 0 :: v_dual_and_b32 v2, 0xff, v4
	s_delay_alu instid0(VALU_DEP_1) | instskip(SKIP_2) | instid1(VALU_DEP_1)
	v_cmp_eq_u16_e32 vcc_lo, 0xff, v2
	v_cndmask_b32_e64 v2, 0, 1, vcc_lo
	;;#ASMSTART
	;;#ASMEND
	v_cmp_ne_u32_e32 vcc_lo, 0, v2
	v_add_nc_u32_e32 v2, 32, v53
	s_cmp_eq_u32 vcc_lo, exec_lo
	s_cselect_b32 vcc_lo, -1, 0
	s_delay_alu instid0(VALU_DEP_1) | instskip(NEXT) | instid1(VALU_DEP_1)
	v_cndmask_b32_e32 v2, v53, v2, vcc_lo
	v_add_nc_u32_e32 v2, 32, v2
	s_delay_alu instid0(VALU_DEP_1) | instskip(NEXT) | instid1(VALU_DEP_1)
	v_lshlrev_b64 v[2:3], 4, v[2:3]
	v_add_co_u32 v6, s15, s20, v2
	s_delay_alu instid0(VALU_DEP_1)
	v_add_co_ci_u32_e64 v7, s15, s21, v3, s15
	s_branch .LBB144_106
.LBB144_105:                            ;   in Loop: Header=BB144_106 Depth=1
	s_or_b32 exec_lo, exec_lo, s25
	v_and_b32_e32 v54, 0xff, v4
	s_delay_alu instid0(VALU_DEP_1) | instskip(NEXT) | instid1(VALU_DEP_1)
	v_cmp_ne_u16_e64 s15, 2, v54
	v_cndmask_b32_e64 v54, 0, 1, s15
	;;#ASMSTART
	;;#ASMEND
	s_delay_alu instid0(VALU_DEP_1) | instskip(NEXT) | instid1(VALU_DEP_1)
	v_cmp_ne_u32_e64 s15, 0, v54
	s_cmp_eq_u32 s15, exec_lo
	s_cbranch_scc0 .LBB144_187
.LBB144_106:                            ; =>This Loop Header: Depth=1
                                        ;     Child Loop BB144_108 Depth 2
                                        ;       Child Loop BB144_109 Depth 3
	;;#ASMSTART
	global_load_dwordx4 v[2:5], v[6:7] off glc	
s_waitcnt vmcnt(0)
	;;#ASMEND
	v_perm_b32 v5, v3, v4, 0x70605
	v_perm_b32 v8, v3, v4, 0x1000706
	;; [unrolled: 1-line block ×3, first 2 shown]
	v_and_b32_e32 v60, 0xff, v4
	s_mov_b32 s25, exec_lo
	v_lshlrev_b32_e32 v5, 8, v5
	v_lshlrev_b32_e32 v8, 16, v8
	;; [unrolled: 1-line block ×3, first 2 shown]
	v_alignbit_b32 v53, v3, v2, 16
	s_delay_alu instid0(VALU_DEP_4) | instskip(NEXT) | instid1(VALU_DEP_4)
	v_perm_b32 v55, v5, v3, 0xc0c0500
	v_and_b32_e32 v56, 0xff0000, v8
	v_alignbit_b32 v5, v3, v2, 8
	v_alignbit_b32 v8, v3, v2, 24
	s_delay_alu instid0(VALU_DEP_3)
	v_or3_b32 v3, v55, v56, v54
	v_cmpx_eq_u16_e32 0, v60
	s_cbranch_execz .LBB144_105
; %bb.107:                              ;   in Loop: Header=BB144_106 Depth=1
	s_mov_b32 s27, 1
	s_mov_b32 s26, 0
	.p2align	6
.LBB144_108:                            ;   Parent Loop BB144_106 Depth=1
                                        ; =>  This Loop Header: Depth=2
                                        ;       Child Loop BB144_109 Depth 3
	s_max_u32 s15, s27, 1
.LBB144_109:                            ;   Parent Loop BB144_106 Depth=1
                                        ;     Parent Loop BB144_108 Depth=2
                                        ; =>    This Inner Loop Header: Depth=3
	s_delay_alu instid0(SALU_CYCLE_1)
	s_add_i32 s15, s15, -1
	s_sleep 1
	s_cmp_eq_u32 s15, 0
	s_cbranch_scc0 .LBB144_109
; %bb.110:                              ;   in Loop: Header=BB144_108 Depth=2
	;;#ASMSTART
	global_load_dwordx4 v[2:5], v[6:7] off glc	
s_waitcnt vmcnt(0)
	;;#ASMEND
	v_and_b32_e32 v5, 0xff, v4
	s_cmp_lt_u32 s27, 32
	s_cselect_b32 s41, -1, 0
	s_delay_alu instid0(SALU_CYCLE_1) | instskip(NEXT) | instid1(VALU_DEP_1)
	s_cmp_lg_u32 s41, 0
	v_cmp_ne_u16_e64 s15, 0, v5
	s_addc_u32 s27, s27, 0
	s_delay_alu instid0(VALU_DEP_1) | instskip(NEXT) | instid1(SALU_CYCLE_1)
	s_or_b32 s26, s15, s26
	s_and_not1_b32 exec_lo, exec_lo, s26
	s_cbranch_execnz .LBB144_108
; %bb.111:                              ;   in Loop: Header=BB144_106 Depth=1
	s_or_b32 exec_lo, exec_lo, s26
	v_perm_b32 v5, v3, v4, 0x70605
	v_perm_b32 v8, v3, v4, 0x1000706
	;; [unrolled: 1-line block ×3, first 2 shown]
	s_delay_alu instid0(VALU_DEP_3) | instskip(NEXT) | instid1(VALU_DEP_3)
	v_lshlrev_b32_e32 v5, 8, v5
	v_lshlrev_b32_e32 v8, 16, v8
	s_delay_alu instid0(VALU_DEP_3) | instskip(SKIP_1) | instid1(VALU_DEP_4)
	v_lshlrev_b32_e32 v54, 24, v53
	v_alignbit_b32 v53, v3, v2, 16
	v_perm_b32 v55, v5, v3, 0xc0c0500
	s_delay_alu instid0(VALU_DEP_4) | instskip(SKIP_2) | instid1(VALU_DEP_3)
	v_and_b32_e32 v56, 0xff0000, v8
	v_alignbit_b32 v5, v3, v2, 8
	v_alignbit_b32 v8, v3, v2, 24
	v_or3_b32 v3, v55, v56, v54
	s_branch .LBB144_105
.LBB144_112:
                                        ; implicit-def: $vgpr1
                                        ; implicit-def: $vgpr53
                                        ; implicit-def: $vgpr5
                                        ; implicit-def: $vgpr62
                                        ; implicit-def: $vgpr54
                                        ; implicit-def: $vgpr56
                                        ; implicit-def: $vgpr55
                                        ; implicit-def: $vgpr60
                                        ; implicit-def: $vgpr61
                                        ; implicit-def: $vgpr63
                                        ; implicit-def: $vgpr64
                                        ; implicit-def: $vgpr65
                                        ; implicit-def: $vgpr66
                                        ; implicit-def: $vgpr67
                                        ; implicit-def: $vgpr68
                                        ; implicit-def: $vgpr69
                                        ; implicit-def: $vgpr70
                                        ; implicit-def: $vgpr71
	s_cbranch_execnz .LBB144_206
.LBB144_113:
	s_and_saveexec_b32 s0, s23
	s_cbranch_execz .LBB144_379
	s_branch .LBB144_217
.LBB144_114:
	s_mov_b32 s15, 0
                                        ; implicit-def: $sgpr4
                                        ; implicit-def: $vgpr58
                                        ; implicit-def: $vgpr24
                                        ; implicit-def: $vgpr23
                                        ; implicit-def: $vgpr26
                                        ; implicit-def: $vgpr25
                                        ; implicit-def: $vgpr28
                                        ; implicit-def: $vgpr27
                                        ; implicit-def: $vgpr30
                                        ; implicit-def: $vgpr29
                                        ; implicit-def: $vgpr32
                                        ; implicit-def: $vgpr31
                                        ; implicit-def: $vgpr34
                                        ; implicit-def: $vgpr33
                                        ; implicit-def: $vgpr50
	s_cbranch_execz .LBB144_59
; %bb.115:
	v_cvt_i32_f32_e32 v3, v10
	v_cvt_i32_f32_e32 v4, v57
	;; [unrolled: 1-line block ×5, first 2 shown]
	v_mul_hi_i32 v3, 0x66666667, v3
	v_mul_hi_i32 v4, 0x66666667, v4
	v_mul_hi_i32 v5, 0x66666667, v5
	v_mul_hi_i32 v6, 0x66666667, v6
	v_mul_hi_i32 v7, 0x66666667, v7
	v_cvt_i32_f32_e32 v31, v20
	v_cvt_i32_f32_e32 v33, v21
                                        ; implicit-def: $sgpr4
	v_lshrrev_b32_e32 v8, 31, v3
	v_ashrrev_i32_e32 v3, 2, v3
	v_lshrrev_b32_e32 v23, 31, v4
	v_ashrrev_i32_e32 v4, 2, v4
	;; [unrolled: 2-line block ×3, first 2 shown]
	v_add_nc_u32_e32 v8, v3, v8
	v_lshrrev_b32_e32 v25, 31, v6
	v_add_nc_u32_e32 v4, v4, v23
	v_cvt_i32_f32_e32 v23, v14
	v_add_nc_u32_e32 v5, v5, v24
	v_lshlrev_b32_e32 v3, 2, v0
	s_delay_alu instid0(VALU_DEP_4)
	v_cmp_ne_u32_e32 vcc_lo, v8, v4
	v_ashrrev_i32_e32 v4, 2, v6
	v_mul_hi_i32 v23, 0x66666667, v23
	v_lshrrev_b32_e32 v6, 31, v7
	v_ashrrev_i32_e32 v7, 2, v7
	v_cndmask_b32_e64 v58, 0, 1, vcc_lo
	v_cmp_ne_u32_e32 vcc_lo, v5, v8
	v_cvt_i32_f32_e32 v8, v13
	v_add_nc_u32_e32 v4, v4, v25
	v_cvt_i32_f32_e32 v25, v16
	v_add_nc_u32_e32 v6, v7, v6
	v_cndmask_b32_e64 v24, 0, 1, vcc_lo
	v_mul_hi_i32 v8, 0x66666667, v8
	v_lshrrev_b32_e32 v7, 31, v23
	v_ashrrev_i32_e32 v27, 2, v23
	v_cmp_ne_u32_e32 vcc_lo, v4, v5
	v_mul_hi_i32 v25, 0x66666667, v25
	ds_store_b32 v3, v57
	s_waitcnt lgkmcnt(0)
	v_add_nc_u32_e32 v5, v27, v7
	v_cndmask_b32_e64 v23, 0, 1, vcc_lo
	v_cmp_ne_u32_e32 vcc_lo, v6, v4
	v_cvt_i32_f32_e32 v4, v15
	v_lshrrev_b32_e32 v7, 31, v8
	v_ashrrev_i32_e32 v8, 2, v8
	v_lshrrev_b32_e32 v27, 31, v25
	v_cndmask_b32_e64 v26, 0, 1, vcc_lo
	v_mul_hi_i32 v4, 0x66666667, v4
	v_cmp_ne_u32_e32 vcc_lo, v5, v6
	v_cvt_i32_f32_e32 v6, v18
	v_add_nc_u32_e32 v7, v8, v7
	v_cvt_i32_f32_e32 v8, v17
	v_ashrrev_i32_e32 v28, 2, v25
	v_cndmask_b32_e64 v25, 0, 1, vcc_lo
	v_mul_hi_i32 v6, 0x66666667, v6
	v_lshrrev_b32_e32 v30, 31, v4
	v_mul_hi_i32 v8, 0x66666667, v8
	v_add_nc_u32_e32 v29, v28, v27
	v_ashrrev_i32_e32 v4, 2, v4
	v_cmp_ne_u32_e32 vcc_lo, v7, v5
	s_barrier
	buffer_gl0_inv
	v_lshrrev_b32_e32 v5, 31, v6
	v_add_nc_u32_e32 v4, v4, v30
	v_cndmask_b32_e64 v28, 0, 1, vcc_lo
	v_cmp_ne_u32_e32 vcc_lo, v29, v7
	v_ashrrev_i32_e32 v6, 2, v6
	v_lshrrev_b32_e32 v7, 31, v8
	v_ashrrev_i32_e32 v8, 2, v8
	v_cndmask_b32_e64 v27, 0, 1, vcc_lo
	v_cmp_ne_u32_e32 vcc_lo, v4, v29
	v_cvt_i32_f32_e32 v29, v19
	v_add_nc_u32_e32 v5, v6, v5
	v_add_nc_u32_e32 v6, v8, v7
	v_mul_hi_i32 v7, 0x66666667, v31
	v_cvt_i32_f32_e32 v8, v22
	v_mul_hi_i32 v31, 0x66666667, v29
	v_cndmask_b32_e64 v30, 0, 1, vcc_lo
	v_cmp_ne_u32_e32 vcc_lo, v5, v4
	s_delay_alu instid0(VALU_DEP_4)
	v_mul_hi_i32 v4, 0x66666667, v8
	v_lshrrev_b32_e32 v8, 31, v7
	v_ashrrev_i32_e32 v7, 2, v7
	v_cndmask_b32_e64 v29, 0, 1, vcc_lo
	v_cmp_ne_u32_e32 vcc_lo, v6, v5
	v_mul_hi_i32 v5, 0x66666667, v33
	v_lshrrev_b32_e32 v33, 31, v31
	v_ashrrev_i32_e32 v31, 2, v31
	v_add_nc_u32_e32 v7, v7, v8
	v_cndmask_b32_e64 v32, 0, 1, vcc_lo
	v_lshrrev_b32_e32 v34, 31, v4
	v_ashrrev_i32_e32 v4, 2, v4
	v_add_nc_u32_e32 v33, v31, v33
	v_cmp_ne_u32_e32 vcc_lo, v7, v6
	v_lshrrev_b32_e32 v8, 31, v5
	v_ashrrev_i32_e32 v5, 2, v5
	v_add_nc_u32_e32 v49, v4, v34
	v_cndmask_b32_e64 v31, 0, 1, vcc_lo
	v_cmp_ne_u32_e32 vcc_lo, v33, v7
	s_delay_alu instid0(VALU_DEP_4) | instskip(SKIP_3) | instid1(VALU_DEP_4)
	v_add_nc_u32_e32 v4, v5, v8
	v_cndmask_b32_e64 v34, 0, 1, vcc_lo
	v_cmp_ne_u32_e32 vcc_lo, v49, v33
	v_cndmask_b32_e64 v33, 0, 1, vcc_lo
	v_cmp_ne_u32_e32 vcc_lo, v4, v49
	v_cndmask_b32_e64 v50, 0, 1, vcc_lo
	s_and_saveexec_b32 s0, s3
	s_delay_alu instid0(SALU_CYCLE_1)
	s_xor_b32 s0, exec_lo, s0
	s_cbranch_execz .LBB144_117
; %bb.116:
	v_add_nc_u32_e32 v3, -4, v3
	s_or_b32 s15, s15, exec_lo
	ds_load_b32 v3, v3
	s_waitcnt lgkmcnt(0)
	v_cvt_i32_f32_e32 v3, v3
	s_delay_alu instid0(VALU_DEP_1) | instskip(NEXT) | instid1(VALU_DEP_1)
	v_mul_hi_i32 v3, 0x66666667, v3
	v_lshrrev_b32_e32 v5, 31, v3
	v_ashrrev_i32_e32 v3, 2, v3
	s_delay_alu instid0(VALU_DEP_1) | instskip(NEXT) | instid1(VALU_DEP_1)
	v_add_nc_u32_e32 v3, v3, v5
	v_cmp_ne_u32_e32 vcc_lo, v3, v4
	s_and_b32 s4, vcc_lo, exec_lo
.LBB144_117:
	s_or_b32 exec_lo, exec_lo, s0
	s_mov_b32 s0, 1
	s_branch .LBB144_75
.LBB144_118:
	s_mul_hi_u32 s0, s24, 0xfffff100
	s_mul_i32 s1, s25, 0xfffff100
	s_sub_i32 s0, s0, s24
	s_mul_i32 s4, s24, 0xfffff100
	s_add_i32 s1, s0, s1
	s_add_u32 s0, s4, s36
	s_addc_u32 s1, s1, s37
	s_and_b32 vcc_lo, exec_lo, s27
	s_cbranch_vccz .LBB144_153
; %bb.119:
	v_add_co_u32 v1, vcc_lo, -4, v1
	v_add_co_ci_u32_e32 v2, vcc_lo, -1, v2, vcc_lo
	v_mad_u32_u24 v23, v0, 15, 14
	v_mov_b32_e32 v24, 0
	v_mov_b32_e32 v58, 0
	flat_load_b32 v3, v[1:2]
	v_lshlrev_b32_e32 v2, 2, v0
	v_mul_u32_u24_e32 v1, 15, v0
	s_mov_b32 s4, exec_lo
	ds_store_b32 v2, v57
	v_cmpx_gt_u64_e64 s[0:1], v[23:24]
	s_cbranch_execz .LBB144_121
; %bb.120:
	v_cvt_i32_f32_e32 v4, v10
	v_cvt_i32_f32_e32 v5, v57
	s_delay_alu instid0(VALU_DEP_2) | instskip(NEXT) | instid1(VALU_DEP_2)
	v_mul_hi_i32 v4, 0x66666667, v4
	v_mul_hi_i32 v5, 0x66666667, v5
	s_delay_alu instid0(VALU_DEP_2) | instskip(SKIP_1) | instid1(VALU_DEP_3)
	v_lshrrev_b32_e32 v6, 31, v4
	v_ashrrev_i32_e32 v4, 2, v4
	v_lshrrev_b32_e32 v7, 31, v5
	v_ashrrev_i32_e32 v5, 2, v5
	s_delay_alu instid0(VALU_DEP_3) | instskip(NEXT) | instid1(VALU_DEP_2)
	v_add_nc_u32_e32 v4, v4, v6
	v_add_nc_u32_e32 v5, v5, v7
	s_delay_alu instid0(VALU_DEP_1)
	v_cmp_ne_u32_e32 vcc_lo, v4, v5
	v_cndmask_b32_e64 v58, 0, 1, vcc_lo
.LBB144_121:
	s_or_b32 exec_lo, exec_lo, s4
	v_add_nc_u32_e32 v23, 13, v1
	s_mov_b32 s4, exec_lo
	s_delay_alu instid0(VALU_DEP_1)
	v_cmpx_gt_u64_e64 s[0:1], v[23:24]
	s_cbranch_execz .LBB144_123
; %bb.122:
	v_cvt_i32_f32_e32 v4, v9
	v_cvt_i32_f32_e32 v5, v10
	s_delay_alu instid0(VALU_DEP_2) | instskip(NEXT) | instid1(VALU_DEP_2)
	v_mul_hi_i32 v4, 0x66666667, v4
	v_mul_hi_i32 v5, 0x66666667, v5
	s_delay_alu instid0(VALU_DEP_2) | instskip(SKIP_1) | instid1(VALU_DEP_3)
	v_lshrrev_b32_e32 v6, 31, v4
	v_ashrrev_i32_e32 v4, 2, v4
	v_lshrrev_b32_e32 v7, 31, v5
	v_ashrrev_i32_e32 v5, 2, v5
	s_delay_alu instid0(VALU_DEP_3) | instskip(NEXT) | instid1(VALU_DEP_2)
	v_add_nc_u32_e32 v4, v4, v6
	v_add_nc_u32_e32 v5, v5, v7
	s_delay_alu instid0(VALU_DEP_1)
	v_cmp_ne_u32_e32 vcc_lo, v4, v5
	v_cndmask_b32_e64 v24, 0, 1, vcc_lo
.LBB144_123:
	s_or_b32 exec_lo, exec_lo, s4
	v_dual_mov_b32 v26, 0 :: v_dual_add_nc_u32 v25, 12, v1
	v_mov_b32_e32 v23, 0
	s_mov_b32 s4, exec_lo
	s_delay_alu instid0(VALU_DEP_2)
	v_cmpx_gt_u64_e64 s[0:1], v[25:26]
	s_cbranch_execz .LBB144_125
; %bb.124:
	v_cvt_i32_f32_e32 v4, v12
	v_cvt_i32_f32_e32 v5, v9
	s_delay_alu instid0(VALU_DEP_2) | instskip(NEXT) | instid1(VALU_DEP_2)
	v_mul_hi_i32 v4, 0x66666667, v4
	v_mul_hi_i32 v5, 0x66666667, v5
	s_delay_alu instid0(VALU_DEP_2) | instskip(SKIP_1) | instid1(VALU_DEP_3)
	v_lshrrev_b32_e32 v6, 31, v4
	v_ashrrev_i32_e32 v4, 2, v4
	v_lshrrev_b32_e32 v7, 31, v5
	v_ashrrev_i32_e32 v5, 2, v5
	s_delay_alu instid0(VALU_DEP_3) | instskip(NEXT) | instid1(VALU_DEP_2)
	v_add_nc_u32_e32 v4, v4, v6
	v_add_nc_u32_e32 v5, v5, v7
	s_delay_alu instid0(VALU_DEP_1)
	v_cmp_ne_u32_e32 vcc_lo, v4, v5
	v_cndmask_b32_e64 v23, 0, 1, vcc_lo
.LBB144_125:
	s_or_b32 exec_lo, exec_lo, s4
	v_add_nc_u32_e32 v25, 11, v1
	s_mov_b32 s4, exec_lo
	s_delay_alu instid0(VALU_DEP_1)
	v_cmpx_gt_u64_e64 s[0:1], v[25:26]
	s_cbranch_execz .LBB144_127
; %bb.126:
	v_cvt_i32_f32_e32 v4, v11
	v_cvt_i32_f32_e32 v5, v12
	s_delay_alu instid0(VALU_DEP_2) | instskip(NEXT) | instid1(VALU_DEP_2)
	v_mul_hi_i32 v4, 0x66666667, v4
	v_mul_hi_i32 v5, 0x66666667, v5
	s_delay_alu instid0(VALU_DEP_2) | instskip(SKIP_1) | instid1(VALU_DEP_3)
	v_lshrrev_b32_e32 v6, 31, v4
	v_ashrrev_i32_e32 v4, 2, v4
	v_lshrrev_b32_e32 v7, 31, v5
	v_ashrrev_i32_e32 v5, 2, v5
	s_delay_alu instid0(VALU_DEP_3) | instskip(NEXT) | instid1(VALU_DEP_2)
	v_add_nc_u32_e32 v4, v4, v6
	v_add_nc_u32_e32 v5, v5, v7
	s_delay_alu instid0(VALU_DEP_1)
	v_cmp_ne_u32_e32 vcc_lo, v4, v5
	v_cndmask_b32_e64 v26, 0, 1, vcc_lo
.LBB144_127:
	s_or_b32 exec_lo, exec_lo, s4
	v_dual_mov_b32 v28, 0 :: v_dual_add_nc_u32 v27, 10, v1
	v_mov_b32_e32 v25, 0
	s_mov_b32 s4, exec_lo
	s_delay_alu instid0(VALU_DEP_2)
	v_cmpx_gt_u64_e64 s[0:1], v[27:28]
	s_cbranch_execz .LBB144_129
; %bb.128:
	v_cvt_i32_f32_e32 v4, v14
	v_cvt_i32_f32_e32 v5, v11
	s_delay_alu instid0(VALU_DEP_2) | instskip(NEXT) | instid1(VALU_DEP_2)
	v_mul_hi_i32 v4, 0x66666667, v4
	v_mul_hi_i32 v5, 0x66666667, v5
	s_delay_alu instid0(VALU_DEP_2) | instskip(SKIP_1) | instid1(VALU_DEP_3)
	v_lshrrev_b32_e32 v6, 31, v4
	v_ashrrev_i32_e32 v4, 2, v4
	v_lshrrev_b32_e32 v7, 31, v5
	v_ashrrev_i32_e32 v5, 2, v5
	s_delay_alu instid0(VALU_DEP_3) | instskip(NEXT) | instid1(VALU_DEP_2)
	v_add_nc_u32_e32 v4, v4, v6
	v_add_nc_u32_e32 v5, v5, v7
	s_delay_alu instid0(VALU_DEP_1)
	v_cmp_ne_u32_e32 vcc_lo, v4, v5
	v_cndmask_b32_e64 v25, 0, 1, vcc_lo
.LBB144_129:
	s_or_b32 exec_lo, exec_lo, s4
	v_add_nc_u32_e32 v27, 9, v1
	s_mov_b32 s4, exec_lo
	s_delay_alu instid0(VALU_DEP_1)
	v_cmpx_gt_u64_e64 s[0:1], v[27:28]
	s_cbranch_execz .LBB144_131
; %bb.130:
	v_cvt_i32_f32_e32 v4, v13
	v_cvt_i32_f32_e32 v5, v14
	s_delay_alu instid0(VALU_DEP_2) | instskip(NEXT) | instid1(VALU_DEP_2)
	v_mul_hi_i32 v4, 0x66666667, v4
	v_mul_hi_i32 v5, 0x66666667, v5
	s_delay_alu instid0(VALU_DEP_2) | instskip(SKIP_1) | instid1(VALU_DEP_3)
	v_lshrrev_b32_e32 v6, 31, v4
	v_ashrrev_i32_e32 v4, 2, v4
	v_lshrrev_b32_e32 v7, 31, v5
	v_ashrrev_i32_e32 v5, 2, v5
	s_delay_alu instid0(VALU_DEP_3) | instskip(NEXT) | instid1(VALU_DEP_2)
	v_add_nc_u32_e32 v4, v4, v6
	v_add_nc_u32_e32 v5, v5, v7
	s_delay_alu instid0(VALU_DEP_1)
	v_cmp_ne_u32_e32 vcc_lo, v4, v5
	v_cndmask_b32_e64 v28, 0, 1, vcc_lo
.LBB144_131:
	s_or_b32 exec_lo, exec_lo, s4
	v_dual_mov_b32 v30, 0 :: v_dual_add_nc_u32 v29, 8, v1
	v_mov_b32_e32 v27, 0
	s_mov_b32 s4, exec_lo
	s_delay_alu instid0(VALU_DEP_2)
	v_cmpx_gt_u64_e64 s[0:1], v[29:30]
	s_cbranch_execz .LBB144_133
; %bb.132:
	v_cvt_i32_f32_e32 v4, v16
	v_cvt_i32_f32_e32 v5, v13
	s_delay_alu instid0(VALU_DEP_2) | instskip(NEXT) | instid1(VALU_DEP_2)
	v_mul_hi_i32 v4, 0x66666667, v4
	v_mul_hi_i32 v5, 0x66666667, v5
	s_delay_alu instid0(VALU_DEP_2) | instskip(SKIP_1) | instid1(VALU_DEP_3)
	v_lshrrev_b32_e32 v6, 31, v4
	v_ashrrev_i32_e32 v4, 2, v4
	v_lshrrev_b32_e32 v7, 31, v5
	v_ashrrev_i32_e32 v5, 2, v5
	s_delay_alu instid0(VALU_DEP_3) | instskip(NEXT) | instid1(VALU_DEP_2)
	v_add_nc_u32_e32 v4, v4, v6
	v_add_nc_u32_e32 v5, v5, v7
	s_delay_alu instid0(VALU_DEP_1)
	v_cmp_ne_u32_e32 vcc_lo, v4, v5
	v_cndmask_b32_e64 v27, 0, 1, vcc_lo
.LBB144_133:
	s_or_b32 exec_lo, exec_lo, s4
	v_add_nc_u32_e32 v29, 7, v1
	s_mov_b32 s4, exec_lo
	s_delay_alu instid0(VALU_DEP_1)
	v_cmpx_gt_u64_e64 s[0:1], v[29:30]
	s_cbranch_execz .LBB144_135
; %bb.134:
	v_cvt_i32_f32_e32 v4, v15
	v_cvt_i32_f32_e32 v5, v16
	s_delay_alu instid0(VALU_DEP_2) | instskip(NEXT) | instid1(VALU_DEP_2)
	v_mul_hi_i32 v4, 0x66666667, v4
	v_mul_hi_i32 v5, 0x66666667, v5
	s_delay_alu instid0(VALU_DEP_2) | instskip(SKIP_1) | instid1(VALU_DEP_3)
	v_lshrrev_b32_e32 v6, 31, v4
	v_ashrrev_i32_e32 v4, 2, v4
	v_lshrrev_b32_e32 v7, 31, v5
	v_ashrrev_i32_e32 v5, 2, v5
	s_delay_alu instid0(VALU_DEP_3) | instskip(NEXT) | instid1(VALU_DEP_2)
	v_add_nc_u32_e32 v4, v4, v6
	v_add_nc_u32_e32 v5, v5, v7
	s_delay_alu instid0(VALU_DEP_1)
	v_cmp_ne_u32_e32 vcc_lo, v4, v5
	v_cndmask_b32_e64 v30, 0, 1, vcc_lo
.LBB144_135:
	s_or_b32 exec_lo, exec_lo, s4
	v_dual_mov_b32 v32, 0 :: v_dual_add_nc_u32 v31, 6, v1
	v_mov_b32_e32 v29, 0
	s_mov_b32 s4, exec_lo
	s_delay_alu instid0(VALU_DEP_2)
	v_cmpx_gt_u64_e64 s[0:1], v[31:32]
	s_cbranch_execz .LBB144_137
; %bb.136:
	v_cvt_i32_f32_e32 v4, v18
	v_cvt_i32_f32_e32 v5, v15
	s_delay_alu instid0(VALU_DEP_2) | instskip(NEXT) | instid1(VALU_DEP_2)
	v_mul_hi_i32 v4, 0x66666667, v4
	v_mul_hi_i32 v5, 0x66666667, v5
	s_delay_alu instid0(VALU_DEP_2) | instskip(SKIP_1) | instid1(VALU_DEP_3)
	v_lshrrev_b32_e32 v6, 31, v4
	v_ashrrev_i32_e32 v4, 2, v4
	v_lshrrev_b32_e32 v7, 31, v5
	v_ashrrev_i32_e32 v5, 2, v5
	s_delay_alu instid0(VALU_DEP_3) | instskip(NEXT) | instid1(VALU_DEP_2)
	v_add_nc_u32_e32 v4, v4, v6
	v_add_nc_u32_e32 v5, v5, v7
	s_delay_alu instid0(VALU_DEP_1)
	v_cmp_ne_u32_e32 vcc_lo, v4, v5
	v_cndmask_b32_e64 v29, 0, 1, vcc_lo
.LBB144_137:
	s_or_b32 exec_lo, exec_lo, s4
	v_add_nc_u32_e32 v31, 5, v1
	s_mov_b32 s4, exec_lo
	s_delay_alu instid0(VALU_DEP_1)
	v_cmpx_gt_u64_e64 s[0:1], v[31:32]
	s_cbranch_execz .LBB144_139
; %bb.138:
	v_cvt_i32_f32_e32 v4, v17
	v_cvt_i32_f32_e32 v5, v18
	s_delay_alu instid0(VALU_DEP_2) | instskip(NEXT) | instid1(VALU_DEP_2)
	v_mul_hi_i32 v4, 0x66666667, v4
	v_mul_hi_i32 v5, 0x66666667, v5
	s_delay_alu instid0(VALU_DEP_2) | instskip(SKIP_1) | instid1(VALU_DEP_3)
	v_lshrrev_b32_e32 v6, 31, v4
	v_ashrrev_i32_e32 v4, 2, v4
	v_lshrrev_b32_e32 v7, 31, v5
	v_ashrrev_i32_e32 v5, 2, v5
	s_delay_alu instid0(VALU_DEP_3) | instskip(NEXT) | instid1(VALU_DEP_2)
	v_add_nc_u32_e32 v4, v4, v6
	v_add_nc_u32_e32 v5, v5, v7
	s_delay_alu instid0(VALU_DEP_1)
	v_cmp_ne_u32_e32 vcc_lo, v4, v5
	v_cndmask_b32_e64 v32, 0, 1, vcc_lo
.LBB144_139:
	s_or_b32 exec_lo, exec_lo, s4
	v_dual_mov_b32 v34, 0 :: v_dual_add_nc_u32 v33, 4, v1
	v_mov_b32_e32 v31, 0
	s_mov_b32 s4, exec_lo
	s_delay_alu instid0(VALU_DEP_2)
	v_cmpx_gt_u64_e64 s[0:1], v[33:34]
	s_cbranch_execz .LBB144_141
; %bb.140:
	v_cvt_i32_f32_e32 v4, v20
	v_cvt_i32_f32_e32 v5, v17
	s_delay_alu instid0(VALU_DEP_2) | instskip(NEXT) | instid1(VALU_DEP_2)
	v_mul_hi_i32 v4, 0x66666667, v4
	v_mul_hi_i32 v5, 0x66666667, v5
	s_delay_alu instid0(VALU_DEP_2) | instskip(SKIP_1) | instid1(VALU_DEP_3)
	v_lshrrev_b32_e32 v6, 31, v4
	v_ashrrev_i32_e32 v4, 2, v4
	v_lshrrev_b32_e32 v7, 31, v5
	v_ashrrev_i32_e32 v5, 2, v5
	s_delay_alu instid0(VALU_DEP_3) | instskip(NEXT) | instid1(VALU_DEP_2)
	v_add_nc_u32_e32 v4, v4, v6
	v_add_nc_u32_e32 v5, v5, v7
	s_delay_alu instid0(VALU_DEP_1)
	v_cmp_ne_u32_e32 vcc_lo, v4, v5
	v_cndmask_b32_e64 v31, 0, 1, vcc_lo
.LBB144_141:
	s_or_b32 exec_lo, exec_lo, s4
	v_add_nc_u32_e32 v33, 3, v1
	s_mov_b32 s4, exec_lo
	s_delay_alu instid0(VALU_DEP_1)
	v_cmpx_gt_u64_e64 s[0:1], v[33:34]
	s_cbranch_execz .LBB144_143
; %bb.142:
	v_cvt_i32_f32_e32 v4, v19
	v_cvt_i32_f32_e32 v5, v20
	s_delay_alu instid0(VALU_DEP_2) | instskip(NEXT) | instid1(VALU_DEP_2)
	v_mul_hi_i32 v4, 0x66666667, v4
	v_mul_hi_i32 v5, 0x66666667, v5
	s_delay_alu instid0(VALU_DEP_2) | instskip(SKIP_1) | instid1(VALU_DEP_3)
	v_lshrrev_b32_e32 v6, 31, v4
	v_ashrrev_i32_e32 v4, 2, v4
	v_lshrrev_b32_e32 v7, 31, v5
	v_ashrrev_i32_e32 v5, 2, v5
	s_delay_alu instid0(VALU_DEP_3) | instskip(NEXT) | instid1(VALU_DEP_2)
	v_add_nc_u32_e32 v4, v4, v6
	v_add_nc_u32_e32 v5, v5, v7
	s_delay_alu instid0(VALU_DEP_1)
	v_cmp_ne_u32_e32 vcc_lo, v4, v5
	v_cndmask_b32_e64 v34, 0, 1, vcc_lo
.LBB144_143:
	s_or_b32 exec_lo, exec_lo, s4
	v_dual_mov_b32 v50, 0 :: v_dual_add_nc_u32 v49, 2, v1
	v_mov_b32_e32 v33, 0
	s_mov_b32 s4, exec_lo
	s_delay_alu instid0(VALU_DEP_2)
	v_cmpx_gt_u64_e64 s[0:1], v[49:50]
	s_cbranch_execz .LBB144_145
; %bb.144:
	v_cvt_i32_f32_e32 v4, v22
	v_cvt_i32_f32_e32 v5, v19
	s_delay_alu instid0(VALU_DEP_2) | instskip(NEXT) | instid1(VALU_DEP_2)
	v_mul_hi_i32 v4, 0x66666667, v4
	v_mul_hi_i32 v5, 0x66666667, v5
	s_delay_alu instid0(VALU_DEP_2) | instskip(SKIP_1) | instid1(VALU_DEP_3)
	v_lshrrev_b32_e32 v6, 31, v4
	v_ashrrev_i32_e32 v4, 2, v4
	v_lshrrev_b32_e32 v7, 31, v5
	v_ashrrev_i32_e32 v5, 2, v5
	s_delay_alu instid0(VALU_DEP_3) | instskip(NEXT) | instid1(VALU_DEP_2)
	v_add_nc_u32_e32 v4, v4, v6
	v_add_nc_u32_e32 v5, v5, v7
	s_delay_alu instid0(VALU_DEP_1)
	v_cmp_ne_u32_e32 vcc_lo, v4, v5
	v_cndmask_b32_e64 v33, 0, 1, vcc_lo
.LBB144_145:
	s_or_b32 exec_lo, exec_lo, s4
	v_add_nc_u32_e32 v49, 1, v1
	s_mov_b32 s4, exec_lo
	s_delay_alu instid0(VALU_DEP_1)
	v_cmpx_gt_u64_e64 s[0:1], v[49:50]
	s_cbranch_execz .LBB144_147
; %bb.146:
	v_cvt_i32_f32_e32 v4, v21
	v_cvt_i32_f32_e32 v5, v22
	s_delay_alu instid0(VALU_DEP_2) | instskip(NEXT) | instid1(VALU_DEP_2)
	v_mul_hi_i32 v4, 0x66666667, v4
	v_mul_hi_i32 v5, 0x66666667, v5
	s_delay_alu instid0(VALU_DEP_2) | instskip(SKIP_1) | instid1(VALU_DEP_3)
	v_lshrrev_b32_e32 v6, 31, v4
	v_ashrrev_i32_e32 v4, 2, v4
	v_lshrrev_b32_e32 v7, 31, v5
	v_ashrrev_i32_e32 v5, 2, v5
	s_delay_alu instid0(VALU_DEP_3) | instskip(NEXT) | instid1(VALU_DEP_2)
	v_add_nc_u32_e32 v4, v4, v6
	v_add_nc_u32_e32 v5, v5, v7
	s_delay_alu instid0(VALU_DEP_1)
	v_cmp_ne_u32_e32 vcc_lo, v4, v5
	v_cndmask_b32_e64 v50, 0, 1, vcc_lo
.LBB144_147:
	s_or_b32 exec_lo, exec_lo, s4
	s_waitcnt vmcnt(0) lgkmcnt(0)
	s_barrier
	buffer_gl0_inv
	s_and_saveexec_b32 s4, s3
	s_cbranch_execz .LBB144_149
; %bb.148:
	v_add_nc_u32_e32 v2, -4, v2
	ds_load_b32 v3, v2
.LBB144_149:
	s_or_b32 exec_lo, exec_lo, s4
	v_mov_b32_e32 v2, 0
	s_mov_b32 s5, 0
	s_mov_b32 s4, 0
	s_mov_b32 s6, exec_lo
	s_delay_alu instid0(VALU_DEP_1)
	v_cmpx_gt_u64_e64 s[0:1], v[1:2]
	s_cbranch_execz .LBB144_151
; %bb.150:
	s_waitcnt lgkmcnt(0)
	v_cvt_i32_f32_e32 v1, v3
	v_cvt_i32_f32_e32 v2, v21
	s_delay_alu instid0(VALU_DEP_2) | instskip(NEXT) | instid1(VALU_DEP_2)
	v_mul_hi_i32 v1, 0x66666667, v1
	v_mul_hi_i32 v2, 0x66666667, v2
	s_delay_alu instid0(VALU_DEP_2) | instskip(SKIP_1) | instid1(VALU_DEP_3)
	v_lshrrev_b32_e32 v3, 31, v1
	v_ashrrev_i32_e32 v1, 2, v1
	v_lshrrev_b32_e32 v4, 31, v2
	v_ashrrev_i32_e32 v2, 2, v2
	s_delay_alu instid0(VALU_DEP_3) | instskip(NEXT) | instid1(VALU_DEP_2)
	v_add_nc_u32_e32 v1, v1, v3
	v_add_nc_u32_e32 v2, v2, v4
	s_delay_alu instid0(VALU_DEP_1)
	v_cmp_ne_u32_e32 vcc_lo, v1, v2
	s_and_b32 s4, vcc_lo, exec_lo
.LBB144_151:
	s_or_b32 exec_lo, exec_lo, s6
	s_mov_b32 s15, -1
	s_and_b32 vcc_lo, exec_lo, s5
	s_cbranch_vccnz .LBB144_154
.LBB144_152:
                                        ; implicit-def: $sgpr0
	v_mov_b32_e32 v49, s0
	s_and_saveexec_b32 s0, s15
	s_cbranch_execz .LBB144_77
	s_branch .LBB144_76
.LBB144_153:
                                        ; implicit-def: $sgpr4
                                        ; implicit-def: $vgpr58
                                        ; implicit-def: $vgpr24
                                        ; implicit-def: $vgpr23
                                        ; implicit-def: $vgpr26
                                        ; implicit-def: $vgpr25
                                        ; implicit-def: $vgpr28
                                        ; implicit-def: $vgpr27
                                        ; implicit-def: $vgpr30
                                        ; implicit-def: $vgpr29
                                        ; implicit-def: $vgpr32
                                        ; implicit-def: $vgpr31
                                        ; implicit-def: $vgpr34
                                        ; implicit-def: $vgpr33
                                        ; implicit-def: $vgpr50
	s_cbranch_execz .LBB144_152
.LBB144_154:
	v_mad_u32_u24 v23, v0, 15, 14
	s_waitcnt lgkmcnt(0)
	v_dual_mov_b32 v24, 0 :: v_dual_lshlrev_b32 v3, 2, v0
	v_mul_u32_u24_e32 v1, 15, v0
	v_mov_b32_e32 v58, 0
	s_mov_b32 s4, exec_lo
	ds_store_b32 v3, v57
	v_cmpx_gt_u64_e64 s[0:1], v[23:24]
	s_cbranch_execz .LBB144_156
; %bb.155:
	v_cvt_i32_f32_e32 v2, v10
	v_cvt_i32_f32_e32 v4, v57
	s_delay_alu instid0(VALU_DEP_2) | instskip(NEXT) | instid1(VALU_DEP_2)
	v_mul_hi_i32 v2, 0x66666667, v2
	v_mul_hi_i32 v4, 0x66666667, v4
	s_delay_alu instid0(VALU_DEP_2) | instskip(SKIP_1) | instid1(VALU_DEP_3)
	v_lshrrev_b32_e32 v5, 31, v2
	v_ashrrev_i32_e32 v2, 2, v2
	v_lshrrev_b32_e32 v6, 31, v4
	v_ashrrev_i32_e32 v4, 2, v4
	s_delay_alu instid0(VALU_DEP_3) | instskip(NEXT) | instid1(VALU_DEP_2)
	v_add_nc_u32_e32 v2, v2, v5
	v_add_nc_u32_e32 v4, v4, v6
	s_delay_alu instid0(VALU_DEP_1)
	v_cmp_ne_u32_e32 vcc_lo, v2, v4
	v_cndmask_b32_e64 v58, 0, 1, vcc_lo
.LBB144_156:
	s_or_b32 exec_lo, exec_lo, s4
	v_add_nc_u32_e32 v23, 13, v1
	s_mov_b32 s4, exec_lo
	s_delay_alu instid0(VALU_DEP_1)
	v_cmpx_gt_u64_e64 s[0:1], v[23:24]
	s_cbranch_execz .LBB144_158
; %bb.157:
	v_cvt_i32_f32_e32 v2, v9
	v_cvt_i32_f32_e32 v4, v10
	s_delay_alu instid0(VALU_DEP_2) | instskip(NEXT) | instid1(VALU_DEP_2)
	v_mul_hi_i32 v2, 0x66666667, v2
	v_mul_hi_i32 v4, 0x66666667, v4
	s_delay_alu instid0(VALU_DEP_2) | instskip(SKIP_1) | instid1(VALU_DEP_3)
	v_lshrrev_b32_e32 v5, 31, v2
	v_ashrrev_i32_e32 v2, 2, v2
	v_lshrrev_b32_e32 v6, 31, v4
	v_ashrrev_i32_e32 v4, 2, v4
	s_delay_alu instid0(VALU_DEP_3) | instskip(NEXT) | instid1(VALU_DEP_2)
	v_add_nc_u32_e32 v2, v2, v5
	v_add_nc_u32_e32 v4, v4, v6
	s_delay_alu instid0(VALU_DEP_1)
	v_cmp_ne_u32_e32 vcc_lo, v2, v4
	v_cndmask_b32_e64 v24, 0, 1, vcc_lo
.LBB144_158:
	s_or_b32 exec_lo, exec_lo, s4
	v_dual_mov_b32 v26, 0 :: v_dual_add_nc_u32 v25, 12, v1
	v_mov_b32_e32 v23, 0
	s_mov_b32 s4, exec_lo
	s_delay_alu instid0(VALU_DEP_2)
	v_cmpx_gt_u64_e64 s[0:1], v[25:26]
	s_cbranch_execz .LBB144_160
; %bb.159:
	v_cvt_i32_f32_e32 v2, v12
	v_cvt_i32_f32_e32 v4, v9
	s_delay_alu instid0(VALU_DEP_2) | instskip(NEXT) | instid1(VALU_DEP_2)
	v_mul_hi_i32 v2, 0x66666667, v2
	v_mul_hi_i32 v4, 0x66666667, v4
	s_delay_alu instid0(VALU_DEP_2) | instskip(SKIP_1) | instid1(VALU_DEP_3)
	v_lshrrev_b32_e32 v5, 31, v2
	v_ashrrev_i32_e32 v2, 2, v2
	v_lshrrev_b32_e32 v6, 31, v4
	v_ashrrev_i32_e32 v4, 2, v4
	s_delay_alu instid0(VALU_DEP_3) | instskip(NEXT) | instid1(VALU_DEP_2)
	v_add_nc_u32_e32 v2, v2, v5
	v_add_nc_u32_e32 v4, v4, v6
	s_delay_alu instid0(VALU_DEP_1)
	v_cmp_ne_u32_e32 vcc_lo, v2, v4
	v_cndmask_b32_e64 v23, 0, 1, vcc_lo
.LBB144_160:
	s_or_b32 exec_lo, exec_lo, s4
	v_add_nc_u32_e32 v25, 11, v1
	s_mov_b32 s4, exec_lo
	s_delay_alu instid0(VALU_DEP_1)
	v_cmpx_gt_u64_e64 s[0:1], v[25:26]
	s_cbranch_execz .LBB144_162
; %bb.161:
	v_cvt_i32_f32_e32 v2, v11
	v_cvt_i32_f32_e32 v4, v12
	s_delay_alu instid0(VALU_DEP_2) | instskip(NEXT) | instid1(VALU_DEP_2)
	v_mul_hi_i32 v2, 0x66666667, v2
	v_mul_hi_i32 v4, 0x66666667, v4
	s_delay_alu instid0(VALU_DEP_2) | instskip(SKIP_1) | instid1(VALU_DEP_3)
	v_lshrrev_b32_e32 v5, 31, v2
	v_ashrrev_i32_e32 v2, 2, v2
	v_lshrrev_b32_e32 v6, 31, v4
	v_ashrrev_i32_e32 v4, 2, v4
	s_delay_alu instid0(VALU_DEP_3) | instskip(NEXT) | instid1(VALU_DEP_2)
	v_add_nc_u32_e32 v2, v2, v5
	v_add_nc_u32_e32 v4, v4, v6
	s_delay_alu instid0(VALU_DEP_1)
	v_cmp_ne_u32_e32 vcc_lo, v2, v4
	v_cndmask_b32_e64 v26, 0, 1, vcc_lo
.LBB144_162:
	s_or_b32 exec_lo, exec_lo, s4
	v_dual_mov_b32 v28, 0 :: v_dual_add_nc_u32 v27, 10, v1
	v_mov_b32_e32 v25, 0
	s_mov_b32 s4, exec_lo
	s_delay_alu instid0(VALU_DEP_2)
	;; [unrolled: 49-line block ×6, first 2 shown]
	v_cmpx_gt_u64_e64 s[0:1], v[49:50]
	s_cbranch_execz .LBB144_180
; %bb.179:
	v_cvt_i32_f32_e32 v2, v22
	v_cvt_i32_f32_e32 v4, v19
	s_delay_alu instid0(VALU_DEP_2) | instskip(NEXT) | instid1(VALU_DEP_2)
	v_mul_hi_i32 v2, 0x66666667, v2
	v_mul_hi_i32 v4, 0x66666667, v4
	s_delay_alu instid0(VALU_DEP_2) | instskip(SKIP_1) | instid1(VALU_DEP_3)
	v_lshrrev_b32_e32 v5, 31, v2
	v_ashrrev_i32_e32 v2, 2, v2
	v_lshrrev_b32_e32 v6, 31, v4
	v_ashrrev_i32_e32 v4, 2, v4
	s_delay_alu instid0(VALU_DEP_3) | instskip(NEXT) | instid1(VALU_DEP_2)
	v_add_nc_u32_e32 v2, v2, v5
	v_add_nc_u32_e32 v4, v4, v6
	s_delay_alu instid0(VALU_DEP_1)
	v_cmp_ne_u32_e32 vcc_lo, v2, v4
	v_cndmask_b32_e64 v33, 0, 1, vcc_lo
.LBB144_180:
	s_or_b32 exec_lo, exec_lo, s4
	v_add_nc_u32_e32 v49, 1, v1
	s_mov_b32 s4, exec_lo
	s_delay_alu instid0(VALU_DEP_1)
	v_cmpx_gt_u64_e64 s[0:1], v[49:50]
	s_cbranch_execz .LBB144_182
; %bb.181:
	v_cvt_i32_f32_e32 v2, v21
	v_cvt_i32_f32_e32 v4, v22
	s_delay_alu instid0(VALU_DEP_2) | instskip(NEXT) | instid1(VALU_DEP_2)
	v_mul_hi_i32 v2, 0x66666667, v2
	v_mul_hi_i32 v4, 0x66666667, v4
	s_delay_alu instid0(VALU_DEP_2) | instskip(SKIP_1) | instid1(VALU_DEP_3)
	v_lshrrev_b32_e32 v5, 31, v2
	v_ashrrev_i32_e32 v2, 2, v2
	v_lshrrev_b32_e32 v6, 31, v4
	v_ashrrev_i32_e32 v4, 2, v4
	s_delay_alu instid0(VALU_DEP_3) | instskip(NEXT) | instid1(VALU_DEP_2)
	v_add_nc_u32_e32 v2, v2, v5
	v_add_nc_u32_e32 v4, v4, v6
	s_delay_alu instid0(VALU_DEP_1)
	v_cmp_ne_u32_e32 vcc_lo, v2, v4
	v_cndmask_b32_e64 v50, 0, 1, vcc_lo
.LBB144_182:
	s_or_b32 exec_lo, exec_lo, s4
	s_waitcnt lgkmcnt(0)
	s_barrier
	buffer_gl0_inv
                                        ; implicit-def: $sgpr4
	s_and_saveexec_b32 s5, s3
	s_cbranch_execz .LBB144_186
; %bb.183:
	v_mov_b32_e32 v2, 0
	s_delay_alu instid0(VALU_DEP_1)
	v_cmp_gt_u64_e32 vcc_lo, s[0:1], v[1:2]
	s_mov_b32 s1, 0
	s_and_saveexec_b32 s0, vcc_lo
	s_cbranch_execz .LBB144_185
; %bb.184:
	v_add_nc_u32_e32 v1, -4, v3
	v_cvt_i32_f32_e32 v2, v21
	ds_load_b32 v1, v1
	v_mul_hi_i32 v2, 0x66666667, v2
	s_delay_alu instid0(VALU_DEP_1) | instskip(SKIP_1) | instid1(VALU_DEP_1)
	v_lshrrev_b32_e32 v3, 31, v2
	v_ashrrev_i32_e32 v2, 2, v2
	v_add_nc_u32_e32 v2, v2, v3
	s_waitcnt lgkmcnt(0)
	v_cvt_i32_f32_e32 v1, v1
	s_delay_alu instid0(VALU_DEP_1) | instskip(NEXT) | instid1(VALU_DEP_1)
	v_mul_hi_i32 v1, 0x66666667, v1
	v_lshrrev_b32_e32 v4, 31, v1
	v_ashrrev_i32_e32 v1, 2, v1
	s_delay_alu instid0(VALU_DEP_1) | instskip(NEXT) | instid1(VALU_DEP_1)
	v_add_nc_u32_e32 v1, v1, v4
	v_cmp_ne_u32_e32 vcc_lo, v1, v2
	s_and_b32 s1, vcc_lo, exec_lo
.LBB144_185:
	s_or_b32 exec_lo, exec_lo, s0
	s_delay_alu instid0(SALU_CYCLE_1)
	s_and_b32 s4, s1, exec_lo
	s_or_b32 s15, s15, exec_lo
.LBB144_186:
	s_or_b32 exec_lo, exec_lo, s5
	s_mov_b32 s0, 1
	s_delay_alu instid0(SALU_CYCLE_1)
	v_mov_b32_e32 v49, s0
	s_and_saveexec_b32 s0, s15
	s_cbranch_execnz .LBB144_76
	s_branch .LBB144_77
.LBB144_187:
	v_lshlrev_b32_e32 v6, 16, v53
	v_lshlrev_b32_e32 v5, 8, v5
	v_cndmask_b32_e64 v7, 0, 1, vcc_lo
	v_and_b32_e32 v2, 0xff, v2
	s_delay_alu instid0(VALU_DEP_4) | instskip(NEXT) | instid1(VALU_DEP_4)
	v_perm_b32 v6, v8, v6, 0x4020c0c
	v_and_b32_e32 v5, 0xff00, v5
	s_delay_alu instid0(VALU_DEP_4) | instskip(NEXT) | instid1(VALU_DEP_2)
	v_readfirstlane_b32 s15, v7
	v_or3_b32 v2, v6, v5, v2
	s_delay_alu instid0(VALU_DEP_2)
	s_sub_i32 s24, s24, s15
.LBB144_188:
	v_and_b32_e32 v4, 0xff, v4
	s_delay_alu instid0(VALU_DEP_1)
	v_cmp_eq_u16_e32 vcc_lo, 2, v4
	s_cbranch_vccz .LBB144_193
; %bb.189:
	s_ctz_i32_b32 s15, vcc_lo
	s_delay_alu instid0(SALU_CYCLE_1)
	s_cmp_eq_u32 s15, 0
	s_cbranch_scc1 .LBB144_194
; %bb.190:
	v_cmp_ne_u32_e32 vcc_lo, 31, v72
	v_add_co_ci_u32_e32 v4, vcc_lo, 0, v72, vcc_lo
	v_cmp_eq_u32_e32 vcc_lo, 0, v2
	s_delay_alu instid0(VALU_DEP_2)
	v_dual_mov_b32 v5, v3 :: v_dual_lshlrev_b32 v6, 2, v4
	v_mov_b32_e32 v4, v2
.LBB144_191:                            ; =>This Inner Loop Header: Depth=1
	ds_bpermute_b32 v5, v6, v5
	ds_bpermute_b32 v4, v6, v4
	s_add_i32 s15, s15, -1
	s_delay_alu instid0(SALU_CYCLE_1) | instskip(SKIP_2) | instid1(VALU_DEP_1)
	s_cmp_lg_u32 s15, 0
	s_waitcnt lgkmcnt(0)
	v_dual_add_f32 v5, v3, v5 :: v_dual_add_nc_u32 v4, v4, v2
	v_cndmask_b32_e32 v5, v3, v5, vcc_lo
	s_cbranch_scc1 .LBB144_191
; %bb.192:
	s_cmp_lt_i32 s24, 1
	s_cbranch_scc0 .LBB144_195
	s_branch .LBB144_197
.LBB144_193:
	s_mov_b32 s24, 0
	s_mov_b32 s15, -1
	s_branch .LBB144_202
.LBB144_194:
	v_dual_mov_b32 v5, v3 :: v_dual_mov_b32 v4, v2
	s_cmp_lt_i32 s24, 1
	s_cbranch_scc1 .LBB144_197
.LBB144_195:
	s_lshl_b32 s15, s24, 3
	s_delay_alu instid0(SALU_CYCLE_1) | instskip(SKIP_1) | instid1(VALU_DEP_1)
	v_add_nc_u32_e64 v2, s15, 0
	s_add_i32 s15, s24, 1
	v_add_nc_u32_e32 v2, -4, v2
.LBB144_196:                            ; =>This Inner Loop Header: Depth=1
	scratch_load_b64 v[6:7], v2, off offset:-4
	v_readlane_b32 s24, v5, 32
	s_add_i32 s15, s15, -1
	v_add_nc_u32_e32 v2, -8, v2
	s_cmp_gt_u32 s15, 1
	s_waitcnt vmcnt(0)
	v_add_f32_e32 v3, s24, v7
	v_readlane_b32 s24, v4, 32
	v_cmp_eq_u32_e32 vcc_lo, 0, v6
	s_delay_alu instid0(VALU_DEP_2) | instskip(NEXT) | instid1(VALU_DEP_1)
	v_add_nc_u32_e32 v4, s24, v6
	v_mov_b32_dpp v4, v4 row_shl:1 row_mask:0xf bank_mask:0xf
	s_delay_alu instid0(VALU_DEP_1) | instskip(NEXT) | instid1(VALU_DEP_1)
	v_dual_cndmask_b32 v3, v7, v3 :: v_dual_add_nc_u32 v4, v4, v6
	v_mov_b32_dpp v3, v3 row_shl:1 row_mask:0xf bank_mask:0xf
	s_delay_alu instid0(VALU_DEP_2) | instskip(NEXT) | instid1(VALU_DEP_1)
	v_mov_b32_dpp v4, v4 row_shl:1 row_mask:0xf bank_mask:0xf
	v_dual_add_f32 v3, v7, v3 :: v_dual_add_nc_u32 v4, v4, v6
	s_delay_alu instid0(VALU_DEP_1) | instskip(NEXT) | instid1(VALU_DEP_1)
	v_mov_b32_dpp v4, v4 row_shl:1 row_mask:0xf bank_mask:0xf
	v_dual_cndmask_b32 v3, v7, v3 :: v_dual_add_nc_u32 v4, v4, v6
	s_delay_alu instid0(VALU_DEP_1) | instskip(NEXT) | instid1(VALU_DEP_2)
	v_mov_b32_dpp v3, v3 row_shl:1 row_mask:0xf bank_mask:0xf
	v_mov_b32_dpp v4, v4 row_shl:1 row_mask:0xf bank_mask:0xf
	s_delay_alu instid0(VALU_DEP_1) | instskip(NEXT) | instid1(VALU_DEP_1)
	v_dual_add_f32 v3, v7, v3 :: v_dual_add_nc_u32 v4, v4, v6
	v_mov_b32_dpp v4, v4 row_shl:1 row_mask:0xf bank_mask:0xf
	s_delay_alu instid0(VALU_DEP_1) | instskip(NEXT) | instid1(VALU_DEP_1)
	v_dual_cndmask_b32 v3, v7, v3 :: v_dual_add_nc_u32 v4, v4, v6
	v_mov_b32_dpp v3, v3 row_shl:1 row_mask:0xf bank_mask:0xf
	s_delay_alu instid0(VALU_DEP_2) | instskip(NEXT) | instid1(VALU_DEP_1)
	v_mov_b32_dpp v4, v4 row_shl:1 row_mask:0xf bank_mask:0xf
	v_dual_add_f32 v3, v7, v3 :: v_dual_add_nc_u32 v4, v4, v6
	s_delay_alu instid0(VALU_DEP_1) | instskip(NEXT) | instid1(VALU_DEP_1)
	v_mov_b32_dpp v4, v4 row_shl:1 row_mask:0xf bank_mask:0xf
	v_dual_cndmask_b32 v3, v7, v3 :: v_dual_add_nc_u32 v4, v4, v6
	s_delay_alu instid0(VALU_DEP_1) | instskip(NEXT) | instid1(VALU_DEP_2)
	v_mov_b32_dpp v3, v3 row_shl:1 row_mask:0xf bank_mask:0xf
	v_mov_b32_dpp v4, v4 row_shl:1 row_mask:0xf bank_mask:0xf
	s_delay_alu instid0(VALU_DEP_2) | instskip(NEXT) | instid1(VALU_DEP_1)
	v_add_f32_e32 v3, v7, v3
	v_cndmask_b32_e32 v3, v7, v3, vcc_lo
	s_delay_alu instid0(VALU_DEP_1) | instskip(NEXT) | instid1(VALU_DEP_1)
	v_mov_b32_dpp v3, v3 row_shl:1 row_mask:0xf bank_mask:0xf
	v_add_f32_e32 v3, v7, v3
	s_delay_alu instid0(VALU_DEP_1) | instskip(NEXT) | instid1(VALU_DEP_1)
	v_cndmask_b32_e32 v3, v7, v3, vcc_lo
	v_mov_b32_dpp v3, v3 row_shl:1 row_mask:0xf bank_mask:0xf
	s_delay_alu instid0(VALU_DEP_1) | instskip(NEXT) | instid1(VALU_DEP_1)
	v_add_f32_e32 v3, v7, v3
	v_cndmask_b32_e32 v3, v7, v3, vcc_lo
	s_delay_alu instid0(VALU_DEP_1) | instskip(NEXT) | instid1(VALU_DEP_1)
	v_mov_b32_dpp v3, v3 row_shl:1 row_mask:0xf bank_mask:0xf
	v_add_f32_e32 v3, v7, v3
	s_delay_alu instid0(VALU_DEP_1) | instskip(NEXT) | instid1(VALU_DEP_1)
	v_cndmask_b32_e32 v3, v7, v3, vcc_lo
	v_mov_b32_dpp v3, v3 row_shl:1 row_mask:0xf bank_mask:0xf
	s_delay_alu instid0(VALU_DEP_1) | instskip(NEXT) | instid1(VALU_DEP_1)
	;; [unrolled: 9-line block ×5, first 2 shown]
	v_add_f32_e32 v3, v7, v3
	v_cndmask_b32_e32 v3, v7, v3, vcc_lo
	s_delay_alu instid0(VALU_DEP_1) | instskip(NEXT) | instid1(VALU_DEP_1)
	v_mov_b32_dpp v3, v3 row_shl:1 row_mask:0xf bank_mask:0xf
	v_add_f32_e32 v3, v7, v3
	s_delay_alu instid0(VALU_DEP_1) | instskip(NEXT) | instid1(VALU_DEP_1)
	v_cndmask_b32_e32 v3, v7, v3, vcc_lo
	v_readlane_b32 s24, v3, 16
	s_delay_alu instid0(VALU_DEP_1) | instskip(NEXT) | instid1(VALU_DEP_1)
	v_dual_add_f32 v4, s24, v7 :: v_dual_add_nc_u32 v3, v4, v6
	v_mov_b32_dpp v3, v3 row_shl:1 row_mask:0xf bank_mask:0xf
	s_delay_alu instid0(VALU_DEP_2) | instskip(NEXT) | instid1(VALU_DEP_2)
	v_cndmask_b32_e32 v4, v7, v4, vcc_lo
	v_add_nc_u32_e32 v3, v3, v6
	s_delay_alu instid0(VALU_DEP_2) | instskip(NEXT) | instid1(VALU_DEP_2)
	v_mov_b32_dpp v4, v4 row_shl:1 row_mask:0xf bank_mask:0xf
	v_mov_b32_dpp v3, v3 row_shl:1 row_mask:0xf bank_mask:0xf
	s_delay_alu instid0(VALU_DEP_2) | instskip(NEXT) | instid1(VALU_DEP_2)
	v_add_f32_e32 v4, v7, v4
	v_add_nc_u32_e32 v3, v3, v6
	s_delay_alu instid0(VALU_DEP_2) | instskip(NEXT) | instid1(VALU_DEP_2)
	v_cndmask_b32_e32 v4, v7, v4, vcc_lo
	v_mov_b32_dpp v3, v3 row_shl:1 row_mask:0xf bank_mask:0xf
	s_delay_alu instid0(VALU_DEP_2) | instskip(NEXT) | instid1(VALU_DEP_2)
	v_mov_b32_dpp v4, v4 row_shl:1 row_mask:0xf bank_mask:0xf
	v_add_nc_u32_e32 v3, v3, v6
	s_delay_alu instid0(VALU_DEP_2) | instskip(NEXT) | instid1(VALU_DEP_2)
	v_add_f32_e32 v4, v7, v4
	v_mov_b32_dpp v3, v3 row_shl:1 row_mask:0xf bank_mask:0xf
	s_delay_alu instid0(VALU_DEP_2) | instskip(NEXT) | instid1(VALU_DEP_2)
	v_cndmask_b32_e32 v4, v7, v4, vcc_lo
	v_add_nc_u32_e32 v3, v3, v6
	s_delay_alu instid0(VALU_DEP_2) | instskip(NEXT) | instid1(VALU_DEP_2)
	v_mov_b32_dpp v4, v4 row_shl:1 row_mask:0xf bank_mask:0xf
	v_mov_b32_dpp v3, v3 row_shl:1 row_mask:0xf bank_mask:0xf
	s_delay_alu instid0(VALU_DEP_2) | instskip(NEXT) | instid1(VALU_DEP_2)
	v_add_f32_e32 v4, v7, v4
	v_add_nc_u32_e32 v3, v3, v6
	s_delay_alu instid0(VALU_DEP_2) | instskip(NEXT) | instid1(VALU_DEP_2)
	v_cndmask_b32_e32 v4, v7, v4, vcc_lo
	v_mov_b32_dpp v3, v3 row_shl:1 row_mask:0xf bank_mask:0xf
	s_delay_alu instid0(VALU_DEP_2) | instskip(NEXT) | instid1(VALU_DEP_2)
	v_mov_b32_dpp v4, v4 row_shl:1 row_mask:0xf bank_mask:0xf
	v_add_nc_u32_e32 v3, v3, v6
	s_delay_alu instid0(VALU_DEP_2) | instskip(NEXT) | instid1(VALU_DEP_2)
	v_add_f32_e32 v4, v7, v4
	v_mov_b32_dpp v3, v3 row_shl:1 row_mask:0xf bank_mask:0xf
	s_delay_alu instid0(VALU_DEP_2) | instskip(NEXT) | instid1(VALU_DEP_2)
	v_cndmask_b32_e32 v4, v7, v4, vcc_lo
	v_add_nc_u32_e32 v3, v3, v6
	s_delay_alu instid0(VALU_DEP_2) | instskip(NEXT) | instid1(VALU_DEP_2)
	v_mov_b32_dpp v4, v4 row_shl:1 row_mask:0xf bank_mask:0xf
	v_readlane_b32 s24, v3, 16
	s_delay_alu instid0(VALU_DEP_1) | instskip(NEXT) | instid1(VALU_DEP_1)
	v_dual_add_f32 v3, v7, v4 :: v_dual_add_nc_u32 v4, s24, v6
	v_cndmask_b32_e32 v3, v7, v3, vcc_lo
	s_delay_alu instid0(VALU_DEP_2) | instskip(NEXT) | instid1(VALU_DEP_2)
	v_mov_b32_dpp v4, v4 row_shl:1 row_mask:0xf bank_mask:0xf
	v_mov_b32_dpp v3, v3 row_shl:1 row_mask:0xf bank_mask:0xf
	s_delay_alu instid0(VALU_DEP_1) | instskip(NEXT) | instid1(VALU_DEP_1)
	v_dual_add_f32 v3, v7, v3 :: v_dual_add_nc_u32 v4, v4, v6
	v_mov_b32_dpp v4, v4 row_shl:1 row_mask:0xf bank_mask:0xf
	s_delay_alu instid0(VALU_DEP_1) | instskip(NEXT) | instid1(VALU_DEP_1)
	v_dual_cndmask_b32 v3, v7, v3 :: v_dual_add_nc_u32 v4, v4, v6
	v_mov_b32_dpp v3, v3 row_shl:1 row_mask:0xf bank_mask:0xf
	s_delay_alu instid0(VALU_DEP_2) | instskip(NEXT) | instid1(VALU_DEP_1)
	v_mov_b32_dpp v4, v4 row_shl:1 row_mask:0xf bank_mask:0xf
	v_dual_add_f32 v3, v7, v3 :: v_dual_add_nc_u32 v4, v4, v6
	s_delay_alu instid0(VALU_DEP_1) | instskip(NEXT) | instid1(VALU_DEP_2)
	v_cndmask_b32_e32 v3, v7, v3, vcc_lo
	v_mov_b32_dpp v4, v4 row_shl:1 row_mask:0xf bank_mask:0xf
	s_delay_alu instid0(VALU_DEP_2) | instskip(NEXT) | instid1(VALU_DEP_1)
	v_mov_b32_dpp v3, v3 row_shl:1 row_mask:0xf bank_mask:0xf
	v_dual_add_f32 v3, v7, v3 :: v_dual_add_nc_u32 v4, v4, v6
	s_delay_alu instid0(VALU_DEP_1) | instskip(NEXT) | instid1(VALU_DEP_1)
	v_mov_b32_dpp v4, v4 row_shl:1 row_mask:0xf bank_mask:0xf
	v_dual_cndmask_b32 v3, v7, v3 :: v_dual_add_nc_u32 v4, v4, v6
	s_delay_alu instid0(VALU_DEP_1) | instskip(NEXT) | instid1(VALU_DEP_2)
	v_mov_b32_dpp v3, v3 row_shl:1 row_mask:0xf bank_mask:0xf
	v_mov_b32_dpp v4, v4 row_shl:1 row_mask:0xf bank_mask:0xf
	s_delay_alu instid0(VALU_DEP_1) | instskip(NEXT) | instid1(VALU_DEP_1)
	v_dual_add_f32 v3, v7, v3 :: v_dual_add_nc_u32 v4, v4, v6
	v_cndmask_b32_e32 v3, v7, v3, vcc_lo
	s_delay_alu instid0(VALU_DEP_2) | instskip(NEXT) | instid1(VALU_DEP_2)
	v_mov_b32_dpp v4, v4 row_shl:1 row_mask:0xf bank_mask:0xf
	v_mov_b32_dpp v3, v3 row_shl:1 row_mask:0xf bank_mask:0xf
	s_delay_alu instid0(VALU_DEP_1) | instskip(NEXT) | instid1(VALU_DEP_1)
	v_dual_add_f32 v3, v7, v3 :: v_dual_add_nc_u32 v4, v4, v6
	v_mov_b32_dpp v4, v4 row_shl:1 row_mask:0xf bank_mask:0xf
	s_delay_alu instid0(VALU_DEP_1) | instskip(NEXT) | instid1(VALU_DEP_1)
	v_dual_cndmask_b32 v3, v7, v3 :: v_dual_add_nc_u32 v4, v4, v6
	v_mov_b32_dpp v3, v3 row_shl:1 row_mask:0xf bank_mask:0xf
	s_delay_alu instid0(VALU_DEP_2) | instskip(NEXT) | instid1(VALU_DEP_1)
	v_mov_b32_dpp v4, v4 row_shl:1 row_mask:0xf bank_mask:0xf
	v_dual_add_f32 v3, v7, v3 :: v_dual_add_nc_u32 v4, v4, v6
	s_delay_alu instid0(VALU_DEP_1) | instskip(NEXT) | instid1(VALU_DEP_2)
	v_cndmask_b32_e32 v3, v7, v3, vcc_lo
	v_mov_b32_dpp v4, v4 row_shl:1 row_mask:0xf bank_mask:0xf
	s_delay_alu instid0(VALU_DEP_2) | instskip(NEXT) | instid1(VALU_DEP_1)
	v_mov_b32_dpp v3, v3 row_shl:1 row_mask:0xf bank_mask:0xf
	v_dual_add_f32 v3, v7, v3 :: v_dual_add_nc_u32 v4, v4, v6
	s_delay_alu instid0(VALU_DEP_1) | instskip(NEXT) | instid1(VALU_DEP_1)
	v_mov_b32_dpp v4, v4 row_shl:1 row_mask:0xf bank_mask:0xf
	v_dual_cndmask_b32 v3, v7, v3 :: v_dual_add_nc_u32 v4, v4, v6
	s_delay_alu instid0(VALU_DEP_1) | instskip(NEXT) | instid1(VALU_DEP_2)
	v_mov_b32_dpp v3, v3 row_shl:1 row_mask:0xf bank_mask:0xf
	v_mov_b32_dpp v4, v4 row_shl:1 row_mask:0xf bank_mask:0xf
	s_delay_alu instid0(VALU_DEP_1) | instskip(NEXT) | instid1(VALU_DEP_1)
	v_dual_add_f32 v3, v7, v3 :: v_dual_add_nc_u32 v4, v4, v6
	v_cndmask_b32_e32 v3, v7, v3, vcc_lo
	s_delay_alu instid0(VALU_DEP_2) | instskip(NEXT) | instid1(VALU_DEP_2)
	v_mov_b32_dpp v4, v4 row_shl:1 row_mask:0xf bank_mask:0xf
	v_mov_b32_dpp v3, v3 row_shl:1 row_mask:0xf bank_mask:0xf
	s_delay_alu instid0(VALU_DEP_1) | instskip(NEXT) | instid1(VALU_DEP_1)
	v_dual_add_f32 v3, v7, v3 :: v_dual_add_nc_u32 v4, v4, v6
	v_mov_b32_dpp v4, v4 row_shl:1 row_mask:0xf bank_mask:0xf
	s_delay_alu instid0(VALU_DEP_1) | instskip(NEXT) | instid1(VALU_DEP_1)
	v_dual_cndmask_b32 v3, v7, v3 :: v_dual_add_nc_u32 v4, v4, v6
	v_mov_b32_dpp v3, v3 row_shl:1 row_mask:0xf bank_mask:0xf
	s_delay_alu instid0(VALU_DEP_2) | instskip(NEXT) | instid1(VALU_DEP_1)
	v_mov_b32_dpp v4, v4 row_shl:1 row_mask:0xf bank_mask:0xf
	v_dual_add_f32 v3, v7, v3 :: v_dual_add_nc_u32 v4, v4, v6
	s_delay_alu instid0(VALU_DEP_1)
	v_cndmask_b32_e32 v5, v7, v3, vcc_lo
	s_cbranch_scc1 .LBB144_196
.LBB144_197:
	s_delay_alu instid0(VALU_DEP_1) | instskip(NEXT) | instid1(VALU_DEP_2)
	v_readfirstlane_b32 s15, v4
	v_readfirstlane_b32 s24, v5
	s_and_saveexec_b32 s25, s14
	s_cbranch_execz .LBB144_199
; %bb.198:
	s_delay_alu instid0(VALU_DEP_1)
	v_add_f32_e64 v2, s37, s24
	v_cmp_eq_u32_e32 vcc_lo, 0, v1
	s_mov_b32 s27, 0
	s_add_i32 s26, s40, 32
	v_mov_b32_e32 v7, 2
	s_lshl_b64 s[26:27], s[26:27], 4
	v_cndmask_b32_e32 v2, s37, v2, vcc_lo
	s_add_u32 s26, s20, s26
	s_addc_u32 s27, s21, s27
	s_delay_alu instid0(SALU_CYCLE_1) | instskip(NEXT) | instid1(VALU_DEP_2)
	v_dual_mov_b32 v54, s27 :: v_dual_add_nc_u32 v5, s15, v1
	v_dual_mov_b32 v8, 0 :: v_dual_and_b32 v3, 0xff000000, v2
	v_dual_mov_b32 v53, s26 :: v_dual_and_b32 v4, 0xff0000, v2
	v_and_b32_e32 v6, 0xff00, v2
	v_and_b32_e32 v2, 0xff, v2
	s_delay_alu instid0(VALU_DEP_3) | instskip(SKIP_1) | instid1(VALU_DEP_2)
	v_or_b32_e32 v3, v4, v3
	v_mov_b32_e32 v4, s24
	v_or_b32_e32 v3, v3, v6
	s_delay_alu instid0(VALU_DEP_1)
	v_or_b32_e32 v6, v3, v2
	v_dual_mov_b32 v3, s15 :: v_dual_mov_b32 v2, s37
	;;#ASMSTART
	global_store_dwordx4 v[53:54], v[5:8] off	
s_waitcnt vmcnt(0)
	;;#ASMEND
	ds_store_b128 v8, v[1:4] offset:2048
.LBB144_199:
	s_or_b32 exec_lo, exec_lo, s25
	s_and_saveexec_b32 s25, s2
	s_cbranch_execz .LBB144_201
; %bb.200:
	v_dual_mov_b32 v1, s15 :: v_dual_mov_b32 v2, s24
	v_mov_b32_e32 v3, 0
	ds_store_b64 v3, v[1:2] offset:2120
.LBB144_201:
	s_or_b32 exec_lo, exec_lo, s25
	s_mov_b32 s24, -1
	s_mov_b32 s15, 0
.LBB144_202:
	s_delay_alu instid0(SALU_CYCLE_1)
	s_and_b32 s15, s15, exec_lo
	s_or_not1_b32 s25, s24, exec_lo
.LBB144_203:
	s_or_b32 exec_lo, exec_lo, s36
                                        ; implicit-def: $vgpr1
                                        ; implicit-def: $vgpr53
                                        ; implicit-def: $vgpr5
                                        ; implicit-def: $vgpr62
                                        ; implicit-def: $vgpr54
                                        ; implicit-def: $vgpr56
                                        ; implicit-def: $vgpr55
                                        ; implicit-def: $vgpr60
                                        ; implicit-def: $vgpr61
                                        ; implicit-def: $vgpr63
                                        ; implicit-def: $vgpr64
                                        ; implicit-def: $vgpr65
                                        ; implicit-def: $vgpr66
                                        ; implicit-def: $vgpr67
                                        ; implicit-def: $vgpr68
                                        ; implicit-def: $vgpr69
                                        ; implicit-def: $vgpr70
                                        ; implicit-def: $vgpr71
	s_and_saveexec_b32 s24, s25
	s_cbranch_execz .LBB144_236
; %bb.204:
	s_waitcnt lgkmcnt(1)
	v_cndmask_b32_e64 v7, v77, v51, s14
	s_waitcnt lgkmcnt(0)
	v_cndmask_b32_e64 v2, v78, v52, s14
	s_waitcnt_vscnt null, 0x0
	s_barrier
	buffer_gl0_inv
	v_cmp_eq_u32_e32 vcc_lo, 0, v7
	v_mov_b32_e32 v1, 0
	s_mov_b32 s23, exec_lo
	ds_load_b64 v[5:6], v1 offset:2120
	s_waitcnt lgkmcnt(0)
	s_barrier
	buffer_gl0_inv
	v_add_f32_e32 v3, v2, v6
	s_delay_alu instid0(VALU_DEP_1) | instskip(SKIP_1) | instid1(VALU_DEP_2)
	v_cndmask_b32_e32 v2, v2, v3, vcc_lo
	v_cmp_eq_u32_e32 vcc_lo, 0, v49
	v_cndmask_b32_e64 v71, v2, v6, s2
	s_delay_alu instid0(VALU_DEP_1) | instskip(NEXT) | instid1(VALU_DEP_1)
	v_add_f32_e32 v2, v47, v71
	v_cndmask_b32_e32 v70, v47, v2, vcc_lo
	s_delay_alu instid0(VALU_DEP_1) | instskip(NEXT) | instid1(VALU_DEP_1)
	v_add_f32_e32 v2, v48, v70
	v_cndmask_b32_e64 v69, v48, v2, s13
	s_delay_alu instid0(VALU_DEP_1) | instskip(NEXT) | instid1(VALU_DEP_1)
	v_add_f32_e32 v2, v45, v69
	v_cndmask_b32_e64 v68, v45, v2, s12
	;; [unrolled: 3-line block ×10, first 2 shown]
	ds_load_b128 v[1:4], v1 offset:2048
	v_add_f32_e32 v6, v38, v55
	s_delay_alu instid0(VALU_DEP_1) | instskip(NEXT) | instid1(VALU_DEP_1)
	v_cndmask_b32_e64 v56, v38, v6, s3
	v_add_f32_e32 v6, v35, v56
	s_delay_alu instid0(VALU_DEP_1)
	v_cndmask_b32_e64 v54, v35, v6, s1
	v_cndmask_b32_e64 v6, v7, 0, s2
	s_waitcnt lgkmcnt(0)
	v_add_f32_e32 v4, v4, v2
	v_cmp_eq_u32_e32 vcc_lo, 0, v1
	v_add_f32_e32 v7, v36, v54
	v_dual_mov_b32 v5, v3 :: v_dual_add_nc_u32 v6, v5, v6
	s_delay_alu instid0(VALU_DEP_4) | instskip(NEXT) | instid1(VALU_DEP_3)
	v_cndmask_b32_e32 v53, v2, v4, vcc_lo
	v_cndmask_b32_e64 v62, v36, v7, s0
	s_delay_alu instid0(VALU_DEP_3) | instskip(SKIP_2) | instid1(SALU_CYCLE_1)
	v_mov_b32_e32 v4, v6
	s_or_b32 exec_lo, exec_lo, s24
	s_and_saveexec_b32 s0, s15
	s_xor_b32 s0, exec_lo, s0
	s_cbranch_execnz .LBB144_237
.LBB144_205:
	s_or_b32 exec_lo, exec_lo, s0
	s_branch .LBB144_113
.LBB144_206:
	s_and_b32 s0, s22, exec_lo
	v_mov_b32_e32 v5, v47
	s_cselect_b32 s1, 0, s35
	s_cselect_b32 s0, 0, s34
	s_delay_alu instid0(SALU_CYCLE_1)
	s_cmp_eq_u64 s[0:1], 0
	s_cbranch_scc1 .LBB144_208
; %bb.207:
	v_mov_b32_e32 v1, 0
	global_load_b32 v5, v1, s[0:1]
.LBB144_208:
	v_cmp_eq_u32_e64 s0, 0, v50
	v_cmp_eq_u32_e64 s1, 0, v33
	v_add3_u32 v2, v75, v32, v29
	v_cmp_eq_u32_e64 s3, 0, v34
	v_cmp_eq_u32_e64 s4, 0, v31
	v_cndmask_b32_e64 v1, v48, v76, s0
	v_cmp_eq_u32_e64 s5, 0, v32
	v_add3_u32 v2, v2, v30, v27
	v_cmp_eq_u32_e64 s6, 0, v29
	v_cmp_eq_u32_e64 s7, 0, v30
	v_dual_add_f32 v1, v45, v1 :: v_dual_and_b32 v4, 15, v72
	s_delay_alu instid0(VALU_DEP_4) | instskip(SKIP_2) | instid1(VALU_DEP_4)
	v_add3_u32 v2, v2, v28, v25
	v_cmp_eq_u32_e64 s8, 0, v27
	v_cmp_eq_u32_e64 s10, 0, v28
	v_cndmask_b32_e64 v1, v45, v1, s1
	v_cmp_eq_u32_e64 s12, 0, v25
	v_add3_u32 v2, v2, v26, v23
	v_cmp_eq_u32_e64 s9, 0, v26
	v_cmp_eq_u32_e64 s11, 0, v23
	v_add_f32_e32 v1, v46, v1
	v_cmp_eq_u32_e32 vcc_lo, 0, v24
	v_add3_u32 v2, v2, v24, v58
	v_cmp_eq_u32_e64 s13, 0, v58
	v_and_b32_e32 v7, 16, v72
	v_cndmask_b32_e64 v1, v46, v1, s3
	s_delay_alu instid0(VALU_DEP_4) | instskip(NEXT) | instid1(VALU_DEP_3)
	v_mov_b32_dpp v6, v2 row_shr:1 row_mask:0xf bank_mask:0xf
	v_cmp_eq_u32_e64 s14, 0, v7
	s_delay_alu instid0(VALU_DEP_3) | instskip(NEXT) | instid1(VALU_DEP_1)
	v_add_f32_e32 v1, v43, v1
	v_cndmask_b32_e64 v1, v43, v1, s4
	s_delay_alu instid0(VALU_DEP_1) | instskip(NEXT) | instid1(VALU_DEP_1)
	v_add_f32_e32 v1, v44, v1
	v_cndmask_b32_e64 v1, v44, v1, s5
	s_delay_alu instid0(VALU_DEP_1) | instskip(NEXT) | instid1(VALU_DEP_1)
	;; [unrolled: 3-line block ×9, first 2 shown]
	v_add_f32_e32 v1, v36, v1
	v_cndmask_b32_e32 v1, v36, v1, vcc_lo
	s_delay_alu instid0(VALU_DEP_1) | instskip(NEXT) | instid1(VALU_DEP_1)
	v_add_f32_e32 v1, v59, v1
	v_cndmask_b32_e64 v1, v59, v1, s13
	v_cmp_eq_u32_e64 s13, 0, v2
	s_waitcnt lgkmcnt(0)
	s_delay_alu instid0(VALU_DEP_2) | instskip(NEXT) | instid1(VALU_DEP_1)
	v_mov_b32_dpp v3, v1 row_shr:1 row_mask:0xf bank_mask:0xf
	v_add_f32_e32 v3, v1, v3
	s_delay_alu instid0(VALU_DEP_1) | instskip(SKIP_1) | instid1(VALU_DEP_1)
	v_cndmask_b32_e64 v3, v1, v3, s13
	v_cmp_eq_u32_e64 s13, 0, v4
	v_cndmask_b32_e64 v6, v6, 0, s13
	s_delay_alu instid0(VALU_DEP_3) | instskip(NEXT) | instid1(VALU_DEP_2)
	v_cndmask_b32_e64 v1, v3, v1, s13
	v_add_nc_u32_e32 v2, v6, v2
	s_delay_alu instid0(VALU_DEP_2) | instskip(NEXT) | instid1(VALU_DEP_2)
	v_mov_b32_dpp v3, v1 row_shr:2 row_mask:0xf bank_mask:0xf
	v_cmp_eq_u32_e64 s13, 0, v2
	s_delay_alu instid0(VALU_DEP_2) | instskip(SKIP_1) | instid1(VALU_DEP_2)
	v_add_f32_e32 v3, v1, v3
	v_mov_b32_dpp v6, v2 row_shr:2 row_mask:0xf bank_mask:0xf
	v_cndmask_b32_e64 v3, v1, v3, s13
	v_cmp_lt_u32_e64 s13, 1, v4
	s_delay_alu instid0(VALU_DEP_1) | instskip(NEXT) | instid1(VALU_DEP_4)
	v_cndmask_b32_e64 v1, v1, v3, s13
	v_cndmask_b32_e64 v3, 0, v6, s13
	s_delay_alu instid0(VALU_DEP_2) | instskip(NEXT) | instid1(VALU_DEP_1)
	v_mov_b32_dpp v6, v1 row_shr:4 row_mask:0xf bank_mask:0xf
	v_dual_add_f32 v3, v1, v6 :: v_dual_add_nc_u32 v2, v2, v3
	s_delay_alu instid0(VALU_DEP_1) | instskip(SKIP_1) | instid1(VALU_DEP_2)
	v_cmp_eq_u32_e64 s13, 0, v2
	v_mov_b32_dpp v6, v2 row_shr:4 row_mask:0xf bank_mask:0xf
	v_cndmask_b32_e64 v3, v1, v3, s13
	v_cmp_lt_u32_e64 s13, 3, v4
	s_delay_alu instid0(VALU_DEP_1) | instskip(NEXT) | instid1(VALU_DEP_4)
	v_cndmask_b32_e64 v1, v1, v3, s13
	v_cndmask_b32_e64 v3, 0, v6, s13
	s_delay_alu instid0(VALU_DEP_2) | instskip(NEXT) | instid1(VALU_DEP_2)
	v_mov_b32_dpp v6, v1 row_shr:8 row_mask:0xf bank_mask:0xf
	v_add_nc_u32_e32 v2, v3, v2
	s_delay_alu instid0(VALU_DEP_2) | instskip(NEXT) | instid1(VALU_DEP_2)
	v_add_f32_e32 v3, v1, v6
	v_cmp_eq_u32_e64 s13, 0, v2
	v_mov_b32_dpp v6, v2 row_shr:8 row_mask:0xf bank_mask:0xf
	s_delay_alu instid0(VALU_DEP_2) | instskip(SKIP_1) | instid1(VALU_DEP_1)
	v_cndmask_b32_e64 v3, v1, v3, s13
	v_cmp_lt_u32_e64 s13, 7, v4
	v_cndmask_b32_e64 v3, v1, v3, s13
	s_delay_alu instid0(VALU_DEP_4) | instskip(SKIP_1) | instid1(VALU_DEP_2)
	v_cndmask_b32_e64 v1, 0, v6, s13
	v_bfe_i32 v6, v72, 4, 1
	v_add_nc_u32_e32 v1, v1, v2
	ds_swizzle_b32 v2, v3 offset:swizzle(BROADCAST,32,15)
	ds_swizzle_b32 v4, v1 offset:swizzle(BROADCAST,32,15)
	v_cmp_eq_u32_e64 s13, 0, v1
	s_waitcnt lgkmcnt(1)
	v_add_f32_e32 v2, v3, v2
	s_waitcnt lgkmcnt(0)
	v_and_b32_e32 v4, v6, v4
	s_delay_alu instid0(VALU_DEP_2) | instskip(NEXT) | instid1(VALU_DEP_2)
	v_cndmask_b32_e64 v2, v3, v2, s13
	v_add_nc_u32_e32 v1, v4, v1
	s_delay_alu instid0(VALU_DEP_2)
	v_cndmask_b32_e64 v2, v2, v3, s14
	s_mov_b32 s14, exec_lo
	v_cmpx_eq_u32_e64 v74, v0
	s_cbranch_execz .LBB144_210
; %bb.209:
	v_lshlrev_b32_e32 v3, 3, v73
	ds_store_b64 v3, v[1:2] offset:2064
.LBB144_210:
	s_or_b32 exec_lo, exec_lo, s14
	s_delay_alu instid0(SALU_CYCLE_1)
	s_mov_b32 s15, exec_lo
	s_waitcnt vmcnt(0) lgkmcnt(0)
	s_waitcnt_vscnt null, 0x0
	s_barrier
	buffer_gl0_inv
	v_cmpx_gt_u32_e32 8, v0
	s_cbranch_execz .LBB144_212
; %bb.211:
	v_lshlrev_b32_e32 v6, 3, v0
	v_and_b32_e32 v8, 7, v72
	ds_load_b64 v[3:4], v6 offset:2064
	s_waitcnt lgkmcnt(0)
	v_mov_b32_dpp v7, v4 row_shr:1 row_mask:0xf bank_mask:0xf
	v_cmp_eq_u32_e64 s13, 0, v3
	v_mov_b32_dpp v51, v3 row_shr:1 row_mask:0xf bank_mask:0xf
	s_delay_alu instid0(VALU_DEP_3) | instskip(NEXT) | instid1(VALU_DEP_1)
	v_add_f32_e32 v7, v4, v7
	v_cndmask_b32_e64 v7, v4, v7, s13
	v_cmp_eq_u32_e64 s13, 0, v8
	s_delay_alu instid0(VALU_DEP_1) | instskip(NEXT) | instid1(VALU_DEP_3)
	v_cndmask_b32_e64 v51, v51, 0, s13
	v_cndmask_b32_e64 v4, v7, v4, s13
	s_delay_alu instid0(VALU_DEP_2) | instskip(NEXT) | instid1(VALU_DEP_2)
	v_add_nc_u32_e32 v3, v51, v3
	v_mov_b32_dpp v7, v4 row_shr:2 row_mask:0xf bank_mask:0xf
	s_delay_alu instid0(VALU_DEP_2) | instskip(NEXT) | instid1(VALU_DEP_2)
	v_cmp_eq_u32_e64 s13, 0, v3
	v_add_f32_e32 v7, v4, v7
	v_mov_b32_dpp v51, v3 row_shr:2 row_mask:0xf bank_mask:0xf
	s_delay_alu instid0(VALU_DEP_2) | instskip(SKIP_1) | instid1(VALU_DEP_1)
	v_cndmask_b32_e64 v7, v4, v7, s13
	v_cmp_lt_u32_e64 s13, 1, v8
	v_cndmask_b32_e64 v4, v4, v7, s13
	s_delay_alu instid0(VALU_DEP_4) | instskip(SKIP_1) | instid1(VALU_DEP_3)
	v_cndmask_b32_e64 v7, 0, v51, s13
	v_cmp_lt_u32_e64 s13, 3, v8
	v_mov_b32_dpp v51, v4 row_shr:4 row_mask:0xf bank_mask:0xf
	s_delay_alu instid0(VALU_DEP_3) | instskip(NEXT) | instid1(VALU_DEP_2)
	v_add_nc_u32_e32 v3, v7, v3
	v_add_f32_e32 v8, v4, v51
	s_delay_alu instid0(VALU_DEP_2) | instskip(SKIP_1) | instid1(VALU_DEP_2)
	v_mov_b32_dpp v7, v3 row_shr:4 row_mask:0xf bank_mask:0xf
	v_cmp_eq_u32_e64 s14, 0, v3
	v_cndmask_b32_e64 v7, 0, v7, s13
	s_delay_alu instid0(VALU_DEP_2) | instskip(NEXT) | instid1(SALU_CYCLE_1)
	s_and_b32 s13, s13, s14
	v_cndmask_b32_e64 v4, v4, v8, s13
	s_delay_alu instid0(VALU_DEP_2)
	v_add_nc_u32_e32 v3, v7, v3
	ds_store_b64 v6, v[3:4] offset:2064
.LBB144_212:
	s_or_b32 exec_lo, exec_lo, s15
	v_dual_mov_b32 v6, 0 :: v_dual_mov_b32 v3, 0
	v_mov_b32_e32 v7, v5
	s_mov_b32 s14, exec_lo
	s_waitcnt lgkmcnt(0)
	s_barrier
	buffer_gl0_inv
	v_cmpx_lt_u32_e32 31, v0
	s_cbranch_execz .LBB144_214
; %bb.213:
	v_lshlrev_b32_e32 v3, 3, v73
	ds_load_b64 v[3:4], v3 offset:2056
	s_waitcnt lgkmcnt(0)
	v_add_f32_e32 v7, v5, v4
	v_cmp_eq_u32_e64 s13, 0, v3
	s_delay_alu instid0(VALU_DEP_1)
	v_cndmask_b32_e64 v7, v4, v7, s13
.LBB144_214:
	s_or_b32 exec_lo, exec_lo, s14
	v_add_nc_u32_e32 v4, -1, v72
	s_delay_alu instid0(VALU_DEP_2) | instskip(SKIP_1) | instid1(VALU_DEP_2)
	v_dual_add_f32 v8, v2, v7 :: v_dual_add_nc_u32 v51, v3, v1
	s_mov_b32 s23, -1
	v_cmp_gt_i32_e64 s13, 0, v4
	s_delay_alu instid0(VALU_DEP_1) | instskip(SKIP_1) | instid1(VALU_DEP_2)
	v_cndmask_b32_e64 v4, v4, v72, s13
	v_cmp_eq_u32_e64 s13, 0, v1
	v_lshlrev_b32_e32 v4, 2, v4
	s_delay_alu instid0(VALU_DEP_2)
	v_cndmask_b32_e64 v1, v2, v8, s13
	v_cmp_eq_u32_e64 s13, 0, v72
	ds_bpermute_b32 v2, v4, v51
	ds_bpermute_b32 v1, v4, v1
	s_waitcnt lgkmcnt(1)
	v_cndmask_b32_e64 v4, v2, v3, s13
	s_waitcnt lgkmcnt(0)
	v_cndmask_b32_e64 v71, v1, v7, s13
	v_cmp_eq_u32_e64 s13, 0, v49
	s_delay_alu instid0(VALU_DEP_2) | instskip(NEXT) | instid1(VALU_DEP_1)
	v_cndmask_b32_e64 v1, v71, v5, s2
	v_add_f32_e32 v1, v47, v1
	s_delay_alu instid0(VALU_DEP_1) | instskip(NEXT) | instid1(VALU_DEP_1)
	v_cndmask_b32_e64 v70, v47, v1, s13
	v_add_f32_e32 v1, v48, v70
	s_delay_alu instid0(VALU_DEP_1) | instskip(NEXT) | instid1(VALU_DEP_1)
	;; [unrolled: 3-line block ×10, first 2 shown]
	v_cndmask_b32_e64 v60, v40, v1, s10
	v_add_f32_e32 v1, v37, v60
	s_delay_alu instid0(VALU_DEP_1) | instskip(SKIP_2) | instid1(VALU_DEP_1)
	v_cndmask_b32_e64 v55, v37, v1, s12
	ds_load_b64 v[1:2], v6 offset:2120
	v_add_f32_e32 v3, v38, v55
	v_cndmask_b32_e64 v56, v38, v3, s9
	s_delay_alu instid0(VALU_DEP_1) | instskip(NEXT) | instid1(VALU_DEP_1)
	v_add_f32_e32 v3, v35, v56
	v_cndmask_b32_e64 v54, v35, v3, s11
	s_waitcnt lgkmcnt(0)
	v_add_f32_e32 v3, v5, v2
	v_cmp_eq_u32_e64 s0, 0, v1
	s_delay_alu instid0(VALU_DEP_3) | instskip(NEXT) | instid1(VALU_DEP_2)
	v_add_f32_e32 v6, v36, v54
	v_cndmask_b32_e64 v53, v2, v3, s0
	s_and_saveexec_b32 s0, s2
	s_cbranch_execz .LBB144_216
; %bb.215:
	s_delay_alu instid0(VALU_DEP_1)
	v_and_b32_e32 v2, 0xff000000, v53
	v_dual_mov_b32 v4, 0 :: v_dual_and_b32 v3, 0xff0000, v53
	s_add_u32 s4, s20, 0x200
	v_and_b32_e32 v7, 0xff00, v53
	s_addc_u32 s5, s21, 0
	v_and_b32_e32 v8, 0xff, v53
	v_or_b32_e32 v2, v3, v2
	v_mov_b32_e32 v3, 2
	v_mov_b32_e32 v71, v5
	s_delay_alu instid0(VALU_DEP_3)
	v_or3_b32 v2, v2, v7, v8
	v_dual_mov_b32 v8, s5 :: v_dual_mov_b32 v7, s4
	;;#ASMSTART
	global_store_dwordx4 v[7:8], v[1:4] off	
s_waitcnt vmcnt(0)
	;;#ASMEND
.LBB144_216:
	s_or_b32 exec_lo, exec_lo, s0
	v_dual_cndmask_b32 v62, v36, v6 :: v_dual_mov_b32 v5, 0
	s_and_saveexec_b32 s0, s23
	s_cbranch_execz .LBB144_379
.LBB144_217:
	v_mov_b32_e32 v7, 0
	s_and_b32 s0, s22, exec_lo
	v_mov_b32_e32 v8, 0
	s_cselect_b32 s1, 0, s39
	s_cselect_b32 s0, 0, s38
	s_waitcnt lgkmcnt(0)
	s_waitcnt_vscnt null, 0x0
	s_cmp_eq_u64 s[0:1], 0
	s_barrier
	buffer_gl0_inv
	s_cbranch_scc1 .LBB144_219
; %bb.218:
	v_mov_b32_e32 v2, 0
	global_load_b64 v[7:8], v2, s[0:1]
.LBB144_219:
	v_cmp_eq_u32_e32 vcc_lo, 0, v49
	v_add_nc_u32_e32 v48, v4, v49
	s_waitcnt vmcnt(0)
	v_lshlrev_b64 v[2:3], 2, v[7:8]
	v_cmp_ne_u32_e64 s13, 0, v49
	v_cmp_ne_u32_e64 s11, 0, v50
	v_cndmask_b32_e64 v6, 1, 2, vcc_lo
	v_cmp_eq_u32_e32 vcc_lo, 0, v50
	v_add_nc_u32_e32 v46, v48, v50
	v_cmp_ne_u32_e64 s10, 0, v33
	v_cmp_ne_u32_e64 s8, 0, v34
	;; [unrolled: 1-line block ×3, first 2 shown]
	v_cndmask_b32_e64 v35, 1, 2, vcc_lo
	v_cmp_eq_u32_e32 vcc_lo, 0, v33
	v_add_nc_u32_e32 v51, v46, v33
	v_cmp_ne_u32_e64 s14, 0, v32
	v_cmp_ne_u32_e64 s12, 0, v29
	v_dual_mov_b32 v6, 0 :: v_dual_and_b32 v35, v35, v6
	v_cndmask_b32_e64 v36, 1, 2, vcc_lo
	v_cmp_eq_u32_e32 vcc_lo, 0, v34
	v_add_nc_u32_e32 v47, v51, v34
	v_cmp_ne_u32_e64 s9, 0, v30
	v_cmp_ne_u32_e64 s7, 0, v27
	v_and_b32_e32 v35, v35, v36
	v_cndmask_b32_e64 v37, 1, 2, vcc_lo
	v_cmp_eq_u32_e32 vcc_lo, 0, v31
	v_add_nc_u32_e32 v45, v47, v31
	v_cmp_ne_u32_e64 s6, 0, v28
	v_cmp_ne_u32_e64 s5, 0, v25
	v_and_b32_e32 v35, v35, v37
	;; [unrolled: 6-line block ×4, first 2 shown]
	v_cndmask_b32_e64 v36, 1, 2, vcc_lo
	v_cmp_eq_u32_e32 vcc_lo, 0, v30
	v_add_nc_u32_e32 v42, v43, v30
	s_delay_alu instid0(VALU_DEP_3) | instskip(SKIP_2) | instid1(VALU_DEP_4)
	v_and_b32_e32 v35, v35, v36
	v_cndmask_b32_e64 v37, 1, 2, vcc_lo
	v_cmp_eq_u32_e32 vcc_lo, 0, v27
	v_add_nc_u32_e32 v41, v42, v27
	s_delay_alu instid0(VALU_DEP_3) | instskip(SKIP_2) | instid1(VALU_DEP_4)
	v_and_b32_e32 v35, v35, v37
	v_cndmask_b32_e64 v36, 1, 2, vcc_lo
	v_cmp_eq_u32_e32 vcc_lo, 0, v28
	v_add_nc_u32_e32 v40, v41, v28
	s_delay_alu instid0(VALU_DEP_3) | instskip(SKIP_4) | instid1(VALU_DEP_4)
	v_and_b32_e32 v52, v35, v36
	v_cndmask_b32_e64 v38, 1, 2, vcc_lo
	v_cmp_eq_u32_e32 vcc_lo, 0, v25
	v_lshlrev_b64 v[35:36], 2, v[5:6]
	v_add_nc_u32_e32 v39, v40, v25
	v_and_b32_e32 v6, v52, v38
	v_cndmask_b32_e64 v37, 1, 2, vcc_lo
	v_cmp_eq_u32_e32 vcc_lo, 0, v26
	s_delay_alu instid0(VALU_DEP_4) | instskip(NEXT) | instid1(VALU_DEP_3)
	v_add_nc_u32_e32 v38, v39, v26
	v_and_b32_e32 v6, v6, v37
	v_cndmask_b32_e64 v72, 1, 2, vcc_lo
	v_cmp_eq_u32_e32 vcc_lo, 0, v23
	s_delay_alu instid0(VALU_DEP_4) | instskip(NEXT) | instid1(VALU_DEP_3)
	v_add_nc_u32_e32 v37, v38, v23
	v_and_b32_e32 v72, v6, v72
	v_cndmask_b32_e64 v73, 1, 2, vcc_lo
	v_add_co_u32 v52, vcc_lo, s18, v2
	v_add_co_ci_u32_e32 v59, vcc_lo, s19, v3, vcc_lo
	s_delay_alu instid0(VALU_DEP_3) | instskip(NEXT) | instid1(VALU_DEP_3)
	v_and_b32_e32 v72, v72, v73
	v_add_co_u32 v52, vcc_lo, v52, v35
	s_delay_alu instid0(VALU_DEP_3)
	v_add_co_ci_u32_e32 v59, vcc_lo, v59, v36, vcc_lo
	v_cmp_eq_u32_e32 vcc_lo, 0, v24
	v_add_nc_u32_e32 v6, v37, v24
	s_mov_b32 s18, -1
	v_cndmask_b32_e64 v73, 1, 2, vcc_lo
	v_cmp_eq_u32_e32 vcc_lo, 0, v58
	s_delay_alu instid0(VALU_DEP_2) | instskip(SKIP_2) | instid1(VALU_DEP_2)
	v_and_b32_e32 v72, v72, v73
	v_cndmask_b32_e64 v73, 1, 2, vcc_lo
	v_cmp_gt_u32_e32 vcc_lo, 0x100, v1
	v_and_b32_e32 v72, v72, v73
	s_cbranch_vccz .LBB144_259
; %bb.220:
	s_mov_b32 s18, exec_lo
	s_delay_alu instid0(VALU_DEP_1)
	v_cmpx_gt_i16_e32 2, v72
	s_cbranch_execz .LBB144_258
; %bb.221:
	s_mov_b32 s20, 0
	s_mov_b32 s19, exec_lo
	v_cmpx_ne_u16_e32 1, v72
	s_xor_b32 s19, exec_lo, s19
	s_cbranch_execz .LBB144_239
; %bb.222:
	s_and_saveexec_b32 s20, s13
	s_cbranch_execz .LBB144_241
; %bb.223:
	v_sub_nc_u32_e32 v73, v4, v5
	v_mov_b32_e32 v74, 0
	s_delay_alu instid0(VALU_DEP_1) | instskip(NEXT) | instid1(VALU_DEP_1)
	v_lshlrev_b64 v[73:74], 2, v[73:74]
	v_add_co_u32 v73, vcc_lo, v52, v73
	s_delay_alu instid0(VALU_DEP_2)
	v_add_co_ci_u32_e32 v74, vcc_lo, v59, v74, vcc_lo
	global_store_b32 v[73:74], v21, off
	s_or_b32 exec_lo, exec_lo, s20
	s_and_saveexec_b32 s20, s11
	s_cbranch_execnz .LBB144_242
.LBB144_224:
	s_or_b32 exec_lo, exec_lo, s20
	s_and_saveexec_b32 s20, s10
	s_cbranch_execz .LBB144_243
.LBB144_225:
	v_sub_nc_u32_e32 v73, v46, v5
	v_mov_b32_e32 v74, 0
	s_delay_alu instid0(VALU_DEP_1) | instskip(NEXT) | instid1(VALU_DEP_1)
	v_lshlrev_b64 v[73:74], 2, v[73:74]
	v_add_co_u32 v73, vcc_lo, v52, v73
	s_delay_alu instid0(VALU_DEP_2)
	v_add_co_ci_u32_e32 v74, vcc_lo, v59, v74, vcc_lo
	global_store_b32 v[73:74], v19, off
	s_or_b32 exec_lo, exec_lo, s20
	s_and_saveexec_b32 s20, s8
	s_cbranch_execnz .LBB144_244
.LBB144_226:
	s_or_b32 exec_lo, exec_lo, s20
	s_and_saveexec_b32 s20, s15
	s_cbranch_execz .LBB144_245
.LBB144_227:
	v_sub_nc_u32_e32 v73, v47, v5
	v_mov_b32_e32 v74, 0
	s_delay_alu instid0(VALU_DEP_1) | instskip(NEXT) | instid1(VALU_DEP_1)
	v_lshlrev_b64 v[73:74], 2, v[73:74]
	v_add_co_u32 v73, vcc_lo, v52, v73
	s_delay_alu instid0(VALU_DEP_2)
	v_add_co_ci_u32_e32 v74, vcc_lo, v59, v74, vcc_lo
	global_store_b32 v[73:74], v17, off
	s_or_b32 exec_lo, exec_lo, s20
	s_and_saveexec_b32 s20, s14
	s_cbranch_execnz .LBB144_246
.LBB144_228:
	s_or_b32 exec_lo, exec_lo, s20
	s_and_saveexec_b32 s20, s12
	s_cbranch_execz .LBB144_247
.LBB144_229:
	v_sub_nc_u32_e32 v73, v44, v5
	v_mov_b32_e32 v74, 0
	s_delay_alu instid0(VALU_DEP_1) | instskip(NEXT) | instid1(VALU_DEP_1)
	v_lshlrev_b64 v[73:74], 2, v[73:74]
	v_add_co_u32 v73, vcc_lo, v52, v73
	s_delay_alu instid0(VALU_DEP_2)
	v_add_co_ci_u32_e32 v74, vcc_lo, v59, v74, vcc_lo
	global_store_b32 v[73:74], v15, off
	s_or_b32 exec_lo, exec_lo, s20
	s_and_saveexec_b32 s20, s9
	s_cbranch_execnz .LBB144_248
.LBB144_230:
	s_or_b32 exec_lo, exec_lo, s20
	s_and_saveexec_b32 s20, s7
	s_cbranch_execz .LBB144_249
.LBB144_231:
	v_sub_nc_u32_e32 v73, v42, v5
	v_mov_b32_e32 v74, 0
	s_delay_alu instid0(VALU_DEP_1) | instskip(NEXT) | instid1(VALU_DEP_1)
	v_lshlrev_b64 v[73:74], 2, v[73:74]
	v_add_co_u32 v73, vcc_lo, v52, v73
	s_delay_alu instid0(VALU_DEP_2)
	v_add_co_ci_u32_e32 v74, vcc_lo, v59, v74, vcc_lo
	global_store_b32 v[73:74], v13, off
	s_or_b32 exec_lo, exec_lo, s20
	s_and_saveexec_b32 s20, s6
	s_cbranch_execnz .LBB144_250
.LBB144_232:
	s_or_b32 exec_lo, exec_lo, s20
	s_and_saveexec_b32 s20, s5
	s_cbranch_execz .LBB144_251
.LBB144_233:
	v_sub_nc_u32_e32 v73, v40, v5
	v_mov_b32_e32 v74, 0
	s_delay_alu instid0(VALU_DEP_1) | instskip(NEXT) | instid1(VALU_DEP_1)
	v_lshlrev_b64 v[73:74], 2, v[73:74]
	v_add_co_u32 v73, vcc_lo, v52, v73
	s_delay_alu instid0(VALU_DEP_2)
	v_add_co_ci_u32_e32 v74, vcc_lo, v59, v74, vcc_lo
	global_store_b32 v[73:74], v11, off
	s_or_b32 exec_lo, exec_lo, s20
	s_and_saveexec_b32 s20, s4
	s_cbranch_execnz .LBB144_252
.LBB144_234:
	s_or_b32 exec_lo, exec_lo, s20
	s_and_saveexec_b32 s20, s3
	s_cbranch_execz .LBB144_253
.LBB144_235:
	v_sub_nc_u32_e32 v73, v38, v5
	v_mov_b32_e32 v74, 0
	s_delay_alu instid0(VALU_DEP_1) | instskip(NEXT) | instid1(VALU_DEP_1)
	v_lshlrev_b64 v[73:74], 2, v[73:74]
	v_add_co_u32 v73, vcc_lo, v52, v73
	s_delay_alu instid0(VALU_DEP_2)
	v_add_co_ci_u32_e32 v74, vcc_lo, v59, v74, vcc_lo
	global_store_b32 v[73:74], v9, off
	s_or_b32 exec_lo, exec_lo, s20
	s_and_saveexec_b32 s20, s1
	s_cbranch_execnz .LBB144_254
	s_branch .LBB144_255
.LBB144_236:
	s_or_b32 exec_lo, exec_lo, s24
	s_and_saveexec_b32 s0, s15
	s_delay_alu instid0(SALU_CYCLE_1)
	s_xor_b32 s0, exec_lo, s0
	s_cbranch_execz .LBB144_205
.LBB144_237:
	s_cbranch_execnz .LBB144_380
; %bb.238:
	; divergent unreachable
                                        ; implicit-def: $vgpr62
                                        ; implicit-def: $vgpr54
                                        ; implicit-def: $vgpr56
                                        ; implicit-def: $vgpr55
                                        ; implicit-def: $vgpr60
                                        ; implicit-def: $vgpr61
                                        ; implicit-def: $vgpr63
                                        ; implicit-def: $vgpr64
                                        ; implicit-def: $vgpr65
                                        ; implicit-def: $vgpr66
                                        ; implicit-def: $vgpr67
                                        ; implicit-def: $vgpr68
                                        ; implicit-def: $vgpr69
                                        ; implicit-def: $vgpr70
                                        ; implicit-def: $vgpr71
	s_or_b32 exec_lo, exec_lo, s0
	s_branch .LBB144_113
.LBB144_239:
	s_and_not1_saveexec_b32 s19, s19
	s_cbranch_execz .LBB144_256
.LBB144_240:
	v_sub_nc_u32_e32 v73, v4, v5
	v_mov_b32_e32 v74, 0
	s_or_b32 s20, s20, exec_lo
	s_delay_alu instid0(VALU_DEP_1) | instskip(SKIP_1) | instid1(VALU_DEP_1)
	v_lshlrev_b64 v[75:76], 2, v[73:74]
	v_sub_nc_u32_e32 v73, v48, v5
	v_lshlrev_b64 v[77:78], 2, v[73:74]
	v_sub_nc_u32_e32 v73, v46, v5
	s_delay_alu instid0(VALU_DEP_4) | instskip(SKIP_1) | instid1(VALU_DEP_3)
	v_add_co_u32 v75, vcc_lo, v52, v75
	v_add_co_ci_u32_e32 v76, vcc_lo, v59, v76, vcc_lo
	v_lshlrev_b64 v[79:80], 2, v[73:74]
	v_sub_nc_u32_e32 v73, v51, v5
	v_add_co_u32 v77, vcc_lo, v52, v77
	v_add_co_ci_u32_e32 v78, vcc_lo, v59, v78, vcc_lo
	global_store_b32 v[75:76], v21, off
	v_lshlrev_b64 v[75:76], 2, v[73:74]
	v_sub_nc_u32_e32 v73, v47, v5
	global_store_b32 v[77:78], v22, off
	v_add_co_u32 v77, vcc_lo, v52, v79
	v_add_co_ci_u32_e32 v78, vcc_lo, v59, v80, vcc_lo
	v_lshlrev_b64 v[79:80], 2, v[73:74]
	v_sub_nc_u32_e32 v73, v45, v5
	v_add_co_u32 v75, vcc_lo, v52, v75
	v_add_co_ci_u32_e32 v76, vcc_lo, v59, v76, vcc_lo
	s_delay_alu instid0(VALU_DEP_3) | instskip(SKIP_3) | instid1(VALU_DEP_3)
	v_lshlrev_b64 v[81:82], 2, v[73:74]
	v_sub_nc_u32_e32 v73, v44, v5
	v_add_co_u32 v79, vcc_lo, v52, v79
	v_add_co_ci_u32_e32 v80, vcc_lo, v59, v80, vcc_lo
	v_lshlrev_b64 v[83:84], 2, v[73:74]
	v_sub_nc_u32_e32 v73, v43, v5
	v_add_co_u32 v81, vcc_lo, v52, v81
	v_add_co_ci_u32_e32 v82, vcc_lo, v59, v82, vcc_lo
	s_clause 0x3
	global_store_b32 v[77:78], v19, off
	global_store_b32 v[75:76], v20, off
	;; [unrolled: 1-line block ×4, first 2 shown]
	v_lshlrev_b64 v[75:76], 2, v[73:74]
	v_sub_nc_u32_e32 v73, v42, v5
	v_add_co_u32 v77, vcc_lo, v52, v83
	v_add_co_ci_u32_e32 v78, vcc_lo, v59, v84, vcc_lo
	s_delay_alu instid0(VALU_DEP_3) | instskip(SKIP_3) | instid1(VALU_DEP_3)
	v_lshlrev_b64 v[79:80], 2, v[73:74]
	v_sub_nc_u32_e32 v73, v41, v5
	v_add_co_u32 v75, vcc_lo, v52, v75
	v_add_co_ci_u32_e32 v76, vcc_lo, v59, v76, vcc_lo
	v_lshlrev_b64 v[81:82], 2, v[73:74]
	v_sub_nc_u32_e32 v73, v40, v5
	v_add_co_u32 v79, vcc_lo, v52, v79
	v_add_co_ci_u32_e32 v80, vcc_lo, v59, v80, vcc_lo
	s_delay_alu instid0(VALU_DEP_3)
	v_lshlrev_b64 v[83:84], 2, v[73:74]
	v_sub_nc_u32_e32 v73, v39, v5
	v_add_co_u32 v81, vcc_lo, v52, v81
	v_add_co_ci_u32_e32 v82, vcc_lo, v59, v82, vcc_lo
	s_clause 0x3
	global_store_b32 v[77:78], v15, off
	global_store_b32 v[75:76], v16, off
	;; [unrolled: 1-line block ×4, first 2 shown]
	v_lshlrev_b64 v[75:76], 2, v[73:74]
	v_sub_nc_u32_e32 v73, v38, v5
	v_add_co_u32 v77, vcc_lo, v52, v83
	v_add_co_ci_u32_e32 v78, vcc_lo, v59, v84, vcc_lo
	s_delay_alu instid0(VALU_DEP_3) | instskip(SKIP_3) | instid1(VALU_DEP_3)
	v_lshlrev_b64 v[79:80], 2, v[73:74]
	v_sub_nc_u32_e32 v73, v37, v5
	v_add_co_u32 v75, vcc_lo, v52, v75
	v_add_co_ci_u32_e32 v76, vcc_lo, v59, v76, vcc_lo
	v_lshlrev_b64 v[73:74], 2, v[73:74]
	v_add_co_u32 v79, vcc_lo, v52, v79
	v_add_co_ci_u32_e32 v80, vcc_lo, v59, v80, vcc_lo
	s_clause 0x2
	global_store_b32 v[77:78], v11, off
	global_store_b32 v[75:76], v12, off
	;; [unrolled: 1-line block ×3, first 2 shown]
	v_add_co_u32 v73, vcc_lo, v52, v73
	v_add_co_ci_u32_e32 v74, vcc_lo, v59, v74, vcc_lo
	global_store_b32 v[73:74], v10, off
	s_or_b32 exec_lo, exec_lo, s19
	s_delay_alu instid0(SALU_CYCLE_1)
	s_and_b32 exec_lo, exec_lo, s20
	s_cbranch_execnz .LBB144_257
	s_branch .LBB144_258
.LBB144_241:
	s_or_b32 exec_lo, exec_lo, s20
	s_and_saveexec_b32 s20, s11
	s_cbranch_execz .LBB144_224
.LBB144_242:
	v_sub_nc_u32_e32 v73, v48, v5
	v_mov_b32_e32 v74, 0
	s_delay_alu instid0(VALU_DEP_1) | instskip(NEXT) | instid1(VALU_DEP_1)
	v_lshlrev_b64 v[73:74], 2, v[73:74]
	v_add_co_u32 v73, vcc_lo, v52, v73
	s_delay_alu instid0(VALU_DEP_2)
	v_add_co_ci_u32_e32 v74, vcc_lo, v59, v74, vcc_lo
	global_store_b32 v[73:74], v22, off
	s_or_b32 exec_lo, exec_lo, s20
	s_and_saveexec_b32 s20, s10
	s_cbranch_execnz .LBB144_225
.LBB144_243:
	s_or_b32 exec_lo, exec_lo, s20
	s_and_saveexec_b32 s20, s8
	s_cbranch_execz .LBB144_226
.LBB144_244:
	v_sub_nc_u32_e32 v73, v51, v5
	v_mov_b32_e32 v74, 0
	s_delay_alu instid0(VALU_DEP_1) | instskip(NEXT) | instid1(VALU_DEP_1)
	v_lshlrev_b64 v[73:74], 2, v[73:74]
	v_add_co_u32 v73, vcc_lo, v52, v73
	s_delay_alu instid0(VALU_DEP_2)
	v_add_co_ci_u32_e32 v74, vcc_lo, v59, v74, vcc_lo
	global_store_b32 v[73:74], v20, off
	s_or_b32 exec_lo, exec_lo, s20
	s_and_saveexec_b32 s20, s15
	s_cbranch_execnz .LBB144_227
.LBB144_245:
	s_or_b32 exec_lo, exec_lo, s20
	s_and_saveexec_b32 s20, s14
	s_cbranch_execz .LBB144_228
.LBB144_246:
	v_sub_nc_u32_e32 v73, v45, v5
	v_mov_b32_e32 v74, 0
	s_delay_alu instid0(VALU_DEP_1) | instskip(NEXT) | instid1(VALU_DEP_1)
	v_lshlrev_b64 v[73:74], 2, v[73:74]
	v_add_co_u32 v73, vcc_lo, v52, v73
	s_delay_alu instid0(VALU_DEP_2)
	v_add_co_ci_u32_e32 v74, vcc_lo, v59, v74, vcc_lo
	global_store_b32 v[73:74], v18, off
	s_or_b32 exec_lo, exec_lo, s20
	s_and_saveexec_b32 s20, s12
	s_cbranch_execnz .LBB144_229
.LBB144_247:
	s_or_b32 exec_lo, exec_lo, s20
	s_and_saveexec_b32 s20, s9
	s_cbranch_execz .LBB144_230
.LBB144_248:
	v_sub_nc_u32_e32 v73, v43, v5
	v_mov_b32_e32 v74, 0
	s_delay_alu instid0(VALU_DEP_1) | instskip(NEXT) | instid1(VALU_DEP_1)
	v_lshlrev_b64 v[73:74], 2, v[73:74]
	v_add_co_u32 v73, vcc_lo, v52, v73
	s_delay_alu instid0(VALU_DEP_2)
	v_add_co_ci_u32_e32 v74, vcc_lo, v59, v74, vcc_lo
	global_store_b32 v[73:74], v16, off
	s_or_b32 exec_lo, exec_lo, s20
	s_and_saveexec_b32 s20, s7
	s_cbranch_execnz .LBB144_231
.LBB144_249:
	s_or_b32 exec_lo, exec_lo, s20
	s_and_saveexec_b32 s20, s6
	s_cbranch_execz .LBB144_232
.LBB144_250:
	v_sub_nc_u32_e32 v73, v41, v5
	v_mov_b32_e32 v74, 0
	s_delay_alu instid0(VALU_DEP_1) | instskip(NEXT) | instid1(VALU_DEP_1)
	v_lshlrev_b64 v[73:74], 2, v[73:74]
	v_add_co_u32 v73, vcc_lo, v52, v73
	s_delay_alu instid0(VALU_DEP_2)
	v_add_co_ci_u32_e32 v74, vcc_lo, v59, v74, vcc_lo
	global_store_b32 v[73:74], v14, off
	s_or_b32 exec_lo, exec_lo, s20
	s_and_saveexec_b32 s20, s5
	s_cbranch_execnz .LBB144_233
.LBB144_251:
	s_or_b32 exec_lo, exec_lo, s20
	s_and_saveexec_b32 s20, s4
	s_cbranch_execz .LBB144_234
.LBB144_252:
	v_sub_nc_u32_e32 v73, v39, v5
	v_mov_b32_e32 v74, 0
	s_delay_alu instid0(VALU_DEP_1) | instskip(NEXT) | instid1(VALU_DEP_1)
	v_lshlrev_b64 v[73:74], 2, v[73:74]
	v_add_co_u32 v73, vcc_lo, v52, v73
	s_delay_alu instid0(VALU_DEP_2)
	v_add_co_ci_u32_e32 v74, vcc_lo, v59, v74, vcc_lo
	global_store_b32 v[73:74], v12, off
	s_or_b32 exec_lo, exec_lo, s20
	s_and_saveexec_b32 s20, s3
	s_cbranch_execnz .LBB144_235
.LBB144_253:
	s_or_b32 exec_lo, exec_lo, s20
	s_and_saveexec_b32 s20, s1
	s_cbranch_execz .LBB144_255
.LBB144_254:
	v_sub_nc_u32_e32 v73, v37, v5
	v_mov_b32_e32 v74, 0
	s_delay_alu instid0(VALU_DEP_1) | instskip(NEXT) | instid1(VALU_DEP_1)
	v_lshlrev_b64 v[73:74], 2, v[73:74]
	v_add_co_u32 v73, vcc_lo, v52, v73
	s_delay_alu instid0(VALU_DEP_2)
	v_add_co_ci_u32_e32 v74, vcc_lo, v59, v74, vcc_lo
	global_store_b32 v[73:74], v10, off
.LBB144_255:
	s_or_b32 exec_lo, exec_lo, s20
	s_delay_alu instid0(SALU_CYCLE_1)
	s_and_b32 s20, s0, exec_lo
	s_and_not1_saveexec_b32 s19, s19
	s_cbranch_execnz .LBB144_240
.LBB144_256:
	s_or_b32 exec_lo, exec_lo, s19
	s_delay_alu instid0(SALU_CYCLE_1)
	s_and_b32 exec_lo, exec_lo, s20
	s_cbranch_execz .LBB144_258
.LBB144_257:
	v_sub_nc_u32_e32 v73, v6, v5
	v_mov_b32_e32 v74, 0
	s_delay_alu instid0(VALU_DEP_1) | instskip(NEXT) | instid1(VALU_DEP_1)
	v_lshlrev_b64 v[73:74], 2, v[73:74]
	v_add_co_u32 v73, vcc_lo, v52, v73
	s_delay_alu instid0(VALU_DEP_2)
	v_add_co_ci_u32_e32 v74, vcc_lo, v59, v74, vcc_lo
	global_store_b32 v[73:74], v57, off
.LBB144_258:
	s_or_b32 exec_lo, exec_lo, s18
	s_mov_b32 s18, 0
.LBB144_259:
	s_delay_alu instid0(SALU_CYCLE_1)
	s_and_b32 vcc_lo, exec_lo, s18
	s_cbranch_vccz .LBB144_299
; %bb.260:
	s_mov_b32 s18, exec_lo
	v_cmpx_gt_i16_e32 2, v72
	s_cbranch_execz .LBB144_295
; %bb.261:
	s_mov_b32 s20, 0
	s_mov_b32 s19, exec_lo
	v_cmpx_ne_u16_e32 1, v72
	s_xor_b32 s19, exec_lo, s19
	s_cbranch_execz .LBB144_276
; %bb.262:
	s_and_saveexec_b32 s20, s13
	s_cbranch_execz .LBB144_278
; %bb.263:
	v_sub_nc_u32_e32 v72, v4, v5
	s_delay_alu instid0(VALU_DEP_1)
	v_lshlrev_b32_e32 v72, 2, v72
	ds_store_b32 v72, v21
	s_or_b32 exec_lo, exec_lo, s20
	s_and_saveexec_b32 s13, s11
	s_cbranch_execnz .LBB144_279
.LBB144_264:
	s_or_b32 exec_lo, exec_lo, s13
	s_and_saveexec_b32 s11, s10
	s_cbranch_execz .LBB144_280
.LBB144_265:
	v_sub_nc_u32_e32 v21, v46, v5
	s_delay_alu instid0(VALU_DEP_1)
	v_lshlrev_b32_e32 v21, 2, v21
	ds_store_b32 v21, v19
	s_or_b32 exec_lo, exec_lo, s11
	s_and_saveexec_b32 s10, s8
	s_cbranch_execnz .LBB144_281
.LBB144_266:
	s_or_b32 exec_lo, exec_lo, s10
	s_and_saveexec_b32 s8, s15
	s_cbranch_execz .LBB144_282
.LBB144_267:
	v_sub_nc_u32_e32 v19, v47, v5
	s_delay_alu instid0(VALU_DEP_1)
	v_lshlrev_b32_e32 v19, 2, v19
	ds_store_b32 v19, v17
	s_or_b32 exec_lo, exec_lo, s8
	s_and_saveexec_b32 s8, s14
	s_cbranch_execnz .LBB144_283
.LBB144_268:
	s_or_b32 exec_lo, exec_lo, s8
	s_and_saveexec_b32 s8, s12
	s_cbranch_execz .LBB144_284
.LBB144_269:
	v_sub_nc_u32_e32 v17, v44, v5
	s_delay_alu instid0(VALU_DEP_1)
	v_lshlrev_b32_e32 v17, 2, v17
	ds_store_b32 v17, v15
	s_or_b32 exec_lo, exec_lo, s8
	s_and_saveexec_b32 s8, s9
	s_cbranch_execnz .LBB144_285
.LBB144_270:
	s_or_b32 exec_lo, exec_lo, s8
	s_and_saveexec_b32 s8, s7
	s_cbranch_execz .LBB144_286
.LBB144_271:
	v_sub_nc_u32_e32 v15, v42, v5
	s_delay_alu instid0(VALU_DEP_1)
	v_lshlrev_b32_e32 v15, 2, v15
	ds_store_b32 v15, v13
	s_or_b32 exec_lo, exec_lo, s8
	s_and_saveexec_b32 s7, s6
	s_cbranch_execnz .LBB144_287
.LBB144_272:
	s_or_b32 exec_lo, exec_lo, s7
	s_and_saveexec_b32 s6, s5
	s_cbranch_execz .LBB144_288
.LBB144_273:
	v_sub_nc_u32_e32 v13, v40, v5
	s_delay_alu instid0(VALU_DEP_1)
	v_lshlrev_b32_e32 v13, 2, v13
	ds_store_b32 v13, v11
	s_or_b32 exec_lo, exec_lo, s6
	s_and_saveexec_b32 s5, s4
	s_cbranch_execnz .LBB144_289
.LBB144_274:
	s_or_b32 exec_lo, exec_lo, s5
	s_and_saveexec_b32 s4, s3
	s_cbranch_execz .LBB144_290
.LBB144_275:
	v_sub_nc_u32_e32 v11, v38, v5
	s_delay_alu instid0(VALU_DEP_1)
	v_lshlrev_b32_e32 v11, 2, v11
	ds_store_b32 v11, v9
	s_or_b32 exec_lo, exec_lo, s4
	s_and_saveexec_b32 s3, s1
	s_cbranch_execnz .LBB144_291
	s_branch .LBB144_292
.LBB144_276:
	s_and_not1_saveexec_b32 s0, s19
	s_cbranch_execz .LBB144_293
.LBB144_277:
	v_sub_nc_u32_e32 v72, v4, v5
	v_sub_nc_u32_e32 v75, v51, v5
	;; [unrolled: 1-line block ×4, first 2 shown]
	s_or_b32 s20, s20, exec_lo
	v_lshlrev_b32_e32 v72, 2, v72
	v_lshlrev_b32_e32 v75, 2, v75
	;; [unrolled: 1-line block ×4, first 2 shown]
	ds_store_b32 v72, v21
	ds_store_b32 v73, v22
	;; [unrolled: 1-line block ×3, first 2 shown]
	v_sub_nc_u32_e32 v19, v47, v5
	ds_store_b32 v75, v20
	v_sub_nc_u32_e32 v20, v45, v5
	v_sub_nc_u32_e32 v21, v44, v5
	;; [unrolled: 1-line block ×3, first 2 shown]
	v_lshlrev_b32_e32 v19, 2, v19
	v_sub_nc_u32_e32 v72, v42, v5
	v_lshlrev_b32_e32 v20, 2, v20
	v_lshlrev_b32_e32 v21, 2, v21
	;; [unrolled: 1-line block ×3, first 2 shown]
	ds_store_b32 v19, v17
	v_lshlrev_b32_e32 v17, 2, v72
	ds_store_b32 v20, v18
	ds_store_b32 v21, v15
	;; [unrolled: 1-line block ×3, first 2 shown]
	v_sub_nc_u32_e32 v15, v41, v5
	v_sub_nc_u32_e32 v18, v37, v5
	v_sub_nc_u32_e32 v16, v39, v5
	ds_store_b32 v17, v13
	v_sub_nc_u32_e32 v13, v40, v5
	v_lshlrev_b32_e32 v15, 2, v15
	v_sub_nc_u32_e32 v17, v38, v5
	v_lshlrev_b32_e32 v16, 2, v16
	s_delay_alu instid0(VALU_DEP_4)
	v_lshlrev_b32_e32 v13, 2, v13
	ds_store_b32 v15, v14
	v_lshlrev_b32_e32 v14, 2, v18
	v_lshlrev_b32_e32 v17, 2, v17
	ds_store_b32 v13, v11
	ds_store_b32 v16, v12
	;; [unrolled: 1-line block ×4, first 2 shown]
	s_or_b32 exec_lo, exec_lo, s0
	s_delay_alu instid0(SALU_CYCLE_1)
	s_and_b32 exec_lo, exec_lo, s20
	s_cbranch_execnz .LBB144_294
	s_branch .LBB144_295
.LBB144_278:
	s_or_b32 exec_lo, exec_lo, s20
	s_and_saveexec_b32 s13, s11
	s_cbranch_execz .LBB144_264
.LBB144_279:
	v_sub_nc_u32_e32 v21, v48, v5
	s_delay_alu instid0(VALU_DEP_1)
	v_lshlrev_b32_e32 v21, 2, v21
	ds_store_b32 v21, v22
	s_or_b32 exec_lo, exec_lo, s13
	s_and_saveexec_b32 s11, s10
	s_cbranch_execnz .LBB144_265
.LBB144_280:
	s_or_b32 exec_lo, exec_lo, s11
	s_and_saveexec_b32 s10, s8
	s_cbranch_execz .LBB144_266
.LBB144_281:
	v_sub_nc_u32_e32 v19, v51, v5
	s_delay_alu instid0(VALU_DEP_1)
	v_lshlrev_b32_e32 v19, 2, v19
	ds_store_b32 v19, v20
	s_or_b32 exec_lo, exec_lo, s10
	s_and_saveexec_b32 s8, s15
	s_cbranch_execnz .LBB144_267
.LBB144_282:
	s_or_b32 exec_lo, exec_lo, s8
	s_and_saveexec_b32 s8, s14
	s_cbranch_execz .LBB144_268
.LBB144_283:
	v_sub_nc_u32_e32 v17, v45, v5
	s_delay_alu instid0(VALU_DEP_1)
	v_lshlrev_b32_e32 v17, 2, v17
	ds_store_b32 v17, v18
	s_or_b32 exec_lo, exec_lo, s8
	s_and_saveexec_b32 s8, s12
	s_cbranch_execnz .LBB144_269
.LBB144_284:
	s_or_b32 exec_lo, exec_lo, s8
	s_and_saveexec_b32 s8, s9
	s_cbranch_execz .LBB144_270
.LBB144_285:
	v_sub_nc_u32_e32 v15, v43, v5
	s_delay_alu instid0(VALU_DEP_1)
	v_lshlrev_b32_e32 v15, 2, v15
	ds_store_b32 v15, v16
	s_or_b32 exec_lo, exec_lo, s8
	s_and_saveexec_b32 s8, s7
	s_cbranch_execnz .LBB144_271
.LBB144_286:
	s_or_b32 exec_lo, exec_lo, s8
	s_and_saveexec_b32 s7, s6
	s_cbranch_execz .LBB144_272
.LBB144_287:
	v_sub_nc_u32_e32 v13, v41, v5
	s_delay_alu instid0(VALU_DEP_1)
	v_lshlrev_b32_e32 v13, 2, v13
	ds_store_b32 v13, v14
	s_or_b32 exec_lo, exec_lo, s7
	s_and_saveexec_b32 s6, s5
	s_cbranch_execnz .LBB144_273
.LBB144_288:
	s_or_b32 exec_lo, exec_lo, s6
	s_and_saveexec_b32 s5, s4
	s_cbranch_execz .LBB144_274
.LBB144_289:
	v_sub_nc_u32_e32 v11, v39, v5
	s_delay_alu instid0(VALU_DEP_1)
	v_lshlrev_b32_e32 v11, 2, v11
	ds_store_b32 v11, v12
	s_or_b32 exec_lo, exec_lo, s5
	s_and_saveexec_b32 s4, s3
	s_cbranch_execnz .LBB144_275
.LBB144_290:
	s_or_b32 exec_lo, exec_lo, s4
	s_and_saveexec_b32 s3, s1
	s_cbranch_execz .LBB144_292
.LBB144_291:
	v_sub_nc_u32_e32 v9, v37, v5
	s_delay_alu instid0(VALU_DEP_1)
	v_lshlrev_b32_e32 v9, 2, v9
	ds_store_b32 v9, v10
.LBB144_292:
	s_or_b32 exec_lo, exec_lo, s3
	s_delay_alu instid0(SALU_CYCLE_1)
	s_and_b32 s20, s0, exec_lo
                                        ; implicit-def: $vgpr21
                                        ; implicit-def: $vgpr19
                                        ; implicit-def: $vgpr17
                                        ; implicit-def: $vgpr15
                                        ; implicit-def: $vgpr13
                                        ; implicit-def: $vgpr11
                                        ; implicit-def: $vgpr9
	s_and_not1_saveexec_b32 s0, s19
	s_cbranch_execnz .LBB144_277
.LBB144_293:
	s_or_b32 exec_lo, exec_lo, s0
	s_delay_alu instid0(SALU_CYCLE_1)
	s_and_b32 exec_lo, exec_lo, s20
	s_cbranch_execz .LBB144_295
.LBB144_294:
	v_sub_nc_u32_e32 v9, v6, v5
	s_delay_alu instid0(VALU_DEP_1)
	v_lshlrev_b32_e32 v9, 2, v9
	ds_store_b32 v9, v57
.LBB144_295:
	s_or_b32 exec_lo, exec_lo, s18
	s_delay_alu instid0(SALU_CYCLE_1)
	s_mov_b32 s1, exec_lo
	s_waitcnt lgkmcnt(0)
	s_waitcnt_vscnt null, 0x0
	s_barrier
	buffer_gl0_inv
	v_cmpx_lt_u32_e64 v0, v1
	s_cbranch_execz .LBB144_298
; %bb.296:
	v_dual_mov_b32 v10, 0 :: v_dual_lshlrev_b32 v11, 2, v0
	v_mov_b32_e32 v9, v0
	s_mov_b32 s3, 0
	.p2align	6
.LBB144_297:                            ; =>This Inner Loop Header: Depth=1
	ds_load_b32 v14, v11
	v_lshlrev_b64 v[12:13], 2, v[9:10]
	v_add_nc_u32_e32 v9, 0x100, v9
	v_add_nc_u32_e32 v11, 0x400, v11
	s_delay_alu instid0(VALU_DEP_2) | instskip(NEXT) | instid1(VALU_DEP_4)
	v_cmp_ge_u32_e32 vcc_lo, v9, v1
	v_add_co_u32 v12, s0, v52, v12
	s_delay_alu instid0(VALU_DEP_1)
	v_add_co_ci_u32_e64 v13, s0, v59, v13, s0
	s_or_b32 s3, vcc_lo, s3
	s_waitcnt lgkmcnt(0)
	global_store_b32 v[12:13], v14, off
	s_and_not1_b32 exec_lo, exec_lo, s3
	s_cbranch_execnz .LBB144_297
.LBB144_298:
	s_or_b32 exec_lo, exec_lo, s1
.LBB144_299:
	s_cmpk_lg_i32 s33, 0xf00
	v_cndmask_b32_e64 v14, 0, 1, s16
	s_cselect_b32 s0, -1, 0
	v_mad_i32_i24 v11, v0, -15, s33
	s_and_b32 s0, s0, s17
	s_and_b32 s1, s2, s16
	v_cndmask_b32_e64 v10, 0, 1, s0
	s_mul_hi_u32 s0, s33, 0x88888889
	v_sub_nc_u32_e32 v9, v1, v14
	s_lshr_b32 s0, s0, 3
	v_cndmask_b32_e64 v12, v49, 0, s1
	v_cmp_eq_u32_e32 vcc_lo, s0, v0
	v_cmp_ne_u32_e64 s0, 0, v11
	s_mov_b32 s15, -1
	s_waitcnt_vscnt null, 0x0
	s_barrier
	s_and_b32 vcc_lo, vcc_lo, s17
	v_add_nc_u32_e32 v9, v9, v10
	v_cndmask_b32_e64 v10, 1, v12, s0
	v_cmp_ne_u32_e64 s0, 1, v11
	buffer_gl0_inv
	v_cndmask_b32_e32 v20, v12, v10, vcc_lo
	v_cndmask_b32_e64 v13, 1, v50, s0
	v_cmp_ne_u32_e64 s0, 2, v11
	s_delay_alu instid0(VALU_DEP_3) | instskip(NEXT) | instid1(VALU_DEP_2)
	v_cmp_ne_u32_e64 s14, 0, v20
	v_cndmask_b32_e64 v15, 1, v33, s0
	v_cmp_ne_u32_e64 s0, 3, v11
	s_delay_alu instid0(VALU_DEP_1) | instskip(SKIP_1) | instid1(VALU_DEP_2)
	v_cndmask_b32_e64 v16, 1, v34, s0
	v_cmp_ne_u32_e64 s0, 14, v11
	v_cndmask_b32_e32 v16, v34, v16, vcc_lo
	s_delay_alu instid0(VALU_DEP_2) | instskip(SKIP_1) | instid1(VALU_DEP_3)
	v_cndmask_b32_e64 v17, 1, v58, s0
	v_cmp_ne_u32_e64 s0, 4, v11
	v_cmp_ne_u32_e64 s11, 0, v16
	s_delay_alu instid0(VALU_DEP_3) | instskip(NEXT) | instid1(VALU_DEP_3)
	v_cndmask_b32_e32 v17, v58, v17, vcc_lo
	v_cndmask_b32_e64 v18, 1, v31, s0
	v_cmp_ne_u32_e64 s0, 5, v11
	s_delay_alu instid0(VALU_DEP_2) | instskip(NEXT) | instid1(VALU_DEP_2)
	v_dual_cndmask_b32 v21, v50, v13 :: v_dual_cndmask_b32 v18, v31, v18
	v_cndmask_b32_e64 v19, 1, v32, s0
	v_cmp_ne_u32_e64 s0, 6, v11
	s_delay_alu instid0(VALU_DEP_3) | instskip(NEXT) | instid1(VALU_DEP_4)
	v_cmp_ne_u32_e64 s13, 0, v21
	v_cmp_ne_u32_e64 s10, 0, v18
	s_delay_alu instid0(VALU_DEP_3) | instskip(SKIP_1) | instid1(VALU_DEP_2)
	v_cndmask_b32_e64 v10, 1, v29, s0
	v_cmp_ne_u32_e64 s0, 7, v11
	v_cndmask_b32_e32 v29, v29, v10, vcc_lo
	s_delay_alu instid0(VALU_DEP_2) | instskip(SKIP_2) | instid1(VALU_DEP_2)
	v_cndmask_b32_e64 v12, 1, v30, s0
	v_cmp_eq_u32_e64 s0, 0, v20
	v_cndmask_b32_e32 v15, v33, v15, vcc_lo
	v_cndmask_b32_e64 v13, 1, 2, s0
	v_cmp_eq_u32_e64 s0, 0, v21
	s_delay_alu instid0(VALU_DEP_1) | instskip(SKIP_1) | instid1(VALU_DEP_2)
	v_cndmask_b32_e64 v22, 1, 2, s0
	v_cmp_ne_u32_e64 s0, 8, v11
	v_and_b32_e32 v13, v22, v13
	s_delay_alu instid0(VALU_DEP_2) | instskip(SKIP_1) | instid1(VALU_DEP_2)
	v_cndmask_b32_e64 v33, 1, v27, s0
	v_cmp_eq_u32_e64 s0, 0, v15
	v_cndmask_b32_e32 v27, v27, v33, vcc_lo
	s_delay_alu instid0(VALU_DEP_2) | instskip(SKIP_1) | instid1(VALU_DEP_2)
	v_cndmask_b32_e64 v22, 1, 2, s0
	v_cmp_ne_u32_e64 s0, 9, v11
	v_and_b32_e32 v13, v13, v22
	s_delay_alu instid0(VALU_DEP_2) | instskip(SKIP_1) | instid1(VALU_DEP_2)
	v_cndmask_b32_e64 v34, 1, v28, s0
	v_cmp_ne_u32_e64 s0, 10, v11
	v_cndmask_b32_e32 v28, v28, v34, vcc_lo
	s_delay_alu instid0(VALU_DEP_2) | instskip(SKIP_1) | instid1(VALU_DEP_3)
	v_cndmask_b32_e64 v49, 1, v25, s0
	v_cmp_eq_u32_e64 s0, 0, v16
	v_cmp_ne_u32_e64 s5, 0, v28
	s_delay_alu instid0(VALU_DEP_2) | instskip(SKIP_1) | instid1(VALU_DEP_1)
	v_cndmask_b32_e64 v22, 1, 2, s0
	v_cmp_ne_u32_e64 s0, 11, v11
	v_cndmask_b32_e64 v31, 1, v26, s0
	v_cmp_eq_u32_e64 s0, 0, v18
	s_delay_alu instid0(VALU_DEP_2) | instskip(NEXT) | instid1(VALU_DEP_2)
	v_dual_cndmask_b32 v26, v26, v31 :: v_dual_and_b32 v13, v13, v22
	v_cndmask_b32_e64 v22, 1, 2, s0
	v_cmp_ne_u32_e64 s0, 12, v11
	s_delay_alu instid0(VALU_DEP_3) | instskip(NEXT) | instid1(VALU_DEP_3)
	v_cmp_ne_u32_e64 s3, 0, v26
	v_and_b32_e32 v13, v13, v22
	v_cndmask_b32_e32 v19, v32, v19, vcc_lo
	s_delay_alu instid0(VALU_DEP_4) | instskip(SKIP_1) | instid1(VALU_DEP_2)
	v_cndmask_b32_e64 v32, 1, v23, s0
	v_cmp_ne_u32_e64 s0, 13, v11
	v_cndmask_b32_e32 v23, v23, v32, vcc_lo
	s_delay_alu instid0(VALU_DEP_2) | instskip(SKIP_1) | instid1(VALU_DEP_3)
	v_cndmask_b32_e64 v11, 1, v24, s0
	v_cmp_eq_u32_e64 s0, 0, v19
	v_cmp_ne_u32_e64 s2, 0, v23
	s_delay_alu instid0(VALU_DEP_3) | instskip(NEXT) | instid1(VALU_DEP_3)
	v_cndmask_b32_e32 v24, v24, v11, vcc_lo
	v_cndmask_b32_e64 v22, 1, 2, s0
	v_cmp_eq_u32_e64 s0, 0, v29
	s_delay_alu instid0(VALU_DEP_3) | instskip(NEXT) | instid1(VALU_DEP_3)
	v_cmp_ne_u32_e64 s1, 0, v24
	v_and_b32_e32 v10, v13, v22
	s_delay_alu instid0(VALU_DEP_3)
	v_cndmask_b32_e64 v11, 1, 2, s0
	v_cndmask_b32_e32 v22, v30, v12, vcc_lo
	v_cmp_ne_u32_e64 s12, 0, v15
	v_cmp_ne_u32_e64 s9, 0, v19
	;; [unrolled: 1-line block ×3, first 2 shown]
	v_dual_cndmask_b32 v25, v25, v49 :: v_dual_and_b32 v10, v10, v11
	v_cmp_eq_u32_e32 vcc_lo, 0, v22
	v_cmp_ne_u32_e64 s8, 0, v29
	v_cmp_ne_u32_e64 s7, 0, v22
	v_cndmask_b32_e64 v11, 1, 2, vcc_lo
	v_add_co_u32 v2, vcc_lo, s28, v2
	v_add_co_ci_u32_e32 v3, vcc_lo, s29, v3, vcc_lo
	s_delay_alu instid0(VALU_DEP_3)
	v_and_b32_e32 v12, v10, v11
	v_cmp_eq_u32_e32 vcc_lo, 0, v27
	v_cmp_ne_u32_e64 s4, 0, v25
	v_cndmask_b32_e64 v13, 1, 2, vcc_lo
	v_add_co_u32 v10, vcc_lo, v2, v35
	v_add_co_ci_u32_e32 v11, vcc_lo, v3, v36, vcc_lo
	v_lshlrev_b32_e32 v2, 2, v14
	v_cmp_eq_u32_e32 vcc_lo, 0, v28
	v_and_b32_e32 v3, v12, v13
	v_cmp_ne_u32_e64 s6, 0, v27
	v_cndmask_b32_e64 v12, 1, 2, vcc_lo
	v_add_co_u32 v2, vcc_lo, v2, v10
	v_add_co_ci_u32_e32 v13, vcc_lo, 0, v11, vcc_lo
	v_cmp_eq_u32_e32 vcc_lo, 0, v25
	s_delay_alu instid0(VALU_DEP_4)
	v_and_b32_e32 v3, v3, v12
	v_cndmask_b32_e64 v30, 1, 2, vcc_lo
	v_add_co_u32 v12, vcc_lo, v2, -4
	v_add_co_ci_u32_e32 v13, vcc_lo, -1, v13, vcc_lo
	v_cmp_eq_u32_e32 vcc_lo, 0, v26
	v_add_nc_u32_e32 v2, v5, v14
	v_and_b32_e32 v3, v3, v30
	v_cndmask_b32_e64 v14, 1, 2, vcc_lo
	v_cmp_eq_u32_e32 vcc_lo, 0, v23
	s_delay_alu instid0(VALU_DEP_2) | instskip(SKIP_2) | instid1(VALU_DEP_2)
	v_and_b32_e32 v3, v3, v14
	v_cndmask_b32_e64 v14, 1, 2, vcc_lo
	v_cmp_eq_u32_e32 vcc_lo, 0, v24
	v_and_b32_e32 v3, v3, v14
	v_cndmask_b32_e64 v14, 1, 2, vcc_lo
	v_cmp_eq_u32_e32 vcc_lo, 0, v17
	s_delay_alu instid0(VALU_DEP_2) | instskip(SKIP_2) | instid1(VALU_DEP_2)
	v_and_b32_e32 v3, v3, v14
	v_cndmask_b32_e64 v14, 1, 2, vcc_lo
	v_cmp_gt_u32_e32 vcc_lo, 0x100, v9
	v_and_b32_e32 v3, v3, v14
	s_cbranch_vccz .LBB144_316
; %bb.300:
	s_mov_b32 s15, exec_lo
	s_delay_alu instid0(VALU_DEP_1)
	v_cmpx_gt_i16_e32 2, v3
	s_cbranch_execz .LBB144_354
; %bb.301:
	s_mov_b32 s18, 0
	s_mov_b32 s16, exec_lo
	v_cmpx_ne_u16_e32 1, v3
	s_xor_b32 s16, exec_lo, s16
	s_cbranch_execz .LBB144_333
; %bb.302:
	s_and_saveexec_b32 s18, s14
	s_cbranch_execz .LBB144_337
; %bb.303:
	v_sub_nc_u32_e32 v14, v4, v2
	v_mov_b32_e32 v15, 0
	s_delay_alu instid0(VALU_DEP_1) | instskip(NEXT) | instid1(VALU_DEP_1)
	v_lshlrev_b64 v[14:15], 2, v[14:15]
	v_add_co_u32 v14, vcc_lo, v12, v14
	s_delay_alu instid0(VALU_DEP_2)
	v_add_co_ci_u32_e32 v15, vcc_lo, v13, v15, vcc_lo
	global_store_b32 v[14:15], v71, off
	s_or_b32 exec_lo, exec_lo, s18
	s_and_saveexec_b32 s18, s13
	s_cbranch_execnz .LBB144_338
.LBB144_304:
	s_or_b32 exec_lo, exec_lo, s18
	s_and_saveexec_b32 s18, s12
	s_cbranch_execz .LBB144_339
.LBB144_305:
	v_sub_nc_u32_e32 v14, v46, v2
	v_mov_b32_e32 v15, 0
	s_delay_alu instid0(VALU_DEP_1) | instskip(NEXT) | instid1(VALU_DEP_1)
	v_lshlrev_b64 v[14:15], 2, v[14:15]
	v_add_co_u32 v14, vcc_lo, v12, v14
	s_delay_alu instid0(VALU_DEP_2)
	v_add_co_ci_u32_e32 v15, vcc_lo, v13, v15, vcc_lo
	global_store_b32 v[14:15], v69, off
	s_or_b32 exec_lo, exec_lo, s18
	s_and_saveexec_b32 s18, s11
	s_cbranch_execnz .LBB144_340
.LBB144_306:
	s_or_b32 exec_lo, exec_lo, s18
	s_and_saveexec_b32 s18, s10
	s_cbranch_execz .LBB144_341
.LBB144_307:
	v_sub_nc_u32_e32 v14, v47, v2
	v_mov_b32_e32 v15, 0
	s_delay_alu instid0(VALU_DEP_1) | instskip(NEXT) | instid1(VALU_DEP_1)
	v_lshlrev_b64 v[14:15], 2, v[14:15]
	v_add_co_u32 v14, vcc_lo, v12, v14
	s_delay_alu instid0(VALU_DEP_2)
	v_add_co_ci_u32_e32 v15, vcc_lo, v13, v15, vcc_lo
	global_store_b32 v[14:15], v67, off
	s_or_b32 exec_lo, exec_lo, s18
	s_and_saveexec_b32 s18, s9
	s_cbranch_execnz .LBB144_342
.LBB144_308:
	s_or_b32 exec_lo, exec_lo, s18
	s_and_saveexec_b32 s18, s8
	s_cbranch_execz .LBB144_343
.LBB144_309:
	v_sub_nc_u32_e32 v14, v44, v2
	v_mov_b32_e32 v15, 0
	s_delay_alu instid0(VALU_DEP_1) | instskip(NEXT) | instid1(VALU_DEP_1)
	v_lshlrev_b64 v[14:15], 2, v[14:15]
	v_add_co_u32 v14, vcc_lo, v12, v14
	s_delay_alu instid0(VALU_DEP_2)
	v_add_co_ci_u32_e32 v15, vcc_lo, v13, v15, vcc_lo
	global_store_b32 v[14:15], v65, off
	s_or_b32 exec_lo, exec_lo, s18
	s_and_saveexec_b32 s18, s7
	s_cbranch_execnz .LBB144_344
.LBB144_310:
	s_or_b32 exec_lo, exec_lo, s18
	s_and_saveexec_b32 s18, s6
	s_cbranch_execz .LBB144_345
.LBB144_311:
	v_sub_nc_u32_e32 v14, v42, v2
	v_mov_b32_e32 v15, 0
	s_delay_alu instid0(VALU_DEP_1) | instskip(NEXT) | instid1(VALU_DEP_1)
	v_lshlrev_b64 v[14:15], 2, v[14:15]
	v_add_co_u32 v14, vcc_lo, v12, v14
	s_delay_alu instid0(VALU_DEP_2)
	v_add_co_ci_u32_e32 v15, vcc_lo, v13, v15, vcc_lo
	global_store_b32 v[14:15], v63, off
	s_or_b32 exec_lo, exec_lo, s18
	s_and_saveexec_b32 s18, s5
	s_cbranch_execnz .LBB144_346
.LBB144_312:
	s_or_b32 exec_lo, exec_lo, s18
	s_and_saveexec_b32 s18, s4
	s_cbranch_execz .LBB144_347
.LBB144_313:
	v_sub_nc_u32_e32 v14, v40, v2
	v_mov_b32_e32 v15, 0
	s_delay_alu instid0(VALU_DEP_1) | instskip(NEXT) | instid1(VALU_DEP_1)
	v_lshlrev_b64 v[14:15], 2, v[14:15]
	v_add_co_u32 v14, vcc_lo, v12, v14
	s_delay_alu instid0(VALU_DEP_2)
	v_add_co_ci_u32_e32 v15, vcc_lo, v13, v15, vcc_lo
	global_store_b32 v[14:15], v60, off
	s_or_b32 exec_lo, exec_lo, s18
	s_and_saveexec_b32 s18, s3
	s_cbranch_execnz .LBB144_348
.LBB144_314:
	s_or_b32 exec_lo, exec_lo, s18
	s_and_saveexec_b32 s18, s2
	s_cbranch_execz .LBB144_349
.LBB144_315:
	v_sub_nc_u32_e32 v14, v38, v2
	v_mov_b32_e32 v15, 0
	s_delay_alu instid0(VALU_DEP_1) | instskip(NEXT) | instid1(VALU_DEP_1)
	v_lshlrev_b64 v[14:15], 2, v[14:15]
	v_add_co_u32 v14, vcc_lo, v12, v14
	s_delay_alu instid0(VALU_DEP_2)
	v_add_co_ci_u32_e32 v15, vcc_lo, v13, v15, vcc_lo
	global_store_b32 v[14:15], v56, off
	s_or_b32 exec_lo, exec_lo, s18
	s_and_saveexec_b32 s18, s1
	s_cbranch_execnz .LBB144_350
	s_branch .LBB144_351
.LBB144_316:
	s_and_b32 vcc_lo, exec_lo, s15
	s_cbranch_vccz .LBB144_355
; %bb.317:
	s_mov_b32 s15, exec_lo
	v_cmpx_gt_i16_e32 2, v3
	s_cbranch_execz .LBB144_373
; %bb.318:
	s_mov_b32 s18, 0
	s_mov_b32 s16, exec_lo
	v_cmpx_ne_u16_e32 1, v3
	s_xor_b32 s16, exec_lo, s16
	s_cbranch_execz .LBB144_335
; %bb.319:
	s_and_saveexec_b32 s18, s14
	s_cbranch_execz .LBB144_356
; %bb.320:
	v_sub_nc_u32_e32 v3, v4, v2
	s_delay_alu instid0(VALU_DEP_1)
	v_lshlrev_b32_e32 v3, 2, v3
	ds_store_b32 v3, v71
	s_or_b32 exec_lo, exec_lo, s18
	s_and_saveexec_b32 s14, s13
	s_cbranch_execnz .LBB144_357
.LBB144_321:
	s_or_b32 exec_lo, exec_lo, s14
	s_and_saveexec_b32 s13, s12
	s_cbranch_execz .LBB144_358
.LBB144_322:
	v_sub_nc_u32_e32 v3, v46, v2
	s_delay_alu instid0(VALU_DEP_1)
	v_lshlrev_b32_e32 v3, 2, v3
	ds_store_b32 v3, v69
	s_or_b32 exec_lo, exec_lo, s13
	s_and_saveexec_b32 s12, s11
	s_cbranch_execnz .LBB144_359
.LBB144_323:
	s_or_b32 exec_lo, exec_lo, s12
	s_and_saveexec_b32 s11, s10
	s_cbranch_execz .LBB144_360
.LBB144_324:
	v_sub_nc_u32_e32 v3, v47, v2
	s_delay_alu instid0(VALU_DEP_1)
	v_lshlrev_b32_e32 v3, 2, v3
	ds_store_b32 v3, v67
	s_or_b32 exec_lo, exec_lo, s11
	s_and_saveexec_b32 s10, s9
	s_cbranch_execnz .LBB144_361
.LBB144_325:
	s_or_b32 exec_lo, exec_lo, s10
	s_and_saveexec_b32 s9, s8
	s_cbranch_execz .LBB144_362
.LBB144_326:
	v_sub_nc_u32_e32 v3, v44, v2
	s_delay_alu instid0(VALU_DEP_1)
	v_lshlrev_b32_e32 v3, 2, v3
	ds_store_b32 v3, v65
	s_or_b32 exec_lo, exec_lo, s9
	s_and_saveexec_b32 s8, s7
	s_cbranch_execnz .LBB144_363
.LBB144_327:
	s_or_b32 exec_lo, exec_lo, s8
	s_and_saveexec_b32 s7, s6
	s_cbranch_execz .LBB144_364
.LBB144_328:
	v_sub_nc_u32_e32 v3, v42, v2
	s_delay_alu instid0(VALU_DEP_1)
	v_lshlrev_b32_e32 v3, 2, v3
	ds_store_b32 v3, v63
	s_or_b32 exec_lo, exec_lo, s7
	s_and_saveexec_b32 s6, s5
	s_cbranch_execnz .LBB144_365
.LBB144_329:
	s_or_b32 exec_lo, exec_lo, s6
	s_and_saveexec_b32 s5, s4
	s_cbranch_execz .LBB144_366
.LBB144_330:
	v_sub_nc_u32_e32 v3, v40, v2
	s_delay_alu instid0(VALU_DEP_1)
	v_lshlrev_b32_e32 v3, 2, v3
	ds_store_b32 v3, v60
	s_or_b32 exec_lo, exec_lo, s5
	s_and_saveexec_b32 s4, s3
	s_cbranch_execnz .LBB144_367
.LBB144_331:
	s_or_b32 exec_lo, exec_lo, s4
	s_and_saveexec_b32 s3, s2
	s_cbranch_execz .LBB144_368
.LBB144_332:
	v_sub_nc_u32_e32 v3, v38, v2
	s_delay_alu instid0(VALU_DEP_1)
	v_lshlrev_b32_e32 v3, 2, v3
	ds_store_b32 v3, v56
	s_or_b32 exec_lo, exec_lo, s3
	s_and_saveexec_b32 s2, s1
	s_cbranch_execnz .LBB144_369
	s_branch .LBB144_370
.LBB144_333:
	s_and_not1_saveexec_b32 s16, s16
	s_cbranch_execz .LBB144_352
.LBB144_334:
	v_sub_nc_u32_e32 v14, v4, v2
	v_mov_b32_e32 v15, 0
	s_or_b32 s18, s18, exec_lo
	s_delay_alu instid0(VALU_DEP_1) | instskip(SKIP_1) | instid1(VALU_DEP_1)
	v_lshlrev_b64 v[16:17], 2, v[14:15]
	v_sub_nc_u32_e32 v14, v48, v2
	v_lshlrev_b64 v[18:19], 2, v[14:15]
	v_sub_nc_u32_e32 v14, v46, v2
	s_delay_alu instid0(VALU_DEP_4) | instskip(SKIP_1) | instid1(VALU_DEP_3)
	v_add_co_u32 v16, vcc_lo, v12, v16
	v_add_co_ci_u32_e32 v17, vcc_lo, v13, v17, vcc_lo
	v_lshlrev_b64 v[20:21], 2, v[14:15]
	v_sub_nc_u32_e32 v14, v51, v2
	v_add_co_u32 v18, vcc_lo, v12, v18
	v_add_co_ci_u32_e32 v19, vcc_lo, v13, v19, vcc_lo
	global_store_b32 v[16:17], v71, off
	v_lshlrev_b64 v[16:17], 2, v[14:15]
	v_sub_nc_u32_e32 v14, v47, v2
	global_store_b32 v[18:19], v70, off
	v_add_co_u32 v18, vcc_lo, v12, v20
	v_add_co_ci_u32_e32 v19, vcc_lo, v13, v21, vcc_lo
	v_lshlrev_b64 v[20:21], 2, v[14:15]
	v_sub_nc_u32_e32 v14, v45, v2
	v_add_co_u32 v16, vcc_lo, v12, v16
	v_add_co_ci_u32_e32 v17, vcc_lo, v13, v17, vcc_lo
	s_delay_alu instid0(VALU_DEP_3) | instskip(SKIP_3) | instid1(VALU_DEP_3)
	v_lshlrev_b64 v[22:23], 2, v[14:15]
	v_sub_nc_u32_e32 v14, v44, v2
	v_add_co_u32 v20, vcc_lo, v12, v20
	v_add_co_ci_u32_e32 v21, vcc_lo, v13, v21, vcc_lo
	v_lshlrev_b64 v[24:25], 2, v[14:15]
	v_sub_nc_u32_e32 v14, v43, v2
	v_add_co_u32 v22, vcc_lo, v12, v22
	v_add_co_ci_u32_e32 v23, vcc_lo, v13, v23, vcc_lo
	s_clause 0x3
	global_store_b32 v[18:19], v69, off
	global_store_b32 v[16:17], v68, off
	;; [unrolled: 1-line block ×4, first 2 shown]
	v_lshlrev_b64 v[16:17], 2, v[14:15]
	v_sub_nc_u32_e32 v14, v42, v2
	v_add_co_u32 v18, vcc_lo, v12, v24
	v_add_co_ci_u32_e32 v19, vcc_lo, v13, v25, vcc_lo
	s_delay_alu instid0(VALU_DEP_3) | instskip(SKIP_3) | instid1(VALU_DEP_3)
	v_lshlrev_b64 v[20:21], 2, v[14:15]
	v_sub_nc_u32_e32 v14, v41, v2
	v_add_co_u32 v16, vcc_lo, v12, v16
	v_add_co_ci_u32_e32 v17, vcc_lo, v13, v17, vcc_lo
	v_lshlrev_b64 v[22:23], 2, v[14:15]
	v_sub_nc_u32_e32 v14, v40, v2
	v_add_co_u32 v20, vcc_lo, v12, v20
	v_add_co_ci_u32_e32 v21, vcc_lo, v13, v21, vcc_lo
	s_delay_alu instid0(VALU_DEP_3)
	v_lshlrev_b64 v[24:25], 2, v[14:15]
	v_sub_nc_u32_e32 v14, v39, v2
	v_add_co_u32 v22, vcc_lo, v12, v22
	v_add_co_ci_u32_e32 v23, vcc_lo, v13, v23, vcc_lo
	s_clause 0x3
	global_store_b32 v[18:19], v65, off
	global_store_b32 v[16:17], v64, off
	;; [unrolled: 1-line block ×4, first 2 shown]
	v_lshlrev_b64 v[16:17], 2, v[14:15]
	v_sub_nc_u32_e32 v14, v38, v2
	v_add_co_u32 v18, vcc_lo, v12, v24
	v_add_co_ci_u32_e32 v19, vcc_lo, v13, v25, vcc_lo
	s_delay_alu instid0(VALU_DEP_3) | instskip(SKIP_3) | instid1(VALU_DEP_3)
	v_lshlrev_b64 v[20:21], 2, v[14:15]
	v_sub_nc_u32_e32 v14, v37, v2
	v_add_co_u32 v16, vcc_lo, v12, v16
	v_add_co_ci_u32_e32 v17, vcc_lo, v13, v17, vcc_lo
	v_lshlrev_b64 v[14:15], 2, v[14:15]
	v_add_co_u32 v20, vcc_lo, v12, v20
	v_add_co_ci_u32_e32 v21, vcc_lo, v13, v21, vcc_lo
	s_clause 0x2
	global_store_b32 v[18:19], v60, off
	global_store_b32 v[16:17], v55, off
	;; [unrolled: 1-line block ×3, first 2 shown]
	v_add_co_u32 v14, vcc_lo, v12, v14
	v_add_co_ci_u32_e32 v15, vcc_lo, v13, v15, vcc_lo
	global_store_b32 v[14:15], v54, off
	s_or_b32 exec_lo, exec_lo, s16
	s_delay_alu instid0(SALU_CYCLE_1)
	s_and_b32 exec_lo, exec_lo, s18
	s_cbranch_execnz .LBB144_353
	s_branch .LBB144_354
.LBB144_335:
	s_and_not1_saveexec_b32 s0, s16
	s_cbranch_execz .LBB144_371
.LBB144_336:
	v_sub_nc_u32_e32 v3, v4, v2
	v_sub_nc_u32_e32 v4, v48, v2
	;; [unrolled: 1-line block ×5, first 2 shown]
	v_lshlrev_b32_e32 v3, 2, v3
	v_lshlrev_b32_e32 v4, 2, v4
	;; [unrolled: 1-line block ×4, first 2 shown]
	s_or_b32 s18, s18, exec_lo
	ds_store_b32 v3, v71
	ds_store_b32 v4, v70
	;; [unrolled: 1-line block ×3, first 2 shown]
	v_sub_nc_u32_e32 v3, v47, v2
	v_sub_nc_u32_e32 v4, v45, v2
	;; [unrolled: 1-line block ×3, first 2 shown]
	ds_store_b32 v15, v68
	v_sub_nc_u32_e32 v15, v43, v2
	v_lshlrev_b32_e32 v3, 2, v3
	v_lshlrev_b32_e32 v4, 2, v4
	;; [unrolled: 1-line block ×3, first 2 shown]
	s_delay_alu instid0(VALU_DEP_4)
	v_lshlrev_b32_e32 v15, 2, v15
	ds_store_b32 v3, v67
	v_lshlrev_b32_e32 v3, 2, v16
	ds_store_b32 v4, v66
	ds_store_b32 v14, v65
	;; [unrolled: 1-line block ×3, first 2 shown]
	v_sub_nc_u32_e32 v4, v41, v2
	v_sub_nc_u32_e32 v16, v37, v2
	;; [unrolled: 1-line block ×3, first 2 shown]
	ds_store_b32 v3, v63
	v_sub_nc_u32_e32 v3, v40, v2
	v_lshlrev_b32_e32 v4, 2, v4
	v_sub_nc_u32_e32 v15, v38, v2
	v_lshlrev_b32_e32 v14, 2, v14
	s_delay_alu instid0(VALU_DEP_4)
	v_lshlrev_b32_e32 v3, 2, v3
	ds_store_b32 v4, v61
	v_lshlrev_b32_e32 v4, 2, v16
	v_lshlrev_b32_e32 v15, 2, v15
	ds_store_b32 v3, v60
	ds_store_b32 v14, v55
	;; [unrolled: 1-line block ×4, first 2 shown]
	s_or_b32 exec_lo, exec_lo, s0
	s_delay_alu instid0(SALU_CYCLE_1)
	s_and_b32 exec_lo, exec_lo, s18
	s_cbranch_execnz .LBB144_372
	s_branch .LBB144_373
.LBB144_337:
	s_or_b32 exec_lo, exec_lo, s18
	s_and_saveexec_b32 s18, s13
	s_cbranch_execz .LBB144_304
.LBB144_338:
	v_sub_nc_u32_e32 v14, v48, v2
	v_mov_b32_e32 v15, 0
	s_delay_alu instid0(VALU_DEP_1) | instskip(NEXT) | instid1(VALU_DEP_1)
	v_lshlrev_b64 v[14:15], 2, v[14:15]
	v_add_co_u32 v14, vcc_lo, v12, v14
	s_delay_alu instid0(VALU_DEP_2)
	v_add_co_ci_u32_e32 v15, vcc_lo, v13, v15, vcc_lo
	global_store_b32 v[14:15], v70, off
	s_or_b32 exec_lo, exec_lo, s18
	s_and_saveexec_b32 s18, s12
	s_cbranch_execnz .LBB144_305
.LBB144_339:
	s_or_b32 exec_lo, exec_lo, s18
	s_and_saveexec_b32 s18, s11
	s_cbranch_execz .LBB144_306
.LBB144_340:
	v_sub_nc_u32_e32 v14, v51, v2
	v_mov_b32_e32 v15, 0
	s_delay_alu instid0(VALU_DEP_1) | instskip(NEXT) | instid1(VALU_DEP_1)
	v_lshlrev_b64 v[14:15], 2, v[14:15]
	v_add_co_u32 v14, vcc_lo, v12, v14
	s_delay_alu instid0(VALU_DEP_2)
	v_add_co_ci_u32_e32 v15, vcc_lo, v13, v15, vcc_lo
	global_store_b32 v[14:15], v68, off
	s_or_b32 exec_lo, exec_lo, s18
	s_and_saveexec_b32 s18, s10
	s_cbranch_execnz .LBB144_307
.LBB144_341:
	s_or_b32 exec_lo, exec_lo, s18
	s_and_saveexec_b32 s18, s9
	s_cbranch_execz .LBB144_308
.LBB144_342:
	v_sub_nc_u32_e32 v14, v45, v2
	v_mov_b32_e32 v15, 0
	s_delay_alu instid0(VALU_DEP_1) | instskip(NEXT) | instid1(VALU_DEP_1)
	v_lshlrev_b64 v[14:15], 2, v[14:15]
	v_add_co_u32 v14, vcc_lo, v12, v14
	s_delay_alu instid0(VALU_DEP_2)
	v_add_co_ci_u32_e32 v15, vcc_lo, v13, v15, vcc_lo
	global_store_b32 v[14:15], v66, off
	s_or_b32 exec_lo, exec_lo, s18
	s_and_saveexec_b32 s18, s8
	s_cbranch_execnz .LBB144_309
.LBB144_343:
	s_or_b32 exec_lo, exec_lo, s18
	s_and_saveexec_b32 s18, s7
	s_cbranch_execz .LBB144_310
.LBB144_344:
	v_sub_nc_u32_e32 v14, v43, v2
	v_mov_b32_e32 v15, 0
	s_delay_alu instid0(VALU_DEP_1) | instskip(NEXT) | instid1(VALU_DEP_1)
	v_lshlrev_b64 v[14:15], 2, v[14:15]
	v_add_co_u32 v14, vcc_lo, v12, v14
	s_delay_alu instid0(VALU_DEP_2)
	v_add_co_ci_u32_e32 v15, vcc_lo, v13, v15, vcc_lo
	global_store_b32 v[14:15], v64, off
	s_or_b32 exec_lo, exec_lo, s18
	s_and_saveexec_b32 s18, s6
	s_cbranch_execnz .LBB144_311
.LBB144_345:
	s_or_b32 exec_lo, exec_lo, s18
	s_and_saveexec_b32 s18, s5
	s_cbranch_execz .LBB144_312
.LBB144_346:
	v_sub_nc_u32_e32 v14, v41, v2
	v_mov_b32_e32 v15, 0
	s_delay_alu instid0(VALU_DEP_1) | instskip(NEXT) | instid1(VALU_DEP_1)
	v_lshlrev_b64 v[14:15], 2, v[14:15]
	v_add_co_u32 v14, vcc_lo, v12, v14
	s_delay_alu instid0(VALU_DEP_2)
	v_add_co_ci_u32_e32 v15, vcc_lo, v13, v15, vcc_lo
	global_store_b32 v[14:15], v61, off
	s_or_b32 exec_lo, exec_lo, s18
	s_and_saveexec_b32 s18, s4
	s_cbranch_execnz .LBB144_313
.LBB144_347:
	s_or_b32 exec_lo, exec_lo, s18
	s_and_saveexec_b32 s18, s3
	s_cbranch_execz .LBB144_314
.LBB144_348:
	v_sub_nc_u32_e32 v14, v39, v2
	v_mov_b32_e32 v15, 0
	s_delay_alu instid0(VALU_DEP_1) | instskip(NEXT) | instid1(VALU_DEP_1)
	v_lshlrev_b64 v[14:15], 2, v[14:15]
	v_add_co_u32 v14, vcc_lo, v12, v14
	s_delay_alu instid0(VALU_DEP_2)
	v_add_co_ci_u32_e32 v15, vcc_lo, v13, v15, vcc_lo
	global_store_b32 v[14:15], v55, off
	s_or_b32 exec_lo, exec_lo, s18
	s_and_saveexec_b32 s18, s2
	s_cbranch_execnz .LBB144_315
.LBB144_349:
	s_or_b32 exec_lo, exec_lo, s18
	s_and_saveexec_b32 s18, s1
	s_cbranch_execz .LBB144_351
.LBB144_350:
	v_sub_nc_u32_e32 v14, v37, v2
	v_mov_b32_e32 v15, 0
	s_delay_alu instid0(VALU_DEP_1) | instskip(NEXT) | instid1(VALU_DEP_1)
	v_lshlrev_b64 v[14:15], 2, v[14:15]
	v_add_co_u32 v14, vcc_lo, v12, v14
	s_delay_alu instid0(VALU_DEP_2)
	v_add_co_ci_u32_e32 v15, vcc_lo, v13, v15, vcc_lo
	global_store_b32 v[14:15], v54, off
.LBB144_351:
	s_or_b32 exec_lo, exec_lo, s18
	s_delay_alu instid0(SALU_CYCLE_1)
	s_and_b32 s18, s0, exec_lo
	s_and_not1_saveexec_b32 s16, s16
	s_cbranch_execnz .LBB144_334
.LBB144_352:
	s_or_b32 exec_lo, exec_lo, s16
	s_delay_alu instid0(SALU_CYCLE_1)
	s_and_b32 exec_lo, exec_lo, s18
	s_cbranch_execz .LBB144_354
.LBB144_353:
	v_sub_nc_u32_e32 v14, v6, v2
	v_mov_b32_e32 v15, 0
	s_delay_alu instid0(VALU_DEP_1) | instskip(NEXT) | instid1(VALU_DEP_1)
	v_lshlrev_b64 v[14:15], 2, v[14:15]
	v_add_co_u32 v14, vcc_lo, v12, v14
	s_delay_alu instid0(VALU_DEP_2)
	v_add_co_ci_u32_e32 v15, vcc_lo, v13, v15, vcc_lo
	global_store_b32 v[14:15], v62, off
.LBB144_354:
	s_or_b32 exec_lo, exec_lo, s15
.LBB144_355:
	v_cmp_eq_u32_e32 vcc_lo, 0xff, v0
	s_and_b32 s0, vcc_lo, s17
	s_delay_alu instid0(SALU_CYCLE_1)
	s_and_b32 exec_lo, exec_lo, s0
	s_cbranch_execnz .LBB144_377
	s_branch .LBB144_379
.LBB144_356:
	s_or_b32 exec_lo, exec_lo, s18
	s_and_saveexec_b32 s14, s13
	s_cbranch_execz .LBB144_321
.LBB144_357:
	v_sub_nc_u32_e32 v3, v48, v2
	s_delay_alu instid0(VALU_DEP_1)
	v_lshlrev_b32_e32 v3, 2, v3
	ds_store_b32 v3, v70
	s_or_b32 exec_lo, exec_lo, s14
	s_and_saveexec_b32 s13, s12
	s_cbranch_execnz .LBB144_322
.LBB144_358:
	s_or_b32 exec_lo, exec_lo, s13
	s_and_saveexec_b32 s12, s11
	s_cbranch_execz .LBB144_323
.LBB144_359:
	v_sub_nc_u32_e32 v3, v51, v2
	s_delay_alu instid0(VALU_DEP_1)
	v_lshlrev_b32_e32 v3, 2, v3
	ds_store_b32 v3, v68
	s_or_b32 exec_lo, exec_lo, s12
	s_and_saveexec_b32 s11, s10
	s_cbranch_execnz .LBB144_324
.LBB144_360:
	s_or_b32 exec_lo, exec_lo, s11
	s_and_saveexec_b32 s10, s9
	s_cbranch_execz .LBB144_325
.LBB144_361:
	v_sub_nc_u32_e32 v3, v45, v2
	s_delay_alu instid0(VALU_DEP_1)
	v_lshlrev_b32_e32 v3, 2, v3
	ds_store_b32 v3, v66
	s_or_b32 exec_lo, exec_lo, s10
	s_and_saveexec_b32 s9, s8
	s_cbranch_execnz .LBB144_326
.LBB144_362:
	s_or_b32 exec_lo, exec_lo, s9
	s_and_saveexec_b32 s8, s7
	s_cbranch_execz .LBB144_327
.LBB144_363:
	v_sub_nc_u32_e32 v3, v43, v2
	s_delay_alu instid0(VALU_DEP_1)
	v_lshlrev_b32_e32 v3, 2, v3
	ds_store_b32 v3, v64
	s_or_b32 exec_lo, exec_lo, s8
	s_and_saveexec_b32 s7, s6
	s_cbranch_execnz .LBB144_328
.LBB144_364:
	s_or_b32 exec_lo, exec_lo, s7
	s_and_saveexec_b32 s6, s5
	s_cbranch_execz .LBB144_329
.LBB144_365:
	v_sub_nc_u32_e32 v3, v41, v2
	s_delay_alu instid0(VALU_DEP_1)
	v_lshlrev_b32_e32 v3, 2, v3
	ds_store_b32 v3, v61
	s_or_b32 exec_lo, exec_lo, s6
	s_and_saveexec_b32 s5, s4
	s_cbranch_execnz .LBB144_330
.LBB144_366:
	s_or_b32 exec_lo, exec_lo, s5
	s_and_saveexec_b32 s4, s3
	s_cbranch_execz .LBB144_331
.LBB144_367:
	v_sub_nc_u32_e32 v3, v39, v2
	s_delay_alu instid0(VALU_DEP_1)
	v_lshlrev_b32_e32 v3, 2, v3
	ds_store_b32 v3, v55
	s_or_b32 exec_lo, exec_lo, s4
	s_and_saveexec_b32 s3, s2
	s_cbranch_execnz .LBB144_332
.LBB144_368:
	s_or_b32 exec_lo, exec_lo, s3
	s_and_saveexec_b32 s2, s1
	s_cbranch_execz .LBB144_370
.LBB144_369:
	v_sub_nc_u32_e32 v3, v37, v2
	s_delay_alu instid0(VALU_DEP_1)
	v_lshlrev_b32_e32 v3, 2, v3
	ds_store_b32 v3, v54
.LBB144_370:
	s_or_b32 exec_lo, exec_lo, s2
	s_delay_alu instid0(SALU_CYCLE_1)
	s_and_b32 s18, s0, exec_lo
                                        ; implicit-def: $vgpr54
                                        ; implicit-def: $vgpr56
                                        ; implicit-def: $vgpr55
                                        ; implicit-def: $vgpr60
                                        ; implicit-def: $vgpr61
                                        ; implicit-def: $vgpr63
                                        ; implicit-def: $vgpr64
                                        ; implicit-def: $vgpr65
                                        ; implicit-def: $vgpr66
                                        ; implicit-def: $vgpr67
                                        ; implicit-def: $vgpr68
                                        ; implicit-def: $vgpr69
                                        ; implicit-def: $vgpr70
                                        ; implicit-def: $vgpr71
                                        ; implicit-def: $vgpr48
                                        ; implicit-def: $vgpr46
                                        ; implicit-def: $vgpr51
                                        ; implicit-def: $vgpr47
                                        ; implicit-def: $vgpr45
                                        ; implicit-def: $vgpr44
                                        ; implicit-def: $vgpr43
                                        ; implicit-def: $vgpr42
                                        ; implicit-def: $vgpr41
                                        ; implicit-def: $vgpr40
                                        ; implicit-def: $vgpr39
                                        ; implicit-def: $vgpr38
                                        ; implicit-def: $vgpr37
	s_and_not1_saveexec_b32 s0, s16
	s_cbranch_execnz .LBB144_336
.LBB144_371:
	s_or_b32 exec_lo, exec_lo, s0
	s_delay_alu instid0(SALU_CYCLE_1)
	s_and_b32 exec_lo, exec_lo, s18
	s_cbranch_execz .LBB144_373
.LBB144_372:
	v_sub_nc_u32_e32 v2, v6, v2
	s_delay_alu instid0(VALU_DEP_1)
	v_lshlrev_b32_e32 v2, 2, v2
	ds_store_b32 v2, v62
.LBB144_373:
	s_or_b32 exec_lo, exec_lo, s15
	s_delay_alu instid0(SALU_CYCLE_1)
	s_mov_b32 s1, exec_lo
	s_waitcnt lgkmcnt(0)
	s_waitcnt_vscnt null, 0x0
	s_barrier
	buffer_gl0_inv
	v_cmpx_lt_u32_e64 v0, v9
	s_cbranch_execz .LBB144_376
; %bb.374:
	v_dual_mov_b32 v3, 0 :: v_dual_lshlrev_b32 v4, 2, v0
	v_mov_b32_e32 v2, v0
	s_mov_b32 s2, 0
	.p2align	6
.LBB144_375:                            ; =>This Inner Loop Header: Depth=1
	ds_load_b32 v6, v4
	v_lshlrev_b64 v[14:15], 2, v[2:3]
	v_add_nc_u32_e32 v2, 0x100, v2
	v_add_nc_u32_e32 v4, 0x400, v4
	s_delay_alu instid0(VALU_DEP_2) | instskip(NEXT) | instid1(VALU_DEP_4)
	v_cmp_ge_u32_e32 vcc_lo, v2, v9
	v_add_co_u32 v14, s0, v12, v14
	s_delay_alu instid0(VALU_DEP_1)
	v_add_co_ci_u32_e64 v15, s0, v13, v15, s0
	s_or_b32 s2, vcc_lo, s2
	s_waitcnt lgkmcnt(0)
	global_store_b32 v[14:15], v6, off
	s_and_not1_b32 exec_lo, exec_lo, s2
	s_cbranch_execnz .LBB144_375
.LBB144_376:
	s_or_b32 exec_lo, exec_lo, s1
	v_cmp_eq_u32_e32 vcc_lo, 0xff, v0
	s_and_b32 s0, vcc_lo, s17
	s_delay_alu instid0(SALU_CYCLE_1)
	s_and_b32 exec_lo, exec_lo, s0
	s_cbranch_execz .LBB144_379
.LBB144_377:
	v_add_co_u32 v0, s0, v1, v5
	s_delay_alu instid0(VALU_DEP_1) | instskip(SKIP_1) | instid1(VALU_DEP_3)
	v_add_co_ci_u32_e64 v4, null, 0, 0, s0
	v_mov_b32_e32 v2, 0
	v_add_co_u32 v3, vcc_lo, v0, v7
	s_delay_alu instid0(VALU_DEP_3)
	v_add_co_ci_u32_e32 v4, vcc_lo, v4, v8, vcc_lo
	s_cmpk_lg_i32 s33, 0xf00
	global_store_b64 v2, v[3:4], s[30:31]
	s_cbranch_scc1 .LBB144_379
; %bb.378:
	v_lshlrev_b64 v[0:1], 2, v[1:2]
	s_delay_alu instid0(VALU_DEP_1) | instskip(NEXT) | instid1(VALU_DEP_2)
	v_add_co_u32 v0, vcc_lo, v10, v0
	v_add_co_ci_u32_e32 v1, vcc_lo, v11, v1, vcc_lo
	global_store_b32 v[0:1], v53, off offset:-4
	s_nop 0
	s_sendmsg sendmsg(MSG_DEALLOC_VGPRS)
	s_endpgm
.LBB144_379:
	s_endpgm
.LBB144_380:
	s_trap 2
	s_sendmsg_rtn_b32 s0, sendmsg(MSG_RTN_GET_DOORBELL)
	s_mov_b32 ttmp2, m0
	s_waitcnt lgkmcnt(0)
	s_and_b32 s0, s0, 0x3ff
	s_delay_alu instid0(SALU_CYCLE_1) | instskip(NEXT) | instid1(SALU_CYCLE_1)
	s_bitset1_b32 s0, 10
	s_mov_b32 m0, s0
	s_sendmsg sendmsg(MSG_INTERRUPT)
	s_mov_b32 m0, ttmp2
.LBB144_381:                            ; =>This Inner Loop Header: Depth=1
	s_sethalt 5
	s_branch .LBB144_381
	.section	.rodata,"a",@progbits
	.p2align	6, 0x0
	.amdhsa_kernel _ZN7rocprim17ROCPRIM_400000_NS6detail17trampoline_kernelINS0_14default_configENS1_29reduce_by_key_config_selectorIffN6thrust23THRUST_200600_302600_NS4plusIfEEEEZZNS1_33reduce_by_key_impl_wrapped_configILNS1_25lookback_scan_determinismE1ES3_S9_NS6_6detail15normal_iteratorINS6_10device_ptrIfEEEESG_SG_SG_PmS8_22is_equal_div_10_reduceIfEEE10hipError_tPvRmT2_T3_mT4_T5_T6_T7_T8_P12ihipStream_tbENKUlT_T0_E_clISt17integral_constantIbLb1EES11_EEDaSW_SX_EUlSW_E_NS1_11comp_targetILNS1_3genE9ELNS1_11target_archE1100ELNS1_3gpuE3ELNS1_3repE0EEENS1_30default_config_static_selectorELNS0_4arch9wavefront6targetE0EEEvT1_
		.amdhsa_group_segment_fixed_size 15360
		.amdhsa_private_segment_fixed_size 48
		.amdhsa_kernarg_size 120
		.amdhsa_user_sgpr_count 15
		.amdhsa_user_sgpr_dispatch_ptr 0
		.amdhsa_user_sgpr_queue_ptr 0
		.amdhsa_user_sgpr_kernarg_segment_ptr 1
		.amdhsa_user_sgpr_dispatch_id 0
		.amdhsa_user_sgpr_private_segment_size 0
		.amdhsa_wavefront_size32 1
		.amdhsa_uses_dynamic_stack 0
		.amdhsa_enable_private_segment 1
		.amdhsa_system_sgpr_workgroup_id_x 1
		.amdhsa_system_sgpr_workgroup_id_y 0
		.amdhsa_system_sgpr_workgroup_id_z 0
		.amdhsa_system_sgpr_workgroup_info 0
		.amdhsa_system_vgpr_workitem_id 0
		.amdhsa_next_free_vgpr 85
		.amdhsa_next_free_sgpr 46
		.amdhsa_reserve_vcc 1
		.amdhsa_float_round_mode_32 0
		.amdhsa_float_round_mode_16_64 0
		.amdhsa_float_denorm_mode_32 3
		.amdhsa_float_denorm_mode_16_64 3
		.amdhsa_dx10_clamp 1
		.amdhsa_ieee_mode 1
		.amdhsa_fp16_overflow 0
		.amdhsa_workgroup_processor_mode 1
		.amdhsa_memory_ordered 1
		.amdhsa_forward_progress 0
		.amdhsa_shared_vgpr_count 0
		.amdhsa_exception_fp_ieee_invalid_op 0
		.amdhsa_exception_fp_denorm_src 0
		.amdhsa_exception_fp_ieee_div_zero 0
		.amdhsa_exception_fp_ieee_overflow 0
		.amdhsa_exception_fp_ieee_underflow 0
		.amdhsa_exception_fp_ieee_inexact 0
		.amdhsa_exception_int_div_zero 0
	.end_amdhsa_kernel
	.section	.text._ZN7rocprim17ROCPRIM_400000_NS6detail17trampoline_kernelINS0_14default_configENS1_29reduce_by_key_config_selectorIffN6thrust23THRUST_200600_302600_NS4plusIfEEEEZZNS1_33reduce_by_key_impl_wrapped_configILNS1_25lookback_scan_determinismE1ES3_S9_NS6_6detail15normal_iteratorINS6_10device_ptrIfEEEESG_SG_SG_PmS8_22is_equal_div_10_reduceIfEEE10hipError_tPvRmT2_T3_mT4_T5_T6_T7_T8_P12ihipStream_tbENKUlT_T0_E_clISt17integral_constantIbLb1EES11_EEDaSW_SX_EUlSW_E_NS1_11comp_targetILNS1_3genE9ELNS1_11target_archE1100ELNS1_3gpuE3ELNS1_3repE0EEENS1_30default_config_static_selectorELNS0_4arch9wavefront6targetE0EEEvT1_,"axG",@progbits,_ZN7rocprim17ROCPRIM_400000_NS6detail17trampoline_kernelINS0_14default_configENS1_29reduce_by_key_config_selectorIffN6thrust23THRUST_200600_302600_NS4plusIfEEEEZZNS1_33reduce_by_key_impl_wrapped_configILNS1_25lookback_scan_determinismE1ES3_S9_NS6_6detail15normal_iteratorINS6_10device_ptrIfEEEESG_SG_SG_PmS8_22is_equal_div_10_reduceIfEEE10hipError_tPvRmT2_T3_mT4_T5_T6_T7_T8_P12ihipStream_tbENKUlT_T0_E_clISt17integral_constantIbLb1EES11_EEDaSW_SX_EUlSW_E_NS1_11comp_targetILNS1_3genE9ELNS1_11target_archE1100ELNS1_3gpuE3ELNS1_3repE0EEENS1_30default_config_static_selectorELNS0_4arch9wavefront6targetE0EEEvT1_,comdat
.Lfunc_end144:
	.size	_ZN7rocprim17ROCPRIM_400000_NS6detail17trampoline_kernelINS0_14default_configENS1_29reduce_by_key_config_selectorIffN6thrust23THRUST_200600_302600_NS4plusIfEEEEZZNS1_33reduce_by_key_impl_wrapped_configILNS1_25lookback_scan_determinismE1ES3_S9_NS6_6detail15normal_iteratorINS6_10device_ptrIfEEEESG_SG_SG_PmS8_22is_equal_div_10_reduceIfEEE10hipError_tPvRmT2_T3_mT4_T5_T6_T7_T8_P12ihipStream_tbENKUlT_T0_E_clISt17integral_constantIbLb1EES11_EEDaSW_SX_EUlSW_E_NS1_11comp_targetILNS1_3genE9ELNS1_11target_archE1100ELNS1_3gpuE3ELNS1_3repE0EEENS1_30default_config_static_selectorELNS0_4arch9wavefront6targetE0EEEvT1_, .Lfunc_end144-_ZN7rocprim17ROCPRIM_400000_NS6detail17trampoline_kernelINS0_14default_configENS1_29reduce_by_key_config_selectorIffN6thrust23THRUST_200600_302600_NS4plusIfEEEEZZNS1_33reduce_by_key_impl_wrapped_configILNS1_25lookback_scan_determinismE1ES3_S9_NS6_6detail15normal_iteratorINS6_10device_ptrIfEEEESG_SG_SG_PmS8_22is_equal_div_10_reduceIfEEE10hipError_tPvRmT2_T3_mT4_T5_T6_T7_T8_P12ihipStream_tbENKUlT_T0_E_clISt17integral_constantIbLb1EES11_EEDaSW_SX_EUlSW_E_NS1_11comp_targetILNS1_3genE9ELNS1_11target_archE1100ELNS1_3gpuE3ELNS1_3repE0EEENS1_30default_config_static_selectorELNS0_4arch9wavefront6targetE0EEEvT1_
                                        ; -- End function
	.section	.AMDGPU.csdata,"",@progbits
; Kernel info:
; codeLenInByte = 22456
; NumSgprs: 48
; NumVgprs: 85
; ScratchSize: 48
; MemoryBound: 0
; FloatMode: 240
; IeeeMode: 1
; LDSByteSize: 15360 bytes/workgroup (compile time only)
; SGPRBlocks: 5
; VGPRBlocks: 10
; NumSGPRsForWavesPerEU: 48
; NumVGPRsForWavesPerEU: 85
; Occupancy: 16
; WaveLimiterHint : 1
; COMPUTE_PGM_RSRC2:SCRATCH_EN: 1
; COMPUTE_PGM_RSRC2:USER_SGPR: 15
; COMPUTE_PGM_RSRC2:TRAP_HANDLER: 0
; COMPUTE_PGM_RSRC2:TGID_X_EN: 1
; COMPUTE_PGM_RSRC2:TGID_Y_EN: 0
; COMPUTE_PGM_RSRC2:TGID_Z_EN: 0
; COMPUTE_PGM_RSRC2:TIDIG_COMP_CNT: 0
	.section	.text._ZN7rocprim17ROCPRIM_400000_NS6detail17trampoline_kernelINS0_14default_configENS1_29reduce_by_key_config_selectorIffN6thrust23THRUST_200600_302600_NS4plusIfEEEEZZNS1_33reduce_by_key_impl_wrapped_configILNS1_25lookback_scan_determinismE1ES3_S9_NS6_6detail15normal_iteratorINS6_10device_ptrIfEEEESG_SG_SG_PmS8_22is_equal_div_10_reduceIfEEE10hipError_tPvRmT2_T3_mT4_T5_T6_T7_T8_P12ihipStream_tbENKUlT_T0_E_clISt17integral_constantIbLb1EES11_EEDaSW_SX_EUlSW_E_NS1_11comp_targetILNS1_3genE8ELNS1_11target_archE1030ELNS1_3gpuE2ELNS1_3repE0EEENS1_30default_config_static_selectorELNS0_4arch9wavefront6targetE0EEEvT1_,"axG",@progbits,_ZN7rocprim17ROCPRIM_400000_NS6detail17trampoline_kernelINS0_14default_configENS1_29reduce_by_key_config_selectorIffN6thrust23THRUST_200600_302600_NS4plusIfEEEEZZNS1_33reduce_by_key_impl_wrapped_configILNS1_25lookback_scan_determinismE1ES3_S9_NS6_6detail15normal_iteratorINS6_10device_ptrIfEEEESG_SG_SG_PmS8_22is_equal_div_10_reduceIfEEE10hipError_tPvRmT2_T3_mT4_T5_T6_T7_T8_P12ihipStream_tbENKUlT_T0_E_clISt17integral_constantIbLb1EES11_EEDaSW_SX_EUlSW_E_NS1_11comp_targetILNS1_3genE8ELNS1_11target_archE1030ELNS1_3gpuE2ELNS1_3repE0EEENS1_30default_config_static_selectorELNS0_4arch9wavefront6targetE0EEEvT1_,comdat
	.protected	_ZN7rocprim17ROCPRIM_400000_NS6detail17trampoline_kernelINS0_14default_configENS1_29reduce_by_key_config_selectorIffN6thrust23THRUST_200600_302600_NS4plusIfEEEEZZNS1_33reduce_by_key_impl_wrapped_configILNS1_25lookback_scan_determinismE1ES3_S9_NS6_6detail15normal_iteratorINS6_10device_ptrIfEEEESG_SG_SG_PmS8_22is_equal_div_10_reduceIfEEE10hipError_tPvRmT2_T3_mT4_T5_T6_T7_T8_P12ihipStream_tbENKUlT_T0_E_clISt17integral_constantIbLb1EES11_EEDaSW_SX_EUlSW_E_NS1_11comp_targetILNS1_3genE8ELNS1_11target_archE1030ELNS1_3gpuE2ELNS1_3repE0EEENS1_30default_config_static_selectorELNS0_4arch9wavefront6targetE0EEEvT1_ ; -- Begin function _ZN7rocprim17ROCPRIM_400000_NS6detail17trampoline_kernelINS0_14default_configENS1_29reduce_by_key_config_selectorIffN6thrust23THRUST_200600_302600_NS4plusIfEEEEZZNS1_33reduce_by_key_impl_wrapped_configILNS1_25lookback_scan_determinismE1ES3_S9_NS6_6detail15normal_iteratorINS6_10device_ptrIfEEEESG_SG_SG_PmS8_22is_equal_div_10_reduceIfEEE10hipError_tPvRmT2_T3_mT4_T5_T6_T7_T8_P12ihipStream_tbENKUlT_T0_E_clISt17integral_constantIbLb1EES11_EEDaSW_SX_EUlSW_E_NS1_11comp_targetILNS1_3genE8ELNS1_11target_archE1030ELNS1_3gpuE2ELNS1_3repE0EEENS1_30default_config_static_selectorELNS0_4arch9wavefront6targetE0EEEvT1_
	.globl	_ZN7rocprim17ROCPRIM_400000_NS6detail17trampoline_kernelINS0_14default_configENS1_29reduce_by_key_config_selectorIffN6thrust23THRUST_200600_302600_NS4plusIfEEEEZZNS1_33reduce_by_key_impl_wrapped_configILNS1_25lookback_scan_determinismE1ES3_S9_NS6_6detail15normal_iteratorINS6_10device_ptrIfEEEESG_SG_SG_PmS8_22is_equal_div_10_reduceIfEEE10hipError_tPvRmT2_T3_mT4_T5_T6_T7_T8_P12ihipStream_tbENKUlT_T0_E_clISt17integral_constantIbLb1EES11_EEDaSW_SX_EUlSW_E_NS1_11comp_targetILNS1_3genE8ELNS1_11target_archE1030ELNS1_3gpuE2ELNS1_3repE0EEENS1_30default_config_static_selectorELNS0_4arch9wavefront6targetE0EEEvT1_
	.p2align	8
	.type	_ZN7rocprim17ROCPRIM_400000_NS6detail17trampoline_kernelINS0_14default_configENS1_29reduce_by_key_config_selectorIffN6thrust23THRUST_200600_302600_NS4plusIfEEEEZZNS1_33reduce_by_key_impl_wrapped_configILNS1_25lookback_scan_determinismE1ES3_S9_NS6_6detail15normal_iteratorINS6_10device_ptrIfEEEESG_SG_SG_PmS8_22is_equal_div_10_reduceIfEEE10hipError_tPvRmT2_T3_mT4_T5_T6_T7_T8_P12ihipStream_tbENKUlT_T0_E_clISt17integral_constantIbLb1EES11_EEDaSW_SX_EUlSW_E_NS1_11comp_targetILNS1_3genE8ELNS1_11target_archE1030ELNS1_3gpuE2ELNS1_3repE0EEENS1_30default_config_static_selectorELNS0_4arch9wavefront6targetE0EEEvT1_,@function
_ZN7rocprim17ROCPRIM_400000_NS6detail17trampoline_kernelINS0_14default_configENS1_29reduce_by_key_config_selectorIffN6thrust23THRUST_200600_302600_NS4plusIfEEEEZZNS1_33reduce_by_key_impl_wrapped_configILNS1_25lookback_scan_determinismE1ES3_S9_NS6_6detail15normal_iteratorINS6_10device_ptrIfEEEESG_SG_SG_PmS8_22is_equal_div_10_reduceIfEEE10hipError_tPvRmT2_T3_mT4_T5_T6_T7_T8_P12ihipStream_tbENKUlT_T0_E_clISt17integral_constantIbLb1EES11_EEDaSW_SX_EUlSW_E_NS1_11comp_targetILNS1_3genE8ELNS1_11target_archE1030ELNS1_3gpuE2ELNS1_3repE0EEENS1_30default_config_static_selectorELNS0_4arch9wavefront6targetE0EEEvT1_: ; @_ZN7rocprim17ROCPRIM_400000_NS6detail17trampoline_kernelINS0_14default_configENS1_29reduce_by_key_config_selectorIffN6thrust23THRUST_200600_302600_NS4plusIfEEEEZZNS1_33reduce_by_key_impl_wrapped_configILNS1_25lookback_scan_determinismE1ES3_S9_NS6_6detail15normal_iteratorINS6_10device_ptrIfEEEESG_SG_SG_PmS8_22is_equal_div_10_reduceIfEEE10hipError_tPvRmT2_T3_mT4_T5_T6_T7_T8_P12ihipStream_tbENKUlT_T0_E_clISt17integral_constantIbLb1EES11_EEDaSW_SX_EUlSW_E_NS1_11comp_targetILNS1_3genE8ELNS1_11target_archE1030ELNS1_3gpuE2ELNS1_3repE0EEENS1_30default_config_static_selectorELNS0_4arch9wavefront6targetE0EEEvT1_
; %bb.0:
	.section	.rodata,"a",@progbits
	.p2align	6, 0x0
	.amdhsa_kernel _ZN7rocprim17ROCPRIM_400000_NS6detail17trampoline_kernelINS0_14default_configENS1_29reduce_by_key_config_selectorIffN6thrust23THRUST_200600_302600_NS4plusIfEEEEZZNS1_33reduce_by_key_impl_wrapped_configILNS1_25lookback_scan_determinismE1ES3_S9_NS6_6detail15normal_iteratorINS6_10device_ptrIfEEEESG_SG_SG_PmS8_22is_equal_div_10_reduceIfEEE10hipError_tPvRmT2_T3_mT4_T5_T6_T7_T8_P12ihipStream_tbENKUlT_T0_E_clISt17integral_constantIbLb1EES11_EEDaSW_SX_EUlSW_E_NS1_11comp_targetILNS1_3genE8ELNS1_11target_archE1030ELNS1_3gpuE2ELNS1_3repE0EEENS1_30default_config_static_selectorELNS0_4arch9wavefront6targetE0EEEvT1_
		.amdhsa_group_segment_fixed_size 0
		.amdhsa_private_segment_fixed_size 0
		.amdhsa_kernarg_size 120
		.amdhsa_user_sgpr_count 15
		.amdhsa_user_sgpr_dispatch_ptr 0
		.amdhsa_user_sgpr_queue_ptr 0
		.amdhsa_user_sgpr_kernarg_segment_ptr 1
		.amdhsa_user_sgpr_dispatch_id 0
		.amdhsa_user_sgpr_private_segment_size 0
		.amdhsa_wavefront_size32 1
		.amdhsa_uses_dynamic_stack 0
		.amdhsa_enable_private_segment 0
		.amdhsa_system_sgpr_workgroup_id_x 1
		.amdhsa_system_sgpr_workgroup_id_y 0
		.amdhsa_system_sgpr_workgroup_id_z 0
		.amdhsa_system_sgpr_workgroup_info 0
		.amdhsa_system_vgpr_workitem_id 0
		.amdhsa_next_free_vgpr 1
		.amdhsa_next_free_sgpr 1
		.amdhsa_reserve_vcc 0
		.amdhsa_float_round_mode_32 0
		.amdhsa_float_round_mode_16_64 0
		.amdhsa_float_denorm_mode_32 3
		.amdhsa_float_denorm_mode_16_64 3
		.amdhsa_dx10_clamp 1
		.amdhsa_ieee_mode 1
		.amdhsa_fp16_overflow 0
		.amdhsa_workgroup_processor_mode 1
		.amdhsa_memory_ordered 1
		.amdhsa_forward_progress 0
		.amdhsa_shared_vgpr_count 0
		.amdhsa_exception_fp_ieee_invalid_op 0
		.amdhsa_exception_fp_denorm_src 0
		.amdhsa_exception_fp_ieee_div_zero 0
		.amdhsa_exception_fp_ieee_overflow 0
		.amdhsa_exception_fp_ieee_underflow 0
		.amdhsa_exception_fp_ieee_inexact 0
		.amdhsa_exception_int_div_zero 0
	.end_amdhsa_kernel
	.section	.text._ZN7rocprim17ROCPRIM_400000_NS6detail17trampoline_kernelINS0_14default_configENS1_29reduce_by_key_config_selectorIffN6thrust23THRUST_200600_302600_NS4plusIfEEEEZZNS1_33reduce_by_key_impl_wrapped_configILNS1_25lookback_scan_determinismE1ES3_S9_NS6_6detail15normal_iteratorINS6_10device_ptrIfEEEESG_SG_SG_PmS8_22is_equal_div_10_reduceIfEEE10hipError_tPvRmT2_T3_mT4_T5_T6_T7_T8_P12ihipStream_tbENKUlT_T0_E_clISt17integral_constantIbLb1EES11_EEDaSW_SX_EUlSW_E_NS1_11comp_targetILNS1_3genE8ELNS1_11target_archE1030ELNS1_3gpuE2ELNS1_3repE0EEENS1_30default_config_static_selectorELNS0_4arch9wavefront6targetE0EEEvT1_,"axG",@progbits,_ZN7rocprim17ROCPRIM_400000_NS6detail17trampoline_kernelINS0_14default_configENS1_29reduce_by_key_config_selectorIffN6thrust23THRUST_200600_302600_NS4plusIfEEEEZZNS1_33reduce_by_key_impl_wrapped_configILNS1_25lookback_scan_determinismE1ES3_S9_NS6_6detail15normal_iteratorINS6_10device_ptrIfEEEESG_SG_SG_PmS8_22is_equal_div_10_reduceIfEEE10hipError_tPvRmT2_T3_mT4_T5_T6_T7_T8_P12ihipStream_tbENKUlT_T0_E_clISt17integral_constantIbLb1EES11_EEDaSW_SX_EUlSW_E_NS1_11comp_targetILNS1_3genE8ELNS1_11target_archE1030ELNS1_3gpuE2ELNS1_3repE0EEENS1_30default_config_static_selectorELNS0_4arch9wavefront6targetE0EEEvT1_,comdat
.Lfunc_end145:
	.size	_ZN7rocprim17ROCPRIM_400000_NS6detail17trampoline_kernelINS0_14default_configENS1_29reduce_by_key_config_selectorIffN6thrust23THRUST_200600_302600_NS4plusIfEEEEZZNS1_33reduce_by_key_impl_wrapped_configILNS1_25lookback_scan_determinismE1ES3_S9_NS6_6detail15normal_iteratorINS6_10device_ptrIfEEEESG_SG_SG_PmS8_22is_equal_div_10_reduceIfEEE10hipError_tPvRmT2_T3_mT4_T5_T6_T7_T8_P12ihipStream_tbENKUlT_T0_E_clISt17integral_constantIbLb1EES11_EEDaSW_SX_EUlSW_E_NS1_11comp_targetILNS1_3genE8ELNS1_11target_archE1030ELNS1_3gpuE2ELNS1_3repE0EEENS1_30default_config_static_selectorELNS0_4arch9wavefront6targetE0EEEvT1_, .Lfunc_end145-_ZN7rocprim17ROCPRIM_400000_NS6detail17trampoline_kernelINS0_14default_configENS1_29reduce_by_key_config_selectorIffN6thrust23THRUST_200600_302600_NS4plusIfEEEEZZNS1_33reduce_by_key_impl_wrapped_configILNS1_25lookback_scan_determinismE1ES3_S9_NS6_6detail15normal_iteratorINS6_10device_ptrIfEEEESG_SG_SG_PmS8_22is_equal_div_10_reduceIfEEE10hipError_tPvRmT2_T3_mT4_T5_T6_T7_T8_P12ihipStream_tbENKUlT_T0_E_clISt17integral_constantIbLb1EES11_EEDaSW_SX_EUlSW_E_NS1_11comp_targetILNS1_3genE8ELNS1_11target_archE1030ELNS1_3gpuE2ELNS1_3repE0EEENS1_30default_config_static_selectorELNS0_4arch9wavefront6targetE0EEEvT1_
                                        ; -- End function
	.section	.AMDGPU.csdata,"",@progbits
; Kernel info:
; codeLenInByte = 0
; NumSgprs: 0
; NumVgprs: 0
; ScratchSize: 0
; MemoryBound: 0
; FloatMode: 240
; IeeeMode: 1
; LDSByteSize: 0 bytes/workgroup (compile time only)
; SGPRBlocks: 0
; VGPRBlocks: 0
; NumSGPRsForWavesPerEU: 1
; NumVGPRsForWavesPerEU: 1
; Occupancy: 16
; WaveLimiterHint : 0
; COMPUTE_PGM_RSRC2:SCRATCH_EN: 0
; COMPUTE_PGM_RSRC2:USER_SGPR: 15
; COMPUTE_PGM_RSRC2:TRAP_HANDLER: 0
; COMPUTE_PGM_RSRC2:TGID_X_EN: 1
; COMPUTE_PGM_RSRC2:TGID_Y_EN: 0
; COMPUTE_PGM_RSRC2:TGID_Z_EN: 0
; COMPUTE_PGM_RSRC2:TIDIG_COMP_CNT: 0
	.section	.text._ZN7rocprim17ROCPRIM_400000_NS6detail17trampoline_kernelINS0_14default_configENS1_29reduce_by_key_config_selectorIffN6thrust23THRUST_200600_302600_NS4plusIfEEEEZZNS1_33reduce_by_key_impl_wrapped_configILNS1_25lookback_scan_determinismE1ES3_S9_NS6_6detail15normal_iteratorINS6_10device_ptrIfEEEESG_SG_SG_PmS8_22is_equal_div_10_reduceIfEEE10hipError_tPvRmT2_T3_mT4_T5_T6_T7_T8_P12ihipStream_tbENKUlT_T0_E_clISt17integral_constantIbLb1EES10_IbLb0EEEEDaSW_SX_EUlSW_E_NS1_11comp_targetILNS1_3genE0ELNS1_11target_archE4294967295ELNS1_3gpuE0ELNS1_3repE0EEENS1_30default_config_static_selectorELNS0_4arch9wavefront6targetE0EEEvT1_,"axG",@progbits,_ZN7rocprim17ROCPRIM_400000_NS6detail17trampoline_kernelINS0_14default_configENS1_29reduce_by_key_config_selectorIffN6thrust23THRUST_200600_302600_NS4plusIfEEEEZZNS1_33reduce_by_key_impl_wrapped_configILNS1_25lookback_scan_determinismE1ES3_S9_NS6_6detail15normal_iteratorINS6_10device_ptrIfEEEESG_SG_SG_PmS8_22is_equal_div_10_reduceIfEEE10hipError_tPvRmT2_T3_mT4_T5_T6_T7_T8_P12ihipStream_tbENKUlT_T0_E_clISt17integral_constantIbLb1EES10_IbLb0EEEEDaSW_SX_EUlSW_E_NS1_11comp_targetILNS1_3genE0ELNS1_11target_archE4294967295ELNS1_3gpuE0ELNS1_3repE0EEENS1_30default_config_static_selectorELNS0_4arch9wavefront6targetE0EEEvT1_,comdat
	.protected	_ZN7rocprim17ROCPRIM_400000_NS6detail17trampoline_kernelINS0_14default_configENS1_29reduce_by_key_config_selectorIffN6thrust23THRUST_200600_302600_NS4plusIfEEEEZZNS1_33reduce_by_key_impl_wrapped_configILNS1_25lookback_scan_determinismE1ES3_S9_NS6_6detail15normal_iteratorINS6_10device_ptrIfEEEESG_SG_SG_PmS8_22is_equal_div_10_reduceIfEEE10hipError_tPvRmT2_T3_mT4_T5_T6_T7_T8_P12ihipStream_tbENKUlT_T0_E_clISt17integral_constantIbLb1EES10_IbLb0EEEEDaSW_SX_EUlSW_E_NS1_11comp_targetILNS1_3genE0ELNS1_11target_archE4294967295ELNS1_3gpuE0ELNS1_3repE0EEENS1_30default_config_static_selectorELNS0_4arch9wavefront6targetE0EEEvT1_ ; -- Begin function _ZN7rocprim17ROCPRIM_400000_NS6detail17trampoline_kernelINS0_14default_configENS1_29reduce_by_key_config_selectorIffN6thrust23THRUST_200600_302600_NS4plusIfEEEEZZNS1_33reduce_by_key_impl_wrapped_configILNS1_25lookback_scan_determinismE1ES3_S9_NS6_6detail15normal_iteratorINS6_10device_ptrIfEEEESG_SG_SG_PmS8_22is_equal_div_10_reduceIfEEE10hipError_tPvRmT2_T3_mT4_T5_T6_T7_T8_P12ihipStream_tbENKUlT_T0_E_clISt17integral_constantIbLb1EES10_IbLb0EEEEDaSW_SX_EUlSW_E_NS1_11comp_targetILNS1_3genE0ELNS1_11target_archE4294967295ELNS1_3gpuE0ELNS1_3repE0EEENS1_30default_config_static_selectorELNS0_4arch9wavefront6targetE0EEEvT1_
	.globl	_ZN7rocprim17ROCPRIM_400000_NS6detail17trampoline_kernelINS0_14default_configENS1_29reduce_by_key_config_selectorIffN6thrust23THRUST_200600_302600_NS4plusIfEEEEZZNS1_33reduce_by_key_impl_wrapped_configILNS1_25lookback_scan_determinismE1ES3_S9_NS6_6detail15normal_iteratorINS6_10device_ptrIfEEEESG_SG_SG_PmS8_22is_equal_div_10_reduceIfEEE10hipError_tPvRmT2_T3_mT4_T5_T6_T7_T8_P12ihipStream_tbENKUlT_T0_E_clISt17integral_constantIbLb1EES10_IbLb0EEEEDaSW_SX_EUlSW_E_NS1_11comp_targetILNS1_3genE0ELNS1_11target_archE4294967295ELNS1_3gpuE0ELNS1_3repE0EEENS1_30default_config_static_selectorELNS0_4arch9wavefront6targetE0EEEvT1_
	.p2align	8
	.type	_ZN7rocprim17ROCPRIM_400000_NS6detail17trampoline_kernelINS0_14default_configENS1_29reduce_by_key_config_selectorIffN6thrust23THRUST_200600_302600_NS4plusIfEEEEZZNS1_33reduce_by_key_impl_wrapped_configILNS1_25lookback_scan_determinismE1ES3_S9_NS6_6detail15normal_iteratorINS6_10device_ptrIfEEEESG_SG_SG_PmS8_22is_equal_div_10_reduceIfEEE10hipError_tPvRmT2_T3_mT4_T5_T6_T7_T8_P12ihipStream_tbENKUlT_T0_E_clISt17integral_constantIbLb1EES10_IbLb0EEEEDaSW_SX_EUlSW_E_NS1_11comp_targetILNS1_3genE0ELNS1_11target_archE4294967295ELNS1_3gpuE0ELNS1_3repE0EEENS1_30default_config_static_selectorELNS0_4arch9wavefront6targetE0EEEvT1_,@function
_ZN7rocprim17ROCPRIM_400000_NS6detail17trampoline_kernelINS0_14default_configENS1_29reduce_by_key_config_selectorIffN6thrust23THRUST_200600_302600_NS4plusIfEEEEZZNS1_33reduce_by_key_impl_wrapped_configILNS1_25lookback_scan_determinismE1ES3_S9_NS6_6detail15normal_iteratorINS6_10device_ptrIfEEEESG_SG_SG_PmS8_22is_equal_div_10_reduceIfEEE10hipError_tPvRmT2_T3_mT4_T5_T6_T7_T8_P12ihipStream_tbENKUlT_T0_E_clISt17integral_constantIbLb1EES10_IbLb0EEEEDaSW_SX_EUlSW_E_NS1_11comp_targetILNS1_3genE0ELNS1_11target_archE4294967295ELNS1_3gpuE0ELNS1_3repE0EEENS1_30default_config_static_selectorELNS0_4arch9wavefront6targetE0EEEvT1_: ; @_ZN7rocprim17ROCPRIM_400000_NS6detail17trampoline_kernelINS0_14default_configENS1_29reduce_by_key_config_selectorIffN6thrust23THRUST_200600_302600_NS4plusIfEEEEZZNS1_33reduce_by_key_impl_wrapped_configILNS1_25lookback_scan_determinismE1ES3_S9_NS6_6detail15normal_iteratorINS6_10device_ptrIfEEEESG_SG_SG_PmS8_22is_equal_div_10_reduceIfEEE10hipError_tPvRmT2_T3_mT4_T5_T6_T7_T8_P12ihipStream_tbENKUlT_T0_E_clISt17integral_constantIbLb1EES10_IbLb0EEEEDaSW_SX_EUlSW_E_NS1_11comp_targetILNS1_3genE0ELNS1_11target_archE4294967295ELNS1_3gpuE0ELNS1_3repE0EEENS1_30default_config_static_selectorELNS0_4arch9wavefront6targetE0EEEvT1_
; %bb.0:
	.section	.rodata,"a",@progbits
	.p2align	6, 0x0
	.amdhsa_kernel _ZN7rocprim17ROCPRIM_400000_NS6detail17trampoline_kernelINS0_14default_configENS1_29reduce_by_key_config_selectorIffN6thrust23THRUST_200600_302600_NS4plusIfEEEEZZNS1_33reduce_by_key_impl_wrapped_configILNS1_25lookback_scan_determinismE1ES3_S9_NS6_6detail15normal_iteratorINS6_10device_ptrIfEEEESG_SG_SG_PmS8_22is_equal_div_10_reduceIfEEE10hipError_tPvRmT2_T3_mT4_T5_T6_T7_T8_P12ihipStream_tbENKUlT_T0_E_clISt17integral_constantIbLb1EES10_IbLb0EEEEDaSW_SX_EUlSW_E_NS1_11comp_targetILNS1_3genE0ELNS1_11target_archE4294967295ELNS1_3gpuE0ELNS1_3repE0EEENS1_30default_config_static_selectorELNS0_4arch9wavefront6targetE0EEEvT1_
		.amdhsa_group_segment_fixed_size 0
		.amdhsa_private_segment_fixed_size 0
		.amdhsa_kernarg_size 120
		.amdhsa_user_sgpr_count 15
		.amdhsa_user_sgpr_dispatch_ptr 0
		.amdhsa_user_sgpr_queue_ptr 0
		.amdhsa_user_sgpr_kernarg_segment_ptr 1
		.amdhsa_user_sgpr_dispatch_id 0
		.amdhsa_user_sgpr_private_segment_size 0
		.amdhsa_wavefront_size32 1
		.amdhsa_uses_dynamic_stack 0
		.amdhsa_enable_private_segment 0
		.amdhsa_system_sgpr_workgroup_id_x 1
		.amdhsa_system_sgpr_workgroup_id_y 0
		.amdhsa_system_sgpr_workgroup_id_z 0
		.amdhsa_system_sgpr_workgroup_info 0
		.amdhsa_system_vgpr_workitem_id 0
		.amdhsa_next_free_vgpr 1
		.amdhsa_next_free_sgpr 1
		.amdhsa_reserve_vcc 0
		.amdhsa_float_round_mode_32 0
		.amdhsa_float_round_mode_16_64 0
		.amdhsa_float_denorm_mode_32 3
		.amdhsa_float_denorm_mode_16_64 3
		.amdhsa_dx10_clamp 1
		.amdhsa_ieee_mode 1
		.amdhsa_fp16_overflow 0
		.amdhsa_workgroup_processor_mode 1
		.amdhsa_memory_ordered 1
		.amdhsa_forward_progress 0
		.amdhsa_shared_vgpr_count 0
		.amdhsa_exception_fp_ieee_invalid_op 0
		.amdhsa_exception_fp_denorm_src 0
		.amdhsa_exception_fp_ieee_div_zero 0
		.amdhsa_exception_fp_ieee_overflow 0
		.amdhsa_exception_fp_ieee_underflow 0
		.amdhsa_exception_fp_ieee_inexact 0
		.amdhsa_exception_int_div_zero 0
	.end_amdhsa_kernel
	.section	.text._ZN7rocprim17ROCPRIM_400000_NS6detail17trampoline_kernelINS0_14default_configENS1_29reduce_by_key_config_selectorIffN6thrust23THRUST_200600_302600_NS4plusIfEEEEZZNS1_33reduce_by_key_impl_wrapped_configILNS1_25lookback_scan_determinismE1ES3_S9_NS6_6detail15normal_iteratorINS6_10device_ptrIfEEEESG_SG_SG_PmS8_22is_equal_div_10_reduceIfEEE10hipError_tPvRmT2_T3_mT4_T5_T6_T7_T8_P12ihipStream_tbENKUlT_T0_E_clISt17integral_constantIbLb1EES10_IbLb0EEEEDaSW_SX_EUlSW_E_NS1_11comp_targetILNS1_3genE0ELNS1_11target_archE4294967295ELNS1_3gpuE0ELNS1_3repE0EEENS1_30default_config_static_selectorELNS0_4arch9wavefront6targetE0EEEvT1_,"axG",@progbits,_ZN7rocprim17ROCPRIM_400000_NS6detail17trampoline_kernelINS0_14default_configENS1_29reduce_by_key_config_selectorIffN6thrust23THRUST_200600_302600_NS4plusIfEEEEZZNS1_33reduce_by_key_impl_wrapped_configILNS1_25lookback_scan_determinismE1ES3_S9_NS6_6detail15normal_iteratorINS6_10device_ptrIfEEEESG_SG_SG_PmS8_22is_equal_div_10_reduceIfEEE10hipError_tPvRmT2_T3_mT4_T5_T6_T7_T8_P12ihipStream_tbENKUlT_T0_E_clISt17integral_constantIbLb1EES10_IbLb0EEEEDaSW_SX_EUlSW_E_NS1_11comp_targetILNS1_3genE0ELNS1_11target_archE4294967295ELNS1_3gpuE0ELNS1_3repE0EEENS1_30default_config_static_selectorELNS0_4arch9wavefront6targetE0EEEvT1_,comdat
.Lfunc_end146:
	.size	_ZN7rocprim17ROCPRIM_400000_NS6detail17trampoline_kernelINS0_14default_configENS1_29reduce_by_key_config_selectorIffN6thrust23THRUST_200600_302600_NS4plusIfEEEEZZNS1_33reduce_by_key_impl_wrapped_configILNS1_25lookback_scan_determinismE1ES3_S9_NS6_6detail15normal_iteratorINS6_10device_ptrIfEEEESG_SG_SG_PmS8_22is_equal_div_10_reduceIfEEE10hipError_tPvRmT2_T3_mT4_T5_T6_T7_T8_P12ihipStream_tbENKUlT_T0_E_clISt17integral_constantIbLb1EES10_IbLb0EEEEDaSW_SX_EUlSW_E_NS1_11comp_targetILNS1_3genE0ELNS1_11target_archE4294967295ELNS1_3gpuE0ELNS1_3repE0EEENS1_30default_config_static_selectorELNS0_4arch9wavefront6targetE0EEEvT1_, .Lfunc_end146-_ZN7rocprim17ROCPRIM_400000_NS6detail17trampoline_kernelINS0_14default_configENS1_29reduce_by_key_config_selectorIffN6thrust23THRUST_200600_302600_NS4plusIfEEEEZZNS1_33reduce_by_key_impl_wrapped_configILNS1_25lookback_scan_determinismE1ES3_S9_NS6_6detail15normal_iteratorINS6_10device_ptrIfEEEESG_SG_SG_PmS8_22is_equal_div_10_reduceIfEEE10hipError_tPvRmT2_T3_mT4_T5_T6_T7_T8_P12ihipStream_tbENKUlT_T0_E_clISt17integral_constantIbLb1EES10_IbLb0EEEEDaSW_SX_EUlSW_E_NS1_11comp_targetILNS1_3genE0ELNS1_11target_archE4294967295ELNS1_3gpuE0ELNS1_3repE0EEENS1_30default_config_static_selectorELNS0_4arch9wavefront6targetE0EEEvT1_
                                        ; -- End function
	.section	.AMDGPU.csdata,"",@progbits
; Kernel info:
; codeLenInByte = 0
; NumSgprs: 0
; NumVgprs: 0
; ScratchSize: 0
; MemoryBound: 0
; FloatMode: 240
; IeeeMode: 1
; LDSByteSize: 0 bytes/workgroup (compile time only)
; SGPRBlocks: 0
; VGPRBlocks: 0
; NumSGPRsForWavesPerEU: 1
; NumVGPRsForWavesPerEU: 1
; Occupancy: 16
; WaveLimiterHint : 0
; COMPUTE_PGM_RSRC2:SCRATCH_EN: 0
; COMPUTE_PGM_RSRC2:USER_SGPR: 15
; COMPUTE_PGM_RSRC2:TRAP_HANDLER: 0
; COMPUTE_PGM_RSRC2:TGID_X_EN: 1
; COMPUTE_PGM_RSRC2:TGID_Y_EN: 0
; COMPUTE_PGM_RSRC2:TGID_Z_EN: 0
; COMPUTE_PGM_RSRC2:TIDIG_COMP_CNT: 0
	.section	.text._ZN7rocprim17ROCPRIM_400000_NS6detail17trampoline_kernelINS0_14default_configENS1_29reduce_by_key_config_selectorIffN6thrust23THRUST_200600_302600_NS4plusIfEEEEZZNS1_33reduce_by_key_impl_wrapped_configILNS1_25lookback_scan_determinismE1ES3_S9_NS6_6detail15normal_iteratorINS6_10device_ptrIfEEEESG_SG_SG_PmS8_22is_equal_div_10_reduceIfEEE10hipError_tPvRmT2_T3_mT4_T5_T6_T7_T8_P12ihipStream_tbENKUlT_T0_E_clISt17integral_constantIbLb1EES10_IbLb0EEEEDaSW_SX_EUlSW_E_NS1_11comp_targetILNS1_3genE5ELNS1_11target_archE942ELNS1_3gpuE9ELNS1_3repE0EEENS1_30default_config_static_selectorELNS0_4arch9wavefront6targetE0EEEvT1_,"axG",@progbits,_ZN7rocprim17ROCPRIM_400000_NS6detail17trampoline_kernelINS0_14default_configENS1_29reduce_by_key_config_selectorIffN6thrust23THRUST_200600_302600_NS4plusIfEEEEZZNS1_33reduce_by_key_impl_wrapped_configILNS1_25lookback_scan_determinismE1ES3_S9_NS6_6detail15normal_iteratorINS6_10device_ptrIfEEEESG_SG_SG_PmS8_22is_equal_div_10_reduceIfEEE10hipError_tPvRmT2_T3_mT4_T5_T6_T7_T8_P12ihipStream_tbENKUlT_T0_E_clISt17integral_constantIbLb1EES10_IbLb0EEEEDaSW_SX_EUlSW_E_NS1_11comp_targetILNS1_3genE5ELNS1_11target_archE942ELNS1_3gpuE9ELNS1_3repE0EEENS1_30default_config_static_selectorELNS0_4arch9wavefront6targetE0EEEvT1_,comdat
	.protected	_ZN7rocprim17ROCPRIM_400000_NS6detail17trampoline_kernelINS0_14default_configENS1_29reduce_by_key_config_selectorIffN6thrust23THRUST_200600_302600_NS4plusIfEEEEZZNS1_33reduce_by_key_impl_wrapped_configILNS1_25lookback_scan_determinismE1ES3_S9_NS6_6detail15normal_iteratorINS6_10device_ptrIfEEEESG_SG_SG_PmS8_22is_equal_div_10_reduceIfEEE10hipError_tPvRmT2_T3_mT4_T5_T6_T7_T8_P12ihipStream_tbENKUlT_T0_E_clISt17integral_constantIbLb1EES10_IbLb0EEEEDaSW_SX_EUlSW_E_NS1_11comp_targetILNS1_3genE5ELNS1_11target_archE942ELNS1_3gpuE9ELNS1_3repE0EEENS1_30default_config_static_selectorELNS0_4arch9wavefront6targetE0EEEvT1_ ; -- Begin function _ZN7rocprim17ROCPRIM_400000_NS6detail17trampoline_kernelINS0_14default_configENS1_29reduce_by_key_config_selectorIffN6thrust23THRUST_200600_302600_NS4plusIfEEEEZZNS1_33reduce_by_key_impl_wrapped_configILNS1_25lookback_scan_determinismE1ES3_S9_NS6_6detail15normal_iteratorINS6_10device_ptrIfEEEESG_SG_SG_PmS8_22is_equal_div_10_reduceIfEEE10hipError_tPvRmT2_T3_mT4_T5_T6_T7_T8_P12ihipStream_tbENKUlT_T0_E_clISt17integral_constantIbLb1EES10_IbLb0EEEEDaSW_SX_EUlSW_E_NS1_11comp_targetILNS1_3genE5ELNS1_11target_archE942ELNS1_3gpuE9ELNS1_3repE0EEENS1_30default_config_static_selectorELNS0_4arch9wavefront6targetE0EEEvT1_
	.globl	_ZN7rocprim17ROCPRIM_400000_NS6detail17trampoline_kernelINS0_14default_configENS1_29reduce_by_key_config_selectorIffN6thrust23THRUST_200600_302600_NS4plusIfEEEEZZNS1_33reduce_by_key_impl_wrapped_configILNS1_25lookback_scan_determinismE1ES3_S9_NS6_6detail15normal_iteratorINS6_10device_ptrIfEEEESG_SG_SG_PmS8_22is_equal_div_10_reduceIfEEE10hipError_tPvRmT2_T3_mT4_T5_T6_T7_T8_P12ihipStream_tbENKUlT_T0_E_clISt17integral_constantIbLb1EES10_IbLb0EEEEDaSW_SX_EUlSW_E_NS1_11comp_targetILNS1_3genE5ELNS1_11target_archE942ELNS1_3gpuE9ELNS1_3repE0EEENS1_30default_config_static_selectorELNS0_4arch9wavefront6targetE0EEEvT1_
	.p2align	8
	.type	_ZN7rocprim17ROCPRIM_400000_NS6detail17trampoline_kernelINS0_14default_configENS1_29reduce_by_key_config_selectorIffN6thrust23THRUST_200600_302600_NS4plusIfEEEEZZNS1_33reduce_by_key_impl_wrapped_configILNS1_25lookback_scan_determinismE1ES3_S9_NS6_6detail15normal_iteratorINS6_10device_ptrIfEEEESG_SG_SG_PmS8_22is_equal_div_10_reduceIfEEE10hipError_tPvRmT2_T3_mT4_T5_T6_T7_T8_P12ihipStream_tbENKUlT_T0_E_clISt17integral_constantIbLb1EES10_IbLb0EEEEDaSW_SX_EUlSW_E_NS1_11comp_targetILNS1_3genE5ELNS1_11target_archE942ELNS1_3gpuE9ELNS1_3repE0EEENS1_30default_config_static_selectorELNS0_4arch9wavefront6targetE0EEEvT1_,@function
_ZN7rocprim17ROCPRIM_400000_NS6detail17trampoline_kernelINS0_14default_configENS1_29reduce_by_key_config_selectorIffN6thrust23THRUST_200600_302600_NS4plusIfEEEEZZNS1_33reduce_by_key_impl_wrapped_configILNS1_25lookback_scan_determinismE1ES3_S9_NS6_6detail15normal_iteratorINS6_10device_ptrIfEEEESG_SG_SG_PmS8_22is_equal_div_10_reduceIfEEE10hipError_tPvRmT2_T3_mT4_T5_T6_T7_T8_P12ihipStream_tbENKUlT_T0_E_clISt17integral_constantIbLb1EES10_IbLb0EEEEDaSW_SX_EUlSW_E_NS1_11comp_targetILNS1_3genE5ELNS1_11target_archE942ELNS1_3gpuE9ELNS1_3repE0EEENS1_30default_config_static_selectorELNS0_4arch9wavefront6targetE0EEEvT1_: ; @_ZN7rocprim17ROCPRIM_400000_NS6detail17trampoline_kernelINS0_14default_configENS1_29reduce_by_key_config_selectorIffN6thrust23THRUST_200600_302600_NS4plusIfEEEEZZNS1_33reduce_by_key_impl_wrapped_configILNS1_25lookback_scan_determinismE1ES3_S9_NS6_6detail15normal_iteratorINS6_10device_ptrIfEEEESG_SG_SG_PmS8_22is_equal_div_10_reduceIfEEE10hipError_tPvRmT2_T3_mT4_T5_T6_T7_T8_P12ihipStream_tbENKUlT_T0_E_clISt17integral_constantIbLb1EES10_IbLb0EEEEDaSW_SX_EUlSW_E_NS1_11comp_targetILNS1_3genE5ELNS1_11target_archE942ELNS1_3gpuE9ELNS1_3repE0EEENS1_30default_config_static_selectorELNS0_4arch9wavefront6targetE0EEEvT1_
; %bb.0:
	.section	.rodata,"a",@progbits
	.p2align	6, 0x0
	.amdhsa_kernel _ZN7rocprim17ROCPRIM_400000_NS6detail17trampoline_kernelINS0_14default_configENS1_29reduce_by_key_config_selectorIffN6thrust23THRUST_200600_302600_NS4plusIfEEEEZZNS1_33reduce_by_key_impl_wrapped_configILNS1_25lookback_scan_determinismE1ES3_S9_NS6_6detail15normal_iteratorINS6_10device_ptrIfEEEESG_SG_SG_PmS8_22is_equal_div_10_reduceIfEEE10hipError_tPvRmT2_T3_mT4_T5_T6_T7_T8_P12ihipStream_tbENKUlT_T0_E_clISt17integral_constantIbLb1EES10_IbLb0EEEEDaSW_SX_EUlSW_E_NS1_11comp_targetILNS1_3genE5ELNS1_11target_archE942ELNS1_3gpuE9ELNS1_3repE0EEENS1_30default_config_static_selectorELNS0_4arch9wavefront6targetE0EEEvT1_
		.amdhsa_group_segment_fixed_size 0
		.amdhsa_private_segment_fixed_size 0
		.amdhsa_kernarg_size 120
		.amdhsa_user_sgpr_count 15
		.amdhsa_user_sgpr_dispatch_ptr 0
		.amdhsa_user_sgpr_queue_ptr 0
		.amdhsa_user_sgpr_kernarg_segment_ptr 1
		.amdhsa_user_sgpr_dispatch_id 0
		.amdhsa_user_sgpr_private_segment_size 0
		.amdhsa_wavefront_size32 1
		.amdhsa_uses_dynamic_stack 0
		.amdhsa_enable_private_segment 0
		.amdhsa_system_sgpr_workgroup_id_x 1
		.amdhsa_system_sgpr_workgroup_id_y 0
		.amdhsa_system_sgpr_workgroup_id_z 0
		.amdhsa_system_sgpr_workgroup_info 0
		.amdhsa_system_vgpr_workitem_id 0
		.amdhsa_next_free_vgpr 1
		.amdhsa_next_free_sgpr 1
		.amdhsa_reserve_vcc 0
		.amdhsa_float_round_mode_32 0
		.amdhsa_float_round_mode_16_64 0
		.amdhsa_float_denorm_mode_32 3
		.amdhsa_float_denorm_mode_16_64 3
		.amdhsa_dx10_clamp 1
		.amdhsa_ieee_mode 1
		.amdhsa_fp16_overflow 0
		.amdhsa_workgroup_processor_mode 1
		.amdhsa_memory_ordered 1
		.amdhsa_forward_progress 0
		.amdhsa_shared_vgpr_count 0
		.amdhsa_exception_fp_ieee_invalid_op 0
		.amdhsa_exception_fp_denorm_src 0
		.amdhsa_exception_fp_ieee_div_zero 0
		.amdhsa_exception_fp_ieee_overflow 0
		.amdhsa_exception_fp_ieee_underflow 0
		.amdhsa_exception_fp_ieee_inexact 0
		.amdhsa_exception_int_div_zero 0
	.end_amdhsa_kernel
	.section	.text._ZN7rocprim17ROCPRIM_400000_NS6detail17trampoline_kernelINS0_14default_configENS1_29reduce_by_key_config_selectorIffN6thrust23THRUST_200600_302600_NS4plusIfEEEEZZNS1_33reduce_by_key_impl_wrapped_configILNS1_25lookback_scan_determinismE1ES3_S9_NS6_6detail15normal_iteratorINS6_10device_ptrIfEEEESG_SG_SG_PmS8_22is_equal_div_10_reduceIfEEE10hipError_tPvRmT2_T3_mT4_T5_T6_T7_T8_P12ihipStream_tbENKUlT_T0_E_clISt17integral_constantIbLb1EES10_IbLb0EEEEDaSW_SX_EUlSW_E_NS1_11comp_targetILNS1_3genE5ELNS1_11target_archE942ELNS1_3gpuE9ELNS1_3repE0EEENS1_30default_config_static_selectorELNS0_4arch9wavefront6targetE0EEEvT1_,"axG",@progbits,_ZN7rocprim17ROCPRIM_400000_NS6detail17trampoline_kernelINS0_14default_configENS1_29reduce_by_key_config_selectorIffN6thrust23THRUST_200600_302600_NS4plusIfEEEEZZNS1_33reduce_by_key_impl_wrapped_configILNS1_25lookback_scan_determinismE1ES3_S9_NS6_6detail15normal_iteratorINS6_10device_ptrIfEEEESG_SG_SG_PmS8_22is_equal_div_10_reduceIfEEE10hipError_tPvRmT2_T3_mT4_T5_T6_T7_T8_P12ihipStream_tbENKUlT_T0_E_clISt17integral_constantIbLb1EES10_IbLb0EEEEDaSW_SX_EUlSW_E_NS1_11comp_targetILNS1_3genE5ELNS1_11target_archE942ELNS1_3gpuE9ELNS1_3repE0EEENS1_30default_config_static_selectorELNS0_4arch9wavefront6targetE0EEEvT1_,comdat
.Lfunc_end147:
	.size	_ZN7rocprim17ROCPRIM_400000_NS6detail17trampoline_kernelINS0_14default_configENS1_29reduce_by_key_config_selectorIffN6thrust23THRUST_200600_302600_NS4plusIfEEEEZZNS1_33reduce_by_key_impl_wrapped_configILNS1_25lookback_scan_determinismE1ES3_S9_NS6_6detail15normal_iteratorINS6_10device_ptrIfEEEESG_SG_SG_PmS8_22is_equal_div_10_reduceIfEEE10hipError_tPvRmT2_T3_mT4_T5_T6_T7_T8_P12ihipStream_tbENKUlT_T0_E_clISt17integral_constantIbLb1EES10_IbLb0EEEEDaSW_SX_EUlSW_E_NS1_11comp_targetILNS1_3genE5ELNS1_11target_archE942ELNS1_3gpuE9ELNS1_3repE0EEENS1_30default_config_static_selectorELNS0_4arch9wavefront6targetE0EEEvT1_, .Lfunc_end147-_ZN7rocprim17ROCPRIM_400000_NS6detail17trampoline_kernelINS0_14default_configENS1_29reduce_by_key_config_selectorIffN6thrust23THRUST_200600_302600_NS4plusIfEEEEZZNS1_33reduce_by_key_impl_wrapped_configILNS1_25lookback_scan_determinismE1ES3_S9_NS6_6detail15normal_iteratorINS6_10device_ptrIfEEEESG_SG_SG_PmS8_22is_equal_div_10_reduceIfEEE10hipError_tPvRmT2_T3_mT4_T5_T6_T7_T8_P12ihipStream_tbENKUlT_T0_E_clISt17integral_constantIbLb1EES10_IbLb0EEEEDaSW_SX_EUlSW_E_NS1_11comp_targetILNS1_3genE5ELNS1_11target_archE942ELNS1_3gpuE9ELNS1_3repE0EEENS1_30default_config_static_selectorELNS0_4arch9wavefront6targetE0EEEvT1_
                                        ; -- End function
	.section	.AMDGPU.csdata,"",@progbits
; Kernel info:
; codeLenInByte = 0
; NumSgprs: 0
; NumVgprs: 0
; ScratchSize: 0
; MemoryBound: 0
; FloatMode: 240
; IeeeMode: 1
; LDSByteSize: 0 bytes/workgroup (compile time only)
; SGPRBlocks: 0
; VGPRBlocks: 0
; NumSGPRsForWavesPerEU: 1
; NumVGPRsForWavesPerEU: 1
; Occupancy: 16
; WaveLimiterHint : 0
; COMPUTE_PGM_RSRC2:SCRATCH_EN: 0
; COMPUTE_PGM_RSRC2:USER_SGPR: 15
; COMPUTE_PGM_RSRC2:TRAP_HANDLER: 0
; COMPUTE_PGM_RSRC2:TGID_X_EN: 1
; COMPUTE_PGM_RSRC2:TGID_Y_EN: 0
; COMPUTE_PGM_RSRC2:TGID_Z_EN: 0
; COMPUTE_PGM_RSRC2:TIDIG_COMP_CNT: 0
	.section	.text._ZN7rocprim17ROCPRIM_400000_NS6detail17trampoline_kernelINS0_14default_configENS1_29reduce_by_key_config_selectorIffN6thrust23THRUST_200600_302600_NS4plusIfEEEEZZNS1_33reduce_by_key_impl_wrapped_configILNS1_25lookback_scan_determinismE1ES3_S9_NS6_6detail15normal_iteratorINS6_10device_ptrIfEEEESG_SG_SG_PmS8_22is_equal_div_10_reduceIfEEE10hipError_tPvRmT2_T3_mT4_T5_T6_T7_T8_P12ihipStream_tbENKUlT_T0_E_clISt17integral_constantIbLb1EES10_IbLb0EEEEDaSW_SX_EUlSW_E_NS1_11comp_targetILNS1_3genE4ELNS1_11target_archE910ELNS1_3gpuE8ELNS1_3repE0EEENS1_30default_config_static_selectorELNS0_4arch9wavefront6targetE0EEEvT1_,"axG",@progbits,_ZN7rocprim17ROCPRIM_400000_NS6detail17trampoline_kernelINS0_14default_configENS1_29reduce_by_key_config_selectorIffN6thrust23THRUST_200600_302600_NS4plusIfEEEEZZNS1_33reduce_by_key_impl_wrapped_configILNS1_25lookback_scan_determinismE1ES3_S9_NS6_6detail15normal_iteratorINS6_10device_ptrIfEEEESG_SG_SG_PmS8_22is_equal_div_10_reduceIfEEE10hipError_tPvRmT2_T3_mT4_T5_T6_T7_T8_P12ihipStream_tbENKUlT_T0_E_clISt17integral_constantIbLb1EES10_IbLb0EEEEDaSW_SX_EUlSW_E_NS1_11comp_targetILNS1_3genE4ELNS1_11target_archE910ELNS1_3gpuE8ELNS1_3repE0EEENS1_30default_config_static_selectorELNS0_4arch9wavefront6targetE0EEEvT1_,comdat
	.protected	_ZN7rocprim17ROCPRIM_400000_NS6detail17trampoline_kernelINS0_14default_configENS1_29reduce_by_key_config_selectorIffN6thrust23THRUST_200600_302600_NS4plusIfEEEEZZNS1_33reduce_by_key_impl_wrapped_configILNS1_25lookback_scan_determinismE1ES3_S9_NS6_6detail15normal_iteratorINS6_10device_ptrIfEEEESG_SG_SG_PmS8_22is_equal_div_10_reduceIfEEE10hipError_tPvRmT2_T3_mT4_T5_T6_T7_T8_P12ihipStream_tbENKUlT_T0_E_clISt17integral_constantIbLb1EES10_IbLb0EEEEDaSW_SX_EUlSW_E_NS1_11comp_targetILNS1_3genE4ELNS1_11target_archE910ELNS1_3gpuE8ELNS1_3repE0EEENS1_30default_config_static_selectorELNS0_4arch9wavefront6targetE0EEEvT1_ ; -- Begin function _ZN7rocprim17ROCPRIM_400000_NS6detail17trampoline_kernelINS0_14default_configENS1_29reduce_by_key_config_selectorIffN6thrust23THRUST_200600_302600_NS4plusIfEEEEZZNS1_33reduce_by_key_impl_wrapped_configILNS1_25lookback_scan_determinismE1ES3_S9_NS6_6detail15normal_iteratorINS6_10device_ptrIfEEEESG_SG_SG_PmS8_22is_equal_div_10_reduceIfEEE10hipError_tPvRmT2_T3_mT4_T5_T6_T7_T8_P12ihipStream_tbENKUlT_T0_E_clISt17integral_constantIbLb1EES10_IbLb0EEEEDaSW_SX_EUlSW_E_NS1_11comp_targetILNS1_3genE4ELNS1_11target_archE910ELNS1_3gpuE8ELNS1_3repE0EEENS1_30default_config_static_selectorELNS0_4arch9wavefront6targetE0EEEvT1_
	.globl	_ZN7rocprim17ROCPRIM_400000_NS6detail17trampoline_kernelINS0_14default_configENS1_29reduce_by_key_config_selectorIffN6thrust23THRUST_200600_302600_NS4plusIfEEEEZZNS1_33reduce_by_key_impl_wrapped_configILNS1_25lookback_scan_determinismE1ES3_S9_NS6_6detail15normal_iteratorINS6_10device_ptrIfEEEESG_SG_SG_PmS8_22is_equal_div_10_reduceIfEEE10hipError_tPvRmT2_T3_mT4_T5_T6_T7_T8_P12ihipStream_tbENKUlT_T0_E_clISt17integral_constantIbLb1EES10_IbLb0EEEEDaSW_SX_EUlSW_E_NS1_11comp_targetILNS1_3genE4ELNS1_11target_archE910ELNS1_3gpuE8ELNS1_3repE0EEENS1_30default_config_static_selectorELNS0_4arch9wavefront6targetE0EEEvT1_
	.p2align	8
	.type	_ZN7rocprim17ROCPRIM_400000_NS6detail17trampoline_kernelINS0_14default_configENS1_29reduce_by_key_config_selectorIffN6thrust23THRUST_200600_302600_NS4plusIfEEEEZZNS1_33reduce_by_key_impl_wrapped_configILNS1_25lookback_scan_determinismE1ES3_S9_NS6_6detail15normal_iteratorINS6_10device_ptrIfEEEESG_SG_SG_PmS8_22is_equal_div_10_reduceIfEEE10hipError_tPvRmT2_T3_mT4_T5_T6_T7_T8_P12ihipStream_tbENKUlT_T0_E_clISt17integral_constantIbLb1EES10_IbLb0EEEEDaSW_SX_EUlSW_E_NS1_11comp_targetILNS1_3genE4ELNS1_11target_archE910ELNS1_3gpuE8ELNS1_3repE0EEENS1_30default_config_static_selectorELNS0_4arch9wavefront6targetE0EEEvT1_,@function
_ZN7rocprim17ROCPRIM_400000_NS6detail17trampoline_kernelINS0_14default_configENS1_29reduce_by_key_config_selectorIffN6thrust23THRUST_200600_302600_NS4plusIfEEEEZZNS1_33reduce_by_key_impl_wrapped_configILNS1_25lookback_scan_determinismE1ES3_S9_NS6_6detail15normal_iteratorINS6_10device_ptrIfEEEESG_SG_SG_PmS8_22is_equal_div_10_reduceIfEEE10hipError_tPvRmT2_T3_mT4_T5_T6_T7_T8_P12ihipStream_tbENKUlT_T0_E_clISt17integral_constantIbLb1EES10_IbLb0EEEEDaSW_SX_EUlSW_E_NS1_11comp_targetILNS1_3genE4ELNS1_11target_archE910ELNS1_3gpuE8ELNS1_3repE0EEENS1_30default_config_static_selectorELNS0_4arch9wavefront6targetE0EEEvT1_: ; @_ZN7rocprim17ROCPRIM_400000_NS6detail17trampoline_kernelINS0_14default_configENS1_29reduce_by_key_config_selectorIffN6thrust23THRUST_200600_302600_NS4plusIfEEEEZZNS1_33reduce_by_key_impl_wrapped_configILNS1_25lookback_scan_determinismE1ES3_S9_NS6_6detail15normal_iteratorINS6_10device_ptrIfEEEESG_SG_SG_PmS8_22is_equal_div_10_reduceIfEEE10hipError_tPvRmT2_T3_mT4_T5_T6_T7_T8_P12ihipStream_tbENKUlT_T0_E_clISt17integral_constantIbLb1EES10_IbLb0EEEEDaSW_SX_EUlSW_E_NS1_11comp_targetILNS1_3genE4ELNS1_11target_archE910ELNS1_3gpuE8ELNS1_3repE0EEENS1_30default_config_static_selectorELNS0_4arch9wavefront6targetE0EEEvT1_
; %bb.0:
	.section	.rodata,"a",@progbits
	.p2align	6, 0x0
	.amdhsa_kernel _ZN7rocprim17ROCPRIM_400000_NS6detail17trampoline_kernelINS0_14default_configENS1_29reduce_by_key_config_selectorIffN6thrust23THRUST_200600_302600_NS4plusIfEEEEZZNS1_33reduce_by_key_impl_wrapped_configILNS1_25lookback_scan_determinismE1ES3_S9_NS6_6detail15normal_iteratorINS6_10device_ptrIfEEEESG_SG_SG_PmS8_22is_equal_div_10_reduceIfEEE10hipError_tPvRmT2_T3_mT4_T5_T6_T7_T8_P12ihipStream_tbENKUlT_T0_E_clISt17integral_constantIbLb1EES10_IbLb0EEEEDaSW_SX_EUlSW_E_NS1_11comp_targetILNS1_3genE4ELNS1_11target_archE910ELNS1_3gpuE8ELNS1_3repE0EEENS1_30default_config_static_selectorELNS0_4arch9wavefront6targetE0EEEvT1_
		.amdhsa_group_segment_fixed_size 0
		.amdhsa_private_segment_fixed_size 0
		.amdhsa_kernarg_size 120
		.amdhsa_user_sgpr_count 15
		.amdhsa_user_sgpr_dispatch_ptr 0
		.amdhsa_user_sgpr_queue_ptr 0
		.amdhsa_user_sgpr_kernarg_segment_ptr 1
		.amdhsa_user_sgpr_dispatch_id 0
		.amdhsa_user_sgpr_private_segment_size 0
		.amdhsa_wavefront_size32 1
		.amdhsa_uses_dynamic_stack 0
		.amdhsa_enable_private_segment 0
		.amdhsa_system_sgpr_workgroup_id_x 1
		.amdhsa_system_sgpr_workgroup_id_y 0
		.amdhsa_system_sgpr_workgroup_id_z 0
		.amdhsa_system_sgpr_workgroup_info 0
		.amdhsa_system_vgpr_workitem_id 0
		.amdhsa_next_free_vgpr 1
		.amdhsa_next_free_sgpr 1
		.amdhsa_reserve_vcc 0
		.amdhsa_float_round_mode_32 0
		.amdhsa_float_round_mode_16_64 0
		.amdhsa_float_denorm_mode_32 3
		.amdhsa_float_denorm_mode_16_64 3
		.amdhsa_dx10_clamp 1
		.amdhsa_ieee_mode 1
		.amdhsa_fp16_overflow 0
		.amdhsa_workgroup_processor_mode 1
		.amdhsa_memory_ordered 1
		.amdhsa_forward_progress 0
		.amdhsa_shared_vgpr_count 0
		.amdhsa_exception_fp_ieee_invalid_op 0
		.amdhsa_exception_fp_denorm_src 0
		.amdhsa_exception_fp_ieee_div_zero 0
		.amdhsa_exception_fp_ieee_overflow 0
		.amdhsa_exception_fp_ieee_underflow 0
		.amdhsa_exception_fp_ieee_inexact 0
		.amdhsa_exception_int_div_zero 0
	.end_amdhsa_kernel
	.section	.text._ZN7rocprim17ROCPRIM_400000_NS6detail17trampoline_kernelINS0_14default_configENS1_29reduce_by_key_config_selectorIffN6thrust23THRUST_200600_302600_NS4plusIfEEEEZZNS1_33reduce_by_key_impl_wrapped_configILNS1_25lookback_scan_determinismE1ES3_S9_NS6_6detail15normal_iteratorINS6_10device_ptrIfEEEESG_SG_SG_PmS8_22is_equal_div_10_reduceIfEEE10hipError_tPvRmT2_T3_mT4_T5_T6_T7_T8_P12ihipStream_tbENKUlT_T0_E_clISt17integral_constantIbLb1EES10_IbLb0EEEEDaSW_SX_EUlSW_E_NS1_11comp_targetILNS1_3genE4ELNS1_11target_archE910ELNS1_3gpuE8ELNS1_3repE0EEENS1_30default_config_static_selectorELNS0_4arch9wavefront6targetE0EEEvT1_,"axG",@progbits,_ZN7rocprim17ROCPRIM_400000_NS6detail17trampoline_kernelINS0_14default_configENS1_29reduce_by_key_config_selectorIffN6thrust23THRUST_200600_302600_NS4plusIfEEEEZZNS1_33reduce_by_key_impl_wrapped_configILNS1_25lookback_scan_determinismE1ES3_S9_NS6_6detail15normal_iteratorINS6_10device_ptrIfEEEESG_SG_SG_PmS8_22is_equal_div_10_reduceIfEEE10hipError_tPvRmT2_T3_mT4_T5_T6_T7_T8_P12ihipStream_tbENKUlT_T0_E_clISt17integral_constantIbLb1EES10_IbLb0EEEEDaSW_SX_EUlSW_E_NS1_11comp_targetILNS1_3genE4ELNS1_11target_archE910ELNS1_3gpuE8ELNS1_3repE0EEENS1_30default_config_static_selectorELNS0_4arch9wavefront6targetE0EEEvT1_,comdat
.Lfunc_end148:
	.size	_ZN7rocprim17ROCPRIM_400000_NS6detail17trampoline_kernelINS0_14default_configENS1_29reduce_by_key_config_selectorIffN6thrust23THRUST_200600_302600_NS4plusIfEEEEZZNS1_33reduce_by_key_impl_wrapped_configILNS1_25lookback_scan_determinismE1ES3_S9_NS6_6detail15normal_iteratorINS6_10device_ptrIfEEEESG_SG_SG_PmS8_22is_equal_div_10_reduceIfEEE10hipError_tPvRmT2_T3_mT4_T5_T6_T7_T8_P12ihipStream_tbENKUlT_T0_E_clISt17integral_constantIbLb1EES10_IbLb0EEEEDaSW_SX_EUlSW_E_NS1_11comp_targetILNS1_3genE4ELNS1_11target_archE910ELNS1_3gpuE8ELNS1_3repE0EEENS1_30default_config_static_selectorELNS0_4arch9wavefront6targetE0EEEvT1_, .Lfunc_end148-_ZN7rocprim17ROCPRIM_400000_NS6detail17trampoline_kernelINS0_14default_configENS1_29reduce_by_key_config_selectorIffN6thrust23THRUST_200600_302600_NS4plusIfEEEEZZNS1_33reduce_by_key_impl_wrapped_configILNS1_25lookback_scan_determinismE1ES3_S9_NS6_6detail15normal_iteratorINS6_10device_ptrIfEEEESG_SG_SG_PmS8_22is_equal_div_10_reduceIfEEE10hipError_tPvRmT2_T3_mT4_T5_T6_T7_T8_P12ihipStream_tbENKUlT_T0_E_clISt17integral_constantIbLb1EES10_IbLb0EEEEDaSW_SX_EUlSW_E_NS1_11comp_targetILNS1_3genE4ELNS1_11target_archE910ELNS1_3gpuE8ELNS1_3repE0EEENS1_30default_config_static_selectorELNS0_4arch9wavefront6targetE0EEEvT1_
                                        ; -- End function
	.section	.AMDGPU.csdata,"",@progbits
; Kernel info:
; codeLenInByte = 0
; NumSgprs: 0
; NumVgprs: 0
; ScratchSize: 0
; MemoryBound: 0
; FloatMode: 240
; IeeeMode: 1
; LDSByteSize: 0 bytes/workgroup (compile time only)
; SGPRBlocks: 0
; VGPRBlocks: 0
; NumSGPRsForWavesPerEU: 1
; NumVGPRsForWavesPerEU: 1
; Occupancy: 16
; WaveLimiterHint : 0
; COMPUTE_PGM_RSRC2:SCRATCH_EN: 0
; COMPUTE_PGM_RSRC2:USER_SGPR: 15
; COMPUTE_PGM_RSRC2:TRAP_HANDLER: 0
; COMPUTE_PGM_RSRC2:TGID_X_EN: 1
; COMPUTE_PGM_RSRC2:TGID_Y_EN: 0
; COMPUTE_PGM_RSRC2:TGID_Z_EN: 0
; COMPUTE_PGM_RSRC2:TIDIG_COMP_CNT: 0
	.section	.text._ZN7rocprim17ROCPRIM_400000_NS6detail17trampoline_kernelINS0_14default_configENS1_29reduce_by_key_config_selectorIffN6thrust23THRUST_200600_302600_NS4plusIfEEEEZZNS1_33reduce_by_key_impl_wrapped_configILNS1_25lookback_scan_determinismE1ES3_S9_NS6_6detail15normal_iteratorINS6_10device_ptrIfEEEESG_SG_SG_PmS8_22is_equal_div_10_reduceIfEEE10hipError_tPvRmT2_T3_mT4_T5_T6_T7_T8_P12ihipStream_tbENKUlT_T0_E_clISt17integral_constantIbLb1EES10_IbLb0EEEEDaSW_SX_EUlSW_E_NS1_11comp_targetILNS1_3genE3ELNS1_11target_archE908ELNS1_3gpuE7ELNS1_3repE0EEENS1_30default_config_static_selectorELNS0_4arch9wavefront6targetE0EEEvT1_,"axG",@progbits,_ZN7rocprim17ROCPRIM_400000_NS6detail17trampoline_kernelINS0_14default_configENS1_29reduce_by_key_config_selectorIffN6thrust23THRUST_200600_302600_NS4plusIfEEEEZZNS1_33reduce_by_key_impl_wrapped_configILNS1_25lookback_scan_determinismE1ES3_S9_NS6_6detail15normal_iteratorINS6_10device_ptrIfEEEESG_SG_SG_PmS8_22is_equal_div_10_reduceIfEEE10hipError_tPvRmT2_T3_mT4_T5_T6_T7_T8_P12ihipStream_tbENKUlT_T0_E_clISt17integral_constantIbLb1EES10_IbLb0EEEEDaSW_SX_EUlSW_E_NS1_11comp_targetILNS1_3genE3ELNS1_11target_archE908ELNS1_3gpuE7ELNS1_3repE0EEENS1_30default_config_static_selectorELNS0_4arch9wavefront6targetE0EEEvT1_,comdat
	.protected	_ZN7rocprim17ROCPRIM_400000_NS6detail17trampoline_kernelINS0_14default_configENS1_29reduce_by_key_config_selectorIffN6thrust23THRUST_200600_302600_NS4plusIfEEEEZZNS1_33reduce_by_key_impl_wrapped_configILNS1_25lookback_scan_determinismE1ES3_S9_NS6_6detail15normal_iteratorINS6_10device_ptrIfEEEESG_SG_SG_PmS8_22is_equal_div_10_reduceIfEEE10hipError_tPvRmT2_T3_mT4_T5_T6_T7_T8_P12ihipStream_tbENKUlT_T0_E_clISt17integral_constantIbLb1EES10_IbLb0EEEEDaSW_SX_EUlSW_E_NS1_11comp_targetILNS1_3genE3ELNS1_11target_archE908ELNS1_3gpuE7ELNS1_3repE0EEENS1_30default_config_static_selectorELNS0_4arch9wavefront6targetE0EEEvT1_ ; -- Begin function _ZN7rocprim17ROCPRIM_400000_NS6detail17trampoline_kernelINS0_14default_configENS1_29reduce_by_key_config_selectorIffN6thrust23THRUST_200600_302600_NS4plusIfEEEEZZNS1_33reduce_by_key_impl_wrapped_configILNS1_25lookback_scan_determinismE1ES3_S9_NS6_6detail15normal_iteratorINS6_10device_ptrIfEEEESG_SG_SG_PmS8_22is_equal_div_10_reduceIfEEE10hipError_tPvRmT2_T3_mT4_T5_T6_T7_T8_P12ihipStream_tbENKUlT_T0_E_clISt17integral_constantIbLb1EES10_IbLb0EEEEDaSW_SX_EUlSW_E_NS1_11comp_targetILNS1_3genE3ELNS1_11target_archE908ELNS1_3gpuE7ELNS1_3repE0EEENS1_30default_config_static_selectorELNS0_4arch9wavefront6targetE0EEEvT1_
	.globl	_ZN7rocprim17ROCPRIM_400000_NS6detail17trampoline_kernelINS0_14default_configENS1_29reduce_by_key_config_selectorIffN6thrust23THRUST_200600_302600_NS4plusIfEEEEZZNS1_33reduce_by_key_impl_wrapped_configILNS1_25lookback_scan_determinismE1ES3_S9_NS6_6detail15normal_iteratorINS6_10device_ptrIfEEEESG_SG_SG_PmS8_22is_equal_div_10_reduceIfEEE10hipError_tPvRmT2_T3_mT4_T5_T6_T7_T8_P12ihipStream_tbENKUlT_T0_E_clISt17integral_constantIbLb1EES10_IbLb0EEEEDaSW_SX_EUlSW_E_NS1_11comp_targetILNS1_3genE3ELNS1_11target_archE908ELNS1_3gpuE7ELNS1_3repE0EEENS1_30default_config_static_selectorELNS0_4arch9wavefront6targetE0EEEvT1_
	.p2align	8
	.type	_ZN7rocprim17ROCPRIM_400000_NS6detail17trampoline_kernelINS0_14default_configENS1_29reduce_by_key_config_selectorIffN6thrust23THRUST_200600_302600_NS4plusIfEEEEZZNS1_33reduce_by_key_impl_wrapped_configILNS1_25lookback_scan_determinismE1ES3_S9_NS6_6detail15normal_iteratorINS6_10device_ptrIfEEEESG_SG_SG_PmS8_22is_equal_div_10_reduceIfEEE10hipError_tPvRmT2_T3_mT4_T5_T6_T7_T8_P12ihipStream_tbENKUlT_T0_E_clISt17integral_constantIbLb1EES10_IbLb0EEEEDaSW_SX_EUlSW_E_NS1_11comp_targetILNS1_3genE3ELNS1_11target_archE908ELNS1_3gpuE7ELNS1_3repE0EEENS1_30default_config_static_selectorELNS0_4arch9wavefront6targetE0EEEvT1_,@function
_ZN7rocprim17ROCPRIM_400000_NS6detail17trampoline_kernelINS0_14default_configENS1_29reduce_by_key_config_selectorIffN6thrust23THRUST_200600_302600_NS4plusIfEEEEZZNS1_33reduce_by_key_impl_wrapped_configILNS1_25lookback_scan_determinismE1ES3_S9_NS6_6detail15normal_iteratorINS6_10device_ptrIfEEEESG_SG_SG_PmS8_22is_equal_div_10_reduceIfEEE10hipError_tPvRmT2_T3_mT4_T5_T6_T7_T8_P12ihipStream_tbENKUlT_T0_E_clISt17integral_constantIbLb1EES10_IbLb0EEEEDaSW_SX_EUlSW_E_NS1_11comp_targetILNS1_3genE3ELNS1_11target_archE908ELNS1_3gpuE7ELNS1_3repE0EEENS1_30default_config_static_selectorELNS0_4arch9wavefront6targetE0EEEvT1_: ; @_ZN7rocprim17ROCPRIM_400000_NS6detail17trampoline_kernelINS0_14default_configENS1_29reduce_by_key_config_selectorIffN6thrust23THRUST_200600_302600_NS4plusIfEEEEZZNS1_33reduce_by_key_impl_wrapped_configILNS1_25lookback_scan_determinismE1ES3_S9_NS6_6detail15normal_iteratorINS6_10device_ptrIfEEEESG_SG_SG_PmS8_22is_equal_div_10_reduceIfEEE10hipError_tPvRmT2_T3_mT4_T5_T6_T7_T8_P12ihipStream_tbENKUlT_T0_E_clISt17integral_constantIbLb1EES10_IbLb0EEEEDaSW_SX_EUlSW_E_NS1_11comp_targetILNS1_3genE3ELNS1_11target_archE908ELNS1_3gpuE7ELNS1_3repE0EEENS1_30default_config_static_selectorELNS0_4arch9wavefront6targetE0EEEvT1_
; %bb.0:
	.section	.rodata,"a",@progbits
	.p2align	6, 0x0
	.amdhsa_kernel _ZN7rocprim17ROCPRIM_400000_NS6detail17trampoline_kernelINS0_14default_configENS1_29reduce_by_key_config_selectorIffN6thrust23THRUST_200600_302600_NS4plusIfEEEEZZNS1_33reduce_by_key_impl_wrapped_configILNS1_25lookback_scan_determinismE1ES3_S9_NS6_6detail15normal_iteratorINS6_10device_ptrIfEEEESG_SG_SG_PmS8_22is_equal_div_10_reduceIfEEE10hipError_tPvRmT2_T3_mT4_T5_T6_T7_T8_P12ihipStream_tbENKUlT_T0_E_clISt17integral_constantIbLb1EES10_IbLb0EEEEDaSW_SX_EUlSW_E_NS1_11comp_targetILNS1_3genE3ELNS1_11target_archE908ELNS1_3gpuE7ELNS1_3repE0EEENS1_30default_config_static_selectorELNS0_4arch9wavefront6targetE0EEEvT1_
		.amdhsa_group_segment_fixed_size 0
		.amdhsa_private_segment_fixed_size 0
		.amdhsa_kernarg_size 120
		.amdhsa_user_sgpr_count 15
		.amdhsa_user_sgpr_dispatch_ptr 0
		.amdhsa_user_sgpr_queue_ptr 0
		.amdhsa_user_sgpr_kernarg_segment_ptr 1
		.amdhsa_user_sgpr_dispatch_id 0
		.amdhsa_user_sgpr_private_segment_size 0
		.amdhsa_wavefront_size32 1
		.amdhsa_uses_dynamic_stack 0
		.amdhsa_enable_private_segment 0
		.amdhsa_system_sgpr_workgroup_id_x 1
		.amdhsa_system_sgpr_workgroup_id_y 0
		.amdhsa_system_sgpr_workgroup_id_z 0
		.amdhsa_system_sgpr_workgroup_info 0
		.amdhsa_system_vgpr_workitem_id 0
		.amdhsa_next_free_vgpr 1
		.amdhsa_next_free_sgpr 1
		.amdhsa_reserve_vcc 0
		.amdhsa_float_round_mode_32 0
		.amdhsa_float_round_mode_16_64 0
		.amdhsa_float_denorm_mode_32 3
		.amdhsa_float_denorm_mode_16_64 3
		.amdhsa_dx10_clamp 1
		.amdhsa_ieee_mode 1
		.amdhsa_fp16_overflow 0
		.amdhsa_workgroup_processor_mode 1
		.amdhsa_memory_ordered 1
		.amdhsa_forward_progress 0
		.amdhsa_shared_vgpr_count 0
		.amdhsa_exception_fp_ieee_invalid_op 0
		.amdhsa_exception_fp_denorm_src 0
		.amdhsa_exception_fp_ieee_div_zero 0
		.amdhsa_exception_fp_ieee_overflow 0
		.amdhsa_exception_fp_ieee_underflow 0
		.amdhsa_exception_fp_ieee_inexact 0
		.amdhsa_exception_int_div_zero 0
	.end_amdhsa_kernel
	.section	.text._ZN7rocprim17ROCPRIM_400000_NS6detail17trampoline_kernelINS0_14default_configENS1_29reduce_by_key_config_selectorIffN6thrust23THRUST_200600_302600_NS4plusIfEEEEZZNS1_33reduce_by_key_impl_wrapped_configILNS1_25lookback_scan_determinismE1ES3_S9_NS6_6detail15normal_iteratorINS6_10device_ptrIfEEEESG_SG_SG_PmS8_22is_equal_div_10_reduceIfEEE10hipError_tPvRmT2_T3_mT4_T5_T6_T7_T8_P12ihipStream_tbENKUlT_T0_E_clISt17integral_constantIbLb1EES10_IbLb0EEEEDaSW_SX_EUlSW_E_NS1_11comp_targetILNS1_3genE3ELNS1_11target_archE908ELNS1_3gpuE7ELNS1_3repE0EEENS1_30default_config_static_selectorELNS0_4arch9wavefront6targetE0EEEvT1_,"axG",@progbits,_ZN7rocprim17ROCPRIM_400000_NS6detail17trampoline_kernelINS0_14default_configENS1_29reduce_by_key_config_selectorIffN6thrust23THRUST_200600_302600_NS4plusIfEEEEZZNS1_33reduce_by_key_impl_wrapped_configILNS1_25lookback_scan_determinismE1ES3_S9_NS6_6detail15normal_iteratorINS6_10device_ptrIfEEEESG_SG_SG_PmS8_22is_equal_div_10_reduceIfEEE10hipError_tPvRmT2_T3_mT4_T5_T6_T7_T8_P12ihipStream_tbENKUlT_T0_E_clISt17integral_constantIbLb1EES10_IbLb0EEEEDaSW_SX_EUlSW_E_NS1_11comp_targetILNS1_3genE3ELNS1_11target_archE908ELNS1_3gpuE7ELNS1_3repE0EEENS1_30default_config_static_selectorELNS0_4arch9wavefront6targetE0EEEvT1_,comdat
.Lfunc_end149:
	.size	_ZN7rocprim17ROCPRIM_400000_NS6detail17trampoline_kernelINS0_14default_configENS1_29reduce_by_key_config_selectorIffN6thrust23THRUST_200600_302600_NS4plusIfEEEEZZNS1_33reduce_by_key_impl_wrapped_configILNS1_25lookback_scan_determinismE1ES3_S9_NS6_6detail15normal_iteratorINS6_10device_ptrIfEEEESG_SG_SG_PmS8_22is_equal_div_10_reduceIfEEE10hipError_tPvRmT2_T3_mT4_T5_T6_T7_T8_P12ihipStream_tbENKUlT_T0_E_clISt17integral_constantIbLb1EES10_IbLb0EEEEDaSW_SX_EUlSW_E_NS1_11comp_targetILNS1_3genE3ELNS1_11target_archE908ELNS1_3gpuE7ELNS1_3repE0EEENS1_30default_config_static_selectorELNS0_4arch9wavefront6targetE0EEEvT1_, .Lfunc_end149-_ZN7rocprim17ROCPRIM_400000_NS6detail17trampoline_kernelINS0_14default_configENS1_29reduce_by_key_config_selectorIffN6thrust23THRUST_200600_302600_NS4plusIfEEEEZZNS1_33reduce_by_key_impl_wrapped_configILNS1_25lookback_scan_determinismE1ES3_S9_NS6_6detail15normal_iteratorINS6_10device_ptrIfEEEESG_SG_SG_PmS8_22is_equal_div_10_reduceIfEEE10hipError_tPvRmT2_T3_mT4_T5_T6_T7_T8_P12ihipStream_tbENKUlT_T0_E_clISt17integral_constantIbLb1EES10_IbLb0EEEEDaSW_SX_EUlSW_E_NS1_11comp_targetILNS1_3genE3ELNS1_11target_archE908ELNS1_3gpuE7ELNS1_3repE0EEENS1_30default_config_static_selectorELNS0_4arch9wavefront6targetE0EEEvT1_
                                        ; -- End function
	.section	.AMDGPU.csdata,"",@progbits
; Kernel info:
; codeLenInByte = 0
; NumSgprs: 0
; NumVgprs: 0
; ScratchSize: 0
; MemoryBound: 0
; FloatMode: 240
; IeeeMode: 1
; LDSByteSize: 0 bytes/workgroup (compile time only)
; SGPRBlocks: 0
; VGPRBlocks: 0
; NumSGPRsForWavesPerEU: 1
; NumVGPRsForWavesPerEU: 1
; Occupancy: 16
; WaveLimiterHint : 0
; COMPUTE_PGM_RSRC2:SCRATCH_EN: 0
; COMPUTE_PGM_RSRC2:USER_SGPR: 15
; COMPUTE_PGM_RSRC2:TRAP_HANDLER: 0
; COMPUTE_PGM_RSRC2:TGID_X_EN: 1
; COMPUTE_PGM_RSRC2:TGID_Y_EN: 0
; COMPUTE_PGM_RSRC2:TGID_Z_EN: 0
; COMPUTE_PGM_RSRC2:TIDIG_COMP_CNT: 0
	.section	.text._ZN7rocprim17ROCPRIM_400000_NS6detail17trampoline_kernelINS0_14default_configENS1_29reduce_by_key_config_selectorIffN6thrust23THRUST_200600_302600_NS4plusIfEEEEZZNS1_33reduce_by_key_impl_wrapped_configILNS1_25lookback_scan_determinismE1ES3_S9_NS6_6detail15normal_iteratorINS6_10device_ptrIfEEEESG_SG_SG_PmS8_22is_equal_div_10_reduceIfEEE10hipError_tPvRmT2_T3_mT4_T5_T6_T7_T8_P12ihipStream_tbENKUlT_T0_E_clISt17integral_constantIbLb1EES10_IbLb0EEEEDaSW_SX_EUlSW_E_NS1_11comp_targetILNS1_3genE2ELNS1_11target_archE906ELNS1_3gpuE6ELNS1_3repE0EEENS1_30default_config_static_selectorELNS0_4arch9wavefront6targetE0EEEvT1_,"axG",@progbits,_ZN7rocprim17ROCPRIM_400000_NS6detail17trampoline_kernelINS0_14default_configENS1_29reduce_by_key_config_selectorIffN6thrust23THRUST_200600_302600_NS4plusIfEEEEZZNS1_33reduce_by_key_impl_wrapped_configILNS1_25lookback_scan_determinismE1ES3_S9_NS6_6detail15normal_iteratorINS6_10device_ptrIfEEEESG_SG_SG_PmS8_22is_equal_div_10_reduceIfEEE10hipError_tPvRmT2_T3_mT4_T5_T6_T7_T8_P12ihipStream_tbENKUlT_T0_E_clISt17integral_constantIbLb1EES10_IbLb0EEEEDaSW_SX_EUlSW_E_NS1_11comp_targetILNS1_3genE2ELNS1_11target_archE906ELNS1_3gpuE6ELNS1_3repE0EEENS1_30default_config_static_selectorELNS0_4arch9wavefront6targetE0EEEvT1_,comdat
	.protected	_ZN7rocprim17ROCPRIM_400000_NS6detail17trampoline_kernelINS0_14default_configENS1_29reduce_by_key_config_selectorIffN6thrust23THRUST_200600_302600_NS4plusIfEEEEZZNS1_33reduce_by_key_impl_wrapped_configILNS1_25lookback_scan_determinismE1ES3_S9_NS6_6detail15normal_iteratorINS6_10device_ptrIfEEEESG_SG_SG_PmS8_22is_equal_div_10_reduceIfEEE10hipError_tPvRmT2_T3_mT4_T5_T6_T7_T8_P12ihipStream_tbENKUlT_T0_E_clISt17integral_constantIbLb1EES10_IbLb0EEEEDaSW_SX_EUlSW_E_NS1_11comp_targetILNS1_3genE2ELNS1_11target_archE906ELNS1_3gpuE6ELNS1_3repE0EEENS1_30default_config_static_selectorELNS0_4arch9wavefront6targetE0EEEvT1_ ; -- Begin function _ZN7rocprim17ROCPRIM_400000_NS6detail17trampoline_kernelINS0_14default_configENS1_29reduce_by_key_config_selectorIffN6thrust23THRUST_200600_302600_NS4plusIfEEEEZZNS1_33reduce_by_key_impl_wrapped_configILNS1_25lookback_scan_determinismE1ES3_S9_NS6_6detail15normal_iteratorINS6_10device_ptrIfEEEESG_SG_SG_PmS8_22is_equal_div_10_reduceIfEEE10hipError_tPvRmT2_T3_mT4_T5_T6_T7_T8_P12ihipStream_tbENKUlT_T0_E_clISt17integral_constantIbLb1EES10_IbLb0EEEEDaSW_SX_EUlSW_E_NS1_11comp_targetILNS1_3genE2ELNS1_11target_archE906ELNS1_3gpuE6ELNS1_3repE0EEENS1_30default_config_static_selectorELNS0_4arch9wavefront6targetE0EEEvT1_
	.globl	_ZN7rocprim17ROCPRIM_400000_NS6detail17trampoline_kernelINS0_14default_configENS1_29reduce_by_key_config_selectorIffN6thrust23THRUST_200600_302600_NS4plusIfEEEEZZNS1_33reduce_by_key_impl_wrapped_configILNS1_25lookback_scan_determinismE1ES3_S9_NS6_6detail15normal_iteratorINS6_10device_ptrIfEEEESG_SG_SG_PmS8_22is_equal_div_10_reduceIfEEE10hipError_tPvRmT2_T3_mT4_T5_T6_T7_T8_P12ihipStream_tbENKUlT_T0_E_clISt17integral_constantIbLb1EES10_IbLb0EEEEDaSW_SX_EUlSW_E_NS1_11comp_targetILNS1_3genE2ELNS1_11target_archE906ELNS1_3gpuE6ELNS1_3repE0EEENS1_30default_config_static_selectorELNS0_4arch9wavefront6targetE0EEEvT1_
	.p2align	8
	.type	_ZN7rocprim17ROCPRIM_400000_NS6detail17trampoline_kernelINS0_14default_configENS1_29reduce_by_key_config_selectorIffN6thrust23THRUST_200600_302600_NS4plusIfEEEEZZNS1_33reduce_by_key_impl_wrapped_configILNS1_25lookback_scan_determinismE1ES3_S9_NS6_6detail15normal_iteratorINS6_10device_ptrIfEEEESG_SG_SG_PmS8_22is_equal_div_10_reduceIfEEE10hipError_tPvRmT2_T3_mT4_T5_T6_T7_T8_P12ihipStream_tbENKUlT_T0_E_clISt17integral_constantIbLb1EES10_IbLb0EEEEDaSW_SX_EUlSW_E_NS1_11comp_targetILNS1_3genE2ELNS1_11target_archE906ELNS1_3gpuE6ELNS1_3repE0EEENS1_30default_config_static_selectorELNS0_4arch9wavefront6targetE0EEEvT1_,@function
_ZN7rocprim17ROCPRIM_400000_NS6detail17trampoline_kernelINS0_14default_configENS1_29reduce_by_key_config_selectorIffN6thrust23THRUST_200600_302600_NS4plusIfEEEEZZNS1_33reduce_by_key_impl_wrapped_configILNS1_25lookback_scan_determinismE1ES3_S9_NS6_6detail15normal_iteratorINS6_10device_ptrIfEEEESG_SG_SG_PmS8_22is_equal_div_10_reduceIfEEE10hipError_tPvRmT2_T3_mT4_T5_T6_T7_T8_P12ihipStream_tbENKUlT_T0_E_clISt17integral_constantIbLb1EES10_IbLb0EEEEDaSW_SX_EUlSW_E_NS1_11comp_targetILNS1_3genE2ELNS1_11target_archE906ELNS1_3gpuE6ELNS1_3repE0EEENS1_30default_config_static_selectorELNS0_4arch9wavefront6targetE0EEEvT1_: ; @_ZN7rocprim17ROCPRIM_400000_NS6detail17trampoline_kernelINS0_14default_configENS1_29reduce_by_key_config_selectorIffN6thrust23THRUST_200600_302600_NS4plusIfEEEEZZNS1_33reduce_by_key_impl_wrapped_configILNS1_25lookback_scan_determinismE1ES3_S9_NS6_6detail15normal_iteratorINS6_10device_ptrIfEEEESG_SG_SG_PmS8_22is_equal_div_10_reduceIfEEE10hipError_tPvRmT2_T3_mT4_T5_T6_T7_T8_P12ihipStream_tbENKUlT_T0_E_clISt17integral_constantIbLb1EES10_IbLb0EEEEDaSW_SX_EUlSW_E_NS1_11comp_targetILNS1_3genE2ELNS1_11target_archE906ELNS1_3gpuE6ELNS1_3repE0EEENS1_30default_config_static_selectorELNS0_4arch9wavefront6targetE0EEEvT1_
; %bb.0:
	.section	.rodata,"a",@progbits
	.p2align	6, 0x0
	.amdhsa_kernel _ZN7rocprim17ROCPRIM_400000_NS6detail17trampoline_kernelINS0_14default_configENS1_29reduce_by_key_config_selectorIffN6thrust23THRUST_200600_302600_NS4plusIfEEEEZZNS1_33reduce_by_key_impl_wrapped_configILNS1_25lookback_scan_determinismE1ES3_S9_NS6_6detail15normal_iteratorINS6_10device_ptrIfEEEESG_SG_SG_PmS8_22is_equal_div_10_reduceIfEEE10hipError_tPvRmT2_T3_mT4_T5_T6_T7_T8_P12ihipStream_tbENKUlT_T0_E_clISt17integral_constantIbLb1EES10_IbLb0EEEEDaSW_SX_EUlSW_E_NS1_11comp_targetILNS1_3genE2ELNS1_11target_archE906ELNS1_3gpuE6ELNS1_3repE0EEENS1_30default_config_static_selectorELNS0_4arch9wavefront6targetE0EEEvT1_
		.amdhsa_group_segment_fixed_size 0
		.amdhsa_private_segment_fixed_size 0
		.amdhsa_kernarg_size 120
		.amdhsa_user_sgpr_count 15
		.amdhsa_user_sgpr_dispatch_ptr 0
		.amdhsa_user_sgpr_queue_ptr 0
		.amdhsa_user_sgpr_kernarg_segment_ptr 1
		.amdhsa_user_sgpr_dispatch_id 0
		.amdhsa_user_sgpr_private_segment_size 0
		.amdhsa_wavefront_size32 1
		.amdhsa_uses_dynamic_stack 0
		.amdhsa_enable_private_segment 0
		.amdhsa_system_sgpr_workgroup_id_x 1
		.amdhsa_system_sgpr_workgroup_id_y 0
		.amdhsa_system_sgpr_workgroup_id_z 0
		.amdhsa_system_sgpr_workgroup_info 0
		.amdhsa_system_vgpr_workitem_id 0
		.amdhsa_next_free_vgpr 1
		.amdhsa_next_free_sgpr 1
		.amdhsa_reserve_vcc 0
		.amdhsa_float_round_mode_32 0
		.amdhsa_float_round_mode_16_64 0
		.amdhsa_float_denorm_mode_32 3
		.amdhsa_float_denorm_mode_16_64 3
		.amdhsa_dx10_clamp 1
		.amdhsa_ieee_mode 1
		.amdhsa_fp16_overflow 0
		.amdhsa_workgroup_processor_mode 1
		.amdhsa_memory_ordered 1
		.amdhsa_forward_progress 0
		.amdhsa_shared_vgpr_count 0
		.amdhsa_exception_fp_ieee_invalid_op 0
		.amdhsa_exception_fp_denorm_src 0
		.amdhsa_exception_fp_ieee_div_zero 0
		.amdhsa_exception_fp_ieee_overflow 0
		.amdhsa_exception_fp_ieee_underflow 0
		.amdhsa_exception_fp_ieee_inexact 0
		.amdhsa_exception_int_div_zero 0
	.end_amdhsa_kernel
	.section	.text._ZN7rocprim17ROCPRIM_400000_NS6detail17trampoline_kernelINS0_14default_configENS1_29reduce_by_key_config_selectorIffN6thrust23THRUST_200600_302600_NS4plusIfEEEEZZNS1_33reduce_by_key_impl_wrapped_configILNS1_25lookback_scan_determinismE1ES3_S9_NS6_6detail15normal_iteratorINS6_10device_ptrIfEEEESG_SG_SG_PmS8_22is_equal_div_10_reduceIfEEE10hipError_tPvRmT2_T3_mT4_T5_T6_T7_T8_P12ihipStream_tbENKUlT_T0_E_clISt17integral_constantIbLb1EES10_IbLb0EEEEDaSW_SX_EUlSW_E_NS1_11comp_targetILNS1_3genE2ELNS1_11target_archE906ELNS1_3gpuE6ELNS1_3repE0EEENS1_30default_config_static_selectorELNS0_4arch9wavefront6targetE0EEEvT1_,"axG",@progbits,_ZN7rocprim17ROCPRIM_400000_NS6detail17trampoline_kernelINS0_14default_configENS1_29reduce_by_key_config_selectorIffN6thrust23THRUST_200600_302600_NS4plusIfEEEEZZNS1_33reduce_by_key_impl_wrapped_configILNS1_25lookback_scan_determinismE1ES3_S9_NS6_6detail15normal_iteratorINS6_10device_ptrIfEEEESG_SG_SG_PmS8_22is_equal_div_10_reduceIfEEE10hipError_tPvRmT2_T3_mT4_T5_T6_T7_T8_P12ihipStream_tbENKUlT_T0_E_clISt17integral_constantIbLb1EES10_IbLb0EEEEDaSW_SX_EUlSW_E_NS1_11comp_targetILNS1_3genE2ELNS1_11target_archE906ELNS1_3gpuE6ELNS1_3repE0EEENS1_30default_config_static_selectorELNS0_4arch9wavefront6targetE0EEEvT1_,comdat
.Lfunc_end150:
	.size	_ZN7rocprim17ROCPRIM_400000_NS6detail17trampoline_kernelINS0_14default_configENS1_29reduce_by_key_config_selectorIffN6thrust23THRUST_200600_302600_NS4plusIfEEEEZZNS1_33reduce_by_key_impl_wrapped_configILNS1_25lookback_scan_determinismE1ES3_S9_NS6_6detail15normal_iteratorINS6_10device_ptrIfEEEESG_SG_SG_PmS8_22is_equal_div_10_reduceIfEEE10hipError_tPvRmT2_T3_mT4_T5_T6_T7_T8_P12ihipStream_tbENKUlT_T0_E_clISt17integral_constantIbLb1EES10_IbLb0EEEEDaSW_SX_EUlSW_E_NS1_11comp_targetILNS1_3genE2ELNS1_11target_archE906ELNS1_3gpuE6ELNS1_3repE0EEENS1_30default_config_static_selectorELNS0_4arch9wavefront6targetE0EEEvT1_, .Lfunc_end150-_ZN7rocprim17ROCPRIM_400000_NS6detail17trampoline_kernelINS0_14default_configENS1_29reduce_by_key_config_selectorIffN6thrust23THRUST_200600_302600_NS4plusIfEEEEZZNS1_33reduce_by_key_impl_wrapped_configILNS1_25lookback_scan_determinismE1ES3_S9_NS6_6detail15normal_iteratorINS6_10device_ptrIfEEEESG_SG_SG_PmS8_22is_equal_div_10_reduceIfEEE10hipError_tPvRmT2_T3_mT4_T5_T6_T7_T8_P12ihipStream_tbENKUlT_T0_E_clISt17integral_constantIbLb1EES10_IbLb0EEEEDaSW_SX_EUlSW_E_NS1_11comp_targetILNS1_3genE2ELNS1_11target_archE906ELNS1_3gpuE6ELNS1_3repE0EEENS1_30default_config_static_selectorELNS0_4arch9wavefront6targetE0EEEvT1_
                                        ; -- End function
	.section	.AMDGPU.csdata,"",@progbits
; Kernel info:
; codeLenInByte = 0
; NumSgprs: 0
; NumVgprs: 0
; ScratchSize: 0
; MemoryBound: 0
; FloatMode: 240
; IeeeMode: 1
; LDSByteSize: 0 bytes/workgroup (compile time only)
; SGPRBlocks: 0
; VGPRBlocks: 0
; NumSGPRsForWavesPerEU: 1
; NumVGPRsForWavesPerEU: 1
; Occupancy: 16
; WaveLimiterHint : 0
; COMPUTE_PGM_RSRC2:SCRATCH_EN: 0
; COMPUTE_PGM_RSRC2:USER_SGPR: 15
; COMPUTE_PGM_RSRC2:TRAP_HANDLER: 0
; COMPUTE_PGM_RSRC2:TGID_X_EN: 1
; COMPUTE_PGM_RSRC2:TGID_Y_EN: 0
; COMPUTE_PGM_RSRC2:TGID_Z_EN: 0
; COMPUTE_PGM_RSRC2:TIDIG_COMP_CNT: 0
	.section	.text._ZN7rocprim17ROCPRIM_400000_NS6detail17trampoline_kernelINS0_14default_configENS1_29reduce_by_key_config_selectorIffN6thrust23THRUST_200600_302600_NS4plusIfEEEEZZNS1_33reduce_by_key_impl_wrapped_configILNS1_25lookback_scan_determinismE1ES3_S9_NS6_6detail15normal_iteratorINS6_10device_ptrIfEEEESG_SG_SG_PmS8_22is_equal_div_10_reduceIfEEE10hipError_tPvRmT2_T3_mT4_T5_T6_T7_T8_P12ihipStream_tbENKUlT_T0_E_clISt17integral_constantIbLb1EES10_IbLb0EEEEDaSW_SX_EUlSW_E_NS1_11comp_targetILNS1_3genE10ELNS1_11target_archE1201ELNS1_3gpuE5ELNS1_3repE0EEENS1_30default_config_static_selectorELNS0_4arch9wavefront6targetE0EEEvT1_,"axG",@progbits,_ZN7rocprim17ROCPRIM_400000_NS6detail17trampoline_kernelINS0_14default_configENS1_29reduce_by_key_config_selectorIffN6thrust23THRUST_200600_302600_NS4plusIfEEEEZZNS1_33reduce_by_key_impl_wrapped_configILNS1_25lookback_scan_determinismE1ES3_S9_NS6_6detail15normal_iteratorINS6_10device_ptrIfEEEESG_SG_SG_PmS8_22is_equal_div_10_reduceIfEEE10hipError_tPvRmT2_T3_mT4_T5_T6_T7_T8_P12ihipStream_tbENKUlT_T0_E_clISt17integral_constantIbLb1EES10_IbLb0EEEEDaSW_SX_EUlSW_E_NS1_11comp_targetILNS1_3genE10ELNS1_11target_archE1201ELNS1_3gpuE5ELNS1_3repE0EEENS1_30default_config_static_selectorELNS0_4arch9wavefront6targetE0EEEvT1_,comdat
	.protected	_ZN7rocprim17ROCPRIM_400000_NS6detail17trampoline_kernelINS0_14default_configENS1_29reduce_by_key_config_selectorIffN6thrust23THRUST_200600_302600_NS4plusIfEEEEZZNS1_33reduce_by_key_impl_wrapped_configILNS1_25lookback_scan_determinismE1ES3_S9_NS6_6detail15normal_iteratorINS6_10device_ptrIfEEEESG_SG_SG_PmS8_22is_equal_div_10_reduceIfEEE10hipError_tPvRmT2_T3_mT4_T5_T6_T7_T8_P12ihipStream_tbENKUlT_T0_E_clISt17integral_constantIbLb1EES10_IbLb0EEEEDaSW_SX_EUlSW_E_NS1_11comp_targetILNS1_3genE10ELNS1_11target_archE1201ELNS1_3gpuE5ELNS1_3repE0EEENS1_30default_config_static_selectorELNS0_4arch9wavefront6targetE0EEEvT1_ ; -- Begin function _ZN7rocprim17ROCPRIM_400000_NS6detail17trampoline_kernelINS0_14default_configENS1_29reduce_by_key_config_selectorIffN6thrust23THRUST_200600_302600_NS4plusIfEEEEZZNS1_33reduce_by_key_impl_wrapped_configILNS1_25lookback_scan_determinismE1ES3_S9_NS6_6detail15normal_iteratorINS6_10device_ptrIfEEEESG_SG_SG_PmS8_22is_equal_div_10_reduceIfEEE10hipError_tPvRmT2_T3_mT4_T5_T6_T7_T8_P12ihipStream_tbENKUlT_T0_E_clISt17integral_constantIbLb1EES10_IbLb0EEEEDaSW_SX_EUlSW_E_NS1_11comp_targetILNS1_3genE10ELNS1_11target_archE1201ELNS1_3gpuE5ELNS1_3repE0EEENS1_30default_config_static_selectorELNS0_4arch9wavefront6targetE0EEEvT1_
	.globl	_ZN7rocprim17ROCPRIM_400000_NS6detail17trampoline_kernelINS0_14default_configENS1_29reduce_by_key_config_selectorIffN6thrust23THRUST_200600_302600_NS4plusIfEEEEZZNS1_33reduce_by_key_impl_wrapped_configILNS1_25lookback_scan_determinismE1ES3_S9_NS6_6detail15normal_iteratorINS6_10device_ptrIfEEEESG_SG_SG_PmS8_22is_equal_div_10_reduceIfEEE10hipError_tPvRmT2_T3_mT4_T5_T6_T7_T8_P12ihipStream_tbENKUlT_T0_E_clISt17integral_constantIbLb1EES10_IbLb0EEEEDaSW_SX_EUlSW_E_NS1_11comp_targetILNS1_3genE10ELNS1_11target_archE1201ELNS1_3gpuE5ELNS1_3repE0EEENS1_30default_config_static_selectorELNS0_4arch9wavefront6targetE0EEEvT1_
	.p2align	8
	.type	_ZN7rocprim17ROCPRIM_400000_NS6detail17trampoline_kernelINS0_14default_configENS1_29reduce_by_key_config_selectorIffN6thrust23THRUST_200600_302600_NS4plusIfEEEEZZNS1_33reduce_by_key_impl_wrapped_configILNS1_25lookback_scan_determinismE1ES3_S9_NS6_6detail15normal_iteratorINS6_10device_ptrIfEEEESG_SG_SG_PmS8_22is_equal_div_10_reduceIfEEE10hipError_tPvRmT2_T3_mT4_T5_T6_T7_T8_P12ihipStream_tbENKUlT_T0_E_clISt17integral_constantIbLb1EES10_IbLb0EEEEDaSW_SX_EUlSW_E_NS1_11comp_targetILNS1_3genE10ELNS1_11target_archE1201ELNS1_3gpuE5ELNS1_3repE0EEENS1_30default_config_static_selectorELNS0_4arch9wavefront6targetE0EEEvT1_,@function
_ZN7rocprim17ROCPRIM_400000_NS6detail17trampoline_kernelINS0_14default_configENS1_29reduce_by_key_config_selectorIffN6thrust23THRUST_200600_302600_NS4plusIfEEEEZZNS1_33reduce_by_key_impl_wrapped_configILNS1_25lookback_scan_determinismE1ES3_S9_NS6_6detail15normal_iteratorINS6_10device_ptrIfEEEESG_SG_SG_PmS8_22is_equal_div_10_reduceIfEEE10hipError_tPvRmT2_T3_mT4_T5_T6_T7_T8_P12ihipStream_tbENKUlT_T0_E_clISt17integral_constantIbLb1EES10_IbLb0EEEEDaSW_SX_EUlSW_E_NS1_11comp_targetILNS1_3genE10ELNS1_11target_archE1201ELNS1_3gpuE5ELNS1_3repE0EEENS1_30default_config_static_selectorELNS0_4arch9wavefront6targetE0EEEvT1_: ; @_ZN7rocprim17ROCPRIM_400000_NS6detail17trampoline_kernelINS0_14default_configENS1_29reduce_by_key_config_selectorIffN6thrust23THRUST_200600_302600_NS4plusIfEEEEZZNS1_33reduce_by_key_impl_wrapped_configILNS1_25lookback_scan_determinismE1ES3_S9_NS6_6detail15normal_iteratorINS6_10device_ptrIfEEEESG_SG_SG_PmS8_22is_equal_div_10_reduceIfEEE10hipError_tPvRmT2_T3_mT4_T5_T6_T7_T8_P12ihipStream_tbENKUlT_T0_E_clISt17integral_constantIbLb1EES10_IbLb0EEEEDaSW_SX_EUlSW_E_NS1_11comp_targetILNS1_3genE10ELNS1_11target_archE1201ELNS1_3gpuE5ELNS1_3repE0EEENS1_30default_config_static_selectorELNS0_4arch9wavefront6targetE0EEEvT1_
; %bb.0:
	.section	.rodata,"a",@progbits
	.p2align	6, 0x0
	.amdhsa_kernel _ZN7rocprim17ROCPRIM_400000_NS6detail17trampoline_kernelINS0_14default_configENS1_29reduce_by_key_config_selectorIffN6thrust23THRUST_200600_302600_NS4plusIfEEEEZZNS1_33reduce_by_key_impl_wrapped_configILNS1_25lookback_scan_determinismE1ES3_S9_NS6_6detail15normal_iteratorINS6_10device_ptrIfEEEESG_SG_SG_PmS8_22is_equal_div_10_reduceIfEEE10hipError_tPvRmT2_T3_mT4_T5_T6_T7_T8_P12ihipStream_tbENKUlT_T0_E_clISt17integral_constantIbLb1EES10_IbLb0EEEEDaSW_SX_EUlSW_E_NS1_11comp_targetILNS1_3genE10ELNS1_11target_archE1201ELNS1_3gpuE5ELNS1_3repE0EEENS1_30default_config_static_selectorELNS0_4arch9wavefront6targetE0EEEvT1_
		.amdhsa_group_segment_fixed_size 0
		.amdhsa_private_segment_fixed_size 0
		.amdhsa_kernarg_size 120
		.amdhsa_user_sgpr_count 15
		.amdhsa_user_sgpr_dispatch_ptr 0
		.amdhsa_user_sgpr_queue_ptr 0
		.amdhsa_user_sgpr_kernarg_segment_ptr 1
		.amdhsa_user_sgpr_dispatch_id 0
		.amdhsa_user_sgpr_private_segment_size 0
		.amdhsa_wavefront_size32 1
		.amdhsa_uses_dynamic_stack 0
		.amdhsa_enable_private_segment 0
		.amdhsa_system_sgpr_workgroup_id_x 1
		.amdhsa_system_sgpr_workgroup_id_y 0
		.amdhsa_system_sgpr_workgroup_id_z 0
		.amdhsa_system_sgpr_workgroup_info 0
		.amdhsa_system_vgpr_workitem_id 0
		.amdhsa_next_free_vgpr 1
		.amdhsa_next_free_sgpr 1
		.amdhsa_reserve_vcc 0
		.amdhsa_float_round_mode_32 0
		.amdhsa_float_round_mode_16_64 0
		.amdhsa_float_denorm_mode_32 3
		.amdhsa_float_denorm_mode_16_64 3
		.amdhsa_dx10_clamp 1
		.amdhsa_ieee_mode 1
		.amdhsa_fp16_overflow 0
		.amdhsa_workgroup_processor_mode 1
		.amdhsa_memory_ordered 1
		.amdhsa_forward_progress 0
		.amdhsa_shared_vgpr_count 0
		.amdhsa_exception_fp_ieee_invalid_op 0
		.amdhsa_exception_fp_denorm_src 0
		.amdhsa_exception_fp_ieee_div_zero 0
		.amdhsa_exception_fp_ieee_overflow 0
		.amdhsa_exception_fp_ieee_underflow 0
		.amdhsa_exception_fp_ieee_inexact 0
		.amdhsa_exception_int_div_zero 0
	.end_amdhsa_kernel
	.section	.text._ZN7rocprim17ROCPRIM_400000_NS6detail17trampoline_kernelINS0_14default_configENS1_29reduce_by_key_config_selectorIffN6thrust23THRUST_200600_302600_NS4plusIfEEEEZZNS1_33reduce_by_key_impl_wrapped_configILNS1_25lookback_scan_determinismE1ES3_S9_NS6_6detail15normal_iteratorINS6_10device_ptrIfEEEESG_SG_SG_PmS8_22is_equal_div_10_reduceIfEEE10hipError_tPvRmT2_T3_mT4_T5_T6_T7_T8_P12ihipStream_tbENKUlT_T0_E_clISt17integral_constantIbLb1EES10_IbLb0EEEEDaSW_SX_EUlSW_E_NS1_11comp_targetILNS1_3genE10ELNS1_11target_archE1201ELNS1_3gpuE5ELNS1_3repE0EEENS1_30default_config_static_selectorELNS0_4arch9wavefront6targetE0EEEvT1_,"axG",@progbits,_ZN7rocprim17ROCPRIM_400000_NS6detail17trampoline_kernelINS0_14default_configENS1_29reduce_by_key_config_selectorIffN6thrust23THRUST_200600_302600_NS4plusIfEEEEZZNS1_33reduce_by_key_impl_wrapped_configILNS1_25lookback_scan_determinismE1ES3_S9_NS6_6detail15normal_iteratorINS6_10device_ptrIfEEEESG_SG_SG_PmS8_22is_equal_div_10_reduceIfEEE10hipError_tPvRmT2_T3_mT4_T5_T6_T7_T8_P12ihipStream_tbENKUlT_T0_E_clISt17integral_constantIbLb1EES10_IbLb0EEEEDaSW_SX_EUlSW_E_NS1_11comp_targetILNS1_3genE10ELNS1_11target_archE1201ELNS1_3gpuE5ELNS1_3repE0EEENS1_30default_config_static_selectorELNS0_4arch9wavefront6targetE0EEEvT1_,comdat
.Lfunc_end151:
	.size	_ZN7rocprim17ROCPRIM_400000_NS6detail17trampoline_kernelINS0_14default_configENS1_29reduce_by_key_config_selectorIffN6thrust23THRUST_200600_302600_NS4plusIfEEEEZZNS1_33reduce_by_key_impl_wrapped_configILNS1_25lookback_scan_determinismE1ES3_S9_NS6_6detail15normal_iteratorINS6_10device_ptrIfEEEESG_SG_SG_PmS8_22is_equal_div_10_reduceIfEEE10hipError_tPvRmT2_T3_mT4_T5_T6_T7_T8_P12ihipStream_tbENKUlT_T0_E_clISt17integral_constantIbLb1EES10_IbLb0EEEEDaSW_SX_EUlSW_E_NS1_11comp_targetILNS1_3genE10ELNS1_11target_archE1201ELNS1_3gpuE5ELNS1_3repE0EEENS1_30default_config_static_selectorELNS0_4arch9wavefront6targetE0EEEvT1_, .Lfunc_end151-_ZN7rocprim17ROCPRIM_400000_NS6detail17trampoline_kernelINS0_14default_configENS1_29reduce_by_key_config_selectorIffN6thrust23THRUST_200600_302600_NS4plusIfEEEEZZNS1_33reduce_by_key_impl_wrapped_configILNS1_25lookback_scan_determinismE1ES3_S9_NS6_6detail15normal_iteratorINS6_10device_ptrIfEEEESG_SG_SG_PmS8_22is_equal_div_10_reduceIfEEE10hipError_tPvRmT2_T3_mT4_T5_T6_T7_T8_P12ihipStream_tbENKUlT_T0_E_clISt17integral_constantIbLb1EES10_IbLb0EEEEDaSW_SX_EUlSW_E_NS1_11comp_targetILNS1_3genE10ELNS1_11target_archE1201ELNS1_3gpuE5ELNS1_3repE0EEENS1_30default_config_static_selectorELNS0_4arch9wavefront6targetE0EEEvT1_
                                        ; -- End function
	.section	.AMDGPU.csdata,"",@progbits
; Kernel info:
; codeLenInByte = 0
; NumSgprs: 0
; NumVgprs: 0
; ScratchSize: 0
; MemoryBound: 0
; FloatMode: 240
; IeeeMode: 1
; LDSByteSize: 0 bytes/workgroup (compile time only)
; SGPRBlocks: 0
; VGPRBlocks: 0
; NumSGPRsForWavesPerEU: 1
; NumVGPRsForWavesPerEU: 1
; Occupancy: 16
; WaveLimiterHint : 0
; COMPUTE_PGM_RSRC2:SCRATCH_EN: 0
; COMPUTE_PGM_RSRC2:USER_SGPR: 15
; COMPUTE_PGM_RSRC2:TRAP_HANDLER: 0
; COMPUTE_PGM_RSRC2:TGID_X_EN: 1
; COMPUTE_PGM_RSRC2:TGID_Y_EN: 0
; COMPUTE_PGM_RSRC2:TGID_Z_EN: 0
; COMPUTE_PGM_RSRC2:TIDIG_COMP_CNT: 0
	.section	.text._ZN7rocprim17ROCPRIM_400000_NS6detail17trampoline_kernelINS0_14default_configENS1_29reduce_by_key_config_selectorIffN6thrust23THRUST_200600_302600_NS4plusIfEEEEZZNS1_33reduce_by_key_impl_wrapped_configILNS1_25lookback_scan_determinismE1ES3_S9_NS6_6detail15normal_iteratorINS6_10device_ptrIfEEEESG_SG_SG_PmS8_22is_equal_div_10_reduceIfEEE10hipError_tPvRmT2_T3_mT4_T5_T6_T7_T8_P12ihipStream_tbENKUlT_T0_E_clISt17integral_constantIbLb1EES10_IbLb0EEEEDaSW_SX_EUlSW_E_NS1_11comp_targetILNS1_3genE10ELNS1_11target_archE1200ELNS1_3gpuE4ELNS1_3repE0EEENS1_30default_config_static_selectorELNS0_4arch9wavefront6targetE0EEEvT1_,"axG",@progbits,_ZN7rocprim17ROCPRIM_400000_NS6detail17trampoline_kernelINS0_14default_configENS1_29reduce_by_key_config_selectorIffN6thrust23THRUST_200600_302600_NS4plusIfEEEEZZNS1_33reduce_by_key_impl_wrapped_configILNS1_25lookback_scan_determinismE1ES3_S9_NS6_6detail15normal_iteratorINS6_10device_ptrIfEEEESG_SG_SG_PmS8_22is_equal_div_10_reduceIfEEE10hipError_tPvRmT2_T3_mT4_T5_T6_T7_T8_P12ihipStream_tbENKUlT_T0_E_clISt17integral_constantIbLb1EES10_IbLb0EEEEDaSW_SX_EUlSW_E_NS1_11comp_targetILNS1_3genE10ELNS1_11target_archE1200ELNS1_3gpuE4ELNS1_3repE0EEENS1_30default_config_static_selectorELNS0_4arch9wavefront6targetE0EEEvT1_,comdat
	.protected	_ZN7rocprim17ROCPRIM_400000_NS6detail17trampoline_kernelINS0_14default_configENS1_29reduce_by_key_config_selectorIffN6thrust23THRUST_200600_302600_NS4plusIfEEEEZZNS1_33reduce_by_key_impl_wrapped_configILNS1_25lookback_scan_determinismE1ES3_S9_NS6_6detail15normal_iteratorINS6_10device_ptrIfEEEESG_SG_SG_PmS8_22is_equal_div_10_reduceIfEEE10hipError_tPvRmT2_T3_mT4_T5_T6_T7_T8_P12ihipStream_tbENKUlT_T0_E_clISt17integral_constantIbLb1EES10_IbLb0EEEEDaSW_SX_EUlSW_E_NS1_11comp_targetILNS1_3genE10ELNS1_11target_archE1200ELNS1_3gpuE4ELNS1_3repE0EEENS1_30default_config_static_selectorELNS0_4arch9wavefront6targetE0EEEvT1_ ; -- Begin function _ZN7rocprim17ROCPRIM_400000_NS6detail17trampoline_kernelINS0_14default_configENS1_29reduce_by_key_config_selectorIffN6thrust23THRUST_200600_302600_NS4plusIfEEEEZZNS1_33reduce_by_key_impl_wrapped_configILNS1_25lookback_scan_determinismE1ES3_S9_NS6_6detail15normal_iteratorINS6_10device_ptrIfEEEESG_SG_SG_PmS8_22is_equal_div_10_reduceIfEEE10hipError_tPvRmT2_T3_mT4_T5_T6_T7_T8_P12ihipStream_tbENKUlT_T0_E_clISt17integral_constantIbLb1EES10_IbLb0EEEEDaSW_SX_EUlSW_E_NS1_11comp_targetILNS1_3genE10ELNS1_11target_archE1200ELNS1_3gpuE4ELNS1_3repE0EEENS1_30default_config_static_selectorELNS0_4arch9wavefront6targetE0EEEvT1_
	.globl	_ZN7rocprim17ROCPRIM_400000_NS6detail17trampoline_kernelINS0_14default_configENS1_29reduce_by_key_config_selectorIffN6thrust23THRUST_200600_302600_NS4plusIfEEEEZZNS1_33reduce_by_key_impl_wrapped_configILNS1_25lookback_scan_determinismE1ES3_S9_NS6_6detail15normal_iteratorINS6_10device_ptrIfEEEESG_SG_SG_PmS8_22is_equal_div_10_reduceIfEEE10hipError_tPvRmT2_T3_mT4_T5_T6_T7_T8_P12ihipStream_tbENKUlT_T0_E_clISt17integral_constantIbLb1EES10_IbLb0EEEEDaSW_SX_EUlSW_E_NS1_11comp_targetILNS1_3genE10ELNS1_11target_archE1200ELNS1_3gpuE4ELNS1_3repE0EEENS1_30default_config_static_selectorELNS0_4arch9wavefront6targetE0EEEvT1_
	.p2align	8
	.type	_ZN7rocprim17ROCPRIM_400000_NS6detail17trampoline_kernelINS0_14default_configENS1_29reduce_by_key_config_selectorIffN6thrust23THRUST_200600_302600_NS4plusIfEEEEZZNS1_33reduce_by_key_impl_wrapped_configILNS1_25lookback_scan_determinismE1ES3_S9_NS6_6detail15normal_iteratorINS6_10device_ptrIfEEEESG_SG_SG_PmS8_22is_equal_div_10_reduceIfEEE10hipError_tPvRmT2_T3_mT4_T5_T6_T7_T8_P12ihipStream_tbENKUlT_T0_E_clISt17integral_constantIbLb1EES10_IbLb0EEEEDaSW_SX_EUlSW_E_NS1_11comp_targetILNS1_3genE10ELNS1_11target_archE1200ELNS1_3gpuE4ELNS1_3repE0EEENS1_30default_config_static_selectorELNS0_4arch9wavefront6targetE0EEEvT1_,@function
_ZN7rocprim17ROCPRIM_400000_NS6detail17trampoline_kernelINS0_14default_configENS1_29reduce_by_key_config_selectorIffN6thrust23THRUST_200600_302600_NS4plusIfEEEEZZNS1_33reduce_by_key_impl_wrapped_configILNS1_25lookback_scan_determinismE1ES3_S9_NS6_6detail15normal_iteratorINS6_10device_ptrIfEEEESG_SG_SG_PmS8_22is_equal_div_10_reduceIfEEE10hipError_tPvRmT2_T3_mT4_T5_T6_T7_T8_P12ihipStream_tbENKUlT_T0_E_clISt17integral_constantIbLb1EES10_IbLb0EEEEDaSW_SX_EUlSW_E_NS1_11comp_targetILNS1_3genE10ELNS1_11target_archE1200ELNS1_3gpuE4ELNS1_3repE0EEENS1_30default_config_static_selectorELNS0_4arch9wavefront6targetE0EEEvT1_: ; @_ZN7rocprim17ROCPRIM_400000_NS6detail17trampoline_kernelINS0_14default_configENS1_29reduce_by_key_config_selectorIffN6thrust23THRUST_200600_302600_NS4plusIfEEEEZZNS1_33reduce_by_key_impl_wrapped_configILNS1_25lookback_scan_determinismE1ES3_S9_NS6_6detail15normal_iteratorINS6_10device_ptrIfEEEESG_SG_SG_PmS8_22is_equal_div_10_reduceIfEEE10hipError_tPvRmT2_T3_mT4_T5_T6_T7_T8_P12ihipStream_tbENKUlT_T0_E_clISt17integral_constantIbLb1EES10_IbLb0EEEEDaSW_SX_EUlSW_E_NS1_11comp_targetILNS1_3genE10ELNS1_11target_archE1200ELNS1_3gpuE4ELNS1_3repE0EEENS1_30default_config_static_selectorELNS0_4arch9wavefront6targetE0EEEvT1_
; %bb.0:
	.section	.rodata,"a",@progbits
	.p2align	6, 0x0
	.amdhsa_kernel _ZN7rocprim17ROCPRIM_400000_NS6detail17trampoline_kernelINS0_14default_configENS1_29reduce_by_key_config_selectorIffN6thrust23THRUST_200600_302600_NS4plusIfEEEEZZNS1_33reduce_by_key_impl_wrapped_configILNS1_25lookback_scan_determinismE1ES3_S9_NS6_6detail15normal_iteratorINS6_10device_ptrIfEEEESG_SG_SG_PmS8_22is_equal_div_10_reduceIfEEE10hipError_tPvRmT2_T3_mT4_T5_T6_T7_T8_P12ihipStream_tbENKUlT_T0_E_clISt17integral_constantIbLb1EES10_IbLb0EEEEDaSW_SX_EUlSW_E_NS1_11comp_targetILNS1_3genE10ELNS1_11target_archE1200ELNS1_3gpuE4ELNS1_3repE0EEENS1_30default_config_static_selectorELNS0_4arch9wavefront6targetE0EEEvT1_
		.amdhsa_group_segment_fixed_size 0
		.amdhsa_private_segment_fixed_size 0
		.amdhsa_kernarg_size 120
		.amdhsa_user_sgpr_count 15
		.amdhsa_user_sgpr_dispatch_ptr 0
		.amdhsa_user_sgpr_queue_ptr 0
		.amdhsa_user_sgpr_kernarg_segment_ptr 1
		.amdhsa_user_sgpr_dispatch_id 0
		.amdhsa_user_sgpr_private_segment_size 0
		.amdhsa_wavefront_size32 1
		.amdhsa_uses_dynamic_stack 0
		.amdhsa_enable_private_segment 0
		.amdhsa_system_sgpr_workgroup_id_x 1
		.amdhsa_system_sgpr_workgroup_id_y 0
		.amdhsa_system_sgpr_workgroup_id_z 0
		.amdhsa_system_sgpr_workgroup_info 0
		.amdhsa_system_vgpr_workitem_id 0
		.amdhsa_next_free_vgpr 1
		.amdhsa_next_free_sgpr 1
		.amdhsa_reserve_vcc 0
		.amdhsa_float_round_mode_32 0
		.amdhsa_float_round_mode_16_64 0
		.amdhsa_float_denorm_mode_32 3
		.amdhsa_float_denorm_mode_16_64 3
		.amdhsa_dx10_clamp 1
		.amdhsa_ieee_mode 1
		.amdhsa_fp16_overflow 0
		.amdhsa_workgroup_processor_mode 1
		.amdhsa_memory_ordered 1
		.amdhsa_forward_progress 0
		.amdhsa_shared_vgpr_count 0
		.amdhsa_exception_fp_ieee_invalid_op 0
		.amdhsa_exception_fp_denorm_src 0
		.amdhsa_exception_fp_ieee_div_zero 0
		.amdhsa_exception_fp_ieee_overflow 0
		.amdhsa_exception_fp_ieee_underflow 0
		.amdhsa_exception_fp_ieee_inexact 0
		.amdhsa_exception_int_div_zero 0
	.end_amdhsa_kernel
	.section	.text._ZN7rocprim17ROCPRIM_400000_NS6detail17trampoline_kernelINS0_14default_configENS1_29reduce_by_key_config_selectorIffN6thrust23THRUST_200600_302600_NS4plusIfEEEEZZNS1_33reduce_by_key_impl_wrapped_configILNS1_25lookback_scan_determinismE1ES3_S9_NS6_6detail15normal_iteratorINS6_10device_ptrIfEEEESG_SG_SG_PmS8_22is_equal_div_10_reduceIfEEE10hipError_tPvRmT2_T3_mT4_T5_T6_T7_T8_P12ihipStream_tbENKUlT_T0_E_clISt17integral_constantIbLb1EES10_IbLb0EEEEDaSW_SX_EUlSW_E_NS1_11comp_targetILNS1_3genE10ELNS1_11target_archE1200ELNS1_3gpuE4ELNS1_3repE0EEENS1_30default_config_static_selectorELNS0_4arch9wavefront6targetE0EEEvT1_,"axG",@progbits,_ZN7rocprim17ROCPRIM_400000_NS6detail17trampoline_kernelINS0_14default_configENS1_29reduce_by_key_config_selectorIffN6thrust23THRUST_200600_302600_NS4plusIfEEEEZZNS1_33reduce_by_key_impl_wrapped_configILNS1_25lookback_scan_determinismE1ES3_S9_NS6_6detail15normal_iteratorINS6_10device_ptrIfEEEESG_SG_SG_PmS8_22is_equal_div_10_reduceIfEEE10hipError_tPvRmT2_T3_mT4_T5_T6_T7_T8_P12ihipStream_tbENKUlT_T0_E_clISt17integral_constantIbLb1EES10_IbLb0EEEEDaSW_SX_EUlSW_E_NS1_11comp_targetILNS1_3genE10ELNS1_11target_archE1200ELNS1_3gpuE4ELNS1_3repE0EEENS1_30default_config_static_selectorELNS0_4arch9wavefront6targetE0EEEvT1_,comdat
.Lfunc_end152:
	.size	_ZN7rocprim17ROCPRIM_400000_NS6detail17trampoline_kernelINS0_14default_configENS1_29reduce_by_key_config_selectorIffN6thrust23THRUST_200600_302600_NS4plusIfEEEEZZNS1_33reduce_by_key_impl_wrapped_configILNS1_25lookback_scan_determinismE1ES3_S9_NS6_6detail15normal_iteratorINS6_10device_ptrIfEEEESG_SG_SG_PmS8_22is_equal_div_10_reduceIfEEE10hipError_tPvRmT2_T3_mT4_T5_T6_T7_T8_P12ihipStream_tbENKUlT_T0_E_clISt17integral_constantIbLb1EES10_IbLb0EEEEDaSW_SX_EUlSW_E_NS1_11comp_targetILNS1_3genE10ELNS1_11target_archE1200ELNS1_3gpuE4ELNS1_3repE0EEENS1_30default_config_static_selectorELNS0_4arch9wavefront6targetE0EEEvT1_, .Lfunc_end152-_ZN7rocprim17ROCPRIM_400000_NS6detail17trampoline_kernelINS0_14default_configENS1_29reduce_by_key_config_selectorIffN6thrust23THRUST_200600_302600_NS4plusIfEEEEZZNS1_33reduce_by_key_impl_wrapped_configILNS1_25lookback_scan_determinismE1ES3_S9_NS6_6detail15normal_iteratorINS6_10device_ptrIfEEEESG_SG_SG_PmS8_22is_equal_div_10_reduceIfEEE10hipError_tPvRmT2_T3_mT4_T5_T6_T7_T8_P12ihipStream_tbENKUlT_T0_E_clISt17integral_constantIbLb1EES10_IbLb0EEEEDaSW_SX_EUlSW_E_NS1_11comp_targetILNS1_3genE10ELNS1_11target_archE1200ELNS1_3gpuE4ELNS1_3repE0EEENS1_30default_config_static_selectorELNS0_4arch9wavefront6targetE0EEEvT1_
                                        ; -- End function
	.section	.AMDGPU.csdata,"",@progbits
; Kernel info:
; codeLenInByte = 0
; NumSgprs: 0
; NumVgprs: 0
; ScratchSize: 0
; MemoryBound: 0
; FloatMode: 240
; IeeeMode: 1
; LDSByteSize: 0 bytes/workgroup (compile time only)
; SGPRBlocks: 0
; VGPRBlocks: 0
; NumSGPRsForWavesPerEU: 1
; NumVGPRsForWavesPerEU: 1
; Occupancy: 16
; WaveLimiterHint : 0
; COMPUTE_PGM_RSRC2:SCRATCH_EN: 0
; COMPUTE_PGM_RSRC2:USER_SGPR: 15
; COMPUTE_PGM_RSRC2:TRAP_HANDLER: 0
; COMPUTE_PGM_RSRC2:TGID_X_EN: 1
; COMPUTE_PGM_RSRC2:TGID_Y_EN: 0
; COMPUTE_PGM_RSRC2:TGID_Z_EN: 0
; COMPUTE_PGM_RSRC2:TIDIG_COMP_CNT: 0
	.section	.text._ZN7rocprim17ROCPRIM_400000_NS6detail17trampoline_kernelINS0_14default_configENS1_29reduce_by_key_config_selectorIffN6thrust23THRUST_200600_302600_NS4plusIfEEEEZZNS1_33reduce_by_key_impl_wrapped_configILNS1_25lookback_scan_determinismE1ES3_S9_NS6_6detail15normal_iteratorINS6_10device_ptrIfEEEESG_SG_SG_PmS8_22is_equal_div_10_reduceIfEEE10hipError_tPvRmT2_T3_mT4_T5_T6_T7_T8_P12ihipStream_tbENKUlT_T0_E_clISt17integral_constantIbLb1EES10_IbLb0EEEEDaSW_SX_EUlSW_E_NS1_11comp_targetILNS1_3genE9ELNS1_11target_archE1100ELNS1_3gpuE3ELNS1_3repE0EEENS1_30default_config_static_selectorELNS0_4arch9wavefront6targetE0EEEvT1_,"axG",@progbits,_ZN7rocprim17ROCPRIM_400000_NS6detail17trampoline_kernelINS0_14default_configENS1_29reduce_by_key_config_selectorIffN6thrust23THRUST_200600_302600_NS4plusIfEEEEZZNS1_33reduce_by_key_impl_wrapped_configILNS1_25lookback_scan_determinismE1ES3_S9_NS6_6detail15normal_iteratorINS6_10device_ptrIfEEEESG_SG_SG_PmS8_22is_equal_div_10_reduceIfEEE10hipError_tPvRmT2_T3_mT4_T5_T6_T7_T8_P12ihipStream_tbENKUlT_T0_E_clISt17integral_constantIbLb1EES10_IbLb0EEEEDaSW_SX_EUlSW_E_NS1_11comp_targetILNS1_3genE9ELNS1_11target_archE1100ELNS1_3gpuE3ELNS1_3repE0EEENS1_30default_config_static_selectorELNS0_4arch9wavefront6targetE0EEEvT1_,comdat
	.protected	_ZN7rocprim17ROCPRIM_400000_NS6detail17trampoline_kernelINS0_14default_configENS1_29reduce_by_key_config_selectorIffN6thrust23THRUST_200600_302600_NS4plusIfEEEEZZNS1_33reduce_by_key_impl_wrapped_configILNS1_25lookback_scan_determinismE1ES3_S9_NS6_6detail15normal_iteratorINS6_10device_ptrIfEEEESG_SG_SG_PmS8_22is_equal_div_10_reduceIfEEE10hipError_tPvRmT2_T3_mT4_T5_T6_T7_T8_P12ihipStream_tbENKUlT_T0_E_clISt17integral_constantIbLb1EES10_IbLb0EEEEDaSW_SX_EUlSW_E_NS1_11comp_targetILNS1_3genE9ELNS1_11target_archE1100ELNS1_3gpuE3ELNS1_3repE0EEENS1_30default_config_static_selectorELNS0_4arch9wavefront6targetE0EEEvT1_ ; -- Begin function _ZN7rocprim17ROCPRIM_400000_NS6detail17trampoline_kernelINS0_14default_configENS1_29reduce_by_key_config_selectorIffN6thrust23THRUST_200600_302600_NS4plusIfEEEEZZNS1_33reduce_by_key_impl_wrapped_configILNS1_25lookback_scan_determinismE1ES3_S9_NS6_6detail15normal_iteratorINS6_10device_ptrIfEEEESG_SG_SG_PmS8_22is_equal_div_10_reduceIfEEE10hipError_tPvRmT2_T3_mT4_T5_T6_T7_T8_P12ihipStream_tbENKUlT_T0_E_clISt17integral_constantIbLb1EES10_IbLb0EEEEDaSW_SX_EUlSW_E_NS1_11comp_targetILNS1_3genE9ELNS1_11target_archE1100ELNS1_3gpuE3ELNS1_3repE0EEENS1_30default_config_static_selectorELNS0_4arch9wavefront6targetE0EEEvT1_
	.globl	_ZN7rocprim17ROCPRIM_400000_NS6detail17trampoline_kernelINS0_14default_configENS1_29reduce_by_key_config_selectorIffN6thrust23THRUST_200600_302600_NS4plusIfEEEEZZNS1_33reduce_by_key_impl_wrapped_configILNS1_25lookback_scan_determinismE1ES3_S9_NS6_6detail15normal_iteratorINS6_10device_ptrIfEEEESG_SG_SG_PmS8_22is_equal_div_10_reduceIfEEE10hipError_tPvRmT2_T3_mT4_T5_T6_T7_T8_P12ihipStream_tbENKUlT_T0_E_clISt17integral_constantIbLb1EES10_IbLb0EEEEDaSW_SX_EUlSW_E_NS1_11comp_targetILNS1_3genE9ELNS1_11target_archE1100ELNS1_3gpuE3ELNS1_3repE0EEENS1_30default_config_static_selectorELNS0_4arch9wavefront6targetE0EEEvT1_
	.p2align	8
	.type	_ZN7rocprim17ROCPRIM_400000_NS6detail17trampoline_kernelINS0_14default_configENS1_29reduce_by_key_config_selectorIffN6thrust23THRUST_200600_302600_NS4plusIfEEEEZZNS1_33reduce_by_key_impl_wrapped_configILNS1_25lookback_scan_determinismE1ES3_S9_NS6_6detail15normal_iteratorINS6_10device_ptrIfEEEESG_SG_SG_PmS8_22is_equal_div_10_reduceIfEEE10hipError_tPvRmT2_T3_mT4_T5_T6_T7_T8_P12ihipStream_tbENKUlT_T0_E_clISt17integral_constantIbLb1EES10_IbLb0EEEEDaSW_SX_EUlSW_E_NS1_11comp_targetILNS1_3genE9ELNS1_11target_archE1100ELNS1_3gpuE3ELNS1_3repE0EEENS1_30default_config_static_selectorELNS0_4arch9wavefront6targetE0EEEvT1_,@function
_ZN7rocprim17ROCPRIM_400000_NS6detail17trampoline_kernelINS0_14default_configENS1_29reduce_by_key_config_selectorIffN6thrust23THRUST_200600_302600_NS4plusIfEEEEZZNS1_33reduce_by_key_impl_wrapped_configILNS1_25lookback_scan_determinismE1ES3_S9_NS6_6detail15normal_iteratorINS6_10device_ptrIfEEEESG_SG_SG_PmS8_22is_equal_div_10_reduceIfEEE10hipError_tPvRmT2_T3_mT4_T5_T6_T7_T8_P12ihipStream_tbENKUlT_T0_E_clISt17integral_constantIbLb1EES10_IbLb0EEEEDaSW_SX_EUlSW_E_NS1_11comp_targetILNS1_3genE9ELNS1_11target_archE1100ELNS1_3gpuE3ELNS1_3repE0EEENS1_30default_config_static_selectorELNS0_4arch9wavefront6targetE0EEEvT1_: ; @_ZN7rocprim17ROCPRIM_400000_NS6detail17trampoline_kernelINS0_14default_configENS1_29reduce_by_key_config_selectorIffN6thrust23THRUST_200600_302600_NS4plusIfEEEEZZNS1_33reduce_by_key_impl_wrapped_configILNS1_25lookback_scan_determinismE1ES3_S9_NS6_6detail15normal_iteratorINS6_10device_ptrIfEEEESG_SG_SG_PmS8_22is_equal_div_10_reduceIfEEE10hipError_tPvRmT2_T3_mT4_T5_T6_T7_T8_P12ihipStream_tbENKUlT_T0_E_clISt17integral_constantIbLb1EES10_IbLb0EEEEDaSW_SX_EUlSW_E_NS1_11comp_targetILNS1_3genE9ELNS1_11target_archE1100ELNS1_3gpuE3ELNS1_3repE0EEENS1_30default_config_static_selectorELNS0_4arch9wavefront6targetE0EEEvT1_
; %bb.0:
	s_clause 0x4
	s_load_b256 s[16:23], s[0:1], 0x0
	s_load_b256 s[24:31], s[0:1], 0x38
	s_load_b128 s[36:39], s[0:1], 0x20
	s_load_b64 s[34:35], s[0:1], 0x68
	s_load_b128 s[40:43], s[0:1], 0x58
	s_mov_b32 s3, 0
	s_mul_i32 s2, s15, 0xf00
	s_waitcnt lgkmcnt(0)
	s_lshl_b64 s[0:1], s[18:19], 2
	s_mul_i32 s4, s28, s27
	s_add_u32 s8, s16, s0
	s_mul_hi_u32 s5, s28, s26
	s_addc_u32 s9, s17, s1
	s_add_u32 s10, s20, s0
	s_mul_i32 s6, s29, s26
	s_addc_u32 s11, s21, s1
	s_add_i32 s4, s5, s4
	s_lshl_b64 s[0:1], s[2:3], 2
	s_add_i32 s4, s4, s6
	s_add_u32 s14, s8, s0
	s_addc_u32 s18, s9, s1
	s_mul_i32 s7, s28, s26
	s_add_u32 s28, s10, s0
	s_addc_u32 s29, s11, s1
	s_add_u32 s16, s7, s15
	s_addc_u32 s17, s4, 0
	s_add_u32 s0, s30, -1
	s_addc_u32 s1, s31, -1
	s_mul_i32 s21, s0, 0xfffff100
	s_cmp_eq_u64 s[16:17], s[0:1]
	s_cselect_b32 s20, -1, 0
	s_cmp_lg_u64 s[16:17], s[0:1]
	s_cselect_b32 s19, -1, 0
	s_and_b32 vcc_lo, exec_lo, s20
	s_cbranch_vccnz .LBB153_2
; %bb.1:
	v_lshlrev_b32_e32 v8, 2, v0
	s_delay_alu instid0(VALU_DEP_1) | instskip(NEXT) | instid1(VALU_DEP_1)
	v_add_co_u32 v1, s0, s14, v8
	v_add_co_ci_u32_e64 v2, null, s18, 0, s0
	s_delay_alu instid0(VALU_DEP_2) | instskip(NEXT) | instid1(VALU_DEP_2)
	v_add_co_u32 v3, vcc_lo, 0x1000, v1
	v_add_co_ci_u32_e32 v4, vcc_lo, 0, v2, vcc_lo
	s_clause 0x7
	flat_load_b32 v9, v[1:2]
	flat_load_b32 v10, v[1:2] offset:1024
	flat_load_b32 v11, v[1:2] offset:2048
	;; [unrolled: 1-line block ×3, first 2 shown]
	flat_load_b32 v13, v[3:4]
	flat_load_b32 v14, v[3:4] offset:1024
	flat_load_b32 v15, v[3:4] offset:2048
	;; [unrolled: 1-line block ×3, first 2 shown]
	v_add_co_u32 v3, vcc_lo, 0x2000, v1
	v_add_co_ci_u32_e32 v4, vcc_lo, 0, v2, vcc_lo
	v_add_co_u32 v1, vcc_lo, 0x3000, v1
	v_add_co_ci_u32_e32 v2, vcc_lo, 0, v2, vcc_lo
	s_clause 0x6
	flat_load_b32 v17, v[3:4]
	flat_load_b32 v18, v[3:4] offset:1024
	flat_load_b32 v19, v[3:4] offset:2048
	;; [unrolled: 1-line block ×3, first 2 shown]
	flat_load_b32 v21, v[1:2]
	flat_load_b32 v22, v[1:2] offset:1024
	flat_load_b32 v25, v[1:2] offset:2048
	v_add_co_u32 v2, s0, s28, v8
	s_delay_alu instid0(VALU_DEP_1) | instskip(SKIP_1) | instid1(VALU_DEP_3)
	v_add_co_ci_u32_e64 v3, null, s29, 0, s0
	v_mad_u32_u24 v1, v0, 56, v8
	v_add_co_u32 v4, vcc_lo, 0x1000, v2
	s_delay_alu instid0(VALU_DEP_3)
	v_add_co_ci_u32_e32 v5, vcc_lo, 0, v3, vcc_lo
	v_add_co_u32 v6, vcc_lo, 0x2000, v2
	v_add_co_ci_u32_e32 v7, vcc_lo, 0, v3, vcc_lo
	v_add_co_u32 v23, vcc_lo, 0x3000, v2
	v_add_co_ci_u32_e32 v24, vcc_lo, 0, v3, vcc_lo
	s_waitcnt vmcnt(13) lgkmcnt(13)
	ds_store_2addr_stride64_b32 v8, v9, v10 offset1:4
	s_waitcnt vmcnt(11) lgkmcnt(12)
	ds_store_2addr_stride64_b32 v8, v11, v12 offset0:8 offset1:12
	s_waitcnt vmcnt(9) lgkmcnt(11)
	ds_store_2addr_stride64_b32 v8, v13, v14 offset0:16 offset1:20
	;; [unrolled: 2-line block ×6, first 2 shown]
	s_waitcnt vmcnt(0) lgkmcnt(7)
	ds_store_b32 v8, v25 offset:14336
	s_waitcnt lgkmcnt(0)
	s_barrier
	buffer_gl0_inv
	ds_load_2addr_b32 v[21:22], v1 offset1:1
	ds_load_2addr_b32 v[19:20], v1 offset0:2 offset1:3
	ds_load_2addr_b32 v[17:18], v1 offset0:4 offset1:5
	;; [unrolled: 1-line block ×6, first 2 shown]
	ds_load_b32 v57, v1 offset:56
	s_waitcnt lgkmcnt(0)
	s_barrier
	buffer_gl0_inv
	s_clause 0xe
	flat_load_b32 v25, v[2:3]
	flat_load_b32 v26, v[2:3] offset:1024
	flat_load_b32 v27, v[2:3] offset:2048
	flat_load_b32 v2, v[2:3] offset:3072
	flat_load_b32 v3, v[4:5]
	flat_load_b32 v28, v[4:5] offset:1024
	flat_load_b32 v29, v[4:5] offset:2048
	flat_load_b32 v4, v[4:5] offset:3072
	;; [unrolled: 4-line block ×3, first 2 shown]
	flat_load_b32 v7, v[23:24]
	flat_load_b32 v32, v[23:24] offset:1024
	flat_load_b32 v23, v[23:24] offset:2048
	s_waitcnt vmcnt(13) lgkmcnt(13)
	ds_store_2addr_stride64_b32 v8, v25, v26 offset1:4
	s_waitcnt vmcnt(11) lgkmcnt(12)
	ds_store_2addr_stride64_b32 v8, v27, v2 offset0:8 offset1:12
	s_waitcnt vmcnt(9) lgkmcnt(11)
	ds_store_2addr_stride64_b32 v8, v3, v28 offset0:16 offset1:20
	;; [unrolled: 2-line block ×6, first 2 shown]
	s_waitcnt vmcnt(0) lgkmcnt(7)
	ds_store_b32 v8, v23 offset:14336
	s_waitcnt lgkmcnt(0)
	s_barrier
	s_and_not1_b32 vcc_lo, exec_lo, s3
	s_add_i32 s21, s21, s40
	s_cbranch_vccz .LBB153_3
	s_branch .LBB153_50
.LBB153_2:
                                        ; implicit-def: $vgpr1
                                        ; implicit-def: $vgpr21
                                        ; implicit-def: $vgpr19
                                        ; implicit-def: $vgpr17
                                        ; implicit-def: $vgpr15
                                        ; implicit-def: $vgpr13
                                        ; implicit-def: $vgpr11
                                        ; implicit-def: $vgpr9
                                        ; implicit-def: $vgpr57
	s_add_i32 s21, s21, s40
.LBB153_3:
	s_delay_alu instid0(SALU_CYCLE_1)
	v_cmp_gt_u32_e32 vcc_lo, s21, v0
                                        ; implicit-def: $vgpr1
	s_and_saveexec_b32 s0, vcc_lo
	s_cbranch_execz .LBB153_5
; %bb.4:
	v_lshlrev_b32_e32 v1, 2, v0
	s_delay_alu instid0(VALU_DEP_1) | instskip(NEXT) | instid1(VALU_DEP_1)
	v_add_co_u32 v1, s1, s14, v1
	v_add_co_ci_u32_e64 v2, null, s18, 0, s1
	flat_load_b32 v1, v[1:2]
.LBB153_5:
	s_or_b32 exec_lo, exec_lo, s0
	v_or_b32_e32 v2, 0x100, v0
                                        ; implicit-def: $vgpr9
	s_delay_alu instid0(VALU_DEP_1) | instskip(NEXT) | instid1(VALU_DEP_1)
	v_cmp_gt_u32_e64 s0, s21, v2
	s_and_saveexec_b32 s1, s0
	s_cbranch_execz .LBB153_7
; %bb.6:
	v_lshlrev_b32_e32 v2, 2, v0
	s_delay_alu instid0(VALU_DEP_1) | instskip(NEXT) | instid1(VALU_DEP_1)
	v_add_co_u32 v2, s2, s14, v2
	v_add_co_ci_u32_e64 v3, null, s18, 0, s2
	flat_load_b32 v9, v[2:3] offset:1024
.LBB153_7:
	s_or_b32 exec_lo, exec_lo, s1
	v_or_b32_e32 v2, 0x200, v0
                                        ; implicit-def: $vgpr10
	s_delay_alu instid0(VALU_DEP_1) | instskip(NEXT) | instid1(VALU_DEP_1)
	v_cmp_gt_u32_e64 s1, s21, v2
	s_and_saveexec_b32 s2, s1
	s_cbranch_execz .LBB153_9
; %bb.8:
	v_lshlrev_b32_e32 v2, 2, v0
	s_delay_alu instid0(VALU_DEP_1) | instskip(NEXT) | instid1(VALU_DEP_1)
	v_add_co_u32 v2, s3, s14, v2
	v_add_co_ci_u32_e64 v3, null, s18, 0, s3
	flat_load_b32 v10, v[2:3] offset:2048
.LBB153_9:
	s_or_b32 exec_lo, exec_lo, s2
	v_or_b32_e32 v2, 0x300, v0
                                        ; implicit-def: $vgpr11
	s_delay_alu instid0(VALU_DEP_1) | instskip(NEXT) | instid1(VALU_DEP_1)
	v_cmp_gt_u32_e64 s2, s21, v2
	s_and_saveexec_b32 s3, s2
	s_cbranch_execz .LBB153_11
; %bb.10:
	v_lshlrev_b32_e32 v2, 2, v0
	s_delay_alu instid0(VALU_DEP_1) | instskip(NEXT) | instid1(VALU_DEP_1)
	v_add_co_u32 v2, s4, s14, v2
	v_add_co_ci_u32_e64 v3, null, s18, 0, s4
	flat_load_b32 v11, v[2:3] offset:3072
.LBB153_11:
	s_or_b32 exec_lo, exec_lo, s3
	v_or_b32_e32 v2, 0x400, v0
                                        ; implicit-def: $vgpr12
	s_delay_alu instid0(VALU_DEP_1) | instskip(NEXT) | instid1(VALU_DEP_1)
	v_cmp_gt_u32_e64 s3, s21, v2
	s_and_saveexec_b32 s4, s3
	s_cbranch_execz .LBB153_13
; %bb.12:
	v_lshlrev_b32_e32 v3, 2, v2
	s_delay_alu instid0(VALU_DEP_1) | instskip(NEXT) | instid1(VALU_DEP_1)
	v_add_co_u32 v3, s5, s14, v3
	v_add_co_ci_u32_e64 v4, null, s18, 0, s5
	flat_load_b32 v12, v[3:4]
.LBB153_13:
	s_or_b32 exec_lo, exec_lo, s4
	v_or_b32_e32 v3, 0x500, v0
                                        ; implicit-def: $vgpr13
	s_delay_alu instid0(VALU_DEP_1) | instskip(NEXT) | instid1(VALU_DEP_1)
	v_cmp_gt_u32_e64 s4, s21, v3
	s_and_saveexec_b32 s5, s4
	s_cbranch_execz .LBB153_15
; %bb.14:
	v_lshlrev_b32_e32 v4, 2, v3
	s_delay_alu instid0(VALU_DEP_1) | instskip(NEXT) | instid1(VALU_DEP_1)
	v_add_co_u32 v4, s6, s14, v4
	v_add_co_ci_u32_e64 v5, null, s18, 0, s6
	flat_load_b32 v13, v[4:5]
.LBB153_15:
	s_or_b32 exec_lo, exec_lo, s5
	v_or_b32_e32 v4, 0x600, v0
                                        ; implicit-def: $vgpr14
	s_delay_alu instid0(VALU_DEP_1) | instskip(NEXT) | instid1(VALU_DEP_1)
	v_cmp_gt_u32_e64 s5, s21, v4
	s_and_saveexec_b32 s6, s5
	s_cbranch_execz .LBB153_17
; %bb.16:
	v_lshlrev_b32_e32 v5, 2, v4
	s_delay_alu instid0(VALU_DEP_1) | instskip(NEXT) | instid1(VALU_DEP_1)
	v_add_co_u32 v5, s7, s14, v5
	v_add_co_ci_u32_e64 v6, null, s18, 0, s7
	flat_load_b32 v14, v[5:6]
.LBB153_17:
	s_or_b32 exec_lo, exec_lo, s6
	v_or_b32_e32 v5, 0x700, v0
                                        ; implicit-def: $vgpr15
	s_delay_alu instid0(VALU_DEP_1) | instskip(NEXT) | instid1(VALU_DEP_1)
	v_cmp_gt_u32_e64 s6, s21, v5
	s_and_saveexec_b32 s7, s6
	s_cbranch_execz .LBB153_19
; %bb.18:
	v_lshlrev_b32_e32 v6, 2, v5
	s_delay_alu instid0(VALU_DEP_1) | instskip(NEXT) | instid1(VALU_DEP_1)
	v_add_co_u32 v6, s8, s14, v6
	v_add_co_ci_u32_e64 v7, null, s18, 0, s8
	flat_load_b32 v15, v[6:7]
.LBB153_19:
	s_or_b32 exec_lo, exec_lo, s7
	v_or_b32_e32 v6, 0x800, v0
                                        ; implicit-def: $vgpr16
	s_delay_alu instid0(VALU_DEP_1) | instskip(NEXT) | instid1(VALU_DEP_1)
	v_cmp_gt_u32_e64 s7, s21, v6
	s_and_saveexec_b32 s8, s7
	s_cbranch_execz .LBB153_21
; %bb.20:
	v_lshlrev_b32_e32 v7, 2, v6
	s_delay_alu instid0(VALU_DEP_1) | instskip(NEXT) | instid1(VALU_DEP_1)
	v_add_co_u32 v7, s9, s14, v7
	v_add_co_ci_u32_e64 v8, null, s18, 0, s9
	flat_load_b32 v16, v[7:8]
.LBB153_21:
	s_or_b32 exec_lo, exec_lo, s8
	v_or_b32_e32 v8, 0x900, v0
                                        ; implicit-def: $vgpr17
	s_delay_alu instid0(VALU_DEP_1) | instskip(NEXT) | instid1(VALU_DEP_1)
	v_cmp_gt_u32_e64 s8, s21, v8
	s_and_saveexec_b32 s9, s8
	s_cbranch_execz .LBB153_23
; %bb.22:
	v_lshlrev_b32_e32 v7, 2, v8
	s_delay_alu instid0(VALU_DEP_1) | instskip(NEXT) | instid1(VALU_DEP_1)
	v_add_co_u32 v17, s10, s14, v7
	v_add_co_ci_u32_e64 v18, null, s18, 0, s10
	flat_load_b32 v17, v[17:18]
.LBB153_23:
	s_or_b32 exec_lo, exec_lo, s9
	v_or_b32_e32 v23, 0xa00, v0
                                        ; implicit-def: $vgpr18
	s_delay_alu instid0(VALU_DEP_1) | instskip(NEXT) | instid1(VALU_DEP_1)
	v_cmp_gt_u32_e64 s9, s21, v23
	s_and_saveexec_b32 s10, s9
	s_cbranch_execz .LBB153_25
; %bb.24:
	v_lshlrev_b32_e32 v7, 2, v23
	s_delay_alu instid0(VALU_DEP_1) | instskip(NEXT) | instid1(VALU_DEP_1)
	v_add_co_u32 v18, s11, s14, v7
	v_add_co_ci_u32_e64 v19, null, s18, 0, s11
	flat_load_b32 v18, v[18:19]
.LBB153_25:
	s_or_b32 exec_lo, exec_lo, s10
	v_or_b32_e32 v24, 0xb00, v0
                                        ; implicit-def: $vgpr19
	s_delay_alu instid0(VALU_DEP_1) | instskip(NEXT) | instid1(VALU_DEP_1)
	v_cmp_gt_u32_e64 s10, s21, v24
	s_and_saveexec_b32 s11, s10
	s_cbranch_execz .LBB153_27
; %bb.26:
	v_lshlrev_b32_e32 v7, 2, v24
	s_delay_alu instid0(VALU_DEP_1) | instskip(NEXT) | instid1(VALU_DEP_1)
	v_add_co_u32 v19, s12, s14, v7
	v_add_co_ci_u32_e64 v20, null, s18, 0, s12
	flat_load_b32 v19, v[19:20]
.LBB153_27:
	s_or_b32 exec_lo, exec_lo, s11
	v_or_b32_e32 v25, 0xc00, v0
                                        ; implicit-def: $vgpr20
	s_delay_alu instid0(VALU_DEP_1) | instskip(NEXT) | instid1(VALU_DEP_1)
	v_cmp_gt_u32_e64 s11, s21, v25
	s_and_saveexec_b32 s12, s11
	s_cbranch_execz .LBB153_29
; %bb.28:
	v_lshlrev_b32_e32 v7, 2, v25
	s_delay_alu instid0(VALU_DEP_1) | instskip(NEXT) | instid1(VALU_DEP_1)
	v_add_co_u32 v20, s13, s14, v7
	v_add_co_ci_u32_e64 v21, null, s18, 0, s13
	flat_load_b32 v20, v[20:21]
.LBB153_29:
	s_or_b32 exec_lo, exec_lo, s12
	v_or_b32_e32 v26, 0xd00, v0
                                        ; implicit-def: $vgpr21
	s_delay_alu instid0(VALU_DEP_1) | instskip(NEXT) | instid1(VALU_DEP_1)
	v_cmp_gt_u32_e64 s12, s21, v26
	s_and_saveexec_b32 s13, s12
	s_cbranch_execz .LBB153_31
; %bb.30:
	v_lshlrev_b32_e32 v7, 2, v26
	s_delay_alu instid0(VALU_DEP_1) | instskip(NEXT) | instid1(VALU_DEP_1)
	v_add_co_u32 v21, s30, s14, v7
	v_add_co_ci_u32_e64 v22, null, s18, 0, s30
	flat_load_b32 v21, v[21:22]
.LBB153_31:
	s_or_b32 exec_lo, exec_lo, s13
	v_or_b32_e32 v27, 0xe00, v0
                                        ; implicit-def: $vgpr22
	s_delay_alu instid0(VALU_DEP_1) | instskip(NEXT) | instid1(VALU_DEP_1)
	v_cmp_gt_u32_e64 s13, s21, v27
	s_and_saveexec_b32 s30, s13
	s_cbranch_execz .LBB153_33
; %bb.32:
	v_lshlrev_b32_e32 v7, 2, v27
	s_delay_alu instid0(VALU_DEP_1) | instskip(NEXT) | instid1(VALU_DEP_1)
	v_add_co_u32 v28, s31, s14, v7
	v_add_co_ci_u32_e64 v29, null, s18, 0, s31
	flat_load_b32 v22, v[28:29]
.LBB153_33:
	s_or_b32 exec_lo, exec_lo, s30
	v_lshlrev_b32_e32 v7, 2, v0
                                        ; implicit-def: $vgpr28
	s_waitcnt vmcnt(0) lgkmcnt(0)
	ds_store_2addr_stride64_b32 v7, v1, v9 offset1:4
	ds_store_2addr_stride64_b32 v7, v10, v11 offset0:8 offset1:12
	ds_store_2addr_stride64_b32 v7, v12, v13 offset0:16 offset1:20
	;; [unrolled: 1-line block ×6, first 2 shown]
	v_mad_u32_u24 v1, v0, 56, v7
	ds_store_b32 v7, v22 offset:14336
	s_waitcnt lgkmcnt(0)
	s_barrier
	buffer_gl0_inv
	ds_load_2addr_b32 v[21:22], v1 offset1:1
	ds_load_2addr_b32 v[19:20], v1 offset0:2 offset1:3
	ds_load_2addr_b32 v[17:18], v1 offset0:4 offset1:5
	;; [unrolled: 1-line block ×6, first 2 shown]
	ds_load_b32 v57, v1 offset:56
	s_waitcnt lgkmcnt(0)
	s_barrier
	buffer_gl0_inv
	s_and_saveexec_b32 s30, vcc_lo
	s_cbranch_execz .LBB153_56
; %bb.34:
	v_add_co_u32 v28, s31, s28, v7
	s_delay_alu instid0(VALU_DEP_1)
	v_add_co_ci_u32_e64 v29, null, s29, 0, s31
	flat_load_b32 v28, v[28:29]
	s_or_b32 exec_lo, exec_lo, s30
                                        ; implicit-def: $vgpr29
	s_and_saveexec_b32 s30, s0
	s_cbranch_execnz .LBB153_57
.LBB153_35:
	s_or_b32 exec_lo, exec_lo, s30
                                        ; implicit-def: $vgpr30
	s_and_saveexec_b32 s0, s1
	s_cbranch_execz .LBB153_58
.LBB153_36:
	v_add_co_u32 v30, s1, s28, v7
	s_delay_alu instid0(VALU_DEP_1)
	v_add_co_ci_u32_e64 v31, null, s29, 0, s1
	flat_load_b32 v30, v[30:31] offset:2048
	s_or_b32 exec_lo, exec_lo, s0
                                        ; implicit-def: $vgpr31
	s_and_saveexec_b32 s0, s2
	s_cbranch_execnz .LBB153_59
.LBB153_37:
	s_or_b32 exec_lo, exec_lo, s0
                                        ; implicit-def: $vgpr32
	s_and_saveexec_b32 s0, s3
	s_cbranch_execz .LBB153_60
.LBB153_38:
	v_lshlrev_b32_e32 v2, 2, v2
	s_delay_alu instid0(VALU_DEP_1) | instskip(NEXT) | instid1(VALU_DEP_1)
	v_add_co_u32 v32, s1, s28, v2
	v_add_co_ci_u32_e64 v33, null, s29, 0, s1
	flat_load_b32 v32, v[32:33]
	s_or_b32 exec_lo, exec_lo, s0
                                        ; implicit-def: $vgpr2
	s_and_saveexec_b32 s0, s4
	s_cbranch_execnz .LBB153_61
.LBB153_39:
	s_or_b32 exec_lo, exec_lo, s0
                                        ; implicit-def: $vgpr3
	s_and_saveexec_b32 s0, s5
	s_cbranch_execz .LBB153_62
.LBB153_40:
	v_lshlrev_b32_e32 v3, 2, v4
	s_delay_alu instid0(VALU_DEP_1) | instskip(NEXT) | instid1(VALU_DEP_1)
	v_add_co_u32 v3, s1, s28, v3
	v_add_co_ci_u32_e64 v4, null, s29, 0, s1
	flat_load_b32 v3, v[3:4]
	s_or_b32 exec_lo, exec_lo, s0
                                        ; implicit-def: $vgpr4
	s_and_saveexec_b32 s0, s6
	s_cbranch_execnz .LBB153_63
.LBB153_41:
	s_or_b32 exec_lo, exec_lo, s0
                                        ; implicit-def: $vgpr5
	s_and_saveexec_b32 s0, s7
	s_cbranch_execz .LBB153_64
.LBB153_42:
	v_lshlrev_b32_e32 v5, 2, v6
	s_delay_alu instid0(VALU_DEP_1) | instskip(NEXT) | instid1(VALU_DEP_1)
	v_add_co_u32 v5, s1, s28, v5
	v_add_co_ci_u32_e64 v6, null, s29, 0, s1
	flat_load_b32 v5, v[5:6]
	s_or_b32 exec_lo, exec_lo, s0
                                        ; implicit-def: $vgpr6
	s_and_saveexec_b32 s0, s8
	s_cbranch_execnz .LBB153_65
.LBB153_43:
	s_or_b32 exec_lo, exec_lo, s0
                                        ; implicit-def: $vgpr8
	s_and_saveexec_b32 s0, s9
	s_cbranch_execz .LBB153_66
.LBB153_44:
	v_lshlrev_b32_e32 v8, 2, v23
	s_delay_alu instid0(VALU_DEP_1) | instskip(NEXT) | instid1(VALU_DEP_1)
	v_add_co_u32 v33, s1, s28, v8
	v_add_co_ci_u32_e64 v34, null, s29, 0, s1
	flat_load_b32 v8, v[33:34]
	s_or_b32 exec_lo, exec_lo, s0
                                        ; implicit-def: $vgpr23
	s_and_saveexec_b32 s0, s10
	s_cbranch_execnz .LBB153_67
.LBB153_45:
	s_or_b32 exec_lo, exec_lo, s0
                                        ; implicit-def: $vgpr24
	s_and_saveexec_b32 s0, s11
	s_cbranch_execz .LBB153_68
.LBB153_46:
	v_lshlrev_b32_e32 v24, 2, v25
	s_delay_alu instid0(VALU_DEP_1) | instskip(NEXT) | instid1(VALU_DEP_1)
	v_add_co_u32 v24, s1, s28, v24
	v_add_co_ci_u32_e64 v25, null, s29, 0, s1
	flat_load_b32 v24, v[24:25]
	s_or_b32 exec_lo, exec_lo, s0
                                        ; implicit-def: $vgpr25
	s_and_saveexec_b32 s0, s12
	s_cbranch_execnz .LBB153_69
.LBB153_47:
	s_or_b32 exec_lo, exec_lo, s0
                                        ; implicit-def: $vgpr26
	s_and_saveexec_b32 s0, s13
	s_cbranch_execz .LBB153_49
.LBB153_48:
	v_lshlrev_b32_e32 v26, 2, v27
	s_delay_alu instid0(VALU_DEP_1) | instskip(NEXT) | instid1(VALU_DEP_1)
	v_add_co_u32 v26, s1, s28, v26
	v_add_co_ci_u32_e64 v27, null, s29, 0, s1
	flat_load_b32 v26, v[26:27]
.LBB153_49:
	s_or_b32 exec_lo, exec_lo, s0
	s_waitcnt vmcnt(0) lgkmcnt(0)
	ds_store_2addr_stride64_b32 v7, v28, v29 offset1:4
	ds_store_2addr_stride64_b32 v7, v30, v31 offset0:8 offset1:12
	ds_store_2addr_stride64_b32 v7, v32, v2 offset0:16 offset1:20
	ds_store_2addr_stride64_b32 v7, v3, v4 offset0:24 offset1:28
	ds_store_2addr_stride64_b32 v7, v5, v6 offset0:32 offset1:36
	ds_store_2addr_stride64_b32 v7, v8, v23 offset0:40 offset1:44
	ds_store_2addr_stride64_b32 v7, v24, v25 offset0:48 offset1:52
	ds_store_b32 v7, v26 offset:14336
	s_waitcnt lgkmcnt(0)
	s_barrier
.LBB153_50:
	buffer_gl0_inv
	ds_load_2addr_b32 v[47:48], v1 offset1:1
	ds_load_2addr_b32 v[45:46], v1 offset0:2 offset1:3
	ds_load_2addr_b32 v[43:44], v1 offset0:4 offset1:5
	;; [unrolled: 1-line block ×6, first 2 shown]
	ds_load_b32 v59, v1 offset:56
	s_cmp_eq_u64 s[16:17], 0
	s_waitcnt lgkmcnt(0)
	s_cselect_b32 s28, -1, 0
	s_cmp_lg_u64 s[16:17], 0
	s_barrier
	s_cselect_b32 s29, -1, 0
	s_and_b32 vcc_lo, exec_lo, s19
	buffer_gl0_inv
	s_cbranch_vccz .LBB153_70
; %bb.51:
	s_and_b32 vcc_lo, exec_lo, s29
	s_cbranch_vccz .LBB153_110
; %bb.52:
	v_add_co_u32 v1, s0, -4, s14
	s_delay_alu instid0(VALU_DEP_1)
	v_add_co_ci_u32_e64 v2, null, -1, s18, s0
	v_cvt_i32_f32_e32 v4, v57
	v_cvt_i32_f32_e32 v5, v9
	;; [unrolled: 1-line block ×3, first 2 shown]
	flat_load_b32 v1, v[1:2]
	v_cvt_i32_f32_e32 v2, v10
	v_mul_hi_i32 v4, 0x66666667, v4
	v_mul_hi_i32 v5, 0x66666667, v5
	;; [unrolled: 1-line block ×3, first 2 shown]
	v_cvt_i32_f32_e32 v23, v11
	v_mul_hi_i32 v3, 0x66666667, v2
	v_cvt_i32_f32_e32 v25, v18
	v_lshlrev_b32_e32 v2, 2, v0
	s_mov_b32 s19, -1
	s_mov_b32 s30, 0
	v_lshrrev_b32_e32 v8, 31, v5
	v_ashrrev_i32_e32 v5, 2, v5
	v_lshrrev_b32_e32 v24, 31, v7
	v_lshrrev_b32_e32 v6, 31, v3
	v_ashrrev_i32_e32 v3, 2, v3
	v_ashrrev_i32_e32 v7, 2, v7
	v_add_nc_u32_e32 v5, v5, v8
	v_cvt_i32_f32_e32 v8, v14
	v_mul_hi_i32 v25, 0x66666667, v25
	v_add_nc_u32_e32 v3, v3, v6
	v_lshrrev_b32_e32 v6, 31, v4
	v_ashrrev_i32_e32 v4, 2, v4
	v_add_nc_u32_e32 v7, v7, v24
	s_mov_b32 s31, exec_lo
	v_cmp_ne_u32_e64 s0, v5, v3
	ds_store_b32 v2, v57
	v_add_nc_u32_e32 v4, v4, v6
	v_mul_hi_i32 v6, 0x66666667, v23
	v_cmp_ne_u32_e64 s1, v7, v5
	v_cvt_i32_f32_e32 v5, v16
	v_cvt_i32_f32_e32 v23, v15
	v_cmp_ne_u32_e32 vcc_lo, v3, v4
	v_cvt_i32_f32_e32 v3, v13
	v_mul_hi_i32 v4, 0x66666667, v8
	v_mul_hi_i32 v5, 0x66666667, v5
	v_lshrrev_b32_e32 v8, 31, v6
	v_ashrrev_i32_e32 v6, 2, v6
	v_mul_hi_i32 v3, 0x66666667, v3
	s_waitcnt vmcnt(0) lgkmcnt(0)
	s_barrier
	buffer_gl0_inv
	v_add_nc_u32_e32 v6, v6, v8
	v_mul_hi_i32 v8, 0x66666667, v23
	v_lshrrev_b32_e32 v24, 31, v4
	v_ashrrev_i32_e32 v4, 2, v4
	v_lshrrev_b32_e32 v23, 31, v3
	v_ashrrev_i32_e32 v3, 2, v3
	v_cmp_ne_u32_e64 s3, v6, v7
	v_ashrrev_i32_e32 v7, 2, v25
	v_add_nc_u32_e32 v4, v4, v24
	v_lshrrev_b32_e32 v24, 31, v5
	v_ashrrev_i32_e32 v5, 2, v5
	v_add_nc_u32_e32 v3, v3, v23
	v_lshrrev_b32_e32 v23, 31, v8
	v_ashrrev_i32_e32 v8, 2, v8
	v_cmp_ne_u32_e64 s4, v4, v6
	v_add_nc_u32_e32 v5, v5, v24
	v_cmp_ne_u32_e64 s5, v3, v4
	v_lshrrev_b32_e32 v6, 31, v25
	v_add_nc_u32_e32 v4, v8, v23
	v_cvt_i32_f32_e32 v8, v19
	v_cmp_ne_u32_e64 s2, v5, v3
	v_cvt_i32_f32_e32 v3, v17
	v_add_nc_u32_e32 v6, v7, v6
	v_cmp_ne_u32_e64 s6, v4, v5
	v_cvt_i32_f32_e32 v5, v20
	v_cvt_i32_f32_e32 v7, v22
	v_cvt_i32_f32_e32 v23, v21
	v_mul_hi_i32 v3, 0x66666667, v3
	v_mul_hi_i32 v8, 0x66666667, v8
	;; [unrolled: 1-line block ×3, first 2 shown]
	v_cmp_ne_u32_e64 s7, v6, v4
	v_mul_hi_i32 v4, 0x66666667, v7
	v_mul_hi_i32 v23, 0x66666667, v23
	v_lshrrev_b32_e32 v7, 31, v3
	v_ashrrev_i32_e32 v3, 2, v3
	v_lshrrev_b32_e32 v24, 31, v5
	v_ashrrev_i32_e32 v5, 2, v5
	;; [unrolled: 2-line block ×5, first 2 shown]
	v_add_nc_u32_e32 v7, v3, v7
	v_add_nc_u32_e32 v5, v5, v24
	;; [unrolled: 1-line block ×5, first 2 shown]
	v_cmp_ne_u32_e64 s12, v7, v6
	v_cmp_ne_u32_e64 s8, v5, v7
	;; [unrolled: 1-line block ×5, first 2 shown]
	v_cmpx_ne_u32_e32 0, v0
	s_cbranch_execz .LBB153_54
; %bb.53:
	v_add_nc_u32_e32 v1, -4, v2
	ds_load_b32 v1, v1
.LBB153_54:
	s_or_b32 exec_lo, exec_lo, s31
	s_waitcnt lgkmcnt(0)
	v_cvt_i32_f32_e32 v1, v1
	v_cndmask_b32_e64 v58, 0, 1, vcc_lo
	v_cndmask_b32_e64 v24, 0, 1, s0
	v_cndmask_b32_e64 v23, 0, 1, s1
	v_cndmask_b32_e64 v26, 0, 1, s3
	v_mul_hi_i32 v1, 0x66666667, v1
	v_cndmask_b32_e64 v25, 0, 1, s4
	v_cndmask_b32_e64 v28, 0, 1, s5
	v_cndmask_b32_e64 v27, 0, 1, s2
	v_cndmask_b32_e64 v30, 0, 1, s6
	v_cndmask_b32_e64 v29, 0, 1, s7
	v_cndmask_b32_e64 v32, 0, 1, s12
	v_cndmask_b32_e64 v31, 0, 1, s8
	v_lshrrev_b32_e32 v2, 31, v1
	v_ashrrev_i32_e32 v1, 2, v1
	v_cndmask_b32_e64 v34, 0, 1, s9
	v_cndmask_b32_e64 v33, 0, 1, s10
	;; [unrolled: 1-line block ×3, first 2 shown]
	s_delay_alu instid0(VALU_DEP_4) | instskip(NEXT) | instid1(VALU_DEP_1)
	v_add_nc_u32_e32 v1, v1, v2
	v_cmp_ne_u32_e64 s2, v1, v3
	s_and_b32 vcc_lo, exec_lo, s30
	s_cbranch_vccnz .LBB153_111
.LBB153_55:
                                        ; implicit-def: $sgpr0
	s_branch .LBB153_71
.LBB153_56:
	s_or_b32 exec_lo, exec_lo, s30
                                        ; implicit-def: $vgpr29
	s_and_saveexec_b32 s30, s0
	s_cbranch_execz .LBB153_35
.LBB153_57:
	v_add_co_u32 v29, s0, s28, v7
	s_delay_alu instid0(VALU_DEP_1)
	v_add_co_ci_u32_e64 v30, null, s29, 0, s0
	flat_load_b32 v29, v[29:30] offset:1024
	s_or_b32 exec_lo, exec_lo, s30
                                        ; implicit-def: $vgpr30
	s_and_saveexec_b32 s0, s1
	s_cbranch_execnz .LBB153_36
.LBB153_58:
	s_or_b32 exec_lo, exec_lo, s0
                                        ; implicit-def: $vgpr31
	s_and_saveexec_b32 s0, s2
	s_cbranch_execz .LBB153_37
.LBB153_59:
	v_add_co_u32 v31, s1, s28, v7
	s_delay_alu instid0(VALU_DEP_1)
	v_add_co_ci_u32_e64 v32, null, s29, 0, s1
	flat_load_b32 v31, v[31:32] offset:3072
	s_or_b32 exec_lo, exec_lo, s0
                                        ; implicit-def: $vgpr32
	s_and_saveexec_b32 s0, s3
	s_cbranch_execnz .LBB153_38
.LBB153_60:
	s_or_b32 exec_lo, exec_lo, s0
                                        ; implicit-def: $vgpr2
	s_and_saveexec_b32 s0, s4
	s_cbranch_execz .LBB153_39
.LBB153_61:
	v_lshlrev_b32_e32 v2, 2, v3
	s_delay_alu instid0(VALU_DEP_1) | instskip(NEXT) | instid1(VALU_DEP_1)
	v_add_co_u32 v2, s1, s28, v2
	v_add_co_ci_u32_e64 v3, null, s29, 0, s1
	flat_load_b32 v2, v[2:3]
	s_or_b32 exec_lo, exec_lo, s0
                                        ; implicit-def: $vgpr3
	s_and_saveexec_b32 s0, s5
	s_cbranch_execnz .LBB153_40
.LBB153_62:
	s_or_b32 exec_lo, exec_lo, s0
                                        ; implicit-def: $vgpr4
	s_and_saveexec_b32 s0, s6
	s_cbranch_execz .LBB153_41
.LBB153_63:
	v_lshlrev_b32_e32 v4, 2, v5
	s_delay_alu instid0(VALU_DEP_1) | instskip(NEXT) | instid1(VALU_DEP_1)
	v_add_co_u32 v4, s1, s28, v4
	v_add_co_ci_u32_e64 v5, null, s29, 0, s1
	flat_load_b32 v4, v[4:5]
	s_or_b32 exec_lo, exec_lo, s0
                                        ; implicit-def: $vgpr5
	s_and_saveexec_b32 s0, s7
	s_cbranch_execnz .LBB153_42
.LBB153_64:
	s_or_b32 exec_lo, exec_lo, s0
                                        ; implicit-def: $vgpr6
	s_and_saveexec_b32 s0, s8
	s_cbranch_execz .LBB153_43
.LBB153_65:
	v_lshlrev_b32_e32 v6, 2, v8
	s_delay_alu instid0(VALU_DEP_1) | instskip(NEXT) | instid1(VALU_DEP_1)
	v_add_co_u32 v33, s1, s28, v6
	v_add_co_ci_u32_e64 v34, null, s29, 0, s1
	flat_load_b32 v6, v[33:34]
	s_or_b32 exec_lo, exec_lo, s0
                                        ; implicit-def: $vgpr8
	s_and_saveexec_b32 s0, s9
	s_cbranch_execnz .LBB153_44
.LBB153_66:
	s_or_b32 exec_lo, exec_lo, s0
                                        ; implicit-def: $vgpr23
	s_and_saveexec_b32 s0, s10
	s_cbranch_execz .LBB153_45
.LBB153_67:
	v_lshlrev_b32_e32 v23, 2, v24
	s_delay_alu instid0(VALU_DEP_1) | instskip(NEXT) | instid1(VALU_DEP_1)
	v_add_co_u32 v23, s1, s28, v23
	v_add_co_ci_u32_e64 v24, null, s29, 0, s1
	flat_load_b32 v23, v[23:24]
	s_or_b32 exec_lo, exec_lo, s0
                                        ; implicit-def: $vgpr24
	s_and_saveexec_b32 s0, s11
	s_cbranch_execnz .LBB153_46
.LBB153_68:
	s_or_b32 exec_lo, exec_lo, s0
                                        ; implicit-def: $vgpr25
	s_and_saveexec_b32 s0, s12
	s_cbranch_execz .LBB153_47
.LBB153_69:
	v_lshlrev_b32_e32 v25, 2, v26
	s_delay_alu instid0(VALU_DEP_1) | instskip(NEXT) | instid1(VALU_DEP_1)
	v_add_co_u32 v25, s1, s28, v25
	v_add_co_ci_u32_e64 v26, null, s29, 0, s1
	flat_load_b32 v25, v[25:26]
	s_or_b32 exec_lo, exec_lo, s0
                                        ; implicit-def: $vgpr26
	s_and_saveexec_b32 s0, s13
	s_cbranch_execnz .LBB153_48
	s_branch .LBB153_49
.LBB153_70:
	s_mov_b32 s19, 0
                                        ; implicit-def: $sgpr2
                                        ; implicit-def: $vgpr58
                                        ; implicit-def: $vgpr24
                                        ; implicit-def: $vgpr23
                                        ; implicit-def: $vgpr26
                                        ; implicit-def: $vgpr25
                                        ; implicit-def: $vgpr28
                                        ; implicit-def: $vgpr27
                                        ; implicit-def: $vgpr30
                                        ; implicit-def: $vgpr29
                                        ; implicit-def: $vgpr32
                                        ; implicit-def: $vgpr31
                                        ; implicit-def: $vgpr34
                                        ; implicit-def: $vgpr33
                                        ; implicit-def: $vgpr50
                                        ; implicit-def: $sgpr0
	s_cbranch_execnz .LBB153_114
.LBB153_71:
	v_mov_b32_e32 v49, s0
	s_and_saveexec_b32 s0, s19
.LBB153_72:
	v_cndmask_b32_e64 v49, 0, 1, s2
.LBB153_73:
	s_or_b32 exec_lo, exec_lo, s0
	s_delay_alu instid0(VALU_DEP_1)
	v_add3_u32 v1, v50, v49, v33
	v_add_f32_e32 v76, v47, v48
	v_cmp_eq_u32_e64 s12, 0, v50
	v_cmp_eq_u32_e64 s11, 0, v33
	;; [unrolled: 1-line block ×3, first 2 shown]
	v_add3_u32 v75, v1, v34, v31
	v_cmp_eq_u32_e64 s10, 0, v31
	v_cmp_eq_u32_e64 s8, 0, v32
	;; [unrolled: 1-line block ×10, first 2 shown]
	v_cmp_eq_u32_e32 vcc_lo, 0, v58
	v_mbcnt_lo_u32_b32 v72, -1, 0
	v_lshrrev_b32_e32 v73, 5, v0
	v_or_b32_e32 v74, 31, v0
	s_cmp_eq_u64 s[26:27], 0
	s_cselect_b32 s26, -1, 0
	s_cmp_lg_u32 s15, 0
	s_cbranch_scc0 .LBB153_108
; %bb.74:
	v_add3_u32 v2, v75, v32, v29
	v_cndmask_b32_e64 v1, v48, v76, s12
	s_mov_b32 s14, exec_lo
	v_and_b32_e32 v4, 15, v72
	v_and_b32_e32 v6, 16, v72
	v_add3_u32 v2, v2, v30, v27
	v_add_f32_e32 v1, v45, v1
	s_delay_alu instid0(VALU_DEP_2) | instskip(NEXT) | instid1(VALU_DEP_2)
	v_add3_u32 v2, v2, v28, v25
	v_cndmask_b32_e64 v1, v45, v1, s11
	s_delay_alu instid0(VALU_DEP_2) | instskip(NEXT) | instid1(VALU_DEP_1)
	v_add3_u32 v2, v2, v26, v23
	v_add3_u32 v2, v2, v24, v58
	s_delay_alu instid0(VALU_DEP_3) | instskip(NEXT) | instid1(VALU_DEP_2)
	v_add_f32_e32 v1, v46, v1
	v_mov_b32_dpp v5, v2 row_shr:1 row_mask:0xf bank_mask:0xf
	s_delay_alu instid0(VALU_DEP_2) | instskip(NEXT) | instid1(VALU_DEP_1)
	v_cndmask_b32_e64 v1, v46, v1, s9
	v_add_f32_e32 v1, v43, v1
	s_delay_alu instid0(VALU_DEP_1) | instskip(NEXT) | instid1(VALU_DEP_1)
	v_cndmask_b32_e64 v1, v43, v1, s10
	v_add_f32_e32 v1, v44, v1
	s_delay_alu instid0(VALU_DEP_1) | instskip(NEXT) | instid1(VALU_DEP_1)
	;; [unrolled: 3-line block ×10, first 2 shown]
	v_cndmask_b32_e64 v1, v36, v1, s0
	v_add_f32_e32 v1, v59, v1
	s_delay_alu instid0(VALU_DEP_1) | instskip(SKIP_2) | instid1(VALU_DEP_2)
	v_cndmask_b32_e32 v1, v59, v1, vcc_lo
	v_cmp_eq_u32_e32 vcc_lo, 0, v2
	s_waitcnt lgkmcnt(0)
	v_mov_b32_dpp v3, v1 row_shr:1 row_mask:0xf bank_mask:0xf
	s_delay_alu instid0(VALU_DEP_1) | instskip(NEXT) | instid1(VALU_DEP_1)
	v_add_f32_e32 v3, v1, v3
	v_cndmask_b32_e32 v3, v1, v3, vcc_lo
	v_cmp_eq_u32_e32 vcc_lo, 0, v4
	v_cndmask_b32_e64 v5, v5, 0, vcc_lo
	s_delay_alu instid0(VALU_DEP_1) | instskip(NEXT) | instid1(VALU_DEP_1)
	v_dual_cndmask_b32 v1, v3, v1 :: v_dual_add_nc_u32 v2, v5, v2
	v_mov_b32_dpp v3, v1 row_shr:2 row_mask:0xf bank_mask:0xf
	s_delay_alu instid0(VALU_DEP_2) | instskip(NEXT) | instid1(VALU_DEP_2)
	v_cmp_eq_u32_e32 vcc_lo, 0, v2
	v_add_f32_e32 v3, v1, v3
	v_mov_b32_dpp v5, v2 row_shr:2 row_mask:0xf bank_mask:0xf
	s_delay_alu instid0(VALU_DEP_2) | instskip(SKIP_1) | instid1(VALU_DEP_2)
	v_cndmask_b32_e32 v3, v1, v3, vcc_lo
	v_cmp_lt_u32_e32 vcc_lo, 1, v4
	v_cndmask_b32_e32 v1, v1, v3, vcc_lo
	s_delay_alu instid0(VALU_DEP_4) | instskip(NEXT) | instid1(VALU_DEP_2)
	v_cndmask_b32_e32 v3, 0, v5, vcc_lo
	v_mov_b32_dpp v5, v1 row_shr:4 row_mask:0xf bank_mask:0xf
	s_delay_alu instid0(VALU_DEP_1) | instskip(NEXT) | instid1(VALU_DEP_1)
	v_dual_add_f32 v3, v1, v5 :: v_dual_add_nc_u32 v2, v2, v3
	v_cmp_eq_u32_e32 vcc_lo, 0, v2
	v_mov_b32_dpp v5, v2 row_shr:4 row_mask:0xf bank_mask:0xf
	s_delay_alu instid0(VALU_DEP_3) | instskip(SKIP_1) | instid1(VALU_DEP_2)
	v_cndmask_b32_e32 v3, v1, v3, vcc_lo
	v_cmp_lt_u32_e32 vcc_lo, 3, v4
	v_cndmask_b32_e32 v1, v1, v3, vcc_lo
	s_delay_alu instid0(VALU_DEP_4) | instskip(NEXT) | instid1(VALU_DEP_2)
	v_cndmask_b32_e32 v3, 0, v5, vcc_lo
	v_mov_b32_dpp v5, v1 row_shr:8 row_mask:0xf bank_mask:0xf
	s_delay_alu instid0(VALU_DEP_1) | instskip(NEXT) | instid1(VALU_DEP_1)
	v_dual_add_f32 v2, v1, v5 :: v_dual_add_nc_u32 v3, v3, v2
	v_cmp_eq_u32_e32 vcc_lo, 0, v3
	v_mov_b32_dpp v5, v3 row_shr:8 row_mask:0xf bank_mask:0xf
	s_delay_alu instid0(VALU_DEP_3) | instskip(SKIP_1) | instid1(VALU_DEP_2)
	v_cndmask_b32_e32 v2, v1, v2, vcc_lo
	v_cmp_lt_u32_e32 vcc_lo, 7, v4
	v_dual_cndmask_b32 v2, v1, v2 :: v_dual_cndmask_b32 v1, 0, v5
	v_bfe_i32 v5, v72, 4, 1
	s_delay_alu instid0(VALU_DEP_2)
	v_add_nc_u32_e32 v1, v1, v3
	ds_swizzle_b32 v3, v2 offset:swizzle(BROADCAST,32,15)
	ds_swizzle_b32 v4, v1 offset:swizzle(BROADCAST,32,15)
	v_cmp_eq_u32_e32 vcc_lo, 0, v1
	s_waitcnt lgkmcnt(1)
	v_add_f32_e32 v3, v2, v3
	s_waitcnt lgkmcnt(0)
	v_and_b32_e32 v7, v5, v4
	s_delay_alu instid0(VALU_DEP_2) | instskip(SKIP_2) | instid1(VALU_DEP_4)
	v_cndmask_b32_e32 v5, v2, v3, vcc_lo
	v_cmp_eq_u32_e32 vcc_lo, 0, v6
	v_lshlrev_b32_e32 v4, 3, v73
	v_add_nc_u32_e32 v1, v7, v1
	s_delay_alu instid0(VALU_DEP_4)
	v_cndmask_b32_e32 v3, v5, v2, vcc_lo
	v_cmpx_eq_u32_e64 v74, v0
	s_cbranch_execz .LBB153_76
; %bb.75:
	v_cndmask_b32_e32 v2, v5, v2, vcc_lo
	ds_store_b64 v4, v[1:2] offset:2064
.LBB153_76:
	s_or_b32 exec_lo, exec_lo, s14
	s_delay_alu instid0(SALU_CYCLE_1)
	s_mov_b32 s14, exec_lo
	s_waitcnt lgkmcnt(0)
	s_barrier
	buffer_gl0_inv
	v_cmpx_gt_u32_e32 8, v0
	s_cbranch_execz .LBB153_78
; %bb.77:
	v_lshlrev_b32_e32 v2, 3, v0
	ds_load_b64 v[5:6], v2 offset:2064
	s_waitcnt lgkmcnt(0)
	v_mov_b32_dpp v7, v6 row_shr:1 row_mask:0xf bank_mask:0xf
	v_cmp_eq_u32_e32 vcc_lo, 0, v5
	v_mov_b32_dpp v51, v5 row_shr:1 row_mask:0xf bank_mask:0xf
	s_delay_alu instid0(VALU_DEP_3) | instskip(NEXT) | instid1(VALU_DEP_1)
	v_dual_add_f32 v7, v6, v7 :: v_dual_and_b32 v8, 7, v72
	v_cndmask_b32_e32 v7, v6, v7, vcc_lo
	s_delay_alu instid0(VALU_DEP_2) | instskip(NEXT) | instid1(VALU_DEP_4)
	v_cmp_eq_u32_e32 vcc_lo, 0, v8
	v_cndmask_b32_e64 v51, v51, 0, vcc_lo
	s_delay_alu instid0(VALU_DEP_1) | instskip(NEXT) | instid1(VALU_DEP_1)
	v_add_nc_u32_e32 v5, v51, v5
	v_mov_b32_dpp v51, v5 row_shr:2 row_mask:0xf bank_mask:0xf
	v_cndmask_b32_e32 v6, v7, v6, vcc_lo
	v_cmp_eq_u32_e32 vcc_lo, 0, v5
	s_delay_alu instid0(VALU_DEP_2) | instskip(NEXT) | instid1(VALU_DEP_1)
	v_mov_b32_dpp v7, v6 row_shr:2 row_mask:0xf bank_mask:0xf
	v_add_f32_e32 v7, v6, v7
	s_delay_alu instid0(VALU_DEP_1) | instskip(SKIP_1) | instid1(VALU_DEP_2)
	v_cndmask_b32_e32 v7, v6, v7, vcc_lo
	v_cmp_lt_u32_e32 vcc_lo, 1, v8
	v_cndmask_b32_e32 v6, v6, v7, vcc_lo
	v_cndmask_b32_e32 v7, 0, v51, vcc_lo
	v_cmp_lt_u32_e32 vcc_lo, 3, v8
	s_delay_alu instid0(VALU_DEP_3) | instskip(NEXT) | instid1(VALU_DEP_1)
	v_mov_b32_dpp v51, v6 row_shr:4 row_mask:0xf bank_mask:0xf
	v_dual_add_f32 v8, v6, v51 :: v_dual_add_nc_u32 v5, v7, v5
	s_delay_alu instid0(VALU_DEP_1) | instskip(SKIP_1) | instid1(VALU_DEP_2)
	v_mov_b32_dpp v7, v5 row_shr:4 row_mask:0xf bank_mask:0xf
	v_cmp_eq_u32_e64 s13, 0, v5
	v_cndmask_b32_e32 v7, 0, v7, vcc_lo
	s_delay_alu instid0(VALU_DEP_2) | instskip(NEXT) | instid1(VALU_DEP_1)
	s_and_b32 vcc_lo, vcc_lo, s13
	v_dual_cndmask_b32 v6, v6, v8 :: v_dual_add_nc_u32 v5, v7, v5
	ds_store_b64 v2, v[5:6] offset:2064
.LBB153_78:
	s_or_b32 exec_lo, exec_lo, s14
	v_cmp_gt_u32_e32 vcc_lo, 32, v0
	v_dual_mov_b32 v51, 0 :: v_dual_mov_b32 v52, 0
	s_mov_b32 s14, exec_lo
	s_waitcnt lgkmcnt(0)
	s_barrier
	buffer_gl0_inv
	v_cmpx_lt_u32_e32 31, v0
	s_cbranch_execz .LBB153_80
; %bb.79:
	ds_load_b64 v[51:52], v4 offset:2056
	v_cmp_eq_u32_e64 s13, 0, v1
	s_waitcnt lgkmcnt(0)
	v_add_nc_u32_e32 v4, v51, v1
	s_delay_alu instid0(VALU_DEP_1) | instskip(NEXT) | instid1(VALU_DEP_1)
	v_dual_add_f32 v2, v3, v52 :: v_dual_mov_b32 v1, v4
	v_cndmask_b32_e64 v3, v3, v2, s13
.LBB153_80:
	s_or_b32 exec_lo, exec_lo, s14
	v_add_nc_u32_e32 v2, -1, v72
	s_mov_b32 s16, -1
	s_mov_b32 s27, 0
	s_mov_b32 s14, 0
	s_delay_alu instid0(VALU_DEP_1) | instskip(NEXT) | instid1(VALU_DEP_1)
	v_cmp_gt_i32_e64 s13, 0, v2
	v_cndmask_b32_e64 v2, v2, v72, s13
	v_cmp_eq_u32_e64 s13, 0, v72
	s_delay_alu instid0(VALU_DEP_2)
	v_lshlrev_b32_e32 v2, 2, v2
	ds_bpermute_b32 v77, v2, v1
	ds_bpermute_b32 v78, v2, v3
	s_and_saveexec_b32 s29, vcc_lo
                                        ; implicit-def: $vgpr2_vgpr3_vgpr4
	s_cbranch_execz .LBB153_199
; %bb.81:
	v_mov_b32_e32 v4, 0
	ds_load_b64 v[1:2], v4 offset:2120
	s_waitcnt lgkmcnt(0)
	v_readfirstlane_b32 s30, v2
	s_and_saveexec_b32 s14, s13
	s_cbranch_execz .LBB153_83
; %bb.82:
	s_add_i32 s16, s15, 32
	s_mov_b32 s17, 0
	v_mov_b32_e32 v3, 1
	s_lshl_b64 s[18:19], s[16:17], 4
	s_mov_b32 s40, s17
	s_add_u32 s18, s24, s18
	s_addc_u32 s19, s25, s19
	s_and_b32 s41, s30, 0xff000000
	s_and_b32 s45, s30, 0xff0000
	s_mov_b32 s44, s17
	v_dual_mov_b32 v5, s18 :: v_dual_mov_b32 v6, s19
	s_or_b64 s[40:41], s[44:45], s[40:41]
	s_and_b32 s45, s30, 0xff00
	s_delay_alu instid0(SALU_CYCLE_1) | instskip(SKIP_1) | instid1(SALU_CYCLE_1)
	s_or_b64 s[40:41], s[40:41], s[44:45]
	s_and_b32 s45, s30, 0xff
	s_or_b64 s[16:17], s[40:41], s[44:45]
	s_delay_alu instid0(SALU_CYCLE_1)
	v_mov_b32_e32 v2, s17
	;;#ASMSTART
	global_store_dwordx4 v[5:6], v[1:4] off	
s_waitcnt vmcnt(0)
	;;#ASMEND
.LBB153_83:
	s_or_b32 exec_lo, exec_lo, s14
	v_xad_u32 v55, v72, -1, s15
	s_mov_b32 s16, 0
	s_mov_b32 s14, exec_lo
	s_mov_b32 s17, s16
	s_mov_b32 s18, s16
	;; [unrolled: 1-line block ×3, first 2 shown]
	v_add_nc_u32_e32 v3, 32, v55
	v_dual_mov_b32 v5, s16 :: v_dual_mov_b32 v8, s19
	v_dual_mov_b32 v6, s17 :: v_dual_mov_b32 v7, s18
	s_delay_alu instid0(VALU_DEP_3)
	v_lshlrev_b64 v[2:3], 4, v[3:4]
	s_clause 0x5
	scratch_store_b128 off, v[5:8], off
	scratch_store_b128 off, v[5:8], off offset:16
	scratch_store_b32 off, v4, off offset:4
	scratch_store_b32 off, v4, off offset:12
	;; [unrolled: 1-line block ×4, first 2 shown]
	v_add_co_u32 v2, vcc_lo, s24, v2
	v_add_co_ci_u32_e32 v3, vcc_lo, s25, v3, vcc_lo
	;;#ASMSTART
	global_load_dwordx4 v[5:8], v[2:3] off glc	
s_waitcnt vmcnt(0)
	;;#ASMEND
	v_perm_b32 v4, v6, v7, 0x70605
	v_perm_b32 v8, v6, v7, 0x1000706
	;; [unrolled: 1-line block ×3, first 2 shown]
	v_and_b32_e32 v56, 0xff, v7
	v_alignbit_b32 v61, v6, v5, 16
	v_lshlrev_b32_e32 v4, 8, v4
	v_lshlrev_b32_e32 v8, 16, v8
	v_lshlrev_b32_e32 v53, 24, v53
	v_alignbit_b32 v60, v6, v5, 24
	s_delay_alu instid0(VALU_DEP_4) | instskip(NEXT) | instid1(VALU_DEP_4)
	v_perm_b32 v4, v4, v6, 0xc0c0500
	v_and_b32_e32 v54, 0xff0000, v8
	v_alignbit_b32 v8, v6, v5, 8
	s_delay_alu instid0(VALU_DEP_2)
	v_or3_b32 v6, v4, v54, v53
	v_cmpx_eq_u16_e32 0, v56
	s_cbranch_execz .LBB153_89
; %bb.84:
	s_mov_b32 s17, 1
	.p2align	6
.LBB153_85:                             ; =>This Loop Header: Depth=1
                                        ;     Child Loop BB153_86 Depth 2
	s_delay_alu instid0(SALU_CYCLE_1)
	s_max_u32 s18, s17, 1
.LBB153_86:                             ;   Parent Loop BB153_85 Depth=1
                                        ; =>  This Inner Loop Header: Depth=2
	s_delay_alu instid0(SALU_CYCLE_1)
	s_add_i32 s18, s18, -1
	s_sleep 1
	s_cmp_eq_u32 s18, 0
	s_cbranch_scc0 .LBB153_86
; %bb.87:                               ;   in Loop: Header=BB153_85 Depth=1
	;;#ASMSTART
	global_load_dwordx4 v[5:8], v[2:3] off glc	
s_waitcnt vmcnt(0)
	;;#ASMEND
	v_and_b32_e32 v4, 0xff, v7
	s_cmp_lt_u32 s17, 32
	s_cselect_b32 s18, -1, 0
	s_delay_alu instid0(VALU_DEP_1) | instskip(SKIP_3) | instid1(SALU_CYCLE_1)
	v_cmp_ne_u16_e32 vcc_lo, 0, v4
	s_cmp_lg_u32 s18, 0
	s_addc_u32 s17, s17, 0
	s_or_b32 s16, vcc_lo, s16
	s_and_not1_b32 exec_lo, exec_lo, s16
	s_cbranch_execnz .LBB153_85
; %bb.88:
	s_or_b32 exec_lo, exec_lo, s16
	v_perm_b32 v2, v6, v7, 0x70605
	v_perm_b32 v3, v6, v7, 0x1000706
	;; [unrolled: 1-line block ×3, first 2 shown]
	v_alignbit_b32 v8, v6, v5, 8
	v_alignbit_b32 v61, v6, v5, 16
	v_lshlrev_b32_e32 v2, 8, v2
	v_lshlrev_b32_e32 v3, 16, v3
	;; [unrolled: 1-line block ×3, first 2 shown]
	v_alignbit_b32 v60, v6, v5, 24
	s_delay_alu instid0(VALU_DEP_4) | instskip(NEXT) | instid1(VALU_DEP_4)
	v_perm_b32 v2, v2, v6, 0xc0c0500
	v_and_b32_e32 v3, 0xff0000, v3
	s_delay_alu instid0(VALU_DEP_1)
	v_or3_b32 v6, v2, v3, v4
.LBB153_89:
	s_or_b32 exec_lo, exec_lo, s14
	v_mov_b32_e32 v54, 0
	s_mov_b32 s17, 0
	s_branch .LBB153_91
.LBB153_90:                             ;   in Loop: Header=BB153_91 Depth=1
	s_or_b32 exec_lo, exec_lo, s17
	v_subrev_nc_u32_e32 v55, 32, v53
	s_add_i32 s17, s16, 1
	s_cbranch_execz .LBB153_99
.LBB153_91:                             ; =>This Loop Header: Depth=1
                                        ;     Child Loop BB153_94 Depth 2
                                        ;       Child Loop BB153_95 Depth 3
	v_dual_mov_b32 v4, v7 :: v_dual_lshlrev_b32 v3, 8, v8
	v_and_b32_e32 v5, 0xff, v5
	s_delay_alu instid0(VALU_DEP_2) | instskip(NEXT) | instid1(VALU_DEP_3)
	v_dual_mov_b32 v53, v55 :: v_dual_and_b32 v2, 0xff, v4
	v_and_b32_e32 v7, 0xff00, v3
	v_mov_b32_e32 v3, v6
	s_delay_alu instid0(VALU_DEP_3) | instskip(SKIP_1) | instid1(VALU_DEP_2)
	v_cmp_ne_u16_e64 s14, 2, v2
	v_cmp_ne_u16_e32 vcc_lo, 0xff, v2
	s_and_b32 s16, s14, vcc_lo
	s_delay_alu instid0(SALU_CYCLE_1) | instskip(SKIP_1) | instid1(VALU_DEP_1)
	v_cndmask_b32_e64 v2, 0, 1, s16
	;;#ASMSTART
	;;#ASMEND
	v_cmp_ne_u32_e32 vcc_lo, 0, v2
	v_lshlrev_b32_e32 v2, 16, v61
	s_mov_b32 s16, s17
	s_cmp_eq_u32 vcc_lo, exec_lo
	s_delay_alu instid0(VALU_DEP_1) | instskip(SKIP_3) | instid1(VALU_DEP_1)
	v_perm_b32 v2, v60, v2, 0x4020c0c
	s_cselect_b32 s17, -1, 0
	s_cmp_lt_u32 s16, 4
	s_cselect_b32 s18, -1, 0
	v_or3_b32 v2, v2, v7, v5
	s_and_b32 s17, s17, s18
	s_delay_alu instid0(SALU_CYCLE_1)
	s_and_not1_b32 vcc_lo, exec_lo, s17
	s_cbranch_vccnz .LBB153_98
; %bb.92:                               ;   in Loop: Header=BB153_91 Depth=1
	v_lshlrev_b64 v[5:6], 4, v[53:54]
	s_lshl_b32 s17, s16, 3
	s_delay_alu instid0(SALU_CYCLE_1)
	s_add_i32 s17, s17, 0
	scratch_store_b64 off, v[2:3], s17
	v_add_co_u32 v55, vcc_lo, s24, v5
	v_add_co_ci_u32_e32 v56, vcc_lo, s25, v6, vcc_lo
	;;#ASMSTART
	global_load_dwordx4 v[5:8], v[55:56] off glc	
s_waitcnt vmcnt(0)
	;;#ASMEND
	v_perm_b32 v8, v6, v7, 0x70605
	v_perm_b32 v60, v6, v7, 0x1000706
	;; [unrolled: 1-line block ×3, first 2 shown]
	v_and_b32_e32 v65, 0xff, v7
	s_mov_b32 s17, exec_lo
	v_lshlrev_b32_e32 v8, 8, v8
	v_lshlrev_b32_e32 v60, 16, v60
	;; [unrolled: 1-line block ×3, first 2 shown]
	v_alignbit_b32 v61, v6, v5, 16
	s_delay_alu instid0(VALU_DEP_4) | instskip(NEXT) | instid1(VALU_DEP_4)
	v_perm_b32 v63, v8, v6, 0xc0c0500
	v_and_b32_e32 v64, 0xff0000, v60
	v_alignbit_b32 v8, v6, v5, 8
	v_alignbit_b32 v60, v6, v5, 24
	s_delay_alu instid0(VALU_DEP_3)
	v_or3_b32 v6, v63, v64, v62
	v_cmpx_eq_u16_e32 0, v65
	s_cbranch_execz .LBB153_90
; %bb.93:                               ;   in Loop: Header=BB153_91 Depth=1
	s_mov_b32 s19, 1
	s_mov_b32 s18, 0
	.p2align	6
.LBB153_94:                             ;   Parent Loop BB153_91 Depth=1
                                        ; =>  This Loop Header: Depth=2
                                        ;       Child Loop BB153_95 Depth 3
	s_max_u32 s31, s19, 1
.LBB153_95:                             ;   Parent Loop BB153_91 Depth=1
                                        ;     Parent Loop BB153_94 Depth=2
                                        ; =>    This Inner Loop Header: Depth=3
	s_delay_alu instid0(SALU_CYCLE_1)
	s_add_i32 s31, s31, -1
	s_sleep 1
	s_cmp_eq_u32 s31, 0
	s_cbranch_scc0 .LBB153_95
; %bb.96:                               ;   in Loop: Header=BB153_94 Depth=2
	;;#ASMSTART
	global_load_dwordx4 v[5:8], v[55:56] off glc	
s_waitcnt vmcnt(0)
	;;#ASMEND
	v_and_b32_e32 v8, 0xff, v7
	s_cmp_lt_u32 s19, 32
	s_cselect_b32 s31, -1, 0
	s_delay_alu instid0(SALU_CYCLE_1) | instskip(NEXT) | instid1(VALU_DEP_1)
	s_cmp_lg_u32 s31, 0
	v_cmp_ne_u16_e32 vcc_lo, 0, v8
	s_addc_u32 s19, s19, 0
	s_or_b32 s18, vcc_lo, s18
	s_delay_alu instid0(SALU_CYCLE_1)
	s_and_not1_b32 exec_lo, exec_lo, s18
	s_cbranch_execnz .LBB153_94
; %bb.97:                               ;   in Loop: Header=BB153_91 Depth=1
	s_or_b32 exec_lo, exec_lo, s18
	v_perm_b32 v8, v6, v7, 0x70605
	v_perm_b32 v55, v6, v7, 0x1000706
	;; [unrolled: 1-line block ×3, first 2 shown]
	v_alignbit_b32 v61, v6, v5, 16
	v_alignbit_b32 v60, v6, v5, 24
	v_lshlrev_b32_e32 v8, 8, v8
	v_lshlrev_b32_e32 v55, 16, v55
	;; [unrolled: 1-line block ×3, first 2 shown]
	s_delay_alu instid0(VALU_DEP_3) | instskip(NEXT) | instid1(VALU_DEP_3)
	v_perm_b32 v62, v8, v6, 0xc0c0500
	v_and_b32_e32 v55, 0xff0000, v55
	v_alignbit_b32 v8, v6, v5, 8
	s_delay_alu instid0(VALU_DEP_2)
	v_or3_b32 v6, v62, v55, v56
	s_branch .LBB153_90
.LBB153_98:
                                        ; implicit-def: $vgpr55
                                        ; implicit-def: $sgpr17
                                        ; implicit-def: $vgpr7
                                        ; implicit-def: $vgpr6
                                        ; implicit-def: $vgpr8
                                        ; implicit-def: $vgpr61
                                        ; implicit-def: $vgpr60
.LBB153_99:
	v_cndmask_b32_e64 v5, 0, 1, s14
	;;#ASMSTART
	;;#ASMEND
	s_delay_alu instid0(VALU_DEP_1)
	v_cmp_ne_u32_e32 vcc_lo, 0, v5
	s_cmp_lg_u32 vcc_lo, exec_lo
	s_cbranch_scc1 .LBB153_184
; %bb.100:
	v_dual_mov_b32 v3, 0 :: v_dual_and_b32 v2, 0xff, v4
	s_delay_alu instid0(VALU_DEP_1) | instskip(SKIP_2) | instid1(VALU_DEP_1)
	v_cmp_eq_u16_e32 vcc_lo, 0xff, v2
	v_cndmask_b32_e64 v2, 0, 1, vcc_lo
	;;#ASMSTART
	;;#ASMEND
	v_cmp_ne_u32_e32 vcc_lo, 0, v2
	v_add_nc_u32_e32 v2, 32, v53
	s_cmp_eq_u32 vcc_lo, exec_lo
	s_cselect_b32 vcc_lo, -1, 0
	s_delay_alu instid0(VALU_DEP_1) | instskip(NEXT) | instid1(VALU_DEP_1)
	v_cndmask_b32_e32 v2, v53, v2, vcc_lo
	v_add_nc_u32_e32 v2, 32, v2
	s_delay_alu instid0(VALU_DEP_1) | instskip(NEXT) | instid1(VALU_DEP_1)
	v_lshlrev_b64 v[2:3], 4, v[2:3]
	v_add_co_u32 v6, s14, s24, v2
	s_delay_alu instid0(VALU_DEP_1)
	v_add_co_ci_u32_e64 v7, s14, s25, v3, s14
	s_branch .LBB153_102
.LBB153_101:                            ;   in Loop: Header=BB153_102 Depth=1
	s_or_b32 exec_lo, exec_lo, s17
	v_and_b32_e32 v54, 0xff, v4
	s_delay_alu instid0(VALU_DEP_1) | instskip(NEXT) | instid1(VALU_DEP_1)
	v_cmp_ne_u16_e64 s14, 2, v54
	v_cndmask_b32_e64 v54, 0, 1, s14
	;;#ASMSTART
	;;#ASMEND
	s_delay_alu instid0(VALU_DEP_1) | instskip(NEXT) | instid1(VALU_DEP_1)
	v_cmp_ne_u32_e64 s14, 0, v54
	s_cmp_eq_u32 s14, exec_lo
	s_cbranch_scc0 .LBB153_183
.LBB153_102:                            ; =>This Loop Header: Depth=1
                                        ;     Child Loop BB153_104 Depth 2
                                        ;       Child Loop BB153_105 Depth 3
	;;#ASMSTART
	global_load_dwordx4 v[2:5], v[6:7] off glc	
s_waitcnt vmcnt(0)
	;;#ASMEND
	v_perm_b32 v5, v3, v4, 0x70605
	v_perm_b32 v8, v3, v4, 0x1000706
	;; [unrolled: 1-line block ×3, first 2 shown]
	v_and_b32_e32 v60, 0xff, v4
	s_mov_b32 s17, exec_lo
	v_lshlrev_b32_e32 v5, 8, v5
	v_lshlrev_b32_e32 v8, 16, v8
	;; [unrolled: 1-line block ×3, first 2 shown]
	v_alignbit_b32 v53, v3, v2, 16
	s_delay_alu instid0(VALU_DEP_4) | instskip(NEXT) | instid1(VALU_DEP_4)
	v_perm_b32 v55, v5, v3, 0xc0c0500
	v_and_b32_e32 v56, 0xff0000, v8
	v_alignbit_b32 v5, v3, v2, 8
	v_alignbit_b32 v8, v3, v2, 24
	s_delay_alu instid0(VALU_DEP_3)
	v_or3_b32 v3, v55, v56, v54
	v_cmpx_eq_u16_e32 0, v60
	s_cbranch_execz .LBB153_101
; %bb.103:                              ;   in Loop: Header=BB153_102 Depth=1
	s_mov_b32 s19, 1
	s_mov_b32 s18, 0
	.p2align	6
.LBB153_104:                            ;   Parent Loop BB153_102 Depth=1
                                        ; =>  This Loop Header: Depth=2
                                        ;       Child Loop BB153_105 Depth 3
	s_max_u32 s14, s19, 1
.LBB153_105:                            ;   Parent Loop BB153_102 Depth=1
                                        ;     Parent Loop BB153_104 Depth=2
                                        ; =>    This Inner Loop Header: Depth=3
	s_delay_alu instid0(SALU_CYCLE_1)
	s_add_i32 s14, s14, -1
	s_sleep 1
	s_cmp_eq_u32 s14, 0
	s_cbranch_scc0 .LBB153_105
; %bb.106:                              ;   in Loop: Header=BB153_104 Depth=2
	;;#ASMSTART
	global_load_dwordx4 v[2:5], v[6:7] off glc	
s_waitcnt vmcnt(0)
	;;#ASMEND
	v_and_b32_e32 v5, 0xff, v4
	s_cmp_lt_u32 s19, 32
	s_cselect_b32 s31, -1, 0
	s_delay_alu instid0(SALU_CYCLE_1) | instskip(NEXT) | instid1(VALU_DEP_1)
	s_cmp_lg_u32 s31, 0
	v_cmp_ne_u16_e64 s14, 0, v5
	s_addc_u32 s19, s19, 0
	s_delay_alu instid0(VALU_DEP_1) | instskip(NEXT) | instid1(SALU_CYCLE_1)
	s_or_b32 s18, s14, s18
	s_and_not1_b32 exec_lo, exec_lo, s18
	s_cbranch_execnz .LBB153_104
; %bb.107:                              ;   in Loop: Header=BB153_102 Depth=1
	s_or_b32 exec_lo, exec_lo, s18
	v_perm_b32 v5, v3, v4, 0x70605
	v_perm_b32 v8, v3, v4, 0x1000706
	;; [unrolled: 1-line block ×3, first 2 shown]
	s_delay_alu instid0(VALU_DEP_3) | instskip(NEXT) | instid1(VALU_DEP_3)
	v_lshlrev_b32_e32 v5, 8, v5
	v_lshlrev_b32_e32 v8, 16, v8
	s_delay_alu instid0(VALU_DEP_3) | instskip(SKIP_1) | instid1(VALU_DEP_4)
	v_lshlrev_b32_e32 v54, 24, v53
	v_alignbit_b32 v53, v3, v2, 16
	v_perm_b32 v55, v5, v3, 0xc0c0500
	s_delay_alu instid0(VALU_DEP_4) | instskip(SKIP_2) | instid1(VALU_DEP_3)
	v_and_b32_e32 v56, 0xff0000, v8
	v_alignbit_b32 v5, v3, v2, 8
	v_alignbit_b32 v8, v3, v2, 24
	v_or3_b32 v3, v55, v56, v54
	s_branch .LBB153_101
.LBB153_108:
	s_mov_b32 s27, 0
                                        ; implicit-def: $vgpr1
                                        ; implicit-def: $vgpr53
                                        ; implicit-def: $vgpr5
                                        ; implicit-def: $vgpr62
                                        ; implicit-def: $vgpr54
                                        ; implicit-def: $vgpr56
                                        ; implicit-def: $vgpr55
                                        ; implicit-def: $vgpr60
                                        ; implicit-def: $vgpr61
                                        ; implicit-def: $vgpr63
                                        ; implicit-def: $vgpr64
                                        ; implicit-def: $vgpr65
                                        ; implicit-def: $vgpr66
                                        ; implicit-def: $vgpr67
                                        ; implicit-def: $vgpr68
                                        ; implicit-def: $vgpr69
                                        ; implicit-def: $vgpr70
                                        ; implicit-def: $vgpr71
	s_cbranch_execnz .LBB153_202
.LBB153_109:
	s_and_saveexec_b32 s0, s27
	s_cbranch_execz .LBB153_375
	s_branch .LBB153_213
.LBB153_110:
	s_mov_b32 s19, 0
                                        ; implicit-def: $sgpr2
                                        ; implicit-def: $vgpr58
                                        ; implicit-def: $vgpr24
                                        ; implicit-def: $vgpr23
                                        ; implicit-def: $vgpr26
                                        ; implicit-def: $vgpr25
                                        ; implicit-def: $vgpr28
                                        ; implicit-def: $vgpr27
                                        ; implicit-def: $vgpr30
                                        ; implicit-def: $vgpr29
                                        ; implicit-def: $vgpr32
                                        ; implicit-def: $vgpr31
                                        ; implicit-def: $vgpr34
                                        ; implicit-def: $vgpr33
                                        ; implicit-def: $vgpr50
	s_cbranch_execz .LBB153_55
.LBB153_111:
	v_cvt_i32_f32_e32 v1, v10
	v_cvt_i32_f32_e32 v2, v57
	;; [unrolled: 1-line block ×5, first 2 shown]
	v_mul_hi_i32 v1, 0x66666667, v1
	v_mul_hi_i32 v2, 0x66666667, v2
	v_mul_hi_i32 v3, 0x66666667, v3
	v_mul_hi_i32 v4, 0x66666667, v4
	v_mul_hi_i32 v5, 0x66666667, v5
	s_mov_b32 s0, exec_lo
                                        ; implicit-def: $sgpr2
	v_lshrrev_b32_e32 v6, 31, v1
	v_ashrrev_i32_e32 v1, 2, v1
	v_lshrrev_b32_e32 v7, 31, v2
	v_ashrrev_i32_e32 v2, 2, v2
	;; [unrolled: 2-line block ×3, first 2 shown]
	v_add_nc_u32_e32 v6, v1, v6
	v_lshrrev_b32_e32 v23, 31, v4
	v_add_nc_u32_e32 v2, v2, v7
	v_cvt_i32_f32_e32 v7, v14
	v_add_nc_u32_e32 v3, v3, v8
	v_cvt_i32_f32_e32 v8, v16
	v_lshlrev_b32_e32 v1, 2, v0
	v_cmp_ne_u32_e32 vcc_lo, v6, v2
	v_ashrrev_i32_e32 v2, 2, v4
	v_mul_hi_i32 v7, 0x66666667, v7
	v_lshrrev_b32_e32 v4, 31, v5
	v_ashrrev_i32_e32 v5, 2, v5
	v_cndmask_b32_e64 v58, 0, 1, vcc_lo
	v_cmp_ne_u32_e32 vcc_lo, v3, v6
	v_cvt_i32_f32_e32 v6, v13
	v_add_nc_u32_e32 v2, v2, v23
	v_add_nc_u32_e32 v4, v5, v4
	v_lshrrev_b32_e32 v5, 31, v7
	v_cndmask_b32_e64 v24, 0, 1, vcc_lo
	v_mul_hi_i32 v6, 0x66666667, v6
	v_ashrrev_i32_e32 v7, 2, v7
	v_cmp_ne_u32_e32 vcc_lo, v2, v3
	v_mul_hi_i32 v8, 0x66666667, v8
	ds_store_b32 v1, v57
	s_waitcnt lgkmcnt(0)
	v_add_nc_u32_e32 v3, v7, v5
	v_cndmask_b32_e64 v23, 0, 1, vcc_lo
	v_cmp_ne_u32_e32 vcc_lo, v4, v2
	v_cvt_i32_f32_e32 v2, v15
	v_lshrrev_b32_e32 v5, 31, v6
	v_ashrrev_i32_e32 v6, 2, v6
	v_lshrrev_b32_e32 v7, 31, v8
	v_cndmask_b32_e64 v26, 0, 1, vcc_lo
	v_mul_hi_i32 v2, 0x66666667, v2
	v_cmp_ne_u32_e32 vcc_lo, v3, v4
	v_cvt_i32_f32_e32 v4, v18
	v_add_nc_u32_e32 v5, v6, v5
	v_cvt_i32_f32_e32 v6, v17
	v_ashrrev_i32_e32 v8, 2, v8
	v_cndmask_b32_e64 v25, 0, 1, vcc_lo
	v_mul_hi_i32 v4, 0x66666667, v4
	v_cmp_ne_u32_e32 vcc_lo, v5, v3
	v_mul_hi_i32 v6, 0x66666667, v6
	v_add_nc_u32_e32 v7, v8, v7
	v_lshrrev_b32_e32 v8, 31, v2
	v_ashrrev_i32_e32 v2, 2, v2
	v_cndmask_b32_e64 v28, 0, 1, vcc_lo
	s_barrier
	v_cmp_ne_u32_e32 vcc_lo, v7, v5
	v_lshrrev_b32_e32 v3, 31, v4
	v_add_nc_u32_e32 v2, v2, v8
	v_ashrrev_i32_e32 v4, 2, v4
	v_lshrrev_b32_e32 v5, 31, v6
	v_ashrrev_i32_e32 v6, 2, v6
	v_cvt_i32_f32_e32 v8, v20
	v_cndmask_b32_e64 v27, 0, 1, vcc_lo
	v_cmp_ne_u32_e32 vcc_lo, v2, v7
	v_cvt_i32_f32_e32 v7, v19
	v_add_nc_u32_e32 v3, v4, v3
	v_add_nc_u32_e32 v4, v6, v5
	v_mul_hi_i32 v5, 0x66666667, v8
	v_cvt_i32_f32_e32 v6, v22
	v_mul_hi_i32 v7, 0x66666667, v7
	v_cndmask_b32_e64 v30, 0, 1, vcc_lo
	v_cvt_i32_f32_e32 v8, v21
	v_cmp_ne_u32_e32 vcc_lo, v3, v2
	v_mul_hi_i32 v2, 0x66666667, v6
	buffer_gl0_inv
	v_lshrrev_b32_e32 v6, 31, v5
	v_ashrrev_i32_e32 v5, 2, v5
	v_cndmask_b32_e64 v29, 0, 1, vcc_lo
	v_cmp_ne_u32_e32 vcc_lo, v4, v3
	v_mul_hi_i32 v3, 0x66666667, v8
	v_lshrrev_b32_e32 v8, 31, v7
	v_ashrrev_i32_e32 v7, 2, v7
	v_add_nc_u32_e32 v5, v5, v6
	v_cndmask_b32_e64 v32, 0, 1, vcc_lo
	v_lshrrev_b32_e32 v31, 31, v2
	v_ashrrev_i32_e32 v2, 2, v2
	v_add_nc_u32_e32 v7, v7, v8
	v_cmp_ne_u32_e32 vcc_lo, v5, v4
	v_lshrrev_b32_e32 v6, 31, v3
	v_ashrrev_i32_e32 v3, 2, v3
	v_add_nc_u32_e32 v8, v2, v31
	v_cndmask_b32_e64 v31, 0, 1, vcc_lo
	v_cmp_ne_u32_e32 vcc_lo, v7, v5
	s_delay_alu instid0(VALU_DEP_4) | instskip(SKIP_3) | instid1(VALU_DEP_4)
	v_add_nc_u32_e32 v2, v3, v6
	v_cndmask_b32_e64 v34, 0, 1, vcc_lo
	v_cmp_ne_u32_e32 vcc_lo, v8, v7
	v_cndmask_b32_e64 v33, 0, 1, vcc_lo
	v_cmp_ne_u32_e32 vcc_lo, v2, v8
	v_cndmask_b32_e64 v50, 0, 1, vcc_lo
	v_cmpx_ne_u32_e32 0, v0
	s_xor_b32 s0, exec_lo, s0
	s_cbranch_execz .LBB153_113
; %bb.112:
	v_add_nc_u32_e32 v1, -4, v1
	s_or_b32 s19, s19, exec_lo
	ds_load_b32 v1, v1
	s_waitcnt lgkmcnt(0)
	v_cvt_i32_f32_e32 v1, v1
	s_delay_alu instid0(VALU_DEP_1) | instskip(NEXT) | instid1(VALU_DEP_1)
	v_mul_hi_i32 v1, 0x66666667, v1
	v_lshrrev_b32_e32 v3, 31, v1
	v_ashrrev_i32_e32 v1, 2, v1
	s_delay_alu instid0(VALU_DEP_1) | instskip(NEXT) | instid1(VALU_DEP_1)
	v_add_nc_u32_e32 v1, v1, v3
	v_cmp_ne_u32_e32 vcc_lo, v1, v2
	s_and_b32 s2, vcc_lo, exec_lo
.LBB153_113:
	s_or_b32 exec_lo, exec_lo, s0
	s_mov_b32 s0, 1
	s_branch .LBB153_71
.LBB153_114:
	s_mul_hi_u32 s0, s16, 0xfffff100
	s_mul_i32 s1, s17, 0xfffff100
	s_sub_i32 s0, s0, s16
	s_mul_i32 s2, s16, 0xfffff100
	s_add_i32 s1, s0, s1
	s_add_u32 s0, s2, s40
	s_addc_u32 s1, s1, s41
	s_and_b32 vcc_lo, exec_lo, s29
	s_cbranch_vccz .LBB153_149
; %bb.115:
	v_add_co_u32 v1, s2, -4, s14
	s_delay_alu instid0(VALU_DEP_1)
	v_add_co_ci_u32_e64 v2, null, -1, s18, s2
	v_mad_u32_u24 v23, v0, 15, 14
	v_mov_b32_e32 v24, 0
	v_mov_b32_e32 v58, 0
	flat_load_b32 v3, v[1:2]
	v_lshlrev_b32_e32 v2, 2, v0
	v_mul_u32_u24_e32 v1, 15, v0
	s_mov_b32 s2, exec_lo
	ds_store_b32 v2, v57
	v_cmpx_gt_u64_e64 s[0:1], v[23:24]
	s_cbranch_execz .LBB153_117
; %bb.116:
	v_cvt_i32_f32_e32 v4, v10
	v_cvt_i32_f32_e32 v5, v57
	s_delay_alu instid0(VALU_DEP_2) | instskip(NEXT) | instid1(VALU_DEP_2)
	v_mul_hi_i32 v4, 0x66666667, v4
	v_mul_hi_i32 v5, 0x66666667, v5
	s_delay_alu instid0(VALU_DEP_2) | instskip(SKIP_1) | instid1(VALU_DEP_3)
	v_lshrrev_b32_e32 v6, 31, v4
	v_ashrrev_i32_e32 v4, 2, v4
	v_lshrrev_b32_e32 v7, 31, v5
	v_ashrrev_i32_e32 v5, 2, v5
	s_delay_alu instid0(VALU_DEP_3) | instskip(NEXT) | instid1(VALU_DEP_2)
	v_add_nc_u32_e32 v4, v4, v6
	v_add_nc_u32_e32 v5, v5, v7
	s_delay_alu instid0(VALU_DEP_1)
	v_cmp_ne_u32_e32 vcc_lo, v4, v5
	v_cndmask_b32_e64 v58, 0, 1, vcc_lo
.LBB153_117:
	s_or_b32 exec_lo, exec_lo, s2
	v_add_nc_u32_e32 v23, 13, v1
	s_mov_b32 s2, exec_lo
	s_delay_alu instid0(VALU_DEP_1)
	v_cmpx_gt_u64_e64 s[0:1], v[23:24]
	s_cbranch_execz .LBB153_119
; %bb.118:
	v_cvt_i32_f32_e32 v4, v9
	v_cvt_i32_f32_e32 v5, v10
	s_delay_alu instid0(VALU_DEP_2) | instskip(NEXT) | instid1(VALU_DEP_2)
	v_mul_hi_i32 v4, 0x66666667, v4
	v_mul_hi_i32 v5, 0x66666667, v5
	s_delay_alu instid0(VALU_DEP_2) | instskip(SKIP_1) | instid1(VALU_DEP_3)
	v_lshrrev_b32_e32 v6, 31, v4
	v_ashrrev_i32_e32 v4, 2, v4
	v_lshrrev_b32_e32 v7, 31, v5
	v_ashrrev_i32_e32 v5, 2, v5
	s_delay_alu instid0(VALU_DEP_3) | instskip(NEXT) | instid1(VALU_DEP_2)
	v_add_nc_u32_e32 v4, v4, v6
	v_add_nc_u32_e32 v5, v5, v7
	s_delay_alu instid0(VALU_DEP_1)
	v_cmp_ne_u32_e32 vcc_lo, v4, v5
	v_cndmask_b32_e64 v24, 0, 1, vcc_lo
.LBB153_119:
	s_or_b32 exec_lo, exec_lo, s2
	v_dual_mov_b32 v26, 0 :: v_dual_add_nc_u32 v25, 12, v1
	v_mov_b32_e32 v23, 0
	s_mov_b32 s2, exec_lo
	s_delay_alu instid0(VALU_DEP_2)
	v_cmpx_gt_u64_e64 s[0:1], v[25:26]
	s_cbranch_execz .LBB153_121
; %bb.120:
	v_cvt_i32_f32_e32 v4, v12
	v_cvt_i32_f32_e32 v5, v9
	s_delay_alu instid0(VALU_DEP_2) | instskip(NEXT) | instid1(VALU_DEP_2)
	v_mul_hi_i32 v4, 0x66666667, v4
	v_mul_hi_i32 v5, 0x66666667, v5
	s_delay_alu instid0(VALU_DEP_2) | instskip(SKIP_1) | instid1(VALU_DEP_3)
	v_lshrrev_b32_e32 v6, 31, v4
	v_ashrrev_i32_e32 v4, 2, v4
	v_lshrrev_b32_e32 v7, 31, v5
	v_ashrrev_i32_e32 v5, 2, v5
	s_delay_alu instid0(VALU_DEP_3) | instskip(NEXT) | instid1(VALU_DEP_2)
	v_add_nc_u32_e32 v4, v4, v6
	v_add_nc_u32_e32 v5, v5, v7
	s_delay_alu instid0(VALU_DEP_1)
	v_cmp_ne_u32_e32 vcc_lo, v4, v5
	v_cndmask_b32_e64 v23, 0, 1, vcc_lo
.LBB153_121:
	s_or_b32 exec_lo, exec_lo, s2
	v_add_nc_u32_e32 v25, 11, v1
	s_mov_b32 s2, exec_lo
	s_delay_alu instid0(VALU_DEP_1)
	v_cmpx_gt_u64_e64 s[0:1], v[25:26]
	s_cbranch_execz .LBB153_123
; %bb.122:
	v_cvt_i32_f32_e32 v4, v11
	v_cvt_i32_f32_e32 v5, v12
	s_delay_alu instid0(VALU_DEP_2) | instskip(NEXT) | instid1(VALU_DEP_2)
	v_mul_hi_i32 v4, 0x66666667, v4
	v_mul_hi_i32 v5, 0x66666667, v5
	s_delay_alu instid0(VALU_DEP_2) | instskip(SKIP_1) | instid1(VALU_DEP_3)
	v_lshrrev_b32_e32 v6, 31, v4
	v_ashrrev_i32_e32 v4, 2, v4
	v_lshrrev_b32_e32 v7, 31, v5
	v_ashrrev_i32_e32 v5, 2, v5
	s_delay_alu instid0(VALU_DEP_3) | instskip(NEXT) | instid1(VALU_DEP_2)
	v_add_nc_u32_e32 v4, v4, v6
	v_add_nc_u32_e32 v5, v5, v7
	s_delay_alu instid0(VALU_DEP_1)
	v_cmp_ne_u32_e32 vcc_lo, v4, v5
	v_cndmask_b32_e64 v26, 0, 1, vcc_lo
.LBB153_123:
	s_or_b32 exec_lo, exec_lo, s2
	v_dual_mov_b32 v28, 0 :: v_dual_add_nc_u32 v27, 10, v1
	v_mov_b32_e32 v25, 0
	s_mov_b32 s2, exec_lo
	s_delay_alu instid0(VALU_DEP_2)
	;; [unrolled: 49-line block ×6, first 2 shown]
	v_cmpx_gt_u64_e64 s[0:1], v[49:50]
	s_cbranch_execz .LBB153_141
; %bb.140:
	v_cvt_i32_f32_e32 v4, v22
	v_cvt_i32_f32_e32 v5, v19
	s_delay_alu instid0(VALU_DEP_2) | instskip(NEXT) | instid1(VALU_DEP_2)
	v_mul_hi_i32 v4, 0x66666667, v4
	v_mul_hi_i32 v5, 0x66666667, v5
	s_delay_alu instid0(VALU_DEP_2) | instskip(SKIP_1) | instid1(VALU_DEP_3)
	v_lshrrev_b32_e32 v6, 31, v4
	v_ashrrev_i32_e32 v4, 2, v4
	v_lshrrev_b32_e32 v7, 31, v5
	v_ashrrev_i32_e32 v5, 2, v5
	s_delay_alu instid0(VALU_DEP_3) | instskip(NEXT) | instid1(VALU_DEP_2)
	v_add_nc_u32_e32 v4, v4, v6
	v_add_nc_u32_e32 v5, v5, v7
	s_delay_alu instid0(VALU_DEP_1)
	v_cmp_ne_u32_e32 vcc_lo, v4, v5
	v_cndmask_b32_e64 v33, 0, 1, vcc_lo
.LBB153_141:
	s_or_b32 exec_lo, exec_lo, s2
	v_add_nc_u32_e32 v49, 1, v1
	s_mov_b32 s2, exec_lo
	s_delay_alu instid0(VALU_DEP_1)
	v_cmpx_gt_u64_e64 s[0:1], v[49:50]
	s_cbranch_execz .LBB153_143
; %bb.142:
	v_cvt_i32_f32_e32 v4, v21
	v_cvt_i32_f32_e32 v5, v22
	s_delay_alu instid0(VALU_DEP_2) | instskip(NEXT) | instid1(VALU_DEP_2)
	v_mul_hi_i32 v4, 0x66666667, v4
	v_mul_hi_i32 v5, 0x66666667, v5
	s_delay_alu instid0(VALU_DEP_2) | instskip(SKIP_1) | instid1(VALU_DEP_3)
	v_lshrrev_b32_e32 v6, 31, v4
	v_ashrrev_i32_e32 v4, 2, v4
	v_lshrrev_b32_e32 v7, 31, v5
	v_ashrrev_i32_e32 v5, 2, v5
	s_delay_alu instid0(VALU_DEP_3) | instskip(NEXT) | instid1(VALU_DEP_2)
	v_add_nc_u32_e32 v4, v4, v6
	v_add_nc_u32_e32 v5, v5, v7
	s_delay_alu instid0(VALU_DEP_1)
	v_cmp_ne_u32_e32 vcc_lo, v4, v5
	v_cndmask_b32_e64 v50, 0, 1, vcc_lo
.LBB153_143:
	s_or_b32 exec_lo, exec_lo, s2
	s_mov_b32 s2, 0
	s_mov_b32 s3, exec_lo
	s_waitcnt vmcnt(0) lgkmcnt(0)
	s_barrier
	buffer_gl0_inv
	v_cmpx_ne_u32_e32 0, v0
	s_cbranch_execz .LBB153_145
; %bb.144:
	v_add_nc_u32_e32 v2, -4, v2
	ds_load_b32 v3, v2
.LBB153_145:
	s_or_b32 exec_lo, exec_lo, s3
	v_mov_b32_e32 v2, 0
	s_mov_b32 s3, exec_lo
	s_delay_alu instid0(VALU_DEP_1)
	v_cmpx_gt_u64_e64 s[0:1], v[1:2]
	s_cbranch_execz .LBB153_147
; %bb.146:
	s_waitcnt lgkmcnt(0)
	v_cvt_i32_f32_e32 v1, v3
	v_cvt_i32_f32_e32 v2, v21
	s_delay_alu instid0(VALU_DEP_2) | instskip(NEXT) | instid1(VALU_DEP_2)
	v_mul_hi_i32 v1, 0x66666667, v1
	v_mul_hi_i32 v2, 0x66666667, v2
	s_delay_alu instid0(VALU_DEP_2) | instskip(SKIP_1) | instid1(VALU_DEP_3)
	v_lshrrev_b32_e32 v3, 31, v1
	v_ashrrev_i32_e32 v1, 2, v1
	v_lshrrev_b32_e32 v4, 31, v2
	v_ashrrev_i32_e32 v2, 2, v2
	s_delay_alu instid0(VALU_DEP_3) | instskip(NEXT) | instid1(VALU_DEP_2)
	v_add_nc_u32_e32 v1, v1, v3
	v_add_nc_u32_e32 v2, v2, v4
	s_delay_alu instid0(VALU_DEP_1)
	v_cmp_ne_u32_e32 vcc_lo, v1, v2
	s_and_b32 s2, vcc_lo, exec_lo
.LBB153_147:
	s_or_b32 exec_lo, exec_lo, s3
	s_mov_b32 s19, -1
.LBB153_148:
                                        ; implicit-def: $sgpr0
	v_mov_b32_e32 v49, s0
	s_and_saveexec_b32 s0, s19
	s_cbranch_execz .LBB153_73
	s_branch .LBB153_72
.LBB153_149:
                                        ; implicit-def: $sgpr2
                                        ; implicit-def: $vgpr58
                                        ; implicit-def: $vgpr24
                                        ; implicit-def: $vgpr23
                                        ; implicit-def: $vgpr26
                                        ; implicit-def: $vgpr25
                                        ; implicit-def: $vgpr28
                                        ; implicit-def: $vgpr27
                                        ; implicit-def: $vgpr30
                                        ; implicit-def: $vgpr29
                                        ; implicit-def: $vgpr32
                                        ; implicit-def: $vgpr31
                                        ; implicit-def: $vgpr34
                                        ; implicit-def: $vgpr33
                                        ; implicit-def: $vgpr50
	s_cbranch_execz .LBB153_148
; %bb.150:
	v_mad_u32_u24 v23, v0, 15, 14
	s_waitcnt lgkmcnt(0)
	v_dual_mov_b32 v24, 0 :: v_dual_lshlrev_b32 v3, 2, v0
	v_mul_u32_u24_e32 v1, 15, v0
	v_mov_b32_e32 v58, 0
	s_mov_b32 s2, exec_lo
	ds_store_b32 v3, v57
	v_cmpx_gt_u64_e64 s[0:1], v[23:24]
	s_cbranch_execz .LBB153_152
; %bb.151:
	v_cvt_i32_f32_e32 v2, v10
	v_cvt_i32_f32_e32 v4, v57
	s_delay_alu instid0(VALU_DEP_2) | instskip(NEXT) | instid1(VALU_DEP_2)
	v_mul_hi_i32 v2, 0x66666667, v2
	v_mul_hi_i32 v4, 0x66666667, v4
	s_delay_alu instid0(VALU_DEP_2) | instskip(SKIP_1) | instid1(VALU_DEP_3)
	v_lshrrev_b32_e32 v5, 31, v2
	v_ashrrev_i32_e32 v2, 2, v2
	v_lshrrev_b32_e32 v6, 31, v4
	v_ashrrev_i32_e32 v4, 2, v4
	s_delay_alu instid0(VALU_DEP_3) | instskip(NEXT) | instid1(VALU_DEP_2)
	v_add_nc_u32_e32 v2, v2, v5
	v_add_nc_u32_e32 v4, v4, v6
	s_delay_alu instid0(VALU_DEP_1)
	v_cmp_ne_u32_e32 vcc_lo, v2, v4
	v_cndmask_b32_e64 v58, 0, 1, vcc_lo
.LBB153_152:
	s_or_b32 exec_lo, exec_lo, s2
	v_add_nc_u32_e32 v23, 13, v1
	s_mov_b32 s2, exec_lo
	s_delay_alu instid0(VALU_DEP_1)
	v_cmpx_gt_u64_e64 s[0:1], v[23:24]
	s_cbranch_execz .LBB153_154
; %bb.153:
	v_cvt_i32_f32_e32 v2, v9
	v_cvt_i32_f32_e32 v4, v10
	s_delay_alu instid0(VALU_DEP_2) | instskip(NEXT) | instid1(VALU_DEP_2)
	v_mul_hi_i32 v2, 0x66666667, v2
	v_mul_hi_i32 v4, 0x66666667, v4
	s_delay_alu instid0(VALU_DEP_2) | instskip(SKIP_1) | instid1(VALU_DEP_3)
	v_lshrrev_b32_e32 v5, 31, v2
	v_ashrrev_i32_e32 v2, 2, v2
	v_lshrrev_b32_e32 v6, 31, v4
	v_ashrrev_i32_e32 v4, 2, v4
	s_delay_alu instid0(VALU_DEP_3) | instskip(NEXT) | instid1(VALU_DEP_2)
	v_add_nc_u32_e32 v2, v2, v5
	v_add_nc_u32_e32 v4, v4, v6
	s_delay_alu instid0(VALU_DEP_1)
	v_cmp_ne_u32_e32 vcc_lo, v2, v4
	v_cndmask_b32_e64 v24, 0, 1, vcc_lo
.LBB153_154:
	s_or_b32 exec_lo, exec_lo, s2
	v_dual_mov_b32 v26, 0 :: v_dual_add_nc_u32 v25, 12, v1
	v_mov_b32_e32 v23, 0
	s_mov_b32 s2, exec_lo
	s_delay_alu instid0(VALU_DEP_2)
	v_cmpx_gt_u64_e64 s[0:1], v[25:26]
	s_cbranch_execz .LBB153_156
; %bb.155:
	v_cvt_i32_f32_e32 v2, v12
	v_cvt_i32_f32_e32 v4, v9
	s_delay_alu instid0(VALU_DEP_2) | instskip(NEXT) | instid1(VALU_DEP_2)
	v_mul_hi_i32 v2, 0x66666667, v2
	v_mul_hi_i32 v4, 0x66666667, v4
	s_delay_alu instid0(VALU_DEP_2) | instskip(SKIP_1) | instid1(VALU_DEP_3)
	v_lshrrev_b32_e32 v5, 31, v2
	v_ashrrev_i32_e32 v2, 2, v2
	v_lshrrev_b32_e32 v6, 31, v4
	v_ashrrev_i32_e32 v4, 2, v4
	s_delay_alu instid0(VALU_DEP_3) | instskip(NEXT) | instid1(VALU_DEP_2)
	v_add_nc_u32_e32 v2, v2, v5
	v_add_nc_u32_e32 v4, v4, v6
	s_delay_alu instid0(VALU_DEP_1)
	v_cmp_ne_u32_e32 vcc_lo, v2, v4
	v_cndmask_b32_e64 v23, 0, 1, vcc_lo
.LBB153_156:
	s_or_b32 exec_lo, exec_lo, s2
	v_add_nc_u32_e32 v25, 11, v1
	s_mov_b32 s2, exec_lo
	s_delay_alu instid0(VALU_DEP_1)
	v_cmpx_gt_u64_e64 s[0:1], v[25:26]
	s_cbranch_execz .LBB153_158
; %bb.157:
	v_cvt_i32_f32_e32 v2, v11
	v_cvt_i32_f32_e32 v4, v12
	s_delay_alu instid0(VALU_DEP_2) | instskip(NEXT) | instid1(VALU_DEP_2)
	v_mul_hi_i32 v2, 0x66666667, v2
	v_mul_hi_i32 v4, 0x66666667, v4
	s_delay_alu instid0(VALU_DEP_2) | instskip(SKIP_1) | instid1(VALU_DEP_3)
	v_lshrrev_b32_e32 v5, 31, v2
	v_ashrrev_i32_e32 v2, 2, v2
	v_lshrrev_b32_e32 v6, 31, v4
	v_ashrrev_i32_e32 v4, 2, v4
	s_delay_alu instid0(VALU_DEP_3) | instskip(NEXT) | instid1(VALU_DEP_2)
	v_add_nc_u32_e32 v2, v2, v5
	v_add_nc_u32_e32 v4, v4, v6
	s_delay_alu instid0(VALU_DEP_1)
	v_cmp_ne_u32_e32 vcc_lo, v2, v4
	v_cndmask_b32_e64 v26, 0, 1, vcc_lo
.LBB153_158:
	s_or_b32 exec_lo, exec_lo, s2
	v_dual_mov_b32 v28, 0 :: v_dual_add_nc_u32 v27, 10, v1
	v_mov_b32_e32 v25, 0
	s_mov_b32 s2, exec_lo
	s_delay_alu instid0(VALU_DEP_2)
	;; [unrolled: 49-line block ×6, first 2 shown]
	v_cmpx_gt_u64_e64 s[0:1], v[49:50]
	s_cbranch_execz .LBB153_176
; %bb.175:
	v_cvt_i32_f32_e32 v2, v22
	v_cvt_i32_f32_e32 v4, v19
	s_delay_alu instid0(VALU_DEP_2) | instskip(NEXT) | instid1(VALU_DEP_2)
	v_mul_hi_i32 v2, 0x66666667, v2
	v_mul_hi_i32 v4, 0x66666667, v4
	s_delay_alu instid0(VALU_DEP_2) | instskip(SKIP_1) | instid1(VALU_DEP_3)
	v_lshrrev_b32_e32 v5, 31, v2
	v_ashrrev_i32_e32 v2, 2, v2
	v_lshrrev_b32_e32 v6, 31, v4
	v_ashrrev_i32_e32 v4, 2, v4
	s_delay_alu instid0(VALU_DEP_3) | instskip(NEXT) | instid1(VALU_DEP_2)
	v_add_nc_u32_e32 v2, v2, v5
	v_add_nc_u32_e32 v4, v4, v6
	s_delay_alu instid0(VALU_DEP_1)
	v_cmp_ne_u32_e32 vcc_lo, v2, v4
	v_cndmask_b32_e64 v33, 0, 1, vcc_lo
.LBB153_176:
	s_or_b32 exec_lo, exec_lo, s2
	v_add_nc_u32_e32 v49, 1, v1
	s_mov_b32 s2, exec_lo
	s_delay_alu instid0(VALU_DEP_1)
	v_cmpx_gt_u64_e64 s[0:1], v[49:50]
	s_cbranch_execz .LBB153_178
; %bb.177:
	v_cvt_i32_f32_e32 v2, v21
	v_cvt_i32_f32_e32 v4, v22
	s_delay_alu instid0(VALU_DEP_2) | instskip(NEXT) | instid1(VALU_DEP_2)
	v_mul_hi_i32 v2, 0x66666667, v2
	v_mul_hi_i32 v4, 0x66666667, v4
	s_delay_alu instid0(VALU_DEP_2) | instskip(SKIP_1) | instid1(VALU_DEP_3)
	v_lshrrev_b32_e32 v5, 31, v2
	v_ashrrev_i32_e32 v2, 2, v2
	v_lshrrev_b32_e32 v6, 31, v4
	v_ashrrev_i32_e32 v4, 2, v4
	s_delay_alu instid0(VALU_DEP_3) | instskip(NEXT) | instid1(VALU_DEP_2)
	v_add_nc_u32_e32 v2, v2, v5
	v_add_nc_u32_e32 v4, v4, v6
	s_delay_alu instid0(VALU_DEP_1)
	v_cmp_ne_u32_e32 vcc_lo, v2, v4
	v_cndmask_b32_e64 v50, 0, 1, vcc_lo
.LBB153_178:
	s_or_b32 exec_lo, exec_lo, s2
	s_mov_b32 s4, 0
	s_mov_b32 s3, exec_lo
	s_waitcnt lgkmcnt(0)
	s_barrier
	buffer_gl0_inv
                                        ; implicit-def: $sgpr2
	v_cmpx_ne_u32_e32 0, v0
	s_cbranch_execz .LBB153_182
; %bb.179:
	v_mov_b32_e32 v2, 0
	s_delay_alu instid0(VALU_DEP_1)
	v_cmp_gt_u64_e32 vcc_lo, s[0:1], v[1:2]
	s_and_saveexec_b32 s0, vcc_lo
	s_cbranch_execz .LBB153_181
; %bb.180:
	v_add_nc_u32_e32 v1, -4, v3
	v_cvt_i32_f32_e32 v2, v21
	ds_load_b32 v1, v1
	v_mul_hi_i32 v2, 0x66666667, v2
	s_delay_alu instid0(VALU_DEP_1) | instskip(SKIP_1) | instid1(VALU_DEP_1)
	v_lshrrev_b32_e32 v3, 31, v2
	v_ashrrev_i32_e32 v2, 2, v2
	v_add_nc_u32_e32 v2, v2, v3
	s_waitcnt lgkmcnt(0)
	v_cvt_i32_f32_e32 v1, v1
	s_delay_alu instid0(VALU_DEP_1) | instskip(NEXT) | instid1(VALU_DEP_1)
	v_mul_hi_i32 v1, 0x66666667, v1
	v_lshrrev_b32_e32 v4, 31, v1
	v_ashrrev_i32_e32 v1, 2, v1
	s_delay_alu instid0(VALU_DEP_1) | instskip(NEXT) | instid1(VALU_DEP_1)
	v_add_nc_u32_e32 v1, v1, v4
	v_cmp_ne_u32_e32 vcc_lo, v1, v2
	s_and_b32 s4, vcc_lo, exec_lo
.LBB153_181:
	s_or_b32 exec_lo, exec_lo, s0
	s_delay_alu instid0(SALU_CYCLE_1)
	s_and_b32 s2, s4, exec_lo
	s_or_b32 s19, s19, exec_lo
.LBB153_182:
	s_or_b32 exec_lo, exec_lo, s3
	s_mov_b32 s0, 1
	s_delay_alu instid0(SALU_CYCLE_1)
	v_mov_b32_e32 v49, s0
	s_and_saveexec_b32 s0, s19
	s_cbranch_execnz .LBB153_72
	s_branch .LBB153_73
.LBB153_183:
	v_lshlrev_b32_e32 v6, 16, v53
	v_lshlrev_b32_e32 v5, 8, v5
	v_cndmask_b32_e64 v7, 0, 1, vcc_lo
	v_and_b32_e32 v2, 0xff, v2
	s_delay_alu instid0(VALU_DEP_4) | instskip(NEXT) | instid1(VALU_DEP_4)
	v_perm_b32 v6, v8, v6, 0x4020c0c
	v_and_b32_e32 v5, 0xff00, v5
	s_delay_alu instid0(VALU_DEP_4) | instskip(NEXT) | instid1(VALU_DEP_2)
	v_readfirstlane_b32 s14, v7
	v_or3_b32 v2, v6, v5, v2
	s_delay_alu instid0(VALU_DEP_2)
	s_sub_i32 s16, s16, s14
.LBB153_184:
	v_and_b32_e32 v4, 0xff, v4
	s_delay_alu instid0(VALU_DEP_1)
	v_cmp_eq_u16_e32 vcc_lo, 2, v4
	s_cbranch_vccz .LBB153_189
; %bb.185:
	s_ctz_i32_b32 s14, vcc_lo
	s_delay_alu instid0(SALU_CYCLE_1)
	s_cmp_eq_u32 s14, 0
	s_cbranch_scc1 .LBB153_190
; %bb.186:
	v_cmp_ne_u32_e32 vcc_lo, 31, v72
	v_add_co_ci_u32_e32 v4, vcc_lo, 0, v72, vcc_lo
	v_cmp_eq_u32_e32 vcc_lo, 0, v2
	s_delay_alu instid0(VALU_DEP_2)
	v_dual_mov_b32 v5, v3 :: v_dual_lshlrev_b32 v6, 2, v4
	v_mov_b32_e32 v4, v2
.LBB153_187:                            ; =>This Inner Loop Header: Depth=1
	ds_bpermute_b32 v5, v6, v5
	ds_bpermute_b32 v4, v6, v4
	s_add_i32 s14, s14, -1
	s_delay_alu instid0(SALU_CYCLE_1) | instskip(SKIP_2) | instid1(VALU_DEP_1)
	s_cmp_lg_u32 s14, 0
	s_waitcnt lgkmcnt(0)
	v_dual_add_f32 v5, v3, v5 :: v_dual_add_nc_u32 v4, v4, v2
	v_cndmask_b32_e32 v5, v3, v5, vcc_lo
	s_cbranch_scc1 .LBB153_187
; %bb.188:
	s_cmp_lt_i32 s16, 1
	s_cbranch_scc0 .LBB153_191
	s_branch .LBB153_193
.LBB153_189:
	s_mov_b32 s16, 0
	s_mov_b32 s15, -1
	s_branch .LBB153_198
.LBB153_190:
	v_dual_mov_b32 v5, v3 :: v_dual_mov_b32 v4, v2
	s_cmp_lt_i32 s16, 1
	s_cbranch_scc1 .LBB153_193
.LBB153_191:
	s_lshl_b32 s14, s16, 3
	s_delay_alu instid0(SALU_CYCLE_1) | instskip(SKIP_1) | instid1(VALU_DEP_1)
	v_add_nc_u32_e64 v2, s14, 0
	s_add_i32 s14, s16, 1
	v_add_nc_u32_e32 v2, -4, v2
.LBB153_192:                            ; =>This Inner Loop Header: Depth=1
	scratch_load_b64 v[6:7], v2, off offset:-4
	v_readlane_b32 s16, v5, 32
	s_add_i32 s14, s14, -1
	v_add_nc_u32_e32 v2, -8, v2
	s_cmp_gt_u32 s14, 1
	s_waitcnt vmcnt(0)
	v_add_f32_e32 v3, s16, v7
	v_readlane_b32 s16, v4, 32
	v_cmp_eq_u32_e32 vcc_lo, 0, v6
	s_delay_alu instid0(VALU_DEP_2) | instskip(NEXT) | instid1(VALU_DEP_1)
	v_add_nc_u32_e32 v4, s16, v6
	v_mov_b32_dpp v4, v4 row_shl:1 row_mask:0xf bank_mask:0xf
	s_delay_alu instid0(VALU_DEP_1) | instskip(NEXT) | instid1(VALU_DEP_1)
	v_dual_cndmask_b32 v3, v7, v3 :: v_dual_add_nc_u32 v4, v4, v6
	v_mov_b32_dpp v3, v3 row_shl:1 row_mask:0xf bank_mask:0xf
	s_delay_alu instid0(VALU_DEP_2) | instskip(NEXT) | instid1(VALU_DEP_1)
	v_mov_b32_dpp v4, v4 row_shl:1 row_mask:0xf bank_mask:0xf
	v_dual_add_f32 v3, v7, v3 :: v_dual_add_nc_u32 v4, v4, v6
	s_delay_alu instid0(VALU_DEP_1) | instskip(NEXT) | instid1(VALU_DEP_1)
	v_mov_b32_dpp v4, v4 row_shl:1 row_mask:0xf bank_mask:0xf
	v_dual_cndmask_b32 v3, v7, v3 :: v_dual_add_nc_u32 v4, v4, v6
	s_delay_alu instid0(VALU_DEP_1) | instskip(NEXT) | instid1(VALU_DEP_2)
	v_mov_b32_dpp v3, v3 row_shl:1 row_mask:0xf bank_mask:0xf
	v_mov_b32_dpp v4, v4 row_shl:1 row_mask:0xf bank_mask:0xf
	s_delay_alu instid0(VALU_DEP_1) | instskip(NEXT) | instid1(VALU_DEP_1)
	v_dual_add_f32 v3, v7, v3 :: v_dual_add_nc_u32 v4, v4, v6
	v_mov_b32_dpp v4, v4 row_shl:1 row_mask:0xf bank_mask:0xf
	s_delay_alu instid0(VALU_DEP_1) | instskip(NEXT) | instid1(VALU_DEP_1)
	v_dual_cndmask_b32 v3, v7, v3 :: v_dual_add_nc_u32 v4, v4, v6
	v_mov_b32_dpp v3, v3 row_shl:1 row_mask:0xf bank_mask:0xf
	s_delay_alu instid0(VALU_DEP_2) | instskip(NEXT) | instid1(VALU_DEP_1)
	v_mov_b32_dpp v4, v4 row_shl:1 row_mask:0xf bank_mask:0xf
	v_dual_add_f32 v3, v7, v3 :: v_dual_add_nc_u32 v4, v4, v6
	s_delay_alu instid0(VALU_DEP_1) | instskip(NEXT) | instid1(VALU_DEP_1)
	v_mov_b32_dpp v4, v4 row_shl:1 row_mask:0xf bank_mask:0xf
	v_dual_cndmask_b32 v3, v7, v3 :: v_dual_add_nc_u32 v4, v4, v6
	s_delay_alu instid0(VALU_DEP_1) | instskip(NEXT) | instid1(VALU_DEP_2)
	v_mov_b32_dpp v3, v3 row_shl:1 row_mask:0xf bank_mask:0xf
	v_mov_b32_dpp v4, v4 row_shl:1 row_mask:0xf bank_mask:0xf
	s_delay_alu instid0(VALU_DEP_2) | instskip(NEXT) | instid1(VALU_DEP_1)
	v_add_f32_e32 v3, v7, v3
	v_cndmask_b32_e32 v3, v7, v3, vcc_lo
	s_delay_alu instid0(VALU_DEP_1) | instskip(NEXT) | instid1(VALU_DEP_1)
	v_mov_b32_dpp v3, v3 row_shl:1 row_mask:0xf bank_mask:0xf
	v_add_f32_e32 v3, v7, v3
	s_delay_alu instid0(VALU_DEP_1) | instskip(NEXT) | instid1(VALU_DEP_1)
	v_cndmask_b32_e32 v3, v7, v3, vcc_lo
	v_mov_b32_dpp v3, v3 row_shl:1 row_mask:0xf bank_mask:0xf
	s_delay_alu instid0(VALU_DEP_1) | instskip(NEXT) | instid1(VALU_DEP_1)
	v_add_f32_e32 v3, v7, v3
	v_cndmask_b32_e32 v3, v7, v3, vcc_lo
	s_delay_alu instid0(VALU_DEP_1) | instskip(NEXT) | instid1(VALU_DEP_1)
	v_mov_b32_dpp v3, v3 row_shl:1 row_mask:0xf bank_mask:0xf
	v_add_f32_e32 v3, v7, v3
	s_delay_alu instid0(VALU_DEP_1) | instskip(NEXT) | instid1(VALU_DEP_1)
	v_cndmask_b32_e32 v3, v7, v3, vcc_lo
	v_mov_b32_dpp v3, v3 row_shl:1 row_mask:0xf bank_mask:0xf
	s_delay_alu instid0(VALU_DEP_1) | instskip(NEXT) | instid1(VALU_DEP_1)
	;; [unrolled: 9-line block ×5, first 2 shown]
	v_add_f32_e32 v3, v7, v3
	v_cndmask_b32_e32 v3, v7, v3, vcc_lo
	s_delay_alu instid0(VALU_DEP_1) | instskip(NEXT) | instid1(VALU_DEP_1)
	v_mov_b32_dpp v3, v3 row_shl:1 row_mask:0xf bank_mask:0xf
	v_add_f32_e32 v3, v7, v3
	s_delay_alu instid0(VALU_DEP_1) | instskip(NEXT) | instid1(VALU_DEP_1)
	v_cndmask_b32_e32 v3, v7, v3, vcc_lo
	v_readlane_b32 s16, v3, 16
	s_delay_alu instid0(VALU_DEP_1) | instskip(NEXT) | instid1(VALU_DEP_1)
	v_dual_add_f32 v4, s16, v7 :: v_dual_add_nc_u32 v3, v4, v6
	v_mov_b32_dpp v3, v3 row_shl:1 row_mask:0xf bank_mask:0xf
	s_delay_alu instid0(VALU_DEP_2) | instskip(NEXT) | instid1(VALU_DEP_2)
	v_cndmask_b32_e32 v4, v7, v4, vcc_lo
	v_add_nc_u32_e32 v3, v3, v6
	s_delay_alu instid0(VALU_DEP_2) | instskip(NEXT) | instid1(VALU_DEP_2)
	v_mov_b32_dpp v4, v4 row_shl:1 row_mask:0xf bank_mask:0xf
	v_mov_b32_dpp v3, v3 row_shl:1 row_mask:0xf bank_mask:0xf
	s_delay_alu instid0(VALU_DEP_2) | instskip(NEXT) | instid1(VALU_DEP_2)
	v_add_f32_e32 v4, v7, v4
	v_add_nc_u32_e32 v3, v3, v6
	s_delay_alu instid0(VALU_DEP_2) | instskip(NEXT) | instid1(VALU_DEP_2)
	v_cndmask_b32_e32 v4, v7, v4, vcc_lo
	v_mov_b32_dpp v3, v3 row_shl:1 row_mask:0xf bank_mask:0xf
	s_delay_alu instid0(VALU_DEP_2) | instskip(NEXT) | instid1(VALU_DEP_2)
	v_mov_b32_dpp v4, v4 row_shl:1 row_mask:0xf bank_mask:0xf
	v_add_nc_u32_e32 v3, v3, v6
	s_delay_alu instid0(VALU_DEP_2) | instskip(NEXT) | instid1(VALU_DEP_2)
	v_add_f32_e32 v4, v7, v4
	v_mov_b32_dpp v3, v3 row_shl:1 row_mask:0xf bank_mask:0xf
	s_delay_alu instid0(VALU_DEP_2) | instskip(NEXT) | instid1(VALU_DEP_2)
	v_cndmask_b32_e32 v4, v7, v4, vcc_lo
	v_add_nc_u32_e32 v3, v3, v6
	s_delay_alu instid0(VALU_DEP_2) | instskip(NEXT) | instid1(VALU_DEP_2)
	v_mov_b32_dpp v4, v4 row_shl:1 row_mask:0xf bank_mask:0xf
	v_mov_b32_dpp v3, v3 row_shl:1 row_mask:0xf bank_mask:0xf
	s_delay_alu instid0(VALU_DEP_2) | instskip(NEXT) | instid1(VALU_DEP_2)
	v_add_f32_e32 v4, v7, v4
	v_add_nc_u32_e32 v3, v3, v6
	s_delay_alu instid0(VALU_DEP_2) | instskip(NEXT) | instid1(VALU_DEP_2)
	v_cndmask_b32_e32 v4, v7, v4, vcc_lo
	v_mov_b32_dpp v3, v3 row_shl:1 row_mask:0xf bank_mask:0xf
	s_delay_alu instid0(VALU_DEP_2) | instskip(NEXT) | instid1(VALU_DEP_2)
	v_mov_b32_dpp v4, v4 row_shl:1 row_mask:0xf bank_mask:0xf
	v_add_nc_u32_e32 v3, v3, v6
	s_delay_alu instid0(VALU_DEP_2) | instskip(NEXT) | instid1(VALU_DEP_2)
	v_add_f32_e32 v4, v7, v4
	v_mov_b32_dpp v3, v3 row_shl:1 row_mask:0xf bank_mask:0xf
	s_delay_alu instid0(VALU_DEP_2) | instskip(NEXT) | instid1(VALU_DEP_2)
	v_cndmask_b32_e32 v4, v7, v4, vcc_lo
	v_add_nc_u32_e32 v3, v3, v6
	s_delay_alu instid0(VALU_DEP_2) | instskip(NEXT) | instid1(VALU_DEP_2)
	v_mov_b32_dpp v4, v4 row_shl:1 row_mask:0xf bank_mask:0xf
	v_readlane_b32 s16, v3, 16
	s_delay_alu instid0(VALU_DEP_1) | instskip(NEXT) | instid1(VALU_DEP_1)
	v_dual_add_f32 v3, v7, v4 :: v_dual_add_nc_u32 v4, s16, v6
	v_cndmask_b32_e32 v3, v7, v3, vcc_lo
	s_delay_alu instid0(VALU_DEP_2) | instskip(NEXT) | instid1(VALU_DEP_2)
	v_mov_b32_dpp v4, v4 row_shl:1 row_mask:0xf bank_mask:0xf
	v_mov_b32_dpp v3, v3 row_shl:1 row_mask:0xf bank_mask:0xf
	s_delay_alu instid0(VALU_DEP_1) | instskip(NEXT) | instid1(VALU_DEP_1)
	v_dual_add_f32 v3, v7, v3 :: v_dual_add_nc_u32 v4, v4, v6
	v_mov_b32_dpp v4, v4 row_shl:1 row_mask:0xf bank_mask:0xf
	s_delay_alu instid0(VALU_DEP_1) | instskip(NEXT) | instid1(VALU_DEP_1)
	v_dual_cndmask_b32 v3, v7, v3 :: v_dual_add_nc_u32 v4, v4, v6
	v_mov_b32_dpp v3, v3 row_shl:1 row_mask:0xf bank_mask:0xf
	s_delay_alu instid0(VALU_DEP_2) | instskip(NEXT) | instid1(VALU_DEP_1)
	v_mov_b32_dpp v4, v4 row_shl:1 row_mask:0xf bank_mask:0xf
	v_dual_add_f32 v3, v7, v3 :: v_dual_add_nc_u32 v4, v4, v6
	s_delay_alu instid0(VALU_DEP_1) | instskip(NEXT) | instid1(VALU_DEP_2)
	v_cndmask_b32_e32 v3, v7, v3, vcc_lo
	v_mov_b32_dpp v4, v4 row_shl:1 row_mask:0xf bank_mask:0xf
	s_delay_alu instid0(VALU_DEP_2) | instskip(NEXT) | instid1(VALU_DEP_1)
	v_mov_b32_dpp v3, v3 row_shl:1 row_mask:0xf bank_mask:0xf
	v_dual_add_f32 v3, v7, v3 :: v_dual_add_nc_u32 v4, v4, v6
	s_delay_alu instid0(VALU_DEP_1) | instskip(NEXT) | instid1(VALU_DEP_1)
	v_mov_b32_dpp v4, v4 row_shl:1 row_mask:0xf bank_mask:0xf
	v_dual_cndmask_b32 v3, v7, v3 :: v_dual_add_nc_u32 v4, v4, v6
	s_delay_alu instid0(VALU_DEP_1) | instskip(NEXT) | instid1(VALU_DEP_2)
	v_mov_b32_dpp v3, v3 row_shl:1 row_mask:0xf bank_mask:0xf
	v_mov_b32_dpp v4, v4 row_shl:1 row_mask:0xf bank_mask:0xf
	s_delay_alu instid0(VALU_DEP_1) | instskip(NEXT) | instid1(VALU_DEP_1)
	v_dual_add_f32 v3, v7, v3 :: v_dual_add_nc_u32 v4, v4, v6
	v_cndmask_b32_e32 v3, v7, v3, vcc_lo
	s_delay_alu instid0(VALU_DEP_2) | instskip(NEXT) | instid1(VALU_DEP_2)
	v_mov_b32_dpp v4, v4 row_shl:1 row_mask:0xf bank_mask:0xf
	v_mov_b32_dpp v3, v3 row_shl:1 row_mask:0xf bank_mask:0xf
	s_delay_alu instid0(VALU_DEP_1) | instskip(NEXT) | instid1(VALU_DEP_1)
	v_dual_add_f32 v3, v7, v3 :: v_dual_add_nc_u32 v4, v4, v6
	v_mov_b32_dpp v4, v4 row_shl:1 row_mask:0xf bank_mask:0xf
	s_delay_alu instid0(VALU_DEP_1) | instskip(NEXT) | instid1(VALU_DEP_1)
	v_dual_cndmask_b32 v3, v7, v3 :: v_dual_add_nc_u32 v4, v4, v6
	v_mov_b32_dpp v3, v3 row_shl:1 row_mask:0xf bank_mask:0xf
	s_delay_alu instid0(VALU_DEP_2) | instskip(NEXT) | instid1(VALU_DEP_1)
	v_mov_b32_dpp v4, v4 row_shl:1 row_mask:0xf bank_mask:0xf
	v_dual_add_f32 v3, v7, v3 :: v_dual_add_nc_u32 v4, v4, v6
	s_delay_alu instid0(VALU_DEP_1) | instskip(NEXT) | instid1(VALU_DEP_2)
	v_cndmask_b32_e32 v3, v7, v3, vcc_lo
	v_mov_b32_dpp v4, v4 row_shl:1 row_mask:0xf bank_mask:0xf
	s_delay_alu instid0(VALU_DEP_2) | instskip(NEXT) | instid1(VALU_DEP_1)
	v_mov_b32_dpp v3, v3 row_shl:1 row_mask:0xf bank_mask:0xf
	v_dual_add_f32 v3, v7, v3 :: v_dual_add_nc_u32 v4, v4, v6
	s_delay_alu instid0(VALU_DEP_1) | instskip(NEXT) | instid1(VALU_DEP_1)
	v_mov_b32_dpp v4, v4 row_shl:1 row_mask:0xf bank_mask:0xf
	v_dual_cndmask_b32 v3, v7, v3 :: v_dual_add_nc_u32 v4, v4, v6
	s_delay_alu instid0(VALU_DEP_1) | instskip(NEXT) | instid1(VALU_DEP_2)
	v_mov_b32_dpp v3, v3 row_shl:1 row_mask:0xf bank_mask:0xf
	v_mov_b32_dpp v4, v4 row_shl:1 row_mask:0xf bank_mask:0xf
	s_delay_alu instid0(VALU_DEP_1) | instskip(NEXT) | instid1(VALU_DEP_1)
	v_dual_add_f32 v3, v7, v3 :: v_dual_add_nc_u32 v4, v4, v6
	v_cndmask_b32_e32 v3, v7, v3, vcc_lo
	s_delay_alu instid0(VALU_DEP_2) | instskip(NEXT) | instid1(VALU_DEP_2)
	v_mov_b32_dpp v4, v4 row_shl:1 row_mask:0xf bank_mask:0xf
	v_mov_b32_dpp v3, v3 row_shl:1 row_mask:0xf bank_mask:0xf
	s_delay_alu instid0(VALU_DEP_1) | instskip(NEXT) | instid1(VALU_DEP_1)
	v_dual_add_f32 v3, v7, v3 :: v_dual_add_nc_u32 v4, v4, v6
	v_mov_b32_dpp v4, v4 row_shl:1 row_mask:0xf bank_mask:0xf
	s_delay_alu instid0(VALU_DEP_1) | instskip(NEXT) | instid1(VALU_DEP_1)
	v_dual_cndmask_b32 v3, v7, v3 :: v_dual_add_nc_u32 v4, v4, v6
	v_mov_b32_dpp v3, v3 row_shl:1 row_mask:0xf bank_mask:0xf
	s_delay_alu instid0(VALU_DEP_2) | instskip(NEXT) | instid1(VALU_DEP_1)
	v_mov_b32_dpp v4, v4 row_shl:1 row_mask:0xf bank_mask:0xf
	v_dual_add_f32 v3, v7, v3 :: v_dual_add_nc_u32 v4, v4, v6
	s_delay_alu instid0(VALU_DEP_1)
	v_cndmask_b32_e32 v5, v7, v3, vcc_lo
	s_cbranch_scc1 .LBB153_192
.LBB153_193:
	s_delay_alu instid0(VALU_DEP_1) | instskip(NEXT) | instid1(VALU_DEP_2)
	v_readfirstlane_b32 s14, v4
	v_readfirstlane_b32 s16, v5
	s_and_saveexec_b32 s17, s13
	s_cbranch_execz .LBB153_195
; %bb.194:
	s_delay_alu instid0(VALU_DEP_1)
	v_add_f32_e64 v2, s30, s16
	v_cmp_eq_u32_e32 vcc_lo, 0, v1
	s_mov_b32 s19, 0
	s_add_i32 s18, s15, 32
	v_mov_b32_e32 v7, 2
	s_lshl_b64 s[18:19], s[18:19], 4
	v_cndmask_b32_e32 v2, s30, v2, vcc_lo
	s_add_u32 s18, s24, s18
	s_addc_u32 s19, s25, s19
	s_delay_alu instid0(SALU_CYCLE_1) | instskip(NEXT) | instid1(VALU_DEP_2)
	v_dual_mov_b32 v54, s19 :: v_dual_add_nc_u32 v5, s14, v1
	v_dual_mov_b32 v8, 0 :: v_dual_and_b32 v3, 0xff000000, v2
	v_dual_mov_b32 v53, s18 :: v_dual_and_b32 v4, 0xff0000, v2
	v_and_b32_e32 v6, 0xff00, v2
	v_and_b32_e32 v2, 0xff, v2
	s_delay_alu instid0(VALU_DEP_3) | instskip(SKIP_1) | instid1(VALU_DEP_2)
	v_or_b32_e32 v3, v4, v3
	v_mov_b32_e32 v4, s16
	v_or_b32_e32 v3, v3, v6
	s_delay_alu instid0(VALU_DEP_1)
	v_or_b32_e32 v6, v3, v2
	v_dual_mov_b32 v3, s14 :: v_dual_mov_b32 v2, s30
	;;#ASMSTART
	global_store_dwordx4 v[53:54], v[5:8] off	
s_waitcnt vmcnt(0)
	;;#ASMEND
	ds_store_b128 v8, v[1:4] offset:2048
.LBB153_195:
	s_or_b32 exec_lo, exec_lo, s17
	s_mov_b32 s15, 0
	s_mov_b32 s17, exec_lo
	v_cmpx_eq_u32_e32 0, v0
	s_cbranch_execz .LBB153_197
; %bb.196:
	v_dual_mov_b32 v1, s14 :: v_dual_mov_b32 v2, s16
	v_mov_b32_e32 v3, 0
	ds_store_b64 v3, v[1:2] offset:2120
.LBB153_197:
	s_or_b32 exec_lo, exec_lo, s17
	s_mov_b32 s16, -1
.LBB153_198:
	s_and_b32 s14, s15, exec_lo
	s_or_not1_b32 s16, s16, exec_lo
.LBB153_199:
	s_or_b32 exec_lo, exec_lo, s29
                                        ; implicit-def: $vgpr1
                                        ; implicit-def: $vgpr53
                                        ; implicit-def: $vgpr5
                                        ; implicit-def: $vgpr62
                                        ; implicit-def: $vgpr54
                                        ; implicit-def: $vgpr56
                                        ; implicit-def: $vgpr55
                                        ; implicit-def: $vgpr60
                                        ; implicit-def: $vgpr61
                                        ; implicit-def: $vgpr63
                                        ; implicit-def: $vgpr64
                                        ; implicit-def: $vgpr65
                                        ; implicit-def: $vgpr66
                                        ; implicit-def: $vgpr67
                                        ; implicit-def: $vgpr68
                                        ; implicit-def: $vgpr69
                                        ; implicit-def: $vgpr70
                                        ; implicit-def: $vgpr71
	s_and_saveexec_b32 s15, s16
	s_cbranch_execz .LBB153_232
; %bb.200:
	s_waitcnt lgkmcnt(1)
	v_cndmask_b32_e64 v7, v77, v51, s13
	s_waitcnt lgkmcnt(0)
	v_cndmask_b32_e64 v2, v78, v52, s13
	s_waitcnt_vscnt null, 0x0
	s_barrier
	buffer_gl0_inv
	v_cmp_eq_u32_e32 vcc_lo, 0, v7
	v_mov_b32_e32 v1, 0
	v_cmp_eq_u32_e64 s13, 0, v49
	s_mov_b32 s27, exec_lo
	ds_load_b64 v[5:6], v1 offset:2120
	s_waitcnt lgkmcnt(0)
	s_barrier
	buffer_gl0_inv
	v_add_f32_e32 v3, v2, v6
	s_delay_alu instid0(VALU_DEP_1) | instskip(SKIP_1) | instid1(VALU_DEP_2)
	v_cndmask_b32_e32 v2, v2, v3, vcc_lo
	v_cmp_eq_u32_e32 vcc_lo, 0, v0
	v_cndmask_b32_e32 v71, v2, v6, vcc_lo
	s_delay_alu instid0(VALU_DEP_1) | instskip(NEXT) | instid1(VALU_DEP_1)
	v_add_f32_e32 v2, v47, v71
	v_cndmask_b32_e64 v70, v47, v2, s13
	s_delay_alu instid0(VALU_DEP_1) | instskip(NEXT) | instid1(VALU_DEP_1)
	v_add_f32_e32 v2, v48, v70
	v_cndmask_b32_e64 v69, v48, v2, s12
	;; [unrolled: 3-line block ×11, first 2 shown]
	ds_load_b128 v[1:4], v1 offset:2048
	v_add_f32_e32 v6, v38, v55
	s_delay_alu instid0(VALU_DEP_1) | instskip(NEXT) | instid1(VALU_DEP_1)
	v_cndmask_b32_e64 v56, v38, v6, s2
	v_add_f32_e32 v6, v35, v56
	s_delay_alu instid0(VALU_DEP_1)
	v_cndmask_b32_e64 v54, v35, v6, s1
	v_cndmask_b32_e64 v6, v7, 0, vcc_lo
	s_waitcnt lgkmcnt(0)
	v_add_f32_e32 v4, v4, v2
	v_cmp_eq_u32_e32 vcc_lo, 0, v1
	v_add_f32_e32 v7, v36, v54
	v_dual_mov_b32 v5, v3 :: v_dual_add_nc_u32 v6, v5, v6
	s_delay_alu instid0(VALU_DEP_4) | instskip(NEXT) | instid1(VALU_DEP_3)
	v_cndmask_b32_e32 v53, v2, v4, vcc_lo
	v_cndmask_b32_e64 v62, v36, v7, s0
	s_delay_alu instid0(VALU_DEP_3) | instskip(SKIP_2) | instid1(SALU_CYCLE_1)
	v_mov_b32_e32 v4, v6
	s_or_b32 exec_lo, exec_lo, s15
	s_and_saveexec_b32 s0, s14
	s_xor_b32 s0, exec_lo, s0
	s_cbranch_execnz .LBB153_233
.LBB153_201:
	s_or_b32 exec_lo, exec_lo, s0
	s_branch .LBB153_109
.LBB153_202:
	s_and_b32 s0, s26, exec_lo
	v_mov_b32_e32 v5, v47
	s_cselect_b32 s1, 0, s35
	s_cselect_b32 s0, 0, s34
	s_delay_alu instid0(SALU_CYCLE_1)
	s_cmp_eq_u64 s[0:1], 0
	s_cbranch_scc1 .LBB153_204
; %bb.203:
	v_mov_b32_e32 v1, 0
	global_load_b32 v5, v1, s[0:1]
.LBB153_204:
	v_cmp_eq_u32_e64 s0, 0, v50
	v_cmp_eq_u32_e64 s1, 0, v33
	v_add3_u32 v2, v75, v32, v29
	v_cmp_eq_u32_e64 s2, 0, v34
	v_cmp_eq_u32_e64 s3, 0, v31
	v_cndmask_b32_e64 v1, v48, v76, s0
	v_cmp_eq_u32_e64 s4, 0, v32
	v_add3_u32 v2, v2, v30, v27
	v_cmp_eq_u32_e64 s5, 0, v29
	v_cmp_eq_u32_e64 s6, 0, v30
	v_dual_add_f32 v1, v45, v1 :: v_dual_and_b32 v4, 15, v72
	s_delay_alu instid0(VALU_DEP_4) | instskip(SKIP_2) | instid1(VALU_DEP_4)
	v_add3_u32 v2, v2, v28, v25
	v_cmp_eq_u32_e64 s7, 0, v27
	v_cmp_eq_u32_e64 s9, 0, v28
	v_cndmask_b32_e64 v1, v45, v1, s1
	v_cmp_eq_u32_e64 s11, 0, v25
	v_add3_u32 v2, v2, v26, v23
	v_cmp_eq_u32_e64 s8, 0, v26
	v_cmp_eq_u32_e64 s10, 0, v23
	v_add_f32_e32 v1, v46, v1
	v_cmp_eq_u32_e32 vcc_lo, 0, v24
	v_add3_u32 v2, v2, v24, v58
	v_cmp_eq_u32_e64 s12, 0, v58
	v_and_b32_e32 v7, 16, v72
	v_cndmask_b32_e64 v1, v46, v1, s2
	s_delay_alu instid0(VALU_DEP_4) | instskip(NEXT) | instid1(VALU_DEP_3)
	v_mov_b32_dpp v6, v2 row_shr:1 row_mask:0xf bank_mask:0xf
	v_cmp_eq_u32_e64 s13, 0, v7
	s_delay_alu instid0(VALU_DEP_3) | instskip(NEXT) | instid1(VALU_DEP_1)
	v_add_f32_e32 v1, v43, v1
	v_cndmask_b32_e64 v1, v43, v1, s3
	s_delay_alu instid0(VALU_DEP_1) | instskip(NEXT) | instid1(VALU_DEP_1)
	v_add_f32_e32 v1, v44, v1
	v_cndmask_b32_e64 v1, v44, v1, s4
	s_delay_alu instid0(VALU_DEP_1) | instskip(NEXT) | instid1(VALU_DEP_1)
	;; [unrolled: 3-line block ×9, first 2 shown]
	v_add_f32_e32 v1, v36, v1
	v_cndmask_b32_e32 v1, v36, v1, vcc_lo
	s_delay_alu instid0(VALU_DEP_1) | instskip(NEXT) | instid1(VALU_DEP_1)
	v_add_f32_e32 v1, v59, v1
	v_cndmask_b32_e64 v1, v59, v1, s12
	v_cmp_eq_u32_e64 s12, 0, v2
	s_waitcnt lgkmcnt(0)
	s_delay_alu instid0(VALU_DEP_2) | instskip(NEXT) | instid1(VALU_DEP_1)
	v_mov_b32_dpp v3, v1 row_shr:1 row_mask:0xf bank_mask:0xf
	v_add_f32_e32 v3, v1, v3
	s_delay_alu instid0(VALU_DEP_1) | instskip(SKIP_1) | instid1(VALU_DEP_1)
	v_cndmask_b32_e64 v3, v1, v3, s12
	v_cmp_eq_u32_e64 s12, 0, v4
	v_cndmask_b32_e64 v6, v6, 0, s12
	s_delay_alu instid0(VALU_DEP_3) | instskip(NEXT) | instid1(VALU_DEP_2)
	v_cndmask_b32_e64 v1, v3, v1, s12
	v_add_nc_u32_e32 v2, v6, v2
	s_delay_alu instid0(VALU_DEP_2) | instskip(NEXT) | instid1(VALU_DEP_2)
	v_mov_b32_dpp v3, v1 row_shr:2 row_mask:0xf bank_mask:0xf
	v_cmp_eq_u32_e64 s12, 0, v2
	s_delay_alu instid0(VALU_DEP_2) | instskip(SKIP_1) | instid1(VALU_DEP_2)
	v_add_f32_e32 v3, v1, v3
	v_mov_b32_dpp v6, v2 row_shr:2 row_mask:0xf bank_mask:0xf
	v_cndmask_b32_e64 v3, v1, v3, s12
	v_cmp_lt_u32_e64 s12, 1, v4
	s_delay_alu instid0(VALU_DEP_1) | instskip(NEXT) | instid1(VALU_DEP_4)
	v_cndmask_b32_e64 v1, v1, v3, s12
	v_cndmask_b32_e64 v3, 0, v6, s12
	s_delay_alu instid0(VALU_DEP_2) | instskip(NEXT) | instid1(VALU_DEP_1)
	v_mov_b32_dpp v6, v1 row_shr:4 row_mask:0xf bank_mask:0xf
	v_dual_add_f32 v3, v1, v6 :: v_dual_add_nc_u32 v2, v2, v3
	s_delay_alu instid0(VALU_DEP_1) | instskip(SKIP_1) | instid1(VALU_DEP_2)
	v_cmp_eq_u32_e64 s12, 0, v2
	v_mov_b32_dpp v6, v2 row_shr:4 row_mask:0xf bank_mask:0xf
	v_cndmask_b32_e64 v3, v1, v3, s12
	v_cmp_lt_u32_e64 s12, 3, v4
	s_delay_alu instid0(VALU_DEP_1) | instskip(NEXT) | instid1(VALU_DEP_4)
	v_cndmask_b32_e64 v1, v1, v3, s12
	v_cndmask_b32_e64 v3, 0, v6, s12
	s_delay_alu instid0(VALU_DEP_2) | instskip(NEXT) | instid1(VALU_DEP_2)
	v_mov_b32_dpp v6, v1 row_shr:8 row_mask:0xf bank_mask:0xf
	v_add_nc_u32_e32 v2, v3, v2
	s_delay_alu instid0(VALU_DEP_2) | instskip(NEXT) | instid1(VALU_DEP_2)
	v_add_f32_e32 v3, v1, v6
	v_cmp_eq_u32_e64 s12, 0, v2
	v_mov_b32_dpp v6, v2 row_shr:8 row_mask:0xf bank_mask:0xf
	s_delay_alu instid0(VALU_DEP_2) | instskip(SKIP_1) | instid1(VALU_DEP_1)
	v_cndmask_b32_e64 v3, v1, v3, s12
	v_cmp_lt_u32_e64 s12, 7, v4
	v_cndmask_b32_e64 v3, v1, v3, s12
	s_delay_alu instid0(VALU_DEP_4) | instskip(SKIP_1) | instid1(VALU_DEP_2)
	v_cndmask_b32_e64 v1, 0, v6, s12
	v_bfe_i32 v6, v72, 4, 1
	v_add_nc_u32_e32 v1, v1, v2
	ds_swizzle_b32 v2, v3 offset:swizzle(BROADCAST,32,15)
	ds_swizzle_b32 v4, v1 offset:swizzle(BROADCAST,32,15)
	v_cmp_eq_u32_e64 s12, 0, v1
	s_waitcnt lgkmcnt(1)
	v_add_f32_e32 v2, v3, v2
	s_waitcnt lgkmcnt(0)
	v_and_b32_e32 v4, v6, v4
	s_delay_alu instid0(VALU_DEP_2) | instskip(NEXT) | instid1(VALU_DEP_2)
	v_cndmask_b32_e64 v2, v3, v2, s12
	v_add_nc_u32_e32 v1, v4, v1
	s_delay_alu instid0(VALU_DEP_2)
	v_cndmask_b32_e64 v2, v2, v3, s13
	s_mov_b32 s13, exec_lo
	v_cmpx_eq_u32_e64 v74, v0
	s_cbranch_execz .LBB153_206
; %bb.205:
	v_lshlrev_b32_e32 v3, 3, v73
	ds_store_b64 v3, v[1:2] offset:2064
.LBB153_206:
	s_or_b32 exec_lo, exec_lo, s13
	s_delay_alu instid0(SALU_CYCLE_1)
	s_mov_b32 s14, exec_lo
	s_waitcnt vmcnt(0) lgkmcnt(0)
	s_waitcnt_vscnt null, 0x0
	s_barrier
	buffer_gl0_inv
	v_cmpx_gt_u32_e32 8, v0
	s_cbranch_execz .LBB153_208
; %bb.207:
	v_lshlrev_b32_e32 v6, 3, v0
	v_and_b32_e32 v8, 7, v72
	ds_load_b64 v[3:4], v6 offset:2064
	s_waitcnt lgkmcnt(0)
	v_mov_b32_dpp v7, v4 row_shr:1 row_mask:0xf bank_mask:0xf
	v_cmp_eq_u32_e64 s12, 0, v3
	v_mov_b32_dpp v51, v3 row_shr:1 row_mask:0xf bank_mask:0xf
	s_delay_alu instid0(VALU_DEP_3) | instskip(NEXT) | instid1(VALU_DEP_1)
	v_add_f32_e32 v7, v4, v7
	v_cndmask_b32_e64 v7, v4, v7, s12
	v_cmp_eq_u32_e64 s12, 0, v8
	s_delay_alu instid0(VALU_DEP_1) | instskip(NEXT) | instid1(VALU_DEP_3)
	v_cndmask_b32_e64 v51, v51, 0, s12
	v_cndmask_b32_e64 v4, v7, v4, s12
	s_delay_alu instid0(VALU_DEP_2) | instskip(NEXT) | instid1(VALU_DEP_2)
	v_add_nc_u32_e32 v3, v51, v3
	v_mov_b32_dpp v7, v4 row_shr:2 row_mask:0xf bank_mask:0xf
	s_delay_alu instid0(VALU_DEP_2) | instskip(NEXT) | instid1(VALU_DEP_2)
	v_cmp_eq_u32_e64 s12, 0, v3
	v_add_f32_e32 v7, v4, v7
	v_mov_b32_dpp v51, v3 row_shr:2 row_mask:0xf bank_mask:0xf
	s_delay_alu instid0(VALU_DEP_2) | instskip(SKIP_1) | instid1(VALU_DEP_1)
	v_cndmask_b32_e64 v7, v4, v7, s12
	v_cmp_lt_u32_e64 s12, 1, v8
	v_cndmask_b32_e64 v4, v4, v7, s12
	s_delay_alu instid0(VALU_DEP_4) | instskip(SKIP_1) | instid1(VALU_DEP_3)
	v_cndmask_b32_e64 v7, 0, v51, s12
	v_cmp_lt_u32_e64 s12, 3, v8
	v_mov_b32_dpp v51, v4 row_shr:4 row_mask:0xf bank_mask:0xf
	s_delay_alu instid0(VALU_DEP_3) | instskip(NEXT) | instid1(VALU_DEP_2)
	v_add_nc_u32_e32 v3, v7, v3
	v_add_f32_e32 v8, v4, v51
	s_delay_alu instid0(VALU_DEP_2) | instskip(SKIP_1) | instid1(VALU_DEP_2)
	v_mov_b32_dpp v7, v3 row_shr:4 row_mask:0xf bank_mask:0xf
	v_cmp_eq_u32_e64 s13, 0, v3
	v_cndmask_b32_e64 v7, 0, v7, s12
	s_delay_alu instid0(VALU_DEP_2) | instskip(NEXT) | instid1(SALU_CYCLE_1)
	s_and_b32 s12, s12, s13
	v_cndmask_b32_e64 v4, v4, v8, s12
	s_delay_alu instid0(VALU_DEP_2)
	v_add_nc_u32_e32 v3, v7, v3
	ds_store_b64 v6, v[3:4] offset:2064
.LBB153_208:
	s_or_b32 exec_lo, exec_lo, s14
	v_dual_mov_b32 v6, 0 :: v_dual_mov_b32 v3, 0
	v_mov_b32_e32 v7, v5
	s_mov_b32 s13, exec_lo
	s_waitcnt lgkmcnt(0)
	s_barrier
	buffer_gl0_inv
	v_cmpx_lt_u32_e32 31, v0
	s_cbranch_execz .LBB153_210
; %bb.209:
	v_lshlrev_b32_e32 v3, 3, v73
	ds_load_b64 v[3:4], v3 offset:2056
	s_waitcnt lgkmcnt(0)
	v_add_f32_e32 v7, v5, v4
	v_cmp_eq_u32_e64 s12, 0, v3
	s_delay_alu instid0(VALU_DEP_1)
	v_cndmask_b32_e64 v7, v4, v7, s12
.LBB153_210:
	s_or_b32 exec_lo, exec_lo, s13
	v_add_nc_u32_e32 v4, -1, v72
	s_delay_alu instid0(VALU_DEP_2) | instskip(SKIP_2) | instid1(VALU_DEP_3)
	v_dual_add_f32 v8, v2, v7 :: v_dual_add_nc_u32 v51, v3, v1
	v_cmp_eq_u32_e64 s13, 0, v49
	s_mov_b32 s27, -1
	v_cmp_gt_i32_e64 s12, 0, v4
	s_delay_alu instid0(VALU_DEP_1) | instskip(SKIP_1) | instid1(VALU_DEP_2)
	v_cndmask_b32_e64 v4, v4, v72, s12
	v_cmp_eq_u32_e64 s12, 0, v1
	v_lshlrev_b32_e32 v4, 2, v4
	s_delay_alu instid0(VALU_DEP_2)
	v_cndmask_b32_e64 v1, v2, v8, s12
	v_cmp_eq_u32_e64 s12, 0, v72
	ds_bpermute_b32 v2, v4, v51
	ds_bpermute_b32 v1, v4, v1
	s_waitcnt lgkmcnt(1)
	v_cndmask_b32_e64 v4, v2, v3, s12
	s_waitcnt lgkmcnt(0)
	v_cndmask_b32_e64 v71, v1, v7, s12
	v_cmp_eq_u32_e64 s12, 0, v0
	s_delay_alu instid0(VALU_DEP_1) | instskip(NEXT) | instid1(VALU_DEP_1)
	v_cndmask_b32_e64 v1, v71, v5, s12
	v_add_f32_e32 v1, v47, v1
	s_delay_alu instid0(VALU_DEP_1) | instskip(NEXT) | instid1(VALU_DEP_1)
	v_cndmask_b32_e64 v70, v47, v1, s13
	v_add_f32_e32 v1, v48, v70
	;; [unrolled: 3-line block ×11, first 2 shown]
	s_delay_alu instid0(VALU_DEP_1) | instskip(SKIP_2) | instid1(VALU_DEP_1)
	v_cndmask_b32_e64 v55, v37, v1, s11
	ds_load_b64 v[1:2], v6 offset:2120
	v_add_f32_e32 v3, v38, v55
	v_cndmask_b32_e64 v56, v38, v3, s8
	s_delay_alu instid0(VALU_DEP_1) | instskip(NEXT) | instid1(VALU_DEP_1)
	v_add_f32_e32 v3, v35, v56
	v_cndmask_b32_e64 v54, v35, v3, s10
	s_waitcnt lgkmcnt(0)
	v_add_f32_e32 v3, v5, v2
	v_cmp_eq_u32_e64 s0, 0, v1
	s_delay_alu instid0(VALU_DEP_3) | instskip(NEXT) | instid1(VALU_DEP_2)
	v_add_f32_e32 v6, v36, v54
	v_cndmask_b32_e64 v53, v2, v3, s0
	s_and_saveexec_b32 s0, s12
	s_cbranch_execz .LBB153_212
; %bb.211:
	s_delay_alu instid0(VALU_DEP_1)
	v_and_b32_e32 v2, 0xff000000, v53
	v_dual_mov_b32 v4, 0 :: v_dual_and_b32 v3, 0xff0000, v53
	s_add_u32 s2, s24, 0x200
	v_and_b32_e32 v7, 0xff00, v53
	s_addc_u32 s3, s25, 0
	v_and_b32_e32 v8, 0xff, v53
	v_or_b32_e32 v2, v3, v2
	v_mov_b32_e32 v3, 2
	v_mov_b32_e32 v71, v5
	s_delay_alu instid0(VALU_DEP_3)
	v_or3_b32 v2, v2, v7, v8
	v_dual_mov_b32 v8, s3 :: v_dual_mov_b32 v7, s2
	;;#ASMSTART
	global_store_dwordx4 v[7:8], v[1:4] off	
s_waitcnt vmcnt(0)
	;;#ASMEND
.LBB153_212:
	s_or_b32 exec_lo, exec_lo, s0
	v_dual_cndmask_b32 v62, v36, v6 :: v_dual_mov_b32 v5, 0
	s_and_saveexec_b32 s0, s27
	s_cbranch_execz .LBB153_375
.LBB153_213:
	v_mov_b32_e32 v7, 0
	s_and_b32 s0, s26, exec_lo
	v_mov_b32_e32 v8, 0
	s_cselect_b32 s1, 0, s43
	s_cselect_b32 s0, 0, s42
	s_waitcnt lgkmcnt(0)
	s_waitcnt_vscnt null, 0x0
	s_cmp_eq_u64 s[0:1], 0
	s_barrier
	buffer_gl0_inv
	s_cbranch_scc1 .LBB153_215
; %bb.214:
	v_mov_b32_e32 v2, 0
	global_load_b64 v[7:8], v2, s[0:1]
.LBB153_215:
	v_cmp_eq_u32_e32 vcc_lo, 0, v49
	v_add_nc_u32_e32 v48, v4, v49
	s_waitcnt vmcnt(0)
	v_lshlrev_b64 v[2:3], 2, v[7:8]
	v_cmp_ne_u32_e64 s12, 0, v49
	v_cmp_ne_u32_e64 s10, 0, v50
	v_cndmask_b32_e64 v6, 1, 2, vcc_lo
	v_cmp_eq_u32_e32 vcc_lo, 0, v50
	v_add_nc_u32_e32 v46, v48, v50
	v_cmp_ne_u32_e64 s9, 0, v33
	v_cmp_ne_u32_e64 s7, 0, v34
	;; [unrolled: 1-line block ×3, first 2 shown]
	v_cndmask_b32_e64 v35, 1, 2, vcc_lo
	v_cmp_eq_u32_e32 vcc_lo, 0, v33
	v_add_nc_u32_e32 v51, v46, v33
	v_cmp_ne_u32_e64 s13, 0, v32
	v_cmp_ne_u32_e64 s11, 0, v29
	v_dual_mov_b32 v6, 0 :: v_dual_and_b32 v35, v35, v6
	v_cndmask_b32_e64 v36, 1, 2, vcc_lo
	v_cmp_eq_u32_e32 vcc_lo, 0, v34
	v_add_nc_u32_e32 v47, v51, v34
	v_cmp_ne_u32_e64 s8, 0, v30
	v_cmp_ne_u32_e64 s6, 0, v27
	v_and_b32_e32 v35, v35, v36
	v_cndmask_b32_e64 v37, 1, 2, vcc_lo
	v_cmp_eq_u32_e32 vcc_lo, 0, v31
	v_add_nc_u32_e32 v45, v47, v31
	v_cmp_ne_u32_e64 s5, 0, v28
	v_cmp_ne_u32_e64 s4, 0, v25
	v_and_b32_e32 v35, v35, v37
	;; [unrolled: 6-line block ×4, first 2 shown]
	v_cndmask_b32_e64 v36, 1, 2, vcc_lo
	v_cmp_eq_u32_e32 vcc_lo, 0, v30
	v_add_nc_u32_e32 v42, v43, v30
	s_mov_b32 s15, -1
	s_delay_alu instid0(VALU_DEP_3) | instskip(SKIP_3) | instid1(VALU_DEP_3)
	v_and_b32_e32 v35, v35, v36
	v_cndmask_b32_e64 v37, 1, 2, vcc_lo
	v_cmp_eq_u32_e32 vcc_lo, 0, v27
	v_add_nc_u32_e32 v41, v42, v27
	v_and_b32_e32 v35, v35, v37
	v_cndmask_b32_e64 v36, 1, 2, vcc_lo
	v_cmp_eq_u32_e32 vcc_lo, 0, v28
	s_delay_alu instid0(VALU_DEP_4) | instskip(NEXT) | instid1(VALU_DEP_3)
	v_add_nc_u32_e32 v40, v41, v28
	v_and_b32_e32 v52, v35, v36
	v_cndmask_b32_e64 v38, 1, 2, vcc_lo
	v_cmp_eq_u32_e32 vcc_lo, 0, v25
	v_lshlrev_b64 v[35:36], 2, v[5:6]
	v_add_nc_u32_e32 v39, v40, v25
	s_delay_alu instid0(VALU_DEP_4) | instskip(SKIP_2) | instid1(VALU_DEP_4)
	v_and_b32_e32 v6, v52, v38
	v_cndmask_b32_e64 v37, 1, 2, vcc_lo
	v_cmp_eq_u32_e32 vcc_lo, 0, v26
	v_add_nc_u32_e32 v38, v39, v26
	s_delay_alu instid0(VALU_DEP_3) | instskip(SKIP_2) | instid1(VALU_DEP_4)
	v_and_b32_e32 v6, v6, v37
	v_cndmask_b32_e64 v72, 1, 2, vcc_lo
	v_cmp_eq_u32_e32 vcc_lo, 0, v23
	v_add_nc_u32_e32 v37, v38, v23
	s_delay_alu instid0(VALU_DEP_3) | instskip(SKIP_3) | instid1(VALU_DEP_3)
	v_and_b32_e32 v72, v6, v72
	v_cndmask_b32_e64 v73, 1, 2, vcc_lo
	v_add_co_u32 v52, vcc_lo, s22, v2
	v_add_co_ci_u32_e32 v59, vcc_lo, s23, v3, vcc_lo
	v_and_b32_e32 v72, v72, v73
	s_delay_alu instid0(VALU_DEP_3) | instskip(NEXT) | instid1(VALU_DEP_3)
	v_add_co_u32 v52, vcc_lo, v52, v35
	v_add_co_ci_u32_e32 v59, vcc_lo, v59, v36, vcc_lo
	v_cmp_eq_u32_e32 vcc_lo, 0, v24
	v_add_nc_u32_e32 v6, v37, v24
	v_cndmask_b32_e64 v73, 1, 2, vcc_lo
	v_cmp_eq_u32_e32 vcc_lo, 0, v58
	s_delay_alu instid0(VALU_DEP_2) | instskip(SKIP_2) | instid1(VALU_DEP_2)
	v_and_b32_e32 v72, v72, v73
	v_cndmask_b32_e64 v73, 1, 2, vcc_lo
	v_cmp_gt_u32_e32 vcc_lo, 0x100, v1
	v_and_b32_e32 v72, v72, v73
	s_cbranch_vccz .LBB153_255
; %bb.216:
	s_mov_b32 s15, exec_lo
	s_delay_alu instid0(VALU_DEP_1)
	v_cmpx_gt_i16_e32 2, v72
	s_cbranch_execz .LBB153_254
; %bb.217:
	s_mov_b32 s17, 0
	s_mov_b32 s16, exec_lo
	v_cmpx_ne_u16_e32 1, v72
	s_xor_b32 s16, exec_lo, s16
	s_cbranch_execz .LBB153_235
; %bb.218:
	s_and_saveexec_b32 s17, s12
	s_cbranch_execz .LBB153_237
; %bb.219:
	v_sub_nc_u32_e32 v73, v4, v5
	v_mov_b32_e32 v74, 0
	s_delay_alu instid0(VALU_DEP_1) | instskip(NEXT) | instid1(VALU_DEP_1)
	v_lshlrev_b64 v[73:74], 2, v[73:74]
	v_add_co_u32 v73, vcc_lo, v52, v73
	s_delay_alu instid0(VALU_DEP_2)
	v_add_co_ci_u32_e32 v74, vcc_lo, v59, v74, vcc_lo
	global_store_b32 v[73:74], v21, off
	s_or_b32 exec_lo, exec_lo, s17
	s_and_saveexec_b32 s17, s10
	s_cbranch_execnz .LBB153_238
.LBB153_220:
	s_or_b32 exec_lo, exec_lo, s17
	s_and_saveexec_b32 s17, s9
	s_cbranch_execz .LBB153_239
.LBB153_221:
	v_sub_nc_u32_e32 v73, v46, v5
	v_mov_b32_e32 v74, 0
	s_delay_alu instid0(VALU_DEP_1) | instskip(NEXT) | instid1(VALU_DEP_1)
	v_lshlrev_b64 v[73:74], 2, v[73:74]
	v_add_co_u32 v73, vcc_lo, v52, v73
	s_delay_alu instid0(VALU_DEP_2)
	v_add_co_ci_u32_e32 v74, vcc_lo, v59, v74, vcc_lo
	global_store_b32 v[73:74], v19, off
	s_or_b32 exec_lo, exec_lo, s17
	s_and_saveexec_b32 s17, s7
	s_cbranch_execnz .LBB153_240
.LBB153_222:
	s_or_b32 exec_lo, exec_lo, s17
	s_and_saveexec_b32 s17, s14
	s_cbranch_execz .LBB153_241
.LBB153_223:
	v_sub_nc_u32_e32 v73, v47, v5
	v_mov_b32_e32 v74, 0
	s_delay_alu instid0(VALU_DEP_1) | instskip(NEXT) | instid1(VALU_DEP_1)
	v_lshlrev_b64 v[73:74], 2, v[73:74]
	v_add_co_u32 v73, vcc_lo, v52, v73
	s_delay_alu instid0(VALU_DEP_2)
	v_add_co_ci_u32_e32 v74, vcc_lo, v59, v74, vcc_lo
	global_store_b32 v[73:74], v17, off
	s_or_b32 exec_lo, exec_lo, s17
	s_and_saveexec_b32 s17, s13
	s_cbranch_execnz .LBB153_242
.LBB153_224:
	s_or_b32 exec_lo, exec_lo, s17
	s_and_saveexec_b32 s17, s11
	s_cbranch_execz .LBB153_243
.LBB153_225:
	v_sub_nc_u32_e32 v73, v44, v5
	v_mov_b32_e32 v74, 0
	s_delay_alu instid0(VALU_DEP_1) | instskip(NEXT) | instid1(VALU_DEP_1)
	v_lshlrev_b64 v[73:74], 2, v[73:74]
	v_add_co_u32 v73, vcc_lo, v52, v73
	s_delay_alu instid0(VALU_DEP_2)
	v_add_co_ci_u32_e32 v74, vcc_lo, v59, v74, vcc_lo
	global_store_b32 v[73:74], v15, off
	s_or_b32 exec_lo, exec_lo, s17
	s_and_saveexec_b32 s17, s8
	s_cbranch_execnz .LBB153_244
.LBB153_226:
	s_or_b32 exec_lo, exec_lo, s17
	s_and_saveexec_b32 s17, s6
	s_cbranch_execz .LBB153_245
.LBB153_227:
	v_sub_nc_u32_e32 v73, v42, v5
	v_mov_b32_e32 v74, 0
	s_delay_alu instid0(VALU_DEP_1) | instskip(NEXT) | instid1(VALU_DEP_1)
	v_lshlrev_b64 v[73:74], 2, v[73:74]
	v_add_co_u32 v73, vcc_lo, v52, v73
	s_delay_alu instid0(VALU_DEP_2)
	v_add_co_ci_u32_e32 v74, vcc_lo, v59, v74, vcc_lo
	global_store_b32 v[73:74], v13, off
	s_or_b32 exec_lo, exec_lo, s17
	s_and_saveexec_b32 s17, s5
	s_cbranch_execnz .LBB153_246
.LBB153_228:
	s_or_b32 exec_lo, exec_lo, s17
	s_and_saveexec_b32 s17, s4
	s_cbranch_execz .LBB153_247
.LBB153_229:
	v_sub_nc_u32_e32 v73, v40, v5
	v_mov_b32_e32 v74, 0
	s_delay_alu instid0(VALU_DEP_1) | instskip(NEXT) | instid1(VALU_DEP_1)
	v_lshlrev_b64 v[73:74], 2, v[73:74]
	v_add_co_u32 v73, vcc_lo, v52, v73
	s_delay_alu instid0(VALU_DEP_2)
	v_add_co_ci_u32_e32 v74, vcc_lo, v59, v74, vcc_lo
	global_store_b32 v[73:74], v11, off
	s_or_b32 exec_lo, exec_lo, s17
	s_and_saveexec_b32 s17, s3
	s_cbranch_execnz .LBB153_248
.LBB153_230:
	s_or_b32 exec_lo, exec_lo, s17
	s_and_saveexec_b32 s17, s2
	s_cbranch_execz .LBB153_249
.LBB153_231:
	v_sub_nc_u32_e32 v73, v38, v5
	v_mov_b32_e32 v74, 0
	s_delay_alu instid0(VALU_DEP_1) | instskip(NEXT) | instid1(VALU_DEP_1)
	v_lshlrev_b64 v[73:74], 2, v[73:74]
	v_add_co_u32 v73, vcc_lo, v52, v73
	s_delay_alu instid0(VALU_DEP_2)
	v_add_co_ci_u32_e32 v74, vcc_lo, v59, v74, vcc_lo
	global_store_b32 v[73:74], v9, off
	s_or_b32 exec_lo, exec_lo, s17
	s_and_saveexec_b32 s17, s1
	s_cbranch_execnz .LBB153_250
	s_branch .LBB153_251
.LBB153_232:
	s_or_b32 exec_lo, exec_lo, s15
	s_and_saveexec_b32 s0, s14
	s_delay_alu instid0(SALU_CYCLE_1)
	s_xor_b32 s0, exec_lo, s0
	s_cbranch_execz .LBB153_201
.LBB153_233:
	s_cbranch_execnz .LBB153_376
; %bb.234:
	; divergent unreachable
                                        ; implicit-def: $vgpr62
                                        ; implicit-def: $vgpr54
                                        ; implicit-def: $vgpr56
                                        ; implicit-def: $vgpr55
                                        ; implicit-def: $vgpr60
                                        ; implicit-def: $vgpr61
                                        ; implicit-def: $vgpr63
                                        ; implicit-def: $vgpr64
                                        ; implicit-def: $vgpr65
                                        ; implicit-def: $vgpr66
                                        ; implicit-def: $vgpr67
                                        ; implicit-def: $vgpr68
                                        ; implicit-def: $vgpr69
                                        ; implicit-def: $vgpr70
                                        ; implicit-def: $vgpr71
	s_or_b32 exec_lo, exec_lo, s0
	s_branch .LBB153_109
.LBB153_235:
	s_and_not1_saveexec_b32 s16, s16
	s_cbranch_execz .LBB153_252
.LBB153_236:
	v_sub_nc_u32_e32 v73, v4, v5
	v_mov_b32_e32 v74, 0
	s_or_b32 s17, s17, exec_lo
	s_delay_alu instid0(VALU_DEP_1) | instskip(SKIP_1) | instid1(VALU_DEP_1)
	v_lshlrev_b64 v[75:76], 2, v[73:74]
	v_sub_nc_u32_e32 v73, v48, v5
	v_lshlrev_b64 v[77:78], 2, v[73:74]
	v_sub_nc_u32_e32 v73, v46, v5
	s_delay_alu instid0(VALU_DEP_4) | instskip(SKIP_1) | instid1(VALU_DEP_3)
	v_add_co_u32 v75, vcc_lo, v52, v75
	v_add_co_ci_u32_e32 v76, vcc_lo, v59, v76, vcc_lo
	v_lshlrev_b64 v[79:80], 2, v[73:74]
	v_sub_nc_u32_e32 v73, v51, v5
	v_add_co_u32 v77, vcc_lo, v52, v77
	v_add_co_ci_u32_e32 v78, vcc_lo, v59, v78, vcc_lo
	global_store_b32 v[75:76], v21, off
	v_lshlrev_b64 v[75:76], 2, v[73:74]
	v_sub_nc_u32_e32 v73, v47, v5
	global_store_b32 v[77:78], v22, off
	v_add_co_u32 v77, vcc_lo, v52, v79
	v_add_co_ci_u32_e32 v78, vcc_lo, v59, v80, vcc_lo
	v_lshlrev_b64 v[79:80], 2, v[73:74]
	v_sub_nc_u32_e32 v73, v45, v5
	v_add_co_u32 v75, vcc_lo, v52, v75
	v_add_co_ci_u32_e32 v76, vcc_lo, v59, v76, vcc_lo
	s_delay_alu instid0(VALU_DEP_3) | instskip(SKIP_3) | instid1(VALU_DEP_3)
	v_lshlrev_b64 v[81:82], 2, v[73:74]
	v_sub_nc_u32_e32 v73, v44, v5
	v_add_co_u32 v79, vcc_lo, v52, v79
	v_add_co_ci_u32_e32 v80, vcc_lo, v59, v80, vcc_lo
	v_lshlrev_b64 v[83:84], 2, v[73:74]
	v_sub_nc_u32_e32 v73, v43, v5
	v_add_co_u32 v81, vcc_lo, v52, v81
	v_add_co_ci_u32_e32 v82, vcc_lo, v59, v82, vcc_lo
	s_clause 0x3
	global_store_b32 v[77:78], v19, off
	global_store_b32 v[75:76], v20, off
	global_store_b32 v[79:80], v17, off
	global_store_b32 v[81:82], v18, off
	v_lshlrev_b64 v[75:76], 2, v[73:74]
	v_sub_nc_u32_e32 v73, v42, v5
	v_add_co_u32 v77, vcc_lo, v52, v83
	v_add_co_ci_u32_e32 v78, vcc_lo, v59, v84, vcc_lo
	s_delay_alu instid0(VALU_DEP_3) | instskip(SKIP_3) | instid1(VALU_DEP_3)
	v_lshlrev_b64 v[79:80], 2, v[73:74]
	v_sub_nc_u32_e32 v73, v41, v5
	v_add_co_u32 v75, vcc_lo, v52, v75
	v_add_co_ci_u32_e32 v76, vcc_lo, v59, v76, vcc_lo
	v_lshlrev_b64 v[81:82], 2, v[73:74]
	v_sub_nc_u32_e32 v73, v40, v5
	v_add_co_u32 v79, vcc_lo, v52, v79
	v_add_co_ci_u32_e32 v80, vcc_lo, v59, v80, vcc_lo
	s_delay_alu instid0(VALU_DEP_3)
	v_lshlrev_b64 v[83:84], 2, v[73:74]
	v_sub_nc_u32_e32 v73, v39, v5
	v_add_co_u32 v81, vcc_lo, v52, v81
	v_add_co_ci_u32_e32 v82, vcc_lo, v59, v82, vcc_lo
	s_clause 0x3
	global_store_b32 v[77:78], v15, off
	global_store_b32 v[75:76], v16, off
	global_store_b32 v[79:80], v13, off
	global_store_b32 v[81:82], v14, off
	v_lshlrev_b64 v[75:76], 2, v[73:74]
	v_sub_nc_u32_e32 v73, v38, v5
	v_add_co_u32 v77, vcc_lo, v52, v83
	v_add_co_ci_u32_e32 v78, vcc_lo, v59, v84, vcc_lo
	s_delay_alu instid0(VALU_DEP_3) | instskip(SKIP_3) | instid1(VALU_DEP_3)
	v_lshlrev_b64 v[79:80], 2, v[73:74]
	v_sub_nc_u32_e32 v73, v37, v5
	v_add_co_u32 v75, vcc_lo, v52, v75
	v_add_co_ci_u32_e32 v76, vcc_lo, v59, v76, vcc_lo
	v_lshlrev_b64 v[73:74], 2, v[73:74]
	v_add_co_u32 v79, vcc_lo, v52, v79
	v_add_co_ci_u32_e32 v80, vcc_lo, v59, v80, vcc_lo
	s_clause 0x2
	global_store_b32 v[77:78], v11, off
	global_store_b32 v[75:76], v12, off
	;; [unrolled: 1-line block ×3, first 2 shown]
	v_add_co_u32 v73, vcc_lo, v52, v73
	v_add_co_ci_u32_e32 v74, vcc_lo, v59, v74, vcc_lo
	global_store_b32 v[73:74], v10, off
	s_or_b32 exec_lo, exec_lo, s16
	s_delay_alu instid0(SALU_CYCLE_1)
	s_and_b32 exec_lo, exec_lo, s17
	s_cbranch_execnz .LBB153_253
	s_branch .LBB153_254
.LBB153_237:
	s_or_b32 exec_lo, exec_lo, s17
	s_and_saveexec_b32 s17, s10
	s_cbranch_execz .LBB153_220
.LBB153_238:
	v_sub_nc_u32_e32 v73, v48, v5
	v_mov_b32_e32 v74, 0
	s_delay_alu instid0(VALU_DEP_1) | instskip(NEXT) | instid1(VALU_DEP_1)
	v_lshlrev_b64 v[73:74], 2, v[73:74]
	v_add_co_u32 v73, vcc_lo, v52, v73
	s_delay_alu instid0(VALU_DEP_2)
	v_add_co_ci_u32_e32 v74, vcc_lo, v59, v74, vcc_lo
	global_store_b32 v[73:74], v22, off
	s_or_b32 exec_lo, exec_lo, s17
	s_and_saveexec_b32 s17, s9
	s_cbranch_execnz .LBB153_221
.LBB153_239:
	s_or_b32 exec_lo, exec_lo, s17
	s_and_saveexec_b32 s17, s7
	s_cbranch_execz .LBB153_222
.LBB153_240:
	v_sub_nc_u32_e32 v73, v51, v5
	v_mov_b32_e32 v74, 0
	s_delay_alu instid0(VALU_DEP_1) | instskip(NEXT) | instid1(VALU_DEP_1)
	v_lshlrev_b64 v[73:74], 2, v[73:74]
	v_add_co_u32 v73, vcc_lo, v52, v73
	s_delay_alu instid0(VALU_DEP_2)
	v_add_co_ci_u32_e32 v74, vcc_lo, v59, v74, vcc_lo
	global_store_b32 v[73:74], v20, off
	s_or_b32 exec_lo, exec_lo, s17
	s_and_saveexec_b32 s17, s14
	s_cbranch_execnz .LBB153_223
.LBB153_241:
	s_or_b32 exec_lo, exec_lo, s17
	s_and_saveexec_b32 s17, s13
	s_cbranch_execz .LBB153_224
.LBB153_242:
	v_sub_nc_u32_e32 v73, v45, v5
	v_mov_b32_e32 v74, 0
	s_delay_alu instid0(VALU_DEP_1) | instskip(NEXT) | instid1(VALU_DEP_1)
	v_lshlrev_b64 v[73:74], 2, v[73:74]
	v_add_co_u32 v73, vcc_lo, v52, v73
	s_delay_alu instid0(VALU_DEP_2)
	v_add_co_ci_u32_e32 v74, vcc_lo, v59, v74, vcc_lo
	global_store_b32 v[73:74], v18, off
	s_or_b32 exec_lo, exec_lo, s17
	s_and_saveexec_b32 s17, s11
	s_cbranch_execnz .LBB153_225
.LBB153_243:
	s_or_b32 exec_lo, exec_lo, s17
	s_and_saveexec_b32 s17, s8
	s_cbranch_execz .LBB153_226
.LBB153_244:
	v_sub_nc_u32_e32 v73, v43, v5
	v_mov_b32_e32 v74, 0
	s_delay_alu instid0(VALU_DEP_1) | instskip(NEXT) | instid1(VALU_DEP_1)
	v_lshlrev_b64 v[73:74], 2, v[73:74]
	v_add_co_u32 v73, vcc_lo, v52, v73
	s_delay_alu instid0(VALU_DEP_2)
	v_add_co_ci_u32_e32 v74, vcc_lo, v59, v74, vcc_lo
	global_store_b32 v[73:74], v16, off
	s_or_b32 exec_lo, exec_lo, s17
	s_and_saveexec_b32 s17, s6
	s_cbranch_execnz .LBB153_227
.LBB153_245:
	s_or_b32 exec_lo, exec_lo, s17
	s_and_saveexec_b32 s17, s5
	s_cbranch_execz .LBB153_228
.LBB153_246:
	v_sub_nc_u32_e32 v73, v41, v5
	v_mov_b32_e32 v74, 0
	s_delay_alu instid0(VALU_DEP_1) | instskip(NEXT) | instid1(VALU_DEP_1)
	v_lshlrev_b64 v[73:74], 2, v[73:74]
	v_add_co_u32 v73, vcc_lo, v52, v73
	s_delay_alu instid0(VALU_DEP_2)
	v_add_co_ci_u32_e32 v74, vcc_lo, v59, v74, vcc_lo
	global_store_b32 v[73:74], v14, off
	s_or_b32 exec_lo, exec_lo, s17
	s_and_saveexec_b32 s17, s4
	s_cbranch_execnz .LBB153_229
.LBB153_247:
	s_or_b32 exec_lo, exec_lo, s17
	s_and_saveexec_b32 s17, s3
	s_cbranch_execz .LBB153_230
.LBB153_248:
	v_sub_nc_u32_e32 v73, v39, v5
	v_mov_b32_e32 v74, 0
	s_delay_alu instid0(VALU_DEP_1) | instskip(NEXT) | instid1(VALU_DEP_1)
	v_lshlrev_b64 v[73:74], 2, v[73:74]
	v_add_co_u32 v73, vcc_lo, v52, v73
	s_delay_alu instid0(VALU_DEP_2)
	v_add_co_ci_u32_e32 v74, vcc_lo, v59, v74, vcc_lo
	global_store_b32 v[73:74], v12, off
	s_or_b32 exec_lo, exec_lo, s17
	s_and_saveexec_b32 s17, s2
	s_cbranch_execnz .LBB153_231
.LBB153_249:
	s_or_b32 exec_lo, exec_lo, s17
	s_and_saveexec_b32 s17, s1
	s_cbranch_execz .LBB153_251
.LBB153_250:
	v_sub_nc_u32_e32 v73, v37, v5
	v_mov_b32_e32 v74, 0
	s_delay_alu instid0(VALU_DEP_1) | instskip(NEXT) | instid1(VALU_DEP_1)
	v_lshlrev_b64 v[73:74], 2, v[73:74]
	v_add_co_u32 v73, vcc_lo, v52, v73
	s_delay_alu instid0(VALU_DEP_2)
	v_add_co_ci_u32_e32 v74, vcc_lo, v59, v74, vcc_lo
	global_store_b32 v[73:74], v10, off
.LBB153_251:
	s_or_b32 exec_lo, exec_lo, s17
	s_delay_alu instid0(SALU_CYCLE_1)
	s_and_b32 s17, s0, exec_lo
	s_and_not1_saveexec_b32 s16, s16
	s_cbranch_execnz .LBB153_236
.LBB153_252:
	s_or_b32 exec_lo, exec_lo, s16
	s_delay_alu instid0(SALU_CYCLE_1)
	s_and_b32 exec_lo, exec_lo, s17
	s_cbranch_execz .LBB153_254
.LBB153_253:
	v_sub_nc_u32_e32 v73, v6, v5
	v_mov_b32_e32 v74, 0
	s_delay_alu instid0(VALU_DEP_1) | instskip(NEXT) | instid1(VALU_DEP_1)
	v_lshlrev_b64 v[73:74], 2, v[73:74]
	v_add_co_u32 v73, vcc_lo, v52, v73
	s_delay_alu instid0(VALU_DEP_2)
	v_add_co_ci_u32_e32 v74, vcc_lo, v59, v74, vcc_lo
	global_store_b32 v[73:74], v57, off
.LBB153_254:
	s_or_b32 exec_lo, exec_lo, s15
	s_mov_b32 s15, 0
.LBB153_255:
	s_delay_alu instid0(SALU_CYCLE_1)
	s_and_b32 vcc_lo, exec_lo, s15
	s_cbranch_vccz .LBB153_295
; %bb.256:
	s_mov_b32 s15, exec_lo
	v_cmpx_gt_i16_e32 2, v72
	s_cbranch_execz .LBB153_291
; %bb.257:
	s_mov_b32 s17, 0
	s_mov_b32 s16, exec_lo
	v_cmpx_ne_u16_e32 1, v72
	s_xor_b32 s16, exec_lo, s16
	s_cbranch_execz .LBB153_272
; %bb.258:
	s_and_saveexec_b32 s17, s12
	s_cbranch_execz .LBB153_274
; %bb.259:
	v_sub_nc_u32_e32 v72, v4, v5
	s_delay_alu instid0(VALU_DEP_1)
	v_lshlrev_b32_e32 v72, 2, v72
	ds_store_b32 v72, v21
	s_or_b32 exec_lo, exec_lo, s17
	s_and_saveexec_b32 s12, s10
	s_cbranch_execnz .LBB153_275
.LBB153_260:
	s_or_b32 exec_lo, exec_lo, s12
	s_and_saveexec_b32 s10, s9
	s_cbranch_execz .LBB153_276
.LBB153_261:
	v_sub_nc_u32_e32 v21, v46, v5
	s_delay_alu instid0(VALU_DEP_1)
	v_lshlrev_b32_e32 v21, 2, v21
	ds_store_b32 v21, v19
	s_or_b32 exec_lo, exec_lo, s10
	s_and_saveexec_b32 s9, s7
	s_cbranch_execnz .LBB153_277
.LBB153_262:
	s_or_b32 exec_lo, exec_lo, s9
	s_and_saveexec_b32 s7, s14
	s_cbranch_execz .LBB153_278
.LBB153_263:
	v_sub_nc_u32_e32 v19, v47, v5
	s_delay_alu instid0(VALU_DEP_1)
	v_lshlrev_b32_e32 v19, 2, v19
	ds_store_b32 v19, v17
	s_or_b32 exec_lo, exec_lo, s7
	s_and_saveexec_b32 s7, s13
	s_cbranch_execnz .LBB153_279
.LBB153_264:
	s_or_b32 exec_lo, exec_lo, s7
	s_and_saveexec_b32 s7, s11
	s_cbranch_execz .LBB153_280
.LBB153_265:
	v_sub_nc_u32_e32 v17, v44, v5
	s_delay_alu instid0(VALU_DEP_1)
	v_lshlrev_b32_e32 v17, 2, v17
	ds_store_b32 v17, v15
	s_or_b32 exec_lo, exec_lo, s7
	s_and_saveexec_b32 s7, s8
	s_cbranch_execnz .LBB153_281
.LBB153_266:
	s_or_b32 exec_lo, exec_lo, s7
	s_and_saveexec_b32 s7, s6
	s_cbranch_execz .LBB153_282
.LBB153_267:
	v_sub_nc_u32_e32 v15, v42, v5
	s_delay_alu instid0(VALU_DEP_1)
	v_lshlrev_b32_e32 v15, 2, v15
	ds_store_b32 v15, v13
	s_or_b32 exec_lo, exec_lo, s7
	s_and_saveexec_b32 s6, s5
	s_cbranch_execnz .LBB153_283
.LBB153_268:
	s_or_b32 exec_lo, exec_lo, s6
	s_and_saveexec_b32 s5, s4
	s_cbranch_execz .LBB153_284
.LBB153_269:
	v_sub_nc_u32_e32 v13, v40, v5
	s_delay_alu instid0(VALU_DEP_1)
	v_lshlrev_b32_e32 v13, 2, v13
	ds_store_b32 v13, v11
	s_or_b32 exec_lo, exec_lo, s5
	s_and_saveexec_b32 s4, s3
	s_cbranch_execnz .LBB153_285
.LBB153_270:
	s_or_b32 exec_lo, exec_lo, s4
	s_and_saveexec_b32 s3, s2
	s_cbranch_execz .LBB153_286
.LBB153_271:
	v_sub_nc_u32_e32 v11, v38, v5
	s_delay_alu instid0(VALU_DEP_1)
	v_lshlrev_b32_e32 v11, 2, v11
	ds_store_b32 v11, v9
	s_or_b32 exec_lo, exec_lo, s3
	s_and_saveexec_b32 s2, s1
	s_cbranch_execnz .LBB153_287
	s_branch .LBB153_288
.LBB153_272:
	s_and_not1_saveexec_b32 s0, s16
	s_cbranch_execz .LBB153_289
.LBB153_273:
	v_sub_nc_u32_e32 v72, v4, v5
	v_sub_nc_u32_e32 v75, v51, v5
	;; [unrolled: 1-line block ×4, first 2 shown]
	s_or_b32 s17, s17, exec_lo
	v_lshlrev_b32_e32 v72, 2, v72
	v_lshlrev_b32_e32 v75, 2, v75
	;; [unrolled: 1-line block ×4, first 2 shown]
	ds_store_b32 v72, v21
	ds_store_b32 v73, v22
	;; [unrolled: 1-line block ×3, first 2 shown]
	v_sub_nc_u32_e32 v19, v47, v5
	ds_store_b32 v75, v20
	v_sub_nc_u32_e32 v20, v45, v5
	v_sub_nc_u32_e32 v21, v44, v5
	;; [unrolled: 1-line block ×3, first 2 shown]
	v_lshlrev_b32_e32 v19, 2, v19
	v_sub_nc_u32_e32 v72, v42, v5
	v_lshlrev_b32_e32 v20, 2, v20
	v_lshlrev_b32_e32 v21, 2, v21
	;; [unrolled: 1-line block ×3, first 2 shown]
	ds_store_b32 v19, v17
	v_lshlrev_b32_e32 v17, 2, v72
	ds_store_b32 v20, v18
	ds_store_b32 v21, v15
	;; [unrolled: 1-line block ×3, first 2 shown]
	v_sub_nc_u32_e32 v15, v41, v5
	v_sub_nc_u32_e32 v18, v37, v5
	;; [unrolled: 1-line block ×3, first 2 shown]
	ds_store_b32 v17, v13
	v_sub_nc_u32_e32 v13, v40, v5
	v_lshlrev_b32_e32 v15, 2, v15
	v_sub_nc_u32_e32 v17, v38, v5
	v_lshlrev_b32_e32 v16, 2, v16
	s_delay_alu instid0(VALU_DEP_4)
	v_lshlrev_b32_e32 v13, 2, v13
	ds_store_b32 v15, v14
	v_lshlrev_b32_e32 v14, 2, v18
	v_lshlrev_b32_e32 v17, 2, v17
	ds_store_b32 v13, v11
	ds_store_b32 v16, v12
	;; [unrolled: 1-line block ×4, first 2 shown]
	s_or_b32 exec_lo, exec_lo, s0
	s_delay_alu instid0(SALU_CYCLE_1)
	s_and_b32 exec_lo, exec_lo, s17
	s_cbranch_execnz .LBB153_290
	s_branch .LBB153_291
.LBB153_274:
	s_or_b32 exec_lo, exec_lo, s17
	s_and_saveexec_b32 s12, s10
	s_cbranch_execz .LBB153_260
.LBB153_275:
	v_sub_nc_u32_e32 v21, v48, v5
	s_delay_alu instid0(VALU_DEP_1)
	v_lshlrev_b32_e32 v21, 2, v21
	ds_store_b32 v21, v22
	s_or_b32 exec_lo, exec_lo, s12
	s_and_saveexec_b32 s10, s9
	s_cbranch_execnz .LBB153_261
.LBB153_276:
	s_or_b32 exec_lo, exec_lo, s10
	s_and_saveexec_b32 s9, s7
	s_cbranch_execz .LBB153_262
.LBB153_277:
	v_sub_nc_u32_e32 v19, v51, v5
	s_delay_alu instid0(VALU_DEP_1)
	v_lshlrev_b32_e32 v19, 2, v19
	ds_store_b32 v19, v20
	s_or_b32 exec_lo, exec_lo, s9
	s_and_saveexec_b32 s7, s14
	s_cbranch_execnz .LBB153_263
.LBB153_278:
	s_or_b32 exec_lo, exec_lo, s7
	s_and_saveexec_b32 s7, s13
	s_cbranch_execz .LBB153_264
.LBB153_279:
	v_sub_nc_u32_e32 v17, v45, v5
	s_delay_alu instid0(VALU_DEP_1)
	v_lshlrev_b32_e32 v17, 2, v17
	ds_store_b32 v17, v18
	s_or_b32 exec_lo, exec_lo, s7
	s_and_saveexec_b32 s7, s11
	s_cbranch_execnz .LBB153_265
.LBB153_280:
	s_or_b32 exec_lo, exec_lo, s7
	s_and_saveexec_b32 s7, s8
	s_cbranch_execz .LBB153_266
.LBB153_281:
	v_sub_nc_u32_e32 v15, v43, v5
	s_delay_alu instid0(VALU_DEP_1)
	v_lshlrev_b32_e32 v15, 2, v15
	ds_store_b32 v15, v16
	s_or_b32 exec_lo, exec_lo, s7
	s_and_saveexec_b32 s7, s6
	s_cbranch_execnz .LBB153_267
.LBB153_282:
	s_or_b32 exec_lo, exec_lo, s7
	s_and_saveexec_b32 s6, s5
	s_cbranch_execz .LBB153_268
.LBB153_283:
	v_sub_nc_u32_e32 v13, v41, v5
	s_delay_alu instid0(VALU_DEP_1)
	v_lshlrev_b32_e32 v13, 2, v13
	ds_store_b32 v13, v14
	s_or_b32 exec_lo, exec_lo, s6
	s_and_saveexec_b32 s5, s4
	s_cbranch_execnz .LBB153_269
.LBB153_284:
	s_or_b32 exec_lo, exec_lo, s5
	s_and_saveexec_b32 s4, s3
	s_cbranch_execz .LBB153_270
.LBB153_285:
	v_sub_nc_u32_e32 v11, v39, v5
	s_delay_alu instid0(VALU_DEP_1)
	v_lshlrev_b32_e32 v11, 2, v11
	ds_store_b32 v11, v12
	s_or_b32 exec_lo, exec_lo, s4
	s_and_saveexec_b32 s3, s2
	s_cbranch_execnz .LBB153_271
.LBB153_286:
	s_or_b32 exec_lo, exec_lo, s3
	s_and_saveexec_b32 s2, s1
	s_cbranch_execz .LBB153_288
.LBB153_287:
	v_sub_nc_u32_e32 v9, v37, v5
	s_delay_alu instid0(VALU_DEP_1)
	v_lshlrev_b32_e32 v9, 2, v9
	ds_store_b32 v9, v10
.LBB153_288:
	s_or_b32 exec_lo, exec_lo, s2
	s_delay_alu instid0(SALU_CYCLE_1)
	s_and_b32 s17, s0, exec_lo
                                        ; implicit-def: $vgpr21
                                        ; implicit-def: $vgpr19
                                        ; implicit-def: $vgpr17
                                        ; implicit-def: $vgpr15
                                        ; implicit-def: $vgpr13
                                        ; implicit-def: $vgpr11
                                        ; implicit-def: $vgpr9
	s_and_not1_saveexec_b32 s0, s16
	s_cbranch_execnz .LBB153_273
.LBB153_289:
	s_or_b32 exec_lo, exec_lo, s0
	s_delay_alu instid0(SALU_CYCLE_1)
	s_and_b32 exec_lo, exec_lo, s17
	s_cbranch_execz .LBB153_291
.LBB153_290:
	v_sub_nc_u32_e32 v9, v6, v5
	s_delay_alu instid0(VALU_DEP_1)
	v_lshlrev_b32_e32 v9, 2, v9
	ds_store_b32 v9, v57
.LBB153_291:
	s_or_b32 exec_lo, exec_lo, s15
	s_delay_alu instid0(SALU_CYCLE_1)
	s_mov_b32 s1, exec_lo
	s_waitcnt lgkmcnt(0)
	s_waitcnt_vscnt null, 0x0
	s_barrier
	buffer_gl0_inv
	v_cmpx_lt_u32_e64 v0, v1
	s_cbranch_execz .LBB153_294
; %bb.292:
	v_dual_mov_b32 v10, 0 :: v_dual_lshlrev_b32 v11, 2, v0
	v_mov_b32_e32 v9, v0
	s_mov_b32 s2, 0
	.p2align	6
.LBB153_293:                            ; =>This Inner Loop Header: Depth=1
	ds_load_b32 v14, v11
	v_lshlrev_b64 v[12:13], 2, v[9:10]
	v_add_nc_u32_e32 v9, 0x100, v9
	v_add_nc_u32_e32 v11, 0x400, v11
	s_delay_alu instid0(VALU_DEP_2) | instskip(NEXT) | instid1(VALU_DEP_4)
	v_cmp_ge_u32_e32 vcc_lo, v9, v1
	v_add_co_u32 v12, s0, v52, v12
	s_delay_alu instid0(VALU_DEP_1)
	v_add_co_ci_u32_e64 v13, s0, v59, v13, s0
	s_or_b32 s2, vcc_lo, s2
	s_waitcnt lgkmcnt(0)
	global_store_b32 v[12:13], v14, off
	s_and_not1_b32 exec_lo, exec_lo, s2
	s_cbranch_execnz .LBB153_293
.LBB153_294:
	s_or_b32 exec_lo, exec_lo, s1
.LBB153_295:
	s_cmpk_lg_i32 s21, 0xf00
	v_cmp_eq_u32_e32 vcc_lo, 0, v0
	s_cselect_b32 s0, -1, 0
	v_cndmask_b32_e64 v14, 0, 1, s28
	s_and_b32 s0, s20, s0
	v_mad_i32_i24 v11, v0, -15, s21
	v_cndmask_b32_e64 v10, 0, 1, s0
	s_mul_hi_u32 s0, s21, 0x88888889
	s_and_b32 s1, vcc_lo, s28
	s_lshr_b32 s0, s0, 3
	v_sub_nc_u32_e32 v9, v1, v14
	v_cndmask_b32_e64 v12, v49, 0, s1
	v_cmp_eq_u32_e32 vcc_lo, s0, v0
	v_cmp_ne_u32_e64 s0, 0, v11
	s_mov_b32 s15, -1
	s_waitcnt_vscnt null, 0x0
	s_barrier
	s_and_b32 vcc_lo, s20, vcc_lo
	v_add_nc_u32_e32 v9, v9, v10
	v_cndmask_b32_e64 v10, 1, v12, s0
	v_cmp_ne_u32_e64 s0, 1, v11
	buffer_gl0_inv
	v_cndmask_b32_e32 v20, v12, v10, vcc_lo
	v_cndmask_b32_e64 v13, 1, v50, s0
	v_cmp_ne_u32_e64 s0, 2, v11
	s_delay_alu instid0(VALU_DEP_3) | instskip(NEXT) | instid1(VALU_DEP_2)
	v_cmp_ne_u32_e64 s14, 0, v20
	v_cndmask_b32_e64 v15, 1, v33, s0
	v_cmp_ne_u32_e64 s0, 3, v11
	s_delay_alu instid0(VALU_DEP_1) | instskip(SKIP_1) | instid1(VALU_DEP_2)
	v_cndmask_b32_e64 v16, 1, v34, s0
	v_cmp_ne_u32_e64 s0, 14, v11
	v_cndmask_b32_e32 v16, v34, v16, vcc_lo
	s_delay_alu instid0(VALU_DEP_2) | instskip(SKIP_1) | instid1(VALU_DEP_3)
	v_cndmask_b32_e64 v17, 1, v58, s0
	v_cmp_ne_u32_e64 s0, 4, v11
	v_cmp_ne_u32_e64 s11, 0, v16
	s_delay_alu instid0(VALU_DEP_3) | instskip(NEXT) | instid1(VALU_DEP_3)
	v_cndmask_b32_e32 v17, v58, v17, vcc_lo
	v_cndmask_b32_e64 v18, 1, v31, s0
	v_cmp_ne_u32_e64 s0, 5, v11
	s_delay_alu instid0(VALU_DEP_2) | instskip(NEXT) | instid1(VALU_DEP_2)
	v_dual_cndmask_b32 v21, v50, v13 :: v_dual_cndmask_b32 v18, v31, v18
	v_cndmask_b32_e64 v19, 1, v32, s0
	v_cmp_ne_u32_e64 s0, 6, v11
	s_delay_alu instid0(VALU_DEP_3) | instskip(NEXT) | instid1(VALU_DEP_4)
	v_cmp_ne_u32_e64 s13, 0, v21
	v_cmp_ne_u32_e64 s10, 0, v18
	s_delay_alu instid0(VALU_DEP_3) | instskip(SKIP_1) | instid1(VALU_DEP_2)
	v_cndmask_b32_e64 v10, 1, v29, s0
	v_cmp_ne_u32_e64 s0, 7, v11
	v_cndmask_b32_e32 v29, v29, v10, vcc_lo
	s_delay_alu instid0(VALU_DEP_2) | instskip(SKIP_2) | instid1(VALU_DEP_2)
	v_cndmask_b32_e64 v12, 1, v30, s0
	v_cmp_eq_u32_e64 s0, 0, v20
	v_cndmask_b32_e32 v15, v33, v15, vcc_lo
	v_cndmask_b32_e64 v13, 1, 2, s0
	v_cmp_eq_u32_e64 s0, 0, v21
	s_delay_alu instid0(VALU_DEP_1) | instskip(SKIP_1) | instid1(VALU_DEP_2)
	v_cndmask_b32_e64 v22, 1, 2, s0
	v_cmp_ne_u32_e64 s0, 8, v11
	v_and_b32_e32 v13, v22, v13
	s_delay_alu instid0(VALU_DEP_2) | instskip(SKIP_1) | instid1(VALU_DEP_2)
	v_cndmask_b32_e64 v33, 1, v27, s0
	v_cmp_eq_u32_e64 s0, 0, v15
	v_cndmask_b32_e32 v27, v27, v33, vcc_lo
	s_delay_alu instid0(VALU_DEP_2) | instskip(SKIP_1) | instid1(VALU_DEP_2)
	v_cndmask_b32_e64 v22, 1, 2, s0
	v_cmp_ne_u32_e64 s0, 9, v11
	v_and_b32_e32 v13, v13, v22
	s_delay_alu instid0(VALU_DEP_2) | instskip(SKIP_1) | instid1(VALU_DEP_2)
	v_cndmask_b32_e64 v34, 1, v28, s0
	v_cmp_ne_u32_e64 s0, 10, v11
	v_cndmask_b32_e32 v28, v28, v34, vcc_lo
	s_delay_alu instid0(VALU_DEP_2) | instskip(SKIP_1) | instid1(VALU_DEP_3)
	v_cndmask_b32_e64 v49, 1, v25, s0
	v_cmp_eq_u32_e64 s0, 0, v16
	v_cmp_ne_u32_e64 s5, 0, v28
	s_delay_alu instid0(VALU_DEP_2) | instskip(SKIP_1) | instid1(VALU_DEP_1)
	v_cndmask_b32_e64 v22, 1, 2, s0
	v_cmp_ne_u32_e64 s0, 11, v11
	v_cndmask_b32_e64 v31, 1, v26, s0
	v_cmp_eq_u32_e64 s0, 0, v18
	s_delay_alu instid0(VALU_DEP_2) | instskip(NEXT) | instid1(VALU_DEP_2)
	v_dual_cndmask_b32 v26, v26, v31 :: v_dual_and_b32 v13, v13, v22
	v_cndmask_b32_e64 v22, 1, 2, s0
	v_cmp_ne_u32_e64 s0, 12, v11
	s_delay_alu instid0(VALU_DEP_3) | instskip(NEXT) | instid1(VALU_DEP_3)
	v_cmp_ne_u32_e64 s3, 0, v26
	v_and_b32_e32 v13, v13, v22
	v_cndmask_b32_e32 v19, v32, v19, vcc_lo
	s_delay_alu instid0(VALU_DEP_4) | instskip(SKIP_1) | instid1(VALU_DEP_2)
	v_cndmask_b32_e64 v32, 1, v23, s0
	v_cmp_ne_u32_e64 s0, 13, v11
	v_cndmask_b32_e32 v23, v23, v32, vcc_lo
	s_delay_alu instid0(VALU_DEP_2) | instskip(SKIP_1) | instid1(VALU_DEP_3)
	v_cndmask_b32_e64 v11, 1, v24, s0
	v_cmp_eq_u32_e64 s0, 0, v19
	v_cmp_ne_u32_e64 s2, 0, v23
	s_delay_alu instid0(VALU_DEP_3) | instskip(NEXT) | instid1(VALU_DEP_3)
	v_cndmask_b32_e32 v24, v24, v11, vcc_lo
	v_cndmask_b32_e64 v22, 1, 2, s0
	v_cmp_eq_u32_e64 s0, 0, v29
	s_delay_alu instid0(VALU_DEP_3) | instskip(NEXT) | instid1(VALU_DEP_3)
	v_cmp_ne_u32_e64 s1, 0, v24
	v_and_b32_e32 v10, v13, v22
	s_delay_alu instid0(VALU_DEP_3)
	v_cndmask_b32_e64 v11, 1, 2, s0
	v_cndmask_b32_e32 v22, v30, v12, vcc_lo
	v_cmp_ne_u32_e64 s12, 0, v15
	v_cmp_ne_u32_e64 s9, 0, v19
	;; [unrolled: 1-line block ×3, first 2 shown]
	v_dual_cndmask_b32 v25, v25, v49 :: v_dual_and_b32 v10, v10, v11
	v_cmp_eq_u32_e32 vcc_lo, 0, v22
	v_cmp_ne_u32_e64 s8, 0, v29
	v_cmp_ne_u32_e64 s7, 0, v22
	v_cndmask_b32_e64 v11, 1, 2, vcc_lo
	v_add_co_u32 v2, vcc_lo, s36, v2
	v_add_co_ci_u32_e32 v3, vcc_lo, s37, v3, vcc_lo
	s_delay_alu instid0(VALU_DEP_3)
	v_and_b32_e32 v12, v10, v11
	v_cmp_eq_u32_e32 vcc_lo, 0, v27
	v_cmp_ne_u32_e64 s4, 0, v25
	v_cndmask_b32_e64 v13, 1, 2, vcc_lo
	v_add_co_u32 v10, vcc_lo, v2, v35
	v_add_co_ci_u32_e32 v11, vcc_lo, v3, v36, vcc_lo
	v_lshlrev_b32_e32 v2, 2, v14
	v_cmp_eq_u32_e32 vcc_lo, 0, v28
	v_and_b32_e32 v3, v12, v13
	v_cmp_ne_u32_e64 s6, 0, v27
	v_cndmask_b32_e64 v12, 1, 2, vcc_lo
	v_add_co_u32 v2, vcc_lo, v2, v10
	v_add_co_ci_u32_e32 v13, vcc_lo, 0, v11, vcc_lo
	v_cmp_eq_u32_e32 vcc_lo, 0, v25
	s_delay_alu instid0(VALU_DEP_4)
	v_and_b32_e32 v3, v3, v12
	v_cndmask_b32_e64 v30, 1, 2, vcc_lo
	v_add_co_u32 v12, vcc_lo, v2, -4
	v_add_co_ci_u32_e32 v13, vcc_lo, -1, v13, vcc_lo
	v_cmp_eq_u32_e32 vcc_lo, 0, v26
	v_add_nc_u32_e32 v2, v5, v14
	v_and_b32_e32 v3, v3, v30
	v_cndmask_b32_e64 v14, 1, 2, vcc_lo
	v_cmp_eq_u32_e32 vcc_lo, 0, v23
	s_delay_alu instid0(VALU_DEP_2) | instskip(SKIP_2) | instid1(VALU_DEP_2)
	v_and_b32_e32 v3, v3, v14
	v_cndmask_b32_e64 v14, 1, 2, vcc_lo
	v_cmp_eq_u32_e32 vcc_lo, 0, v24
	v_and_b32_e32 v3, v3, v14
	v_cndmask_b32_e64 v14, 1, 2, vcc_lo
	v_cmp_eq_u32_e32 vcc_lo, 0, v17
	s_delay_alu instid0(VALU_DEP_2) | instskip(SKIP_2) | instid1(VALU_DEP_2)
	v_and_b32_e32 v3, v3, v14
	v_cndmask_b32_e64 v14, 1, 2, vcc_lo
	v_cmp_gt_u32_e32 vcc_lo, 0x100, v9
	v_and_b32_e32 v3, v3, v14
	s_cbranch_vccz .LBB153_312
; %bb.296:
	s_mov_b32 s15, exec_lo
	s_delay_alu instid0(VALU_DEP_1)
	v_cmpx_gt_i16_e32 2, v3
	s_cbranch_execz .LBB153_350
; %bb.297:
	s_mov_b32 s17, 0
	s_mov_b32 s16, exec_lo
	v_cmpx_ne_u16_e32 1, v3
	s_xor_b32 s16, exec_lo, s16
	s_cbranch_execz .LBB153_329
; %bb.298:
	s_and_saveexec_b32 s17, s14
	s_cbranch_execz .LBB153_333
; %bb.299:
	v_sub_nc_u32_e32 v14, v4, v2
	v_mov_b32_e32 v15, 0
	s_delay_alu instid0(VALU_DEP_1) | instskip(NEXT) | instid1(VALU_DEP_1)
	v_lshlrev_b64 v[14:15], 2, v[14:15]
	v_add_co_u32 v14, vcc_lo, v12, v14
	s_delay_alu instid0(VALU_DEP_2)
	v_add_co_ci_u32_e32 v15, vcc_lo, v13, v15, vcc_lo
	global_store_b32 v[14:15], v71, off
	s_or_b32 exec_lo, exec_lo, s17
	s_and_saveexec_b32 s17, s13
	s_cbranch_execnz .LBB153_334
.LBB153_300:
	s_or_b32 exec_lo, exec_lo, s17
	s_and_saveexec_b32 s17, s12
	s_cbranch_execz .LBB153_335
.LBB153_301:
	v_sub_nc_u32_e32 v14, v46, v2
	v_mov_b32_e32 v15, 0
	s_delay_alu instid0(VALU_DEP_1) | instskip(NEXT) | instid1(VALU_DEP_1)
	v_lshlrev_b64 v[14:15], 2, v[14:15]
	v_add_co_u32 v14, vcc_lo, v12, v14
	s_delay_alu instid0(VALU_DEP_2)
	v_add_co_ci_u32_e32 v15, vcc_lo, v13, v15, vcc_lo
	global_store_b32 v[14:15], v69, off
	s_or_b32 exec_lo, exec_lo, s17
	s_and_saveexec_b32 s17, s11
	s_cbranch_execnz .LBB153_336
.LBB153_302:
	s_or_b32 exec_lo, exec_lo, s17
	s_and_saveexec_b32 s17, s10
	s_cbranch_execz .LBB153_337
.LBB153_303:
	v_sub_nc_u32_e32 v14, v47, v2
	v_mov_b32_e32 v15, 0
	s_delay_alu instid0(VALU_DEP_1) | instskip(NEXT) | instid1(VALU_DEP_1)
	v_lshlrev_b64 v[14:15], 2, v[14:15]
	v_add_co_u32 v14, vcc_lo, v12, v14
	s_delay_alu instid0(VALU_DEP_2)
	v_add_co_ci_u32_e32 v15, vcc_lo, v13, v15, vcc_lo
	global_store_b32 v[14:15], v67, off
	s_or_b32 exec_lo, exec_lo, s17
	s_and_saveexec_b32 s17, s9
	s_cbranch_execnz .LBB153_338
.LBB153_304:
	s_or_b32 exec_lo, exec_lo, s17
	s_and_saveexec_b32 s17, s8
	s_cbranch_execz .LBB153_339
.LBB153_305:
	v_sub_nc_u32_e32 v14, v44, v2
	v_mov_b32_e32 v15, 0
	s_delay_alu instid0(VALU_DEP_1) | instskip(NEXT) | instid1(VALU_DEP_1)
	v_lshlrev_b64 v[14:15], 2, v[14:15]
	v_add_co_u32 v14, vcc_lo, v12, v14
	s_delay_alu instid0(VALU_DEP_2)
	v_add_co_ci_u32_e32 v15, vcc_lo, v13, v15, vcc_lo
	global_store_b32 v[14:15], v65, off
	s_or_b32 exec_lo, exec_lo, s17
	s_and_saveexec_b32 s17, s7
	s_cbranch_execnz .LBB153_340
.LBB153_306:
	s_or_b32 exec_lo, exec_lo, s17
	s_and_saveexec_b32 s17, s6
	s_cbranch_execz .LBB153_341
.LBB153_307:
	v_sub_nc_u32_e32 v14, v42, v2
	v_mov_b32_e32 v15, 0
	s_delay_alu instid0(VALU_DEP_1) | instskip(NEXT) | instid1(VALU_DEP_1)
	v_lshlrev_b64 v[14:15], 2, v[14:15]
	v_add_co_u32 v14, vcc_lo, v12, v14
	s_delay_alu instid0(VALU_DEP_2)
	v_add_co_ci_u32_e32 v15, vcc_lo, v13, v15, vcc_lo
	global_store_b32 v[14:15], v63, off
	s_or_b32 exec_lo, exec_lo, s17
	s_and_saveexec_b32 s17, s5
	s_cbranch_execnz .LBB153_342
.LBB153_308:
	s_or_b32 exec_lo, exec_lo, s17
	s_and_saveexec_b32 s17, s4
	s_cbranch_execz .LBB153_343
.LBB153_309:
	v_sub_nc_u32_e32 v14, v40, v2
	v_mov_b32_e32 v15, 0
	s_delay_alu instid0(VALU_DEP_1) | instskip(NEXT) | instid1(VALU_DEP_1)
	v_lshlrev_b64 v[14:15], 2, v[14:15]
	v_add_co_u32 v14, vcc_lo, v12, v14
	s_delay_alu instid0(VALU_DEP_2)
	v_add_co_ci_u32_e32 v15, vcc_lo, v13, v15, vcc_lo
	global_store_b32 v[14:15], v60, off
	s_or_b32 exec_lo, exec_lo, s17
	s_and_saveexec_b32 s17, s3
	s_cbranch_execnz .LBB153_344
.LBB153_310:
	s_or_b32 exec_lo, exec_lo, s17
	s_and_saveexec_b32 s17, s2
	s_cbranch_execz .LBB153_345
.LBB153_311:
	v_sub_nc_u32_e32 v14, v38, v2
	v_mov_b32_e32 v15, 0
	s_delay_alu instid0(VALU_DEP_1) | instskip(NEXT) | instid1(VALU_DEP_1)
	v_lshlrev_b64 v[14:15], 2, v[14:15]
	v_add_co_u32 v14, vcc_lo, v12, v14
	s_delay_alu instid0(VALU_DEP_2)
	v_add_co_ci_u32_e32 v15, vcc_lo, v13, v15, vcc_lo
	global_store_b32 v[14:15], v56, off
	s_or_b32 exec_lo, exec_lo, s17
	s_and_saveexec_b32 s17, s1
	s_cbranch_execnz .LBB153_346
	s_branch .LBB153_347
.LBB153_312:
	s_and_b32 vcc_lo, exec_lo, s15
	s_cbranch_vccz .LBB153_351
; %bb.313:
	s_mov_b32 s15, exec_lo
	v_cmpx_gt_i16_e32 2, v3
	s_cbranch_execz .LBB153_369
; %bb.314:
	s_mov_b32 s17, 0
	s_mov_b32 s16, exec_lo
	v_cmpx_ne_u16_e32 1, v3
	s_xor_b32 s16, exec_lo, s16
	s_cbranch_execz .LBB153_331
; %bb.315:
	s_and_saveexec_b32 s17, s14
	s_cbranch_execz .LBB153_352
; %bb.316:
	v_sub_nc_u32_e32 v3, v4, v2
	s_delay_alu instid0(VALU_DEP_1)
	v_lshlrev_b32_e32 v3, 2, v3
	ds_store_b32 v3, v71
	s_or_b32 exec_lo, exec_lo, s17
	s_and_saveexec_b32 s14, s13
	s_cbranch_execnz .LBB153_353
.LBB153_317:
	s_or_b32 exec_lo, exec_lo, s14
	s_and_saveexec_b32 s13, s12
	s_cbranch_execz .LBB153_354
.LBB153_318:
	v_sub_nc_u32_e32 v3, v46, v2
	s_delay_alu instid0(VALU_DEP_1)
	v_lshlrev_b32_e32 v3, 2, v3
	ds_store_b32 v3, v69
	s_or_b32 exec_lo, exec_lo, s13
	s_and_saveexec_b32 s12, s11
	s_cbranch_execnz .LBB153_355
.LBB153_319:
	s_or_b32 exec_lo, exec_lo, s12
	s_and_saveexec_b32 s11, s10
	s_cbranch_execz .LBB153_356
.LBB153_320:
	v_sub_nc_u32_e32 v3, v47, v2
	s_delay_alu instid0(VALU_DEP_1)
	v_lshlrev_b32_e32 v3, 2, v3
	ds_store_b32 v3, v67
	s_or_b32 exec_lo, exec_lo, s11
	s_and_saveexec_b32 s10, s9
	s_cbranch_execnz .LBB153_357
.LBB153_321:
	s_or_b32 exec_lo, exec_lo, s10
	s_and_saveexec_b32 s9, s8
	s_cbranch_execz .LBB153_358
.LBB153_322:
	v_sub_nc_u32_e32 v3, v44, v2
	s_delay_alu instid0(VALU_DEP_1)
	v_lshlrev_b32_e32 v3, 2, v3
	ds_store_b32 v3, v65
	s_or_b32 exec_lo, exec_lo, s9
	s_and_saveexec_b32 s8, s7
	s_cbranch_execnz .LBB153_359
.LBB153_323:
	s_or_b32 exec_lo, exec_lo, s8
	s_and_saveexec_b32 s7, s6
	s_cbranch_execz .LBB153_360
.LBB153_324:
	v_sub_nc_u32_e32 v3, v42, v2
	s_delay_alu instid0(VALU_DEP_1)
	v_lshlrev_b32_e32 v3, 2, v3
	ds_store_b32 v3, v63
	s_or_b32 exec_lo, exec_lo, s7
	s_and_saveexec_b32 s6, s5
	s_cbranch_execnz .LBB153_361
.LBB153_325:
	s_or_b32 exec_lo, exec_lo, s6
	s_and_saveexec_b32 s5, s4
	s_cbranch_execz .LBB153_362
.LBB153_326:
	v_sub_nc_u32_e32 v3, v40, v2
	s_delay_alu instid0(VALU_DEP_1)
	v_lshlrev_b32_e32 v3, 2, v3
	ds_store_b32 v3, v60
	s_or_b32 exec_lo, exec_lo, s5
	s_and_saveexec_b32 s4, s3
	s_cbranch_execnz .LBB153_363
.LBB153_327:
	s_or_b32 exec_lo, exec_lo, s4
	s_and_saveexec_b32 s3, s2
	s_cbranch_execz .LBB153_364
.LBB153_328:
	v_sub_nc_u32_e32 v3, v38, v2
	s_delay_alu instid0(VALU_DEP_1)
	v_lshlrev_b32_e32 v3, 2, v3
	ds_store_b32 v3, v56
	s_or_b32 exec_lo, exec_lo, s3
	s_and_saveexec_b32 s2, s1
	s_cbranch_execnz .LBB153_365
	s_branch .LBB153_366
.LBB153_329:
	s_and_not1_saveexec_b32 s16, s16
	s_cbranch_execz .LBB153_348
.LBB153_330:
	v_sub_nc_u32_e32 v14, v4, v2
	v_mov_b32_e32 v15, 0
	s_or_b32 s17, s17, exec_lo
	s_delay_alu instid0(VALU_DEP_1) | instskip(SKIP_1) | instid1(VALU_DEP_1)
	v_lshlrev_b64 v[16:17], 2, v[14:15]
	v_sub_nc_u32_e32 v14, v48, v2
	v_lshlrev_b64 v[18:19], 2, v[14:15]
	v_sub_nc_u32_e32 v14, v46, v2
	s_delay_alu instid0(VALU_DEP_4) | instskip(SKIP_1) | instid1(VALU_DEP_3)
	v_add_co_u32 v16, vcc_lo, v12, v16
	v_add_co_ci_u32_e32 v17, vcc_lo, v13, v17, vcc_lo
	v_lshlrev_b64 v[20:21], 2, v[14:15]
	v_sub_nc_u32_e32 v14, v51, v2
	v_add_co_u32 v18, vcc_lo, v12, v18
	v_add_co_ci_u32_e32 v19, vcc_lo, v13, v19, vcc_lo
	global_store_b32 v[16:17], v71, off
	v_lshlrev_b64 v[16:17], 2, v[14:15]
	v_sub_nc_u32_e32 v14, v47, v2
	global_store_b32 v[18:19], v70, off
	v_add_co_u32 v18, vcc_lo, v12, v20
	v_add_co_ci_u32_e32 v19, vcc_lo, v13, v21, vcc_lo
	v_lshlrev_b64 v[20:21], 2, v[14:15]
	v_sub_nc_u32_e32 v14, v45, v2
	v_add_co_u32 v16, vcc_lo, v12, v16
	v_add_co_ci_u32_e32 v17, vcc_lo, v13, v17, vcc_lo
	s_delay_alu instid0(VALU_DEP_3) | instskip(SKIP_3) | instid1(VALU_DEP_3)
	v_lshlrev_b64 v[22:23], 2, v[14:15]
	v_sub_nc_u32_e32 v14, v44, v2
	v_add_co_u32 v20, vcc_lo, v12, v20
	v_add_co_ci_u32_e32 v21, vcc_lo, v13, v21, vcc_lo
	v_lshlrev_b64 v[24:25], 2, v[14:15]
	v_sub_nc_u32_e32 v14, v43, v2
	v_add_co_u32 v22, vcc_lo, v12, v22
	v_add_co_ci_u32_e32 v23, vcc_lo, v13, v23, vcc_lo
	s_clause 0x3
	global_store_b32 v[18:19], v69, off
	global_store_b32 v[16:17], v68, off
	;; [unrolled: 1-line block ×4, first 2 shown]
	v_lshlrev_b64 v[16:17], 2, v[14:15]
	v_sub_nc_u32_e32 v14, v42, v2
	v_add_co_u32 v18, vcc_lo, v12, v24
	v_add_co_ci_u32_e32 v19, vcc_lo, v13, v25, vcc_lo
	s_delay_alu instid0(VALU_DEP_3) | instskip(SKIP_3) | instid1(VALU_DEP_3)
	v_lshlrev_b64 v[20:21], 2, v[14:15]
	v_sub_nc_u32_e32 v14, v41, v2
	v_add_co_u32 v16, vcc_lo, v12, v16
	v_add_co_ci_u32_e32 v17, vcc_lo, v13, v17, vcc_lo
	v_lshlrev_b64 v[22:23], 2, v[14:15]
	v_sub_nc_u32_e32 v14, v40, v2
	v_add_co_u32 v20, vcc_lo, v12, v20
	v_add_co_ci_u32_e32 v21, vcc_lo, v13, v21, vcc_lo
	s_delay_alu instid0(VALU_DEP_3)
	v_lshlrev_b64 v[24:25], 2, v[14:15]
	v_sub_nc_u32_e32 v14, v39, v2
	v_add_co_u32 v22, vcc_lo, v12, v22
	v_add_co_ci_u32_e32 v23, vcc_lo, v13, v23, vcc_lo
	s_clause 0x3
	global_store_b32 v[18:19], v65, off
	global_store_b32 v[16:17], v64, off
	global_store_b32 v[20:21], v63, off
	global_store_b32 v[22:23], v61, off
	v_lshlrev_b64 v[16:17], 2, v[14:15]
	v_sub_nc_u32_e32 v14, v38, v2
	v_add_co_u32 v18, vcc_lo, v12, v24
	v_add_co_ci_u32_e32 v19, vcc_lo, v13, v25, vcc_lo
	s_delay_alu instid0(VALU_DEP_3) | instskip(SKIP_3) | instid1(VALU_DEP_3)
	v_lshlrev_b64 v[20:21], 2, v[14:15]
	v_sub_nc_u32_e32 v14, v37, v2
	v_add_co_u32 v16, vcc_lo, v12, v16
	v_add_co_ci_u32_e32 v17, vcc_lo, v13, v17, vcc_lo
	v_lshlrev_b64 v[14:15], 2, v[14:15]
	v_add_co_u32 v20, vcc_lo, v12, v20
	v_add_co_ci_u32_e32 v21, vcc_lo, v13, v21, vcc_lo
	s_clause 0x2
	global_store_b32 v[18:19], v60, off
	global_store_b32 v[16:17], v55, off
	;; [unrolled: 1-line block ×3, first 2 shown]
	v_add_co_u32 v14, vcc_lo, v12, v14
	v_add_co_ci_u32_e32 v15, vcc_lo, v13, v15, vcc_lo
	global_store_b32 v[14:15], v54, off
	s_or_b32 exec_lo, exec_lo, s16
	s_delay_alu instid0(SALU_CYCLE_1)
	s_and_b32 exec_lo, exec_lo, s17
	s_cbranch_execnz .LBB153_349
	s_branch .LBB153_350
.LBB153_331:
	s_and_not1_saveexec_b32 s0, s16
	s_cbranch_execz .LBB153_367
.LBB153_332:
	v_sub_nc_u32_e32 v3, v4, v2
	v_sub_nc_u32_e32 v4, v48, v2
	;; [unrolled: 1-line block ×5, first 2 shown]
	v_lshlrev_b32_e32 v3, 2, v3
	v_lshlrev_b32_e32 v4, 2, v4
	;; [unrolled: 1-line block ×4, first 2 shown]
	s_or_b32 s17, s17, exec_lo
	ds_store_b32 v3, v71
	ds_store_b32 v4, v70
	;; [unrolled: 1-line block ×3, first 2 shown]
	v_sub_nc_u32_e32 v3, v47, v2
	v_sub_nc_u32_e32 v4, v45, v2
	;; [unrolled: 1-line block ×3, first 2 shown]
	ds_store_b32 v15, v68
	v_sub_nc_u32_e32 v15, v43, v2
	v_lshlrev_b32_e32 v3, 2, v3
	v_lshlrev_b32_e32 v4, 2, v4
	;; [unrolled: 1-line block ×3, first 2 shown]
	s_delay_alu instid0(VALU_DEP_4)
	v_lshlrev_b32_e32 v15, 2, v15
	ds_store_b32 v3, v67
	v_lshlrev_b32_e32 v3, 2, v16
	ds_store_b32 v4, v66
	ds_store_b32 v14, v65
	;; [unrolled: 1-line block ×3, first 2 shown]
	v_sub_nc_u32_e32 v4, v41, v2
	v_sub_nc_u32_e32 v16, v37, v2
	;; [unrolled: 1-line block ×3, first 2 shown]
	ds_store_b32 v3, v63
	v_sub_nc_u32_e32 v3, v40, v2
	v_lshlrev_b32_e32 v4, 2, v4
	v_sub_nc_u32_e32 v15, v38, v2
	v_lshlrev_b32_e32 v14, 2, v14
	s_delay_alu instid0(VALU_DEP_4)
	v_lshlrev_b32_e32 v3, 2, v3
	ds_store_b32 v4, v61
	v_lshlrev_b32_e32 v4, 2, v16
	v_lshlrev_b32_e32 v15, 2, v15
	ds_store_b32 v3, v60
	ds_store_b32 v14, v55
	;; [unrolled: 1-line block ×4, first 2 shown]
	s_or_b32 exec_lo, exec_lo, s0
	s_delay_alu instid0(SALU_CYCLE_1)
	s_and_b32 exec_lo, exec_lo, s17
	s_cbranch_execnz .LBB153_368
	s_branch .LBB153_369
.LBB153_333:
	s_or_b32 exec_lo, exec_lo, s17
	s_and_saveexec_b32 s17, s13
	s_cbranch_execz .LBB153_300
.LBB153_334:
	v_sub_nc_u32_e32 v14, v48, v2
	v_mov_b32_e32 v15, 0
	s_delay_alu instid0(VALU_DEP_1) | instskip(NEXT) | instid1(VALU_DEP_1)
	v_lshlrev_b64 v[14:15], 2, v[14:15]
	v_add_co_u32 v14, vcc_lo, v12, v14
	s_delay_alu instid0(VALU_DEP_2)
	v_add_co_ci_u32_e32 v15, vcc_lo, v13, v15, vcc_lo
	global_store_b32 v[14:15], v70, off
	s_or_b32 exec_lo, exec_lo, s17
	s_and_saveexec_b32 s17, s12
	s_cbranch_execnz .LBB153_301
.LBB153_335:
	s_or_b32 exec_lo, exec_lo, s17
	s_and_saveexec_b32 s17, s11
	s_cbranch_execz .LBB153_302
.LBB153_336:
	v_sub_nc_u32_e32 v14, v51, v2
	v_mov_b32_e32 v15, 0
	s_delay_alu instid0(VALU_DEP_1) | instskip(NEXT) | instid1(VALU_DEP_1)
	v_lshlrev_b64 v[14:15], 2, v[14:15]
	v_add_co_u32 v14, vcc_lo, v12, v14
	s_delay_alu instid0(VALU_DEP_2)
	v_add_co_ci_u32_e32 v15, vcc_lo, v13, v15, vcc_lo
	global_store_b32 v[14:15], v68, off
	s_or_b32 exec_lo, exec_lo, s17
	s_and_saveexec_b32 s17, s10
	s_cbranch_execnz .LBB153_303
.LBB153_337:
	s_or_b32 exec_lo, exec_lo, s17
	s_and_saveexec_b32 s17, s9
	s_cbranch_execz .LBB153_304
.LBB153_338:
	v_sub_nc_u32_e32 v14, v45, v2
	v_mov_b32_e32 v15, 0
	s_delay_alu instid0(VALU_DEP_1) | instskip(NEXT) | instid1(VALU_DEP_1)
	v_lshlrev_b64 v[14:15], 2, v[14:15]
	v_add_co_u32 v14, vcc_lo, v12, v14
	s_delay_alu instid0(VALU_DEP_2)
	v_add_co_ci_u32_e32 v15, vcc_lo, v13, v15, vcc_lo
	global_store_b32 v[14:15], v66, off
	s_or_b32 exec_lo, exec_lo, s17
	s_and_saveexec_b32 s17, s8
	s_cbranch_execnz .LBB153_305
.LBB153_339:
	s_or_b32 exec_lo, exec_lo, s17
	s_and_saveexec_b32 s17, s7
	s_cbranch_execz .LBB153_306
.LBB153_340:
	v_sub_nc_u32_e32 v14, v43, v2
	v_mov_b32_e32 v15, 0
	s_delay_alu instid0(VALU_DEP_1) | instskip(NEXT) | instid1(VALU_DEP_1)
	v_lshlrev_b64 v[14:15], 2, v[14:15]
	v_add_co_u32 v14, vcc_lo, v12, v14
	s_delay_alu instid0(VALU_DEP_2)
	v_add_co_ci_u32_e32 v15, vcc_lo, v13, v15, vcc_lo
	global_store_b32 v[14:15], v64, off
	s_or_b32 exec_lo, exec_lo, s17
	s_and_saveexec_b32 s17, s6
	s_cbranch_execnz .LBB153_307
.LBB153_341:
	s_or_b32 exec_lo, exec_lo, s17
	s_and_saveexec_b32 s17, s5
	s_cbranch_execz .LBB153_308
.LBB153_342:
	v_sub_nc_u32_e32 v14, v41, v2
	v_mov_b32_e32 v15, 0
	s_delay_alu instid0(VALU_DEP_1) | instskip(NEXT) | instid1(VALU_DEP_1)
	v_lshlrev_b64 v[14:15], 2, v[14:15]
	v_add_co_u32 v14, vcc_lo, v12, v14
	s_delay_alu instid0(VALU_DEP_2)
	v_add_co_ci_u32_e32 v15, vcc_lo, v13, v15, vcc_lo
	global_store_b32 v[14:15], v61, off
	s_or_b32 exec_lo, exec_lo, s17
	s_and_saveexec_b32 s17, s4
	s_cbranch_execnz .LBB153_309
.LBB153_343:
	s_or_b32 exec_lo, exec_lo, s17
	s_and_saveexec_b32 s17, s3
	s_cbranch_execz .LBB153_310
.LBB153_344:
	v_sub_nc_u32_e32 v14, v39, v2
	v_mov_b32_e32 v15, 0
	s_delay_alu instid0(VALU_DEP_1) | instskip(NEXT) | instid1(VALU_DEP_1)
	v_lshlrev_b64 v[14:15], 2, v[14:15]
	v_add_co_u32 v14, vcc_lo, v12, v14
	s_delay_alu instid0(VALU_DEP_2)
	v_add_co_ci_u32_e32 v15, vcc_lo, v13, v15, vcc_lo
	global_store_b32 v[14:15], v55, off
	s_or_b32 exec_lo, exec_lo, s17
	s_and_saveexec_b32 s17, s2
	s_cbranch_execnz .LBB153_311
.LBB153_345:
	s_or_b32 exec_lo, exec_lo, s17
	s_and_saveexec_b32 s17, s1
	s_cbranch_execz .LBB153_347
.LBB153_346:
	v_sub_nc_u32_e32 v14, v37, v2
	v_mov_b32_e32 v15, 0
	s_delay_alu instid0(VALU_DEP_1) | instskip(NEXT) | instid1(VALU_DEP_1)
	v_lshlrev_b64 v[14:15], 2, v[14:15]
	v_add_co_u32 v14, vcc_lo, v12, v14
	s_delay_alu instid0(VALU_DEP_2)
	v_add_co_ci_u32_e32 v15, vcc_lo, v13, v15, vcc_lo
	global_store_b32 v[14:15], v54, off
.LBB153_347:
	s_or_b32 exec_lo, exec_lo, s17
	s_delay_alu instid0(SALU_CYCLE_1)
	s_and_b32 s17, s0, exec_lo
	s_and_not1_saveexec_b32 s16, s16
	s_cbranch_execnz .LBB153_330
.LBB153_348:
	s_or_b32 exec_lo, exec_lo, s16
	s_delay_alu instid0(SALU_CYCLE_1)
	s_and_b32 exec_lo, exec_lo, s17
	s_cbranch_execz .LBB153_350
.LBB153_349:
	v_sub_nc_u32_e32 v14, v6, v2
	v_mov_b32_e32 v15, 0
	s_delay_alu instid0(VALU_DEP_1) | instskip(NEXT) | instid1(VALU_DEP_1)
	v_lshlrev_b64 v[14:15], 2, v[14:15]
	v_add_co_u32 v14, vcc_lo, v12, v14
	s_delay_alu instid0(VALU_DEP_2)
	v_add_co_ci_u32_e32 v15, vcc_lo, v13, v15, vcc_lo
	global_store_b32 v[14:15], v62, off
.LBB153_350:
	s_or_b32 exec_lo, exec_lo, s15
.LBB153_351:
	v_cmp_eq_u32_e32 vcc_lo, 0xff, v0
	s_and_b32 s0, vcc_lo, s20
	s_delay_alu instid0(SALU_CYCLE_1)
	s_and_b32 exec_lo, exec_lo, s0
	s_cbranch_execnz .LBB153_373
	s_branch .LBB153_375
.LBB153_352:
	s_or_b32 exec_lo, exec_lo, s17
	s_and_saveexec_b32 s14, s13
	s_cbranch_execz .LBB153_317
.LBB153_353:
	v_sub_nc_u32_e32 v3, v48, v2
	s_delay_alu instid0(VALU_DEP_1)
	v_lshlrev_b32_e32 v3, 2, v3
	ds_store_b32 v3, v70
	s_or_b32 exec_lo, exec_lo, s14
	s_and_saveexec_b32 s13, s12
	s_cbranch_execnz .LBB153_318
.LBB153_354:
	s_or_b32 exec_lo, exec_lo, s13
	s_and_saveexec_b32 s12, s11
	s_cbranch_execz .LBB153_319
.LBB153_355:
	v_sub_nc_u32_e32 v3, v51, v2
	s_delay_alu instid0(VALU_DEP_1)
	v_lshlrev_b32_e32 v3, 2, v3
	ds_store_b32 v3, v68
	s_or_b32 exec_lo, exec_lo, s12
	s_and_saveexec_b32 s11, s10
	s_cbranch_execnz .LBB153_320
.LBB153_356:
	s_or_b32 exec_lo, exec_lo, s11
	s_and_saveexec_b32 s10, s9
	s_cbranch_execz .LBB153_321
.LBB153_357:
	v_sub_nc_u32_e32 v3, v45, v2
	s_delay_alu instid0(VALU_DEP_1)
	v_lshlrev_b32_e32 v3, 2, v3
	ds_store_b32 v3, v66
	s_or_b32 exec_lo, exec_lo, s10
	s_and_saveexec_b32 s9, s8
	s_cbranch_execnz .LBB153_322
.LBB153_358:
	s_or_b32 exec_lo, exec_lo, s9
	s_and_saveexec_b32 s8, s7
	s_cbranch_execz .LBB153_323
.LBB153_359:
	v_sub_nc_u32_e32 v3, v43, v2
	s_delay_alu instid0(VALU_DEP_1)
	v_lshlrev_b32_e32 v3, 2, v3
	ds_store_b32 v3, v64
	s_or_b32 exec_lo, exec_lo, s8
	s_and_saveexec_b32 s7, s6
	s_cbranch_execnz .LBB153_324
.LBB153_360:
	s_or_b32 exec_lo, exec_lo, s7
	s_and_saveexec_b32 s6, s5
	s_cbranch_execz .LBB153_325
.LBB153_361:
	v_sub_nc_u32_e32 v3, v41, v2
	s_delay_alu instid0(VALU_DEP_1)
	v_lshlrev_b32_e32 v3, 2, v3
	ds_store_b32 v3, v61
	s_or_b32 exec_lo, exec_lo, s6
	s_and_saveexec_b32 s5, s4
	s_cbranch_execnz .LBB153_326
.LBB153_362:
	s_or_b32 exec_lo, exec_lo, s5
	s_and_saveexec_b32 s4, s3
	s_cbranch_execz .LBB153_327
.LBB153_363:
	v_sub_nc_u32_e32 v3, v39, v2
	s_delay_alu instid0(VALU_DEP_1)
	v_lshlrev_b32_e32 v3, 2, v3
	ds_store_b32 v3, v55
	s_or_b32 exec_lo, exec_lo, s4
	s_and_saveexec_b32 s3, s2
	s_cbranch_execnz .LBB153_328
.LBB153_364:
	s_or_b32 exec_lo, exec_lo, s3
	s_and_saveexec_b32 s2, s1
	s_cbranch_execz .LBB153_366
.LBB153_365:
	v_sub_nc_u32_e32 v3, v37, v2
	s_delay_alu instid0(VALU_DEP_1)
	v_lshlrev_b32_e32 v3, 2, v3
	ds_store_b32 v3, v54
.LBB153_366:
	s_or_b32 exec_lo, exec_lo, s2
	s_delay_alu instid0(SALU_CYCLE_1)
	s_and_b32 s17, s0, exec_lo
                                        ; implicit-def: $vgpr54
                                        ; implicit-def: $vgpr56
                                        ; implicit-def: $vgpr55
                                        ; implicit-def: $vgpr60
                                        ; implicit-def: $vgpr61
                                        ; implicit-def: $vgpr63
                                        ; implicit-def: $vgpr64
                                        ; implicit-def: $vgpr65
                                        ; implicit-def: $vgpr66
                                        ; implicit-def: $vgpr67
                                        ; implicit-def: $vgpr68
                                        ; implicit-def: $vgpr69
                                        ; implicit-def: $vgpr70
                                        ; implicit-def: $vgpr71
                                        ; implicit-def: $vgpr48
                                        ; implicit-def: $vgpr46
                                        ; implicit-def: $vgpr51
                                        ; implicit-def: $vgpr47
                                        ; implicit-def: $vgpr45
                                        ; implicit-def: $vgpr44
                                        ; implicit-def: $vgpr43
                                        ; implicit-def: $vgpr42
                                        ; implicit-def: $vgpr41
                                        ; implicit-def: $vgpr40
                                        ; implicit-def: $vgpr39
                                        ; implicit-def: $vgpr38
                                        ; implicit-def: $vgpr37
	s_and_not1_saveexec_b32 s0, s16
	s_cbranch_execnz .LBB153_332
.LBB153_367:
	s_or_b32 exec_lo, exec_lo, s0
	s_delay_alu instid0(SALU_CYCLE_1)
	s_and_b32 exec_lo, exec_lo, s17
	s_cbranch_execz .LBB153_369
.LBB153_368:
	v_sub_nc_u32_e32 v2, v6, v2
	s_delay_alu instid0(VALU_DEP_1)
	v_lshlrev_b32_e32 v2, 2, v2
	ds_store_b32 v2, v62
.LBB153_369:
	s_or_b32 exec_lo, exec_lo, s15
	s_delay_alu instid0(SALU_CYCLE_1)
	s_mov_b32 s1, exec_lo
	s_waitcnt lgkmcnt(0)
	s_waitcnt_vscnt null, 0x0
	s_barrier
	buffer_gl0_inv
	v_cmpx_lt_u32_e64 v0, v9
	s_cbranch_execz .LBB153_372
; %bb.370:
	v_dual_mov_b32 v3, 0 :: v_dual_lshlrev_b32 v4, 2, v0
	v_mov_b32_e32 v2, v0
	s_mov_b32 s2, 0
	.p2align	6
.LBB153_371:                            ; =>This Inner Loop Header: Depth=1
	ds_load_b32 v6, v4
	v_lshlrev_b64 v[14:15], 2, v[2:3]
	v_add_nc_u32_e32 v2, 0x100, v2
	v_add_nc_u32_e32 v4, 0x400, v4
	s_delay_alu instid0(VALU_DEP_2) | instskip(NEXT) | instid1(VALU_DEP_4)
	v_cmp_ge_u32_e32 vcc_lo, v2, v9
	v_add_co_u32 v14, s0, v12, v14
	s_delay_alu instid0(VALU_DEP_1)
	v_add_co_ci_u32_e64 v15, s0, v13, v15, s0
	s_or_b32 s2, vcc_lo, s2
	s_waitcnt lgkmcnt(0)
	global_store_b32 v[14:15], v6, off
	s_and_not1_b32 exec_lo, exec_lo, s2
	s_cbranch_execnz .LBB153_371
.LBB153_372:
	s_or_b32 exec_lo, exec_lo, s1
	v_cmp_eq_u32_e32 vcc_lo, 0xff, v0
	s_and_b32 s0, vcc_lo, s20
	s_delay_alu instid0(SALU_CYCLE_1)
	s_and_b32 exec_lo, exec_lo, s0
	s_cbranch_execz .LBB153_375
.LBB153_373:
	v_add_co_u32 v0, s0, v1, v5
	s_delay_alu instid0(VALU_DEP_1) | instskip(SKIP_1) | instid1(VALU_DEP_3)
	v_add_co_ci_u32_e64 v4, null, 0, 0, s0
	v_mov_b32_e32 v2, 0
	v_add_co_u32 v3, vcc_lo, v0, v7
	s_delay_alu instid0(VALU_DEP_3)
	v_add_co_ci_u32_e32 v4, vcc_lo, v4, v8, vcc_lo
	s_cmpk_lg_i32 s21, 0xf00
	global_store_b64 v2, v[3:4], s[38:39]
	s_cbranch_scc1 .LBB153_375
; %bb.374:
	v_lshlrev_b64 v[0:1], 2, v[1:2]
	s_delay_alu instid0(VALU_DEP_1) | instskip(NEXT) | instid1(VALU_DEP_2)
	v_add_co_u32 v0, vcc_lo, v10, v0
	v_add_co_ci_u32_e32 v1, vcc_lo, v11, v1, vcc_lo
	global_store_b32 v[0:1], v53, off offset:-4
	s_nop 0
	s_sendmsg sendmsg(MSG_DEALLOC_VGPRS)
	s_endpgm
.LBB153_375:
	s_endpgm
.LBB153_376:
	s_trap 2
	s_sendmsg_rtn_b32 s0, sendmsg(MSG_RTN_GET_DOORBELL)
	s_mov_b32 ttmp2, m0
	s_waitcnt lgkmcnt(0)
	s_and_b32 s0, s0, 0x3ff
	s_delay_alu instid0(SALU_CYCLE_1) | instskip(NEXT) | instid1(SALU_CYCLE_1)
	s_bitset1_b32 s0, 10
	s_mov_b32 m0, s0
	s_sendmsg sendmsg(MSG_INTERRUPT)
	s_mov_b32 m0, ttmp2
.LBB153_377:                            ; =>This Inner Loop Header: Depth=1
	s_sethalt 5
	s_branch .LBB153_377
	.section	.rodata,"a",@progbits
	.p2align	6, 0x0
	.amdhsa_kernel _ZN7rocprim17ROCPRIM_400000_NS6detail17trampoline_kernelINS0_14default_configENS1_29reduce_by_key_config_selectorIffN6thrust23THRUST_200600_302600_NS4plusIfEEEEZZNS1_33reduce_by_key_impl_wrapped_configILNS1_25lookback_scan_determinismE1ES3_S9_NS6_6detail15normal_iteratorINS6_10device_ptrIfEEEESG_SG_SG_PmS8_22is_equal_div_10_reduceIfEEE10hipError_tPvRmT2_T3_mT4_T5_T6_T7_T8_P12ihipStream_tbENKUlT_T0_E_clISt17integral_constantIbLb1EES10_IbLb0EEEEDaSW_SX_EUlSW_E_NS1_11comp_targetILNS1_3genE9ELNS1_11target_archE1100ELNS1_3gpuE3ELNS1_3repE0EEENS1_30default_config_static_selectorELNS0_4arch9wavefront6targetE0EEEvT1_
		.amdhsa_group_segment_fixed_size 15360
		.amdhsa_private_segment_fixed_size 48
		.amdhsa_kernarg_size 120
		.amdhsa_user_sgpr_count 15
		.amdhsa_user_sgpr_dispatch_ptr 0
		.amdhsa_user_sgpr_queue_ptr 0
		.amdhsa_user_sgpr_kernarg_segment_ptr 1
		.amdhsa_user_sgpr_dispatch_id 0
		.amdhsa_user_sgpr_private_segment_size 0
		.amdhsa_wavefront_size32 1
		.amdhsa_uses_dynamic_stack 0
		.amdhsa_enable_private_segment 1
		.amdhsa_system_sgpr_workgroup_id_x 1
		.amdhsa_system_sgpr_workgroup_id_y 0
		.amdhsa_system_sgpr_workgroup_id_z 0
		.amdhsa_system_sgpr_workgroup_info 0
		.amdhsa_system_vgpr_workitem_id 0
		.amdhsa_next_free_vgpr 85
		.amdhsa_next_free_sgpr 46
		.amdhsa_reserve_vcc 1
		.amdhsa_float_round_mode_32 0
		.amdhsa_float_round_mode_16_64 0
		.amdhsa_float_denorm_mode_32 3
		.amdhsa_float_denorm_mode_16_64 3
		.amdhsa_dx10_clamp 1
		.amdhsa_ieee_mode 1
		.amdhsa_fp16_overflow 0
		.amdhsa_workgroup_processor_mode 1
		.amdhsa_memory_ordered 1
		.amdhsa_forward_progress 0
		.amdhsa_shared_vgpr_count 0
		.amdhsa_exception_fp_ieee_invalid_op 0
		.amdhsa_exception_fp_denorm_src 0
		.amdhsa_exception_fp_ieee_div_zero 0
		.amdhsa_exception_fp_ieee_overflow 0
		.amdhsa_exception_fp_ieee_underflow 0
		.amdhsa_exception_fp_ieee_inexact 0
		.amdhsa_exception_int_div_zero 0
	.end_amdhsa_kernel
	.section	.text._ZN7rocprim17ROCPRIM_400000_NS6detail17trampoline_kernelINS0_14default_configENS1_29reduce_by_key_config_selectorIffN6thrust23THRUST_200600_302600_NS4plusIfEEEEZZNS1_33reduce_by_key_impl_wrapped_configILNS1_25lookback_scan_determinismE1ES3_S9_NS6_6detail15normal_iteratorINS6_10device_ptrIfEEEESG_SG_SG_PmS8_22is_equal_div_10_reduceIfEEE10hipError_tPvRmT2_T3_mT4_T5_T6_T7_T8_P12ihipStream_tbENKUlT_T0_E_clISt17integral_constantIbLb1EES10_IbLb0EEEEDaSW_SX_EUlSW_E_NS1_11comp_targetILNS1_3genE9ELNS1_11target_archE1100ELNS1_3gpuE3ELNS1_3repE0EEENS1_30default_config_static_selectorELNS0_4arch9wavefront6targetE0EEEvT1_,"axG",@progbits,_ZN7rocprim17ROCPRIM_400000_NS6detail17trampoline_kernelINS0_14default_configENS1_29reduce_by_key_config_selectorIffN6thrust23THRUST_200600_302600_NS4plusIfEEEEZZNS1_33reduce_by_key_impl_wrapped_configILNS1_25lookback_scan_determinismE1ES3_S9_NS6_6detail15normal_iteratorINS6_10device_ptrIfEEEESG_SG_SG_PmS8_22is_equal_div_10_reduceIfEEE10hipError_tPvRmT2_T3_mT4_T5_T6_T7_T8_P12ihipStream_tbENKUlT_T0_E_clISt17integral_constantIbLb1EES10_IbLb0EEEEDaSW_SX_EUlSW_E_NS1_11comp_targetILNS1_3genE9ELNS1_11target_archE1100ELNS1_3gpuE3ELNS1_3repE0EEENS1_30default_config_static_selectorELNS0_4arch9wavefront6targetE0EEEvT1_,comdat
.Lfunc_end153:
	.size	_ZN7rocprim17ROCPRIM_400000_NS6detail17trampoline_kernelINS0_14default_configENS1_29reduce_by_key_config_selectorIffN6thrust23THRUST_200600_302600_NS4plusIfEEEEZZNS1_33reduce_by_key_impl_wrapped_configILNS1_25lookback_scan_determinismE1ES3_S9_NS6_6detail15normal_iteratorINS6_10device_ptrIfEEEESG_SG_SG_PmS8_22is_equal_div_10_reduceIfEEE10hipError_tPvRmT2_T3_mT4_T5_T6_T7_T8_P12ihipStream_tbENKUlT_T0_E_clISt17integral_constantIbLb1EES10_IbLb0EEEEDaSW_SX_EUlSW_E_NS1_11comp_targetILNS1_3genE9ELNS1_11target_archE1100ELNS1_3gpuE3ELNS1_3repE0EEENS1_30default_config_static_selectorELNS0_4arch9wavefront6targetE0EEEvT1_, .Lfunc_end153-_ZN7rocprim17ROCPRIM_400000_NS6detail17trampoline_kernelINS0_14default_configENS1_29reduce_by_key_config_selectorIffN6thrust23THRUST_200600_302600_NS4plusIfEEEEZZNS1_33reduce_by_key_impl_wrapped_configILNS1_25lookback_scan_determinismE1ES3_S9_NS6_6detail15normal_iteratorINS6_10device_ptrIfEEEESG_SG_SG_PmS8_22is_equal_div_10_reduceIfEEE10hipError_tPvRmT2_T3_mT4_T5_T6_T7_T8_P12ihipStream_tbENKUlT_T0_E_clISt17integral_constantIbLb1EES10_IbLb0EEEEDaSW_SX_EUlSW_E_NS1_11comp_targetILNS1_3genE9ELNS1_11target_archE1100ELNS1_3gpuE3ELNS1_3repE0EEENS1_30default_config_static_selectorELNS0_4arch9wavefront6targetE0EEEvT1_
                                        ; -- End function
	.section	.AMDGPU.csdata,"",@progbits
; Kernel info:
; codeLenInByte = 22380
; NumSgprs: 48
; NumVgprs: 85
; ScratchSize: 48
; MemoryBound: 0
; FloatMode: 240
; IeeeMode: 1
; LDSByteSize: 15360 bytes/workgroup (compile time only)
; SGPRBlocks: 5
; VGPRBlocks: 10
; NumSGPRsForWavesPerEU: 48
; NumVGPRsForWavesPerEU: 85
; Occupancy: 16
; WaveLimiterHint : 1
; COMPUTE_PGM_RSRC2:SCRATCH_EN: 1
; COMPUTE_PGM_RSRC2:USER_SGPR: 15
; COMPUTE_PGM_RSRC2:TRAP_HANDLER: 0
; COMPUTE_PGM_RSRC2:TGID_X_EN: 1
; COMPUTE_PGM_RSRC2:TGID_Y_EN: 0
; COMPUTE_PGM_RSRC2:TGID_Z_EN: 0
; COMPUTE_PGM_RSRC2:TIDIG_COMP_CNT: 0
	.section	.text._ZN7rocprim17ROCPRIM_400000_NS6detail17trampoline_kernelINS0_14default_configENS1_29reduce_by_key_config_selectorIffN6thrust23THRUST_200600_302600_NS4plusIfEEEEZZNS1_33reduce_by_key_impl_wrapped_configILNS1_25lookback_scan_determinismE1ES3_S9_NS6_6detail15normal_iteratorINS6_10device_ptrIfEEEESG_SG_SG_PmS8_22is_equal_div_10_reduceIfEEE10hipError_tPvRmT2_T3_mT4_T5_T6_T7_T8_P12ihipStream_tbENKUlT_T0_E_clISt17integral_constantIbLb1EES10_IbLb0EEEEDaSW_SX_EUlSW_E_NS1_11comp_targetILNS1_3genE8ELNS1_11target_archE1030ELNS1_3gpuE2ELNS1_3repE0EEENS1_30default_config_static_selectorELNS0_4arch9wavefront6targetE0EEEvT1_,"axG",@progbits,_ZN7rocprim17ROCPRIM_400000_NS6detail17trampoline_kernelINS0_14default_configENS1_29reduce_by_key_config_selectorIffN6thrust23THRUST_200600_302600_NS4plusIfEEEEZZNS1_33reduce_by_key_impl_wrapped_configILNS1_25lookback_scan_determinismE1ES3_S9_NS6_6detail15normal_iteratorINS6_10device_ptrIfEEEESG_SG_SG_PmS8_22is_equal_div_10_reduceIfEEE10hipError_tPvRmT2_T3_mT4_T5_T6_T7_T8_P12ihipStream_tbENKUlT_T0_E_clISt17integral_constantIbLb1EES10_IbLb0EEEEDaSW_SX_EUlSW_E_NS1_11comp_targetILNS1_3genE8ELNS1_11target_archE1030ELNS1_3gpuE2ELNS1_3repE0EEENS1_30default_config_static_selectorELNS0_4arch9wavefront6targetE0EEEvT1_,comdat
	.protected	_ZN7rocprim17ROCPRIM_400000_NS6detail17trampoline_kernelINS0_14default_configENS1_29reduce_by_key_config_selectorIffN6thrust23THRUST_200600_302600_NS4plusIfEEEEZZNS1_33reduce_by_key_impl_wrapped_configILNS1_25lookback_scan_determinismE1ES3_S9_NS6_6detail15normal_iteratorINS6_10device_ptrIfEEEESG_SG_SG_PmS8_22is_equal_div_10_reduceIfEEE10hipError_tPvRmT2_T3_mT4_T5_T6_T7_T8_P12ihipStream_tbENKUlT_T0_E_clISt17integral_constantIbLb1EES10_IbLb0EEEEDaSW_SX_EUlSW_E_NS1_11comp_targetILNS1_3genE8ELNS1_11target_archE1030ELNS1_3gpuE2ELNS1_3repE0EEENS1_30default_config_static_selectorELNS0_4arch9wavefront6targetE0EEEvT1_ ; -- Begin function _ZN7rocprim17ROCPRIM_400000_NS6detail17trampoline_kernelINS0_14default_configENS1_29reduce_by_key_config_selectorIffN6thrust23THRUST_200600_302600_NS4plusIfEEEEZZNS1_33reduce_by_key_impl_wrapped_configILNS1_25lookback_scan_determinismE1ES3_S9_NS6_6detail15normal_iteratorINS6_10device_ptrIfEEEESG_SG_SG_PmS8_22is_equal_div_10_reduceIfEEE10hipError_tPvRmT2_T3_mT4_T5_T6_T7_T8_P12ihipStream_tbENKUlT_T0_E_clISt17integral_constantIbLb1EES10_IbLb0EEEEDaSW_SX_EUlSW_E_NS1_11comp_targetILNS1_3genE8ELNS1_11target_archE1030ELNS1_3gpuE2ELNS1_3repE0EEENS1_30default_config_static_selectorELNS0_4arch9wavefront6targetE0EEEvT1_
	.globl	_ZN7rocprim17ROCPRIM_400000_NS6detail17trampoline_kernelINS0_14default_configENS1_29reduce_by_key_config_selectorIffN6thrust23THRUST_200600_302600_NS4plusIfEEEEZZNS1_33reduce_by_key_impl_wrapped_configILNS1_25lookback_scan_determinismE1ES3_S9_NS6_6detail15normal_iteratorINS6_10device_ptrIfEEEESG_SG_SG_PmS8_22is_equal_div_10_reduceIfEEE10hipError_tPvRmT2_T3_mT4_T5_T6_T7_T8_P12ihipStream_tbENKUlT_T0_E_clISt17integral_constantIbLb1EES10_IbLb0EEEEDaSW_SX_EUlSW_E_NS1_11comp_targetILNS1_3genE8ELNS1_11target_archE1030ELNS1_3gpuE2ELNS1_3repE0EEENS1_30default_config_static_selectorELNS0_4arch9wavefront6targetE0EEEvT1_
	.p2align	8
	.type	_ZN7rocprim17ROCPRIM_400000_NS6detail17trampoline_kernelINS0_14default_configENS1_29reduce_by_key_config_selectorIffN6thrust23THRUST_200600_302600_NS4plusIfEEEEZZNS1_33reduce_by_key_impl_wrapped_configILNS1_25lookback_scan_determinismE1ES3_S9_NS6_6detail15normal_iteratorINS6_10device_ptrIfEEEESG_SG_SG_PmS8_22is_equal_div_10_reduceIfEEE10hipError_tPvRmT2_T3_mT4_T5_T6_T7_T8_P12ihipStream_tbENKUlT_T0_E_clISt17integral_constantIbLb1EES10_IbLb0EEEEDaSW_SX_EUlSW_E_NS1_11comp_targetILNS1_3genE8ELNS1_11target_archE1030ELNS1_3gpuE2ELNS1_3repE0EEENS1_30default_config_static_selectorELNS0_4arch9wavefront6targetE0EEEvT1_,@function
_ZN7rocprim17ROCPRIM_400000_NS6detail17trampoline_kernelINS0_14default_configENS1_29reduce_by_key_config_selectorIffN6thrust23THRUST_200600_302600_NS4plusIfEEEEZZNS1_33reduce_by_key_impl_wrapped_configILNS1_25lookback_scan_determinismE1ES3_S9_NS6_6detail15normal_iteratorINS6_10device_ptrIfEEEESG_SG_SG_PmS8_22is_equal_div_10_reduceIfEEE10hipError_tPvRmT2_T3_mT4_T5_T6_T7_T8_P12ihipStream_tbENKUlT_T0_E_clISt17integral_constantIbLb1EES10_IbLb0EEEEDaSW_SX_EUlSW_E_NS1_11comp_targetILNS1_3genE8ELNS1_11target_archE1030ELNS1_3gpuE2ELNS1_3repE0EEENS1_30default_config_static_selectorELNS0_4arch9wavefront6targetE0EEEvT1_: ; @_ZN7rocprim17ROCPRIM_400000_NS6detail17trampoline_kernelINS0_14default_configENS1_29reduce_by_key_config_selectorIffN6thrust23THRUST_200600_302600_NS4plusIfEEEEZZNS1_33reduce_by_key_impl_wrapped_configILNS1_25lookback_scan_determinismE1ES3_S9_NS6_6detail15normal_iteratorINS6_10device_ptrIfEEEESG_SG_SG_PmS8_22is_equal_div_10_reduceIfEEE10hipError_tPvRmT2_T3_mT4_T5_T6_T7_T8_P12ihipStream_tbENKUlT_T0_E_clISt17integral_constantIbLb1EES10_IbLb0EEEEDaSW_SX_EUlSW_E_NS1_11comp_targetILNS1_3genE8ELNS1_11target_archE1030ELNS1_3gpuE2ELNS1_3repE0EEENS1_30default_config_static_selectorELNS0_4arch9wavefront6targetE0EEEvT1_
; %bb.0:
	.section	.rodata,"a",@progbits
	.p2align	6, 0x0
	.amdhsa_kernel _ZN7rocprim17ROCPRIM_400000_NS6detail17trampoline_kernelINS0_14default_configENS1_29reduce_by_key_config_selectorIffN6thrust23THRUST_200600_302600_NS4plusIfEEEEZZNS1_33reduce_by_key_impl_wrapped_configILNS1_25lookback_scan_determinismE1ES3_S9_NS6_6detail15normal_iteratorINS6_10device_ptrIfEEEESG_SG_SG_PmS8_22is_equal_div_10_reduceIfEEE10hipError_tPvRmT2_T3_mT4_T5_T6_T7_T8_P12ihipStream_tbENKUlT_T0_E_clISt17integral_constantIbLb1EES10_IbLb0EEEEDaSW_SX_EUlSW_E_NS1_11comp_targetILNS1_3genE8ELNS1_11target_archE1030ELNS1_3gpuE2ELNS1_3repE0EEENS1_30default_config_static_selectorELNS0_4arch9wavefront6targetE0EEEvT1_
		.amdhsa_group_segment_fixed_size 0
		.amdhsa_private_segment_fixed_size 0
		.amdhsa_kernarg_size 120
		.amdhsa_user_sgpr_count 15
		.amdhsa_user_sgpr_dispatch_ptr 0
		.amdhsa_user_sgpr_queue_ptr 0
		.amdhsa_user_sgpr_kernarg_segment_ptr 1
		.amdhsa_user_sgpr_dispatch_id 0
		.amdhsa_user_sgpr_private_segment_size 0
		.amdhsa_wavefront_size32 1
		.amdhsa_uses_dynamic_stack 0
		.amdhsa_enable_private_segment 0
		.amdhsa_system_sgpr_workgroup_id_x 1
		.amdhsa_system_sgpr_workgroup_id_y 0
		.amdhsa_system_sgpr_workgroup_id_z 0
		.amdhsa_system_sgpr_workgroup_info 0
		.amdhsa_system_vgpr_workitem_id 0
		.amdhsa_next_free_vgpr 1
		.amdhsa_next_free_sgpr 1
		.amdhsa_reserve_vcc 0
		.amdhsa_float_round_mode_32 0
		.amdhsa_float_round_mode_16_64 0
		.amdhsa_float_denorm_mode_32 3
		.amdhsa_float_denorm_mode_16_64 3
		.amdhsa_dx10_clamp 1
		.amdhsa_ieee_mode 1
		.amdhsa_fp16_overflow 0
		.amdhsa_workgroup_processor_mode 1
		.amdhsa_memory_ordered 1
		.amdhsa_forward_progress 0
		.amdhsa_shared_vgpr_count 0
		.amdhsa_exception_fp_ieee_invalid_op 0
		.amdhsa_exception_fp_denorm_src 0
		.amdhsa_exception_fp_ieee_div_zero 0
		.amdhsa_exception_fp_ieee_overflow 0
		.amdhsa_exception_fp_ieee_underflow 0
		.amdhsa_exception_fp_ieee_inexact 0
		.amdhsa_exception_int_div_zero 0
	.end_amdhsa_kernel
	.section	.text._ZN7rocprim17ROCPRIM_400000_NS6detail17trampoline_kernelINS0_14default_configENS1_29reduce_by_key_config_selectorIffN6thrust23THRUST_200600_302600_NS4plusIfEEEEZZNS1_33reduce_by_key_impl_wrapped_configILNS1_25lookback_scan_determinismE1ES3_S9_NS6_6detail15normal_iteratorINS6_10device_ptrIfEEEESG_SG_SG_PmS8_22is_equal_div_10_reduceIfEEE10hipError_tPvRmT2_T3_mT4_T5_T6_T7_T8_P12ihipStream_tbENKUlT_T0_E_clISt17integral_constantIbLb1EES10_IbLb0EEEEDaSW_SX_EUlSW_E_NS1_11comp_targetILNS1_3genE8ELNS1_11target_archE1030ELNS1_3gpuE2ELNS1_3repE0EEENS1_30default_config_static_selectorELNS0_4arch9wavefront6targetE0EEEvT1_,"axG",@progbits,_ZN7rocprim17ROCPRIM_400000_NS6detail17trampoline_kernelINS0_14default_configENS1_29reduce_by_key_config_selectorIffN6thrust23THRUST_200600_302600_NS4plusIfEEEEZZNS1_33reduce_by_key_impl_wrapped_configILNS1_25lookback_scan_determinismE1ES3_S9_NS6_6detail15normal_iteratorINS6_10device_ptrIfEEEESG_SG_SG_PmS8_22is_equal_div_10_reduceIfEEE10hipError_tPvRmT2_T3_mT4_T5_T6_T7_T8_P12ihipStream_tbENKUlT_T0_E_clISt17integral_constantIbLb1EES10_IbLb0EEEEDaSW_SX_EUlSW_E_NS1_11comp_targetILNS1_3genE8ELNS1_11target_archE1030ELNS1_3gpuE2ELNS1_3repE0EEENS1_30default_config_static_selectorELNS0_4arch9wavefront6targetE0EEEvT1_,comdat
.Lfunc_end154:
	.size	_ZN7rocprim17ROCPRIM_400000_NS6detail17trampoline_kernelINS0_14default_configENS1_29reduce_by_key_config_selectorIffN6thrust23THRUST_200600_302600_NS4plusIfEEEEZZNS1_33reduce_by_key_impl_wrapped_configILNS1_25lookback_scan_determinismE1ES3_S9_NS6_6detail15normal_iteratorINS6_10device_ptrIfEEEESG_SG_SG_PmS8_22is_equal_div_10_reduceIfEEE10hipError_tPvRmT2_T3_mT4_T5_T6_T7_T8_P12ihipStream_tbENKUlT_T0_E_clISt17integral_constantIbLb1EES10_IbLb0EEEEDaSW_SX_EUlSW_E_NS1_11comp_targetILNS1_3genE8ELNS1_11target_archE1030ELNS1_3gpuE2ELNS1_3repE0EEENS1_30default_config_static_selectorELNS0_4arch9wavefront6targetE0EEEvT1_, .Lfunc_end154-_ZN7rocprim17ROCPRIM_400000_NS6detail17trampoline_kernelINS0_14default_configENS1_29reduce_by_key_config_selectorIffN6thrust23THRUST_200600_302600_NS4plusIfEEEEZZNS1_33reduce_by_key_impl_wrapped_configILNS1_25lookback_scan_determinismE1ES3_S9_NS6_6detail15normal_iteratorINS6_10device_ptrIfEEEESG_SG_SG_PmS8_22is_equal_div_10_reduceIfEEE10hipError_tPvRmT2_T3_mT4_T5_T6_T7_T8_P12ihipStream_tbENKUlT_T0_E_clISt17integral_constantIbLb1EES10_IbLb0EEEEDaSW_SX_EUlSW_E_NS1_11comp_targetILNS1_3genE8ELNS1_11target_archE1030ELNS1_3gpuE2ELNS1_3repE0EEENS1_30default_config_static_selectorELNS0_4arch9wavefront6targetE0EEEvT1_
                                        ; -- End function
	.section	.AMDGPU.csdata,"",@progbits
; Kernel info:
; codeLenInByte = 0
; NumSgprs: 0
; NumVgprs: 0
; ScratchSize: 0
; MemoryBound: 0
; FloatMode: 240
; IeeeMode: 1
; LDSByteSize: 0 bytes/workgroup (compile time only)
; SGPRBlocks: 0
; VGPRBlocks: 0
; NumSGPRsForWavesPerEU: 1
; NumVGPRsForWavesPerEU: 1
; Occupancy: 16
; WaveLimiterHint : 0
; COMPUTE_PGM_RSRC2:SCRATCH_EN: 0
; COMPUTE_PGM_RSRC2:USER_SGPR: 15
; COMPUTE_PGM_RSRC2:TRAP_HANDLER: 0
; COMPUTE_PGM_RSRC2:TGID_X_EN: 1
; COMPUTE_PGM_RSRC2:TGID_Y_EN: 0
; COMPUTE_PGM_RSRC2:TGID_Z_EN: 0
; COMPUTE_PGM_RSRC2:TIDIG_COMP_CNT: 0
	.section	.text._ZN7rocprim17ROCPRIM_400000_NS6detail17trampoline_kernelINS0_14default_configENS1_29reduce_by_key_config_selectorIffN6thrust23THRUST_200600_302600_NS4plusIfEEEEZZNS1_33reduce_by_key_impl_wrapped_configILNS1_25lookback_scan_determinismE1ES3_S9_NS6_6detail15normal_iteratorINS6_10device_ptrIfEEEESG_SG_SG_PmS8_22is_equal_div_10_reduceIfEEE10hipError_tPvRmT2_T3_mT4_T5_T6_T7_T8_P12ihipStream_tbENKUlT_T0_E_clISt17integral_constantIbLb0EES10_IbLb1EEEEDaSW_SX_EUlSW_E_NS1_11comp_targetILNS1_3genE0ELNS1_11target_archE4294967295ELNS1_3gpuE0ELNS1_3repE0EEENS1_30default_config_static_selectorELNS0_4arch9wavefront6targetE0EEEvT1_,"axG",@progbits,_ZN7rocprim17ROCPRIM_400000_NS6detail17trampoline_kernelINS0_14default_configENS1_29reduce_by_key_config_selectorIffN6thrust23THRUST_200600_302600_NS4plusIfEEEEZZNS1_33reduce_by_key_impl_wrapped_configILNS1_25lookback_scan_determinismE1ES3_S9_NS6_6detail15normal_iteratorINS6_10device_ptrIfEEEESG_SG_SG_PmS8_22is_equal_div_10_reduceIfEEE10hipError_tPvRmT2_T3_mT4_T5_T6_T7_T8_P12ihipStream_tbENKUlT_T0_E_clISt17integral_constantIbLb0EES10_IbLb1EEEEDaSW_SX_EUlSW_E_NS1_11comp_targetILNS1_3genE0ELNS1_11target_archE4294967295ELNS1_3gpuE0ELNS1_3repE0EEENS1_30default_config_static_selectorELNS0_4arch9wavefront6targetE0EEEvT1_,comdat
	.protected	_ZN7rocprim17ROCPRIM_400000_NS6detail17trampoline_kernelINS0_14default_configENS1_29reduce_by_key_config_selectorIffN6thrust23THRUST_200600_302600_NS4plusIfEEEEZZNS1_33reduce_by_key_impl_wrapped_configILNS1_25lookback_scan_determinismE1ES3_S9_NS6_6detail15normal_iteratorINS6_10device_ptrIfEEEESG_SG_SG_PmS8_22is_equal_div_10_reduceIfEEE10hipError_tPvRmT2_T3_mT4_T5_T6_T7_T8_P12ihipStream_tbENKUlT_T0_E_clISt17integral_constantIbLb0EES10_IbLb1EEEEDaSW_SX_EUlSW_E_NS1_11comp_targetILNS1_3genE0ELNS1_11target_archE4294967295ELNS1_3gpuE0ELNS1_3repE0EEENS1_30default_config_static_selectorELNS0_4arch9wavefront6targetE0EEEvT1_ ; -- Begin function _ZN7rocprim17ROCPRIM_400000_NS6detail17trampoline_kernelINS0_14default_configENS1_29reduce_by_key_config_selectorIffN6thrust23THRUST_200600_302600_NS4plusIfEEEEZZNS1_33reduce_by_key_impl_wrapped_configILNS1_25lookback_scan_determinismE1ES3_S9_NS6_6detail15normal_iteratorINS6_10device_ptrIfEEEESG_SG_SG_PmS8_22is_equal_div_10_reduceIfEEE10hipError_tPvRmT2_T3_mT4_T5_T6_T7_T8_P12ihipStream_tbENKUlT_T0_E_clISt17integral_constantIbLb0EES10_IbLb1EEEEDaSW_SX_EUlSW_E_NS1_11comp_targetILNS1_3genE0ELNS1_11target_archE4294967295ELNS1_3gpuE0ELNS1_3repE0EEENS1_30default_config_static_selectorELNS0_4arch9wavefront6targetE0EEEvT1_
	.globl	_ZN7rocprim17ROCPRIM_400000_NS6detail17trampoline_kernelINS0_14default_configENS1_29reduce_by_key_config_selectorIffN6thrust23THRUST_200600_302600_NS4plusIfEEEEZZNS1_33reduce_by_key_impl_wrapped_configILNS1_25lookback_scan_determinismE1ES3_S9_NS6_6detail15normal_iteratorINS6_10device_ptrIfEEEESG_SG_SG_PmS8_22is_equal_div_10_reduceIfEEE10hipError_tPvRmT2_T3_mT4_T5_T6_T7_T8_P12ihipStream_tbENKUlT_T0_E_clISt17integral_constantIbLb0EES10_IbLb1EEEEDaSW_SX_EUlSW_E_NS1_11comp_targetILNS1_3genE0ELNS1_11target_archE4294967295ELNS1_3gpuE0ELNS1_3repE0EEENS1_30default_config_static_selectorELNS0_4arch9wavefront6targetE0EEEvT1_
	.p2align	8
	.type	_ZN7rocprim17ROCPRIM_400000_NS6detail17trampoline_kernelINS0_14default_configENS1_29reduce_by_key_config_selectorIffN6thrust23THRUST_200600_302600_NS4plusIfEEEEZZNS1_33reduce_by_key_impl_wrapped_configILNS1_25lookback_scan_determinismE1ES3_S9_NS6_6detail15normal_iteratorINS6_10device_ptrIfEEEESG_SG_SG_PmS8_22is_equal_div_10_reduceIfEEE10hipError_tPvRmT2_T3_mT4_T5_T6_T7_T8_P12ihipStream_tbENKUlT_T0_E_clISt17integral_constantIbLb0EES10_IbLb1EEEEDaSW_SX_EUlSW_E_NS1_11comp_targetILNS1_3genE0ELNS1_11target_archE4294967295ELNS1_3gpuE0ELNS1_3repE0EEENS1_30default_config_static_selectorELNS0_4arch9wavefront6targetE0EEEvT1_,@function
_ZN7rocprim17ROCPRIM_400000_NS6detail17trampoline_kernelINS0_14default_configENS1_29reduce_by_key_config_selectorIffN6thrust23THRUST_200600_302600_NS4plusIfEEEEZZNS1_33reduce_by_key_impl_wrapped_configILNS1_25lookback_scan_determinismE1ES3_S9_NS6_6detail15normal_iteratorINS6_10device_ptrIfEEEESG_SG_SG_PmS8_22is_equal_div_10_reduceIfEEE10hipError_tPvRmT2_T3_mT4_T5_T6_T7_T8_P12ihipStream_tbENKUlT_T0_E_clISt17integral_constantIbLb0EES10_IbLb1EEEEDaSW_SX_EUlSW_E_NS1_11comp_targetILNS1_3genE0ELNS1_11target_archE4294967295ELNS1_3gpuE0ELNS1_3repE0EEENS1_30default_config_static_selectorELNS0_4arch9wavefront6targetE0EEEvT1_: ; @_ZN7rocprim17ROCPRIM_400000_NS6detail17trampoline_kernelINS0_14default_configENS1_29reduce_by_key_config_selectorIffN6thrust23THRUST_200600_302600_NS4plusIfEEEEZZNS1_33reduce_by_key_impl_wrapped_configILNS1_25lookback_scan_determinismE1ES3_S9_NS6_6detail15normal_iteratorINS6_10device_ptrIfEEEESG_SG_SG_PmS8_22is_equal_div_10_reduceIfEEE10hipError_tPvRmT2_T3_mT4_T5_T6_T7_T8_P12ihipStream_tbENKUlT_T0_E_clISt17integral_constantIbLb0EES10_IbLb1EEEEDaSW_SX_EUlSW_E_NS1_11comp_targetILNS1_3genE0ELNS1_11target_archE4294967295ELNS1_3gpuE0ELNS1_3repE0EEENS1_30default_config_static_selectorELNS0_4arch9wavefront6targetE0EEEvT1_
; %bb.0:
	.section	.rodata,"a",@progbits
	.p2align	6, 0x0
	.amdhsa_kernel _ZN7rocprim17ROCPRIM_400000_NS6detail17trampoline_kernelINS0_14default_configENS1_29reduce_by_key_config_selectorIffN6thrust23THRUST_200600_302600_NS4plusIfEEEEZZNS1_33reduce_by_key_impl_wrapped_configILNS1_25lookback_scan_determinismE1ES3_S9_NS6_6detail15normal_iteratorINS6_10device_ptrIfEEEESG_SG_SG_PmS8_22is_equal_div_10_reduceIfEEE10hipError_tPvRmT2_T3_mT4_T5_T6_T7_T8_P12ihipStream_tbENKUlT_T0_E_clISt17integral_constantIbLb0EES10_IbLb1EEEEDaSW_SX_EUlSW_E_NS1_11comp_targetILNS1_3genE0ELNS1_11target_archE4294967295ELNS1_3gpuE0ELNS1_3repE0EEENS1_30default_config_static_selectorELNS0_4arch9wavefront6targetE0EEEvT1_
		.amdhsa_group_segment_fixed_size 0
		.amdhsa_private_segment_fixed_size 0
		.amdhsa_kernarg_size 120
		.amdhsa_user_sgpr_count 15
		.amdhsa_user_sgpr_dispatch_ptr 0
		.amdhsa_user_sgpr_queue_ptr 0
		.amdhsa_user_sgpr_kernarg_segment_ptr 1
		.amdhsa_user_sgpr_dispatch_id 0
		.amdhsa_user_sgpr_private_segment_size 0
		.amdhsa_wavefront_size32 1
		.amdhsa_uses_dynamic_stack 0
		.amdhsa_enable_private_segment 0
		.amdhsa_system_sgpr_workgroup_id_x 1
		.amdhsa_system_sgpr_workgroup_id_y 0
		.amdhsa_system_sgpr_workgroup_id_z 0
		.amdhsa_system_sgpr_workgroup_info 0
		.amdhsa_system_vgpr_workitem_id 0
		.amdhsa_next_free_vgpr 1
		.amdhsa_next_free_sgpr 1
		.amdhsa_reserve_vcc 0
		.amdhsa_float_round_mode_32 0
		.amdhsa_float_round_mode_16_64 0
		.amdhsa_float_denorm_mode_32 3
		.amdhsa_float_denorm_mode_16_64 3
		.amdhsa_dx10_clamp 1
		.amdhsa_ieee_mode 1
		.amdhsa_fp16_overflow 0
		.amdhsa_workgroup_processor_mode 1
		.amdhsa_memory_ordered 1
		.amdhsa_forward_progress 0
		.amdhsa_shared_vgpr_count 0
		.amdhsa_exception_fp_ieee_invalid_op 0
		.amdhsa_exception_fp_denorm_src 0
		.amdhsa_exception_fp_ieee_div_zero 0
		.amdhsa_exception_fp_ieee_overflow 0
		.amdhsa_exception_fp_ieee_underflow 0
		.amdhsa_exception_fp_ieee_inexact 0
		.amdhsa_exception_int_div_zero 0
	.end_amdhsa_kernel
	.section	.text._ZN7rocprim17ROCPRIM_400000_NS6detail17trampoline_kernelINS0_14default_configENS1_29reduce_by_key_config_selectorIffN6thrust23THRUST_200600_302600_NS4plusIfEEEEZZNS1_33reduce_by_key_impl_wrapped_configILNS1_25lookback_scan_determinismE1ES3_S9_NS6_6detail15normal_iteratorINS6_10device_ptrIfEEEESG_SG_SG_PmS8_22is_equal_div_10_reduceIfEEE10hipError_tPvRmT2_T3_mT4_T5_T6_T7_T8_P12ihipStream_tbENKUlT_T0_E_clISt17integral_constantIbLb0EES10_IbLb1EEEEDaSW_SX_EUlSW_E_NS1_11comp_targetILNS1_3genE0ELNS1_11target_archE4294967295ELNS1_3gpuE0ELNS1_3repE0EEENS1_30default_config_static_selectorELNS0_4arch9wavefront6targetE0EEEvT1_,"axG",@progbits,_ZN7rocprim17ROCPRIM_400000_NS6detail17trampoline_kernelINS0_14default_configENS1_29reduce_by_key_config_selectorIffN6thrust23THRUST_200600_302600_NS4plusIfEEEEZZNS1_33reduce_by_key_impl_wrapped_configILNS1_25lookback_scan_determinismE1ES3_S9_NS6_6detail15normal_iteratorINS6_10device_ptrIfEEEESG_SG_SG_PmS8_22is_equal_div_10_reduceIfEEE10hipError_tPvRmT2_T3_mT4_T5_T6_T7_T8_P12ihipStream_tbENKUlT_T0_E_clISt17integral_constantIbLb0EES10_IbLb1EEEEDaSW_SX_EUlSW_E_NS1_11comp_targetILNS1_3genE0ELNS1_11target_archE4294967295ELNS1_3gpuE0ELNS1_3repE0EEENS1_30default_config_static_selectorELNS0_4arch9wavefront6targetE0EEEvT1_,comdat
.Lfunc_end155:
	.size	_ZN7rocprim17ROCPRIM_400000_NS6detail17trampoline_kernelINS0_14default_configENS1_29reduce_by_key_config_selectorIffN6thrust23THRUST_200600_302600_NS4plusIfEEEEZZNS1_33reduce_by_key_impl_wrapped_configILNS1_25lookback_scan_determinismE1ES3_S9_NS6_6detail15normal_iteratorINS6_10device_ptrIfEEEESG_SG_SG_PmS8_22is_equal_div_10_reduceIfEEE10hipError_tPvRmT2_T3_mT4_T5_T6_T7_T8_P12ihipStream_tbENKUlT_T0_E_clISt17integral_constantIbLb0EES10_IbLb1EEEEDaSW_SX_EUlSW_E_NS1_11comp_targetILNS1_3genE0ELNS1_11target_archE4294967295ELNS1_3gpuE0ELNS1_3repE0EEENS1_30default_config_static_selectorELNS0_4arch9wavefront6targetE0EEEvT1_, .Lfunc_end155-_ZN7rocprim17ROCPRIM_400000_NS6detail17trampoline_kernelINS0_14default_configENS1_29reduce_by_key_config_selectorIffN6thrust23THRUST_200600_302600_NS4plusIfEEEEZZNS1_33reduce_by_key_impl_wrapped_configILNS1_25lookback_scan_determinismE1ES3_S9_NS6_6detail15normal_iteratorINS6_10device_ptrIfEEEESG_SG_SG_PmS8_22is_equal_div_10_reduceIfEEE10hipError_tPvRmT2_T3_mT4_T5_T6_T7_T8_P12ihipStream_tbENKUlT_T0_E_clISt17integral_constantIbLb0EES10_IbLb1EEEEDaSW_SX_EUlSW_E_NS1_11comp_targetILNS1_3genE0ELNS1_11target_archE4294967295ELNS1_3gpuE0ELNS1_3repE0EEENS1_30default_config_static_selectorELNS0_4arch9wavefront6targetE0EEEvT1_
                                        ; -- End function
	.section	.AMDGPU.csdata,"",@progbits
; Kernel info:
; codeLenInByte = 0
; NumSgprs: 0
; NumVgprs: 0
; ScratchSize: 0
; MemoryBound: 0
; FloatMode: 240
; IeeeMode: 1
; LDSByteSize: 0 bytes/workgroup (compile time only)
; SGPRBlocks: 0
; VGPRBlocks: 0
; NumSGPRsForWavesPerEU: 1
; NumVGPRsForWavesPerEU: 1
; Occupancy: 16
; WaveLimiterHint : 0
; COMPUTE_PGM_RSRC2:SCRATCH_EN: 0
; COMPUTE_PGM_RSRC2:USER_SGPR: 15
; COMPUTE_PGM_RSRC2:TRAP_HANDLER: 0
; COMPUTE_PGM_RSRC2:TGID_X_EN: 1
; COMPUTE_PGM_RSRC2:TGID_Y_EN: 0
; COMPUTE_PGM_RSRC2:TGID_Z_EN: 0
; COMPUTE_PGM_RSRC2:TIDIG_COMP_CNT: 0
	.section	.text._ZN7rocprim17ROCPRIM_400000_NS6detail17trampoline_kernelINS0_14default_configENS1_29reduce_by_key_config_selectorIffN6thrust23THRUST_200600_302600_NS4plusIfEEEEZZNS1_33reduce_by_key_impl_wrapped_configILNS1_25lookback_scan_determinismE1ES3_S9_NS6_6detail15normal_iteratorINS6_10device_ptrIfEEEESG_SG_SG_PmS8_22is_equal_div_10_reduceIfEEE10hipError_tPvRmT2_T3_mT4_T5_T6_T7_T8_P12ihipStream_tbENKUlT_T0_E_clISt17integral_constantIbLb0EES10_IbLb1EEEEDaSW_SX_EUlSW_E_NS1_11comp_targetILNS1_3genE5ELNS1_11target_archE942ELNS1_3gpuE9ELNS1_3repE0EEENS1_30default_config_static_selectorELNS0_4arch9wavefront6targetE0EEEvT1_,"axG",@progbits,_ZN7rocprim17ROCPRIM_400000_NS6detail17trampoline_kernelINS0_14default_configENS1_29reduce_by_key_config_selectorIffN6thrust23THRUST_200600_302600_NS4plusIfEEEEZZNS1_33reduce_by_key_impl_wrapped_configILNS1_25lookback_scan_determinismE1ES3_S9_NS6_6detail15normal_iteratorINS6_10device_ptrIfEEEESG_SG_SG_PmS8_22is_equal_div_10_reduceIfEEE10hipError_tPvRmT2_T3_mT4_T5_T6_T7_T8_P12ihipStream_tbENKUlT_T0_E_clISt17integral_constantIbLb0EES10_IbLb1EEEEDaSW_SX_EUlSW_E_NS1_11comp_targetILNS1_3genE5ELNS1_11target_archE942ELNS1_3gpuE9ELNS1_3repE0EEENS1_30default_config_static_selectorELNS0_4arch9wavefront6targetE0EEEvT1_,comdat
	.protected	_ZN7rocprim17ROCPRIM_400000_NS6detail17trampoline_kernelINS0_14default_configENS1_29reduce_by_key_config_selectorIffN6thrust23THRUST_200600_302600_NS4plusIfEEEEZZNS1_33reduce_by_key_impl_wrapped_configILNS1_25lookback_scan_determinismE1ES3_S9_NS6_6detail15normal_iteratorINS6_10device_ptrIfEEEESG_SG_SG_PmS8_22is_equal_div_10_reduceIfEEE10hipError_tPvRmT2_T3_mT4_T5_T6_T7_T8_P12ihipStream_tbENKUlT_T0_E_clISt17integral_constantIbLb0EES10_IbLb1EEEEDaSW_SX_EUlSW_E_NS1_11comp_targetILNS1_3genE5ELNS1_11target_archE942ELNS1_3gpuE9ELNS1_3repE0EEENS1_30default_config_static_selectorELNS0_4arch9wavefront6targetE0EEEvT1_ ; -- Begin function _ZN7rocprim17ROCPRIM_400000_NS6detail17trampoline_kernelINS0_14default_configENS1_29reduce_by_key_config_selectorIffN6thrust23THRUST_200600_302600_NS4plusIfEEEEZZNS1_33reduce_by_key_impl_wrapped_configILNS1_25lookback_scan_determinismE1ES3_S9_NS6_6detail15normal_iteratorINS6_10device_ptrIfEEEESG_SG_SG_PmS8_22is_equal_div_10_reduceIfEEE10hipError_tPvRmT2_T3_mT4_T5_T6_T7_T8_P12ihipStream_tbENKUlT_T0_E_clISt17integral_constantIbLb0EES10_IbLb1EEEEDaSW_SX_EUlSW_E_NS1_11comp_targetILNS1_3genE5ELNS1_11target_archE942ELNS1_3gpuE9ELNS1_3repE0EEENS1_30default_config_static_selectorELNS0_4arch9wavefront6targetE0EEEvT1_
	.globl	_ZN7rocprim17ROCPRIM_400000_NS6detail17trampoline_kernelINS0_14default_configENS1_29reduce_by_key_config_selectorIffN6thrust23THRUST_200600_302600_NS4plusIfEEEEZZNS1_33reduce_by_key_impl_wrapped_configILNS1_25lookback_scan_determinismE1ES3_S9_NS6_6detail15normal_iteratorINS6_10device_ptrIfEEEESG_SG_SG_PmS8_22is_equal_div_10_reduceIfEEE10hipError_tPvRmT2_T3_mT4_T5_T6_T7_T8_P12ihipStream_tbENKUlT_T0_E_clISt17integral_constantIbLb0EES10_IbLb1EEEEDaSW_SX_EUlSW_E_NS1_11comp_targetILNS1_3genE5ELNS1_11target_archE942ELNS1_3gpuE9ELNS1_3repE0EEENS1_30default_config_static_selectorELNS0_4arch9wavefront6targetE0EEEvT1_
	.p2align	8
	.type	_ZN7rocprim17ROCPRIM_400000_NS6detail17trampoline_kernelINS0_14default_configENS1_29reduce_by_key_config_selectorIffN6thrust23THRUST_200600_302600_NS4plusIfEEEEZZNS1_33reduce_by_key_impl_wrapped_configILNS1_25lookback_scan_determinismE1ES3_S9_NS6_6detail15normal_iteratorINS6_10device_ptrIfEEEESG_SG_SG_PmS8_22is_equal_div_10_reduceIfEEE10hipError_tPvRmT2_T3_mT4_T5_T6_T7_T8_P12ihipStream_tbENKUlT_T0_E_clISt17integral_constantIbLb0EES10_IbLb1EEEEDaSW_SX_EUlSW_E_NS1_11comp_targetILNS1_3genE5ELNS1_11target_archE942ELNS1_3gpuE9ELNS1_3repE0EEENS1_30default_config_static_selectorELNS0_4arch9wavefront6targetE0EEEvT1_,@function
_ZN7rocprim17ROCPRIM_400000_NS6detail17trampoline_kernelINS0_14default_configENS1_29reduce_by_key_config_selectorIffN6thrust23THRUST_200600_302600_NS4plusIfEEEEZZNS1_33reduce_by_key_impl_wrapped_configILNS1_25lookback_scan_determinismE1ES3_S9_NS6_6detail15normal_iteratorINS6_10device_ptrIfEEEESG_SG_SG_PmS8_22is_equal_div_10_reduceIfEEE10hipError_tPvRmT2_T3_mT4_T5_T6_T7_T8_P12ihipStream_tbENKUlT_T0_E_clISt17integral_constantIbLb0EES10_IbLb1EEEEDaSW_SX_EUlSW_E_NS1_11comp_targetILNS1_3genE5ELNS1_11target_archE942ELNS1_3gpuE9ELNS1_3repE0EEENS1_30default_config_static_selectorELNS0_4arch9wavefront6targetE0EEEvT1_: ; @_ZN7rocprim17ROCPRIM_400000_NS6detail17trampoline_kernelINS0_14default_configENS1_29reduce_by_key_config_selectorIffN6thrust23THRUST_200600_302600_NS4plusIfEEEEZZNS1_33reduce_by_key_impl_wrapped_configILNS1_25lookback_scan_determinismE1ES3_S9_NS6_6detail15normal_iteratorINS6_10device_ptrIfEEEESG_SG_SG_PmS8_22is_equal_div_10_reduceIfEEE10hipError_tPvRmT2_T3_mT4_T5_T6_T7_T8_P12ihipStream_tbENKUlT_T0_E_clISt17integral_constantIbLb0EES10_IbLb1EEEEDaSW_SX_EUlSW_E_NS1_11comp_targetILNS1_3genE5ELNS1_11target_archE942ELNS1_3gpuE9ELNS1_3repE0EEENS1_30default_config_static_selectorELNS0_4arch9wavefront6targetE0EEEvT1_
; %bb.0:
	.section	.rodata,"a",@progbits
	.p2align	6, 0x0
	.amdhsa_kernel _ZN7rocprim17ROCPRIM_400000_NS6detail17trampoline_kernelINS0_14default_configENS1_29reduce_by_key_config_selectorIffN6thrust23THRUST_200600_302600_NS4plusIfEEEEZZNS1_33reduce_by_key_impl_wrapped_configILNS1_25lookback_scan_determinismE1ES3_S9_NS6_6detail15normal_iteratorINS6_10device_ptrIfEEEESG_SG_SG_PmS8_22is_equal_div_10_reduceIfEEE10hipError_tPvRmT2_T3_mT4_T5_T6_T7_T8_P12ihipStream_tbENKUlT_T0_E_clISt17integral_constantIbLb0EES10_IbLb1EEEEDaSW_SX_EUlSW_E_NS1_11comp_targetILNS1_3genE5ELNS1_11target_archE942ELNS1_3gpuE9ELNS1_3repE0EEENS1_30default_config_static_selectorELNS0_4arch9wavefront6targetE0EEEvT1_
		.amdhsa_group_segment_fixed_size 0
		.amdhsa_private_segment_fixed_size 0
		.amdhsa_kernarg_size 120
		.amdhsa_user_sgpr_count 15
		.amdhsa_user_sgpr_dispatch_ptr 0
		.amdhsa_user_sgpr_queue_ptr 0
		.amdhsa_user_sgpr_kernarg_segment_ptr 1
		.amdhsa_user_sgpr_dispatch_id 0
		.amdhsa_user_sgpr_private_segment_size 0
		.amdhsa_wavefront_size32 1
		.amdhsa_uses_dynamic_stack 0
		.amdhsa_enable_private_segment 0
		.amdhsa_system_sgpr_workgroup_id_x 1
		.amdhsa_system_sgpr_workgroup_id_y 0
		.amdhsa_system_sgpr_workgroup_id_z 0
		.amdhsa_system_sgpr_workgroup_info 0
		.amdhsa_system_vgpr_workitem_id 0
		.amdhsa_next_free_vgpr 1
		.amdhsa_next_free_sgpr 1
		.amdhsa_reserve_vcc 0
		.amdhsa_float_round_mode_32 0
		.amdhsa_float_round_mode_16_64 0
		.amdhsa_float_denorm_mode_32 3
		.amdhsa_float_denorm_mode_16_64 3
		.amdhsa_dx10_clamp 1
		.amdhsa_ieee_mode 1
		.amdhsa_fp16_overflow 0
		.amdhsa_workgroup_processor_mode 1
		.amdhsa_memory_ordered 1
		.amdhsa_forward_progress 0
		.amdhsa_shared_vgpr_count 0
		.amdhsa_exception_fp_ieee_invalid_op 0
		.amdhsa_exception_fp_denorm_src 0
		.amdhsa_exception_fp_ieee_div_zero 0
		.amdhsa_exception_fp_ieee_overflow 0
		.amdhsa_exception_fp_ieee_underflow 0
		.amdhsa_exception_fp_ieee_inexact 0
		.amdhsa_exception_int_div_zero 0
	.end_amdhsa_kernel
	.section	.text._ZN7rocprim17ROCPRIM_400000_NS6detail17trampoline_kernelINS0_14default_configENS1_29reduce_by_key_config_selectorIffN6thrust23THRUST_200600_302600_NS4plusIfEEEEZZNS1_33reduce_by_key_impl_wrapped_configILNS1_25lookback_scan_determinismE1ES3_S9_NS6_6detail15normal_iteratorINS6_10device_ptrIfEEEESG_SG_SG_PmS8_22is_equal_div_10_reduceIfEEE10hipError_tPvRmT2_T3_mT4_T5_T6_T7_T8_P12ihipStream_tbENKUlT_T0_E_clISt17integral_constantIbLb0EES10_IbLb1EEEEDaSW_SX_EUlSW_E_NS1_11comp_targetILNS1_3genE5ELNS1_11target_archE942ELNS1_3gpuE9ELNS1_3repE0EEENS1_30default_config_static_selectorELNS0_4arch9wavefront6targetE0EEEvT1_,"axG",@progbits,_ZN7rocprim17ROCPRIM_400000_NS6detail17trampoline_kernelINS0_14default_configENS1_29reduce_by_key_config_selectorIffN6thrust23THRUST_200600_302600_NS4plusIfEEEEZZNS1_33reduce_by_key_impl_wrapped_configILNS1_25lookback_scan_determinismE1ES3_S9_NS6_6detail15normal_iteratorINS6_10device_ptrIfEEEESG_SG_SG_PmS8_22is_equal_div_10_reduceIfEEE10hipError_tPvRmT2_T3_mT4_T5_T6_T7_T8_P12ihipStream_tbENKUlT_T0_E_clISt17integral_constantIbLb0EES10_IbLb1EEEEDaSW_SX_EUlSW_E_NS1_11comp_targetILNS1_3genE5ELNS1_11target_archE942ELNS1_3gpuE9ELNS1_3repE0EEENS1_30default_config_static_selectorELNS0_4arch9wavefront6targetE0EEEvT1_,comdat
.Lfunc_end156:
	.size	_ZN7rocprim17ROCPRIM_400000_NS6detail17trampoline_kernelINS0_14default_configENS1_29reduce_by_key_config_selectorIffN6thrust23THRUST_200600_302600_NS4plusIfEEEEZZNS1_33reduce_by_key_impl_wrapped_configILNS1_25lookback_scan_determinismE1ES3_S9_NS6_6detail15normal_iteratorINS6_10device_ptrIfEEEESG_SG_SG_PmS8_22is_equal_div_10_reduceIfEEE10hipError_tPvRmT2_T3_mT4_T5_T6_T7_T8_P12ihipStream_tbENKUlT_T0_E_clISt17integral_constantIbLb0EES10_IbLb1EEEEDaSW_SX_EUlSW_E_NS1_11comp_targetILNS1_3genE5ELNS1_11target_archE942ELNS1_3gpuE9ELNS1_3repE0EEENS1_30default_config_static_selectorELNS0_4arch9wavefront6targetE0EEEvT1_, .Lfunc_end156-_ZN7rocprim17ROCPRIM_400000_NS6detail17trampoline_kernelINS0_14default_configENS1_29reduce_by_key_config_selectorIffN6thrust23THRUST_200600_302600_NS4plusIfEEEEZZNS1_33reduce_by_key_impl_wrapped_configILNS1_25lookback_scan_determinismE1ES3_S9_NS6_6detail15normal_iteratorINS6_10device_ptrIfEEEESG_SG_SG_PmS8_22is_equal_div_10_reduceIfEEE10hipError_tPvRmT2_T3_mT4_T5_T6_T7_T8_P12ihipStream_tbENKUlT_T0_E_clISt17integral_constantIbLb0EES10_IbLb1EEEEDaSW_SX_EUlSW_E_NS1_11comp_targetILNS1_3genE5ELNS1_11target_archE942ELNS1_3gpuE9ELNS1_3repE0EEENS1_30default_config_static_selectorELNS0_4arch9wavefront6targetE0EEEvT1_
                                        ; -- End function
	.section	.AMDGPU.csdata,"",@progbits
; Kernel info:
; codeLenInByte = 0
; NumSgprs: 0
; NumVgprs: 0
; ScratchSize: 0
; MemoryBound: 0
; FloatMode: 240
; IeeeMode: 1
; LDSByteSize: 0 bytes/workgroup (compile time only)
; SGPRBlocks: 0
; VGPRBlocks: 0
; NumSGPRsForWavesPerEU: 1
; NumVGPRsForWavesPerEU: 1
; Occupancy: 16
; WaveLimiterHint : 0
; COMPUTE_PGM_RSRC2:SCRATCH_EN: 0
; COMPUTE_PGM_RSRC2:USER_SGPR: 15
; COMPUTE_PGM_RSRC2:TRAP_HANDLER: 0
; COMPUTE_PGM_RSRC2:TGID_X_EN: 1
; COMPUTE_PGM_RSRC2:TGID_Y_EN: 0
; COMPUTE_PGM_RSRC2:TGID_Z_EN: 0
; COMPUTE_PGM_RSRC2:TIDIG_COMP_CNT: 0
	.section	.text._ZN7rocprim17ROCPRIM_400000_NS6detail17trampoline_kernelINS0_14default_configENS1_29reduce_by_key_config_selectorIffN6thrust23THRUST_200600_302600_NS4plusIfEEEEZZNS1_33reduce_by_key_impl_wrapped_configILNS1_25lookback_scan_determinismE1ES3_S9_NS6_6detail15normal_iteratorINS6_10device_ptrIfEEEESG_SG_SG_PmS8_22is_equal_div_10_reduceIfEEE10hipError_tPvRmT2_T3_mT4_T5_T6_T7_T8_P12ihipStream_tbENKUlT_T0_E_clISt17integral_constantIbLb0EES10_IbLb1EEEEDaSW_SX_EUlSW_E_NS1_11comp_targetILNS1_3genE4ELNS1_11target_archE910ELNS1_3gpuE8ELNS1_3repE0EEENS1_30default_config_static_selectorELNS0_4arch9wavefront6targetE0EEEvT1_,"axG",@progbits,_ZN7rocprim17ROCPRIM_400000_NS6detail17trampoline_kernelINS0_14default_configENS1_29reduce_by_key_config_selectorIffN6thrust23THRUST_200600_302600_NS4plusIfEEEEZZNS1_33reduce_by_key_impl_wrapped_configILNS1_25lookback_scan_determinismE1ES3_S9_NS6_6detail15normal_iteratorINS6_10device_ptrIfEEEESG_SG_SG_PmS8_22is_equal_div_10_reduceIfEEE10hipError_tPvRmT2_T3_mT4_T5_T6_T7_T8_P12ihipStream_tbENKUlT_T0_E_clISt17integral_constantIbLb0EES10_IbLb1EEEEDaSW_SX_EUlSW_E_NS1_11comp_targetILNS1_3genE4ELNS1_11target_archE910ELNS1_3gpuE8ELNS1_3repE0EEENS1_30default_config_static_selectorELNS0_4arch9wavefront6targetE0EEEvT1_,comdat
	.protected	_ZN7rocprim17ROCPRIM_400000_NS6detail17trampoline_kernelINS0_14default_configENS1_29reduce_by_key_config_selectorIffN6thrust23THRUST_200600_302600_NS4plusIfEEEEZZNS1_33reduce_by_key_impl_wrapped_configILNS1_25lookback_scan_determinismE1ES3_S9_NS6_6detail15normal_iteratorINS6_10device_ptrIfEEEESG_SG_SG_PmS8_22is_equal_div_10_reduceIfEEE10hipError_tPvRmT2_T3_mT4_T5_T6_T7_T8_P12ihipStream_tbENKUlT_T0_E_clISt17integral_constantIbLb0EES10_IbLb1EEEEDaSW_SX_EUlSW_E_NS1_11comp_targetILNS1_3genE4ELNS1_11target_archE910ELNS1_3gpuE8ELNS1_3repE0EEENS1_30default_config_static_selectorELNS0_4arch9wavefront6targetE0EEEvT1_ ; -- Begin function _ZN7rocprim17ROCPRIM_400000_NS6detail17trampoline_kernelINS0_14default_configENS1_29reduce_by_key_config_selectorIffN6thrust23THRUST_200600_302600_NS4plusIfEEEEZZNS1_33reduce_by_key_impl_wrapped_configILNS1_25lookback_scan_determinismE1ES3_S9_NS6_6detail15normal_iteratorINS6_10device_ptrIfEEEESG_SG_SG_PmS8_22is_equal_div_10_reduceIfEEE10hipError_tPvRmT2_T3_mT4_T5_T6_T7_T8_P12ihipStream_tbENKUlT_T0_E_clISt17integral_constantIbLb0EES10_IbLb1EEEEDaSW_SX_EUlSW_E_NS1_11comp_targetILNS1_3genE4ELNS1_11target_archE910ELNS1_3gpuE8ELNS1_3repE0EEENS1_30default_config_static_selectorELNS0_4arch9wavefront6targetE0EEEvT1_
	.globl	_ZN7rocprim17ROCPRIM_400000_NS6detail17trampoline_kernelINS0_14default_configENS1_29reduce_by_key_config_selectorIffN6thrust23THRUST_200600_302600_NS4plusIfEEEEZZNS1_33reduce_by_key_impl_wrapped_configILNS1_25lookback_scan_determinismE1ES3_S9_NS6_6detail15normal_iteratorINS6_10device_ptrIfEEEESG_SG_SG_PmS8_22is_equal_div_10_reduceIfEEE10hipError_tPvRmT2_T3_mT4_T5_T6_T7_T8_P12ihipStream_tbENKUlT_T0_E_clISt17integral_constantIbLb0EES10_IbLb1EEEEDaSW_SX_EUlSW_E_NS1_11comp_targetILNS1_3genE4ELNS1_11target_archE910ELNS1_3gpuE8ELNS1_3repE0EEENS1_30default_config_static_selectorELNS0_4arch9wavefront6targetE0EEEvT1_
	.p2align	8
	.type	_ZN7rocprim17ROCPRIM_400000_NS6detail17trampoline_kernelINS0_14default_configENS1_29reduce_by_key_config_selectorIffN6thrust23THRUST_200600_302600_NS4plusIfEEEEZZNS1_33reduce_by_key_impl_wrapped_configILNS1_25lookback_scan_determinismE1ES3_S9_NS6_6detail15normal_iteratorINS6_10device_ptrIfEEEESG_SG_SG_PmS8_22is_equal_div_10_reduceIfEEE10hipError_tPvRmT2_T3_mT4_T5_T6_T7_T8_P12ihipStream_tbENKUlT_T0_E_clISt17integral_constantIbLb0EES10_IbLb1EEEEDaSW_SX_EUlSW_E_NS1_11comp_targetILNS1_3genE4ELNS1_11target_archE910ELNS1_3gpuE8ELNS1_3repE0EEENS1_30default_config_static_selectorELNS0_4arch9wavefront6targetE0EEEvT1_,@function
_ZN7rocprim17ROCPRIM_400000_NS6detail17trampoline_kernelINS0_14default_configENS1_29reduce_by_key_config_selectorIffN6thrust23THRUST_200600_302600_NS4plusIfEEEEZZNS1_33reduce_by_key_impl_wrapped_configILNS1_25lookback_scan_determinismE1ES3_S9_NS6_6detail15normal_iteratorINS6_10device_ptrIfEEEESG_SG_SG_PmS8_22is_equal_div_10_reduceIfEEE10hipError_tPvRmT2_T3_mT4_T5_T6_T7_T8_P12ihipStream_tbENKUlT_T0_E_clISt17integral_constantIbLb0EES10_IbLb1EEEEDaSW_SX_EUlSW_E_NS1_11comp_targetILNS1_3genE4ELNS1_11target_archE910ELNS1_3gpuE8ELNS1_3repE0EEENS1_30default_config_static_selectorELNS0_4arch9wavefront6targetE0EEEvT1_: ; @_ZN7rocprim17ROCPRIM_400000_NS6detail17trampoline_kernelINS0_14default_configENS1_29reduce_by_key_config_selectorIffN6thrust23THRUST_200600_302600_NS4plusIfEEEEZZNS1_33reduce_by_key_impl_wrapped_configILNS1_25lookback_scan_determinismE1ES3_S9_NS6_6detail15normal_iteratorINS6_10device_ptrIfEEEESG_SG_SG_PmS8_22is_equal_div_10_reduceIfEEE10hipError_tPvRmT2_T3_mT4_T5_T6_T7_T8_P12ihipStream_tbENKUlT_T0_E_clISt17integral_constantIbLb0EES10_IbLb1EEEEDaSW_SX_EUlSW_E_NS1_11comp_targetILNS1_3genE4ELNS1_11target_archE910ELNS1_3gpuE8ELNS1_3repE0EEENS1_30default_config_static_selectorELNS0_4arch9wavefront6targetE0EEEvT1_
; %bb.0:
	.section	.rodata,"a",@progbits
	.p2align	6, 0x0
	.amdhsa_kernel _ZN7rocprim17ROCPRIM_400000_NS6detail17trampoline_kernelINS0_14default_configENS1_29reduce_by_key_config_selectorIffN6thrust23THRUST_200600_302600_NS4plusIfEEEEZZNS1_33reduce_by_key_impl_wrapped_configILNS1_25lookback_scan_determinismE1ES3_S9_NS6_6detail15normal_iteratorINS6_10device_ptrIfEEEESG_SG_SG_PmS8_22is_equal_div_10_reduceIfEEE10hipError_tPvRmT2_T3_mT4_T5_T6_T7_T8_P12ihipStream_tbENKUlT_T0_E_clISt17integral_constantIbLb0EES10_IbLb1EEEEDaSW_SX_EUlSW_E_NS1_11comp_targetILNS1_3genE4ELNS1_11target_archE910ELNS1_3gpuE8ELNS1_3repE0EEENS1_30default_config_static_selectorELNS0_4arch9wavefront6targetE0EEEvT1_
		.amdhsa_group_segment_fixed_size 0
		.amdhsa_private_segment_fixed_size 0
		.amdhsa_kernarg_size 120
		.amdhsa_user_sgpr_count 15
		.amdhsa_user_sgpr_dispatch_ptr 0
		.amdhsa_user_sgpr_queue_ptr 0
		.amdhsa_user_sgpr_kernarg_segment_ptr 1
		.amdhsa_user_sgpr_dispatch_id 0
		.amdhsa_user_sgpr_private_segment_size 0
		.amdhsa_wavefront_size32 1
		.amdhsa_uses_dynamic_stack 0
		.amdhsa_enable_private_segment 0
		.amdhsa_system_sgpr_workgroup_id_x 1
		.amdhsa_system_sgpr_workgroup_id_y 0
		.amdhsa_system_sgpr_workgroup_id_z 0
		.amdhsa_system_sgpr_workgroup_info 0
		.amdhsa_system_vgpr_workitem_id 0
		.amdhsa_next_free_vgpr 1
		.amdhsa_next_free_sgpr 1
		.amdhsa_reserve_vcc 0
		.amdhsa_float_round_mode_32 0
		.amdhsa_float_round_mode_16_64 0
		.amdhsa_float_denorm_mode_32 3
		.amdhsa_float_denorm_mode_16_64 3
		.amdhsa_dx10_clamp 1
		.amdhsa_ieee_mode 1
		.amdhsa_fp16_overflow 0
		.amdhsa_workgroup_processor_mode 1
		.amdhsa_memory_ordered 1
		.amdhsa_forward_progress 0
		.amdhsa_shared_vgpr_count 0
		.amdhsa_exception_fp_ieee_invalid_op 0
		.amdhsa_exception_fp_denorm_src 0
		.amdhsa_exception_fp_ieee_div_zero 0
		.amdhsa_exception_fp_ieee_overflow 0
		.amdhsa_exception_fp_ieee_underflow 0
		.amdhsa_exception_fp_ieee_inexact 0
		.amdhsa_exception_int_div_zero 0
	.end_amdhsa_kernel
	.section	.text._ZN7rocprim17ROCPRIM_400000_NS6detail17trampoline_kernelINS0_14default_configENS1_29reduce_by_key_config_selectorIffN6thrust23THRUST_200600_302600_NS4plusIfEEEEZZNS1_33reduce_by_key_impl_wrapped_configILNS1_25lookback_scan_determinismE1ES3_S9_NS6_6detail15normal_iteratorINS6_10device_ptrIfEEEESG_SG_SG_PmS8_22is_equal_div_10_reduceIfEEE10hipError_tPvRmT2_T3_mT4_T5_T6_T7_T8_P12ihipStream_tbENKUlT_T0_E_clISt17integral_constantIbLb0EES10_IbLb1EEEEDaSW_SX_EUlSW_E_NS1_11comp_targetILNS1_3genE4ELNS1_11target_archE910ELNS1_3gpuE8ELNS1_3repE0EEENS1_30default_config_static_selectorELNS0_4arch9wavefront6targetE0EEEvT1_,"axG",@progbits,_ZN7rocprim17ROCPRIM_400000_NS6detail17trampoline_kernelINS0_14default_configENS1_29reduce_by_key_config_selectorIffN6thrust23THRUST_200600_302600_NS4plusIfEEEEZZNS1_33reduce_by_key_impl_wrapped_configILNS1_25lookback_scan_determinismE1ES3_S9_NS6_6detail15normal_iteratorINS6_10device_ptrIfEEEESG_SG_SG_PmS8_22is_equal_div_10_reduceIfEEE10hipError_tPvRmT2_T3_mT4_T5_T6_T7_T8_P12ihipStream_tbENKUlT_T0_E_clISt17integral_constantIbLb0EES10_IbLb1EEEEDaSW_SX_EUlSW_E_NS1_11comp_targetILNS1_3genE4ELNS1_11target_archE910ELNS1_3gpuE8ELNS1_3repE0EEENS1_30default_config_static_selectorELNS0_4arch9wavefront6targetE0EEEvT1_,comdat
.Lfunc_end157:
	.size	_ZN7rocprim17ROCPRIM_400000_NS6detail17trampoline_kernelINS0_14default_configENS1_29reduce_by_key_config_selectorIffN6thrust23THRUST_200600_302600_NS4plusIfEEEEZZNS1_33reduce_by_key_impl_wrapped_configILNS1_25lookback_scan_determinismE1ES3_S9_NS6_6detail15normal_iteratorINS6_10device_ptrIfEEEESG_SG_SG_PmS8_22is_equal_div_10_reduceIfEEE10hipError_tPvRmT2_T3_mT4_T5_T6_T7_T8_P12ihipStream_tbENKUlT_T0_E_clISt17integral_constantIbLb0EES10_IbLb1EEEEDaSW_SX_EUlSW_E_NS1_11comp_targetILNS1_3genE4ELNS1_11target_archE910ELNS1_3gpuE8ELNS1_3repE0EEENS1_30default_config_static_selectorELNS0_4arch9wavefront6targetE0EEEvT1_, .Lfunc_end157-_ZN7rocprim17ROCPRIM_400000_NS6detail17trampoline_kernelINS0_14default_configENS1_29reduce_by_key_config_selectorIffN6thrust23THRUST_200600_302600_NS4plusIfEEEEZZNS1_33reduce_by_key_impl_wrapped_configILNS1_25lookback_scan_determinismE1ES3_S9_NS6_6detail15normal_iteratorINS6_10device_ptrIfEEEESG_SG_SG_PmS8_22is_equal_div_10_reduceIfEEE10hipError_tPvRmT2_T3_mT4_T5_T6_T7_T8_P12ihipStream_tbENKUlT_T0_E_clISt17integral_constantIbLb0EES10_IbLb1EEEEDaSW_SX_EUlSW_E_NS1_11comp_targetILNS1_3genE4ELNS1_11target_archE910ELNS1_3gpuE8ELNS1_3repE0EEENS1_30default_config_static_selectorELNS0_4arch9wavefront6targetE0EEEvT1_
                                        ; -- End function
	.section	.AMDGPU.csdata,"",@progbits
; Kernel info:
; codeLenInByte = 0
; NumSgprs: 0
; NumVgprs: 0
; ScratchSize: 0
; MemoryBound: 0
; FloatMode: 240
; IeeeMode: 1
; LDSByteSize: 0 bytes/workgroup (compile time only)
; SGPRBlocks: 0
; VGPRBlocks: 0
; NumSGPRsForWavesPerEU: 1
; NumVGPRsForWavesPerEU: 1
; Occupancy: 16
; WaveLimiterHint : 0
; COMPUTE_PGM_RSRC2:SCRATCH_EN: 0
; COMPUTE_PGM_RSRC2:USER_SGPR: 15
; COMPUTE_PGM_RSRC2:TRAP_HANDLER: 0
; COMPUTE_PGM_RSRC2:TGID_X_EN: 1
; COMPUTE_PGM_RSRC2:TGID_Y_EN: 0
; COMPUTE_PGM_RSRC2:TGID_Z_EN: 0
; COMPUTE_PGM_RSRC2:TIDIG_COMP_CNT: 0
	.section	.text._ZN7rocprim17ROCPRIM_400000_NS6detail17trampoline_kernelINS0_14default_configENS1_29reduce_by_key_config_selectorIffN6thrust23THRUST_200600_302600_NS4plusIfEEEEZZNS1_33reduce_by_key_impl_wrapped_configILNS1_25lookback_scan_determinismE1ES3_S9_NS6_6detail15normal_iteratorINS6_10device_ptrIfEEEESG_SG_SG_PmS8_22is_equal_div_10_reduceIfEEE10hipError_tPvRmT2_T3_mT4_T5_T6_T7_T8_P12ihipStream_tbENKUlT_T0_E_clISt17integral_constantIbLb0EES10_IbLb1EEEEDaSW_SX_EUlSW_E_NS1_11comp_targetILNS1_3genE3ELNS1_11target_archE908ELNS1_3gpuE7ELNS1_3repE0EEENS1_30default_config_static_selectorELNS0_4arch9wavefront6targetE0EEEvT1_,"axG",@progbits,_ZN7rocprim17ROCPRIM_400000_NS6detail17trampoline_kernelINS0_14default_configENS1_29reduce_by_key_config_selectorIffN6thrust23THRUST_200600_302600_NS4plusIfEEEEZZNS1_33reduce_by_key_impl_wrapped_configILNS1_25lookback_scan_determinismE1ES3_S9_NS6_6detail15normal_iteratorINS6_10device_ptrIfEEEESG_SG_SG_PmS8_22is_equal_div_10_reduceIfEEE10hipError_tPvRmT2_T3_mT4_T5_T6_T7_T8_P12ihipStream_tbENKUlT_T0_E_clISt17integral_constantIbLb0EES10_IbLb1EEEEDaSW_SX_EUlSW_E_NS1_11comp_targetILNS1_3genE3ELNS1_11target_archE908ELNS1_3gpuE7ELNS1_3repE0EEENS1_30default_config_static_selectorELNS0_4arch9wavefront6targetE0EEEvT1_,comdat
	.protected	_ZN7rocprim17ROCPRIM_400000_NS6detail17trampoline_kernelINS0_14default_configENS1_29reduce_by_key_config_selectorIffN6thrust23THRUST_200600_302600_NS4plusIfEEEEZZNS1_33reduce_by_key_impl_wrapped_configILNS1_25lookback_scan_determinismE1ES3_S9_NS6_6detail15normal_iteratorINS6_10device_ptrIfEEEESG_SG_SG_PmS8_22is_equal_div_10_reduceIfEEE10hipError_tPvRmT2_T3_mT4_T5_T6_T7_T8_P12ihipStream_tbENKUlT_T0_E_clISt17integral_constantIbLb0EES10_IbLb1EEEEDaSW_SX_EUlSW_E_NS1_11comp_targetILNS1_3genE3ELNS1_11target_archE908ELNS1_3gpuE7ELNS1_3repE0EEENS1_30default_config_static_selectorELNS0_4arch9wavefront6targetE0EEEvT1_ ; -- Begin function _ZN7rocprim17ROCPRIM_400000_NS6detail17trampoline_kernelINS0_14default_configENS1_29reduce_by_key_config_selectorIffN6thrust23THRUST_200600_302600_NS4plusIfEEEEZZNS1_33reduce_by_key_impl_wrapped_configILNS1_25lookback_scan_determinismE1ES3_S9_NS6_6detail15normal_iteratorINS6_10device_ptrIfEEEESG_SG_SG_PmS8_22is_equal_div_10_reduceIfEEE10hipError_tPvRmT2_T3_mT4_T5_T6_T7_T8_P12ihipStream_tbENKUlT_T0_E_clISt17integral_constantIbLb0EES10_IbLb1EEEEDaSW_SX_EUlSW_E_NS1_11comp_targetILNS1_3genE3ELNS1_11target_archE908ELNS1_3gpuE7ELNS1_3repE0EEENS1_30default_config_static_selectorELNS0_4arch9wavefront6targetE0EEEvT1_
	.globl	_ZN7rocprim17ROCPRIM_400000_NS6detail17trampoline_kernelINS0_14default_configENS1_29reduce_by_key_config_selectorIffN6thrust23THRUST_200600_302600_NS4plusIfEEEEZZNS1_33reduce_by_key_impl_wrapped_configILNS1_25lookback_scan_determinismE1ES3_S9_NS6_6detail15normal_iteratorINS6_10device_ptrIfEEEESG_SG_SG_PmS8_22is_equal_div_10_reduceIfEEE10hipError_tPvRmT2_T3_mT4_T5_T6_T7_T8_P12ihipStream_tbENKUlT_T0_E_clISt17integral_constantIbLb0EES10_IbLb1EEEEDaSW_SX_EUlSW_E_NS1_11comp_targetILNS1_3genE3ELNS1_11target_archE908ELNS1_3gpuE7ELNS1_3repE0EEENS1_30default_config_static_selectorELNS0_4arch9wavefront6targetE0EEEvT1_
	.p2align	8
	.type	_ZN7rocprim17ROCPRIM_400000_NS6detail17trampoline_kernelINS0_14default_configENS1_29reduce_by_key_config_selectorIffN6thrust23THRUST_200600_302600_NS4plusIfEEEEZZNS1_33reduce_by_key_impl_wrapped_configILNS1_25lookback_scan_determinismE1ES3_S9_NS6_6detail15normal_iteratorINS6_10device_ptrIfEEEESG_SG_SG_PmS8_22is_equal_div_10_reduceIfEEE10hipError_tPvRmT2_T3_mT4_T5_T6_T7_T8_P12ihipStream_tbENKUlT_T0_E_clISt17integral_constantIbLb0EES10_IbLb1EEEEDaSW_SX_EUlSW_E_NS1_11comp_targetILNS1_3genE3ELNS1_11target_archE908ELNS1_3gpuE7ELNS1_3repE0EEENS1_30default_config_static_selectorELNS0_4arch9wavefront6targetE0EEEvT1_,@function
_ZN7rocprim17ROCPRIM_400000_NS6detail17trampoline_kernelINS0_14default_configENS1_29reduce_by_key_config_selectorIffN6thrust23THRUST_200600_302600_NS4plusIfEEEEZZNS1_33reduce_by_key_impl_wrapped_configILNS1_25lookback_scan_determinismE1ES3_S9_NS6_6detail15normal_iteratorINS6_10device_ptrIfEEEESG_SG_SG_PmS8_22is_equal_div_10_reduceIfEEE10hipError_tPvRmT2_T3_mT4_T5_T6_T7_T8_P12ihipStream_tbENKUlT_T0_E_clISt17integral_constantIbLb0EES10_IbLb1EEEEDaSW_SX_EUlSW_E_NS1_11comp_targetILNS1_3genE3ELNS1_11target_archE908ELNS1_3gpuE7ELNS1_3repE0EEENS1_30default_config_static_selectorELNS0_4arch9wavefront6targetE0EEEvT1_: ; @_ZN7rocprim17ROCPRIM_400000_NS6detail17trampoline_kernelINS0_14default_configENS1_29reduce_by_key_config_selectorIffN6thrust23THRUST_200600_302600_NS4plusIfEEEEZZNS1_33reduce_by_key_impl_wrapped_configILNS1_25lookback_scan_determinismE1ES3_S9_NS6_6detail15normal_iteratorINS6_10device_ptrIfEEEESG_SG_SG_PmS8_22is_equal_div_10_reduceIfEEE10hipError_tPvRmT2_T3_mT4_T5_T6_T7_T8_P12ihipStream_tbENKUlT_T0_E_clISt17integral_constantIbLb0EES10_IbLb1EEEEDaSW_SX_EUlSW_E_NS1_11comp_targetILNS1_3genE3ELNS1_11target_archE908ELNS1_3gpuE7ELNS1_3repE0EEENS1_30default_config_static_selectorELNS0_4arch9wavefront6targetE0EEEvT1_
; %bb.0:
	.section	.rodata,"a",@progbits
	.p2align	6, 0x0
	.amdhsa_kernel _ZN7rocprim17ROCPRIM_400000_NS6detail17trampoline_kernelINS0_14default_configENS1_29reduce_by_key_config_selectorIffN6thrust23THRUST_200600_302600_NS4plusIfEEEEZZNS1_33reduce_by_key_impl_wrapped_configILNS1_25lookback_scan_determinismE1ES3_S9_NS6_6detail15normal_iteratorINS6_10device_ptrIfEEEESG_SG_SG_PmS8_22is_equal_div_10_reduceIfEEE10hipError_tPvRmT2_T3_mT4_T5_T6_T7_T8_P12ihipStream_tbENKUlT_T0_E_clISt17integral_constantIbLb0EES10_IbLb1EEEEDaSW_SX_EUlSW_E_NS1_11comp_targetILNS1_3genE3ELNS1_11target_archE908ELNS1_3gpuE7ELNS1_3repE0EEENS1_30default_config_static_selectorELNS0_4arch9wavefront6targetE0EEEvT1_
		.amdhsa_group_segment_fixed_size 0
		.amdhsa_private_segment_fixed_size 0
		.amdhsa_kernarg_size 120
		.amdhsa_user_sgpr_count 15
		.amdhsa_user_sgpr_dispatch_ptr 0
		.amdhsa_user_sgpr_queue_ptr 0
		.amdhsa_user_sgpr_kernarg_segment_ptr 1
		.amdhsa_user_sgpr_dispatch_id 0
		.amdhsa_user_sgpr_private_segment_size 0
		.amdhsa_wavefront_size32 1
		.amdhsa_uses_dynamic_stack 0
		.amdhsa_enable_private_segment 0
		.amdhsa_system_sgpr_workgroup_id_x 1
		.amdhsa_system_sgpr_workgroup_id_y 0
		.amdhsa_system_sgpr_workgroup_id_z 0
		.amdhsa_system_sgpr_workgroup_info 0
		.amdhsa_system_vgpr_workitem_id 0
		.amdhsa_next_free_vgpr 1
		.amdhsa_next_free_sgpr 1
		.amdhsa_reserve_vcc 0
		.amdhsa_float_round_mode_32 0
		.amdhsa_float_round_mode_16_64 0
		.amdhsa_float_denorm_mode_32 3
		.amdhsa_float_denorm_mode_16_64 3
		.amdhsa_dx10_clamp 1
		.amdhsa_ieee_mode 1
		.amdhsa_fp16_overflow 0
		.amdhsa_workgroup_processor_mode 1
		.amdhsa_memory_ordered 1
		.amdhsa_forward_progress 0
		.amdhsa_shared_vgpr_count 0
		.amdhsa_exception_fp_ieee_invalid_op 0
		.amdhsa_exception_fp_denorm_src 0
		.amdhsa_exception_fp_ieee_div_zero 0
		.amdhsa_exception_fp_ieee_overflow 0
		.amdhsa_exception_fp_ieee_underflow 0
		.amdhsa_exception_fp_ieee_inexact 0
		.amdhsa_exception_int_div_zero 0
	.end_amdhsa_kernel
	.section	.text._ZN7rocprim17ROCPRIM_400000_NS6detail17trampoline_kernelINS0_14default_configENS1_29reduce_by_key_config_selectorIffN6thrust23THRUST_200600_302600_NS4plusIfEEEEZZNS1_33reduce_by_key_impl_wrapped_configILNS1_25lookback_scan_determinismE1ES3_S9_NS6_6detail15normal_iteratorINS6_10device_ptrIfEEEESG_SG_SG_PmS8_22is_equal_div_10_reduceIfEEE10hipError_tPvRmT2_T3_mT4_T5_T6_T7_T8_P12ihipStream_tbENKUlT_T0_E_clISt17integral_constantIbLb0EES10_IbLb1EEEEDaSW_SX_EUlSW_E_NS1_11comp_targetILNS1_3genE3ELNS1_11target_archE908ELNS1_3gpuE7ELNS1_3repE0EEENS1_30default_config_static_selectorELNS0_4arch9wavefront6targetE0EEEvT1_,"axG",@progbits,_ZN7rocprim17ROCPRIM_400000_NS6detail17trampoline_kernelINS0_14default_configENS1_29reduce_by_key_config_selectorIffN6thrust23THRUST_200600_302600_NS4plusIfEEEEZZNS1_33reduce_by_key_impl_wrapped_configILNS1_25lookback_scan_determinismE1ES3_S9_NS6_6detail15normal_iteratorINS6_10device_ptrIfEEEESG_SG_SG_PmS8_22is_equal_div_10_reduceIfEEE10hipError_tPvRmT2_T3_mT4_T5_T6_T7_T8_P12ihipStream_tbENKUlT_T0_E_clISt17integral_constantIbLb0EES10_IbLb1EEEEDaSW_SX_EUlSW_E_NS1_11comp_targetILNS1_3genE3ELNS1_11target_archE908ELNS1_3gpuE7ELNS1_3repE0EEENS1_30default_config_static_selectorELNS0_4arch9wavefront6targetE0EEEvT1_,comdat
.Lfunc_end158:
	.size	_ZN7rocprim17ROCPRIM_400000_NS6detail17trampoline_kernelINS0_14default_configENS1_29reduce_by_key_config_selectorIffN6thrust23THRUST_200600_302600_NS4plusIfEEEEZZNS1_33reduce_by_key_impl_wrapped_configILNS1_25lookback_scan_determinismE1ES3_S9_NS6_6detail15normal_iteratorINS6_10device_ptrIfEEEESG_SG_SG_PmS8_22is_equal_div_10_reduceIfEEE10hipError_tPvRmT2_T3_mT4_T5_T6_T7_T8_P12ihipStream_tbENKUlT_T0_E_clISt17integral_constantIbLb0EES10_IbLb1EEEEDaSW_SX_EUlSW_E_NS1_11comp_targetILNS1_3genE3ELNS1_11target_archE908ELNS1_3gpuE7ELNS1_3repE0EEENS1_30default_config_static_selectorELNS0_4arch9wavefront6targetE0EEEvT1_, .Lfunc_end158-_ZN7rocprim17ROCPRIM_400000_NS6detail17trampoline_kernelINS0_14default_configENS1_29reduce_by_key_config_selectorIffN6thrust23THRUST_200600_302600_NS4plusIfEEEEZZNS1_33reduce_by_key_impl_wrapped_configILNS1_25lookback_scan_determinismE1ES3_S9_NS6_6detail15normal_iteratorINS6_10device_ptrIfEEEESG_SG_SG_PmS8_22is_equal_div_10_reduceIfEEE10hipError_tPvRmT2_T3_mT4_T5_T6_T7_T8_P12ihipStream_tbENKUlT_T0_E_clISt17integral_constantIbLb0EES10_IbLb1EEEEDaSW_SX_EUlSW_E_NS1_11comp_targetILNS1_3genE3ELNS1_11target_archE908ELNS1_3gpuE7ELNS1_3repE0EEENS1_30default_config_static_selectorELNS0_4arch9wavefront6targetE0EEEvT1_
                                        ; -- End function
	.section	.AMDGPU.csdata,"",@progbits
; Kernel info:
; codeLenInByte = 0
; NumSgprs: 0
; NumVgprs: 0
; ScratchSize: 0
; MemoryBound: 0
; FloatMode: 240
; IeeeMode: 1
; LDSByteSize: 0 bytes/workgroup (compile time only)
; SGPRBlocks: 0
; VGPRBlocks: 0
; NumSGPRsForWavesPerEU: 1
; NumVGPRsForWavesPerEU: 1
; Occupancy: 16
; WaveLimiterHint : 0
; COMPUTE_PGM_RSRC2:SCRATCH_EN: 0
; COMPUTE_PGM_RSRC2:USER_SGPR: 15
; COMPUTE_PGM_RSRC2:TRAP_HANDLER: 0
; COMPUTE_PGM_RSRC2:TGID_X_EN: 1
; COMPUTE_PGM_RSRC2:TGID_Y_EN: 0
; COMPUTE_PGM_RSRC2:TGID_Z_EN: 0
; COMPUTE_PGM_RSRC2:TIDIG_COMP_CNT: 0
	.section	.text._ZN7rocprim17ROCPRIM_400000_NS6detail17trampoline_kernelINS0_14default_configENS1_29reduce_by_key_config_selectorIffN6thrust23THRUST_200600_302600_NS4plusIfEEEEZZNS1_33reduce_by_key_impl_wrapped_configILNS1_25lookback_scan_determinismE1ES3_S9_NS6_6detail15normal_iteratorINS6_10device_ptrIfEEEESG_SG_SG_PmS8_22is_equal_div_10_reduceIfEEE10hipError_tPvRmT2_T3_mT4_T5_T6_T7_T8_P12ihipStream_tbENKUlT_T0_E_clISt17integral_constantIbLb0EES10_IbLb1EEEEDaSW_SX_EUlSW_E_NS1_11comp_targetILNS1_3genE2ELNS1_11target_archE906ELNS1_3gpuE6ELNS1_3repE0EEENS1_30default_config_static_selectorELNS0_4arch9wavefront6targetE0EEEvT1_,"axG",@progbits,_ZN7rocprim17ROCPRIM_400000_NS6detail17trampoline_kernelINS0_14default_configENS1_29reduce_by_key_config_selectorIffN6thrust23THRUST_200600_302600_NS4plusIfEEEEZZNS1_33reduce_by_key_impl_wrapped_configILNS1_25lookback_scan_determinismE1ES3_S9_NS6_6detail15normal_iteratorINS6_10device_ptrIfEEEESG_SG_SG_PmS8_22is_equal_div_10_reduceIfEEE10hipError_tPvRmT2_T3_mT4_T5_T6_T7_T8_P12ihipStream_tbENKUlT_T0_E_clISt17integral_constantIbLb0EES10_IbLb1EEEEDaSW_SX_EUlSW_E_NS1_11comp_targetILNS1_3genE2ELNS1_11target_archE906ELNS1_3gpuE6ELNS1_3repE0EEENS1_30default_config_static_selectorELNS0_4arch9wavefront6targetE0EEEvT1_,comdat
	.protected	_ZN7rocprim17ROCPRIM_400000_NS6detail17trampoline_kernelINS0_14default_configENS1_29reduce_by_key_config_selectorIffN6thrust23THRUST_200600_302600_NS4plusIfEEEEZZNS1_33reduce_by_key_impl_wrapped_configILNS1_25lookback_scan_determinismE1ES3_S9_NS6_6detail15normal_iteratorINS6_10device_ptrIfEEEESG_SG_SG_PmS8_22is_equal_div_10_reduceIfEEE10hipError_tPvRmT2_T3_mT4_T5_T6_T7_T8_P12ihipStream_tbENKUlT_T0_E_clISt17integral_constantIbLb0EES10_IbLb1EEEEDaSW_SX_EUlSW_E_NS1_11comp_targetILNS1_3genE2ELNS1_11target_archE906ELNS1_3gpuE6ELNS1_3repE0EEENS1_30default_config_static_selectorELNS0_4arch9wavefront6targetE0EEEvT1_ ; -- Begin function _ZN7rocprim17ROCPRIM_400000_NS6detail17trampoline_kernelINS0_14default_configENS1_29reduce_by_key_config_selectorIffN6thrust23THRUST_200600_302600_NS4plusIfEEEEZZNS1_33reduce_by_key_impl_wrapped_configILNS1_25lookback_scan_determinismE1ES3_S9_NS6_6detail15normal_iteratorINS6_10device_ptrIfEEEESG_SG_SG_PmS8_22is_equal_div_10_reduceIfEEE10hipError_tPvRmT2_T3_mT4_T5_T6_T7_T8_P12ihipStream_tbENKUlT_T0_E_clISt17integral_constantIbLb0EES10_IbLb1EEEEDaSW_SX_EUlSW_E_NS1_11comp_targetILNS1_3genE2ELNS1_11target_archE906ELNS1_3gpuE6ELNS1_3repE0EEENS1_30default_config_static_selectorELNS0_4arch9wavefront6targetE0EEEvT1_
	.globl	_ZN7rocprim17ROCPRIM_400000_NS6detail17trampoline_kernelINS0_14default_configENS1_29reduce_by_key_config_selectorIffN6thrust23THRUST_200600_302600_NS4plusIfEEEEZZNS1_33reduce_by_key_impl_wrapped_configILNS1_25lookback_scan_determinismE1ES3_S9_NS6_6detail15normal_iteratorINS6_10device_ptrIfEEEESG_SG_SG_PmS8_22is_equal_div_10_reduceIfEEE10hipError_tPvRmT2_T3_mT4_T5_T6_T7_T8_P12ihipStream_tbENKUlT_T0_E_clISt17integral_constantIbLb0EES10_IbLb1EEEEDaSW_SX_EUlSW_E_NS1_11comp_targetILNS1_3genE2ELNS1_11target_archE906ELNS1_3gpuE6ELNS1_3repE0EEENS1_30default_config_static_selectorELNS0_4arch9wavefront6targetE0EEEvT1_
	.p2align	8
	.type	_ZN7rocprim17ROCPRIM_400000_NS6detail17trampoline_kernelINS0_14default_configENS1_29reduce_by_key_config_selectorIffN6thrust23THRUST_200600_302600_NS4plusIfEEEEZZNS1_33reduce_by_key_impl_wrapped_configILNS1_25lookback_scan_determinismE1ES3_S9_NS6_6detail15normal_iteratorINS6_10device_ptrIfEEEESG_SG_SG_PmS8_22is_equal_div_10_reduceIfEEE10hipError_tPvRmT2_T3_mT4_T5_T6_T7_T8_P12ihipStream_tbENKUlT_T0_E_clISt17integral_constantIbLb0EES10_IbLb1EEEEDaSW_SX_EUlSW_E_NS1_11comp_targetILNS1_3genE2ELNS1_11target_archE906ELNS1_3gpuE6ELNS1_3repE0EEENS1_30default_config_static_selectorELNS0_4arch9wavefront6targetE0EEEvT1_,@function
_ZN7rocprim17ROCPRIM_400000_NS6detail17trampoline_kernelINS0_14default_configENS1_29reduce_by_key_config_selectorIffN6thrust23THRUST_200600_302600_NS4plusIfEEEEZZNS1_33reduce_by_key_impl_wrapped_configILNS1_25lookback_scan_determinismE1ES3_S9_NS6_6detail15normal_iteratorINS6_10device_ptrIfEEEESG_SG_SG_PmS8_22is_equal_div_10_reduceIfEEE10hipError_tPvRmT2_T3_mT4_T5_T6_T7_T8_P12ihipStream_tbENKUlT_T0_E_clISt17integral_constantIbLb0EES10_IbLb1EEEEDaSW_SX_EUlSW_E_NS1_11comp_targetILNS1_3genE2ELNS1_11target_archE906ELNS1_3gpuE6ELNS1_3repE0EEENS1_30default_config_static_selectorELNS0_4arch9wavefront6targetE0EEEvT1_: ; @_ZN7rocprim17ROCPRIM_400000_NS6detail17trampoline_kernelINS0_14default_configENS1_29reduce_by_key_config_selectorIffN6thrust23THRUST_200600_302600_NS4plusIfEEEEZZNS1_33reduce_by_key_impl_wrapped_configILNS1_25lookback_scan_determinismE1ES3_S9_NS6_6detail15normal_iteratorINS6_10device_ptrIfEEEESG_SG_SG_PmS8_22is_equal_div_10_reduceIfEEE10hipError_tPvRmT2_T3_mT4_T5_T6_T7_T8_P12ihipStream_tbENKUlT_T0_E_clISt17integral_constantIbLb0EES10_IbLb1EEEEDaSW_SX_EUlSW_E_NS1_11comp_targetILNS1_3genE2ELNS1_11target_archE906ELNS1_3gpuE6ELNS1_3repE0EEENS1_30default_config_static_selectorELNS0_4arch9wavefront6targetE0EEEvT1_
; %bb.0:
	.section	.rodata,"a",@progbits
	.p2align	6, 0x0
	.amdhsa_kernel _ZN7rocprim17ROCPRIM_400000_NS6detail17trampoline_kernelINS0_14default_configENS1_29reduce_by_key_config_selectorIffN6thrust23THRUST_200600_302600_NS4plusIfEEEEZZNS1_33reduce_by_key_impl_wrapped_configILNS1_25lookback_scan_determinismE1ES3_S9_NS6_6detail15normal_iteratorINS6_10device_ptrIfEEEESG_SG_SG_PmS8_22is_equal_div_10_reduceIfEEE10hipError_tPvRmT2_T3_mT4_T5_T6_T7_T8_P12ihipStream_tbENKUlT_T0_E_clISt17integral_constantIbLb0EES10_IbLb1EEEEDaSW_SX_EUlSW_E_NS1_11comp_targetILNS1_3genE2ELNS1_11target_archE906ELNS1_3gpuE6ELNS1_3repE0EEENS1_30default_config_static_selectorELNS0_4arch9wavefront6targetE0EEEvT1_
		.amdhsa_group_segment_fixed_size 0
		.amdhsa_private_segment_fixed_size 0
		.amdhsa_kernarg_size 120
		.amdhsa_user_sgpr_count 15
		.amdhsa_user_sgpr_dispatch_ptr 0
		.amdhsa_user_sgpr_queue_ptr 0
		.amdhsa_user_sgpr_kernarg_segment_ptr 1
		.amdhsa_user_sgpr_dispatch_id 0
		.amdhsa_user_sgpr_private_segment_size 0
		.amdhsa_wavefront_size32 1
		.amdhsa_uses_dynamic_stack 0
		.amdhsa_enable_private_segment 0
		.amdhsa_system_sgpr_workgroup_id_x 1
		.amdhsa_system_sgpr_workgroup_id_y 0
		.amdhsa_system_sgpr_workgroup_id_z 0
		.amdhsa_system_sgpr_workgroup_info 0
		.amdhsa_system_vgpr_workitem_id 0
		.amdhsa_next_free_vgpr 1
		.amdhsa_next_free_sgpr 1
		.amdhsa_reserve_vcc 0
		.amdhsa_float_round_mode_32 0
		.amdhsa_float_round_mode_16_64 0
		.amdhsa_float_denorm_mode_32 3
		.amdhsa_float_denorm_mode_16_64 3
		.amdhsa_dx10_clamp 1
		.amdhsa_ieee_mode 1
		.amdhsa_fp16_overflow 0
		.amdhsa_workgroup_processor_mode 1
		.amdhsa_memory_ordered 1
		.amdhsa_forward_progress 0
		.amdhsa_shared_vgpr_count 0
		.amdhsa_exception_fp_ieee_invalid_op 0
		.amdhsa_exception_fp_denorm_src 0
		.amdhsa_exception_fp_ieee_div_zero 0
		.amdhsa_exception_fp_ieee_overflow 0
		.amdhsa_exception_fp_ieee_underflow 0
		.amdhsa_exception_fp_ieee_inexact 0
		.amdhsa_exception_int_div_zero 0
	.end_amdhsa_kernel
	.section	.text._ZN7rocprim17ROCPRIM_400000_NS6detail17trampoline_kernelINS0_14default_configENS1_29reduce_by_key_config_selectorIffN6thrust23THRUST_200600_302600_NS4plusIfEEEEZZNS1_33reduce_by_key_impl_wrapped_configILNS1_25lookback_scan_determinismE1ES3_S9_NS6_6detail15normal_iteratorINS6_10device_ptrIfEEEESG_SG_SG_PmS8_22is_equal_div_10_reduceIfEEE10hipError_tPvRmT2_T3_mT4_T5_T6_T7_T8_P12ihipStream_tbENKUlT_T0_E_clISt17integral_constantIbLb0EES10_IbLb1EEEEDaSW_SX_EUlSW_E_NS1_11comp_targetILNS1_3genE2ELNS1_11target_archE906ELNS1_3gpuE6ELNS1_3repE0EEENS1_30default_config_static_selectorELNS0_4arch9wavefront6targetE0EEEvT1_,"axG",@progbits,_ZN7rocprim17ROCPRIM_400000_NS6detail17trampoline_kernelINS0_14default_configENS1_29reduce_by_key_config_selectorIffN6thrust23THRUST_200600_302600_NS4plusIfEEEEZZNS1_33reduce_by_key_impl_wrapped_configILNS1_25lookback_scan_determinismE1ES3_S9_NS6_6detail15normal_iteratorINS6_10device_ptrIfEEEESG_SG_SG_PmS8_22is_equal_div_10_reduceIfEEE10hipError_tPvRmT2_T3_mT4_T5_T6_T7_T8_P12ihipStream_tbENKUlT_T0_E_clISt17integral_constantIbLb0EES10_IbLb1EEEEDaSW_SX_EUlSW_E_NS1_11comp_targetILNS1_3genE2ELNS1_11target_archE906ELNS1_3gpuE6ELNS1_3repE0EEENS1_30default_config_static_selectorELNS0_4arch9wavefront6targetE0EEEvT1_,comdat
.Lfunc_end159:
	.size	_ZN7rocprim17ROCPRIM_400000_NS6detail17trampoline_kernelINS0_14default_configENS1_29reduce_by_key_config_selectorIffN6thrust23THRUST_200600_302600_NS4plusIfEEEEZZNS1_33reduce_by_key_impl_wrapped_configILNS1_25lookback_scan_determinismE1ES3_S9_NS6_6detail15normal_iteratorINS6_10device_ptrIfEEEESG_SG_SG_PmS8_22is_equal_div_10_reduceIfEEE10hipError_tPvRmT2_T3_mT4_T5_T6_T7_T8_P12ihipStream_tbENKUlT_T0_E_clISt17integral_constantIbLb0EES10_IbLb1EEEEDaSW_SX_EUlSW_E_NS1_11comp_targetILNS1_3genE2ELNS1_11target_archE906ELNS1_3gpuE6ELNS1_3repE0EEENS1_30default_config_static_selectorELNS0_4arch9wavefront6targetE0EEEvT1_, .Lfunc_end159-_ZN7rocprim17ROCPRIM_400000_NS6detail17trampoline_kernelINS0_14default_configENS1_29reduce_by_key_config_selectorIffN6thrust23THRUST_200600_302600_NS4plusIfEEEEZZNS1_33reduce_by_key_impl_wrapped_configILNS1_25lookback_scan_determinismE1ES3_S9_NS6_6detail15normal_iteratorINS6_10device_ptrIfEEEESG_SG_SG_PmS8_22is_equal_div_10_reduceIfEEE10hipError_tPvRmT2_T3_mT4_T5_T6_T7_T8_P12ihipStream_tbENKUlT_T0_E_clISt17integral_constantIbLb0EES10_IbLb1EEEEDaSW_SX_EUlSW_E_NS1_11comp_targetILNS1_3genE2ELNS1_11target_archE906ELNS1_3gpuE6ELNS1_3repE0EEENS1_30default_config_static_selectorELNS0_4arch9wavefront6targetE0EEEvT1_
                                        ; -- End function
	.section	.AMDGPU.csdata,"",@progbits
; Kernel info:
; codeLenInByte = 0
; NumSgprs: 0
; NumVgprs: 0
; ScratchSize: 0
; MemoryBound: 0
; FloatMode: 240
; IeeeMode: 1
; LDSByteSize: 0 bytes/workgroup (compile time only)
; SGPRBlocks: 0
; VGPRBlocks: 0
; NumSGPRsForWavesPerEU: 1
; NumVGPRsForWavesPerEU: 1
; Occupancy: 16
; WaveLimiterHint : 0
; COMPUTE_PGM_RSRC2:SCRATCH_EN: 0
; COMPUTE_PGM_RSRC2:USER_SGPR: 15
; COMPUTE_PGM_RSRC2:TRAP_HANDLER: 0
; COMPUTE_PGM_RSRC2:TGID_X_EN: 1
; COMPUTE_PGM_RSRC2:TGID_Y_EN: 0
; COMPUTE_PGM_RSRC2:TGID_Z_EN: 0
; COMPUTE_PGM_RSRC2:TIDIG_COMP_CNT: 0
	.section	.text._ZN7rocprim17ROCPRIM_400000_NS6detail17trampoline_kernelINS0_14default_configENS1_29reduce_by_key_config_selectorIffN6thrust23THRUST_200600_302600_NS4plusIfEEEEZZNS1_33reduce_by_key_impl_wrapped_configILNS1_25lookback_scan_determinismE1ES3_S9_NS6_6detail15normal_iteratorINS6_10device_ptrIfEEEESG_SG_SG_PmS8_22is_equal_div_10_reduceIfEEE10hipError_tPvRmT2_T3_mT4_T5_T6_T7_T8_P12ihipStream_tbENKUlT_T0_E_clISt17integral_constantIbLb0EES10_IbLb1EEEEDaSW_SX_EUlSW_E_NS1_11comp_targetILNS1_3genE10ELNS1_11target_archE1201ELNS1_3gpuE5ELNS1_3repE0EEENS1_30default_config_static_selectorELNS0_4arch9wavefront6targetE0EEEvT1_,"axG",@progbits,_ZN7rocprim17ROCPRIM_400000_NS6detail17trampoline_kernelINS0_14default_configENS1_29reduce_by_key_config_selectorIffN6thrust23THRUST_200600_302600_NS4plusIfEEEEZZNS1_33reduce_by_key_impl_wrapped_configILNS1_25lookback_scan_determinismE1ES3_S9_NS6_6detail15normal_iteratorINS6_10device_ptrIfEEEESG_SG_SG_PmS8_22is_equal_div_10_reduceIfEEE10hipError_tPvRmT2_T3_mT4_T5_T6_T7_T8_P12ihipStream_tbENKUlT_T0_E_clISt17integral_constantIbLb0EES10_IbLb1EEEEDaSW_SX_EUlSW_E_NS1_11comp_targetILNS1_3genE10ELNS1_11target_archE1201ELNS1_3gpuE5ELNS1_3repE0EEENS1_30default_config_static_selectorELNS0_4arch9wavefront6targetE0EEEvT1_,comdat
	.protected	_ZN7rocprim17ROCPRIM_400000_NS6detail17trampoline_kernelINS0_14default_configENS1_29reduce_by_key_config_selectorIffN6thrust23THRUST_200600_302600_NS4plusIfEEEEZZNS1_33reduce_by_key_impl_wrapped_configILNS1_25lookback_scan_determinismE1ES3_S9_NS6_6detail15normal_iteratorINS6_10device_ptrIfEEEESG_SG_SG_PmS8_22is_equal_div_10_reduceIfEEE10hipError_tPvRmT2_T3_mT4_T5_T6_T7_T8_P12ihipStream_tbENKUlT_T0_E_clISt17integral_constantIbLb0EES10_IbLb1EEEEDaSW_SX_EUlSW_E_NS1_11comp_targetILNS1_3genE10ELNS1_11target_archE1201ELNS1_3gpuE5ELNS1_3repE0EEENS1_30default_config_static_selectorELNS0_4arch9wavefront6targetE0EEEvT1_ ; -- Begin function _ZN7rocprim17ROCPRIM_400000_NS6detail17trampoline_kernelINS0_14default_configENS1_29reduce_by_key_config_selectorIffN6thrust23THRUST_200600_302600_NS4plusIfEEEEZZNS1_33reduce_by_key_impl_wrapped_configILNS1_25lookback_scan_determinismE1ES3_S9_NS6_6detail15normal_iteratorINS6_10device_ptrIfEEEESG_SG_SG_PmS8_22is_equal_div_10_reduceIfEEE10hipError_tPvRmT2_T3_mT4_T5_T6_T7_T8_P12ihipStream_tbENKUlT_T0_E_clISt17integral_constantIbLb0EES10_IbLb1EEEEDaSW_SX_EUlSW_E_NS1_11comp_targetILNS1_3genE10ELNS1_11target_archE1201ELNS1_3gpuE5ELNS1_3repE0EEENS1_30default_config_static_selectorELNS0_4arch9wavefront6targetE0EEEvT1_
	.globl	_ZN7rocprim17ROCPRIM_400000_NS6detail17trampoline_kernelINS0_14default_configENS1_29reduce_by_key_config_selectorIffN6thrust23THRUST_200600_302600_NS4plusIfEEEEZZNS1_33reduce_by_key_impl_wrapped_configILNS1_25lookback_scan_determinismE1ES3_S9_NS6_6detail15normal_iteratorINS6_10device_ptrIfEEEESG_SG_SG_PmS8_22is_equal_div_10_reduceIfEEE10hipError_tPvRmT2_T3_mT4_T5_T6_T7_T8_P12ihipStream_tbENKUlT_T0_E_clISt17integral_constantIbLb0EES10_IbLb1EEEEDaSW_SX_EUlSW_E_NS1_11comp_targetILNS1_3genE10ELNS1_11target_archE1201ELNS1_3gpuE5ELNS1_3repE0EEENS1_30default_config_static_selectorELNS0_4arch9wavefront6targetE0EEEvT1_
	.p2align	8
	.type	_ZN7rocprim17ROCPRIM_400000_NS6detail17trampoline_kernelINS0_14default_configENS1_29reduce_by_key_config_selectorIffN6thrust23THRUST_200600_302600_NS4plusIfEEEEZZNS1_33reduce_by_key_impl_wrapped_configILNS1_25lookback_scan_determinismE1ES3_S9_NS6_6detail15normal_iteratorINS6_10device_ptrIfEEEESG_SG_SG_PmS8_22is_equal_div_10_reduceIfEEE10hipError_tPvRmT2_T3_mT4_T5_T6_T7_T8_P12ihipStream_tbENKUlT_T0_E_clISt17integral_constantIbLb0EES10_IbLb1EEEEDaSW_SX_EUlSW_E_NS1_11comp_targetILNS1_3genE10ELNS1_11target_archE1201ELNS1_3gpuE5ELNS1_3repE0EEENS1_30default_config_static_selectorELNS0_4arch9wavefront6targetE0EEEvT1_,@function
_ZN7rocprim17ROCPRIM_400000_NS6detail17trampoline_kernelINS0_14default_configENS1_29reduce_by_key_config_selectorIffN6thrust23THRUST_200600_302600_NS4plusIfEEEEZZNS1_33reduce_by_key_impl_wrapped_configILNS1_25lookback_scan_determinismE1ES3_S9_NS6_6detail15normal_iteratorINS6_10device_ptrIfEEEESG_SG_SG_PmS8_22is_equal_div_10_reduceIfEEE10hipError_tPvRmT2_T3_mT4_T5_T6_T7_T8_P12ihipStream_tbENKUlT_T0_E_clISt17integral_constantIbLb0EES10_IbLb1EEEEDaSW_SX_EUlSW_E_NS1_11comp_targetILNS1_3genE10ELNS1_11target_archE1201ELNS1_3gpuE5ELNS1_3repE0EEENS1_30default_config_static_selectorELNS0_4arch9wavefront6targetE0EEEvT1_: ; @_ZN7rocprim17ROCPRIM_400000_NS6detail17trampoline_kernelINS0_14default_configENS1_29reduce_by_key_config_selectorIffN6thrust23THRUST_200600_302600_NS4plusIfEEEEZZNS1_33reduce_by_key_impl_wrapped_configILNS1_25lookback_scan_determinismE1ES3_S9_NS6_6detail15normal_iteratorINS6_10device_ptrIfEEEESG_SG_SG_PmS8_22is_equal_div_10_reduceIfEEE10hipError_tPvRmT2_T3_mT4_T5_T6_T7_T8_P12ihipStream_tbENKUlT_T0_E_clISt17integral_constantIbLb0EES10_IbLb1EEEEDaSW_SX_EUlSW_E_NS1_11comp_targetILNS1_3genE10ELNS1_11target_archE1201ELNS1_3gpuE5ELNS1_3repE0EEENS1_30default_config_static_selectorELNS0_4arch9wavefront6targetE0EEEvT1_
; %bb.0:
	.section	.rodata,"a",@progbits
	.p2align	6, 0x0
	.amdhsa_kernel _ZN7rocprim17ROCPRIM_400000_NS6detail17trampoline_kernelINS0_14default_configENS1_29reduce_by_key_config_selectorIffN6thrust23THRUST_200600_302600_NS4plusIfEEEEZZNS1_33reduce_by_key_impl_wrapped_configILNS1_25lookback_scan_determinismE1ES3_S9_NS6_6detail15normal_iteratorINS6_10device_ptrIfEEEESG_SG_SG_PmS8_22is_equal_div_10_reduceIfEEE10hipError_tPvRmT2_T3_mT4_T5_T6_T7_T8_P12ihipStream_tbENKUlT_T0_E_clISt17integral_constantIbLb0EES10_IbLb1EEEEDaSW_SX_EUlSW_E_NS1_11comp_targetILNS1_3genE10ELNS1_11target_archE1201ELNS1_3gpuE5ELNS1_3repE0EEENS1_30default_config_static_selectorELNS0_4arch9wavefront6targetE0EEEvT1_
		.amdhsa_group_segment_fixed_size 0
		.amdhsa_private_segment_fixed_size 0
		.amdhsa_kernarg_size 120
		.amdhsa_user_sgpr_count 15
		.amdhsa_user_sgpr_dispatch_ptr 0
		.amdhsa_user_sgpr_queue_ptr 0
		.amdhsa_user_sgpr_kernarg_segment_ptr 1
		.amdhsa_user_sgpr_dispatch_id 0
		.amdhsa_user_sgpr_private_segment_size 0
		.amdhsa_wavefront_size32 1
		.amdhsa_uses_dynamic_stack 0
		.amdhsa_enable_private_segment 0
		.amdhsa_system_sgpr_workgroup_id_x 1
		.amdhsa_system_sgpr_workgroup_id_y 0
		.amdhsa_system_sgpr_workgroup_id_z 0
		.amdhsa_system_sgpr_workgroup_info 0
		.amdhsa_system_vgpr_workitem_id 0
		.amdhsa_next_free_vgpr 1
		.amdhsa_next_free_sgpr 1
		.amdhsa_reserve_vcc 0
		.amdhsa_float_round_mode_32 0
		.amdhsa_float_round_mode_16_64 0
		.amdhsa_float_denorm_mode_32 3
		.amdhsa_float_denorm_mode_16_64 3
		.amdhsa_dx10_clamp 1
		.amdhsa_ieee_mode 1
		.amdhsa_fp16_overflow 0
		.amdhsa_workgroup_processor_mode 1
		.amdhsa_memory_ordered 1
		.amdhsa_forward_progress 0
		.amdhsa_shared_vgpr_count 0
		.amdhsa_exception_fp_ieee_invalid_op 0
		.amdhsa_exception_fp_denorm_src 0
		.amdhsa_exception_fp_ieee_div_zero 0
		.amdhsa_exception_fp_ieee_overflow 0
		.amdhsa_exception_fp_ieee_underflow 0
		.amdhsa_exception_fp_ieee_inexact 0
		.amdhsa_exception_int_div_zero 0
	.end_amdhsa_kernel
	.section	.text._ZN7rocprim17ROCPRIM_400000_NS6detail17trampoline_kernelINS0_14default_configENS1_29reduce_by_key_config_selectorIffN6thrust23THRUST_200600_302600_NS4plusIfEEEEZZNS1_33reduce_by_key_impl_wrapped_configILNS1_25lookback_scan_determinismE1ES3_S9_NS6_6detail15normal_iteratorINS6_10device_ptrIfEEEESG_SG_SG_PmS8_22is_equal_div_10_reduceIfEEE10hipError_tPvRmT2_T3_mT4_T5_T6_T7_T8_P12ihipStream_tbENKUlT_T0_E_clISt17integral_constantIbLb0EES10_IbLb1EEEEDaSW_SX_EUlSW_E_NS1_11comp_targetILNS1_3genE10ELNS1_11target_archE1201ELNS1_3gpuE5ELNS1_3repE0EEENS1_30default_config_static_selectorELNS0_4arch9wavefront6targetE0EEEvT1_,"axG",@progbits,_ZN7rocprim17ROCPRIM_400000_NS6detail17trampoline_kernelINS0_14default_configENS1_29reduce_by_key_config_selectorIffN6thrust23THRUST_200600_302600_NS4plusIfEEEEZZNS1_33reduce_by_key_impl_wrapped_configILNS1_25lookback_scan_determinismE1ES3_S9_NS6_6detail15normal_iteratorINS6_10device_ptrIfEEEESG_SG_SG_PmS8_22is_equal_div_10_reduceIfEEE10hipError_tPvRmT2_T3_mT4_T5_T6_T7_T8_P12ihipStream_tbENKUlT_T0_E_clISt17integral_constantIbLb0EES10_IbLb1EEEEDaSW_SX_EUlSW_E_NS1_11comp_targetILNS1_3genE10ELNS1_11target_archE1201ELNS1_3gpuE5ELNS1_3repE0EEENS1_30default_config_static_selectorELNS0_4arch9wavefront6targetE0EEEvT1_,comdat
.Lfunc_end160:
	.size	_ZN7rocprim17ROCPRIM_400000_NS6detail17trampoline_kernelINS0_14default_configENS1_29reduce_by_key_config_selectorIffN6thrust23THRUST_200600_302600_NS4plusIfEEEEZZNS1_33reduce_by_key_impl_wrapped_configILNS1_25lookback_scan_determinismE1ES3_S9_NS6_6detail15normal_iteratorINS6_10device_ptrIfEEEESG_SG_SG_PmS8_22is_equal_div_10_reduceIfEEE10hipError_tPvRmT2_T3_mT4_T5_T6_T7_T8_P12ihipStream_tbENKUlT_T0_E_clISt17integral_constantIbLb0EES10_IbLb1EEEEDaSW_SX_EUlSW_E_NS1_11comp_targetILNS1_3genE10ELNS1_11target_archE1201ELNS1_3gpuE5ELNS1_3repE0EEENS1_30default_config_static_selectorELNS0_4arch9wavefront6targetE0EEEvT1_, .Lfunc_end160-_ZN7rocprim17ROCPRIM_400000_NS6detail17trampoline_kernelINS0_14default_configENS1_29reduce_by_key_config_selectorIffN6thrust23THRUST_200600_302600_NS4plusIfEEEEZZNS1_33reduce_by_key_impl_wrapped_configILNS1_25lookback_scan_determinismE1ES3_S9_NS6_6detail15normal_iteratorINS6_10device_ptrIfEEEESG_SG_SG_PmS8_22is_equal_div_10_reduceIfEEE10hipError_tPvRmT2_T3_mT4_T5_T6_T7_T8_P12ihipStream_tbENKUlT_T0_E_clISt17integral_constantIbLb0EES10_IbLb1EEEEDaSW_SX_EUlSW_E_NS1_11comp_targetILNS1_3genE10ELNS1_11target_archE1201ELNS1_3gpuE5ELNS1_3repE0EEENS1_30default_config_static_selectorELNS0_4arch9wavefront6targetE0EEEvT1_
                                        ; -- End function
	.section	.AMDGPU.csdata,"",@progbits
; Kernel info:
; codeLenInByte = 0
; NumSgprs: 0
; NumVgprs: 0
; ScratchSize: 0
; MemoryBound: 0
; FloatMode: 240
; IeeeMode: 1
; LDSByteSize: 0 bytes/workgroup (compile time only)
; SGPRBlocks: 0
; VGPRBlocks: 0
; NumSGPRsForWavesPerEU: 1
; NumVGPRsForWavesPerEU: 1
; Occupancy: 16
; WaveLimiterHint : 0
; COMPUTE_PGM_RSRC2:SCRATCH_EN: 0
; COMPUTE_PGM_RSRC2:USER_SGPR: 15
; COMPUTE_PGM_RSRC2:TRAP_HANDLER: 0
; COMPUTE_PGM_RSRC2:TGID_X_EN: 1
; COMPUTE_PGM_RSRC2:TGID_Y_EN: 0
; COMPUTE_PGM_RSRC2:TGID_Z_EN: 0
; COMPUTE_PGM_RSRC2:TIDIG_COMP_CNT: 0
	.section	.text._ZN7rocprim17ROCPRIM_400000_NS6detail17trampoline_kernelINS0_14default_configENS1_29reduce_by_key_config_selectorIffN6thrust23THRUST_200600_302600_NS4plusIfEEEEZZNS1_33reduce_by_key_impl_wrapped_configILNS1_25lookback_scan_determinismE1ES3_S9_NS6_6detail15normal_iteratorINS6_10device_ptrIfEEEESG_SG_SG_PmS8_22is_equal_div_10_reduceIfEEE10hipError_tPvRmT2_T3_mT4_T5_T6_T7_T8_P12ihipStream_tbENKUlT_T0_E_clISt17integral_constantIbLb0EES10_IbLb1EEEEDaSW_SX_EUlSW_E_NS1_11comp_targetILNS1_3genE10ELNS1_11target_archE1200ELNS1_3gpuE4ELNS1_3repE0EEENS1_30default_config_static_selectorELNS0_4arch9wavefront6targetE0EEEvT1_,"axG",@progbits,_ZN7rocprim17ROCPRIM_400000_NS6detail17trampoline_kernelINS0_14default_configENS1_29reduce_by_key_config_selectorIffN6thrust23THRUST_200600_302600_NS4plusIfEEEEZZNS1_33reduce_by_key_impl_wrapped_configILNS1_25lookback_scan_determinismE1ES3_S9_NS6_6detail15normal_iteratorINS6_10device_ptrIfEEEESG_SG_SG_PmS8_22is_equal_div_10_reduceIfEEE10hipError_tPvRmT2_T3_mT4_T5_T6_T7_T8_P12ihipStream_tbENKUlT_T0_E_clISt17integral_constantIbLb0EES10_IbLb1EEEEDaSW_SX_EUlSW_E_NS1_11comp_targetILNS1_3genE10ELNS1_11target_archE1200ELNS1_3gpuE4ELNS1_3repE0EEENS1_30default_config_static_selectorELNS0_4arch9wavefront6targetE0EEEvT1_,comdat
	.protected	_ZN7rocprim17ROCPRIM_400000_NS6detail17trampoline_kernelINS0_14default_configENS1_29reduce_by_key_config_selectorIffN6thrust23THRUST_200600_302600_NS4plusIfEEEEZZNS1_33reduce_by_key_impl_wrapped_configILNS1_25lookback_scan_determinismE1ES3_S9_NS6_6detail15normal_iteratorINS6_10device_ptrIfEEEESG_SG_SG_PmS8_22is_equal_div_10_reduceIfEEE10hipError_tPvRmT2_T3_mT4_T5_T6_T7_T8_P12ihipStream_tbENKUlT_T0_E_clISt17integral_constantIbLb0EES10_IbLb1EEEEDaSW_SX_EUlSW_E_NS1_11comp_targetILNS1_3genE10ELNS1_11target_archE1200ELNS1_3gpuE4ELNS1_3repE0EEENS1_30default_config_static_selectorELNS0_4arch9wavefront6targetE0EEEvT1_ ; -- Begin function _ZN7rocprim17ROCPRIM_400000_NS6detail17trampoline_kernelINS0_14default_configENS1_29reduce_by_key_config_selectorIffN6thrust23THRUST_200600_302600_NS4plusIfEEEEZZNS1_33reduce_by_key_impl_wrapped_configILNS1_25lookback_scan_determinismE1ES3_S9_NS6_6detail15normal_iteratorINS6_10device_ptrIfEEEESG_SG_SG_PmS8_22is_equal_div_10_reduceIfEEE10hipError_tPvRmT2_T3_mT4_T5_T6_T7_T8_P12ihipStream_tbENKUlT_T0_E_clISt17integral_constantIbLb0EES10_IbLb1EEEEDaSW_SX_EUlSW_E_NS1_11comp_targetILNS1_3genE10ELNS1_11target_archE1200ELNS1_3gpuE4ELNS1_3repE0EEENS1_30default_config_static_selectorELNS0_4arch9wavefront6targetE0EEEvT1_
	.globl	_ZN7rocprim17ROCPRIM_400000_NS6detail17trampoline_kernelINS0_14default_configENS1_29reduce_by_key_config_selectorIffN6thrust23THRUST_200600_302600_NS4plusIfEEEEZZNS1_33reduce_by_key_impl_wrapped_configILNS1_25lookback_scan_determinismE1ES3_S9_NS6_6detail15normal_iteratorINS6_10device_ptrIfEEEESG_SG_SG_PmS8_22is_equal_div_10_reduceIfEEE10hipError_tPvRmT2_T3_mT4_T5_T6_T7_T8_P12ihipStream_tbENKUlT_T0_E_clISt17integral_constantIbLb0EES10_IbLb1EEEEDaSW_SX_EUlSW_E_NS1_11comp_targetILNS1_3genE10ELNS1_11target_archE1200ELNS1_3gpuE4ELNS1_3repE0EEENS1_30default_config_static_selectorELNS0_4arch9wavefront6targetE0EEEvT1_
	.p2align	8
	.type	_ZN7rocprim17ROCPRIM_400000_NS6detail17trampoline_kernelINS0_14default_configENS1_29reduce_by_key_config_selectorIffN6thrust23THRUST_200600_302600_NS4plusIfEEEEZZNS1_33reduce_by_key_impl_wrapped_configILNS1_25lookback_scan_determinismE1ES3_S9_NS6_6detail15normal_iteratorINS6_10device_ptrIfEEEESG_SG_SG_PmS8_22is_equal_div_10_reduceIfEEE10hipError_tPvRmT2_T3_mT4_T5_T6_T7_T8_P12ihipStream_tbENKUlT_T0_E_clISt17integral_constantIbLb0EES10_IbLb1EEEEDaSW_SX_EUlSW_E_NS1_11comp_targetILNS1_3genE10ELNS1_11target_archE1200ELNS1_3gpuE4ELNS1_3repE0EEENS1_30default_config_static_selectorELNS0_4arch9wavefront6targetE0EEEvT1_,@function
_ZN7rocprim17ROCPRIM_400000_NS6detail17trampoline_kernelINS0_14default_configENS1_29reduce_by_key_config_selectorIffN6thrust23THRUST_200600_302600_NS4plusIfEEEEZZNS1_33reduce_by_key_impl_wrapped_configILNS1_25lookback_scan_determinismE1ES3_S9_NS6_6detail15normal_iteratorINS6_10device_ptrIfEEEESG_SG_SG_PmS8_22is_equal_div_10_reduceIfEEE10hipError_tPvRmT2_T3_mT4_T5_T6_T7_T8_P12ihipStream_tbENKUlT_T0_E_clISt17integral_constantIbLb0EES10_IbLb1EEEEDaSW_SX_EUlSW_E_NS1_11comp_targetILNS1_3genE10ELNS1_11target_archE1200ELNS1_3gpuE4ELNS1_3repE0EEENS1_30default_config_static_selectorELNS0_4arch9wavefront6targetE0EEEvT1_: ; @_ZN7rocprim17ROCPRIM_400000_NS6detail17trampoline_kernelINS0_14default_configENS1_29reduce_by_key_config_selectorIffN6thrust23THRUST_200600_302600_NS4plusIfEEEEZZNS1_33reduce_by_key_impl_wrapped_configILNS1_25lookback_scan_determinismE1ES3_S9_NS6_6detail15normal_iteratorINS6_10device_ptrIfEEEESG_SG_SG_PmS8_22is_equal_div_10_reduceIfEEE10hipError_tPvRmT2_T3_mT4_T5_T6_T7_T8_P12ihipStream_tbENKUlT_T0_E_clISt17integral_constantIbLb0EES10_IbLb1EEEEDaSW_SX_EUlSW_E_NS1_11comp_targetILNS1_3genE10ELNS1_11target_archE1200ELNS1_3gpuE4ELNS1_3repE0EEENS1_30default_config_static_selectorELNS0_4arch9wavefront6targetE0EEEvT1_
; %bb.0:
	.section	.rodata,"a",@progbits
	.p2align	6, 0x0
	.amdhsa_kernel _ZN7rocprim17ROCPRIM_400000_NS6detail17trampoline_kernelINS0_14default_configENS1_29reduce_by_key_config_selectorIffN6thrust23THRUST_200600_302600_NS4plusIfEEEEZZNS1_33reduce_by_key_impl_wrapped_configILNS1_25lookback_scan_determinismE1ES3_S9_NS6_6detail15normal_iteratorINS6_10device_ptrIfEEEESG_SG_SG_PmS8_22is_equal_div_10_reduceIfEEE10hipError_tPvRmT2_T3_mT4_T5_T6_T7_T8_P12ihipStream_tbENKUlT_T0_E_clISt17integral_constantIbLb0EES10_IbLb1EEEEDaSW_SX_EUlSW_E_NS1_11comp_targetILNS1_3genE10ELNS1_11target_archE1200ELNS1_3gpuE4ELNS1_3repE0EEENS1_30default_config_static_selectorELNS0_4arch9wavefront6targetE0EEEvT1_
		.amdhsa_group_segment_fixed_size 0
		.amdhsa_private_segment_fixed_size 0
		.amdhsa_kernarg_size 120
		.amdhsa_user_sgpr_count 15
		.amdhsa_user_sgpr_dispatch_ptr 0
		.amdhsa_user_sgpr_queue_ptr 0
		.amdhsa_user_sgpr_kernarg_segment_ptr 1
		.amdhsa_user_sgpr_dispatch_id 0
		.amdhsa_user_sgpr_private_segment_size 0
		.amdhsa_wavefront_size32 1
		.amdhsa_uses_dynamic_stack 0
		.amdhsa_enable_private_segment 0
		.amdhsa_system_sgpr_workgroup_id_x 1
		.amdhsa_system_sgpr_workgroup_id_y 0
		.amdhsa_system_sgpr_workgroup_id_z 0
		.amdhsa_system_sgpr_workgroup_info 0
		.amdhsa_system_vgpr_workitem_id 0
		.amdhsa_next_free_vgpr 1
		.amdhsa_next_free_sgpr 1
		.amdhsa_reserve_vcc 0
		.amdhsa_float_round_mode_32 0
		.amdhsa_float_round_mode_16_64 0
		.amdhsa_float_denorm_mode_32 3
		.amdhsa_float_denorm_mode_16_64 3
		.amdhsa_dx10_clamp 1
		.amdhsa_ieee_mode 1
		.amdhsa_fp16_overflow 0
		.amdhsa_workgroup_processor_mode 1
		.amdhsa_memory_ordered 1
		.amdhsa_forward_progress 0
		.amdhsa_shared_vgpr_count 0
		.amdhsa_exception_fp_ieee_invalid_op 0
		.amdhsa_exception_fp_denorm_src 0
		.amdhsa_exception_fp_ieee_div_zero 0
		.amdhsa_exception_fp_ieee_overflow 0
		.amdhsa_exception_fp_ieee_underflow 0
		.amdhsa_exception_fp_ieee_inexact 0
		.amdhsa_exception_int_div_zero 0
	.end_amdhsa_kernel
	.section	.text._ZN7rocprim17ROCPRIM_400000_NS6detail17trampoline_kernelINS0_14default_configENS1_29reduce_by_key_config_selectorIffN6thrust23THRUST_200600_302600_NS4plusIfEEEEZZNS1_33reduce_by_key_impl_wrapped_configILNS1_25lookback_scan_determinismE1ES3_S9_NS6_6detail15normal_iteratorINS6_10device_ptrIfEEEESG_SG_SG_PmS8_22is_equal_div_10_reduceIfEEE10hipError_tPvRmT2_T3_mT4_T5_T6_T7_T8_P12ihipStream_tbENKUlT_T0_E_clISt17integral_constantIbLb0EES10_IbLb1EEEEDaSW_SX_EUlSW_E_NS1_11comp_targetILNS1_3genE10ELNS1_11target_archE1200ELNS1_3gpuE4ELNS1_3repE0EEENS1_30default_config_static_selectorELNS0_4arch9wavefront6targetE0EEEvT1_,"axG",@progbits,_ZN7rocprim17ROCPRIM_400000_NS6detail17trampoline_kernelINS0_14default_configENS1_29reduce_by_key_config_selectorIffN6thrust23THRUST_200600_302600_NS4plusIfEEEEZZNS1_33reduce_by_key_impl_wrapped_configILNS1_25lookback_scan_determinismE1ES3_S9_NS6_6detail15normal_iteratorINS6_10device_ptrIfEEEESG_SG_SG_PmS8_22is_equal_div_10_reduceIfEEE10hipError_tPvRmT2_T3_mT4_T5_T6_T7_T8_P12ihipStream_tbENKUlT_T0_E_clISt17integral_constantIbLb0EES10_IbLb1EEEEDaSW_SX_EUlSW_E_NS1_11comp_targetILNS1_3genE10ELNS1_11target_archE1200ELNS1_3gpuE4ELNS1_3repE0EEENS1_30default_config_static_selectorELNS0_4arch9wavefront6targetE0EEEvT1_,comdat
.Lfunc_end161:
	.size	_ZN7rocprim17ROCPRIM_400000_NS6detail17trampoline_kernelINS0_14default_configENS1_29reduce_by_key_config_selectorIffN6thrust23THRUST_200600_302600_NS4plusIfEEEEZZNS1_33reduce_by_key_impl_wrapped_configILNS1_25lookback_scan_determinismE1ES3_S9_NS6_6detail15normal_iteratorINS6_10device_ptrIfEEEESG_SG_SG_PmS8_22is_equal_div_10_reduceIfEEE10hipError_tPvRmT2_T3_mT4_T5_T6_T7_T8_P12ihipStream_tbENKUlT_T0_E_clISt17integral_constantIbLb0EES10_IbLb1EEEEDaSW_SX_EUlSW_E_NS1_11comp_targetILNS1_3genE10ELNS1_11target_archE1200ELNS1_3gpuE4ELNS1_3repE0EEENS1_30default_config_static_selectorELNS0_4arch9wavefront6targetE0EEEvT1_, .Lfunc_end161-_ZN7rocprim17ROCPRIM_400000_NS6detail17trampoline_kernelINS0_14default_configENS1_29reduce_by_key_config_selectorIffN6thrust23THRUST_200600_302600_NS4plusIfEEEEZZNS1_33reduce_by_key_impl_wrapped_configILNS1_25lookback_scan_determinismE1ES3_S9_NS6_6detail15normal_iteratorINS6_10device_ptrIfEEEESG_SG_SG_PmS8_22is_equal_div_10_reduceIfEEE10hipError_tPvRmT2_T3_mT4_T5_T6_T7_T8_P12ihipStream_tbENKUlT_T0_E_clISt17integral_constantIbLb0EES10_IbLb1EEEEDaSW_SX_EUlSW_E_NS1_11comp_targetILNS1_3genE10ELNS1_11target_archE1200ELNS1_3gpuE4ELNS1_3repE0EEENS1_30default_config_static_selectorELNS0_4arch9wavefront6targetE0EEEvT1_
                                        ; -- End function
	.section	.AMDGPU.csdata,"",@progbits
; Kernel info:
; codeLenInByte = 0
; NumSgprs: 0
; NumVgprs: 0
; ScratchSize: 0
; MemoryBound: 0
; FloatMode: 240
; IeeeMode: 1
; LDSByteSize: 0 bytes/workgroup (compile time only)
; SGPRBlocks: 0
; VGPRBlocks: 0
; NumSGPRsForWavesPerEU: 1
; NumVGPRsForWavesPerEU: 1
; Occupancy: 16
; WaveLimiterHint : 0
; COMPUTE_PGM_RSRC2:SCRATCH_EN: 0
; COMPUTE_PGM_RSRC2:USER_SGPR: 15
; COMPUTE_PGM_RSRC2:TRAP_HANDLER: 0
; COMPUTE_PGM_RSRC2:TGID_X_EN: 1
; COMPUTE_PGM_RSRC2:TGID_Y_EN: 0
; COMPUTE_PGM_RSRC2:TGID_Z_EN: 0
; COMPUTE_PGM_RSRC2:TIDIG_COMP_CNT: 0
	.section	.text._ZN7rocprim17ROCPRIM_400000_NS6detail17trampoline_kernelINS0_14default_configENS1_29reduce_by_key_config_selectorIffN6thrust23THRUST_200600_302600_NS4plusIfEEEEZZNS1_33reduce_by_key_impl_wrapped_configILNS1_25lookback_scan_determinismE1ES3_S9_NS6_6detail15normal_iteratorINS6_10device_ptrIfEEEESG_SG_SG_PmS8_22is_equal_div_10_reduceIfEEE10hipError_tPvRmT2_T3_mT4_T5_T6_T7_T8_P12ihipStream_tbENKUlT_T0_E_clISt17integral_constantIbLb0EES10_IbLb1EEEEDaSW_SX_EUlSW_E_NS1_11comp_targetILNS1_3genE9ELNS1_11target_archE1100ELNS1_3gpuE3ELNS1_3repE0EEENS1_30default_config_static_selectorELNS0_4arch9wavefront6targetE0EEEvT1_,"axG",@progbits,_ZN7rocprim17ROCPRIM_400000_NS6detail17trampoline_kernelINS0_14default_configENS1_29reduce_by_key_config_selectorIffN6thrust23THRUST_200600_302600_NS4plusIfEEEEZZNS1_33reduce_by_key_impl_wrapped_configILNS1_25lookback_scan_determinismE1ES3_S9_NS6_6detail15normal_iteratorINS6_10device_ptrIfEEEESG_SG_SG_PmS8_22is_equal_div_10_reduceIfEEE10hipError_tPvRmT2_T3_mT4_T5_T6_T7_T8_P12ihipStream_tbENKUlT_T0_E_clISt17integral_constantIbLb0EES10_IbLb1EEEEDaSW_SX_EUlSW_E_NS1_11comp_targetILNS1_3genE9ELNS1_11target_archE1100ELNS1_3gpuE3ELNS1_3repE0EEENS1_30default_config_static_selectorELNS0_4arch9wavefront6targetE0EEEvT1_,comdat
	.protected	_ZN7rocprim17ROCPRIM_400000_NS6detail17trampoline_kernelINS0_14default_configENS1_29reduce_by_key_config_selectorIffN6thrust23THRUST_200600_302600_NS4plusIfEEEEZZNS1_33reduce_by_key_impl_wrapped_configILNS1_25lookback_scan_determinismE1ES3_S9_NS6_6detail15normal_iteratorINS6_10device_ptrIfEEEESG_SG_SG_PmS8_22is_equal_div_10_reduceIfEEE10hipError_tPvRmT2_T3_mT4_T5_T6_T7_T8_P12ihipStream_tbENKUlT_T0_E_clISt17integral_constantIbLb0EES10_IbLb1EEEEDaSW_SX_EUlSW_E_NS1_11comp_targetILNS1_3genE9ELNS1_11target_archE1100ELNS1_3gpuE3ELNS1_3repE0EEENS1_30default_config_static_selectorELNS0_4arch9wavefront6targetE0EEEvT1_ ; -- Begin function _ZN7rocprim17ROCPRIM_400000_NS6detail17trampoline_kernelINS0_14default_configENS1_29reduce_by_key_config_selectorIffN6thrust23THRUST_200600_302600_NS4plusIfEEEEZZNS1_33reduce_by_key_impl_wrapped_configILNS1_25lookback_scan_determinismE1ES3_S9_NS6_6detail15normal_iteratorINS6_10device_ptrIfEEEESG_SG_SG_PmS8_22is_equal_div_10_reduceIfEEE10hipError_tPvRmT2_T3_mT4_T5_T6_T7_T8_P12ihipStream_tbENKUlT_T0_E_clISt17integral_constantIbLb0EES10_IbLb1EEEEDaSW_SX_EUlSW_E_NS1_11comp_targetILNS1_3genE9ELNS1_11target_archE1100ELNS1_3gpuE3ELNS1_3repE0EEENS1_30default_config_static_selectorELNS0_4arch9wavefront6targetE0EEEvT1_
	.globl	_ZN7rocprim17ROCPRIM_400000_NS6detail17trampoline_kernelINS0_14default_configENS1_29reduce_by_key_config_selectorIffN6thrust23THRUST_200600_302600_NS4plusIfEEEEZZNS1_33reduce_by_key_impl_wrapped_configILNS1_25lookback_scan_determinismE1ES3_S9_NS6_6detail15normal_iteratorINS6_10device_ptrIfEEEESG_SG_SG_PmS8_22is_equal_div_10_reduceIfEEE10hipError_tPvRmT2_T3_mT4_T5_T6_T7_T8_P12ihipStream_tbENKUlT_T0_E_clISt17integral_constantIbLb0EES10_IbLb1EEEEDaSW_SX_EUlSW_E_NS1_11comp_targetILNS1_3genE9ELNS1_11target_archE1100ELNS1_3gpuE3ELNS1_3repE0EEENS1_30default_config_static_selectorELNS0_4arch9wavefront6targetE0EEEvT1_
	.p2align	8
	.type	_ZN7rocprim17ROCPRIM_400000_NS6detail17trampoline_kernelINS0_14default_configENS1_29reduce_by_key_config_selectorIffN6thrust23THRUST_200600_302600_NS4plusIfEEEEZZNS1_33reduce_by_key_impl_wrapped_configILNS1_25lookback_scan_determinismE1ES3_S9_NS6_6detail15normal_iteratorINS6_10device_ptrIfEEEESG_SG_SG_PmS8_22is_equal_div_10_reduceIfEEE10hipError_tPvRmT2_T3_mT4_T5_T6_T7_T8_P12ihipStream_tbENKUlT_T0_E_clISt17integral_constantIbLb0EES10_IbLb1EEEEDaSW_SX_EUlSW_E_NS1_11comp_targetILNS1_3genE9ELNS1_11target_archE1100ELNS1_3gpuE3ELNS1_3repE0EEENS1_30default_config_static_selectorELNS0_4arch9wavefront6targetE0EEEvT1_,@function
_ZN7rocprim17ROCPRIM_400000_NS6detail17trampoline_kernelINS0_14default_configENS1_29reduce_by_key_config_selectorIffN6thrust23THRUST_200600_302600_NS4plusIfEEEEZZNS1_33reduce_by_key_impl_wrapped_configILNS1_25lookback_scan_determinismE1ES3_S9_NS6_6detail15normal_iteratorINS6_10device_ptrIfEEEESG_SG_SG_PmS8_22is_equal_div_10_reduceIfEEE10hipError_tPvRmT2_T3_mT4_T5_T6_T7_T8_P12ihipStream_tbENKUlT_T0_E_clISt17integral_constantIbLb0EES10_IbLb1EEEEDaSW_SX_EUlSW_E_NS1_11comp_targetILNS1_3genE9ELNS1_11target_archE1100ELNS1_3gpuE3ELNS1_3repE0EEENS1_30default_config_static_selectorELNS0_4arch9wavefront6targetE0EEEvT1_: ; @_ZN7rocprim17ROCPRIM_400000_NS6detail17trampoline_kernelINS0_14default_configENS1_29reduce_by_key_config_selectorIffN6thrust23THRUST_200600_302600_NS4plusIfEEEEZZNS1_33reduce_by_key_impl_wrapped_configILNS1_25lookback_scan_determinismE1ES3_S9_NS6_6detail15normal_iteratorINS6_10device_ptrIfEEEESG_SG_SG_PmS8_22is_equal_div_10_reduceIfEEE10hipError_tPvRmT2_T3_mT4_T5_T6_T7_T8_P12ihipStream_tbENKUlT_T0_E_clISt17integral_constantIbLb0EES10_IbLb1EEEEDaSW_SX_EUlSW_E_NS1_11comp_targetILNS1_3genE9ELNS1_11target_archE1100ELNS1_3gpuE3ELNS1_3repE0EEENS1_30default_config_static_selectorELNS0_4arch9wavefront6targetE0EEEvT1_
; %bb.0:
	s_clause 0x4
	s_load_b256 s[12:19], s[0:1], 0x0
	s_load_b128 s[28:31], s[0:1], 0x20
	s_load_b256 s[20:27], s[0:1], 0x38
	s_load_b64 s[34:35], s[0:1], 0x68
	s_load_b128 s[36:39], s[0:1], 0x58
	v_cmp_ne_u32_e64 s3, 0, v0
	v_cmp_eq_u32_e64 s2, 0, v0
	s_delay_alu instid0(VALU_DEP_1)
	s_and_saveexec_b32 s4, s2
	s_cbranch_execz .LBB162_4
; %bb.1:
	s_mov_b32 s6, exec_lo
	s_mov_b32 s5, exec_lo
	v_mbcnt_lo_u32_b32 v1, s6, 0
                                        ; implicit-def: $vgpr2
	s_delay_alu instid0(VALU_DEP_1)
	v_cmpx_eq_u32_e32 0, v1
	s_cbranch_execz .LBB162_3
; %bb.2:
	s_load_b64 s[0:1], s[0:1], 0x70
	s_bcnt1_i32_b32 s6, s6
	s_delay_alu instid0(SALU_CYCLE_1)
	v_dual_mov_b32 v2, 0 :: v_dual_mov_b32 v3, s6
	s_waitcnt lgkmcnt(0)
	global_atomic_add_u32 v2, v2, v3, s[0:1] glc
.LBB162_3:
	s_or_b32 exec_lo, exec_lo, s5
	s_waitcnt vmcnt(0)
	v_readfirstlane_b32 s0, v2
	s_delay_alu instid0(VALU_DEP_1)
	v_dual_mov_b32 v2, 0 :: v_dual_add_nc_u32 v1, s0, v1
	ds_store_b32 v2, v1
.LBB162_4:
	s_or_b32 exec_lo, exec_lo, s4
	v_mov_b32_e32 v2, 0
	s_waitcnt lgkmcnt(0)
	s_barrier
	buffer_gl0_inv
	s_lshl_b64 s[4:5], s[14:15], 2
	ds_load_b32 v1, v2
	s_add_u32 s9, s12, s4
	s_mul_i32 s1, s24, s23
	s_mul_hi_u32 s6, s24, s22
	s_addc_u32 s10, s13, s5
	s_add_u32 s11, s16, s4
	s_mul_i32 s7, s25, s22
	s_addc_u32 s12, s17, s5
	s_add_i32 s1, s6, s1
	s_mul_i32 s8, s24, s22
	s_add_i32 s1, s1, s7
	s_mov_b32 s0, 0
	s_waitcnt lgkmcnt(0)
	s_barrier
	buffer_gl0_inv
	v_readfirstlane_b32 s41, v1
	v_mul_lo_u32 v1, 0xf00, v1
	s_delay_alu instid0(VALU_DEP_2) | instskip(SKIP_3) | instid1(VALU_DEP_1)
	s_add_u32 s24, s8, s41
	s_addc_u32 s25, s1, 0
	s_add_u32 s4, s26, -1
	s_addc_u32 s5, s27, -1
	v_lshlrev_b64 v[2:3], 2, v[1:2]
	s_cmp_eq_u64 s[24:25], s[4:5]
	s_mul_i32 s33, s4, 0xfffff100
	s_cselect_b32 s17, -1, 0
	s_cmp_lg_u64 s[24:25], s[4:5]
	s_delay_alu instid0(VALU_DEP_1)
	v_add_co_u32 v1, vcc_lo, s9, v2
	v_add_co_ci_u32_e32 v4, vcc_lo, s10, v3, vcc_lo
	v_add_co_u32 v2, vcc_lo, s11, v2
	v_add_co_ci_u32_e32 v3, vcc_lo, s12, v3, vcc_lo
	s_cselect_b32 s26, -1, 0
	s_and_b32 vcc_lo, exec_lo, s17
	s_cbranch_vccnz .LBB162_6
; %bb.5:
	v_lshlrev_b32_e32 v29, 2, v0
	s_delay_alu instid0(VALU_DEP_1) | instskip(SKIP_1) | instid1(VALU_DEP_2)
	v_add_co_u32 v5, vcc_lo, v1, v29
	v_add_co_ci_u32_e32 v6, vcc_lo, 0, v4, vcc_lo
	v_add_co_u32 v7, vcc_lo, 0x1000, v5
	s_delay_alu instid0(VALU_DEP_2)
	v_add_co_ci_u32_e32 v8, vcc_lo, 0, v6, vcc_lo
	s_clause 0x7
	flat_load_b32 v9, v[5:6]
	flat_load_b32 v10, v[5:6] offset:1024
	flat_load_b32 v11, v[5:6] offset:2048
	;; [unrolled: 1-line block ×3, first 2 shown]
	flat_load_b32 v13, v[7:8]
	flat_load_b32 v14, v[7:8] offset:1024
	flat_load_b32 v15, v[7:8] offset:2048
	;; [unrolled: 1-line block ×3, first 2 shown]
	v_add_co_u32 v7, vcc_lo, 0x2000, v5
	v_add_co_ci_u32_e32 v8, vcc_lo, 0, v6, vcc_lo
	v_add_co_u32 v5, vcc_lo, 0x3000, v5
	v_add_co_ci_u32_e32 v6, vcc_lo, 0, v6, vcc_lo
	s_clause 0x6
	flat_load_b32 v17, v[7:8]
	flat_load_b32 v18, v[7:8] offset:1024
	flat_load_b32 v19, v[7:8] offset:2048
	;; [unrolled: 1-line block ×3, first 2 shown]
	flat_load_b32 v20, v[5:6]
	flat_load_b32 v21, v[5:6] offset:1024
	flat_load_b32 v22, v[5:6] offset:2048
	v_add_co_u32 v6, vcc_lo, v2, v29
	v_add_co_ci_u32_e32 v7, vcc_lo, 0, v3, vcc_lo
	v_mad_u32_u24 v5, v0, 56, v29
	s_delay_alu instid0(VALU_DEP_3) | instskip(NEXT) | instid1(VALU_DEP_3)
	v_add_co_u32 v23, vcc_lo, 0x1000, v6
	v_add_co_ci_u32_e32 v24, vcc_lo, 0, v7, vcc_lo
	v_add_co_u32 v25, vcc_lo, 0x2000, v6
	v_add_co_ci_u32_e32 v26, vcc_lo, 0, v7, vcc_lo
	;; [unrolled: 2-line block ×3, first 2 shown]
	s_waitcnt vmcnt(13) lgkmcnt(13)
	ds_store_2addr_stride64_b32 v29, v9, v10 offset1:4
	s_waitcnt vmcnt(11) lgkmcnt(12)
	ds_store_2addr_stride64_b32 v29, v11, v12 offset0:8 offset1:12
	s_waitcnt vmcnt(9) lgkmcnt(11)
	ds_store_2addr_stride64_b32 v29, v13, v14 offset0:16 offset1:20
	;; [unrolled: 2-line block ×6, first 2 shown]
	s_waitcnt vmcnt(0) lgkmcnt(7)
	ds_store_b32 v29, v22 offset:14336
	s_waitcnt lgkmcnt(0)
	s_barrier
	buffer_gl0_inv
	ds_load_2addr_b32 v[21:22], v5 offset1:1
	ds_load_2addr_b32 v[19:20], v5 offset0:2 offset1:3
	ds_load_2addr_b32 v[17:18], v5 offset0:4 offset1:5
	;; [unrolled: 1-line block ×6, first 2 shown]
	ds_load_b32 v57, v5 offset:56
	s_waitcnt lgkmcnt(0)
	s_barrier
	buffer_gl0_inv
	s_clause 0xe
	flat_load_b32 v8, v[6:7]
	flat_load_b32 v30, v[6:7] offset:1024
	flat_load_b32 v31, v[6:7] offset:2048
	flat_load_b32 v6, v[6:7] offset:3072
	flat_load_b32 v7, v[23:24]
	flat_load_b32 v32, v[23:24] offset:1024
	flat_load_b32 v33, v[23:24] offset:2048
	flat_load_b32 v23, v[23:24] offset:3072
	;; [unrolled: 4-line block ×3, first 2 shown]
	flat_load_b32 v26, v[27:28]
	flat_load_b32 v36, v[27:28] offset:1024
	flat_load_b32 v27, v[27:28] offset:2048
	s_waitcnt vmcnt(13) lgkmcnt(13)
	ds_store_2addr_stride64_b32 v29, v8, v30 offset1:4
	s_waitcnt vmcnt(11) lgkmcnt(12)
	ds_store_2addr_stride64_b32 v29, v31, v6 offset0:8 offset1:12
	s_waitcnt vmcnt(9) lgkmcnt(11)
	ds_store_2addr_stride64_b32 v29, v7, v32 offset0:16 offset1:20
	;; [unrolled: 2-line block ×6, first 2 shown]
	s_waitcnt vmcnt(0) lgkmcnt(7)
	ds_store_b32 v29, v27 offset:14336
	s_waitcnt lgkmcnt(0)
	s_barrier
	s_and_not1_b32 vcc_lo, exec_lo, s0
	s_add_i32 s33, s33, s36
	s_cbranch_vccz .LBB162_7
	s_branch .LBB162_54
.LBB162_6:
                                        ; implicit-def: $vgpr5
                                        ; implicit-def: $vgpr21
                                        ; implicit-def: $vgpr19
                                        ; implicit-def: $vgpr17
                                        ; implicit-def: $vgpr15
                                        ; implicit-def: $vgpr13
                                        ; implicit-def: $vgpr11
                                        ; implicit-def: $vgpr9
                                        ; implicit-def: $vgpr57
	s_add_i32 s33, s33, s36
.LBB162_7:
	s_delay_alu instid0(SALU_CYCLE_1)
	v_cmp_gt_u32_e32 vcc_lo, s33, v0
                                        ; implicit-def: $vgpr5
	s_and_saveexec_b32 s1, vcc_lo
	s_cbranch_execz .LBB162_9
; %bb.8:
	v_lshlrev_b32_e32 v5, 2, v0
	s_delay_alu instid0(VALU_DEP_1) | instskip(NEXT) | instid1(VALU_DEP_1)
	v_add_co_u32 v5, s0, v1, v5
	v_add_co_ci_u32_e64 v6, s0, 0, v4, s0
	flat_load_b32 v5, v[5:6]
.LBB162_9:
	s_or_b32 exec_lo, exec_lo, s1
	v_or_b32_e32 v6, 0x100, v0
                                        ; implicit-def: $vgpr9
	s_delay_alu instid0(VALU_DEP_1) | instskip(NEXT) | instid1(VALU_DEP_1)
	v_cmp_gt_u32_e64 s0, s33, v6
	s_and_saveexec_b32 s4, s0
	s_cbranch_execz .LBB162_11
; %bb.10:
	v_lshlrev_b32_e32 v6, 2, v0
	s_delay_alu instid0(VALU_DEP_1) | instskip(NEXT) | instid1(VALU_DEP_1)
	v_add_co_u32 v6, s1, v1, v6
	v_add_co_ci_u32_e64 v7, s1, 0, v4, s1
	flat_load_b32 v9, v[6:7] offset:1024
.LBB162_11:
	s_or_b32 exec_lo, exec_lo, s4
	v_or_b32_e32 v6, 0x200, v0
                                        ; implicit-def: $vgpr10
	s_delay_alu instid0(VALU_DEP_1) | instskip(NEXT) | instid1(VALU_DEP_1)
	v_cmp_gt_u32_e64 s1, s33, v6
	s_and_saveexec_b32 s5, s1
	s_cbranch_execz .LBB162_13
; %bb.12:
	v_lshlrev_b32_e32 v6, 2, v0
	s_delay_alu instid0(VALU_DEP_1) | instskip(NEXT) | instid1(VALU_DEP_1)
	v_add_co_u32 v6, s4, v1, v6
	v_add_co_ci_u32_e64 v7, s4, 0, v4, s4
	flat_load_b32 v10, v[6:7] offset:2048
.LBB162_13:
	s_or_b32 exec_lo, exec_lo, s5
	v_or_b32_e32 v6, 0x300, v0
                                        ; implicit-def: $vgpr11
	s_delay_alu instid0(VALU_DEP_1) | instskip(NEXT) | instid1(VALU_DEP_1)
	v_cmp_gt_u32_e64 s4, s33, v6
	s_and_saveexec_b32 s6, s4
	s_cbranch_execz .LBB162_15
; %bb.14:
	v_lshlrev_b32_e32 v6, 2, v0
	s_delay_alu instid0(VALU_DEP_1) | instskip(NEXT) | instid1(VALU_DEP_1)
	v_add_co_u32 v6, s5, v1, v6
	v_add_co_ci_u32_e64 v7, s5, 0, v4, s5
	flat_load_b32 v11, v[6:7] offset:3072
.LBB162_15:
	s_or_b32 exec_lo, exec_lo, s6
	v_or_b32_e32 v6, 0x400, v0
                                        ; implicit-def: $vgpr12
	s_delay_alu instid0(VALU_DEP_1) | instskip(SKIP_1) | instid1(VALU_DEP_2)
	v_cmp_gt_u32_e64 s5, s33, v6
	v_lshlrev_b32_e32 v6, 2, v6
	s_and_saveexec_b32 s7, s5
	s_cbranch_execz .LBB162_17
; %bb.16:
	s_delay_alu instid0(VALU_DEP_1) | instskip(NEXT) | instid1(VALU_DEP_1)
	v_add_co_u32 v7, s6, v1, v6
	v_add_co_ci_u32_e64 v8, s6, 0, v4, s6
	flat_load_b32 v12, v[7:8]
.LBB162_17:
	s_or_b32 exec_lo, exec_lo, s7
	v_or_b32_e32 v7, 0x500, v0
                                        ; implicit-def: $vgpr13
	s_delay_alu instid0(VALU_DEP_1) | instskip(SKIP_1) | instid1(VALU_DEP_2)
	v_cmp_gt_u32_e64 s6, s33, v7
	v_lshlrev_b32_e32 v7, 2, v7
	s_and_saveexec_b32 s8, s6
	s_cbranch_execz .LBB162_19
; %bb.18:
	s_delay_alu instid0(VALU_DEP_1) | instskip(NEXT) | instid1(VALU_DEP_1)
	v_add_co_u32 v13, s7, v1, v7
	v_add_co_ci_u32_e64 v14, s7, 0, v4, s7
	flat_load_b32 v13, v[13:14]
.LBB162_19:
	s_or_b32 exec_lo, exec_lo, s8
	v_or_b32_e32 v8, 0x600, v0
                                        ; implicit-def: $vgpr14
	s_delay_alu instid0(VALU_DEP_1) | instskip(SKIP_1) | instid1(VALU_DEP_2)
	v_cmp_gt_u32_e64 s7, s33, v8
	v_lshlrev_b32_e32 v8, 2, v8
	s_and_saveexec_b32 s9, s7
	s_cbranch_execz .LBB162_21
; %bb.20:
	s_delay_alu instid0(VALU_DEP_1) | instskip(NEXT) | instid1(VALU_DEP_1)
	v_add_co_u32 v14, s8, v1, v8
	v_add_co_ci_u32_e64 v15, s8, 0, v4, s8
	flat_load_b32 v14, v[14:15]
.LBB162_21:
	s_or_b32 exec_lo, exec_lo, s9
	v_or_b32_e32 v15, 0x700, v0
	s_delay_alu instid0(VALU_DEP_1) | instskip(SKIP_1) | instid1(VALU_DEP_2)
	v_cmp_gt_u32_e64 s8, s33, v15
	v_lshlrev_b32_e32 v23, 2, v15
                                        ; implicit-def: $vgpr15
	s_and_saveexec_b32 s10, s8
	s_cbranch_execz .LBB162_23
; %bb.22:
	s_delay_alu instid0(VALU_DEP_1) | instskip(NEXT) | instid1(VALU_DEP_1)
	v_add_co_u32 v15, s9, v1, v23
	v_add_co_ci_u32_e64 v16, s9, 0, v4, s9
	flat_load_b32 v15, v[15:16]
.LBB162_23:
	s_or_b32 exec_lo, exec_lo, s10
	v_or_b32_e32 v16, 0x800, v0
	s_delay_alu instid0(VALU_DEP_1) | instskip(SKIP_1) | instid1(VALU_DEP_2)
	v_cmp_gt_u32_e64 s9, s33, v16
	v_lshlrev_b32_e32 v24, 2, v16
                                        ; implicit-def: $vgpr16
	s_and_saveexec_b32 s11, s9
	s_cbranch_execz .LBB162_25
; %bb.24:
	s_delay_alu instid0(VALU_DEP_1) | instskip(NEXT) | instid1(VALU_DEP_1)
	v_add_co_u32 v16, s10, v1, v24
	v_add_co_ci_u32_e64 v17, s10, 0, v4, s10
	flat_load_b32 v16, v[16:17]
.LBB162_25:
	s_or_b32 exec_lo, exec_lo, s11
	v_or_b32_e32 v17, 0x900, v0
	s_delay_alu instid0(VALU_DEP_1) | instskip(SKIP_1) | instid1(VALU_DEP_2)
	v_cmp_gt_u32_e64 s10, s33, v17
	v_lshlrev_b32_e32 v25, 2, v17
                                        ; implicit-def: $vgpr17
	s_and_saveexec_b32 s12, s10
	s_cbranch_execz .LBB162_27
; %bb.26:
	s_delay_alu instid0(VALU_DEP_1) | instskip(NEXT) | instid1(VALU_DEP_1)
	v_add_co_u32 v17, s11, v1, v25
	v_add_co_ci_u32_e64 v18, s11, 0, v4, s11
	flat_load_b32 v17, v[17:18]
.LBB162_27:
	s_or_b32 exec_lo, exec_lo, s12
	v_or_b32_e32 v18, 0xa00, v0
	s_delay_alu instid0(VALU_DEP_1) | instskip(SKIP_1) | instid1(VALU_DEP_2)
	v_cmp_gt_u32_e64 s11, s33, v18
	v_lshlrev_b32_e32 v27, 2, v18
                                        ; implicit-def: $vgpr18
	s_and_saveexec_b32 s13, s11
	s_cbranch_execz .LBB162_29
; %bb.28:
	s_delay_alu instid0(VALU_DEP_1) | instskip(NEXT) | instid1(VALU_DEP_1)
	v_add_co_u32 v18, s12, v1, v27
	v_add_co_ci_u32_e64 v19, s12, 0, v4, s12
	flat_load_b32 v18, v[18:19]
.LBB162_29:
	s_or_b32 exec_lo, exec_lo, s13
	v_or_b32_e32 v19, 0xb00, v0
	s_delay_alu instid0(VALU_DEP_1) | instskip(SKIP_1) | instid1(VALU_DEP_2)
	v_cmp_gt_u32_e64 s12, s33, v19
	v_lshlrev_b32_e32 v28, 2, v19
                                        ; implicit-def: $vgpr19
	s_and_saveexec_b32 s14, s12
	s_cbranch_execz .LBB162_31
; %bb.30:
	s_delay_alu instid0(VALU_DEP_1) | instskip(NEXT) | instid1(VALU_DEP_1)
	v_add_co_u32 v19, s13, v1, v28
	v_add_co_ci_u32_e64 v20, s13, 0, v4, s13
	flat_load_b32 v19, v[19:20]
.LBB162_31:
	s_or_b32 exec_lo, exec_lo, s14
	v_or_b32_e32 v20, 0xc00, v0
	s_delay_alu instid0(VALU_DEP_1) | instskip(SKIP_1) | instid1(VALU_DEP_2)
	v_cmp_gt_u32_e64 s13, s33, v20
	v_lshlrev_b32_e32 v29, 2, v20
                                        ; implicit-def: $vgpr20
	s_and_saveexec_b32 s15, s13
	s_cbranch_execz .LBB162_33
; %bb.32:
	s_delay_alu instid0(VALU_DEP_1) | instskip(NEXT) | instid1(VALU_DEP_1)
	v_add_co_u32 v20, s14, v1, v29
	v_add_co_ci_u32_e64 v21, s14, 0, v4, s14
	flat_load_b32 v20, v[20:21]
.LBB162_33:
	s_or_b32 exec_lo, exec_lo, s15
	v_or_b32_e32 v21, 0xd00, v0
	s_delay_alu instid0(VALU_DEP_1) | instskip(SKIP_1) | instid1(VALU_DEP_2)
	v_cmp_gt_u32_e64 s14, s33, v21
	v_lshlrev_b32_e32 v30, 2, v21
                                        ; implicit-def: $vgpr21
	s_and_saveexec_b32 s16, s14
	s_cbranch_execz .LBB162_35
; %bb.34:
	s_delay_alu instid0(VALU_DEP_1) | instskip(NEXT) | instid1(VALU_DEP_1)
	v_add_co_u32 v21, s15, v1, v30
	v_add_co_ci_u32_e64 v22, s15, 0, v4, s15
	flat_load_b32 v21, v[21:22]
.LBB162_35:
	s_or_b32 exec_lo, exec_lo, s16
	v_or_b32_e32 v22, 0xe00, v0
	s_delay_alu instid0(VALU_DEP_1) | instskip(SKIP_1) | instid1(VALU_DEP_2)
	v_cmp_gt_u32_e64 s15, s33, v22
	v_lshlrev_b32_e32 v31, 2, v22
                                        ; implicit-def: $vgpr22
	s_and_saveexec_b32 s27, s15
	s_cbranch_execz .LBB162_37
; %bb.36:
	s_delay_alu instid0(VALU_DEP_1) | instskip(NEXT) | instid1(VALU_DEP_1)
	v_add_co_u32 v32, s16, v1, v31
	v_add_co_ci_u32_e64 v33, s16, 0, v4, s16
	flat_load_b32 v22, v[32:33]
.LBB162_37:
	s_or_b32 exec_lo, exec_lo, s27
	v_lshlrev_b32_e32 v26, 2, v0
                                        ; implicit-def: $vgpr32
	s_waitcnt vmcnt(0) lgkmcnt(0)
	ds_store_2addr_stride64_b32 v26, v5, v9 offset1:4
	ds_store_2addr_stride64_b32 v26, v10, v11 offset0:8 offset1:12
	ds_store_2addr_stride64_b32 v26, v12, v13 offset0:16 offset1:20
	;; [unrolled: 1-line block ×6, first 2 shown]
	v_mad_u32_u24 v5, v0, 56, v26
	ds_store_b32 v26, v22 offset:14336
	s_waitcnt lgkmcnt(0)
	s_barrier
	buffer_gl0_inv
	ds_load_2addr_b32 v[21:22], v5 offset1:1
	ds_load_2addr_b32 v[19:20], v5 offset0:2 offset1:3
	ds_load_2addr_b32 v[17:18], v5 offset0:4 offset1:5
	ds_load_2addr_b32 v[15:16], v5 offset0:6 offset1:7
	ds_load_2addr_b32 v[13:14], v5 offset0:8 offset1:9
	ds_load_2addr_b32 v[11:12], v5 offset0:10 offset1:11
	ds_load_2addr_b32 v[9:10], v5 offset0:12 offset1:13
	ds_load_b32 v57, v5 offset:56
	s_waitcnt lgkmcnt(0)
	s_barrier
	buffer_gl0_inv
	s_and_saveexec_b32 s16, vcc_lo
	s_cbranch_execz .LBB162_60
; %bb.38:
	v_add_co_u32 v32, vcc_lo, v2, v26
	v_add_co_ci_u32_e32 v33, vcc_lo, 0, v3, vcc_lo
	flat_load_b32 v32, v[32:33]
	s_or_b32 exec_lo, exec_lo, s16
                                        ; implicit-def: $vgpr33
	s_and_saveexec_b32 s16, s0
	s_cbranch_execnz .LBB162_61
.LBB162_39:
	s_or_b32 exec_lo, exec_lo, s16
                                        ; implicit-def: $vgpr34
	s_and_saveexec_b32 s0, s1
	s_cbranch_execz .LBB162_62
.LBB162_40:
	v_add_co_u32 v34, vcc_lo, v2, v26
	v_add_co_ci_u32_e32 v35, vcc_lo, 0, v3, vcc_lo
	flat_load_b32 v34, v[34:35] offset:2048
	s_or_b32 exec_lo, exec_lo, s0
                                        ; implicit-def: $vgpr35
	s_and_saveexec_b32 s0, s4
	s_cbranch_execnz .LBB162_63
.LBB162_41:
	s_or_b32 exec_lo, exec_lo, s0
                                        ; implicit-def: $vgpr36
	s_and_saveexec_b32 s0, s5
	s_cbranch_execz .LBB162_64
.LBB162_42:
	v_add_co_u32 v36, vcc_lo, v2, v6
	v_add_co_ci_u32_e32 v37, vcc_lo, 0, v3, vcc_lo
	flat_load_b32 v36, v[36:37]
	s_or_b32 exec_lo, exec_lo, s0
                                        ; implicit-def: $vgpr6
	s_and_saveexec_b32 s0, s6
	s_cbranch_execnz .LBB162_65
.LBB162_43:
	s_or_b32 exec_lo, exec_lo, s0
                                        ; implicit-def: $vgpr7
	s_and_saveexec_b32 s0, s7
	s_cbranch_execz .LBB162_66
.LBB162_44:
	v_add_co_u32 v7, vcc_lo, v2, v8
	v_add_co_ci_u32_e32 v8, vcc_lo, 0, v3, vcc_lo
	flat_load_b32 v7, v[7:8]
	s_or_b32 exec_lo, exec_lo, s0
                                        ; implicit-def: $vgpr8
	s_and_saveexec_b32 s0, s8
	s_cbranch_execnz .LBB162_67
.LBB162_45:
	s_or_b32 exec_lo, exec_lo, s0
                                        ; implicit-def: $vgpr23
	s_and_saveexec_b32 s0, s9
	s_cbranch_execz .LBB162_68
.LBB162_46:
	v_add_co_u32 v23, vcc_lo, v2, v24
	v_add_co_ci_u32_e32 v24, vcc_lo, 0, v3, vcc_lo
	flat_load_b32 v23, v[23:24]
	s_or_b32 exec_lo, exec_lo, s0
                                        ; implicit-def: $vgpr24
	s_and_saveexec_b32 s0, s10
	s_cbranch_execnz .LBB162_69
.LBB162_47:
	s_or_b32 exec_lo, exec_lo, s0
                                        ; implicit-def: $vgpr25
	s_and_saveexec_b32 s0, s11
	s_cbranch_execz .LBB162_70
.LBB162_48:
	v_add_co_u32 v37, vcc_lo, v2, v27
	v_add_co_ci_u32_e32 v38, vcc_lo, 0, v3, vcc_lo
	flat_load_b32 v25, v[37:38]
	s_or_b32 exec_lo, exec_lo, s0
                                        ; implicit-def: $vgpr27
	s_and_saveexec_b32 s0, s12
	s_cbranch_execnz .LBB162_71
.LBB162_49:
	s_or_b32 exec_lo, exec_lo, s0
                                        ; implicit-def: $vgpr28
	s_and_saveexec_b32 s0, s13
	s_cbranch_execz .LBB162_72
.LBB162_50:
	v_add_co_u32 v28, vcc_lo, v2, v29
	v_add_co_ci_u32_e32 v29, vcc_lo, 0, v3, vcc_lo
	flat_load_b32 v28, v[28:29]
	s_or_b32 exec_lo, exec_lo, s0
                                        ; implicit-def: $vgpr29
	s_and_saveexec_b32 s0, s14
	s_cbranch_execnz .LBB162_73
.LBB162_51:
	s_or_b32 exec_lo, exec_lo, s0
                                        ; implicit-def: $vgpr30
	s_and_saveexec_b32 s0, s15
	s_cbranch_execz .LBB162_53
.LBB162_52:
	v_add_co_u32 v2, vcc_lo, v2, v31
	v_add_co_ci_u32_e32 v3, vcc_lo, 0, v3, vcc_lo
	flat_load_b32 v30, v[2:3]
.LBB162_53:
	s_or_b32 exec_lo, exec_lo, s0
	s_waitcnt vmcnt(0) lgkmcnt(0)
	ds_store_2addr_stride64_b32 v26, v32, v33 offset1:4
	ds_store_2addr_stride64_b32 v26, v34, v35 offset0:8 offset1:12
	ds_store_2addr_stride64_b32 v26, v36, v6 offset0:16 offset1:20
	;; [unrolled: 1-line block ×6, first 2 shown]
	ds_store_b32 v26, v30 offset:14336
	s_waitcnt lgkmcnt(0)
	s_barrier
.LBB162_54:
	buffer_gl0_inv
	ds_load_2addr_b32 v[47:48], v5 offset1:1
	ds_load_2addr_b32 v[45:46], v5 offset0:2 offset1:3
	ds_load_2addr_b32 v[43:44], v5 offset0:4 offset1:5
	;; [unrolled: 1-line block ×6, first 2 shown]
	ds_load_b32 v60, v5 offset:56
	s_cmp_eq_u64 s[24:25], 0
	s_waitcnt lgkmcnt(0)
	s_cselect_b32 s40, -1, 0
	s_cmp_lg_u64 s[24:25], 0
	s_barrier
	s_cselect_b32 s16, -1, 0
	s_and_b32 vcc_lo, exec_lo, s26
	buffer_gl0_inv
	s_cbranch_vccz .LBB162_74
; %bb.55:
	s_and_b32 vcc_lo, exec_lo, s16
	s_cbranch_vccz .LBB162_107
; %bb.56:
	v_add_co_u32 v2, vcc_lo, -4, v1
	v_add_co_ci_u32_e32 v3, vcc_lo, -1, v4, vcc_lo
	v_cvt_i32_f32_e32 v5, v57
	v_cvt_i32_f32_e32 v6, v9
	;; [unrolled: 1-line block ×3, first 2 shown]
	flat_load_b32 v2, v[2:3]
	v_cvt_i32_f32_e32 v3, v10
	v_mul_hi_i32 v5, 0x66666667, v5
	v_mul_hi_i32 v6, 0x66666667, v6
	;; [unrolled: 1-line block ×3, first 2 shown]
	v_cvt_i32_f32_e32 v25, v11
	v_mul_hi_i32 v3, 0x66666667, v3
	v_cvt_i32_f32_e32 v27, v18
	s_mov_b32 s15, -1
	v_lshrrev_b32_e32 v24, 31, v6
	v_ashrrev_i32_e32 v6, 2, v6
	v_lshrrev_b32_e32 v26, 31, v8
	v_lshrrev_b32_e32 v7, 31, v3
	v_ashrrev_i32_e32 v23, 2, v3
	v_ashrrev_i32_e32 v8, 2, v8
	v_add_nc_u32_e32 v6, v6, v24
	v_cvt_i32_f32_e32 v24, v14
	v_mul_hi_i32 v27, 0x66666667, v27
	v_add_nc_u32_e32 v7, v23, v7
	v_lshrrev_b32_e32 v23, 31, v5
	v_ashrrev_i32_e32 v5, 2, v5
	v_add_nc_u32_e32 v8, v8, v26
	v_lshlrev_b32_e32 v3, 2, v0
	v_cmp_ne_u32_e64 s0, v6, v7
	s_delay_alu instid0(VALU_DEP_4)
	v_add_nc_u32_e32 v5, v5, v23
	v_mul_hi_i32 v23, 0x66666667, v25
	v_cmp_ne_u32_e64 s1, v8, v6
	v_cvt_i32_f32_e32 v6, v16
	v_cvt_i32_f32_e32 v25, v15
	v_cmp_ne_u32_e32 vcc_lo, v7, v5
	v_cvt_i32_f32_e32 v5, v13
	v_mul_hi_i32 v7, 0x66666667, v24
	v_mul_hi_i32 v6, 0x66666667, v6
	v_lshrrev_b32_e32 v24, 31, v23
	v_ashrrev_i32_e32 v23, 2, v23
	v_mul_hi_i32 v5, 0x66666667, v5
	ds_store_b32 v3, v57
	s_waitcnt vmcnt(0) lgkmcnt(0)
	s_barrier
	v_add_nc_u32_e32 v23, v23, v24
	v_mul_hi_i32 v24, 0x66666667, v25
	v_lshrrev_b32_e32 v26, 31, v7
	v_ashrrev_i32_e32 v7, 2, v7
	v_lshrrev_b32_e32 v25, 31, v5
	v_ashrrev_i32_e32 v5, 2, v5
	v_cmp_ne_u32_e64 s5, v23, v8
	v_lshrrev_b32_e32 v8, 31, v27
	v_add_nc_u32_e32 v7, v7, v26
	v_lshrrev_b32_e32 v26, 31, v6
	v_ashrrev_i32_e32 v6, 2, v6
	v_add_nc_u32_e32 v5, v5, v25
	v_lshrrev_b32_e32 v25, 31, v24
	v_ashrrev_i32_e32 v24, 2, v24
	v_cmp_ne_u32_e64 s6, v7, v23
	v_add_nc_u32_e32 v6, v6, v26
	v_cmp_ne_u32_e64 s7, v5, v7
	v_ashrrev_i32_e32 v23, 2, v27
	v_add_nc_u32_e32 v7, v24, v25
	v_cvt_i32_f32_e32 v24, v19
	v_cmp_ne_u32_e64 s4, v6, v5
	v_cvt_i32_f32_e32 v5, v17
	v_add_nc_u32_e32 v8, v23, v8
	v_cmp_ne_u32_e64 s8, v7, v6
	v_cvt_i32_f32_e32 v6, v20
	v_cvt_i32_f32_e32 v23, v22
	;; [unrolled: 1-line block ×3, first 2 shown]
	v_mul_hi_i32 v5, 0x66666667, v5
	v_mul_hi_i32 v24, 0x66666667, v24
	;; [unrolled: 1-line block ×3, first 2 shown]
	v_cmp_ne_u32_e64 s9, v8, v7
	v_mul_hi_i32 v7, 0x66666667, v23
	v_mul_hi_i32 v25, 0x66666667, v25
	buffer_gl0_inv
	v_lshrrev_b32_e32 v23, 31, v5
	v_ashrrev_i32_e32 v5, 2, v5
	v_lshrrev_b32_e32 v26, 31, v6
	v_ashrrev_i32_e32 v6, 2, v6
	v_lshrrev_b32_e32 v27, 31, v24
	v_ashrrev_i32_e32 v24, 2, v24
	v_lshrrev_b32_e32 v28, 31, v7
	v_ashrrev_i32_e32 v7, 2, v7
	v_lshrrev_b32_e32 v29, 31, v25
	v_ashrrev_i32_e32 v25, 2, v25
	v_add_nc_u32_e32 v23, v5, v23
	v_add_nc_u32_e32 v6, v6, v26
	;; [unrolled: 1-line block ×5, first 2 shown]
	v_cmp_ne_u32_e64 s14, v23, v8
	v_cmp_ne_u32_e64 s10, v6, v23
	;; [unrolled: 1-line block ×5, first 2 shown]
	s_and_saveexec_b32 s26, s3
	s_cbranch_execz .LBB162_58
; %bb.57:
	v_add_nc_u32_e32 v2, -4, v3
	ds_load_b32 v2, v2
.LBB162_58:
	s_or_b32 exec_lo, exec_lo, s26
	s_waitcnt lgkmcnt(0)
	v_cvt_i32_f32_e32 v2, v2
	v_cndmask_b32_e64 v58, 0, 1, vcc_lo
	v_cndmask_b32_e64 v59, 0, 1, s1
	v_cndmask_b32_e64 v24, 0, 1, s5
	;; [unrolled: 1-line block ×3, first 2 shown]
	v_mul_hi_i32 v3, 0x66666667, v2
	v_cndmask_b32_e64 v2, 0, 1, s0
	v_cndmask_b32_e64 v26, 0, 1, s7
	;; [unrolled: 1-line block ×7, first 2 shown]
	v_lshrrev_b32_e32 v6, 31, v3
	v_ashrrev_i32_e32 v3, 2, v3
	v_cndmask_b32_e64 v34, 0, 1, s11
	v_cndmask_b32_e64 v33, 0, 1, s12
	;; [unrolled: 1-line block ×3, first 2 shown]
	s_delay_alu instid0(VALU_DEP_4) | instskip(NEXT) | instid1(VALU_DEP_1)
	v_add_nc_u32_e32 v3, v3, v6
	v_cmp_ne_u32_e64 s4, v3, v5
.LBB162_59:
                                        ; implicit-def: $sgpr0
	v_mov_b32_e32 v28, v2
	s_branch .LBB162_75
.LBB162_60:
	s_or_b32 exec_lo, exec_lo, s16
                                        ; implicit-def: $vgpr33
	s_and_saveexec_b32 s16, s0
	s_cbranch_execz .LBB162_39
.LBB162_61:
	v_add_co_u32 v33, vcc_lo, v2, v26
	v_add_co_ci_u32_e32 v34, vcc_lo, 0, v3, vcc_lo
	flat_load_b32 v33, v[33:34] offset:1024
	s_or_b32 exec_lo, exec_lo, s16
                                        ; implicit-def: $vgpr34
	s_and_saveexec_b32 s0, s1
	s_cbranch_execnz .LBB162_40
.LBB162_62:
	s_or_b32 exec_lo, exec_lo, s0
                                        ; implicit-def: $vgpr35
	s_and_saveexec_b32 s0, s4
	s_cbranch_execz .LBB162_41
.LBB162_63:
	v_add_co_u32 v35, vcc_lo, v2, v26
	v_add_co_ci_u32_e32 v36, vcc_lo, 0, v3, vcc_lo
	flat_load_b32 v35, v[35:36] offset:3072
	s_or_b32 exec_lo, exec_lo, s0
                                        ; implicit-def: $vgpr36
	s_and_saveexec_b32 s0, s5
	s_cbranch_execnz .LBB162_42
.LBB162_64:
	s_or_b32 exec_lo, exec_lo, s0
                                        ; implicit-def: $vgpr6
	s_and_saveexec_b32 s0, s6
	s_cbranch_execz .LBB162_43
.LBB162_65:
	v_add_co_u32 v6, vcc_lo, v2, v7
	v_add_co_ci_u32_e32 v7, vcc_lo, 0, v3, vcc_lo
	flat_load_b32 v6, v[6:7]
	s_or_b32 exec_lo, exec_lo, s0
                                        ; implicit-def: $vgpr7
	s_and_saveexec_b32 s0, s7
	s_cbranch_execnz .LBB162_44
.LBB162_66:
	s_or_b32 exec_lo, exec_lo, s0
                                        ; implicit-def: $vgpr8
	s_and_saveexec_b32 s0, s8
	s_cbranch_execz .LBB162_45
.LBB162_67:
	v_add_co_u32 v37, vcc_lo, v2, v23
	v_add_co_ci_u32_e32 v38, vcc_lo, 0, v3, vcc_lo
	flat_load_b32 v8, v[37:38]
	s_or_b32 exec_lo, exec_lo, s0
                                        ; implicit-def: $vgpr23
	s_and_saveexec_b32 s0, s9
	s_cbranch_execnz .LBB162_46
.LBB162_68:
	s_or_b32 exec_lo, exec_lo, s0
                                        ; implicit-def: $vgpr24
	s_and_saveexec_b32 s0, s10
	s_cbranch_execz .LBB162_47
.LBB162_69:
	v_add_co_u32 v24, vcc_lo, v2, v25
	v_add_co_ci_u32_e32 v25, vcc_lo, 0, v3, vcc_lo
	flat_load_b32 v24, v[24:25]
	s_or_b32 exec_lo, exec_lo, s0
                                        ; implicit-def: $vgpr25
	s_and_saveexec_b32 s0, s11
	s_cbranch_execnz .LBB162_48
.LBB162_70:
	s_or_b32 exec_lo, exec_lo, s0
                                        ; implicit-def: $vgpr27
	s_and_saveexec_b32 s0, s12
	s_cbranch_execz .LBB162_49
.LBB162_71:
	v_add_co_u32 v27, vcc_lo, v2, v28
	v_add_co_ci_u32_e32 v28, vcc_lo, 0, v3, vcc_lo
	flat_load_b32 v27, v[27:28]
	s_or_b32 exec_lo, exec_lo, s0
                                        ; implicit-def: $vgpr28
	s_and_saveexec_b32 s0, s13
	s_cbranch_execnz .LBB162_50
.LBB162_72:
	s_or_b32 exec_lo, exec_lo, s0
                                        ; implicit-def: $vgpr29
	s_and_saveexec_b32 s0, s14
	s_cbranch_execz .LBB162_51
.LBB162_73:
	v_add_co_u32 v29, vcc_lo, v2, v30
	v_add_co_ci_u32_e32 v30, vcc_lo, 0, v3, vcc_lo
	flat_load_b32 v29, v[29:30]
	s_or_b32 exec_lo, exec_lo, s0
                                        ; implicit-def: $vgpr30
	s_and_saveexec_b32 s0, s15
	s_cbranch_execnz .LBB162_52
	s_branch .LBB162_53
.LBB162_74:
	s_mov_b32 s15, 0
                                        ; implicit-def: $sgpr4
                                        ; implicit-def: $vgpr58
                                        ; implicit-def: $vgpr2
                                        ; implicit-def: $vgpr59
                                        ; implicit-def: $vgpr24
                                        ; implicit-def: $vgpr23
                                        ; implicit-def: $vgpr26
                                        ; implicit-def: $vgpr25
                                        ; implicit-def: $vgpr30
                                        ; implicit-def: $vgpr29
                                        ; implicit-def: $vgpr32
                                        ; implicit-def: $vgpr31
                                        ; implicit-def: $vgpr34
                                        ; implicit-def: $vgpr33
                                        ; implicit-def: $vgpr50
                                        ; implicit-def: $vgpr28
                                        ; implicit-def: $sgpr0
	s_cbranch_execnz .LBB162_111
.LBB162_75:
	v_mov_b32_e32 v27, s0
	s_and_saveexec_b32 s0, s15
.LBB162_76:
	v_cndmask_b32_e64 v27, 0, 1, s4
	v_mov_b32_e32 v28, v2
.LBB162_77:
	s_or_b32 exec_lo, exec_lo, s0
	s_delay_alu instid0(VALU_DEP_1)
	v_add3_u32 v1, v50, v27, v33
	v_add_f32_e32 v76, v47, v48
	v_cmp_eq_u32_e64 s13, 0, v50
	v_cmp_eq_u32_e64 s12, 0, v33
	v_cmp_eq_u32_e64 s10, 0, v34
	v_add3_u32 v75, v1, v34, v31
	v_cmp_eq_u32_e64 s11, 0, v31
	v_cmp_eq_u32_e64 s9, 0, v32
	;; [unrolled: 1-line block ×10, first 2 shown]
	v_cmp_eq_u32_e32 vcc_lo, 0, v58
	v_mbcnt_lo_u32_b32 v72, -1, 0
	v_lshrrev_b32_e32 v73, 5, v0
	v_or_b32_e32 v74, 31, v0
	s_cmp_eq_u64 s[22:23], 0
	s_mov_b32 s22, 0
	s_cselect_b32 s16, -1, 0
	s_cmp_lg_u32 s41, 0
	s_cbranch_scc0 .LBB162_105
; %bb.78:
	v_add3_u32 v2, v75, v32, v29
	v_cndmask_b32_e64 v1, v48, v76, s13
	s_mov_b32 s15, exec_lo
	v_and_b32_e32 v4, 15, v72
	v_and_b32_e32 v6, 16, v72
	v_add3_u32 v2, v2, v30, v25
	v_add_f32_e32 v1, v45, v1
	s_delay_alu instid0(VALU_DEP_2) | instskip(NEXT) | instid1(VALU_DEP_2)
	v_add3_u32 v2, v2, v26, v23
	v_cndmask_b32_e64 v1, v45, v1, s12
	s_delay_alu instid0(VALU_DEP_2) | instskip(NEXT) | instid1(VALU_DEP_1)
	v_add3_u32 v2, v2, v24, v59
	v_add3_u32 v2, v2, v28, v58
	s_delay_alu instid0(VALU_DEP_3) | instskip(SKIP_1) | instid1(VALU_DEP_2)
	v_add_f32_e32 v1, v46, v1
	s_waitcnt lgkmcnt(0)
	v_mov_b32_dpp v5, v2 row_shr:1 row_mask:0xf bank_mask:0xf
	s_delay_alu instid0(VALU_DEP_2) | instskip(NEXT) | instid1(VALU_DEP_1)
	v_cndmask_b32_e64 v1, v46, v1, s10
	v_add_f32_e32 v1, v43, v1
	s_delay_alu instid0(VALU_DEP_1) | instskip(NEXT) | instid1(VALU_DEP_1)
	v_cndmask_b32_e64 v1, v43, v1, s11
	v_add_f32_e32 v1, v44, v1
	s_delay_alu instid0(VALU_DEP_1) | instskip(NEXT) | instid1(VALU_DEP_1)
	;; [unrolled: 3-line block ×10, first 2 shown]
	v_cndmask_b32_e64 v1, v36, v1, s0
	v_add_f32_e32 v1, v60, v1
	s_delay_alu instid0(VALU_DEP_1) | instskip(SKIP_1) | instid1(VALU_DEP_2)
	v_cndmask_b32_e32 v1, v60, v1, vcc_lo
	v_cmp_eq_u32_e32 vcc_lo, 0, v2
	v_mov_b32_dpp v3, v1 row_shr:1 row_mask:0xf bank_mask:0xf
	s_delay_alu instid0(VALU_DEP_1) | instskip(NEXT) | instid1(VALU_DEP_1)
	v_add_f32_e32 v3, v1, v3
	v_cndmask_b32_e32 v3, v1, v3, vcc_lo
	v_cmp_eq_u32_e32 vcc_lo, 0, v4
	v_cndmask_b32_e64 v5, v5, 0, vcc_lo
	s_delay_alu instid0(VALU_DEP_1) | instskip(NEXT) | instid1(VALU_DEP_1)
	v_dual_cndmask_b32 v1, v3, v1 :: v_dual_add_nc_u32 v2, v5, v2
	v_mov_b32_dpp v3, v1 row_shr:2 row_mask:0xf bank_mask:0xf
	s_delay_alu instid0(VALU_DEP_2) | instskip(NEXT) | instid1(VALU_DEP_2)
	v_cmp_eq_u32_e32 vcc_lo, 0, v2
	v_add_f32_e32 v3, v1, v3
	v_mov_b32_dpp v5, v2 row_shr:2 row_mask:0xf bank_mask:0xf
	s_delay_alu instid0(VALU_DEP_2) | instskip(SKIP_1) | instid1(VALU_DEP_2)
	v_cndmask_b32_e32 v3, v1, v3, vcc_lo
	v_cmp_lt_u32_e32 vcc_lo, 1, v4
	v_cndmask_b32_e32 v1, v1, v3, vcc_lo
	s_delay_alu instid0(VALU_DEP_4) | instskip(NEXT) | instid1(VALU_DEP_2)
	v_cndmask_b32_e32 v3, 0, v5, vcc_lo
	v_mov_b32_dpp v5, v1 row_shr:4 row_mask:0xf bank_mask:0xf
	s_delay_alu instid0(VALU_DEP_1) | instskip(NEXT) | instid1(VALU_DEP_1)
	v_dual_add_f32 v3, v1, v5 :: v_dual_add_nc_u32 v2, v2, v3
	v_cmp_eq_u32_e32 vcc_lo, 0, v2
	v_mov_b32_dpp v5, v2 row_shr:4 row_mask:0xf bank_mask:0xf
	s_delay_alu instid0(VALU_DEP_3) | instskip(SKIP_1) | instid1(VALU_DEP_2)
	v_cndmask_b32_e32 v3, v1, v3, vcc_lo
	v_cmp_lt_u32_e32 vcc_lo, 3, v4
	v_cndmask_b32_e32 v1, v1, v3, vcc_lo
	s_delay_alu instid0(VALU_DEP_4) | instskip(NEXT) | instid1(VALU_DEP_2)
	v_cndmask_b32_e32 v3, 0, v5, vcc_lo
	v_mov_b32_dpp v5, v1 row_shr:8 row_mask:0xf bank_mask:0xf
	s_delay_alu instid0(VALU_DEP_1) | instskip(NEXT) | instid1(VALU_DEP_1)
	v_dual_add_f32 v2, v1, v5 :: v_dual_add_nc_u32 v3, v3, v2
	v_cmp_eq_u32_e32 vcc_lo, 0, v3
	v_mov_b32_dpp v5, v3 row_shr:8 row_mask:0xf bank_mask:0xf
	s_delay_alu instid0(VALU_DEP_3) | instskip(SKIP_1) | instid1(VALU_DEP_2)
	v_cndmask_b32_e32 v2, v1, v2, vcc_lo
	v_cmp_lt_u32_e32 vcc_lo, 7, v4
	v_dual_cndmask_b32 v2, v1, v2 :: v_dual_cndmask_b32 v1, 0, v5
	v_bfe_i32 v5, v72, 4, 1
	s_delay_alu instid0(VALU_DEP_2)
	v_add_nc_u32_e32 v1, v1, v3
	ds_swizzle_b32 v3, v2 offset:swizzle(BROADCAST,32,15)
	ds_swizzle_b32 v4, v1 offset:swizzle(BROADCAST,32,15)
	v_cmp_eq_u32_e32 vcc_lo, 0, v1
	s_waitcnt lgkmcnt(1)
	v_add_f32_e32 v3, v2, v3
	s_waitcnt lgkmcnt(0)
	v_and_b32_e32 v7, v5, v4
	s_delay_alu instid0(VALU_DEP_2) | instskip(SKIP_2) | instid1(VALU_DEP_4)
	v_cndmask_b32_e32 v5, v2, v3, vcc_lo
	v_cmp_eq_u32_e32 vcc_lo, 0, v6
	v_lshlrev_b32_e32 v4, 3, v73
	v_add_nc_u32_e32 v1, v7, v1
	s_delay_alu instid0(VALU_DEP_4)
	v_cndmask_b32_e32 v3, v5, v2, vcc_lo
	v_cmpx_eq_u32_e64 v74, v0
	s_cbranch_execz .LBB162_80
; %bb.79:
	v_cndmask_b32_e32 v2, v5, v2, vcc_lo
	ds_store_b64 v4, v[1:2] offset:2064
.LBB162_80:
	s_or_b32 exec_lo, exec_lo, s15
	s_delay_alu instid0(SALU_CYCLE_1)
	s_mov_b32 s15, exec_lo
	s_waitcnt lgkmcnt(0)
	s_barrier
	buffer_gl0_inv
	v_cmpx_gt_u32_e32 8, v0
	s_cbranch_execz .LBB162_82
; %bb.81:
	v_lshlrev_b32_e32 v2, 3, v0
	ds_load_b64 v[5:6], v2 offset:2064
	s_waitcnt lgkmcnt(0)
	v_mov_b32_dpp v7, v6 row_shr:1 row_mask:0xf bank_mask:0xf
	v_cmp_eq_u32_e32 vcc_lo, 0, v5
	v_mov_b32_dpp v49, v5 row_shr:1 row_mask:0xf bank_mask:0xf
	s_delay_alu instid0(VALU_DEP_3) | instskip(NEXT) | instid1(VALU_DEP_1)
	v_dual_add_f32 v7, v6, v7 :: v_dual_and_b32 v8, 7, v72
	v_cndmask_b32_e32 v7, v6, v7, vcc_lo
	s_delay_alu instid0(VALU_DEP_2) | instskip(NEXT) | instid1(VALU_DEP_4)
	v_cmp_eq_u32_e32 vcc_lo, 0, v8
	v_cndmask_b32_e64 v49, v49, 0, vcc_lo
	s_delay_alu instid0(VALU_DEP_1) | instskip(NEXT) | instid1(VALU_DEP_1)
	v_dual_cndmask_b32 v6, v7, v6 :: v_dual_add_nc_u32 v5, v49, v5
	v_mov_b32_dpp v7, v6 row_shr:2 row_mask:0xf bank_mask:0xf
	s_delay_alu instid0(VALU_DEP_2) | instskip(NEXT) | instid1(VALU_DEP_2)
	v_cmp_eq_u32_e32 vcc_lo, 0, v5
	v_add_f32_e32 v7, v6, v7
	v_mov_b32_dpp v49, v5 row_shr:2 row_mask:0xf bank_mask:0xf
	s_delay_alu instid0(VALU_DEP_2) | instskip(SKIP_1) | instid1(VALU_DEP_2)
	v_cndmask_b32_e32 v7, v6, v7, vcc_lo
	v_cmp_lt_u32_e32 vcc_lo, 1, v8
	v_dual_cndmask_b32 v6, v6, v7 :: v_dual_cndmask_b32 v7, 0, v49
	v_cmp_lt_u32_e32 vcc_lo, 3, v8
	s_delay_alu instid0(VALU_DEP_2) | instskip(NEXT) | instid1(VALU_DEP_1)
	v_mov_b32_dpp v49, v6 row_shr:4 row_mask:0xf bank_mask:0xf
	v_add_f32_e32 v8, v6, v49
	s_delay_alu instid0(VALU_DEP_4) | instskip(NEXT) | instid1(VALU_DEP_1)
	v_add_nc_u32_e32 v5, v7, v5
	v_mov_b32_dpp v7, v5 row_shr:4 row_mask:0xf bank_mask:0xf
	v_cmp_eq_u32_e64 s14, 0, v5
	s_delay_alu instid0(VALU_DEP_2) | instskip(NEXT) | instid1(VALU_DEP_2)
	v_cndmask_b32_e32 v7, 0, v7, vcc_lo
	s_and_b32 vcc_lo, vcc_lo, s14
	s_delay_alu instid0(VALU_DEP_1)
	v_dual_cndmask_b32 v6, v6, v8 :: v_dual_add_nc_u32 v5, v7, v5
	ds_store_b64 v2, v[5:6] offset:2064
.LBB162_82:
	s_or_b32 exec_lo, exec_lo, s15
	v_cmp_gt_u32_e32 vcc_lo, 32, v0
	v_dual_mov_b32 v51, 0 :: v_dual_mov_b32 v52, 0
	s_mov_b32 s15, exec_lo
	s_waitcnt lgkmcnt(0)
	s_barrier
	buffer_gl0_inv
	v_cmpx_lt_u32_e32 31, v0
	s_cbranch_execz .LBB162_84
; %bb.83:
	ds_load_b64 v[51:52], v4 offset:2056
	v_cmp_eq_u32_e64 s14, 0, v1
	s_waitcnt lgkmcnt(0)
	v_add_nc_u32_e32 v4, v51, v1
	s_delay_alu instid0(VALU_DEP_1) | instskip(NEXT) | instid1(VALU_DEP_1)
	v_dual_add_f32 v2, v3, v52 :: v_dual_mov_b32 v1, v4
	v_cndmask_b32_e64 v3, v3, v2, s14
.LBB162_84:
	s_or_b32 exec_lo, exec_lo, s15
	v_add_nc_u32_e32 v2, -1, v72
	s_mov_b32 s24, -1
	s_mov_b32 s15, 0
	s_delay_alu instid0(VALU_DEP_1) | instskip(NEXT) | instid1(VALU_DEP_1)
	v_cmp_gt_i32_e64 s14, 0, v2
	v_cndmask_b32_e64 v2, v2, v72, s14
	v_cmp_eq_u32_e64 s14, 0, v72
	s_delay_alu instid0(VALU_DEP_2)
	v_lshlrev_b32_e32 v2, 2, v2
	ds_bpermute_b32 v77, v2, v1
	ds_bpermute_b32 v78, v2, v3
	s_and_saveexec_b32 s23, vcc_lo
                                        ; implicit-def: $vgpr2_vgpr3_vgpr4
	s_cbranch_execz .LBB162_196
; %bb.85:
	v_mov_b32_e32 v4, 0
	ds_load_b64 v[1:2], v4 offset:2120
	s_waitcnt lgkmcnt(0)
	v_readfirstlane_b32 s36, v2
	s_and_saveexec_b32 s15, s14
	s_cbranch_execz .LBB162_87
; %bb.86:
	s_add_i32 s24, s41, 32
	s_mov_b32 s25, 0
	v_mov_b32_e32 v3, 1
	s_lshl_b64 s[26:27], s[24:25], 4
	s_mov_b32 s42, s25
	s_add_u32 s26, s20, s26
	s_addc_u32 s27, s21, s27
	s_and_b32 s43, s36, 0xff000000
	s_and_b32 s45, s36, 0xff0000
	s_mov_b32 s44, s25
	v_dual_mov_b32 v5, s26 :: v_dual_mov_b32 v6, s27
	s_or_b64 s[42:43], s[44:45], s[42:43]
	s_and_b32 s45, s36, 0xff00
	s_delay_alu instid0(SALU_CYCLE_1) | instskip(SKIP_1) | instid1(SALU_CYCLE_1)
	s_or_b64 s[42:43], s[42:43], s[44:45]
	s_and_b32 s45, s36, 0xff
	s_or_b64 s[24:25], s[42:43], s[44:45]
	s_delay_alu instid0(SALU_CYCLE_1)
	v_mov_b32_e32 v2, s25
	;;#ASMSTART
	global_store_dwordx4 v[5:6], v[1:4] off	
s_waitcnt vmcnt(0)
	;;#ASMEND
.LBB162_87:
	s_or_b32 exec_lo, exec_lo, s15
	v_xad_u32 v49, v72, -1, s41
	s_mov_b32 s24, 0
	s_mov_b32 s15, exec_lo
	s_mov_b32 s25, s24
	s_mov_b32 s26, s24
	s_mov_b32 s27, s24
	v_add_nc_u32_e32 v3, 32, v49
	v_dual_mov_b32 v5, s24 :: v_dual_mov_b32 v8, s27
	v_dual_mov_b32 v6, s25 :: v_dual_mov_b32 v7, s26
	s_delay_alu instid0(VALU_DEP_3)
	v_lshlrev_b64 v[2:3], 4, v[3:4]
	s_clause 0x5
	scratch_store_b128 off, v[5:8], off
	scratch_store_b128 off, v[5:8], off offset:16
	scratch_store_b32 off, v4, off offset:4
	scratch_store_b32 off, v4, off offset:12
	;; [unrolled: 1-line block ×4, first 2 shown]
	v_add_co_u32 v2, vcc_lo, s20, v2
	v_add_co_ci_u32_e32 v3, vcc_lo, s21, v3, vcc_lo
	;;#ASMSTART
	global_load_dwordx4 v[5:8], v[2:3] off glc	
s_waitcnt vmcnt(0)
	;;#ASMEND
	v_perm_b32 v4, v6, v7, 0x70605
	v_perm_b32 v8, v6, v7, 0x1000706
	;; [unrolled: 1-line block ×3, first 2 shown]
	v_and_b32_e32 v55, 0xff, v7
	v_alignbit_b32 v62, v6, v5, 16
	v_lshlrev_b32_e32 v4, 8, v4
	v_lshlrev_b32_e32 v8, 16, v8
	;; [unrolled: 1-line block ×3, first 2 shown]
	v_alignbit_b32 v61, v6, v5, 24
	s_delay_alu instid0(VALU_DEP_4) | instskip(NEXT) | instid1(VALU_DEP_4)
	v_perm_b32 v4, v4, v6, 0xc0c0500
	v_and_b32_e32 v54, 0xff0000, v8
	v_alignbit_b32 v8, v6, v5, 8
	s_delay_alu instid0(VALU_DEP_2)
	v_or3_b32 v6, v4, v54, v53
	v_cmpx_eq_u16_e32 0, v55
	s_cbranch_execz .LBB162_90
.LBB162_88:                             ; =>This Inner Loop Header: Depth=1
	;;#ASMSTART
	global_load_dwordx4 v[5:8], v[2:3] off glc	
s_waitcnt vmcnt(0)
	;;#ASMEND
	v_and_b32_e32 v4, 0xff, v7
	s_delay_alu instid0(VALU_DEP_1) | instskip(SKIP_1) | instid1(SALU_CYCLE_1)
	v_cmp_ne_u16_e32 vcc_lo, 0, v4
	s_or_b32 s24, vcc_lo, s24
	s_and_not1_b32 exec_lo, exec_lo, s24
	s_cbranch_execnz .LBB162_88
; %bb.89:
	s_or_b32 exec_lo, exec_lo, s24
	v_perm_b32 v2, v6, v7, 0x70605
	v_perm_b32 v3, v6, v7, 0x1000706
	;; [unrolled: 1-line block ×3, first 2 shown]
	v_alignbit_b32 v8, v6, v5, 8
	v_alignbit_b32 v62, v6, v5, 16
	v_lshlrev_b32_e32 v2, 8, v2
	v_lshlrev_b32_e32 v3, 16, v3
	v_lshlrev_b32_e32 v4, 24, v4
	v_alignbit_b32 v61, v6, v5, 24
	s_delay_alu instid0(VALU_DEP_4) | instskip(NEXT) | instid1(VALU_DEP_4)
	v_perm_b32 v2, v2, v6, 0xc0c0500
	v_and_b32_e32 v3, 0xff0000, v3
	s_delay_alu instid0(VALU_DEP_1)
	v_or3_b32 v6, v2, v3, v4
.LBB162_90:
	s_or_b32 exec_lo, exec_lo, s15
	v_mov_b32_e32 v54, 0
	s_mov_b32 s25, 0
	s_branch .LBB162_92
.LBB162_91:                             ;   in Loop: Header=BB162_92 Depth=1
	s_or_b32 exec_lo, exec_lo, s25
	v_subrev_nc_u32_e32 v49, 32, v53
	s_add_i32 s25, s24, 1
	s_cbranch_execz .LBB162_98
.LBB162_92:                             ; =>This Loop Header: Depth=1
                                        ;     Child Loop BB162_95 Depth 2
	v_dual_mov_b32 v4, v7 :: v_dual_lshlrev_b32 v3, 8, v8
	v_and_b32_e32 v5, 0xff, v5
	s_delay_alu instid0(VALU_DEP_2) | instskip(NEXT) | instid1(VALU_DEP_3)
	v_dual_mov_b32 v53, v49 :: v_dual_and_b32 v2, 0xff, v4
	v_and_b32_e32 v7, 0xff00, v3
	v_mov_b32_e32 v3, v6
	s_delay_alu instid0(VALU_DEP_3) | instskip(SKIP_1) | instid1(VALU_DEP_2)
	v_cmp_ne_u16_e64 s15, 2, v2
	v_cmp_ne_u16_e32 vcc_lo, 0xff, v2
	s_and_b32 s24, s15, vcc_lo
	s_delay_alu instid0(SALU_CYCLE_1) | instskip(SKIP_1) | instid1(VALU_DEP_1)
	v_cndmask_b32_e64 v2, 0, 1, s24
	;;#ASMSTART
	;;#ASMEND
	v_cmp_ne_u32_e32 vcc_lo, 0, v2
	v_lshlrev_b32_e32 v2, 16, v62
	s_mov_b32 s24, s25
	s_cmp_eq_u32 vcc_lo, exec_lo
	s_delay_alu instid0(VALU_DEP_1) | instskip(SKIP_3) | instid1(VALU_DEP_1)
	v_perm_b32 v2, v61, v2, 0x4020c0c
	s_cselect_b32 s25, -1, 0
	s_cmp_lt_u32 s24, 4
	s_cselect_b32 s26, -1, 0
	v_or3_b32 v2, v2, v7, v5
	s_and_b32 s25, s25, s26
	s_delay_alu instid0(SALU_CYCLE_1)
	s_and_not1_b32 vcc_lo, exec_lo, s25
	s_cbranch_vccnz .LBB162_97
; %bb.93:                               ;   in Loop: Header=BB162_92 Depth=1
	v_lshlrev_b64 v[5:6], 4, v[53:54]
	s_lshl_b32 s25, s24, 3
	s_delay_alu instid0(SALU_CYCLE_1)
	s_add_i32 s25, s25, 0
	scratch_store_b64 off, v[2:3], s25
	v_add_co_u32 v55, vcc_lo, s20, v5
	v_add_co_ci_u32_e32 v56, vcc_lo, s21, v6, vcc_lo
	;;#ASMSTART
	global_load_dwordx4 v[5:8], v[55:56] off glc	
s_waitcnt vmcnt(0)
	;;#ASMEND
	v_perm_b32 v8, v6, v7, 0x70605
	v_perm_b32 v49, v6, v7, 0x1000706
	;; [unrolled: 1-line block ×3, first 2 shown]
	v_and_b32_e32 v65, 0xff, v7
	v_alignbit_b32 v62, v6, v5, 16
	v_lshlrev_b32_e32 v8, 8, v8
	v_lshlrev_b32_e32 v49, 16, v49
	;; [unrolled: 1-line block ×3, first 2 shown]
	v_alignbit_b32 v61, v6, v5, 24
	s_mov_b32 s25, exec_lo
	v_perm_b32 v64, v8, v6, 0xc0c0500
	v_and_b32_e32 v49, 0xff0000, v49
	v_alignbit_b32 v8, v6, v5, 8
	s_delay_alu instid0(VALU_DEP_2)
	v_or3_b32 v6, v64, v49, v63
	v_cmpx_eq_u16_e32 0, v65
	s_cbranch_execz .LBB162_91
; %bb.94:                               ;   in Loop: Header=BB162_92 Depth=1
	s_mov_b32 s26, 0
.LBB162_95:                             ;   Parent Loop BB162_92 Depth=1
                                        ; =>  This Inner Loop Header: Depth=2
	;;#ASMSTART
	global_load_dwordx4 v[5:8], v[55:56] off glc	
s_waitcnt vmcnt(0)
	;;#ASMEND
	v_and_b32_e32 v8, 0xff, v7
	s_delay_alu instid0(VALU_DEP_1) | instskip(SKIP_1) | instid1(SALU_CYCLE_1)
	v_cmp_ne_u16_e32 vcc_lo, 0, v8
	s_or_b32 s26, vcc_lo, s26
	s_and_not1_b32 exec_lo, exec_lo, s26
	s_cbranch_execnz .LBB162_95
; %bb.96:                               ;   in Loop: Header=BB162_92 Depth=1
	s_or_b32 exec_lo, exec_lo, s26
	v_perm_b32 v8, v6, v7, 0x70605
	v_perm_b32 v49, v6, v7, 0x1000706
	;; [unrolled: 1-line block ×3, first 2 shown]
	v_alignbit_b32 v62, v6, v5, 16
	v_alignbit_b32 v61, v6, v5, 24
	v_lshlrev_b32_e32 v8, 8, v8
	v_lshlrev_b32_e32 v49, 16, v49
	;; [unrolled: 1-line block ×3, first 2 shown]
	s_delay_alu instid0(VALU_DEP_3) | instskip(NEXT) | instid1(VALU_DEP_3)
	v_perm_b32 v56, v8, v6, 0xc0c0500
	v_and_b32_e32 v49, 0xff0000, v49
	v_alignbit_b32 v8, v6, v5, 8
	s_delay_alu instid0(VALU_DEP_2)
	v_or3_b32 v6, v56, v49, v55
	s_branch .LBB162_91
.LBB162_97:
                                        ; implicit-def: $vgpr49
                                        ; implicit-def: $sgpr25
                                        ; implicit-def: $vgpr7
                                        ; implicit-def: $vgpr6
                                        ; implicit-def: $vgpr8
                                        ; implicit-def: $vgpr62
                                        ; implicit-def: $vgpr61
.LBB162_98:
	v_cndmask_b32_e64 v5, 0, 1, s15
	;;#ASMSTART
	;;#ASMEND
	s_delay_alu instid0(VALU_DEP_1)
	v_cmp_ne_u32_e32 vcc_lo, 0, v5
	s_cmp_lg_u32 vcc_lo, exec_lo
	s_cbranch_scc1 .LBB162_181
; %bb.99:
	v_dual_mov_b32 v3, 0 :: v_dual_and_b32 v2, 0xff, v4
	s_delay_alu instid0(VALU_DEP_1) | instskip(SKIP_2) | instid1(VALU_DEP_1)
	v_cmp_eq_u16_e32 vcc_lo, 0xff, v2
	v_cndmask_b32_e64 v2, 0, 1, vcc_lo
	;;#ASMSTART
	;;#ASMEND
	v_cmp_ne_u32_e32 vcc_lo, 0, v2
	v_add_nc_u32_e32 v2, 32, v53
	s_cmp_eq_u32 vcc_lo, exec_lo
	s_cselect_b32 vcc_lo, -1, 0
	s_delay_alu instid0(VALU_DEP_1) | instskip(NEXT) | instid1(VALU_DEP_1)
	v_cndmask_b32_e32 v2, v53, v2, vcc_lo
	v_add_nc_u32_e32 v2, 32, v2
	s_delay_alu instid0(VALU_DEP_1) | instskip(NEXT) | instid1(VALU_DEP_1)
	v_lshlrev_b64 v[2:3], 4, v[2:3]
	v_add_co_u32 v6, s15, s20, v2
	s_delay_alu instid0(VALU_DEP_1)
	v_add_co_ci_u32_e64 v7, s15, s21, v3, s15
	s_branch .LBB162_101
.LBB162_100:                            ;   in Loop: Header=BB162_101 Depth=1
	s_or_b32 exec_lo, exec_lo, s25
	v_and_b32_e32 v53, 0xff, v4
	s_delay_alu instid0(VALU_DEP_1) | instskip(NEXT) | instid1(VALU_DEP_1)
	v_cmp_ne_u16_e64 s15, 2, v53
	v_cndmask_b32_e64 v53, 0, 1, s15
	;;#ASMSTART
	;;#ASMEND
	s_delay_alu instid0(VALU_DEP_1) | instskip(NEXT) | instid1(VALU_DEP_1)
	v_cmp_ne_u32_e64 s15, 0, v53
	s_cmp_eq_u32 s15, exec_lo
	s_cbranch_scc0 .LBB162_180
.LBB162_101:                            ; =>This Loop Header: Depth=1
                                        ;     Child Loop BB162_103 Depth 2
	;;#ASMSTART
	global_load_dwordx4 v[2:5], v[6:7] off glc	
s_waitcnt vmcnt(0)
	;;#ASMEND
	v_perm_b32 v5, v3, v4, 0x70605
	v_perm_b32 v8, v3, v4, 0x1000706
	;; [unrolled: 1-line block ×3, first 2 shown]
	v_and_b32_e32 v56, 0xff, v4
	s_mov_b32 s25, exec_lo
	v_lshlrev_b32_e32 v5, 8, v5
	v_lshlrev_b32_e32 v8, 16, v8
	;; [unrolled: 1-line block ×3, first 2 shown]
	v_alignbit_b32 v49, v3, v2, 16
	s_delay_alu instid0(VALU_DEP_4) | instskip(NEXT) | instid1(VALU_DEP_4)
	v_perm_b32 v54, v5, v3, 0xc0c0500
	v_and_b32_e32 v55, 0xff0000, v8
	v_alignbit_b32 v5, v3, v2, 8
	v_alignbit_b32 v8, v3, v2, 24
	s_delay_alu instid0(VALU_DEP_3)
	v_or3_b32 v3, v54, v55, v53
	v_cmpx_eq_u16_e32 0, v56
	s_cbranch_execz .LBB162_100
; %bb.102:                              ;   in Loop: Header=BB162_101 Depth=1
	s_mov_b32 s26, 0
	.p2align	6
.LBB162_103:                            ;   Parent Loop BB162_101 Depth=1
                                        ; =>  This Inner Loop Header: Depth=2
	;;#ASMSTART
	global_load_dwordx4 v[2:5], v[6:7] off glc	
s_waitcnt vmcnt(0)
	;;#ASMEND
	v_and_b32_e32 v5, 0xff, v4
	s_delay_alu instid0(VALU_DEP_1) | instskip(NEXT) | instid1(VALU_DEP_1)
	v_cmp_ne_u16_e64 s15, 0, v5
	s_or_b32 s26, s15, s26
	s_delay_alu instid0(SALU_CYCLE_1)
	s_and_not1_b32 exec_lo, exec_lo, s26
	s_cbranch_execnz .LBB162_103
; %bb.104:                              ;   in Loop: Header=BB162_101 Depth=1
	s_or_b32 exec_lo, exec_lo, s26
	v_perm_b32 v5, v3, v4, 0x70605
	v_perm_b32 v8, v3, v4, 0x1000706
	;; [unrolled: 1-line block ×3, first 2 shown]
	s_delay_alu instid0(VALU_DEP_3) | instskip(NEXT) | instid1(VALU_DEP_3)
	v_lshlrev_b32_e32 v5, 8, v5
	v_lshlrev_b32_e32 v8, 16, v8
	s_delay_alu instid0(VALU_DEP_3) | instskip(SKIP_1) | instid1(VALU_DEP_4)
	v_lshlrev_b32_e32 v53, 24, v49
	v_alignbit_b32 v49, v3, v2, 16
	v_perm_b32 v54, v5, v3, 0xc0c0500
	s_delay_alu instid0(VALU_DEP_4) | instskip(SKIP_2) | instid1(VALU_DEP_3)
	v_and_b32_e32 v55, 0xff0000, v8
	v_alignbit_b32 v5, v3, v2, 8
	v_alignbit_b32 v8, v3, v2, 24
	v_or3_b32 v3, v54, v55, v53
	s_branch .LBB162_100
.LBB162_105:
                                        ; implicit-def: $vgpr1
                                        ; implicit-def: $vgpr49
                                        ; implicit-def: $vgpr5
                                        ; implicit-def: $vgpr62
                                        ; implicit-def: $vgpr53
                                        ; implicit-def: $vgpr55
                                        ; implicit-def: $vgpr54
                                        ; implicit-def: $vgpr56
                                        ; implicit-def: $vgpr61
                                        ; implicit-def: $vgpr63
                                        ; implicit-def: $vgpr64
                                        ; implicit-def: $vgpr65
                                        ; implicit-def: $vgpr66
                                        ; implicit-def: $vgpr67
                                        ; implicit-def: $vgpr68
                                        ; implicit-def: $vgpr69
                                        ; implicit-def: $vgpr70
                                        ; implicit-def: $vgpr71
	s_cbranch_execnz .LBB162_199
.LBB162_106:
	s_and_saveexec_b32 s0, s22
	s_cbranch_execz .LBB162_372
	s_branch .LBB162_210
.LBB162_107:
	s_mov_b32 s15, 0
                                        ; implicit-def: $sgpr4
                                        ; implicit-def: $vgpr58
                                        ; implicit-def: $vgpr2
                                        ; implicit-def: $vgpr59
                                        ; implicit-def: $vgpr24
                                        ; implicit-def: $vgpr23
                                        ; implicit-def: $vgpr26
                                        ; implicit-def: $vgpr25
                                        ; implicit-def: $vgpr30
                                        ; implicit-def: $vgpr29
                                        ; implicit-def: $vgpr32
                                        ; implicit-def: $vgpr31
                                        ; implicit-def: $vgpr34
                                        ; implicit-def: $vgpr33
                                        ; implicit-def: $vgpr50
	s_cbranch_execz .LBB162_59
; %bb.108:
	v_cvt_i32_f32_e32 v2, v10
	v_cvt_i32_f32_e32 v3, v57
	;; [unrolled: 1-line block ×5, first 2 shown]
	v_mul_hi_i32 v2, 0x66666667, v2
	v_mul_hi_i32 v3, 0x66666667, v3
	;; [unrolled: 1-line block ×5, first 2 shown]
	v_cvt_i32_f32_e32 v31, v21
                                        ; implicit-def: $sgpr4
	v_lshrrev_b32_e32 v8, 31, v2
	v_ashrrev_i32_e32 v2, 2, v2
	v_lshrrev_b32_e32 v23, 31, v3
	v_ashrrev_i32_e32 v3, 2, v3
	;; [unrolled: 2-line block ×3, first 2 shown]
	v_add_nc_u32_e32 v2, v2, v8
	v_lshrrev_b32_e32 v25, 31, v6
	v_add_nc_u32_e32 v8, v3, v23
	v_cvt_i32_f32_e32 v23, v14
	v_add_nc_u32_e32 v5, v5, v24
	v_ashrrev_i32_e32 v6, 2, v6
	v_cvt_i32_f32_e32 v24, v13
	v_cmp_ne_u32_e32 vcc_lo, v2, v8
	v_mul_hi_i32 v23, 0x66666667, v23
	v_lshrrev_b32_e32 v8, 31, v7
	v_ashrrev_i32_e32 v7, 2, v7
	v_add_nc_u32_e32 v6, v6, v25
	v_cndmask_b32_e64 v58, 0, 1, vcc_lo
	v_cmp_ne_u32_e32 vcc_lo, v5, v2
	v_mul_hi_i32 v26, 0x66666667, v24
	v_cvt_i32_f32_e32 v25, v16
	v_add_nc_u32_e32 v7, v7, v8
	v_lshrrev_b32_e32 v8, 31, v23
	v_cndmask_b32_e64 v2, 0, 1, vcc_lo
	v_ashrrev_i32_e32 v23, 2, v23
	v_cmp_ne_u32_e32 vcc_lo, v6, v5
	v_mul_hi_i32 v25, 0x66666667, v25
	v_cvt_i32_f32_e32 v5, v15
	v_lshlrev_b32_e32 v3, 2, v0
	v_cndmask_b32_e64 v59, 0, 1, vcc_lo
	v_cmp_ne_u32_e32 vcc_lo, v7, v6
	v_add_nc_u32_e32 v6, v23, v8
	v_lshrrev_b32_e32 v8, 31, v26
	v_ashrrev_i32_e32 v26, 2, v26
	v_mul_hi_i32 v5, 0x66666667, v5
	v_cndmask_b32_e64 v24, 0, 1, vcc_lo
	v_cmp_ne_u32_e32 vcc_lo, v6, v7
	v_cvt_i32_f32_e32 v7, v18
	v_add_nc_u32_e32 v8, v26, v8
	v_cvt_i32_f32_e32 v26, v17
	v_lshrrev_b32_e32 v27, 31, v25
	v_ashrrev_i32_e32 v25, 2, v25
	v_mul_hi_i32 v7, 0x66666667, v7
	v_cndmask_b32_e64 v23, 0, 1, vcc_lo
	v_mul_hi_i32 v29, 0x66666667, v26
	v_lshrrev_b32_e32 v28, 31, v5
	v_add_nc_u32_e32 v27, v25, v27
	v_ashrrev_i32_e32 v5, 2, v5
	v_cmp_ne_u32_e32 vcc_lo, v8, v6
	ds_store_b32 v3, v57
	v_lshrrev_b32_e32 v6, 31, v7
	v_ashrrev_i32_e32 v7, 2, v7
	v_add_nc_u32_e32 v5, v5, v28
	v_cndmask_b32_e64 v26, 0, 1, vcc_lo
	v_cmp_ne_u32_e32 vcc_lo, v27, v8
	v_lshrrev_b32_e32 v8, 31, v29
	v_ashrrev_i32_e32 v28, 2, v29
	v_cvt_i32_f32_e32 v29, v20
	v_add_nc_u32_e32 v6, v7, v6
	v_cndmask_b32_e64 v25, 0, 1, vcc_lo
	v_cmp_ne_u32_e32 vcc_lo, v5, v27
	v_cvt_i32_f32_e32 v27, v19
	v_add_nc_u32_e32 v7, v28, v8
	v_mul_hi_i32 v8, 0x66666667, v29
	v_cvt_i32_f32_e32 v28, v22
	v_cndmask_b32_e64 v30, 0, 1, vcc_lo
	v_mul_hi_i32 v27, 0x66666667, v27
	v_cmp_ne_u32_e32 vcc_lo, v6, v5
	s_waitcnt lgkmcnt(0)
	v_mul_hi_i32 v5, 0x66666667, v28
	s_barrier
	v_lshrrev_b32_e32 v28, 31, v8
	v_ashrrev_i32_e32 v8, 2, v8
	v_cndmask_b32_e64 v29, 0, 1, vcc_lo
	v_cmp_ne_u32_e32 vcc_lo, v7, v6
	v_mul_hi_i32 v6, 0x66666667, v31
	v_lshrrev_b32_e32 v31, 31, v27
	v_ashrrev_i32_e32 v27, 2, v27
	v_add_nc_u32_e32 v8, v8, v28
	v_cndmask_b32_e64 v32, 0, 1, vcc_lo
	v_lshrrev_b32_e32 v33, 31, v5
	v_ashrrev_i32_e32 v5, 2, v5
	v_add_nc_u32_e32 v27, v27, v31
	v_cmp_ne_u32_e32 vcc_lo, v8, v7
	v_lshrrev_b32_e32 v28, 31, v6
	v_ashrrev_i32_e32 v6, 2, v6
	v_add_nc_u32_e32 v49, v5, v33
	buffer_gl0_inv
	v_cndmask_b32_e64 v31, 0, 1, vcc_lo
	v_cmp_ne_u32_e32 vcc_lo, v27, v8
	v_add_nc_u32_e32 v5, v6, v28
	v_cndmask_b32_e64 v34, 0, 1, vcc_lo
	v_cmp_ne_u32_e32 vcc_lo, v49, v27
	v_cndmask_b32_e64 v33, 0, 1, vcc_lo
	s_delay_alu instid0(VALU_DEP_4) | instskip(SKIP_2) | instid1(SALU_CYCLE_1)
	v_cmp_ne_u32_e32 vcc_lo, v5, v49
	v_cndmask_b32_e64 v50, 0, 1, vcc_lo
	s_and_saveexec_b32 s0, s3
	s_xor_b32 s0, exec_lo, s0
	s_cbranch_execz .LBB162_110
; %bb.109:
	v_add_nc_u32_e32 v3, -4, v3
	s_or_b32 s15, s15, exec_lo
	ds_load_b32 v3, v3
	s_waitcnt lgkmcnt(0)
	v_cvt_i32_f32_e32 v3, v3
	s_delay_alu instid0(VALU_DEP_1) | instskip(NEXT) | instid1(VALU_DEP_1)
	v_mul_hi_i32 v3, 0x66666667, v3
	v_lshrrev_b32_e32 v6, 31, v3
	v_ashrrev_i32_e32 v3, 2, v3
	s_delay_alu instid0(VALU_DEP_1) | instskip(NEXT) | instid1(VALU_DEP_1)
	v_add_nc_u32_e32 v3, v3, v6
	v_cmp_ne_u32_e32 vcc_lo, v3, v5
	s_and_b32 s4, vcc_lo, exec_lo
.LBB162_110:
	s_or_b32 exec_lo, exec_lo, s0
	s_mov_b32 s0, 1
	v_mov_b32_e32 v28, v2
	s_branch .LBB162_75
.LBB162_111:
	s_mul_hi_u32 s0, s24, 0xfffff100
	s_mul_i32 s1, s25, 0xfffff100
	s_sub_i32 s0, s0, s24
	s_mul_i32 s4, s24, 0xfffff100
	v_mul_u32_u24_e32 v3, 15, v0
	v_mad_u32_u24 v27, v0, 15, 14
	s_add_i32 s1, s0, s1
	s_add_u32 s0, s4, s36
	s_addc_u32 s1, s1, s37
	s_and_b32 vcc_lo, exec_lo, s16
	s_cbranch_vccz .LBB162_146
; %bb.112:
	v_add_co_u32 v1, vcc_lo, -4, v1
	v_add_co_ci_u32_e32 v2, vcc_lo, -1, v4, vcc_lo
	v_lshlrev_b32_e32 v4, 2, v0
	v_mov_b32_e32 v58, 0
	s_mov_b32 s4, exec_lo
	flat_load_b32 v5, v[1:2]
	v_mov_b32_e32 v2, 0
	ds_store_b32 v4, v57
	v_mov_b32_e32 v28, v2
	s_delay_alu instid0(VALU_DEP_1)
	v_cmpx_gt_u64_e64 s[0:1], v[27:28]
	s_cbranch_execz .LBB162_114
; %bb.113:
	v_cvt_i32_f32_e32 v1, v10
	v_cvt_i32_f32_e32 v6, v57
	s_delay_alu instid0(VALU_DEP_2) | instskip(NEXT) | instid1(VALU_DEP_2)
	v_mul_hi_i32 v1, 0x66666667, v1
	v_mul_hi_i32 v6, 0x66666667, v6
	s_delay_alu instid0(VALU_DEP_2) | instskip(SKIP_1) | instid1(VALU_DEP_3)
	v_lshrrev_b32_e32 v7, 31, v1
	v_ashrrev_i32_e32 v1, 2, v1
	v_lshrrev_b32_e32 v8, 31, v6
	v_ashrrev_i32_e32 v6, 2, v6
	s_delay_alu instid0(VALU_DEP_3) | instskip(NEXT) | instid1(VALU_DEP_2)
	v_add_nc_u32_e32 v1, v1, v7
	v_add_nc_u32_e32 v6, v6, v8
	s_delay_alu instid0(VALU_DEP_1)
	v_cmp_ne_u32_e32 vcc_lo, v1, v6
	v_cndmask_b32_e64 v58, 0, 1, vcc_lo
.LBB162_114:
	s_or_b32 exec_lo, exec_lo, s4
	v_add_nc_u32_e32 v1, 13, v3
	s_mov_b32 s4, exec_lo
	s_delay_alu instid0(VALU_DEP_1)
	v_cmpx_gt_u64_e64 s[0:1], v[1:2]
	s_cbranch_execz .LBB162_116
; %bb.115:
	v_cvt_i32_f32_e32 v1, v9
	v_cvt_i32_f32_e32 v2, v10
	s_delay_alu instid0(VALU_DEP_2) | instskip(NEXT) | instid1(VALU_DEP_2)
	v_mul_hi_i32 v1, 0x66666667, v1
	v_mul_hi_i32 v2, 0x66666667, v2
	s_delay_alu instid0(VALU_DEP_2) | instskip(SKIP_1) | instid1(VALU_DEP_3)
	v_lshrrev_b32_e32 v6, 31, v1
	v_ashrrev_i32_e32 v1, 2, v1
	v_lshrrev_b32_e32 v7, 31, v2
	v_ashrrev_i32_e32 v2, 2, v2
	s_delay_alu instid0(VALU_DEP_3) | instskip(NEXT) | instid1(VALU_DEP_2)
	v_add_nc_u32_e32 v1, v1, v6
	v_add_nc_u32_e32 v2, v2, v7
	s_delay_alu instid0(VALU_DEP_1)
	v_cmp_ne_u32_e32 vcc_lo, v1, v2
	v_cndmask_b32_e64 v2, 0, 1, vcc_lo
.LBB162_116:
	s_or_b32 exec_lo, exec_lo, s4
	v_dual_mov_b32 v24, 0 :: v_dual_add_nc_u32 v23, 12, v3
	v_mov_b32_e32 v59, 0
	s_mov_b32 s4, exec_lo
	s_delay_alu instid0(VALU_DEP_2)
	v_cmpx_gt_u64_e64 s[0:1], v[23:24]
	s_cbranch_execz .LBB162_118
; %bb.117:
	v_cvt_i32_f32_e32 v1, v12
	v_cvt_i32_f32_e32 v6, v9
	s_delay_alu instid0(VALU_DEP_2) | instskip(NEXT) | instid1(VALU_DEP_2)
	v_mul_hi_i32 v1, 0x66666667, v1
	v_mul_hi_i32 v6, 0x66666667, v6
	s_delay_alu instid0(VALU_DEP_2) | instskip(SKIP_1) | instid1(VALU_DEP_3)
	v_lshrrev_b32_e32 v7, 31, v1
	v_ashrrev_i32_e32 v1, 2, v1
	v_lshrrev_b32_e32 v8, 31, v6
	v_ashrrev_i32_e32 v6, 2, v6
	s_delay_alu instid0(VALU_DEP_3) | instskip(NEXT) | instid1(VALU_DEP_2)
	v_add_nc_u32_e32 v1, v1, v7
	v_add_nc_u32_e32 v6, v6, v8
	s_delay_alu instid0(VALU_DEP_1)
	v_cmp_ne_u32_e32 vcc_lo, v1, v6
	v_cndmask_b32_e64 v59, 0, 1, vcc_lo
.LBB162_118:
	s_or_b32 exec_lo, exec_lo, s4
	v_add_nc_u32_e32 v23, 11, v3
	s_mov_b32 s4, exec_lo
	s_delay_alu instid0(VALU_DEP_1)
	v_cmpx_gt_u64_e64 s[0:1], v[23:24]
	s_cbranch_execz .LBB162_120
; %bb.119:
	v_cvt_i32_f32_e32 v1, v11
	v_cvt_i32_f32_e32 v6, v12
	s_delay_alu instid0(VALU_DEP_2) | instskip(NEXT) | instid1(VALU_DEP_2)
	v_mul_hi_i32 v1, 0x66666667, v1
	v_mul_hi_i32 v6, 0x66666667, v6
	s_delay_alu instid0(VALU_DEP_2) | instskip(SKIP_1) | instid1(VALU_DEP_3)
	v_lshrrev_b32_e32 v7, 31, v1
	v_ashrrev_i32_e32 v1, 2, v1
	v_lshrrev_b32_e32 v8, 31, v6
	v_ashrrev_i32_e32 v6, 2, v6
	s_delay_alu instid0(VALU_DEP_3) | instskip(NEXT) | instid1(VALU_DEP_2)
	v_add_nc_u32_e32 v1, v1, v7
	v_add_nc_u32_e32 v6, v6, v8
	s_delay_alu instid0(VALU_DEP_1)
	v_cmp_ne_u32_e32 vcc_lo, v1, v6
	v_cndmask_b32_e64 v24, 0, 1, vcc_lo
.LBB162_120:
	s_or_b32 exec_lo, exec_lo, s4
	v_dual_mov_b32 v26, 0 :: v_dual_add_nc_u32 v25, 10, v3
	v_mov_b32_e32 v23, 0
	s_mov_b32 s4, exec_lo
	s_delay_alu instid0(VALU_DEP_2)
	v_cmpx_gt_u64_e64 s[0:1], v[25:26]
	s_cbranch_execz .LBB162_122
; %bb.121:
	v_cvt_i32_f32_e32 v1, v14
	v_cvt_i32_f32_e32 v6, v11
	s_delay_alu instid0(VALU_DEP_2) | instskip(NEXT) | instid1(VALU_DEP_2)
	v_mul_hi_i32 v1, 0x66666667, v1
	v_mul_hi_i32 v6, 0x66666667, v6
	s_delay_alu instid0(VALU_DEP_2) | instskip(SKIP_1) | instid1(VALU_DEP_3)
	v_lshrrev_b32_e32 v7, 31, v1
	v_ashrrev_i32_e32 v1, 2, v1
	v_lshrrev_b32_e32 v8, 31, v6
	v_ashrrev_i32_e32 v6, 2, v6
	s_delay_alu instid0(VALU_DEP_3) | instskip(NEXT) | instid1(VALU_DEP_2)
	v_add_nc_u32_e32 v1, v1, v7
	v_add_nc_u32_e32 v6, v6, v8
	s_delay_alu instid0(VALU_DEP_1)
	v_cmp_ne_u32_e32 vcc_lo, v1, v6
	v_cndmask_b32_e64 v23, 0, 1, vcc_lo
.LBB162_122:
	s_or_b32 exec_lo, exec_lo, s4
	v_add_nc_u32_e32 v25, 9, v3
	s_mov_b32 s4, exec_lo
	s_delay_alu instid0(VALU_DEP_1)
	v_cmpx_gt_u64_e64 s[0:1], v[25:26]
	s_cbranch_execz .LBB162_124
; %bb.123:
	v_cvt_i32_f32_e32 v1, v13
	v_cvt_i32_f32_e32 v6, v14
	s_delay_alu instid0(VALU_DEP_2) | instskip(NEXT) | instid1(VALU_DEP_2)
	v_mul_hi_i32 v1, 0x66666667, v1
	v_mul_hi_i32 v6, 0x66666667, v6
	s_delay_alu instid0(VALU_DEP_2) | instskip(SKIP_1) | instid1(VALU_DEP_3)
	v_lshrrev_b32_e32 v7, 31, v1
	v_ashrrev_i32_e32 v1, 2, v1
	v_lshrrev_b32_e32 v8, 31, v6
	v_ashrrev_i32_e32 v6, 2, v6
	s_delay_alu instid0(VALU_DEP_3) | instskip(NEXT) | instid1(VALU_DEP_2)
	v_add_nc_u32_e32 v1, v1, v7
	v_add_nc_u32_e32 v6, v6, v8
	s_delay_alu instid0(VALU_DEP_1)
	v_cmp_ne_u32_e32 vcc_lo, v1, v6
	v_cndmask_b32_e64 v26, 0, 1, vcc_lo
.LBB162_124:
	s_or_b32 exec_lo, exec_lo, s4
	v_dual_mov_b32 v30, 0 :: v_dual_add_nc_u32 v29, 8, v3
	v_mov_b32_e32 v25, 0
	s_mov_b32 s4, exec_lo
	s_delay_alu instid0(VALU_DEP_2)
	v_cmpx_gt_u64_e64 s[0:1], v[29:30]
	s_cbranch_execz .LBB162_126
; %bb.125:
	v_cvt_i32_f32_e32 v1, v16
	v_cvt_i32_f32_e32 v6, v13
	s_delay_alu instid0(VALU_DEP_2) | instskip(NEXT) | instid1(VALU_DEP_2)
	v_mul_hi_i32 v1, 0x66666667, v1
	v_mul_hi_i32 v6, 0x66666667, v6
	s_delay_alu instid0(VALU_DEP_2) | instskip(SKIP_1) | instid1(VALU_DEP_3)
	v_lshrrev_b32_e32 v7, 31, v1
	v_ashrrev_i32_e32 v1, 2, v1
	v_lshrrev_b32_e32 v8, 31, v6
	v_ashrrev_i32_e32 v6, 2, v6
	s_delay_alu instid0(VALU_DEP_3) | instskip(NEXT) | instid1(VALU_DEP_2)
	v_add_nc_u32_e32 v1, v1, v7
	v_add_nc_u32_e32 v6, v6, v8
	s_delay_alu instid0(VALU_DEP_1)
	v_cmp_ne_u32_e32 vcc_lo, v1, v6
	v_cndmask_b32_e64 v25, 0, 1, vcc_lo
.LBB162_126:
	s_or_b32 exec_lo, exec_lo, s4
	v_add_nc_u32_e32 v29, 7, v3
	s_mov_b32 s4, exec_lo
	s_delay_alu instid0(VALU_DEP_1)
	v_cmpx_gt_u64_e64 s[0:1], v[29:30]
	s_cbranch_execz .LBB162_128
; %bb.127:
	v_cvt_i32_f32_e32 v1, v15
	v_cvt_i32_f32_e32 v6, v16
	s_delay_alu instid0(VALU_DEP_2) | instskip(NEXT) | instid1(VALU_DEP_2)
	v_mul_hi_i32 v1, 0x66666667, v1
	v_mul_hi_i32 v6, 0x66666667, v6
	s_delay_alu instid0(VALU_DEP_2) | instskip(SKIP_1) | instid1(VALU_DEP_3)
	v_lshrrev_b32_e32 v7, 31, v1
	v_ashrrev_i32_e32 v1, 2, v1
	v_lshrrev_b32_e32 v8, 31, v6
	v_ashrrev_i32_e32 v6, 2, v6
	s_delay_alu instid0(VALU_DEP_3) | instskip(NEXT) | instid1(VALU_DEP_2)
	v_add_nc_u32_e32 v1, v1, v7
	v_add_nc_u32_e32 v6, v6, v8
	s_delay_alu instid0(VALU_DEP_1)
	v_cmp_ne_u32_e32 vcc_lo, v1, v6
	v_cndmask_b32_e64 v30, 0, 1, vcc_lo
.LBB162_128:
	s_or_b32 exec_lo, exec_lo, s4
	v_dual_mov_b32 v32, 0 :: v_dual_add_nc_u32 v31, 6, v3
	v_mov_b32_e32 v29, 0
	s_mov_b32 s4, exec_lo
	s_delay_alu instid0(VALU_DEP_2)
	v_cmpx_gt_u64_e64 s[0:1], v[31:32]
	s_cbranch_execz .LBB162_130
; %bb.129:
	v_cvt_i32_f32_e32 v1, v18
	v_cvt_i32_f32_e32 v6, v15
	s_delay_alu instid0(VALU_DEP_2) | instskip(NEXT) | instid1(VALU_DEP_2)
	v_mul_hi_i32 v1, 0x66666667, v1
	v_mul_hi_i32 v6, 0x66666667, v6
	s_delay_alu instid0(VALU_DEP_2) | instskip(SKIP_1) | instid1(VALU_DEP_3)
	v_lshrrev_b32_e32 v7, 31, v1
	v_ashrrev_i32_e32 v1, 2, v1
	v_lshrrev_b32_e32 v8, 31, v6
	v_ashrrev_i32_e32 v6, 2, v6
	s_delay_alu instid0(VALU_DEP_3) | instskip(NEXT) | instid1(VALU_DEP_2)
	v_add_nc_u32_e32 v1, v1, v7
	v_add_nc_u32_e32 v6, v6, v8
	s_delay_alu instid0(VALU_DEP_1)
	v_cmp_ne_u32_e32 vcc_lo, v1, v6
	v_cndmask_b32_e64 v29, 0, 1, vcc_lo
.LBB162_130:
	s_or_b32 exec_lo, exec_lo, s4
	v_add_nc_u32_e32 v31, 5, v3
	s_mov_b32 s4, exec_lo
	s_delay_alu instid0(VALU_DEP_1)
	v_cmpx_gt_u64_e64 s[0:1], v[31:32]
	s_cbranch_execz .LBB162_132
; %bb.131:
	v_cvt_i32_f32_e32 v1, v17
	v_cvt_i32_f32_e32 v6, v18
	s_delay_alu instid0(VALU_DEP_2) | instskip(NEXT) | instid1(VALU_DEP_2)
	v_mul_hi_i32 v1, 0x66666667, v1
	v_mul_hi_i32 v6, 0x66666667, v6
	s_delay_alu instid0(VALU_DEP_2) | instskip(SKIP_1) | instid1(VALU_DEP_3)
	v_lshrrev_b32_e32 v7, 31, v1
	v_ashrrev_i32_e32 v1, 2, v1
	v_lshrrev_b32_e32 v8, 31, v6
	v_ashrrev_i32_e32 v6, 2, v6
	s_delay_alu instid0(VALU_DEP_3) | instskip(NEXT) | instid1(VALU_DEP_2)
	v_add_nc_u32_e32 v1, v1, v7
	v_add_nc_u32_e32 v6, v6, v8
	s_delay_alu instid0(VALU_DEP_1)
	v_cmp_ne_u32_e32 vcc_lo, v1, v6
	v_cndmask_b32_e64 v32, 0, 1, vcc_lo
.LBB162_132:
	s_or_b32 exec_lo, exec_lo, s4
	v_dual_mov_b32 v34, 0 :: v_dual_add_nc_u32 v33, 4, v3
	v_mov_b32_e32 v31, 0
	s_mov_b32 s4, exec_lo
	s_delay_alu instid0(VALU_DEP_2)
	v_cmpx_gt_u64_e64 s[0:1], v[33:34]
	s_cbranch_execz .LBB162_134
; %bb.133:
	v_cvt_i32_f32_e32 v1, v20
	v_cvt_i32_f32_e32 v6, v17
	s_delay_alu instid0(VALU_DEP_2) | instskip(NEXT) | instid1(VALU_DEP_2)
	v_mul_hi_i32 v1, 0x66666667, v1
	v_mul_hi_i32 v6, 0x66666667, v6
	s_delay_alu instid0(VALU_DEP_2) | instskip(SKIP_1) | instid1(VALU_DEP_3)
	v_lshrrev_b32_e32 v7, 31, v1
	v_ashrrev_i32_e32 v1, 2, v1
	v_lshrrev_b32_e32 v8, 31, v6
	v_ashrrev_i32_e32 v6, 2, v6
	s_delay_alu instid0(VALU_DEP_3) | instskip(NEXT) | instid1(VALU_DEP_2)
	v_add_nc_u32_e32 v1, v1, v7
	v_add_nc_u32_e32 v6, v6, v8
	s_delay_alu instid0(VALU_DEP_1)
	v_cmp_ne_u32_e32 vcc_lo, v1, v6
	v_cndmask_b32_e64 v31, 0, 1, vcc_lo
.LBB162_134:
	s_or_b32 exec_lo, exec_lo, s4
	v_add_nc_u32_e32 v33, 3, v3
	s_mov_b32 s4, exec_lo
	s_delay_alu instid0(VALU_DEP_1)
	v_cmpx_gt_u64_e64 s[0:1], v[33:34]
	s_cbranch_execz .LBB162_136
; %bb.135:
	v_cvt_i32_f32_e32 v1, v19
	v_cvt_i32_f32_e32 v6, v20
	s_delay_alu instid0(VALU_DEP_2) | instskip(NEXT) | instid1(VALU_DEP_2)
	v_mul_hi_i32 v1, 0x66666667, v1
	v_mul_hi_i32 v6, 0x66666667, v6
	s_delay_alu instid0(VALU_DEP_2) | instskip(SKIP_1) | instid1(VALU_DEP_3)
	v_lshrrev_b32_e32 v7, 31, v1
	v_ashrrev_i32_e32 v1, 2, v1
	v_lshrrev_b32_e32 v8, 31, v6
	v_ashrrev_i32_e32 v6, 2, v6
	s_delay_alu instid0(VALU_DEP_3) | instskip(NEXT) | instid1(VALU_DEP_2)
	v_add_nc_u32_e32 v1, v1, v7
	v_add_nc_u32_e32 v6, v6, v8
	s_delay_alu instid0(VALU_DEP_1)
	v_cmp_ne_u32_e32 vcc_lo, v1, v6
	v_cndmask_b32_e64 v34, 0, 1, vcc_lo
.LBB162_136:
	s_or_b32 exec_lo, exec_lo, s4
	v_dual_mov_b32 v50, 0 :: v_dual_add_nc_u32 v49, 2, v3
	v_mov_b32_e32 v33, 0
	s_mov_b32 s4, exec_lo
	s_delay_alu instid0(VALU_DEP_2)
	v_cmpx_gt_u64_e64 s[0:1], v[49:50]
	s_cbranch_execz .LBB162_138
; %bb.137:
	v_cvt_i32_f32_e32 v1, v22
	v_cvt_i32_f32_e32 v6, v19
	s_delay_alu instid0(VALU_DEP_2) | instskip(NEXT) | instid1(VALU_DEP_2)
	v_mul_hi_i32 v1, 0x66666667, v1
	v_mul_hi_i32 v6, 0x66666667, v6
	s_delay_alu instid0(VALU_DEP_2) | instskip(SKIP_1) | instid1(VALU_DEP_3)
	v_lshrrev_b32_e32 v7, 31, v1
	v_ashrrev_i32_e32 v1, 2, v1
	v_lshrrev_b32_e32 v8, 31, v6
	v_ashrrev_i32_e32 v6, 2, v6
	s_delay_alu instid0(VALU_DEP_3) | instskip(NEXT) | instid1(VALU_DEP_2)
	v_add_nc_u32_e32 v1, v1, v7
	v_add_nc_u32_e32 v6, v6, v8
	s_delay_alu instid0(VALU_DEP_1)
	v_cmp_ne_u32_e32 vcc_lo, v1, v6
	v_cndmask_b32_e64 v33, 0, 1, vcc_lo
.LBB162_138:
	s_or_b32 exec_lo, exec_lo, s4
	v_add_nc_u32_e32 v49, 1, v3
	s_mov_b32 s4, exec_lo
	s_delay_alu instid0(VALU_DEP_1)
	v_cmpx_gt_u64_e64 s[0:1], v[49:50]
	s_cbranch_execz .LBB162_140
; %bb.139:
	v_cvt_i32_f32_e32 v1, v21
	v_cvt_i32_f32_e32 v6, v22
	s_delay_alu instid0(VALU_DEP_2) | instskip(NEXT) | instid1(VALU_DEP_2)
	v_mul_hi_i32 v1, 0x66666667, v1
	v_mul_hi_i32 v6, 0x66666667, v6
	s_delay_alu instid0(VALU_DEP_2) | instskip(SKIP_1) | instid1(VALU_DEP_3)
	v_lshrrev_b32_e32 v7, 31, v1
	v_ashrrev_i32_e32 v1, 2, v1
	v_lshrrev_b32_e32 v8, 31, v6
	v_ashrrev_i32_e32 v6, 2, v6
	s_delay_alu instid0(VALU_DEP_3) | instskip(NEXT) | instid1(VALU_DEP_2)
	v_add_nc_u32_e32 v1, v1, v7
	v_add_nc_u32_e32 v6, v6, v8
	s_delay_alu instid0(VALU_DEP_1)
	v_cmp_ne_u32_e32 vcc_lo, v1, v6
	v_cndmask_b32_e64 v50, 0, 1, vcc_lo
.LBB162_140:
	s_or_b32 exec_lo, exec_lo, s4
	s_waitcnt vmcnt(0) lgkmcnt(0)
	s_barrier
	buffer_gl0_inv
	s_and_saveexec_b32 s4, s3
	s_cbranch_execz .LBB162_142
; %bb.141:
	v_add_nc_u32_e32 v1, -4, v4
	ds_load_b32 v5, v1
.LBB162_142:
	s_or_b32 exec_lo, exec_lo, s4
	v_mov_b32_e32 v4, 0
	s_mov_b32 s5, 0
	s_mov_b32 s4, 0
	s_mov_b32 s6, exec_lo
	s_delay_alu instid0(VALU_DEP_1)
	v_cmpx_gt_u64_e64 s[0:1], v[3:4]
	s_cbranch_execz .LBB162_144
; %bb.143:
	s_waitcnt lgkmcnt(0)
	v_cvt_i32_f32_e32 v1, v5
	v_cvt_i32_f32_e32 v4, v21
	s_delay_alu instid0(VALU_DEP_2) | instskip(NEXT) | instid1(VALU_DEP_2)
	v_mul_hi_i32 v1, 0x66666667, v1
	v_mul_hi_i32 v4, 0x66666667, v4
	s_delay_alu instid0(VALU_DEP_2) | instskip(SKIP_1) | instid1(VALU_DEP_3)
	v_lshrrev_b32_e32 v5, 31, v1
	v_ashrrev_i32_e32 v1, 2, v1
	v_lshrrev_b32_e32 v6, 31, v4
	v_ashrrev_i32_e32 v4, 2, v4
	s_delay_alu instid0(VALU_DEP_3) | instskip(NEXT) | instid1(VALU_DEP_2)
	v_add_nc_u32_e32 v1, v1, v5
	v_add_nc_u32_e32 v4, v4, v6
	s_delay_alu instid0(VALU_DEP_1)
	v_cmp_ne_u32_e32 vcc_lo, v1, v4
	s_and_b32 s4, vcc_lo, exec_lo
.LBB162_144:
	s_or_b32 exec_lo, exec_lo, s6
	s_mov_b32 s15, -1
	s_and_b32 vcc_lo, exec_lo, s5
	s_cbranch_vccnz .LBB162_147
.LBB162_145:
                                        ; implicit-def: $vgpr28
                                        ; implicit-def: $sgpr0
	v_mov_b32_e32 v27, s0
	s_and_saveexec_b32 s0, s15
	s_cbranch_execz .LBB162_77
	s_branch .LBB162_76
.LBB162_146:
                                        ; implicit-def: $sgpr4
                                        ; implicit-def: $vgpr58
                                        ; implicit-def: $vgpr2
                                        ; implicit-def: $vgpr59
                                        ; implicit-def: $vgpr24
                                        ; implicit-def: $vgpr23
                                        ; implicit-def: $vgpr26
                                        ; implicit-def: $vgpr25
                                        ; implicit-def: $vgpr30
                                        ; implicit-def: $vgpr29
                                        ; implicit-def: $vgpr32
                                        ; implicit-def: $vgpr31
                                        ; implicit-def: $vgpr34
                                        ; implicit-def: $vgpr33
                                        ; implicit-def: $vgpr50
	s_cbranch_execz .LBB162_145
.LBB162_147:
	v_dual_mov_b32 v28, 0 :: v_dual_lshlrev_b32 v1, 2, v0
	v_mov_b32_e32 v58, 0
	s_mov_b32 s4, exec_lo
	ds_store_b32 v1, v57
	v_cmpx_gt_u64_e64 s[0:1], v[27:28]
	s_cbranch_execz .LBB162_149
; %bb.148:
	v_cvt_i32_f32_e32 v2, v10
	v_cvt_i32_f32_e32 v4, v57
	s_delay_alu instid0(VALU_DEP_2) | instskip(NEXT) | instid1(VALU_DEP_2)
	v_mul_hi_i32 v2, 0x66666667, v2
	v_mul_hi_i32 v4, 0x66666667, v4
	s_waitcnt lgkmcnt(1)
	s_delay_alu instid0(VALU_DEP_2) | instskip(SKIP_1) | instid1(VALU_DEP_3)
	v_lshrrev_b32_e32 v5, 31, v2
	v_ashrrev_i32_e32 v2, 2, v2
	v_lshrrev_b32_e32 v6, 31, v4
	v_ashrrev_i32_e32 v4, 2, v4
	s_delay_alu instid0(VALU_DEP_3) | instskip(NEXT) | instid1(VALU_DEP_2)
	v_add_nc_u32_e32 v2, v2, v5
	v_add_nc_u32_e32 v4, v4, v6
	s_delay_alu instid0(VALU_DEP_1)
	v_cmp_ne_u32_e32 vcc_lo, v2, v4
	v_cndmask_b32_e64 v58, 0, 1, vcc_lo
.LBB162_149:
	s_or_b32 exec_lo, exec_lo, s4
	v_add_nc_u32_e32 v27, 13, v3
	s_mov_b32 s4, exec_lo
	s_delay_alu instid0(VALU_DEP_1)
	v_cmpx_gt_u64_e64 s[0:1], v[27:28]
	s_cbranch_execz .LBB162_151
; %bb.150:
	v_cvt_i32_f32_e32 v2, v9
	v_cvt_i32_f32_e32 v4, v10
	s_delay_alu instid0(VALU_DEP_2) | instskip(NEXT) | instid1(VALU_DEP_2)
	v_mul_hi_i32 v2, 0x66666667, v2
	v_mul_hi_i32 v4, 0x66666667, v4
	s_waitcnt lgkmcnt(1)
	s_delay_alu instid0(VALU_DEP_2) | instskip(SKIP_1) | instid1(VALU_DEP_3)
	v_lshrrev_b32_e32 v5, 31, v2
	v_ashrrev_i32_e32 v2, 2, v2
	v_lshrrev_b32_e32 v6, 31, v4
	v_ashrrev_i32_e32 v4, 2, v4
	s_delay_alu instid0(VALU_DEP_3) | instskip(NEXT) | instid1(VALU_DEP_2)
	v_add_nc_u32_e32 v2, v2, v5
	v_add_nc_u32_e32 v4, v4, v6
	s_delay_alu instid0(VALU_DEP_1)
	v_cmp_ne_u32_e32 vcc_lo, v2, v4
	v_cndmask_b32_e64 v28, 0, 1, vcc_lo
.LBB162_151:
	s_or_b32 exec_lo, exec_lo, s4
	v_dual_mov_b32 v24, 0 :: v_dual_add_nc_u32 v23, 12, v3
	v_mov_b32_e32 v59, 0
	s_mov_b32 s4, exec_lo
	s_delay_alu instid0(VALU_DEP_2)
	v_cmpx_gt_u64_e64 s[0:1], v[23:24]
	s_cbranch_execz .LBB162_153
; %bb.152:
	v_cvt_i32_f32_e32 v2, v12
	v_cvt_i32_f32_e32 v4, v9
	s_delay_alu instid0(VALU_DEP_2) | instskip(NEXT) | instid1(VALU_DEP_2)
	v_mul_hi_i32 v2, 0x66666667, v2
	v_mul_hi_i32 v4, 0x66666667, v4
	s_waitcnt lgkmcnt(1)
	s_delay_alu instid0(VALU_DEP_2) | instskip(SKIP_1) | instid1(VALU_DEP_3)
	v_lshrrev_b32_e32 v5, 31, v2
	v_ashrrev_i32_e32 v2, 2, v2
	v_lshrrev_b32_e32 v6, 31, v4
	v_ashrrev_i32_e32 v4, 2, v4
	s_delay_alu instid0(VALU_DEP_3) | instskip(NEXT) | instid1(VALU_DEP_2)
	v_add_nc_u32_e32 v2, v2, v5
	v_add_nc_u32_e32 v4, v4, v6
	s_delay_alu instid0(VALU_DEP_1)
	v_cmp_ne_u32_e32 vcc_lo, v2, v4
	v_cndmask_b32_e64 v59, 0, 1, vcc_lo
.LBB162_153:
	s_or_b32 exec_lo, exec_lo, s4
	v_add_nc_u32_e32 v23, 11, v3
	s_mov_b32 s4, exec_lo
	s_delay_alu instid0(VALU_DEP_1)
	v_cmpx_gt_u64_e64 s[0:1], v[23:24]
	s_cbranch_execz .LBB162_155
; %bb.154:
	v_cvt_i32_f32_e32 v2, v11
	v_cvt_i32_f32_e32 v4, v12
	s_delay_alu instid0(VALU_DEP_2) | instskip(NEXT) | instid1(VALU_DEP_2)
	v_mul_hi_i32 v2, 0x66666667, v2
	v_mul_hi_i32 v4, 0x66666667, v4
	s_waitcnt lgkmcnt(1)
	s_delay_alu instid0(VALU_DEP_2) | instskip(SKIP_1) | instid1(VALU_DEP_3)
	v_lshrrev_b32_e32 v5, 31, v2
	v_ashrrev_i32_e32 v2, 2, v2
	v_lshrrev_b32_e32 v6, 31, v4
	v_ashrrev_i32_e32 v4, 2, v4
	s_delay_alu instid0(VALU_DEP_3) | instskip(NEXT) | instid1(VALU_DEP_2)
	v_add_nc_u32_e32 v2, v2, v5
	v_add_nc_u32_e32 v4, v4, v6
	s_delay_alu instid0(VALU_DEP_1)
	v_cmp_ne_u32_e32 vcc_lo, v2, v4
	v_cndmask_b32_e64 v24, 0, 1, vcc_lo
.LBB162_155:
	s_or_b32 exec_lo, exec_lo, s4
	v_dual_mov_b32 v26, 0 :: v_dual_add_nc_u32 v25, 10, v3
	v_mov_b32_e32 v23, 0
	s_mov_b32 s4, exec_lo
	s_delay_alu instid0(VALU_DEP_2)
	;; [unrolled: 51-line block ×6, first 2 shown]
	v_cmpx_gt_u64_e64 s[0:1], v[49:50]
	s_cbranch_execz .LBB162_173
; %bb.172:
	v_cvt_i32_f32_e32 v2, v22
	v_cvt_i32_f32_e32 v4, v19
	s_delay_alu instid0(VALU_DEP_2) | instskip(NEXT) | instid1(VALU_DEP_2)
	v_mul_hi_i32 v2, 0x66666667, v2
	v_mul_hi_i32 v4, 0x66666667, v4
	s_waitcnt lgkmcnt(1)
	s_delay_alu instid0(VALU_DEP_2) | instskip(SKIP_1) | instid1(VALU_DEP_3)
	v_lshrrev_b32_e32 v5, 31, v2
	v_ashrrev_i32_e32 v2, 2, v2
	v_lshrrev_b32_e32 v6, 31, v4
	v_ashrrev_i32_e32 v4, 2, v4
	s_delay_alu instid0(VALU_DEP_3) | instskip(NEXT) | instid1(VALU_DEP_2)
	v_add_nc_u32_e32 v2, v2, v5
	v_add_nc_u32_e32 v4, v4, v6
	s_delay_alu instid0(VALU_DEP_1)
	v_cmp_ne_u32_e32 vcc_lo, v2, v4
	v_cndmask_b32_e64 v33, 0, 1, vcc_lo
.LBB162_173:
	s_or_b32 exec_lo, exec_lo, s4
	v_add_nc_u32_e32 v49, 1, v3
	s_mov_b32 s4, exec_lo
	s_delay_alu instid0(VALU_DEP_1)
	v_cmpx_gt_u64_e64 s[0:1], v[49:50]
	s_cbranch_execz .LBB162_175
; %bb.174:
	v_cvt_i32_f32_e32 v2, v21
	v_cvt_i32_f32_e32 v4, v22
	s_delay_alu instid0(VALU_DEP_2) | instskip(NEXT) | instid1(VALU_DEP_2)
	v_mul_hi_i32 v2, 0x66666667, v2
	v_mul_hi_i32 v4, 0x66666667, v4
	s_waitcnt lgkmcnt(1)
	s_delay_alu instid0(VALU_DEP_2) | instskip(SKIP_1) | instid1(VALU_DEP_3)
	v_lshrrev_b32_e32 v5, 31, v2
	v_ashrrev_i32_e32 v2, 2, v2
	v_lshrrev_b32_e32 v6, 31, v4
	v_ashrrev_i32_e32 v4, 2, v4
	s_delay_alu instid0(VALU_DEP_3) | instskip(NEXT) | instid1(VALU_DEP_2)
	v_add_nc_u32_e32 v2, v2, v5
	v_add_nc_u32_e32 v4, v4, v6
	s_delay_alu instid0(VALU_DEP_1)
	v_cmp_ne_u32_e32 vcc_lo, v2, v4
	v_cndmask_b32_e64 v50, 0, 1, vcc_lo
.LBB162_175:
	s_or_b32 exec_lo, exec_lo, s4
	s_waitcnt lgkmcnt(0)
	s_barrier
	buffer_gl0_inv
                                        ; implicit-def: $sgpr4
	s_and_saveexec_b32 s5, s3
	s_cbranch_execz .LBB162_179
; %bb.176:
	v_mov_b32_e32 v4, 0
	s_delay_alu instid0(VALU_DEP_1)
	v_cmp_gt_u64_e32 vcc_lo, s[0:1], v[3:4]
	s_mov_b32 s1, 0
	s_and_saveexec_b32 s0, vcc_lo
	s_cbranch_execz .LBB162_178
; %bb.177:
	v_add_nc_u32_e32 v1, -4, v1
	v_cvt_i32_f32_e32 v2, v21
	ds_load_b32 v1, v1
	v_mul_hi_i32 v2, 0x66666667, v2
	s_delay_alu instid0(VALU_DEP_1) | instskip(SKIP_1) | instid1(VALU_DEP_1)
	v_lshrrev_b32_e32 v3, 31, v2
	v_ashrrev_i32_e32 v2, 2, v2
	v_add_nc_u32_e32 v2, v2, v3
	s_waitcnt lgkmcnt(0)
	v_cvt_i32_f32_e32 v1, v1
	s_delay_alu instid0(VALU_DEP_1) | instskip(NEXT) | instid1(VALU_DEP_1)
	v_mul_hi_i32 v1, 0x66666667, v1
	v_lshrrev_b32_e32 v4, 31, v1
	v_ashrrev_i32_e32 v1, 2, v1
	s_delay_alu instid0(VALU_DEP_1) | instskip(NEXT) | instid1(VALU_DEP_1)
	v_add_nc_u32_e32 v1, v1, v4
	v_cmp_ne_u32_e32 vcc_lo, v1, v2
	s_and_b32 s1, vcc_lo, exec_lo
.LBB162_178:
	s_or_b32 exec_lo, exec_lo, s0
	s_delay_alu instid0(SALU_CYCLE_1)
	s_and_b32 s4, s1, exec_lo
	s_or_b32 s15, s15, exec_lo
.LBB162_179:
	s_or_b32 exec_lo, exec_lo, s5
	v_mov_b32_e32 v2, v28
	s_mov_b32 s0, 1
	s_delay_alu instid0(SALU_CYCLE_1)
	v_mov_b32_e32 v27, s0
	s_and_saveexec_b32 s0, s15
	s_cbranch_execnz .LBB162_76
	s_branch .LBB162_77
.LBB162_180:
	v_lshlrev_b32_e32 v6, 16, v49
	v_lshlrev_b32_e32 v5, 8, v5
	v_cndmask_b32_e64 v7, 0, 1, vcc_lo
	v_and_b32_e32 v2, 0xff, v2
	s_delay_alu instid0(VALU_DEP_4) | instskip(NEXT) | instid1(VALU_DEP_4)
	v_perm_b32 v6, v8, v6, 0x4020c0c
	v_and_b32_e32 v5, 0xff00, v5
	s_delay_alu instid0(VALU_DEP_4) | instskip(NEXT) | instid1(VALU_DEP_2)
	v_readfirstlane_b32 s15, v7
	v_or3_b32 v2, v6, v5, v2
	s_delay_alu instid0(VALU_DEP_2)
	s_sub_i32 s24, s24, s15
.LBB162_181:
	v_and_b32_e32 v4, 0xff, v4
	s_delay_alu instid0(VALU_DEP_1)
	v_cmp_eq_u16_e32 vcc_lo, 2, v4
	s_cbranch_vccz .LBB162_186
; %bb.182:
	s_ctz_i32_b32 s15, vcc_lo
	s_delay_alu instid0(SALU_CYCLE_1)
	s_cmp_eq_u32 s15, 0
	s_cbranch_scc1 .LBB162_187
; %bb.183:
	v_cmp_ne_u32_e32 vcc_lo, 31, v72
	v_add_co_ci_u32_e32 v4, vcc_lo, 0, v72, vcc_lo
	v_cmp_eq_u32_e32 vcc_lo, 0, v2
	s_delay_alu instid0(VALU_DEP_2)
	v_dual_mov_b32 v5, v3 :: v_dual_lshlrev_b32 v6, 2, v4
	v_mov_b32_e32 v4, v2
.LBB162_184:                            ; =>This Inner Loop Header: Depth=1
	ds_bpermute_b32 v5, v6, v5
	ds_bpermute_b32 v4, v6, v4
	s_add_i32 s15, s15, -1
	s_delay_alu instid0(SALU_CYCLE_1) | instskip(SKIP_2) | instid1(VALU_DEP_1)
	s_cmp_lg_u32 s15, 0
	s_waitcnt lgkmcnt(0)
	v_dual_add_f32 v5, v3, v5 :: v_dual_add_nc_u32 v4, v4, v2
	v_cndmask_b32_e32 v5, v3, v5, vcc_lo
	s_cbranch_scc1 .LBB162_184
; %bb.185:
	s_cmp_lt_i32 s24, 1
	s_cbranch_scc0 .LBB162_188
	s_branch .LBB162_190
.LBB162_186:
	s_mov_b32 s24, 0
	s_mov_b32 s15, -1
	s_branch .LBB162_195
.LBB162_187:
	v_dual_mov_b32 v5, v3 :: v_dual_mov_b32 v4, v2
	s_cmp_lt_i32 s24, 1
	s_cbranch_scc1 .LBB162_190
.LBB162_188:
	s_lshl_b32 s15, s24, 3
	s_delay_alu instid0(SALU_CYCLE_1) | instskip(SKIP_1) | instid1(VALU_DEP_1)
	v_add_nc_u32_e64 v2, s15, 0
	s_add_i32 s15, s24, 1
	v_add_nc_u32_e32 v2, -4, v2
.LBB162_189:                            ; =>This Inner Loop Header: Depth=1
	scratch_load_b64 v[6:7], v2, off offset:-4
	v_readlane_b32 s24, v5, 32
	s_add_i32 s15, s15, -1
	v_add_nc_u32_e32 v2, -8, v2
	s_cmp_gt_u32 s15, 1
	s_waitcnt vmcnt(0)
	v_add_f32_e32 v3, s24, v7
	v_readlane_b32 s24, v4, 32
	v_cmp_eq_u32_e32 vcc_lo, 0, v6
	s_delay_alu instid0(VALU_DEP_2) | instskip(NEXT) | instid1(VALU_DEP_1)
	v_add_nc_u32_e32 v4, s24, v6
	v_mov_b32_dpp v4, v4 row_shl:1 row_mask:0xf bank_mask:0xf
	s_delay_alu instid0(VALU_DEP_1) | instskip(NEXT) | instid1(VALU_DEP_1)
	v_dual_cndmask_b32 v3, v7, v3 :: v_dual_add_nc_u32 v4, v4, v6
	v_mov_b32_dpp v3, v3 row_shl:1 row_mask:0xf bank_mask:0xf
	s_delay_alu instid0(VALU_DEP_2) | instskip(NEXT) | instid1(VALU_DEP_1)
	v_mov_b32_dpp v4, v4 row_shl:1 row_mask:0xf bank_mask:0xf
	v_dual_add_f32 v3, v7, v3 :: v_dual_add_nc_u32 v4, v4, v6
	s_delay_alu instid0(VALU_DEP_1) | instskip(NEXT) | instid1(VALU_DEP_1)
	v_mov_b32_dpp v4, v4 row_shl:1 row_mask:0xf bank_mask:0xf
	v_dual_cndmask_b32 v3, v7, v3 :: v_dual_add_nc_u32 v4, v4, v6
	s_delay_alu instid0(VALU_DEP_1) | instskip(NEXT) | instid1(VALU_DEP_2)
	v_mov_b32_dpp v3, v3 row_shl:1 row_mask:0xf bank_mask:0xf
	v_mov_b32_dpp v4, v4 row_shl:1 row_mask:0xf bank_mask:0xf
	s_delay_alu instid0(VALU_DEP_1) | instskip(NEXT) | instid1(VALU_DEP_1)
	v_dual_add_f32 v3, v7, v3 :: v_dual_add_nc_u32 v4, v4, v6
	v_mov_b32_dpp v4, v4 row_shl:1 row_mask:0xf bank_mask:0xf
	s_delay_alu instid0(VALU_DEP_1) | instskip(NEXT) | instid1(VALU_DEP_1)
	v_dual_cndmask_b32 v3, v7, v3 :: v_dual_add_nc_u32 v4, v4, v6
	v_mov_b32_dpp v3, v3 row_shl:1 row_mask:0xf bank_mask:0xf
	s_delay_alu instid0(VALU_DEP_2) | instskip(NEXT) | instid1(VALU_DEP_1)
	v_mov_b32_dpp v4, v4 row_shl:1 row_mask:0xf bank_mask:0xf
	v_dual_add_f32 v3, v7, v3 :: v_dual_add_nc_u32 v4, v4, v6
	s_delay_alu instid0(VALU_DEP_1) | instskip(NEXT) | instid1(VALU_DEP_1)
	v_mov_b32_dpp v4, v4 row_shl:1 row_mask:0xf bank_mask:0xf
	v_dual_cndmask_b32 v3, v7, v3 :: v_dual_add_nc_u32 v4, v4, v6
	s_delay_alu instid0(VALU_DEP_1) | instskip(NEXT) | instid1(VALU_DEP_2)
	v_mov_b32_dpp v3, v3 row_shl:1 row_mask:0xf bank_mask:0xf
	v_mov_b32_dpp v4, v4 row_shl:1 row_mask:0xf bank_mask:0xf
	s_delay_alu instid0(VALU_DEP_2) | instskip(NEXT) | instid1(VALU_DEP_1)
	v_add_f32_e32 v3, v7, v3
	v_cndmask_b32_e32 v3, v7, v3, vcc_lo
	s_delay_alu instid0(VALU_DEP_1) | instskip(NEXT) | instid1(VALU_DEP_1)
	v_mov_b32_dpp v3, v3 row_shl:1 row_mask:0xf bank_mask:0xf
	v_add_f32_e32 v3, v7, v3
	s_delay_alu instid0(VALU_DEP_1) | instskip(NEXT) | instid1(VALU_DEP_1)
	v_cndmask_b32_e32 v3, v7, v3, vcc_lo
	v_mov_b32_dpp v3, v3 row_shl:1 row_mask:0xf bank_mask:0xf
	s_delay_alu instid0(VALU_DEP_1) | instskip(NEXT) | instid1(VALU_DEP_1)
	v_add_f32_e32 v3, v7, v3
	v_cndmask_b32_e32 v3, v7, v3, vcc_lo
	s_delay_alu instid0(VALU_DEP_1) | instskip(NEXT) | instid1(VALU_DEP_1)
	v_mov_b32_dpp v3, v3 row_shl:1 row_mask:0xf bank_mask:0xf
	v_add_f32_e32 v3, v7, v3
	s_delay_alu instid0(VALU_DEP_1) | instskip(NEXT) | instid1(VALU_DEP_1)
	v_cndmask_b32_e32 v3, v7, v3, vcc_lo
	v_mov_b32_dpp v3, v3 row_shl:1 row_mask:0xf bank_mask:0xf
	s_delay_alu instid0(VALU_DEP_1) | instskip(NEXT) | instid1(VALU_DEP_1)
	v_add_f32_e32 v3, v7, v3
	v_cndmask_b32_e32 v3, v7, v3, vcc_lo
	s_delay_alu instid0(VALU_DEP_1) | instskip(NEXT) | instid1(VALU_DEP_1)
	v_mov_b32_dpp v3, v3 row_shl:1 row_mask:0xf bank_mask:0xf
	v_add_f32_e32 v3, v7, v3
	s_delay_alu instid0(VALU_DEP_1) | instskip(NEXT) | instid1(VALU_DEP_1)
	v_cndmask_b32_e32 v3, v7, v3, vcc_lo
	v_mov_b32_dpp v3, v3 row_shl:1 row_mask:0xf bank_mask:0xf
	s_delay_alu instid0(VALU_DEP_1) | instskip(NEXT) | instid1(VALU_DEP_1)
	v_add_f32_e32 v3, v7, v3
	v_cndmask_b32_e32 v3, v7, v3, vcc_lo
	s_delay_alu instid0(VALU_DEP_1) | instskip(NEXT) | instid1(VALU_DEP_1)
	v_mov_b32_dpp v3, v3 row_shl:1 row_mask:0xf bank_mask:0xf
	v_add_f32_e32 v3, v7, v3
	s_delay_alu instid0(VALU_DEP_1) | instskip(NEXT) | instid1(VALU_DEP_1)
	v_cndmask_b32_e32 v3, v7, v3, vcc_lo
	v_mov_b32_dpp v3, v3 row_shl:1 row_mask:0xf bank_mask:0xf
	s_delay_alu instid0(VALU_DEP_1) | instskip(NEXT) | instid1(VALU_DEP_1)
	v_add_f32_e32 v3, v7, v3
	v_cndmask_b32_e32 v3, v7, v3, vcc_lo
	s_delay_alu instid0(VALU_DEP_1) | instskip(NEXT) | instid1(VALU_DEP_1)
	v_mov_b32_dpp v3, v3 row_shl:1 row_mask:0xf bank_mask:0xf
	v_add_f32_e32 v3, v7, v3
	s_delay_alu instid0(VALU_DEP_1) | instskip(NEXT) | instid1(VALU_DEP_1)
	v_cndmask_b32_e32 v3, v7, v3, vcc_lo
	v_mov_b32_dpp v3, v3 row_shl:1 row_mask:0xf bank_mask:0xf
	s_delay_alu instid0(VALU_DEP_1) | instskip(NEXT) | instid1(VALU_DEP_1)
	v_add_f32_e32 v3, v7, v3
	v_cndmask_b32_e32 v3, v7, v3, vcc_lo
	s_delay_alu instid0(VALU_DEP_1) | instskip(NEXT) | instid1(VALU_DEP_1)
	v_mov_b32_dpp v3, v3 row_shl:1 row_mask:0xf bank_mask:0xf
	v_add_f32_e32 v3, v7, v3
	s_delay_alu instid0(VALU_DEP_1) | instskip(NEXT) | instid1(VALU_DEP_1)
	v_cndmask_b32_e32 v3, v7, v3, vcc_lo
	v_readlane_b32 s24, v3, 16
	s_delay_alu instid0(VALU_DEP_1) | instskip(NEXT) | instid1(VALU_DEP_1)
	v_dual_add_f32 v4, s24, v7 :: v_dual_add_nc_u32 v3, v4, v6
	v_mov_b32_dpp v3, v3 row_shl:1 row_mask:0xf bank_mask:0xf
	s_delay_alu instid0(VALU_DEP_2) | instskip(NEXT) | instid1(VALU_DEP_2)
	v_cndmask_b32_e32 v4, v7, v4, vcc_lo
	v_add_nc_u32_e32 v3, v3, v6
	s_delay_alu instid0(VALU_DEP_2) | instskip(NEXT) | instid1(VALU_DEP_2)
	v_mov_b32_dpp v4, v4 row_shl:1 row_mask:0xf bank_mask:0xf
	v_mov_b32_dpp v3, v3 row_shl:1 row_mask:0xf bank_mask:0xf
	s_delay_alu instid0(VALU_DEP_2) | instskip(NEXT) | instid1(VALU_DEP_2)
	v_add_f32_e32 v4, v7, v4
	v_add_nc_u32_e32 v3, v3, v6
	s_delay_alu instid0(VALU_DEP_2) | instskip(NEXT) | instid1(VALU_DEP_2)
	v_cndmask_b32_e32 v4, v7, v4, vcc_lo
	v_mov_b32_dpp v3, v3 row_shl:1 row_mask:0xf bank_mask:0xf
	s_delay_alu instid0(VALU_DEP_2) | instskip(NEXT) | instid1(VALU_DEP_2)
	v_mov_b32_dpp v4, v4 row_shl:1 row_mask:0xf bank_mask:0xf
	v_add_nc_u32_e32 v3, v3, v6
	s_delay_alu instid0(VALU_DEP_2) | instskip(NEXT) | instid1(VALU_DEP_2)
	v_add_f32_e32 v4, v7, v4
	v_mov_b32_dpp v3, v3 row_shl:1 row_mask:0xf bank_mask:0xf
	s_delay_alu instid0(VALU_DEP_2) | instskip(NEXT) | instid1(VALU_DEP_2)
	v_cndmask_b32_e32 v4, v7, v4, vcc_lo
	v_add_nc_u32_e32 v3, v3, v6
	s_delay_alu instid0(VALU_DEP_2) | instskip(NEXT) | instid1(VALU_DEP_2)
	v_mov_b32_dpp v4, v4 row_shl:1 row_mask:0xf bank_mask:0xf
	v_mov_b32_dpp v3, v3 row_shl:1 row_mask:0xf bank_mask:0xf
	s_delay_alu instid0(VALU_DEP_2) | instskip(NEXT) | instid1(VALU_DEP_2)
	v_add_f32_e32 v4, v7, v4
	v_add_nc_u32_e32 v3, v3, v6
	s_delay_alu instid0(VALU_DEP_2) | instskip(NEXT) | instid1(VALU_DEP_2)
	v_cndmask_b32_e32 v4, v7, v4, vcc_lo
	v_mov_b32_dpp v3, v3 row_shl:1 row_mask:0xf bank_mask:0xf
	s_delay_alu instid0(VALU_DEP_2) | instskip(NEXT) | instid1(VALU_DEP_2)
	v_mov_b32_dpp v4, v4 row_shl:1 row_mask:0xf bank_mask:0xf
	v_add_nc_u32_e32 v3, v3, v6
	s_delay_alu instid0(VALU_DEP_2) | instskip(NEXT) | instid1(VALU_DEP_2)
	v_add_f32_e32 v4, v7, v4
	v_mov_b32_dpp v3, v3 row_shl:1 row_mask:0xf bank_mask:0xf
	s_delay_alu instid0(VALU_DEP_2) | instskip(NEXT) | instid1(VALU_DEP_2)
	v_cndmask_b32_e32 v4, v7, v4, vcc_lo
	v_add_nc_u32_e32 v3, v3, v6
	s_delay_alu instid0(VALU_DEP_2) | instskip(NEXT) | instid1(VALU_DEP_2)
	v_mov_b32_dpp v4, v4 row_shl:1 row_mask:0xf bank_mask:0xf
	v_readlane_b32 s24, v3, 16
	s_delay_alu instid0(VALU_DEP_1) | instskip(NEXT) | instid1(VALU_DEP_1)
	v_dual_add_f32 v3, v7, v4 :: v_dual_add_nc_u32 v4, s24, v6
	v_cndmask_b32_e32 v3, v7, v3, vcc_lo
	s_delay_alu instid0(VALU_DEP_2) | instskip(NEXT) | instid1(VALU_DEP_2)
	v_mov_b32_dpp v4, v4 row_shl:1 row_mask:0xf bank_mask:0xf
	v_mov_b32_dpp v3, v3 row_shl:1 row_mask:0xf bank_mask:0xf
	s_delay_alu instid0(VALU_DEP_1) | instskip(NEXT) | instid1(VALU_DEP_1)
	v_dual_add_f32 v3, v7, v3 :: v_dual_add_nc_u32 v4, v4, v6
	v_mov_b32_dpp v4, v4 row_shl:1 row_mask:0xf bank_mask:0xf
	s_delay_alu instid0(VALU_DEP_1) | instskip(NEXT) | instid1(VALU_DEP_1)
	v_dual_cndmask_b32 v3, v7, v3 :: v_dual_add_nc_u32 v4, v4, v6
	v_mov_b32_dpp v3, v3 row_shl:1 row_mask:0xf bank_mask:0xf
	s_delay_alu instid0(VALU_DEP_2) | instskip(NEXT) | instid1(VALU_DEP_1)
	v_mov_b32_dpp v4, v4 row_shl:1 row_mask:0xf bank_mask:0xf
	v_dual_add_f32 v3, v7, v3 :: v_dual_add_nc_u32 v4, v4, v6
	s_delay_alu instid0(VALU_DEP_1) | instskip(NEXT) | instid1(VALU_DEP_2)
	v_cndmask_b32_e32 v3, v7, v3, vcc_lo
	v_mov_b32_dpp v4, v4 row_shl:1 row_mask:0xf bank_mask:0xf
	s_delay_alu instid0(VALU_DEP_2) | instskip(NEXT) | instid1(VALU_DEP_1)
	v_mov_b32_dpp v3, v3 row_shl:1 row_mask:0xf bank_mask:0xf
	v_dual_add_f32 v3, v7, v3 :: v_dual_add_nc_u32 v4, v4, v6
	s_delay_alu instid0(VALU_DEP_1) | instskip(NEXT) | instid1(VALU_DEP_1)
	v_mov_b32_dpp v4, v4 row_shl:1 row_mask:0xf bank_mask:0xf
	v_dual_cndmask_b32 v3, v7, v3 :: v_dual_add_nc_u32 v4, v4, v6
	s_delay_alu instid0(VALU_DEP_1) | instskip(NEXT) | instid1(VALU_DEP_2)
	v_mov_b32_dpp v3, v3 row_shl:1 row_mask:0xf bank_mask:0xf
	v_mov_b32_dpp v4, v4 row_shl:1 row_mask:0xf bank_mask:0xf
	s_delay_alu instid0(VALU_DEP_1) | instskip(NEXT) | instid1(VALU_DEP_1)
	v_dual_add_f32 v3, v7, v3 :: v_dual_add_nc_u32 v4, v4, v6
	v_cndmask_b32_e32 v3, v7, v3, vcc_lo
	s_delay_alu instid0(VALU_DEP_2) | instskip(NEXT) | instid1(VALU_DEP_2)
	v_mov_b32_dpp v4, v4 row_shl:1 row_mask:0xf bank_mask:0xf
	v_mov_b32_dpp v3, v3 row_shl:1 row_mask:0xf bank_mask:0xf
	s_delay_alu instid0(VALU_DEP_1) | instskip(NEXT) | instid1(VALU_DEP_1)
	v_dual_add_f32 v3, v7, v3 :: v_dual_add_nc_u32 v4, v4, v6
	v_mov_b32_dpp v4, v4 row_shl:1 row_mask:0xf bank_mask:0xf
	s_delay_alu instid0(VALU_DEP_1) | instskip(NEXT) | instid1(VALU_DEP_1)
	v_dual_cndmask_b32 v3, v7, v3 :: v_dual_add_nc_u32 v4, v4, v6
	v_mov_b32_dpp v3, v3 row_shl:1 row_mask:0xf bank_mask:0xf
	s_delay_alu instid0(VALU_DEP_2) | instskip(NEXT) | instid1(VALU_DEP_1)
	v_mov_b32_dpp v4, v4 row_shl:1 row_mask:0xf bank_mask:0xf
	v_dual_add_f32 v3, v7, v3 :: v_dual_add_nc_u32 v4, v4, v6
	s_delay_alu instid0(VALU_DEP_1) | instskip(NEXT) | instid1(VALU_DEP_2)
	v_cndmask_b32_e32 v3, v7, v3, vcc_lo
	v_mov_b32_dpp v4, v4 row_shl:1 row_mask:0xf bank_mask:0xf
	s_delay_alu instid0(VALU_DEP_2) | instskip(NEXT) | instid1(VALU_DEP_1)
	v_mov_b32_dpp v3, v3 row_shl:1 row_mask:0xf bank_mask:0xf
	v_dual_add_f32 v3, v7, v3 :: v_dual_add_nc_u32 v4, v4, v6
	s_delay_alu instid0(VALU_DEP_1) | instskip(NEXT) | instid1(VALU_DEP_1)
	v_mov_b32_dpp v4, v4 row_shl:1 row_mask:0xf bank_mask:0xf
	v_dual_cndmask_b32 v3, v7, v3 :: v_dual_add_nc_u32 v4, v4, v6
	s_delay_alu instid0(VALU_DEP_1) | instskip(NEXT) | instid1(VALU_DEP_2)
	v_mov_b32_dpp v3, v3 row_shl:1 row_mask:0xf bank_mask:0xf
	v_mov_b32_dpp v4, v4 row_shl:1 row_mask:0xf bank_mask:0xf
	s_delay_alu instid0(VALU_DEP_1) | instskip(NEXT) | instid1(VALU_DEP_1)
	v_dual_add_f32 v3, v7, v3 :: v_dual_add_nc_u32 v4, v4, v6
	v_cndmask_b32_e32 v3, v7, v3, vcc_lo
	s_delay_alu instid0(VALU_DEP_2) | instskip(NEXT) | instid1(VALU_DEP_2)
	v_mov_b32_dpp v4, v4 row_shl:1 row_mask:0xf bank_mask:0xf
	v_mov_b32_dpp v3, v3 row_shl:1 row_mask:0xf bank_mask:0xf
	s_delay_alu instid0(VALU_DEP_1) | instskip(NEXT) | instid1(VALU_DEP_1)
	v_dual_add_f32 v3, v7, v3 :: v_dual_add_nc_u32 v4, v4, v6
	v_mov_b32_dpp v4, v4 row_shl:1 row_mask:0xf bank_mask:0xf
	s_delay_alu instid0(VALU_DEP_1) | instskip(NEXT) | instid1(VALU_DEP_1)
	v_dual_cndmask_b32 v3, v7, v3 :: v_dual_add_nc_u32 v4, v4, v6
	v_mov_b32_dpp v3, v3 row_shl:1 row_mask:0xf bank_mask:0xf
	s_delay_alu instid0(VALU_DEP_2) | instskip(NEXT) | instid1(VALU_DEP_1)
	v_mov_b32_dpp v4, v4 row_shl:1 row_mask:0xf bank_mask:0xf
	v_dual_add_f32 v3, v7, v3 :: v_dual_add_nc_u32 v4, v4, v6
	s_delay_alu instid0(VALU_DEP_1)
	v_cndmask_b32_e32 v5, v7, v3, vcc_lo
	s_cbranch_scc1 .LBB162_189
.LBB162_190:
	s_delay_alu instid0(VALU_DEP_1) | instskip(NEXT) | instid1(VALU_DEP_2)
	v_readfirstlane_b32 s15, v4
	v_readfirstlane_b32 s24, v5
	s_and_saveexec_b32 s25, s14
	s_cbranch_execz .LBB162_192
; %bb.191:
	s_delay_alu instid0(VALU_DEP_1)
	v_add_f32_e64 v2, s36, s24
	v_cmp_eq_u32_e32 vcc_lo, 0, v1
	s_mov_b32 s27, 0
	s_add_i32 s26, s41, 32
	v_mov_b32_e32 v7, 2
	s_lshl_b64 s[26:27], s[26:27], 4
	v_cndmask_b32_e32 v2, s36, v2, vcc_lo
	s_add_u32 s26, s20, s26
	s_addc_u32 s27, s21, s27
	s_delay_alu instid0(SALU_CYCLE_1) | instskip(NEXT) | instid1(VALU_DEP_2)
	v_dual_mov_b32 v54, s27 :: v_dual_add_nc_u32 v5, s15, v1
	v_dual_mov_b32 v8, 0 :: v_dual_and_b32 v3, 0xff000000, v2
	v_dual_mov_b32 v53, s26 :: v_dual_and_b32 v4, 0xff0000, v2
	v_and_b32_e32 v6, 0xff00, v2
	v_and_b32_e32 v2, 0xff, v2
	s_delay_alu instid0(VALU_DEP_3) | instskip(SKIP_1) | instid1(VALU_DEP_2)
	v_or_b32_e32 v3, v4, v3
	v_mov_b32_e32 v4, s24
	v_or_b32_e32 v3, v3, v6
	s_delay_alu instid0(VALU_DEP_1)
	v_or_b32_e32 v6, v3, v2
	v_dual_mov_b32 v3, s15 :: v_dual_mov_b32 v2, s36
	;;#ASMSTART
	global_store_dwordx4 v[53:54], v[5:8] off	
s_waitcnt vmcnt(0)
	;;#ASMEND
	ds_store_b128 v8, v[1:4] offset:2048
.LBB162_192:
	s_or_b32 exec_lo, exec_lo, s25
	s_and_saveexec_b32 s25, s2
	s_cbranch_execz .LBB162_194
; %bb.193:
	v_dual_mov_b32 v1, s15 :: v_dual_mov_b32 v2, s24
	v_mov_b32_e32 v3, 0
	ds_store_b64 v3, v[1:2] offset:2120
.LBB162_194:
	s_or_b32 exec_lo, exec_lo, s25
	s_mov_b32 s24, -1
	s_mov_b32 s15, 0
.LBB162_195:
	s_delay_alu instid0(SALU_CYCLE_1)
	s_and_b32 s15, s15, exec_lo
	s_or_not1_b32 s24, s24, exec_lo
.LBB162_196:
	s_or_b32 exec_lo, exec_lo, s23
                                        ; implicit-def: $vgpr1
                                        ; implicit-def: $vgpr49
                                        ; implicit-def: $vgpr5
                                        ; implicit-def: $vgpr62
                                        ; implicit-def: $vgpr53
                                        ; implicit-def: $vgpr55
                                        ; implicit-def: $vgpr54
                                        ; implicit-def: $vgpr56
                                        ; implicit-def: $vgpr61
                                        ; implicit-def: $vgpr63
                                        ; implicit-def: $vgpr64
                                        ; implicit-def: $vgpr65
                                        ; implicit-def: $vgpr66
                                        ; implicit-def: $vgpr67
                                        ; implicit-def: $vgpr68
                                        ; implicit-def: $vgpr69
                                        ; implicit-def: $vgpr70
                                        ; implicit-def: $vgpr71
	s_and_saveexec_b32 s23, s24
	s_cbranch_execz .LBB162_229
; %bb.197:
	s_waitcnt lgkmcnt(1)
	v_cndmask_b32_e64 v7, v77, v51, s14
	s_waitcnt lgkmcnt(0)
	v_cndmask_b32_e64 v2, v78, v52, s14
	s_waitcnt_vscnt null, 0x0
	s_barrier
	buffer_gl0_inv
	v_cmp_eq_u32_e32 vcc_lo, 0, v7
	v_mov_b32_e32 v1, 0
	s_mov_b32 s22, exec_lo
	ds_load_b64 v[5:6], v1 offset:2120
	s_waitcnt lgkmcnt(0)
	s_barrier
	buffer_gl0_inv
	v_add_f32_e32 v3, v2, v6
	s_delay_alu instid0(VALU_DEP_1) | instskip(SKIP_1) | instid1(VALU_DEP_2)
	v_cndmask_b32_e32 v2, v2, v3, vcc_lo
	v_cmp_eq_u32_e32 vcc_lo, 0, v27
	v_cndmask_b32_e64 v71, v2, v6, s2
	s_delay_alu instid0(VALU_DEP_1) | instskip(NEXT) | instid1(VALU_DEP_1)
	v_add_f32_e32 v2, v47, v71
	v_cndmask_b32_e32 v70, v47, v2, vcc_lo
	s_delay_alu instid0(VALU_DEP_1) | instskip(NEXT) | instid1(VALU_DEP_1)
	v_add_f32_e32 v2, v48, v70
	v_cndmask_b32_e64 v69, v48, v2, s13
	s_delay_alu instid0(VALU_DEP_1) | instskip(NEXT) | instid1(VALU_DEP_1)
	v_add_f32_e32 v2, v45, v69
	v_cndmask_b32_e64 v68, v45, v2, s12
	s_delay_alu instid0(VALU_DEP_1) | instskip(NEXT) | instid1(VALU_DEP_1)
	v_add_f32_e32 v2, v46, v68
	v_cndmask_b32_e64 v67, v46, v2, s10
	s_delay_alu instid0(VALU_DEP_1) | instskip(NEXT) | instid1(VALU_DEP_1)
	v_add_f32_e32 v2, v43, v67
	v_cndmask_b32_e64 v66, v43, v2, s11
	s_delay_alu instid0(VALU_DEP_1) | instskip(NEXT) | instid1(VALU_DEP_1)
	v_add_f32_e32 v2, v44, v66
	v_cndmask_b32_e64 v65, v44, v2, s9
	s_delay_alu instid0(VALU_DEP_1) | instskip(NEXT) | instid1(VALU_DEP_1)
	v_add_f32_e32 v2, v41, v65
	v_cndmask_b32_e64 v64, v41, v2, s8
	s_delay_alu instid0(VALU_DEP_1) | instskip(NEXT) | instid1(VALU_DEP_1)
	v_add_f32_e32 v2, v42, v64
	v_cndmask_b32_e64 v63, v42, v2, s7
	s_delay_alu instid0(VALU_DEP_1) | instskip(NEXT) | instid1(VALU_DEP_1)
	v_add_f32_e32 v2, v39, v63
	v_cndmask_b32_e64 v61, v39, v2, s6
	s_delay_alu instid0(VALU_DEP_1) | instskip(NEXT) | instid1(VALU_DEP_1)
	v_add_f32_e32 v2, v40, v61
	v_cndmask_b32_e64 v56, v40, v2, s5
	s_delay_alu instid0(VALU_DEP_1) | instskip(NEXT) | instid1(VALU_DEP_1)
	v_add_f32_e32 v2, v37, v56
	v_cndmask_b32_e64 v54, v37, v2, s4
	ds_load_b128 v[1:4], v1 offset:2048
	v_add_f32_e32 v6, v38, v54
	s_delay_alu instid0(VALU_DEP_1) | instskip(SKIP_3) | instid1(VALU_DEP_2)
	v_cndmask_b32_e64 v55, v38, v6, s3
	s_waitcnt lgkmcnt(0)
	v_add_f32_e32 v4, v4, v2
	v_cmp_eq_u32_e32 vcc_lo, 0, v1
	v_dual_add_f32 v6, v35, v55 :: v_dual_cndmask_b32 v49, v2, v4
	s_delay_alu instid0(VALU_DEP_1) | instskip(SKIP_1) | instid1(VALU_DEP_1)
	v_cndmask_b32_e64 v53, v35, v6, s1
	v_cndmask_b32_e64 v6, v7, 0, s2
	v_dual_add_f32 v7, v36, v53 :: v_dual_add_nc_u32 v6, v5, v6
	v_mov_b32_e32 v5, v3
	s_delay_alu instid0(VALU_DEP_2) | instskip(NEXT) | instid1(VALU_DEP_3)
	v_cndmask_b32_e64 v62, v36, v7, s0
	v_mov_b32_e32 v4, v6
	s_or_b32 exec_lo, exec_lo, s23
	s_and_saveexec_b32 s0, s15
	s_delay_alu instid0(SALU_CYCLE_1)
	s_xor_b32 s0, exec_lo, s0
	s_cbranch_execnz .LBB162_230
.LBB162_198:
	s_or_b32 exec_lo, exec_lo, s0
	s_branch .LBB162_106
.LBB162_199:
	s_and_b32 s0, s16, exec_lo
	s_waitcnt lgkmcnt(0)
	v_mov_b32_e32 v5, v47
	s_cselect_b32 s1, 0, s35
	s_cselect_b32 s0, 0, s34
	s_delay_alu instid0(SALU_CYCLE_1)
	s_cmp_eq_u64 s[0:1], 0
	s_cbranch_scc1 .LBB162_201
; %bb.200:
	v_mov_b32_e32 v1, 0
	global_load_b32 v5, v1, s[0:1]
.LBB162_201:
	v_cmp_eq_u32_e64 s0, 0, v50
	v_cmp_eq_u32_e64 s1, 0, v33
	v_add3_u32 v2, v75, v32, v29
	v_cmp_eq_u32_e64 s3, 0, v34
	v_cmp_eq_u32_e64 s4, 0, v31
	v_cndmask_b32_e64 v1, v48, v76, s0
	v_cmp_eq_u32_e64 s5, 0, v32
	v_add3_u32 v2, v2, v30, v25
	v_cmp_eq_u32_e64 s6, 0, v29
	v_cmp_eq_u32_e64 s7, 0, v30
	v_dual_add_f32 v1, v45, v1 :: v_dual_and_b32 v4, 15, v72
	s_delay_alu instid0(VALU_DEP_4) | instskip(SKIP_2) | instid1(VALU_DEP_4)
	v_add3_u32 v2, v2, v26, v23
	v_cmp_eq_u32_e64 s8, 0, v25
	v_cmp_eq_u32_e64 s10, 0, v26
	v_cndmask_b32_e64 v1, v45, v1, s1
	v_cmp_eq_u32_e64 s12, 0, v23
	v_add3_u32 v2, v2, v24, v59
	v_cmp_eq_u32_e64 s9, 0, v24
	v_cmp_eq_u32_e64 s11, 0, v59
	v_add_f32_e32 v1, v46, v1
	v_cmp_eq_u32_e32 vcc_lo, 0, v28
	v_add3_u32 v2, v2, v28, v58
	v_cmp_eq_u32_e64 s13, 0, v58
	v_and_b32_e32 v7, 16, v72
	v_cndmask_b32_e64 v1, v46, v1, s3
	s_delay_alu instid0(VALU_DEP_4) | instskip(NEXT) | instid1(VALU_DEP_3)
	v_mov_b32_dpp v6, v2 row_shr:1 row_mask:0xf bank_mask:0xf
	v_cmp_eq_u32_e64 s14, 0, v7
	s_delay_alu instid0(VALU_DEP_3) | instskip(NEXT) | instid1(VALU_DEP_1)
	v_add_f32_e32 v1, v43, v1
	v_cndmask_b32_e64 v1, v43, v1, s4
	s_delay_alu instid0(VALU_DEP_1) | instskip(NEXT) | instid1(VALU_DEP_1)
	v_add_f32_e32 v1, v44, v1
	v_cndmask_b32_e64 v1, v44, v1, s5
	s_delay_alu instid0(VALU_DEP_1) | instskip(NEXT) | instid1(VALU_DEP_1)
	;; [unrolled: 3-line block ×9, first 2 shown]
	v_add_f32_e32 v1, v36, v1
	v_cndmask_b32_e32 v1, v36, v1, vcc_lo
	s_delay_alu instid0(VALU_DEP_1) | instskip(NEXT) | instid1(VALU_DEP_1)
	v_add_f32_e32 v1, v60, v1
	v_cndmask_b32_e64 v1, v60, v1, s13
	v_cmp_eq_u32_e64 s13, 0, v2
	s_delay_alu instid0(VALU_DEP_2) | instskip(NEXT) | instid1(VALU_DEP_1)
	v_mov_b32_dpp v3, v1 row_shr:1 row_mask:0xf bank_mask:0xf
	v_add_f32_e32 v3, v1, v3
	s_delay_alu instid0(VALU_DEP_1) | instskip(SKIP_1) | instid1(VALU_DEP_1)
	v_cndmask_b32_e64 v3, v1, v3, s13
	v_cmp_eq_u32_e64 s13, 0, v4
	v_cndmask_b32_e64 v6, v6, 0, s13
	s_delay_alu instid0(VALU_DEP_3) | instskip(NEXT) | instid1(VALU_DEP_2)
	v_cndmask_b32_e64 v1, v3, v1, s13
	v_add_nc_u32_e32 v2, v6, v2
	s_delay_alu instid0(VALU_DEP_2) | instskip(NEXT) | instid1(VALU_DEP_2)
	v_mov_b32_dpp v3, v1 row_shr:2 row_mask:0xf bank_mask:0xf
	v_cmp_eq_u32_e64 s13, 0, v2
	s_delay_alu instid0(VALU_DEP_2) | instskip(SKIP_1) | instid1(VALU_DEP_2)
	v_add_f32_e32 v3, v1, v3
	v_mov_b32_dpp v6, v2 row_shr:2 row_mask:0xf bank_mask:0xf
	v_cndmask_b32_e64 v3, v1, v3, s13
	v_cmp_lt_u32_e64 s13, 1, v4
	s_delay_alu instid0(VALU_DEP_1) | instskip(NEXT) | instid1(VALU_DEP_4)
	v_cndmask_b32_e64 v1, v1, v3, s13
	v_cndmask_b32_e64 v3, 0, v6, s13
	s_delay_alu instid0(VALU_DEP_2) | instskip(NEXT) | instid1(VALU_DEP_1)
	v_mov_b32_dpp v6, v1 row_shr:4 row_mask:0xf bank_mask:0xf
	v_dual_add_f32 v3, v1, v6 :: v_dual_add_nc_u32 v2, v2, v3
	s_delay_alu instid0(VALU_DEP_1) | instskip(SKIP_1) | instid1(VALU_DEP_2)
	v_cmp_eq_u32_e64 s13, 0, v2
	v_mov_b32_dpp v6, v2 row_shr:4 row_mask:0xf bank_mask:0xf
	v_cndmask_b32_e64 v3, v1, v3, s13
	v_cmp_lt_u32_e64 s13, 3, v4
	s_delay_alu instid0(VALU_DEP_1) | instskip(NEXT) | instid1(VALU_DEP_4)
	v_cndmask_b32_e64 v1, v1, v3, s13
	v_cndmask_b32_e64 v3, 0, v6, s13
	s_delay_alu instid0(VALU_DEP_2) | instskip(NEXT) | instid1(VALU_DEP_2)
	v_mov_b32_dpp v6, v1 row_shr:8 row_mask:0xf bank_mask:0xf
	v_add_nc_u32_e32 v2, v3, v2
	s_delay_alu instid0(VALU_DEP_2) | instskip(NEXT) | instid1(VALU_DEP_2)
	v_add_f32_e32 v3, v1, v6
	v_cmp_eq_u32_e64 s13, 0, v2
	v_mov_b32_dpp v6, v2 row_shr:8 row_mask:0xf bank_mask:0xf
	s_delay_alu instid0(VALU_DEP_2) | instskip(SKIP_1) | instid1(VALU_DEP_1)
	v_cndmask_b32_e64 v3, v1, v3, s13
	v_cmp_lt_u32_e64 s13, 7, v4
	v_cndmask_b32_e64 v3, v1, v3, s13
	s_delay_alu instid0(VALU_DEP_4) | instskip(SKIP_1) | instid1(VALU_DEP_2)
	v_cndmask_b32_e64 v1, 0, v6, s13
	v_bfe_i32 v6, v72, 4, 1
	v_add_nc_u32_e32 v1, v1, v2
	ds_swizzle_b32 v2, v3 offset:swizzle(BROADCAST,32,15)
	ds_swizzle_b32 v4, v1 offset:swizzle(BROADCAST,32,15)
	v_cmp_eq_u32_e64 s13, 0, v1
	s_waitcnt lgkmcnt(1)
	v_add_f32_e32 v2, v3, v2
	s_waitcnt lgkmcnt(0)
	v_and_b32_e32 v4, v6, v4
	s_delay_alu instid0(VALU_DEP_2) | instskip(NEXT) | instid1(VALU_DEP_2)
	v_cndmask_b32_e64 v2, v3, v2, s13
	v_add_nc_u32_e32 v1, v4, v1
	v_lshlrev_b32_e32 v4, 3, v73
	s_delay_alu instid0(VALU_DEP_3)
	v_cndmask_b32_e64 v2, v2, v3, s14
	s_mov_b32 s14, exec_lo
	v_cmpx_eq_u32_e64 v74, v0
	s_cbranch_execz .LBB162_203
; %bb.202:
	ds_store_b64 v4, v[1:2] offset:2064
.LBB162_203:
	s_or_b32 exec_lo, exec_lo, s14
	s_delay_alu instid0(SALU_CYCLE_1)
	s_mov_b32 s15, exec_lo
	s_waitcnt vmcnt(0) lgkmcnt(0)
	s_waitcnt_vscnt null, 0x0
	s_barrier
	buffer_gl0_inv
	v_cmpx_gt_u32_e32 8, v0
	s_cbranch_execz .LBB162_205
; %bb.204:
	v_lshlrev_b32_e32 v3, 3, v0
	v_and_b32_e32 v49, 7, v72
	ds_load_b64 v[6:7], v3 offset:2064
	s_waitcnt lgkmcnt(0)
	v_mov_b32_dpp v8, v7 row_shr:1 row_mask:0xf bank_mask:0xf
	v_cmp_eq_u32_e64 s13, 0, v6
	v_mov_b32_dpp v51, v6 row_shr:1 row_mask:0xf bank_mask:0xf
	s_delay_alu instid0(VALU_DEP_3) | instskip(NEXT) | instid1(VALU_DEP_1)
	v_add_f32_e32 v8, v7, v8
	v_cndmask_b32_e64 v8, v7, v8, s13
	v_cmp_eq_u32_e64 s13, 0, v49
	s_delay_alu instid0(VALU_DEP_1) | instskip(NEXT) | instid1(VALU_DEP_3)
	v_cndmask_b32_e64 v51, v51, 0, s13
	v_cndmask_b32_e64 v7, v8, v7, s13
	s_delay_alu instid0(VALU_DEP_2) | instskip(NEXT) | instid1(VALU_DEP_2)
	v_add_nc_u32_e32 v6, v51, v6
	v_mov_b32_dpp v8, v7 row_shr:2 row_mask:0xf bank_mask:0xf
	s_delay_alu instid0(VALU_DEP_2) | instskip(NEXT) | instid1(VALU_DEP_2)
	v_cmp_eq_u32_e64 s13, 0, v6
	v_add_f32_e32 v8, v7, v8
	v_mov_b32_dpp v51, v6 row_shr:2 row_mask:0xf bank_mask:0xf
	s_delay_alu instid0(VALU_DEP_2) | instskip(SKIP_1) | instid1(VALU_DEP_1)
	v_cndmask_b32_e64 v8, v7, v8, s13
	v_cmp_lt_u32_e64 s13, 1, v49
	v_cndmask_b32_e64 v7, v7, v8, s13
	s_delay_alu instid0(VALU_DEP_4) | instskip(SKIP_1) | instid1(VALU_DEP_3)
	v_cndmask_b32_e64 v8, 0, v51, s13
	v_cmp_lt_u32_e64 s13, 3, v49
	v_mov_b32_dpp v51, v7 row_shr:4 row_mask:0xf bank_mask:0xf
	s_delay_alu instid0(VALU_DEP_1) | instskip(NEXT) | instid1(VALU_DEP_1)
	v_dual_add_f32 v49, v7, v51 :: v_dual_add_nc_u32 v6, v8, v6
	v_mov_b32_dpp v8, v6 row_shr:4 row_mask:0xf bank_mask:0xf
	v_cmp_eq_u32_e64 s14, 0, v6
	s_delay_alu instid0(VALU_DEP_2) | instskip(NEXT) | instid1(VALU_DEP_2)
	v_cndmask_b32_e64 v8, 0, v8, s13
	s_and_b32 s13, s13, s14
	s_delay_alu instid0(SALU_CYCLE_1) | instskip(NEXT) | instid1(VALU_DEP_2)
	v_cndmask_b32_e64 v7, v7, v49, s13
	v_add_nc_u32_e32 v6, v8, v6
	ds_store_b64 v3, v[6:7] offset:2064
.LBB162_205:
	s_or_b32 exec_lo, exec_lo, s15
	v_dual_mov_b32 v6, 0 :: v_dual_mov_b32 v3, 0
	v_mov_b32_e32 v7, v5
	s_mov_b32 s14, exec_lo
	s_waitcnt lgkmcnt(0)
	s_barrier
	buffer_gl0_inv
	v_cmpx_lt_u32_e32 31, v0
	s_cbranch_execz .LBB162_207
; %bb.206:
	ds_load_b64 v[3:4], v4 offset:2056
	s_waitcnt lgkmcnt(0)
	v_add_f32_e32 v7, v5, v4
	v_cmp_eq_u32_e64 s13, 0, v3
	s_delay_alu instid0(VALU_DEP_1)
	v_cndmask_b32_e64 v7, v4, v7, s13
.LBB162_207:
	s_or_b32 exec_lo, exec_lo, s14
	v_add_nc_u32_e32 v4, -1, v72
	s_delay_alu instid0(VALU_DEP_2) | instskip(SKIP_1) | instid1(VALU_DEP_2)
	v_dual_add_f32 v8, v2, v7 :: v_dual_add_nc_u32 v49, v3, v1
	s_mov_b32 s22, -1
	v_cmp_gt_i32_e64 s13, 0, v4
	s_delay_alu instid0(VALU_DEP_1) | instskip(SKIP_1) | instid1(VALU_DEP_2)
	v_cndmask_b32_e64 v4, v4, v72, s13
	v_cmp_eq_u32_e64 s13, 0, v1
	v_lshlrev_b32_e32 v4, 2, v4
	s_delay_alu instid0(VALU_DEP_2)
	v_cndmask_b32_e64 v1, v2, v8, s13
	v_cmp_eq_u32_e64 s13, 0, v72
	ds_bpermute_b32 v2, v4, v49
	ds_bpermute_b32 v1, v4, v1
	s_waitcnt lgkmcnt(1)
	v_cndmask_b32_e64 v4, v2, v3, s13
	s_waitcnt lgkmcnt(0)
	v_cndmask_b32_e64 v71, v1, v7, s13
	v_cmp_eq_u32_e64 s13, 0, v27
	s_delay_alu instid0(VALU_DEP_2) | instskip(NEXT) | instid1(VALU_DEP_1)
	v_cndmask_b32_e64 v1, v71, v5, s2
	v_add_f32_e32 v1, v47, v1
	s_delay_alu instid0(VALU_DEP_1) | instskip(NEXT) | instid1(VALU_DEP_1)
	v_cndmask_b32_e64 v70, v47, v1, s13
	v_add_f32_e32 v1, v48, v70
	s_delay_alu instid0(VALU_DEP_1) | instskip(NEXT) | instid1(VALU_DEP_1)
	;; [unrolled: 3-line block ×10, first 2 shown]
	v_cndmask_b32_e64 v56, v40, v1, s10
	v_add_f32_e32 v1, v37, v56
	s_delay_alu instid0(VALU_DEP_1) | instskip(SKIP_2) | instid1(VALU_DEP_1)
	v_cndmask_b32_e64 v54, v37, v1, s12
	ds_load_b64 v[1:2], v6 offset:2120
	v_add_f32_e32 v3, v38, v54
	v_cndmask_b32_e64 v55, v38, v3, s9
	s_delay_alu instid0(VALU_DEP_1) | instskip(NEXT) | instid1(VALU_DEP_1)
	v_add_f32_e32 v3, v35, v55
	v_cndmask_b32_e64 v53, v35, v3, s11
	s_waitcnt lgkmcnt(0)
	v_add_f32_e32 v3, v5, v2
	v_cmp_eq_u32_e64 s0, 0, v1
	s_delay_alu instid0(VALU_DEP_3) | instskip(NEXT) | instid1(VALU_DEP_2)
	v_add_f32_e32 v6, v36, v53
	v_cndmask_b32_e64 v49, v2, v3, s0
	s_and_saveexec_b32 s0, s2
	s_cbranch_execz .LBB162_209
; %bb.208:
	s_delay_alu instid0(VALU_DEP_1)
	v_and_b32_e32 v2, 0xff000000, v49
	v_dual_mov_b32 v4, 0 :: v_dual_and_b32 v3, 0xff0000, v49
	s_add_u32 s4, s20, 0x200
	v_and_b32_e32 v7, 0xff00, v49
	s_addc_u32 s5, s21, 0
	v_and_b32_e32 v8, 0xff, v49
	v_or_b32_e32 v2, v3, v2
	v_mov_b32_e32 v3, 2
	v_mov_b32_e32 v71, v5
	s_delay_alu instid0(VALU_DEP_3)
	v_or3_b32 v2, v2, v7, v8
	v_dual_mov_b32 v8, s5 :: v_dual_mov_b32 v7, s4
	;;#ASMSTART
	global_store_dwordx4 v[7:8], v[1:4] off	
s_waitcnt vmcnt(0)
	;;#ASMEND
.LBB162_209:
	s_or_b32 exec_lo, exec_lo, s0
	v_dual_cndmask_b32 v62, v36, v6 :: v_dual_mov_b32 v5, 0
	s_and_saveexec_b32 s0, s22
	s_cbranch_execz .LBB162_372
.LBB162_210:
	v_mov_b32_e32 v7, 0
	s_and_b32 s0, s16, exec_lo
	v_mov_b32_e32 v8, 0
	s_cselect_b32 s1, 0, s39
	s_cselect_b32 s0, 0, s38
	s_waitcnt lgkmcnt(0)
	s_waitcnt_vscnt null, 0x0
	s_cmp_eq_u64 s[0:1], 0
	s_barrier
	buffer_gl0_inv
	s_cbranch_scc1 .LBB162_212
; %bb.211:
	v_mov_b32_e32 v2, 0
	global_load_b64 v[7:8], v2, s[0:1]
.LBB162_212:
	v_cmp_eq_u32_e32 vcc_lo, 0, v27
	v_add_nc_u32_e32 v47, v4, v27
	v_cmp_ne_u32_e64 s13, 0, v27
	v_cmp_ne_u32_e64 s12, 0, v50
	;; [unrolled: 1-line block ×3, first 2 shown]
	v_cndmask_b32_e64 v2, 1, 2, vcc_lo
	v_cmp_eq_u32_e32 vcc_lo, 0, v50
	v_cmp_ne_u32_e64 s9, 0, v34
	v_cmp_ne_u32_e64 s15, 0, v31
	;; [unrolled: 1-line block ×4, first 2 shown]
	v_cndmask_b32_e64 v3, 1, 2, vcc_lo
	v_cmp_eq_u32_e32 vcc_lo, 0, v33
	v_cmp_ne_u32_e64 s8, 0, v30
	v_cmp_ne_u32_e64 s7, 0, v25
	;; [unrolled: 1-line block ×3, first 2 shown]
	v_and_b32_e32 v2, v3, v2
	v_cndmask_b32_e64 v6, 1, 2, vcc_lo
	v_cmp_eq_u32_e32 vcc_lo, 0, v34
	v_cmp_ne_u32_e64 s5, 0, v23
	v_cmp_ne_u32_e64 s4, 0, v24
	;; [unrolled: 1-line block ×3, first 2 shown]
	v_and_b32_e32 v6, v2, v6
	v_cndmask_b32_e64 v35, 1, 2, vcc_lo
	v_cmp_eq_u32_e32 vcc_lo, 0, v31
	s_waitcnt vmcnt(0)
	v_lshlrev_b64 v[2:3], 2, v[7:8]
	v_cmp_ne_u32_e64 s1, 0, v28
	v_cmp_ne_u32_e64 s0, 0, v58
	v_dual_mov_b32 v6, 0 :: v_dual_and_b32 v35, v6, v35
	v_cndmask_b32_e64 v36, 1, 2, vcc_lo
	v_cmp_eq_u32_e32 vcc_lo, 0, v32
	v_add_nc_u32_e32 v51, v47, v50
	s_delay_alu instid0(VALU_DEP_3) | instskip(SKIP_2) | instid1(VALU_DEP_4)
	v_and_b32_e32 v35, v35, v36
	v_cndmask_b32_e64 v37, 1, 2, vcc_lo
	v_cmp_eq_u32_e32 vcc_lo, 0, v29
	v_add_nc_u32_e32 v48, v51, v33
	s_delay_alu instid0(VALU_DEP_3) | instskip(SKIP_2) | instid1(VALU_DEP_4)
	v_and_b32_e32 v35, v35, v37
	;; [unrolled: 5-line block ×6, first 2 shown]
	v_cndmask_b32_e64 v38, 1, 2, vcc_lo
	v_cmp_eq_u32_e32 vcc_lo, 0, v24
	v_add_nc_u32_e32 v42, v43, v30
	v_lshlrev_b64 v[35:36], 2, v[5:6]
	s_delay_alu instid0(VALU_DEP_4) | instskip(SKIP_3) | instid1(VALU_DEP_3)
	v_and_b32_e32 v6, v37, v38
	v_cndmask_b32_e64 v52, 1, 2, vcc_lo
	v_cmp_eq_u32_e32 vcc_lo, 0, v59
	v_add_nc_u32_e32 v41, v42, v25
	v_and_b32_e32 v74, v6, v52
	v_cndmask_b32_e64 v72, 1, 2, vcc_lo
	v_add_co_u32 v60, vcc_lo, s18, v2
	v_add_co_ci_u32_e32 v73, vcc_lo, s19, v3, vcc_lo
	v_add_nc_u32_e32 v40, v41, v26
	s_delay_alu instid0(VALU_DEP_3) | instskip(NEXT) | instid1(VALU_DEP_3)
	v_add_co_u32 v52, vcc_lo, v60, v35
	v_add_co_ci_u32_e32 v60, vcc_lo, v73, v36, vcc_lo
	v_cmp_eq_u32_e32 vcc_lo, 0, v28
	s_delay_alu instid0(VALU_DEP_4)
	v_add_nc_u32_e32 v39, v40, v23
	v_and_b32_e32 v72, v74, v72
	s_mov_b32 s18, -1
	v_cndmask_b32_e64 v73, 1, 2, vcc_lo
	v_cmp_eq_u32_e32 vcc_lo, 0, v58
	v_add_nc_u32_e32 v38, v39, v24
	s_delay_alu instid0(VALU_DEP_3) | instskip(SKIP_1) | instid1(VALU_DEP_3)
	v_and_b32_e32 v72, v72, v73
	v_cndmask_b32_e64 v73, 1, 2, vcc_lo
	v_add_nc_u32_e32 v37, v38, v59
	v_cmp_gt_u32_e32 vcc_lo, 0x100, v1
	s_delay_alu instid0(VALU_DEP_3) | instskip(NEXT) | instid1(VALU_DEP_3)
	v_and_b32_e32 v72, v72, v73
	v_add_nc_u32_e32 v6, v37, v28
	s_delay_alu instid0(VALU_DEP_2)
	v_cmp_gt_i16_e64 s16, 2, v72
	s_cbranch_vccz .LBB162_252
; %bb.213:
	s_delay_alu instid0(VALU_DEP_1)
	s_and_saveexec_b32 s18, s16
	s_cbranch_execz .LBB162_251
; %bb.214:
	s_mov_b32 s19, 0
	s_mov_b32 s16, exec_lo
	v_cmpx_ne_u16_e32 1, v72
	s_xor_b32 s16, exec_lo, s16
	s_cbranch_execz .LBB162_232
; %bb.215:
	s_and_saveexec_b32 s19, s13
	s_cbranch_execz .LBB162_234
; %bb.216:
	v_sub_nc_u32_e32 v73, v4, v5
	v_mov_b32_e32 v74, 0
	s_delay_alu instid0(VALU_DEP_1) | instskip(NEXT) | instid1(VALU_DEP_1)
	v_lshlrev_b64 v[73:74], 2, v[73:74]
	v_add_co_u32 v73, vcc_lo, v52, v73
	s_delay_alu instid0(VALU_DEP_2)
	v_add_co_ci_u32_e32 v74, vcc_lo, v60, v74, vcc_lo
	global_store_b32 v[73:74], v21, off
	s_or_b32 exec_lo, exec_lo, s19
	s_and_saveexec_b32 s19, s12
	s_cbranch_execnz .LBB162_235
.LBB162_217:
	s_or_b32 exec_lo, exec_lo, s19
	s_and_saveexec_b32 s19, s10
	s_cbranch_execz .LBB162_236
.LBB162_218:
	v_sub_nc_u32_e32 v73, v51, v5
	v_mov_b32_e32 v74, 0
	s_delay_alu instid0(VALU_DEP_1) | instskip(NEXT) | instid1(VALU_DEP_1)
	v_lshlrev_b64 v[73:74], 2, v[73:74]
	v_add_co_u32 v73, vcc_lo, v52, v73
	s_delay_alu instid0(VALU_DEP_2)
	v_add_co_ci_u32_e32 v74, vcc_lo, v60, v74, vcc_lo
	global_store_b32 v[73:74], v19, off
	s_or_b32 exec_lo, exec_lo, s19
	s_and_saveexec_b32 s19, s9
	s_cbranch_execnz .LBB162_237
.LBB162_219:
	s_or_b32 exec_lo, exec_lo, s19
	s_and_saveexec_b32 s19, s15
	s_cbranch_execz .LBB162_238
.LBB162_220:
	v_sub_nc_u32_e32 v73, v46, v5
	v_mov_b32_e32 v74, 0
	s_delay_alu instid0(VALU_DEP_1) | instskip(NEXT) | instid1(VALU_DEP_1)
	v_lshlrev_b64 v[73:74], 2, v[73:74]
	v_add_co_u32 v73, vcc_lo, v52, v73
	s_delay_alu instid0(VALU_DEP_2)
	v_add_co_ci_u32_e32 v74, vcc_lo, v60, v74, vcc_lo
	global_store_b32 v[73:74], v17, off
	s_or_b32 exec_lo, exec_lo, s19
	s_and_saveexec_b32 s19, s14
	s_cbranch_execnz .LBB162_239
.LBB162_221:
	s_or_b32 exec_lo, exec_lo, s19
	s_and_saveexec_b32 s19, s11
	s_cbranch_execz .LBB162_240
.LBB162_222:
	v_sub_nc_u32_e32 v73, v44, v5
	v_mov_b32_e32 v74, 0
	s_delay_alu instid0(VALU_DEP_1) | instskip(NEXT) | instid1(VALU_DEP_1)
	v_lshlrev_b64 v[73:74], 2, v[73:74]
	v_add_co_u32 v73, vcc_lo, v52, v73
	s_delay_alu instid0(VALU_DEP_2)
	v_add_co_ci_u32_e32 v74, vcc_lo, v60, v74, vcc_lo
	global_store_b32 v[73:74], v15, off
	s_or_b32 exec_lo, exec_lo, s19
	s_and_saveexec_b32 s19, s8
	s_cbranch_execnz .LBB162_241
.LBB162_223:
	s_or_b32 exec_lo, exec_lo, s19
	s_and_saveexec_b32 s19, s7
	s_cbranch_execz .LBB162_242
.LBB162_224:
	v_sub_nc_u32_e32 v73, v42, v5
	v_mov_b32_e32 v74, 0
	s_delay_alu instid0(VALU_DEP_1) | instskip(NEXT) | instid1(VALU_DEP_1)
	v_lshlrev_b64 v[73:74], 2, v[73:74]
	v_add_co_u32 v73, vcc_lo, v52, v73
	s_delay_alu instid0(VALU_DEP_2)
	v_add_co_ci_u32_e32 v74, vcc_lo, v60, v74, vcc_lo
	global_store_b32 v[73:74], v13, off
	s_or_b32 exec_lo, exec_lo, s19
	s_and_saveexec_b32 s19, s6
	s_cbranch_execnz .LBB162_243
.LBB162_225:
	s_or_b32 exec_lo, exec_lo, s19
	s_and_saveexec_b32 s19, s5
	s_cbranch_execz .LBB162_244
.LBB162_226:
	v_sub_nc_u32_e32 v73, v40, v5
	v_mov_b32_e32 v74, 0
	s_delay_alu instid0(VALU_DEP_1) | instskip(NEXT) | instid1(VALU_DEP_1)
	v_lshlrev_b64 v[73:74], 2, v[73:74]
	v_add_co_u32 v73, vcc_lo, v52, v73
	s_delay_alu instid0(VALU_DEP_2)
	v_add_co_ci_u32_e32 v74, vcc_lo, v60, v74, vcc_lo
	global_store_b32 v[73:74], v11, off
	s_or_b32 exec_lo, exec_lo, s19
	s_and_saveexec_b32 s19, s4
	s_cbranch_execnz .LBB162_245
.LBB162_227:
	s_or_b32 exec_lo, exec_lo, s19
	s_and_saveexec_b32 s19, s3
	s_cbranch_execz .LBB162_246
.LBB162_228:
	v_sub_nc_u32_e32 v73, v38, v5
	v_mov_b32_e32 v74, 0
	s_delay_alu instid0(VALU_DEP_1) | instskip(NEXT) | instid1(VALU_DEP_1)
	v_lshlrev_b64 v[73:74], 2, v[73:74]
	v_add_co_u32 v73, vcc_lo, v52, v73
	s_delay_alu instid0(VALU_DEP_2)
	v_add_co_ci_u32_e32 v74, vcc_lo, v60, v74, vcc_lo
	global_store_b32 v[73:74], v9, off
	s_or_b32 exec_lo, exec_lo, s19
	s_and_saveexec_b32 s19, s1
	s_cbranch_execnz .LBB162_247
	s_branch .LBB162_248
.LBB162_229:
	s_or_b32 exec_lo, exec_lo, s23
	s_and_saveexec_b32 s0, s15
	s_delay_alu instid0(SALU_CYCLE_1)
	s_xor_b32 s0, exec_lo, s0
	s_cbranch_execz .LBB162_198
.LBB162_230:
	s_cbranch_execnz .LBB162_373
; %bb.231:
	; divergent unreachable
                                        ; implicit-def: $vgpr62
                                        ; implicit-def: $vgpr53
                                        ; implicit-def: $vgpr55
                                        ; implicit-def: $vgpr54
                                        ; implicit-def: $vgpr56
                                        ; implicit-def: $vgpr61
                                        ; implicit-def: $vgpr63
                                        ; implicit-def: $vgpr64
                                        ; implicit-def: $vgpr65
                                        ; implicit-def: $vgpr66
                                        ; implicit-def: $vgpr67
                                        ; implicit-def: $vgpr68
                                        ; implicit-def: $vgpr69
                                        ; implicit-def: $vgpr70
                                        ; implicit-def: $vgpr71
	s_or_b32 exec_lo, exec_lo, s0
	s_branch .LBB162_106
.LBB162_232:
	s_and_not1_saveexec_b32 s16, s16
	s_cbranch_execz .LBB162_249
.LBB162_233:
	v_sub_nc_u32_e32 v73, v4, v5
	v_mov_b32_e32 v74, 0
	s_or_b32 s19, s19, exec_lo
	s_delay_alu instid0(VALU_DEP_1) | instskip(SKIP_1) | instid1(VALU_DEP_1)
	v_lshlrev_b64 v[75:76], 2, v[73:74]
	v_sub_nc_u32_e32 v73, v47, v5
	v_lshlrev_b64 v[77:78], 2, v[73:74]
	v_sub_nc_u32_e32 v73, v51, v5
	s_delay_alu instid0(VALU_DEP_4) | instskip(SKIP_1) | instid1(VALU_DEP_3)
	v_add_co_u32 v75, vcc_lo, v52, v75
	v_add_co_ci_u32_e32 v76, vcc_lo, v60, v76, vcc_lo
	v_lshlrev_b64 v[79:80], 2, v[73:74]
	v_sub_nc_u32_e32 v73, v48, v5
	v_add_co_u32 v77, vcc_lo, v52, v77
	v_add_co_ci_u32_e32 v78, vcc_lo, v60, v78, vcc_lo
	global_store_b32 v[75:76], v21, off
	v_lshlrev_b64 v[75:76], 2, v[73:74]
	v_sub_nc_u32_e32 v73, v46, v5
	global_store_b32 v[77:78], v22, off
	v_add_co_u32 v77, vcc_lo, v52, v79
	v_add_co_ci_u32_e32 v78, vcc_lo, v60, v80, vcc_lo
	v_lshlrev_b64 v[79:80], 2, v[73:74]
	v_sub_nc_u32_e32 v73, v45, v5
	v_add_co_u32 v75, vcc_lo, v52, v75
	v_add_co_ci_u32_e32 v76, vcc_lo, v60, v76, vcc_lo
	s_delay_alu instid0(VALU_DEP_3) | instskip(SKIP_3) | instid1(VALU_DEP_3)
	v_lshlrev_b64 v[81:82], 2, v[73:74]
	v_sub_nc_u32_e32 v73, v44, v5
	v_add_co_u32 v79, vcc_lo, v52, v79
	v_add_co_ci_u32_e32 v80, vcc_lo, v60, v80, vcc_lo
	v_lshlrev_b64 v[83:84], 2, v[73:74]
	v_sub_nc_u32_e32 v73, v43, v5
	v_add_co_u32 v81, vcc_lo, v52, v81
	v_add_co_ci_u32_e32 v82, vcc_lo, v60, v82, vcc_lo
	s_clause 0x3
	global_store_b32 v[77:78], v19, off
	global_store_b32 v[75:76], v20, off
	;; [unrolled: 1-line block ×4, first 2 shown]
	v_lshlrev_b64 v[75:76], 2, v[73:74]
	v_sub_nc_u32_e32 v73, v42, v5
	v_add_co_u32 v77, vcc_lo, v52, v83
	v_add_co_ci_u32_e32 v78, vcc_lo, v60, v84, vcc_lo
	s_delay_alu instid0(VALU_DEP_3) | instskip(SKIP_3) | instid1(VALU_DEP_3)
	v_lshlrev_b64 v[79:80], 2, v[73:74]
	v_sub_nc_u32_e32 v73, v41, v5
	v_add_co_u32 v75, vcc_lo, v52, v75
	v_add_co_ci_u32_e32 v76, vcc_lo, v60, v76, vcc_lo
	v_lshlrev_b64 v[81:82], 2, v[73:74]
	v_sub_nc_u32_e32 v73, v40, v5
	v_add_co_u32 v79, vcc_lo, v52, v79
	v_add_co_ci_u32_e32 v80, vcc_lo, v60, v80, vcc_lo
	s_delay_alu instid0(VALU_DEP_3)
	v_lshlrev_b64 v[83:84], 2, v[73:74]
	v_sub_nc_u32_e32 v73, v39, v5
	v_add_co_u32 v81, vcc_lo, v52, v81
	v_add_co_ci_u32_e32 v82, vcc_lo, v60, v82, vcc_lo
	s_clause 0x3
	global_store_b32 v[77:78], v15, off
	global_store_b32 v[75:76], v16, off
	;; [unrolled: 1-line block ×4, first 2 shown]
	v_lshlrev_b64 v[75:76], 2, v[73:74]
	v_sub_nc_u32_e32 v73, v38, v5
	v_add_co_u32 v77, vcc_lo, v52, v83
	v_add_co_ci_u32_e32 v78, vcc_lo, v60, v84, vcc_lo
	s_delay_alu instid0(VALU_DEP_3) | instskip(SKIP_3) | instid1(VALU_DEP_3)
	v_lshlrev_b64 v[79:80], 2, v[73:74]
	v_sub_nc_u32_e32 v73, v37, v5
	v_add_co_u32 v75, vcc_lo, v52, v75
	v_add_co_ci_u32_e32 v76, vcc_lo, v60, v76, vcc_lo
	v_lshlrev_b64 v[73:74], 2, v[73:74]
	v_add_co_u32 v79, vcc_lo, v52, v79
	v_add_co_ci_u32_e32 v80, vcc_lo, v60, v80, vcc_lo
	s_clause 0x2
	global_store_b32 v[77:78], v11, off
	global_store_b32 v[75:76], v12, off
	;; [unrolled: 1-line block ×3, first 2 shown]
	v_add_co_u32 v73, vcc_lo, v52, v73
	v_add_co_ci_u32_e32 v74, vcc_lo, v60, v74, vcc_lo
	global_store_b32 v[73:74], v10, off
	s_or_b32 exec_lo, exec_lo, s16
	s_delay_alu instid0(SALU_CYCLE_1)
	s_and_b32 exec_lo, exec_lo, s19
	s_cbranch_execnz .LBB162_250
	s_branch .LBB162_251
.LBB162_234:
	s_or_b32 exec_lo, exec_lo, s19
	s_and_saveexec_b32 s19, s12
	s_cbranch_execz .LBB162_217
.LBB162_235:
	v_sub_nc_u32_e32 v73, v47, v5
	v_mov_b32_e32 v74, 0
	s_delay_alu instid0(VALU_DEP_1) | instskip(NEXT) | instid1(VALU_DEP_1)
	v_lshlrev_b64 v[73:74], 2, v[73:74]
	v_add_co_u32 v73, vcc_lo, v52, v73
	s_delay_alu instid0(VALU_DEP_2)
	v_add_co_ci_u32_e32 v74, vcc_lo, v60, v74, vcc_lo
	global_store_b32 v[73:74], v22, off
	s_or_b32 exec_lo, exec_lo, s19
	s_and_saveexec_b32 s19, s10
	s_cbranch_execnz .LBB162_218
.LBB162_236:
	s_or_b32 exec_lo, exec_lo, s19
	s_and_saveexec_b32 s19, s9
	s_cbranch_execz .LBB162_219
.LBB162_237:
	v_sub_nc_u32_e32 v73, v48, v5
	v_mov_b32_e32 v74, 0
	s_delay_alu instid0(VALU_DEP_1) | instskip(NEXT) | instid1(VALU_DEP_1)
	v_lshlrev_b64 v[73:74], 2, v[73:74]
	v_add_co_u32 v73, vcc_lo, v52, v73
	s_delay_alu instid0(VALU_DEP_2)
	v_add_co_ci_u32_e32 v74, vcc_lo, v60, v74, vcc_lo
	global_store_b32 v[73:74], v20, off
	s_or_b32 exec_lo, exec_lo, s19
	s_and_saveexec_b32 s19, s15
	s_cbranch_execnz .LBB162_220
.LBB162_238:
	s_or_b32 exec_lo, exec_lo, s19
	s_and_saveexec_b32 s19, s14
	s_cbranch_execz .LBB162_221
.LBB162_239:
	v_sub_nc_u32_e32 v73, v45, v5
	v_mov_b32_e32 v74, 0
	s_delay_alu instid0(VALU_DEP_1) | instskip(NEXT) | instid1(VALU_DEP_1)
	v_lshlrev_b64 v[73:74], 2, v[73:74]
	v_add_co_u32 v73, vcc_lo, v52, v73
	s_delay_alu instid0(VALU_DEP_2)
	v_add_co_ci_u32_e32 v74, vcc_lo, v60, v74, vcc_lo
	global_store_b32 v[73:74], v18, off
	s_or_b32 exec_lo, exec_lo, s19
	s_and_saveexec_b32 s19, s11
	s_cbranch_execnz .LBB162_222
.LBB162_240:
	s_or_b32 exec_lo, exec_lo, s19
	s_and_saveexec_b32 s19, s8
	s_cbranch_execz .LBB162_223
.LBB162_241:
	v_sub_nc_u32_e32 v73, v43, v5
	v_mov_b32_e32 v74, 0
	s_delay_alu instid0(VALU_DEP_1) | instskip(NEXT) | instid1(VALU_DEP_1)
	v_lshlrev_b64 v[73:74], 2, v[73:74]
	v_add_co_u32 v73, vcc_lo, v52, v73
	s_delay_alu instid0(VALU_DEP_2)
	v_add_co_ci_u32_e32 v74, vcc_lo, v60, v74, vcc_lo
	global_store_b32 v[73:74], v16, off
	s_or_b32 exec_lo, exec_lo, s19
	s_and_saveexec_b32 s19, s7
	s_cbranch_execnz .LBB162_224
.LBB162_242:
	s_or_b32 exec_lo, exec_lo, s19
	s_and_saveexec_b32 s19, s6
	s_cbranch_execz .LBB162_225
.LBB162_243:
	v_sub_nc_u32_e32 v73, v41, v5
	v_mov_b32_e32 v74, 0
	s_delay_alu instid0(VALU_DEP_1) | instskip(NEXT) | instid1(VALU_DEP_1)
	v_lshlrev_b64 v[73:74], 2, v[73:74]
	v_add_co_u32 v73, vcc_lo, v52, v73
	s_delay_alu instid0(VALU_DEP_2)
	v_add_co_ci_u32_e32 v74, vcc_lo, v60, v74, vcc_lo
	global_store_b32 v[73:74], v14, off
	s_or_b32 exec_lo, exec_lo, s19
	s_and_saveexec_b32 s19, s5
	s_cbranch_execnz .LBB162_226
.LBB162_244:
	s_or_b32 exec_lo, exec_lo, s19
	s_and_saveexec_b32 s19, s4
	s_cbranch_execz .LBB162_227
.LBB162_245:
	v_sub_nc_u32_e32 v73, v39, v5
	v_mov_b32_e32 v74, 0
	s_delay_alu instid0(VALU_DEP_1) | instskip(NEXT) | instid1(VALU_DEP_1)
	v_lshlrev_b64 v[73:74], 2, v[73:74]
	v_add_co_u32 v73, vcc_lo, v52, v73
	s_delay_alu instid0(VALU_DEP_2)
	v_add_co_ci_u32_e32 v74, vcc_lo, v60, v74, vcc_lo
	global_store_b32 v[73:74], v12, off
	s_or_b32 exec_lo, exec_lo, s19
	s_and_saveexec_b32 s19, s3
	s_cbranch_execnz .LBB162_228
.LBB162_246:
	s_or_b32 exec_lo, exec_lo, s19
	s_and_saveexec_b32 s19, s1
	s_cbranch_execz .LBB162_248
.LBB162_247:
	v_sub_nc_u32_e32 v73, v37, v5
	v_mov_b32_e32 v74, 0
	s_delay_alu instid0(VALU_DEP_1) | instskip(NEXT) | instid1(VALU_DEP_1)
	v_lshlrev_b64 v[73:74], 2, v[73:74]
	v_add_co_u32 v73, vcc_lo, v52, v73
	s_delay_alu instid0(VALU_DEP_2)
	v_add_co_ci_u32_e32 v74, vcc_lo, v60, v74, vcc_lo
	global_store_b32 v[73:74], v10, off
.LBB162_248:
	s_or_b32 exec_lo, exec_lo, s19
	s_delay_alu instid0(SALU_CYCLE_1)
	s_and_b32 s19, s0, exec_lo
	s_and_not1_saveexec_b32 s16, s16
	s_cbranch_execnz .LBB162_233
.LBB162_249:
	s_or_b32 exec_lo, exec_lo, s16
	s_delay_alu instid0(SALU_CYCLE_1)
	s_and_b32 exec_lo, exec_lo, s19
	s_cbranch_execz .LBB162_251
.LBB162_250:
	v_sub_nc_u32_e32 v73, v6, v5
	v_mov_b32_e32 v74, 0
	s_delay_alu instid0(VALU_DEP_1) | instskip(NEXT) | instid1(VALU_DEP_1)
	v_lshlrev_b64 v[73:74], 2, v[73:74]
	v_add_co_u32 v73, vcc_lo, v52, v73
	s_delay_alu instid0(VALU_DEP_2)
	v_add_co_ci_u32_e32 v74, vcc_lo, v60, v74, vcc_lo
	global_store_b32 v[73:74], v57, off
.LBB162_251:
	s_or_b32 exec_lo, exec_lo, s18
	s_mov_b32 s18, 0
.LBB162_252:
	s_delay_alu instid0(SALU_CYCLE_1)
	s_and_b32 vcc_lo, exec_lo, s18
	s_cbranch_vccz .LBB162_292
; %bb.253:
	s_mov_b32 s16, exec_lo
	v_cmpx_gt_i16_e32 2, v72
	s_cbranch_execz .LBB162_288
; %bb.254:
	s_mov_b32 s19, 0
	s_mov_b32 s18, exec_lo
	v_cmpx_ne_u16_e32 1, v72
	s_xor_b32 s18, exec_lo, s18
	s_cbranch_execz .LBB162_269
; %bb.255:
	s_and_saveexec_b32 s19, s13
	s_cbranch_execz .LBB162_271
; %bb.256:
	v_sub_nc_u32_e32 v72, v4, v5
	s_delay_alu instid0(VALU_DEP_1)
	v_lshlrev_b32_e32 v72, 2, v72
	ds_store_b32 v72, v21
	s_or_b32 exec_lo, exec_lo, s19
	s_and_saveexec_b32 s13, s12
	s_cbranch_execnz .LBB162_272
.LBB162_257:
	s_or_b32 exec_lo, exec_lo, s13
	s_and_saveexec_b32 s12, s10
	s_cbranch_execz .LBB162_273
.LBB162_258:
	v_sub_nc_u32_e32 v21, v51, v5
	s_delay_alu instid0(VALU_DEP_1)
	v_lshlrev_b32_e32 v21, 2, v21
	ds_store_b32 v21, v19
	s_or_b32 exec_lo, exec_lo, s12
	s_and_saveexec_b32 s10, s9
	s_cbranch_execnz .LBB162_274
.LBB162_259:
	s_or_b32 exec_lo, exec_lo, s10
	s_and_saveexec_b32 s9, s15
	s_cbranch_execz .LBB162_275
.LBB162_260:
	v_sub_nc_u32_e32 v19, v46, v5
	s_delay_alu instid0(VALU_DEP_1)
	v_lshlrev_b32_e32 v19, 2, v19
	ds_store_b32 v19, v17
	s_or_b32 exec_lo, exec_lo, s9
	s_and_saveexec_b32 s9, s14
	s_cbranch_execnz .LBB162_276
.LBB162_261:
	s_or_b32 exec_lo, exec_lo, s9
	s_and_saveexec_b32 s9, s11
	s_cbranch_execz .LBB162_277
.LBB162_262:
	v_sub_nc_u32_e32 v17, v44, v5
	s_delay_alu instid0(VALU_DEP_1)
	v_lshlrev_b32_e32 v17, 2, v17
	ds_store_b32 v17, v15
	s_or_b32 exec_lo, exec_lo, s9
	s_and_saveexec_b32 s9, s8
	s_cbranch_execnz .LBB162_278
.LBB162_263:
	s_or_b32 exec_lo, exec_lo, s9
	s_and_saveexec_b32 s8, s7
	s_cbranch_execz .LBB162_279
.LBB162_264:
	v_sub_nc_u32_e32 v15, v42, v5
	s_delay_alu instid0(VALU_DEP_1)
	v_lshlrev_b32_e32 v15, 2, v15
	ds_store_b32 v15, v13
	s_or_b32 exec_lo, exec_lo, s8
	s_and_saveexec_b32 s7, s6
	s_cbranch_execnz .LBB162_280
.LBB162_265:
	s_or_b32 exec_lo, exec_lo, s7
	s_and_saveexec_b32 s6, s5
	s_cbranch_execz .LBB162_281
.LBB162_266:
	v_sub_nc_u32_e32 v13, v40, v5
	s_delay_alu instid0(VALU_DEP_1)
	v_lshlrev_b32_e32 v13, 2, v13
	ds_store_b32 v13, v11
	s_or_b32 exec_lo, exec_lo, s6
	s_and_saveexec_b32 s5, s4
	s_cbranch_execnz .LBB162_282
.LBB162_267:
	s_or_b32 exec_lo, exec_lo, s5
	s_and_saveexec_b32 s4, s3
	s_cbranch_execz .LBB162_283
.LBB162_268:
	v_sub_nc_u32_e32 v11, v38, v5
	s_delay_alu instid0(VALU_DEP_1)
	v_lshlrev_b32_e32 v11, 2, v11
	ds_store_b32 v11, v9
	s_or_b32 exec_lo, exec_lo, s4
	s_and_saveexec_b32 s3, s1
	s_cbranch_execnz .LBB162_284
	s_branch .LBB162_285
.LBB162_269:
	s_and_not1_saveexec_b32 s0, s18
	s_cbranch_execz .LBB162_286
.LBB162_270:
	v_sub_nc_u32_e32 v72, v4, v5
	v_sub_nc_u32_e32 v75, v48, v5
	;; [unrolled: 1-line block ×4, first 2 shown]
	s_or_b32 s19, s19, exec_lo
	v_lshlrev_b32_e32 v72, 2, v72
	v_lshlrev_b32_e32 v75, 2, v75
	;; [unrolled: 1-line block ×4, first 2 shown]
	ds_store_b32 v72, v21
	ds_store_b32 v73, v22
	ds_store_b32 v74, v19
	v_sub_nc_u32_e32 v19, v46, v5
	ds_store_b32 v75, v20
	v_sub_nc_u32_e32 v20, v45, v5
	v_sub_nc_u32_e32 v21, v44, v5
	;; [unrolled: 1-line block ×3, first 2 shown]
	v_lshlrev_b32_e32 v19, 2, v19
	v_sub_nc_u32_e32 v72, v42, v5
	v_lshlrev_b32_e32 v20, 2, v20
	v_lshlrev_b32_e32 v21, 2, v21
	;; [unrolled: 1-line block ×3, first 2 shown]
	ds_store_b32 v19, v17
	v_lshlrev_b32_e32 v17, 2, v72
	ds_store_b32 v20, v18
	ds_store_b32 v21, v15
	;; [unrolled: 1-line block ×3, first 2 shown]
	v_sub_nc_u32_e32 v15, v41, v5
	v_sub_nc_u32_e32 v18, v37, v5
	;; [unrolled: 1-line block ×3, first 2 shown]
	ds_store_b32 v17, v13
	v_sub_nc_u32_e32 v13, v40, v5
	v_lshlrev_b32_e32 v15, 2, v15
	v_sub_nc_u32_e32 v17, v38, v5
	v_lshlrev_b32_e32 v16, 2, v16
	s_delay_alu instid0(VALU_DEP_4)
	v_lshlrev_b32_e32 v13, 2, v13
	ds_store_b32 v15, v14
	v_lshlrev_b32_e32 v14, 2, v18
	v_lshlrev_b32_e32 v17, 2, v17
	ds_store_b32 v13, v11
	ds_store_b32 v16, v12
	;; [unrolled: 1-line block ×4, first 2 shown]
	s_or_b32 exec_lo, exec_lo, s0
	s_delay_alu instid0(SALU_CYCLE_1)
	s_and_b32 exec_lo, exec_lo, s19
	s_cbranch_execnz .LBB162_287
	s_branch .LBB162_288
.LBB162_271:
	s_or_b32 exec_lo, exec_lo, s19
	s_and_saveexec_b32 s13, s12
	s_cbranch_execz .LBB162_257
.LBB162_272:
	v_sub_nc_u32_e32 v21, v47, v5
	s_delay_alu instid0(VALU_DEP_1)
	v_lshlrev_b32_e32 v21, 2, v21
	ds_store_b32 v21, v22
	s_or_b32 exec_lo, exec_lo, s13
	s_and_saveexec_b32 s12, s10
	s_cbranch_execnz .LBB162_258
.LBB162_273:
	s_or_b32 exec_lo, exec_lo, s12
	s_and_saveexec_b32 s10, s9
	s_cbranch_execz .LBB162_259
.LBB162_274:
	v_sub_nc_u32_e32 v19, v48, v5
	s_delay_alu instid0(VALU_DEP_1)
	v_lshlrev_b32_e32 v19, 2, v19
	ds_store_b32 v19, v20
	s_or_b32 exec_lo, exec_lo, s10
	s_and_saveexec_b32 s9, s15
	s_cbranch_execnz .LBB162_260
.LBB162_275:
	s_or_b32 exec_lo, exec_lo, s9
	s_and_saveexec_b32 s9, s14
	s_cbranch_execz .LBB162_261
.LBB162_276:
	v_sub_nc_u32_e32 v17, v45, v5
	s_delay_alu instid0(VALU_DEP_1)
	v_lshlrev_b32_e32 v17, 2, v17
	ds_store_b32 v17, v18
	s_or_b32 exec_lo, exec_lo, s9
	s_and_saveexec_b32 s9, s11
	s_cbranch_execnz .LBB162_262
.LBB162_277:
	s_or_b32 exec_lo, exec_lo, s9
	s_and_saveexec_b32 s9, s8
	s_cbranch_execz .LBB162_263
.LBB162_278:
	v_sub_nc_u32_e32 v15, v43, v5
	s_delay_alu instid0(VALU_DEP_1)
	v_lshlrev_b32_e32 v15, 2, v15
	ds_store_b32 v15, v16
	s_or_b32 exec_lo, exec_lo, s9
	s_and_saveexec_b32 s8, s7
	s_cbranch_execnz .LBB162_264
.LBB162_279:
	s_or_b32 exec_lo, exec_lo, s8
	s_and_saveexec_b32 s7, s6
	s_cbranch_execz .LBB162_265
.LBB162_280:
	v_sub_nc_u32_e32 v13, v41, v5
	s_delay_alu instid0(VALU_DEP_1)
	v_lshlrev_b32_e32 v13, 2, v13
	ds_store_b32 v13, v14
	s_or_b32 exec_lo, exec_lo, s7
	s_and_saveexec_b32 s6, s5
	s_cbranch_execnz .LBB162_266
.LBB162_281:
	s_or_b32 exec_lo, exec_lo, s6
	s_and_saveexec_b32 s5, s4
	s_cbranch_execz .LBB162_267
.LBB162_282:
	v_sub_nc_u32_e32 v11, v39, v5
	s_delay_alu instid0(VALU_DEP_1)
	v_lshlrev_b32_e32 v11, 2, v11
	ds_store_b32 v11, v12
	s_or_b32 exec_lo, exec_lo, s5
	s_and_saveexec_b32 s4, s3
	s_cbranch_execnz .LBB162_268
.LBB162_283:
	s_or_b32 exec_lo, exec_lo, s4
	s_and_saveexec_b32 s3, s1
	s_cbranch_execz .LBB162_285
.LBB162_284:
	v_sub_nc_u32_e32 v9, v37, v5
	s_delay_alu instid0(VALU_DEP_1)
	v_lshlrev_b32_e32 v9, 2, v9
	ds_store_b32 v9, v10
.LBB162_285:
	s_or_b32 exec_lo, exec_lo, s3
	s_delay_alu instid0(SALU_CYCLE_1)
	s_and_b32 s19, s0, exec_lo
                                        ; implicit-def: $vgpr21
                                        ; implicit-def: $vgpr19
                                        ; implicit-def: $vgpr17
                                        ; implicit-def: $vgpr15
                                        ; implicit-def: $vgpr13
                                        ; implicit-def: $vgpr11
                                        ; implicit-def: $vgpr9
	s_and_not1_saveexec_b32 s0, s18
	s_cbranch_execnz .LBB162_270
.LBB162_286:
	s_or_b32 exec_lo, exec_lo, s0
	s_delay_alu instid0(SALU_CYCLE_1)
	s_and_b32 exec_lo, exec_lo, s19
	s_cbranch_execz .LBB162_288
.LBB162_287:
	v_sub_nc_u32_e32 v9, v6, v5
	s_delay_alu instid0(VALU_DEP_1)
	v_lshlrev_b32_e32 v9, 2, v9
	ds_store_b32 v9, v57
.LBB162_288:
	s_or_b32 exec_lo, exec_lo, s16
	s_delay_alu instid0(SALU_CYCLE_1)
	s_mov_b32 s1, exec_lo
	s_waitcnt lgkmcnt(0)
	s_waitcnt_vscnt null, 0x0
	s_barrier
	buffer_gl0_inv
	v_cmpx_lt_u32_e64 v0, v1
	s_cbranch_execz .LBB162_291
; %bb.289:
	v_dual_mov_b32 v10, 0 :: v_dual_lshlrev_b32 v11, 2, v0
	v_mov_b32_e32 v9, v0
	s_mov_b32 s3, 0
	.p2align	6
.LBB162_290:                            ; =>This Inner Loop Header: Depth=1
	ds_load_b32 v14, v11
	v_lshlrev_b64 v[12:13], 2, v[9:10]
	v_add_nc_u32_e32 v9, 0x100, v9
	v_add_nc_u32_e32 v11, 0x400, v11
	s_delay_alu instid0(VALU_DEP_2) | instskip(NEXT) | instid1(VALU_DEP_4)
	v_cmp_ge_u32_e32 vcc_lo, v9, v1
	v_add_co_u32 v12, s0, v52, v12
	s_delay_alu instid0(VALU_DEP_1)
	v_add_co_ci_u32_e64 v13, s0, v60, v13, s0
	s_or_b32 s3, vcc_lo, s3
	s_waitcnt lgkmcnt(0)
	global_store_b32 v[12:13], v14, off
	s_and_not1_b32 exec_lo, exec_lo, s3
	s_cbranch_execnz .LBB162_290
.LBB162_291:
	s_or_b32 exec_lo, exec_lo, s1
.LBB162_292:
	s_cmpk_lg_i32 s33, 0xf00
	v_cndmask_b32_e64 v14, 0, 1, s40
	s_cselect_b32 s0, -1, 0
	v_mad_i32_i24 v11, v0, -15, s33
	s_and_b32 s0, s0, s17
	s_and_b32 s1, s2, s40
	v_cndmask_b32_e64 v10, 0, 1, s0
	s_mul_hi_u32 s0, s33, 0x88888889
	v_sub_nc_u32_e32 v9, v1, v14
	s_lshr_b32 s0, s0, 3
	v_cndmask_b32_e64 v12, v27, 0, s1
	v_cmp_eq_u32_e32 vcc_lo, s0, v0
	v_cmp_ne_u32_e64 s0, 0, v11
	s_mov_b32 s16, -1
	s_waitcnt_vscnt null, 0x0
	s_barrier
	s_and_b32 vcc_lo, vcc_lo, s17
	v_add_nc_u32_e32 v9, v9, v10
	v_cndmask_b32_e64 v10, 1, v12, s0
	v_cmp_ne_u32_e64 s0, 1, v11
	buffer_gl0_inv
	v_cndmask_b32_e32 v18, v12, v10, vcc_lo
	v_cndmask_b32_e64 v13, 1, v50, s0
	v_cmp_ne_u32_e64 s0, 14, v11
	s_delay_alu instid0(VALU_DEP_3) | instskip(NEXT) | instid1(VALU_DEP_2)
	v_cmp_ne_u32_e64 s14, 0, v18
	v_cndmask_b32_e64 v15, 1, v58, s0
	v_cmp_ne_u32_e64 s0, 2, v11
	s_delay_alu instid0(VALU_DEP_2) | instskip(NEXT) | instid1(VALU_DEP_2)
	v_cndmask_b32_e32 v15, v58, v15, vcc_lo
	v_cndmask_b32_e64 v16, 1, v33, s0
	v_cmp_ne_u32_e64 s0, 3, v11
	s_delay_alu instid0(VALU_DEP_2) | instskip(NEXT) | instid1(VALU_DEP_2)
	v_dual_cndmask_b32 v19, v50, v13 :: v_dual_cndmask_b32 v16, v33, v16
	v_cndmask_b32_e64 v17, 1, v34, s0
	v_cmp_ne_u32_e64 s0, 4, v11
	s_delay_alu instid0(VALU_DEP_3) | instskip(NEXT) | instid1(VALU_DEP_4)
	v_cmp_ne_u32_e64 s13, 0, v19
	v_cmp_ne_u32_e64 s12, 0, v16
	s_delay_alu instid0(VALU_DEP_3) | instskip(SKIP_1) | instid1(VALU_DEP_1)
	v_cndmask_b32_e64 v10, 1, v31, s0
	v_cmp_ne_u32_e64 s0, 5, v11
	v_cndmask_b32_e64 v12, 1, v32, s0
	v_cmp_eq_u32_e64 s0, 0, v18
	s_delay_alu instid0(VALU_DEP_2) | instskip(NEXT) | instid1(VALU_DEP_2)
	v_cndmask_b32_e32 v32, v32, v12, vcc_lo
	v_cndmask_b32_e64 v13, 1, 2, s0
	v_cmp_eq_u32_e64 s0, 0, v19
	s_delay_alu instid0(VALU_DEP_3) | instskip(NEXT) | instid1(VALU_DEP_2)
	v_cmp_ne_u32_e64 s9, 0, v32
	v_cndmask_b32_e64 v20, 1, 2, s0
	v_cmp_ne_u32_e64 s0, 6, v11
	s_delay_alu instid0(VALU_DEP_2) | instskip(NEXT) | instid1(VALU_DEP_2)
	v_and_b32_e32 v13, v20, v13
	v_cndmask_b32_e64 v21, 1, v29, s0
	v_cmp_eq_u32_e64 s0, 0, v16
	s_delay_alu instid0(VALU_DEP_2) | instskip(NEXT) | instid1(VALU_DEP_2)
	v_cndmask_b32_e32 v21, v29, v21, vcc_lo
	v_cndmask_b32_e64 v20, 1, 2, s0
	v_cmp_ne_u32_e64 s0, 7, v11
	s_delay_alu instid0(VALU_DEP_1) | instskip(SKIP_1) | instid1(VALU_DEP_2)
	v_cndmask_b32_e64 v22, 1, v30, s0
	v_cmp_ne_u32_e64 s0, 8, v11
	v_dual_cndmask_b32 v22, v30, v22 :: v_dual_and_b32 v13, v13, v20
	v_cndmask_b32_e32 v17, v34, v17, vcc_lo
	s_delay_alu instid0(VALU_DEP_3) | instskip(NEXT) | instid1(VALU_DEP_3)
	v_cndmask_b32_e64 v27, 1, v25, s0
	v_cmp_ne_u32_e64 s7, 0, v22
	s_delay_alu instid0(VALU_DEP_3) | instskip(NEXT) | instid1(VALU_DEP_3)
	v_cmp_eq_u32_e64 s0, 0, v17
	v_cndmask_b32_e32 v25, v25, v27, vcc_lo
	s_delay_alu instid0(VALU_DEP_2) | instskip(SKIP_1) | instid1(VALU_DEP_3)
	v_cndmask_b32_e64 v20, 1, 2, s0
	v_cmp_ne_u32_e64 s0, 9, v11
	v_cmp_ne_u32_e64 s6, 0, v25
	s_delay_alu instid0(VALU_DEP_3) | instskip(NEXT) | instid1(VALU_DEP_3)
	v_dual_cndmask_b32 v31, v31, v10 :: v_dual_and_b32 v12, v13, v20
	v_cndmask_b32_e64 v10, 1, v26, s0
	v_cmp_ne_u32_e64 s11, 0, v17
	s_delay_alu instid0(VALU_DEP_3) | instskip(NEXT) | instid1(VALU_DEP_1)
	v_cmp_eq_u32_e64 s0, 0, v31
	v_cndmask_b32_e64 v13, 1, 2, s0
	v_cmp_ne_u32_e64 s0, 10, v11
	s_delay_alu instid0(VALU_DEP_2) | instskip(NEXT) | instid1(VALU_DEP_2)
	v_and_b32_e32 v12, v12, v13
	v_cndmask_b32_e64 v20, 1, v23, s0
	v_cmp_ne_u32_e64 s0, 12, v11
	v_cmp_ne_u32_e64 s10, 0, v31
	s_delay_alu instid0(VALU_DEP_3) | instskip(NEXT) | instid1(VALU_DEP_3)
	v_cndmask_b32_e32 v20, v23, v20, vcc_lo
	v_cndmask_b32_e64 v33, 1, v59, s0
	v_cmp_eq_u32_e64 s0, 0, v32
	v_cndmask_b32_e32 v23, v26, v10, vcc_lo
	s_delay_alu instid0(VALU_DEP_2) | instskip(SKIP_1) | instid1(VALU_DEP_3)
	v_cndmask_b32_e64 v13, 1, 2, s0
	v_cmp_ne_u32_e64 s0, 13, v11
	v_cmp_ne_u32_e64 s5, 0, v23
	s_delay_alu instid0(VALU_DEP_3) | instskip(NEXT) | instid1(VALU_DEP_3)
	v_and_b32_e32 v12, v12, v13
	v_cndmask_b32_e64 v29, 1, v28, s0
	v_cmp_eq_u32_e64 s0, 0, v21
	s_delay_alu instid0(VALU_DEP_2) | instskip(NEXT) | instid1(VALU_DEP_2)
	v_cndmask_b32_e32 v28, v28, v29, vcc_lo
	v_cndmask_b32_e64 v13, 1, 2, s0
	v_cmp_ne_u32_e64 s0, 11, v11
	s_delay_alu instid0(VALU_DEP_3) | instskip(NEXT) | instid1(VALU_DEP_3)
	v_cmp_ne_u32_e64 s1, 0, v28
	v_and_b32_e32 v12, v12, v13
	s_delay_alu instid0(VALU_DEP_3) | instskip(SKIP_1) | instid1(VALU_DEP_2)
	v_cndmask_b32_e64 v11, 1, v24, s0
	v_cmp_eq_u32_e64 s0, 0, v22
	v_cndmask_b32_e32 v24, v24, v11, vcc_lo
	s_delay_alu instid0(VALU_DEP_2) | instskip(SKIP_2) | instid1(VALU_DEP_4)
	v_cndmask_b32_e64 v13, 1, 2, s0
	v_cmp_ne_u32_e64 s8, 0, v21
	v_cmp_ne_u32_e64 s0, 0, v15
	;; [unrolled: 1-line block ×3, first 2 shown]
	s_delay_alu instid0(VALU_DEP_4)
	v_and_b32_e32 v10, v12, v13
	v_cndmask_b32_e32 v29, v59, v33, vcc_lo
	v_cmp_eq_u32_e32 vcc_lo, 0, v25
	v_cndmask_b32_e64 v11, 1, 2, vcc_lo
	v_add_co_u32 v2, vcc_lo, s28, v2
	v_add_co_ci_u32_e32 v3, vcc_lo, s29, v3, vcc_lo
	s_delay_alu instid0(VALU_DEP_3)
	v_and_b32_e32 v12, v10, v11
	v_cmp_eq_u32_e32 vcc_lo, 0, v23
	v_cmp_ne_u32_e64 s2, 0, v29
	v_cndmask_b32_e64 v13, 1, 2, vcc_lo
	v_add_co_u32 v10, vcc_lo, v2, v35
	v_add_co_ci_u32_e32 v11, vcc_lo, v3, v36, vcc_lo
	v_lshlrev_b32_e32 v2, 2, v14
	s_delay_alu instid0(VALU_DEP_4)
	v_and_b32_e32 v3, v12, v13
	v_cmp_eq_u32_e32 vcc_lo, 0, v20
	v_cmp_ne_u32_e64 s4, 0, v20
	v_cndmask_b32_e64 v12, 1, 2, vcc_lo
	v_add_co_u32 v2, vcc_lo, v2, v10
	v_add_co_ci_u32_e32 v13, vcc_lo, 0, v11, vcc_lo
	v_cmp_eq_u32_e32 vcc_lo, 0, v24
	s_delay_alu instid0(VALU_DEP_4)
	v_and_b32_e32 v3, v3, v12
	v_cndmask_b32_e64 v26, 1, 2, vcc_lo
	v_add_co_u32 v12, vcc_lo, v2, -4
	v_add_co_ci_u32_e32 v13, vcc_lo, -1, v13, vcc_lo
	v_cmp_eq_u32_e32 vcc_lo, 0, v29
	v_add_nc_u32_e32 v2, v5, v14
	v_and_b32_e32 v3, v3, v26
	v_cndmask_b32_e64 v14, 1, 2, vcc_lo
	v_cmp_eq_u32_e32 vcc_lo, 0, v28
	s_delay_alu instid0(VALU_DEP_2) | instskip(SKIP_2) | instid1(VALU_DEP_2)
	v_and_b32_e32 v3, v3, v14
	v_cndmask_b32_e64 v14, 1, 2, vcc_lo
	v_cmp_eq_u32_e32 vcc_lo, 0, v15
	v_and_b32_e32 v3, v3, v14
	v_cndmask_b32_e64 v14, 1, 2, vcc_lo
	v_cmp_gt_u32_e32 vcc_lo, 0x100, v9
	s_delay_alu instid0(VALU_DEP_2) | instskip(NEXT) | instid1(VALU_DEP_1)
	v_and_b32_e32 v3, v3, v14
	v_cmp_gt_i16_e64 s15, 2, v3
	s_cbranch_vccz .LBB162_309
; %bb.293:
	s_delay_alu instid0(VALU_DEP_1)
	s_and_saveexec_b32 s16, s15
	s_cbranch_execz .LBB162_347
; %bb.294:
	s_mov_b32 s18, 0
	s_mov_b32 s15, exec_lo
	v_cmpx_ne_u16_e32 1, v3
	s_xor_b32 s15, exec_lo, s15
	s_cbranch_execz .LBB162_326
; %bb.295:
	s_and_saveexec_b32 s18, s14
	s_cbranch_execz .LBB162_330
; %bb.296:
	v_sub_nc_u32_e32 v14, v4, v2
	v_mov_b32_e32 v15, 0
	s_delay_alu instid0(VALU_DEP_1) | instskip(NEXT) | instid1(VALU_DEP_1)
	v_lshlrev_b64 v[14:15], 2, v[14:15]
	v_add_co_u32 v14, vcc_lo, v12, v14
	s_delay_alu instid0(VALU_DEP_2)
	v_add_co_ci_u32_e32 v15, vcc_lo, v13, v15, vcc_lo
	global_store_b32 v[14:15], v71, off
	s_or_b32 exec_lo, exec_lo, s18
	s_and_saveexec_b32 s18, s13
	s_cbranch_execnz .LBB162_331
.LBB162_297:
	s_or_b32 exec_lo, exec_lo, s18
	s_and_saveexec_b32 s18, s12
	s_cbranch_execz .LBB162_332
.LBB162_298:
	v_sub_nc_u32_e32 v14, v51, v2
	v_mov_b32_e32 v15, 0
	s_delay_alu instid0(VALU_DEP_1) | instskip(NEXT) | instid1(VALU_DEP_1)
	v_lshlrev_b64 v[14:15], 2, v[14:15]
	v_add_co_u32 v14, vcc_lo, v12, v14
	s_delay_alu instid0(VALU_DEP_2)
	v_add_co_ci_u32_e32 v15, vcc_lo, v13, v15, vcc_lo
	global_store_b32 v[14:15], v69, off
	s_or_b32 exec_lo, exec_lo, s18
	s_and_saveexec_b32 s18, s11
	s_cbranch_execnz .LBB162_333
.LBB162_299:
	s_or_b32 exec_lo, exec_lo, s18
	s_and_saveexec_b32 s18, s10
	s_cbranch_execz .LBB162_334
.LBB162_300:
	v_sub_nc_u32_e32 v14, v46, v2
	v_mov_b32_e32 v15, 0
	s_delay_alu instid0(VALU_DEP_1) | instskip(NEXT) | instid1(VALU_DEP_1)
	v_lshlrev_b64 v[14:15], 2, v[14:15]
	v_add_co_u32 v14, vcc_lo, v12, v14
	s_delay_alu instid0(VALU_DEP_2)
	v_add_co_ci_u32_e32 v15, vcc_lo, v13, v15, vcc_lo
	global_store_b32 v[14:15], v67, off
	s_or_b32 exec_lo, exec_lo, s18
	s_and_saveexec_b32 s18, s9
	s_cbranch_execnz .LBB162_335
.LBB162_301:
	s_or_b32 exec_lo, exec_lo, s18
	s_and_saveexec_b32 s18, s8
	s_cbranch_execz .LBB162_336
.LBB162_302:
	v_sub_nc_u32_e32 v14, v44, v2
	v_mov_b32_e32 v15, 0
	s_delay_alu instid0(VALU_DEP_1) | instskip(NEXT) | instid1(VALU_DEP_1)
	v_lshlrev_b64 v[14:15], 2, v[14:15]
	v_add_co_u32 v14, vcc_lo, v12, v14
	s_delay_alu instid0(VALU_DEP_2)
	v_add_co_ci_u32_e32 v15, vcc_lo, v13, v15, vcc_lo
	global_store_b32 v[14:15], v65, off
	s_or_b32 exec_lo, exec_lo, s18
	s_and_saveexec_b32 s18, s7
	s_cbranch_execnz .LBB162_337
.LBB162_303:
	s_or_b32 exec_lo, exec_lo, s18
	s_and_saveexec_b32 s18, s6
	s_cbranch_execz .LBB162_338
.LBB162_304:
	v_sub_nc_u32_e32 v14, v42, v2
	v_mov_b32_e32 v15, 0
	s_delay_alu instid0(VALU_DEP_1) | instskip(NEXT) | instid1(VALU_DEP_1)
	v_lshlrev_b64 v[14:15], 2, v[14:15]
	v_add_co_u32 v14, vcc_lo, v12, v14
	s_delay_alu instid0(VALU_DEP_2)
	v_add_co_ci_u32_e32 v15, vcc_lo, v13, v15, vcc_lo
	global_store_b32 v[14:15], v63, off
	s_or_b32 exec_lo, exec_lo, s18
	s_and_saveexec_b32 s18, s5
	s_cbranch_execnz .LBB162_339
.LBB162_305:
	s_or_b32 exec_lo, exec_lo, s18
	s_and_saveexec_b32 s18, s4
	s_cbranch_execz .LBB162_340
.LBB162_306:
	v_sub_nc_u32_e32 v14, v40, v2
	v_mov_b32_e32 v15, 0
	s_delay_alu instid0(VALU_DEP_1) | instskip(NEXT) | instid1(VALU_DEP_1)
	v_lshlrev_b64 v[14:15], 2, v[14:15]
	v_add_co_u32 v14, vcc_lo, v12, v14
	s_delay_alu instid0(VALU_DEP_2)
	v_add_co_ci_u32_e32 v15, vcc_lo, v13, v15, vcc_lo
	global_store_b32 v[14:15], v56, off
	s_or_b32 exec_lo, exec_lo, s18
	s_and_saveexec_b32 s18, s3
	s_cbranch_execnz .LBB162_341
.LBB162_307:
	s_or_b32 exec_lo, exec_lo, s18
	s_and_saveexec_b32 s18, s2
	s_cbranch_execz .LBB162_342
.LBB162_308:
	v_sub_nc_u32_e32 v14, v38, v2
	v_mov_b32_e32 v15, 0
	s_delay_alu instid0(VALU_DEP_1) | instskip(NEXT) | instid1(VALU_DEP_1)
	v_lshlrev_b64 v[14:15], 2, v[14:15]
	v_add_co_u32 v14, vcc_lo, v12, v14
	s_delay_alu instid0(VALU_DEP_2)
	v_add_co_ci_u32_e32 v15, vcc_lo, v13, v15, vcc_lo
	global_store_b32 v[14:15], v55, off
	s_or_b32 exec_lo, exec_lo, s18
	s_and_saveexec_b32 s18, s1
	s_cbranch_execnz .LBB162_343
	s_branch .LBB162_344
.LBB162_309:
	s_and_b32 vcc_lo, exec_lo, s16
	s_cbranch_vccz .LBB162_348
; %bb.310:
	s_mov_b32 s15, exec_lo
	v_cmpx_gt_i16_e32 2, v3
	s_cbranch_execz .LBB162_366
; %bb.311:
	s_mov_b32 s18, 0
	s_mov_b32 s16, exec_lo
	v_cmpx_ne_u16_e32 1, v3
	s_xor_b32 s16, exec_lo, s16
	s_cbranch_execz .LBB162_328
; %bb.312:
	s_and_saveexec_b32 s18, s14
	s_cbranch_execz .LBB162_349
; %bb.313:
	v_sub_nc_u32_e32 v3, v4, v2
	s_delay_alu instid0(VALU_DEP_1)
	v_lshlrev_b32_e32 v3, 2, v3
	ds_store_b32 v3, v71
	s_or_b32 exec_lo, exec_lo, s18
	s_and_saveexec_b32 s14, s13
	s_cbranch_execnz .LBB162_350
.LBB162_314:
	s_or_b32 exec_lo, exec_lo, s14
	s_and_saveexec_b32 s13, s12
	s_cbranch_execz .LBB162_351
.LBB162_315:
	v_sub_nc_u32_e32 v3, v51, v2
	s_delay_alu instid0(VALU_DEP_1)
	v_lshlrev_b32_e32 v3, 2, v3
	ds_store_b32 v3, v69
	s_or_b32 exec_lo, exec_lo, s13
	s_and_saveexec_b32 s12, s11
	s_cbranch_execnz .LBB162_352
.LBB162_316:
	s_or_b32 exec_lo, exec_lo, s12
	s_and_saveexec_b32 s11, s10
	s_cbranch_execz .LBB162_353
.LBB162_317:
	v_sub_nc_u32_e32 v3, v46, v2
	s_delay_alu instid0(VALU_DEP_1)
	v_lshlrev_b32_e32 v3, 2, v3
	ds_store_b32 v3, v67
	s_or_b32 exec_lo, exec_lo, s11
	s_and_saveexec_b32 s10, s9
	s_cbranch_execnz .LBB162_354
.LBB162_318:
	s_or_b32 exec_lo, exec_lo, s10
	s_and_saveexec_b32 s9, s8
	s_cbranch_execz .LBB162_355
.LBB162_319:
	v_sub_nc_u32_e32 v3, v44, v2
	s_delay_alu instid0(VALU_DEP_1)
	v_lshlrev_b32_e32 v3, 2, v3
	ds_store_b32 v3, v65
	s_or_b32 exec_lo, exec_lo, s9
	s_and_saveexec_b32 s8, s7
	s_cbranch_execnz .LBB162_356
.LBB162_320:
	s_or_b32 exec_lo, exec_lo, s8
	s_and_saveexec_b32 s7, s6
	s_cbranch_execz .LBB162_357
.LBB162_321:
	v_sub_nc_u32_e32 v3, v42, v2
	s_delay_alu instid0(VALU_DEP_1)
	v_lshlrev_b32_e32 v3, 2, v3
	ds_store_b32 v3, v63
	s_or_b32 exec_lo, exec_lo, s7
	s_and_saveexec_b32 s6, s5
	s_cbranch_execnz .LBB162_358
.LBB162_322:
	s_or_b32 exec_lo, exec_lo, s6
	s_and_saveexec_b32 s5, s4
	s_cbranch_execz .LBB162_359
.LBB162_323:
	v_sub_nc_u32_e32 v3, v40, v2
	s_delay_alu instid0(VALU_DEP_1)
	v_lshlrev_b32_e32 v3, 2, v3
	ds_store_b32 v3, v56
	s_or_b32 exec_lo, exec_lo, s5
	s_and_saveexec_b32 s4, s3
	s_cbranch_execnz .LBB162_360
.LBB162_324:
	s_or_b32 exec_lo, exec_lo, s4
	s_and_saveexec_b32 s3, s2
	s_cbranch_execz .LBB162_361
.LBB162_325:
	v_sub_nc_u32_e32 v3, v38, v2
	s_delay_alu instid0(VALU_DEP_1)
	v_lshlrev_b32_e32 v3, 2, v3
	ds_store_b32 v3, v55
	s_or_b32 exec_lo, exec_lo, s3
	s_and_saveexec_b32 s2, s1
	s_cbranch_execnz .LBB162_362
	s_branch .LBB162_363
.LBB162_326:
	s_and_not1_saveexec_b32 s15, s15
	s_cbranch_execz .LBB162_345
.LBB162_327:
	v_sub_nc_u32_e32 v14, v4, v2
	v_mov_b32_e32 v15, 0
	s_or_b32 s18, s18, exec_lo
	s_delay_alu instid0(VALU_DEP_1) | instskip(SKIP_1) | instid1(VALU_DEP_1)
	v_lshlrev_b64 v[16:17], 2, v[14:15]
	v_sub_nc_u32_e32 v14, v47, v2
	v_lshlrev_b64 v[18:19], 2, v[14:15]
	v_sub_nc_u32_e32 v14, v51, v2
	s_delay_alu instid0(VALU_DEP_4) | instskip(SKIP_1) | instid1(VALU_DEP_3)
	v_add_co_u32 v16, vcc_lo, v12, v16
	v_add_co_ci_u32_e32 v17, vcc_lo, v13, v17, vcc_lo
	v_lshlrev_b64 v[20:21], 2, v[14:15]
	v_sub_nc_u32_e32 v14, v48, v2
	v_add_co_u32 v18, vcc_lo, v12, v18
	v_add_co_ci_u32_e32 v19, vcc_lo, v13, v19, vcc_lo
	global_store_b32 v[16:17], v71, off
	v_lshlrev_b64 v[16:17], 2, v[14:15]
	v_sub_nc_u32_e32 v14, v46, v2
	global_store_b32 v[18:19], v70, off
	v_add_co_u32 v18, vcc_lo, v12, v20
	v_add_co_ci_u32_e32 v19, vcc_lo, v13, v21, vcc_lo
	v_lshlrev_b64 v[20:21], 2, v[14:15]
	v_sub_nc_u32_e32 v14, v45, v2
	v_add_co_u32 v16, vcc_lo, v12, v16
	v_add_co_ci_u32_e32 v17, vcc_lo, v13, v17, vcc_lo
	s_delay_alu instid0(VALU_DEP_3) | instskip(SKIP_3) | instid1(VALU_DEP_3)
	v_lshlrev_b64 v[22:23], 2, v[14:15]
	v_sub_nc_u32_e32 v14, v44, v2
	v_add_co_u32 v20, vcc_lo, v12, v20
	v_add_co_ci_u32_e32 v21, vcc_lo, v13, v21, vcc_lo
	v_lshlrev_b64 v[24:25], 2, v[14:15]
	v_sub_nc_u32_e32 v14, v43, v2
	v_add_co_u32 v22, vcc_lo, v12, v22
	v_add_co_ci_u32_e32 v23, vcc_lo, v13, v23, vcc_lo
	s_clause 0x3
	global_store_b32 v[18:19], v69, off
	global_store_b32 v[16:17], v68, off
	global_store_b32 v[20:21], v67, off
	global_store_b32 v[22:23], v66, off
	v_lshlrev_b64 v[16:17], 2, v[14:15]
	v_sub_nc_u32_e32 v14, v42, v2
	v_add_co_u32 v18, vcc_lo, v12, v24
	v_add_co_ci_u32_e32 v19, vcc_lo, v13, v25, vcc_lo
	s_delay_alu instid0(VALU_DEP_3) | instskip(SKIP_3) | instid1(VALU_DEP_3)
	v_lshlrev_b64 v[20:21], 2, v[14:15]
	v_sub_nc_u32_e32 v14, v41, v2
	v_add_co_u32 v16, vcc_lo, v12, v16
	v_add_co_ci_u32_e32 v17, vcc_lo, v13, v17, vcc_lo
	v_lshlrev_b64 v[22:23], 2, v[14:15]
	v_sub_nc_u32_e32 v14, v40, v2
	v_add_co_u32 v20, vcc_lo, v12, v20
	v_add_co_ci_u32_e32 v21, vcc_lo, v13, v21, vcc_lo
	s_delay_alu instid0(VALU_DEP_3)
	v_lshlrev_b64 v[24:25], 2, v[14:15]
	v_sub_nc_u32_e32 v14, v39, v2
	v_add_co_u32 v22, vcc_lo, v12, v22
	v_add_co_ci_u32_e32 v23, vcc_lo, v13, v23, vcc_lo
	s_clause 0x3
	global_store_b32 v[18:19], v65, off
	global_store_b32 v[16:17], v64, off
	;; [unrolled: 1-line block ×4, first 2 shown]
	v_lshlrev_b64 v[16:17], 2, v[14:15]
	v_sub_nc_u32_e32 v14, v38, v2
	v_add_co_u32 v18, vcc_lo, v12, v24
	v_add_co_ci_u32_e32 v19, vcc_lo, v13, v25, vcc_lo
	s_delay_alu instid0(VALU_DEP_3) | instskip(SKIP_3) | instid1(VALU_DEP_3)
	v_lshlrev_b64 v[20:21], 2, v[14:15]
	v_sub_nc_u32_e32 v14, v37, v2
	v_add_co_u32 v16, vcc_lo, v12, v16
	v_add_co_ci_u32_e32 v17, vcc_lo, v13, v17, vcc_lo
	v_lshlrev_b64 v[14:15], 2, v[14:15]
	v_add_co_u32 v20, vcc_lo, v12, v20
	v_add_co_ci_u32_e32 v21, vcc_lo, v13, v21, vcc_lo
	s_clause 0x2
	global_store_b32 v[18:19], v56, off
	global_store_b32 v[16:17], v54, off
	;; [unrolled: 1-line block ×3, first 2 shown]
	v_add_co_u32 v14, vcc_lo, v12, v14
	v_add_co_ci_u32_e32 v15, vcc_lo, v13, v15, vcc_lo
	global_store_b32 v[14:15], v53, off
	s_or_b32 exec_lo, exec_lo, s15
	s_delay_alu instid0(SALU_CYCLE_1)
	s_and_b32 exec_lo, exec_lo, s18
	s_cbranch_execnz .LBB162_346
	s_branch .LBB162_347
.LBB162_328:
	s_and_not1_saveexec_b32 s0, s16
	s_cbranch_execz .LBB162_364
.LBB162_329:
	v_sub_nc_u32_e32 v3, v4, v2
	v_sub_nc_u32_e32 v4, v47, v2
	;; [unrolled: 1-line block ×5, first 2 shown]
	v_lshlrev_b32_e32 v3, 2, v3
	v_lshlrev_b32_e32 v4, 2, v4
	;; [unrolled: 1-line block ×4, first 2 shown]
	s_or_b32 s18, s18, exec_lo
	ds_store_b32 v3, v71
	ds_store_b32 v4, v70
	;; [unrolled: 1-line block ×3, first 2 shown]
	v_sub_nc_u32_e32 v3, v46, v2
	v_sub_nc_u32_e32 v4, v45, v2
	;; [unrolled: 1-line block ×3, first 2 shown]
	ds_store_b32 v15, v68
	v_sub_nc_u32_e32 v15, v43, v2
	v_lshlrev_b32_e32 v3, 2, v3
	v_lshlrev_b32_e32 v4, 2, v4
	;; [unrolled: 1-line block ×3, first 2 shown]
	s_delay_alu instid0(VALU_DEP_4)
	v_lshlrev_b32_e32 v15, 2, v15
	ds_store_b32 v3, v67
	v_lshlrev_b32_e32 v3, 2, v16
	ds_store_b32 v4, v66
	ds_store_b32 v14, v65
	;; [unrolled: 1-line block ×3, first 2 shown]
	v_sub_nc_u32_e32 v4, v41, v2
	v_sub_nc_u32_e32 v16, v37, v2
	;; [unrolled: 1-line block ×3, first 2 shown]
	ds_store_b32 v3, v63
	v_sub_nc_u32_e32 v3, v40, v2
	v_lshlrev_b32_e32 v4, 2, v4
	v_sub_nc_u32_e32 v15, v38, v2
	v_lshlrev_b32_e32 v14, 2, v14
	s_delay_alu instid0(VALU_DEP_4)
	v_lshlrev_b32_e32 v3, 2, v3
	ds_store_b32 v4, v61
	v_lshlrev_b32_e32 v4, 2, v16
	v_lshlrev_b32_e32 v15, 2, v15
	ds_store_b32 v3, v56
	ds_store_b32 v14, v54
	;; [unrolled: 1-line block ×4, first 2 shown]
	s_or_b32 exec_lo, exec_lo, s0
	s_delay_alu instid0(SALU_CYCLE_1)
	s_and_b32 exec_lo, exec_lo, s18
	s_cbranch_execnz .LBB162_365
	s_branch .LBB162_366
.LBB162_330:
	s_or_b32 exec_lo, exec_lo, s18
	s_and_saveexec_b32 s18, s13
	s_cbranch_execz .LBB162_297
.LBB162_331:
	v_sub_nc_u32_e32 v14, v47, v2
	v_mov_b32_e32 v15, 0
	s_delay_alu instid0(VALU_DEP_1) | instskip(NEXT) | instid1(VALU_DEP_1)
	v_lshlrev_b64 v[14:15], 2, v[14:15]
	v_add_co_u32 v14, vcc_lo, v12, v14
	s_delay_alu instid0(VALU_DEP_2)
	v_add_co_ci_u32_e32 v15, vcc_lo, v13, v15, vcc_lo
	global_store_b32 v[14:15], v70, off
	s_or_b32 exec_lo, exec_lo, s18
	s_and_saveexec_b32 s18, s12
	s_cbranch_execnz .LBB162_298
.LBB162_332:
	s_or_b32 exec_lo, exec_lo, s18
	s_and_saveexec_b32 s18, s11
	s_cbranch_execz .LBB162_299
.LBB162_333:
	v_sub_nc_u32_e32 v14, v48, v2
	v_mov_b32_e32 v15, 0
	s_delay_alu instid0(VALU_DEP_1) | instskip(NEXT) | instid1(VALU_DEP_1)
	v_lshlrev_b64 v[14:15], 2, v[14:15]
	v_add_co_u32 v14, vcc_lo, v12, v14
	s_delay_alu instid0(VALU_DEP_2)
	v_add_co_ci_u32_e32 v15, vcc_lo, v13, v15, vcc_lo
	global_store_b32 v[14:15], v68, off
	s_or_b32 exec_lo, exec_lo, s18
	s_and_saveexec_b32 s18, s10
	s_cbranch_execnz .LBB162_300
.LBB162_334:
	s_or_b32 exec_lo, exec_lo, s18
	s_and_saveexec_b32 s18, s9
	s_cbranch_execz .LBB162_301
.LBB162_335:
	v_sub_nc_u32_e32 v14, v45, v2
	v_mov_b32_e32 v15, 0
	s_delay_alu instid0(VALU_DEP_1) | instskip(NEXT) | instid1(VALU_DEP_1)
	v_lshlrev_b64 v[14:15], 2, v[14:15]
	v_add_co_u32 v14, vcc_lo, v12, v14
	s_delay_alu instid0(VALU_DEP_2)
	v_add_co_ci_u32_e32 v15, vcc_lo, v13, v15, vcc_lo
	global_store_b32 v[14:15], v66, off
	s_or_b32 exec_lo, exec_lo, s18
	s_and_saveexec_b32 s18, s8
	s_cbranch_execnz .LBB162_302
.LBB162_336:
	s_or_b32 exec_lo, exec_lo, s18
	s_and_saveexec_b32 s18, s7
	s_cbranch_execz .LBB162_303
.LBB162_337:
	v_sub_nc_u32_e32 v14, v43, v2
	v_mov_b32_e32 v15, 0
	s_delay_alu instid0(VALU_DEP_1) | instskip(NEXT) | instid1(VALU_DEP_1)
	v_lshlrev_b64 v[14:15], 2, v[14:15]
	v_add_co_u32 v14, vcc_lo, v12, v14
	s_delay_alu instid0(VALU_DEP_2)
	v_add_co_ci_u32_e32 v15, vcc_lo, v13, v15, vcc_lo
	global_store_b32 v[14:15], v64, off
	s_or_b32 exec_lo, exec_lo, s18
	s_and_saveexec_b32 s18, s6
	s_cbranch_execnz .LBB162_304
.LBB162_338:
	s_or_b32 exec_lo, exec_lo, s18
	s_and_saveexec_b32 s18, s5
	s_cbranch_execz .LBB162_305
.LBB162_339:
	v_sub_nc_u32_e32 v14, v41, v2
	v_mov_b32_e32 v15, 0
	s_delay_alu instid0(VALU_DEP_1) | instskip(NEXT) | instid1(VALU_DEP_1)
	v_lshlrev_b64 v[14:15], 2, v[14:15]
	v_add_co_u32 v14, vcc_lo, v12, v14
	s_delay_alu instid0(VALU_DEP_2)
	v_add_co_ci_u32_e32 v15, vcc_lo, v13, v15, vcc_lo
	global_store_b32 v[14:15], v61, off
	s_or_b32 exec_lo, exec_lo, s18
	s_and_saveexec_b32 s18, s4
	s_cbranch_execnz .LBB162_306
.LBB162_340:
	s_or_b32 exec_lo, exec_lo, s18
	s_and_saveexec_b32 s18, s3
	s_cbranch_execz .LBB162_307
.LBB162_341:
	v_sub_nc_u32_e32 v14, v39, v2
	v_mov_b32_e32 v15, 0
	s_delay_alu instid0(VALU_DEP_1) | instskip(NEXT) | instid1(VALU_DEP_1)
	v_lshlrev_b64 v[14:15], 2, v[14:15]
	v_add_co_u32 v14, vcc_lo, v12, v14
	s_delay_alu instid0(VALU_DEP_2)
	v_add_co_ci_u32_e32 v15, vcc_lo, v13, v15, vcc_lo
	global_store_b32 v[14:15], v54, off
	s_or_b32 exec_lo, exec_lo, s18
	s_and_saveexec_b32 s18, s2
	s_cbranch_execnz .LBB162_308
.LBB162_342:
	s_or_b32 exec_lo, exec_lo, s18
	s_and_saveexec_b32 s18, s1
	s_cbranch_execz .LBB162_344
.LBB162_343:
	v_sub_nc_u32_e32 v14, v37, v2
	v_mov_b32_e32 v15, 0
	s_delay_alu instid0(VALU_DEP_1) | instskip(NEXT) | instid1(VALU_DEP_1)
	v_lshlrev_b64 v[14:15], 2, v[14:15]
	v_add_co_u32 v14, vcc_lo, v12, v14
	s_delay_alu instid0(VALU_DEP_2)
	v_add_co_ci_u32_e32 v15, vcc_lo, v13, v15, vcc_lo
	global_store_b32 v[14:15], v53, off
.LBB162_344:
	s_or_b32 exec_lo, exec_lo, s18
	s_delay_alu instid0(SALU_CYCLE_1)
	s_and_b32 s18, s0, exec_lo
	s_and_not1_saveexec_b32 s15, s15
	s_cbranch_execnz .LBB162_327
.LBB162_345:
	s_or_b32 exec_lo, exec_lo, s15
	s_delay_alu instid0(SALU_CYCLE_1)
	s_and_b32 exec_lo, exec_lo, s18
	s_cbranch_execz .LBB162_347
.LBB162_346:
	v_sub_nc_u32_e32 v14, v6, v2
	v_mov_b32_e32 v15, 0
	s_delay_alu instid0(VALU_DEP_1) | instskip(NEXT) | instid1(VALU_DEP_1)
	v_lshlrev_b64 v[14:15], 2, v[14:15]
	v_add_co_u32 v14, vcc_lo, v12, v14
	s_delay_alu instid0(VALU_DEP_2)
	v_add_co_ci_u32_e32 v15, vcc_lo, v13, v15, vcc_lo
	global_store_b32 v[14:15], v62, off
.LBB162_347:
	s_or_b32 exec_lo, exec_lo, s16
.LBB162_348:
	v_cmp_eq_u32_e32 vcc_lo, 0xff, v0
	s_and_b32 s0, vcc_lo, s17
	s_delay_alu instid0(SALU_CYCLE_1)
	s_and_b32 exec_lo, exec_lo, s0
	s_cbranch_execnz .LBB162_370
	s_branch .LBB162_372
.LBB162_349:
	s_or_b32 exec_lo, exec_lo, s18
	s_and_saveexec_b32 s14, s13
	s_cbranch_execz .LBB162_314
.LBB162_350:
	v_sub_nc_u32_e32 v3, v47, v2
	s_delay_alu instid0(VALU_DEP_1)
	v_lshlrev_b32_e32 v3, 2, v3
	ds_store_b32 v3, v70
	s_or_b32 exec_lo, exec_lo, s14
	s_and_saveexec_b32 s13, s12
	s_cbranch_execnz .LBB162_315
.LBB162_351:
	s_or_b32 exec_lo, exec_lo, s13
	s_and_saveexec_b32 s12, s11
	s_cbranch_execz .LBB162_316
.LBB162_352:
	v_sub_nc_u32_e32 v3, v48, v2
	s_delay_alu instid0(VALU_DEP_1)
	v_lshlrev_b32_e32 v3, 2, v3
	ds_store_b32 v3, v68
	s_or_b32 exec_lo, exec_lo, s12
	s_and_saveexec_b32 s11, s10
	s_cbranch_execnz .LBB162_317
.LBB162_353:
	s_or_b32 exec_lo, exec_lo, s11
	s_and_saveexec_b32 s10, s9
	s_cbranch_execz .LBB162_318
.LBB162_354:
	v_sub_nc_u32_e32 v3, v45, v2
	s_delay_alu instid0(VALU_DEP_1)
	v_lshlrev_b32_e32 v3, 2, v3
	ds_store_b32 v3, v66
	s_or_b32 exec_lo, exec_lo, s10
	s_and_saveexec_b32 s9, s8
	s_cbranch_execnz .LBB162_319
.LBB162_355:
	s_or_b32 exec_lo, exec_lo, s9
	s_and_saveexec_b32 s8, s7
	s_cbranch_execz .LBB162_320
.LBB162_356:
	v_sub_nc_u32_e32 v3, v43, v2
	s_delay_alu instid0(VALU_DEP_1)
	v_lshlrev_b32_e32 v3, 2, v3
	ds_store_b32 v3, v64
	s_or_b32 exec_lo, exec_lo, s8
	s_and_saveexec_b32 s7, s6
	s_cbranch_execnz .LBB162_321
.LBB162_357:
	s_or_b32 exec_lo, exec_lo, s7
	s_and_saveexec_b32 s6, s5
	s_cbranch_execz .LBB162_322
.LBB162_358:
	v_sub_nc_u32_e32 v3, v41, v2
	s_delay_alu instid0(VALU_DEP_1)
	v_lshlrev_b32_e32 v3, 2, v3
	ds_store_b32 v3, v61
	s_or_b32 exec_lo, exec_lo, s6
	s_and_saveexec_b32 s5, s4
	s_cbranch_execnz .LBB162_323
.LBB162_359:
	s_or_b32 exec_lo, exec_lo, s5
	s_and_saveexec_b32 s4, s3
	s_cbranch_execz .LBB162_324
.LBB162_360:
	v_sub_nc_u32_e32 v3, v39, v2
	s_delay_alu instid0(VALU_DEP_1)
	v_lshlrev_b32_e32 v3, 2, v3
	ds_store_b32 v3, v54
	s_or_b32 exec_lo, exec_lo, s4
	s_and_saveexec_b32 s3, s2
	s_cbranch_execnz .LBB162_325
.LBB162_361:
	s_or_b32 exec_lo, exec_lo, s3
	s_and_saveexec_b32 s2, s1
	s_cbranch_execz .LBB162_363
.LBB162_362:
	v_sub_nc_u32_e32 v3, v37, v2
	s_delay_alu instid0(VALU_DEP_1)
	v_lshlrev_b32_e32 v3, 2, v3
	ds_store_b32 v3, v53
.LBB162_363:
	s_or_b32 exec_lo, exec_lo, s2
	s_delay_alu instid0(SALU_CYCLE_1)
	s_and_b32 s18, s0, exec_lo
                                        ; implicit-def: $vgpr53
                                        ; implicit-def: $vgpr55
                                        ; implicit-def: $vgpr54
                                        ; implicit-def: $vgpr56
                                        ; implicit-def: $vgpr61
                                        ; implicit-def: $vgpr63
                                        ; implicit-def: $vgpr64
                                        ; implicit-def: $vgpr65
                                        ; implicit-def: $vgpr66
                                        ; implicit-def: $vgpr67
                                        ; implicit-def: $vgpr68
                                        ; implicit-def: $vgpr69
                                        ; implicit-def: $vgpr70
                                        ; implicit-def: $vgpr71
                                        ; implicit-def: $vgpr47
                                        ; implicit-def: $vgpr51
                                        ; implicit-def: $vgpr48
                                        ; implicit-def: $vgpr46
                                        ; implicit-def: $vgpr45
                                        ; implicit-def: $vgpr44
                                        ; implicit-def: $vgpr43
                                        ; implicit-def: $vgpr42
                                        ; implicit-def: $vgpr41
                                        ; implicit-def: $vgpr40
                                        ; implicit-def: $vgpr39
                                        ; implicit-def: $vgpr38
                                        ; implicit-def: $vgpr37
	s_and_not1_saveexec_b32 s0, s16
	s_cbranch_execnz .LBB162_329
.LBB162_364:
	s_or_b32 exec_lo, exec_lo, s0
	s_delay_alu instid0(SALU_CYCLE_1)
	s_and_b32 exec_lo, exec_lo, s18
	s_cbranch_execz .LBB162_366
.LBB162_365:
	v_sub_nc_u32_e32 v2, v6, v2
	s_delay_alu instid0(VALU_DEP_1)
	v_lshlrev_b32_e32 v2, 2, v2
	ds_store_b32 v2, v62
.LBB162_366:
	s_or_b32 exec_lo, exec_lo, s15
	s_delay_alu instid0(SALU_CYCLE_1)
	s_mov_b32 s1, exec_lo
	s_waitcnt lgkmcnt(0)
	s_waitcnt_vscnt null, 0x0
	s_barrier
	buffer_gl0_inv
	v_cmpx_lt_u32_e64 v0, v9
	s_cbranch_execz .LBB162_369
; %bb.367:
	v_dual_mov_b32 v3, 0 :: v_dual_lshlrev_b32 v4, 2, v0
	v_mov_b32_e32 v2, v0
	s_mov_b32 s2, 0
	.p2align	6
.LBB162_368:                            ; =>This Inner Loop Header: Depth=1
	ds_load_b32 v6, v4
	v_lshlrev_b64 v[14:15], 2, v[2:3]
	v_add_nc_u32_e32 v2, 0x100, v2
	v_add_nc_u32_e32 v4, 0x400, v4
	s_delay_alu instid0(VALU_DEP_2) | instskip(NEXT) | instid1(VALU_DEP_4)
	v_cmp_ge_u32_e32 vcc_lo, v2, v9
	v_add_co_u32 v14, s0, v12, v14
	s_delay_alu instid0(VALU_DEP_1)
	v_add_co_ci_u32_e64 v15, s0, v13, v15, s0
	s_or_b32 s2, vcc_lo, s2
	s_waitcnt lgkmcnt(0)
	global_store_b32 v[14:15], v6, off
	s_and_not1_b32 exec_lo, exec_lo, s2
	s_cbranch_execnz .LBB162_368
.LBB162_369:
	s_or_b32 exec_lo, exec_lo, s1
	v_cmp_eq_u32_e32 vcc_lo, 0xff, v0
	s_and_b32 s0, vcc_lo, s17
	s_delay_alu instid0(SALU_CYCLE_1)
	s_and_b32 exec_lo, exec_lo, s0
	s_cbranch_execz .LBB162_372
.LBB162_370:
	v_add_co_u32 v0, s0, v1, v5
	s_delay_alu instid0(VALU_DEP_1) | instskip(SKIP_1) | instid1(VALU_DEP_3)
	v_add_co_ci_u32_e64 v4, null, 0, 0, s0
	v_mov_b32_e32 v2, 0
	v_add_co_u32 v3, vcc_lo, v0, v7
	s_delay_alu instid0(VALU_DEP_3)
	v_add_co_ci_u32_e32 v4, vcc_lo, v4, v8, vcc_lo
	s_cmpk_lg_i32 s33, 0xf00
	global_store_b64 v2, v[3:4], s[30:31]
	s_cbranch_scc1 .LBB162_372
; %bb.371:
	v_lshlrev_b64 v[0:1], 2, v[1:2]
	s_delay_alu instid0(VALU_DEP_1) | instskip(NEXT) | instid1(VALU_DEP_2)
	v_add_co_u32 v0, vcc_lo, v10, v0
	v_add_co_ci_u32_e32 v1, vcc_lo, v11, v1, vcc_lo
	global_store_b32 v[0:1], v49, off offset:-4
	s_nop 0
	s_sendmsg sendmsg(MSG_DEALLOC_VGPRS)
	s_endpgm
.LBB162_372:
	s_endpgm
.LBB162_373:
	s_trap 2
	s_sendmsg_rtn_b32 s0, sendmsg(MSG_RTN_GET_DOORBELL)
	s_mov_b32 ttmp2, m0
	s_waitcnt lgkmcnt(0)
	s_and_b32 s0, s0, 0x3ff
	s_delay_alu instid0(SALU_CYCLE_1) | instskip(NEXT) | instid1(SALU_CYCLE_1)
	s_bitset1_b32 s0, 10
	s_mov_b32 m0, s0
	s_sendmsg sendmsg(MSG_INTERRUPT)
	s_mov_b32 m0, ttmp2
.LBB162_374:                            ; =>This Inner Loop Header: Depth=1
	s_sethalt 5
	s_branch .LBB162_374
	.section	.rodata,"a",@progbits
	.p2align	6, 0x0
	.amdhsa_kernel _ZN7rocprim17ROCPRIM_400000_NS6detail17trampoline_kernelINS0_14default_configENS1_29reduce_by_key_config_selectorIffN6thrust23THRUST_200600_302600_NS4plusIfEEEEZZNS1_33reduce_by_key_impl_wrapped_configILNS1_25lookback_scan_determinismE1ES3_S9_NS6_6detail15normal_iteratorINS6_10device_ptrIfEEEESG_SG_SG_PmS8_22is_equal_div_10_reduceIfEEE10hipError_tPvRmT2_T3_mT4_T5_T6_T7_T8_P12ihipStream_tbENKUlT_T0_E_clISt17integral_constantIbLb0EES10_IbLb1EEEEDaSW_SX_EUlSW_E_NS1_11comp_targetILNS1_3genE9ELNS1_11target_archE1100ELNS1_3gpuE3ELNS1_3repE0EEENS1_30default_config_static_selectorELNS0_4arch9wavefront6targetE0EEEvT1_
		.amdhsa_group_segment_fixed_size 15360
		.amdhsa_private_segment_fixed_size 48
		.amdhsa_kernarg_size 120
		.amdhsa_user_sgpr_count 15
		.amdhsa_user_sgpr_dispatch_ptr 0
		.amdhsa_user_sgpr_queue_ptr 0
		.amdhsa_user_sgpr_kernarg_segment_ptr 1
		.amdhsa_user_sgpr_dispatch_id 0
		.amdhsa_user_sgpr_private_segment_size 0
		.amdhsa_wavefront_size32 1
		.amdhsa_uses_dynamic_stack 0
		.amdhsa_enable_private_segment 1
		.amdhsa_system_sgpr_workgroup_id_x 1
		.amdhsa_system_sgpr_workgroup_id_y 0
		.amdhsa_system_sgpr_workgroup_id_z 0
		.amdhsa_system_sgpr_workgroup_info 0
		.amdhsa_system_vgpr_workitem_id 0
		.amdhsa_next_free_vgpr 85
		.amdhsa_next_free_sgpr 46
		.amdhsa_reserve_vcc 1
		.amdhsa_float_round_mode_32 0
		.amdhsa_float_round_mode_16_64 0
		.amdhsa_float_denorm_mode_32 3
		.amdhsa_float_denorm_mode_16_64 3
		.amdhsa_dx10_clamp 1
		.amdhsa_ieee_mode 1
		.amdhsa_fp16_overflow 0
		.amdhsa_workgroup_processor_mode 1
		.amdhsa_memory_ordered 1
		.amdhsa_forward_progress 0
		.amdhsa_shared_vgpr_count 0
		.amdhsa_exception_fp_ieee_invalid_op 0
		.amdhsa_exception_fp_denorm_src 0
		.amdhsa_exception_fp_ieee_div_zero 0
		.amdhsa_exception_fp_ieee_overflow 0
		.amdhsa_exception_fp_ieee_underflow 0
		.amdhsa_exception_fp_ieee_inexact 0
		.amdhsa_exception_int_div_zero 0
	.end_amdhsa_kernel
	.section	.text._ZN7rocprim17ROCPRIM_400000_NS6detail17trampoline_kernelINS0_14default_configENS1_29reduce_by_key_config_selectorIffN6thrust23THRUST_200600_302600_NS4plusIfEEEEZZNS1_33reduce_by_key_impl_wrapped_configILNS1_25lookback_scan_determinismE1ES3_S9_NS6_6detail15normal_iteratorINS6_10device_ptrIfEEEESG_SG_SG_PmS8_22is_equal_div_10_reduceIfEEE10hipError_tPvRmT2_T3_mT4_T5_T6_T7_T8_P12ihipStream_tbENKUlT_T0_E_clISt17integral_constantIbLb0EES10_IbLb1EEEEDaSW_SX_EUlSW_E_NS1_11comp_targetILNS1_3genE9ELNS1_11target_archE1100ELNS1_3gpuE3ELNS1_3repE0EEENS1_30default_config_static_selectorELNS0_4arch9wavefront6targetE0EEEvT1_,"axG",@progbits,_ZN7rocprim17ROCPRIM_400000_NS6detail17trampoline_kernelINS0_14default_configENS1_29reduce_by_key_config_selectorIffN6thrust23THRUST_200600_302600_NS4plusIfEEEEZZNS1_33reduce_by_key_impl_wrapped_configILNS1_25lookback_scan_determinismE1ES3_S9_NS6_6detail15normal_iteratorINS6_10device_ptrIfEEEESG_SG_SG_PmS8_22is_equal_div_10_reduceIfEEE10hipError_tPvRmT2_T3_mT4_T5_T6_T7_T8_P12ihipStream_tbENKUlT_T0_E_clISt17integral_constantIbLb0EES10_IbLb1EEEEDaSW_SX_EUlSW_E_NS1_11comp_targetILNS1_3genE9ELNS1_11target_archE1100ELNS1_3gpuE3ELNS1_3repE0EEENS1_30default_config_static_selectorELNS0_4arch9wavefront6targetE0EEEvT1_,comdat
.Lfunc_end162:
	.size	_ZN7rocprim17ROCPRIM_400000_NS6detail17trampoline_kernelINS0_14default_configENS1_29reduce_by_key_config_selectorIffN6thrust23THRUST_200600_302600_NS4plusIfEEEEZZNS1_33reduce_by_key_impl_wrapped_configILNS1_25lookback_scan_determinismE1ES3_S9_NS6_6detail15normal_iteratorINS6_10device_ptrIfEEEESG_SG_SG_PmS8_22is_equal_div_10_reduceIfEEE10hipError_tPvRmT2_T3_mT4_T5_T6_T7_T8_P12ihipStream_tbENKUlT_T0_E_clISt17integral_constantIbLb0EES10_IbLb1EEEEDaSW_SX_EUlSW_E_NS1_11comp_targetILNS1_3genE9ELNS1_11target_archE1100ELNS1_3gpuE3ELNS1_3repE0EEENS1_30default_config_static_selectorELNS0_4arch9wavefront6targetE0EEEvT1_, .Lfunc_end162-_ZN7rocprim17ROCPRIM_400000_NS6detail17trampoline_kernelINS0_14default_configENS1_29reduce_by_key_config_selectorIffN6thrust23THRUST_200600_302600_NS4plusIfEEEEZZNS1_33reduce_by_key_impl_wrapped_configILNS1_25lookback_scan_determinismE1ES3_S9_NS6_6detail15normal_iteratorINS6_10device_ptrIfEEEESG_SG_SG_PmS8_22is_equal_div_10_reduceIfEEE10hipError_tPvRmT2_T3_mT4_T5_T6_T7_T8_P12ihipStream_tbENKUlT_T0_E_clISt17integral_constantIbLb0EES10_IbLb1EEEEDaSW_SX_EUlSW_E_NS1_11comp_targetILNS1_3genE9ELNS1_11target_archE1100ELNS1_3gpuE3ELNS1_3repE0EEENS1_30default_config_static_selectorELNS0_4arch9wavefront6targetE0EEEvT1_
                                        ; -- End function
	.section	.AMDGPU.csdata,"",@progbits
; Kernel info:
; codeLenInByte = 22312
; NumSgprs: 48
; NumVgprs: 85
; ScratchSize: 48
; MemoryBound: 0
; FloatMode: 240
; IeeeMode: 1
; LDSByteSize: 15360 bytes/workgroup (compile time only)
; SGPRBlocks: 5
; VGPRBlocks: 10
; NumSGPRsForWavesPerEU: 48
; NumVGPRsForWavesPerEU: 85
; Occupancy: 16
; WaveLimiterHint : 1
; COMPUTE_PGM_RSRC2:SCRATCH_EN: 1
; COMPUTE_PGM_RSRC2:USER_SGPR: 15
; COMPUTE_PGM_RSRC2:TRAP_HANDLER: 0
; COMPUTE_PGM_RSRC2:TGID_X_EN: 1
; COMPUTE_PGM_RSRC2:TGID_Y_EN: 0
; COMPUTE_PGM_RSRC2:TGID_Z_EN: 0
; COMPUTE_PGM_RSRC2:TIDIG_COMP_CNT: 0
	.section	.text._ZN7rocprim17ROCPRIM_400000_NS6detail17trampoline_kernelINS0_14default_configENS1_29reduce_by_key_config_selectorIffN6thrust23THRUST_200600_302600_NS4plusIfEEEEZZNS1_33reduce_by_key_impl_wrapped_configILNS1_25lookback_scan_determinismE1ES3_S9_NS6_6detail15normal_iteratorINS6_10device_ptrIfEEEESG_SG_SG_PmS8_22is_equal_div_10_reduceIfEEE10hipError_tPvRmT2_T3_mT4_T5_T6_T7_T8_P12ihipStream_tbENKUlT_T0_E_clISt17integral_constantIbLb0EES10_IbLb1EEEEDaSW_SX_EUlSW_E_NS1_11comp_targetILNS1_3genE8ELNS1_11target_archE1030ELNS1_3gpuE2ELNS1_3repE0EEENS1_30default_config_static_selectorELNS0_4arch9wavefront6targetE0EEEvT1_,"axG",@progbits,_ZN7rocprim17ROCPRIM_400000_NS6detail17trampoline_kernelINS0_14default_configENS1_29reduce_by_key_config_selectorIffN6thrust23THRUST_200600_302600_NS4plusIfEEEEZZNS1_33reduce_by_key_impl_wrapped_configILNS1_25lookback_scan_determinismE1ES3_S9_NS6_6detail15normal_iteratorINS6_10device_ptrIfEEEESG_SG_SG_PmS8_22is_equal_div_10_reduceIfEEE10hipError_tPvRmT2_T3_mT4_T5_T6_T7_T8_P12ihipStream_tbENKUlT_T0_E_clISt17integral_constantIbLb0EES10_IbLb1EEEEDaSW_SX_EUlSW_E_NS1_11comp_targetILNS1_3genE8ELNS1_11target_archE1030ELNS1_3gpuE2ELNS1_3repE0EEENS1_30default_config_static_selectorELNS0_4arch9wavefront6targetE0EEEvT1_,comdat
	.protected	_ZN7rocprim17ROCPRIM_400000_NS6detail17trampoline_kernelINS0_14default_configENS1_29reduce_by_key_config_selectorIffN6thrust23THRUST_200600_302600_NS4plusIfEEEEZZNS1_33reduce_by_key_impl_wrapped_configILNS1_25lookback_scan_determinismE1ES3_S9_NS6_6detail15normal_iteratorINS6_10device_ptrIfEEEESG_SG_SG_PmS8_22is_equal_div_10_reduceIfEEE10hipError_tPvRmT2_T3_mT4_T5_T6_T7_T8_P12ihipStream_tbENKUlT_T0_E_clISt17integral_constantIbLb0EES10_IbLb1EEEEDaSW_SX_EUlSW_E_NS1_11comp_targetILNS1_3genE8ELNS1_11target_archE1030ELNS1_3gpuE2ELNS1_3repE0EEENS1_30default_config_static_selectorELNS0_4arch9wavefront6targetE0EEEvT1_ ; -- Begin function _ZN7rocprim17ROCPRIM_400000_NS6detail17trampoline_kernelINS0_14default_configENS1_29reduce_by_key_config_selectorIffN6thrust23THRUST_200600_302600_NS4plusIfEEEEZZNS1_33reduce_by_key_impl_wrapped_configILNS1_25lookback_scan_determinismE1ES3_S9_NS6_6detail15normal_iteratorINS6_10device_ptrIfEEEESG_SG_SG_PmS8_22is_equal_div_10_reduceIfEEE10hipError_tPvRmT2_T3_mT4_T5_T6_T7_T8_P12ihipStream_tbENKUlT_T0_E_clISt17integral_constantIbLb0EES10_IbLb1EEEEDaSW_SX_EUlSW_E_NS1_11comp_targetILNS1_3genE8ELNS1_11target_archE1030ELNS1_3gpuE2ELNS1_3repE0EEENS1_30default_config_static_selectorELNS0_4arch9wavefront6targetE0EEEvT1_
	.globl	_ZN7rocprim17ROCPRIM_400000_NS6detail17trampoline_kernelINS0_14default_configENS1_29reduce_by_key_config_selectorIffN6thrust23THRUST_200600_302600_NS4plusIfEEEEZZNS1_33reduce_by_key_impl_wrapped_configILNS1_25lookback_scan_determinismE1ES3_S9_NS6_6detail15normal_iteratorINS6_10device_ptrIfEEEESG_SG_SG_PmS8_22is_equal_div_10_reduceIfEEE10hipError_tPvRmT2_T3_mT4_T5_T6_T7_T8_P12ihipStream_tbENKUlT_T0_E_clISt17integral_constantIbLb0EES10_IbLb1EEEEDaSW_SX_EUlSW_E_NS1_11comp_targetILNS1_3genE8ELNS1_11target_archE1030ELNS1_3gpuE2ELNS1_3repE0EEENS1_30default_config_static_selectorELNS0_4arch9wavefront6targetE0EEEvT1_
	.p2align	8
	.type	_ZN7rocprim17ROCPRIM_400000_NS6detail17trampoline_kernelINS0_14default_configENS1_29reduce_by_key_config_selectorIffN6thrust23THRUST_200600_302600_NS4plusIfEEEEZZNS1_33reduce_by_key_impl_wrapped_configILNS1_25lookback_scan_determinismE1ES3_S9_NS6_6detail15normal_iteratorINS6_10device_ptrIfEEEESG_SG_SG_PmS8_22is_equal_div_10_reduceIfEEE10hipError_tPvRmT2_T3_mT4_T5_T6_T7_T8_P12ihipStream_tbENKUlT_T0_E_clISt17integral_constantIbLb0EES10_IbLb1EEEEDaSW_SX_EUlSW_E_NS1_11comp_targetILNS1_3genE8ELNS1_11target_archE1030ELNS1_3gpuE2ELNS1_3repE0EEENS1_30default_config_static_selectorELNS0_4arch9wavefront6targetE0EEEvT1_,@function
_ZN7rocprim17ROCPRIM_400000_NS6detail17trampoline_kernelINS0_14default_configENS1_29reduce_by_key_config_selectorIffN6thrust23THRUST_200600_302600_NS4plusIfEEEEZZNS1_33reduce_by_key_impl_wrapped_configILNS1_25lookback_scan_determinismE1ES3_S9_NS6_6detail15normal_iteratorINS6_10device_ptrIfEEEESG_SG_SG_PmS8_22is_equal_div_10_reduceIfEEE10hipError_tPvRmT2_T3_mT4_T5_T6_T7_T8_P12ihipStream_tbENKUlT_T0_E_clISt17integral_constantIbLb0EES10_IbLb1EEEEDaSW_SX_EUlSW_E_NS1_11comp_targetILNS1_3genE8ELNS1_11target_archE1030ELNS1_3gpuE2ELNS1_3repE0EEENS1_30default_config_static_selectorELNS0_4arch9wavefront6targetE0EEEvT1_: ; @_ZN7rocprim17ROCPRIM_400000_NS6detail17trampoline_kernelINS0_14default_configENS1_29reduce_by_key_config_selectorIffN6thrust23THRUST_200600_302600_NS4plusIfEEEEZZNS1_33reduce_by_key_impl_wrapped_configILNS1_25lookback_scan_determinismE1ES3_S9_NS6_6detail15normal_iteratorINS6_10device_ptrIfEEEESG_SG_SG_PmS8_22is_equal_div_10_reduceIfEEE10hipError_tPvRmT2_T3_mT4_T5_T6_T7_T8_P12ihipStream_tbENKUlT_T0_E_clISt17integral_constantIbLb0EES10_IbLb1EEEEDaSW_SX_EUlSW_E_NS1_11comp_targetILNS1_3genE8ELNS1_11target_archE1030ELNS1_3gpuE2ELNS1_3repE0EEENS1_30default_config_static_selectorELNS0_4arch9wavefront6targetE0EEEvT1_
; %bb.0:
	.section	.rodata,"a",@progbits
	.p2align	6, 0x0
	.amdhsa_kernel _ZN7rocprim17ROCPRIM_400000_NS6detail17trampoline_kernelINS0_14default_configENS1_29reduce_by_key_config_selectorIffN6thrust23THRUST_200600_302600_NS4plusIfEEEEZZNS1_33reduce_by_key_impl_wrapped_configILNS1_25lookback_scan_determinismE1ES3_S9_NS6_6detail15normal_iteratorINS6_10device_ptrIfEEEESG_SG_SG_PmS8_22is_equal_div_10_reduceIfEEE10hipError_tPvRmT2_T3_mT4_T5_T6_T7_T8_P12ihipStream_tbENKUlT_T0_E_clISt17integral_constantIbLb0EES10_IbLb1EEEEDaSW_SX_EUlSW_E_NS1_11comp_targetILNS1_3genE8ELNS1_11target_archE1030ELNS1_3gpuE2ELNS1_3repE0EEENS1_30default_config_static_selectorELNS0_4arch9wavefront6targetE0EEEvT1_
		.amdhsa_group_segment_fixed_size 0
		.amdhsa_private_segment_fixed_size 0
		.amdhsa_kernarg_size 120
		.amdhsa_user_sgpr_count 15
		.amdhsa_user_sgpr_dispatch_ptr 0
		.amdhsa_user_sgpr_queue_ptr 0
		.amdhsa_user_sgpr_kernarg_segment_ptr 1
		.amdhsa_user_sgpr_dispatch_id 0
		.amdhsa_user_sgpr_private_segment_size 0
		.amdhsa_wavefront_size32 1
		.amdhsa_uses_dynamic_stack 0
		.amdhsa_enable_private_segment 0
		.amdhsa_system_sgpr_workgroup_id_x 1
		.amdhsa_system_sgpr_workgroup_id_y 0
		.amdhsa_system_sgpr_workgroup_id_z 0
		.amdhsa_system_sgpr_workgroup_info 0
		.amdhsa_system_vgpr_workitem_id 0
		.amdhsa_next_free_vgpr 1
		.amdhsa_next_free_sgpr 1
		.amdhsa_reserve_vcc 0
		.amdhsa_float_round_mode_32 0
		.amdhsa_float_round_mode_16_64 0
		.amdhsa_float_denorm_mode_32 3
		.amdhsa_float_denorm_mode_16_64 3
		.amdhsa_dx10_clamp 1
		.amdhsa_ieee_mode 1
		.amdhsa_fp16_overflow 0
		.amdhsa_workgroup_processor_mode 1
		.amdhsa_memory_ordered 1
		.amdhsa_forward_progress 0
		.amdhsa_shared_vgpr_count 0
		.amdhsa_exception_fp_ieee_invalid_op 0
		.amdhsa_exception_fp_denorm_src 0
		.amdhsa_exception_fp_ieee_div_zero 0
		.amdhsa_exception_fp_ieee_overflow 0
		.amdhsa_exception_fp_ieee_underflow 0
		.amdhsa_exception_fp_ieee_inexact 0
		.amdhsa_exception_int_div_zero 0
	.end_amdhsa_kernel
	.section	.text._ZN7rocprim17ROCPRIM_400000_NS6detail17trampoline_kernelINS0_14default_configENS1_29reduce_by_key_config_selectorIffN6thrust23THRUST_200600_302600_NS4plusIfEEEEZZNS1_33reduce_by_key_impl_wrapped_configILNS1_25lookback_scan_determinismE1ES3_S9_NS6_6detail15normal_iteratorINS6_10device_ptrIfEEEESG_SG_SG_PmS8_22is_equal_div_10_reduceIfEEE10hipError_tPvRmT2_T3_mT4_T5_T6_T7_T8_P12ihipStream_tbENKUlT_T0_E_clISt17integral_constantIbLb0EES10_IbLb1EEEEDaSW_SX_EUlSW_E_NS1_11comp_targetILNS1_3genE8ELNS1_11target_archE1030ELNS1_3gpuE2ELNS1_3repE0EEENS1_30default_config_static_selectorELNS0_4arch9wavefront6targetE0EEEvT1_,"axG",@progbits,_ZN7rocprim17ROCPRIM_400000_NS6detail17trampoline_kernelINS0_14default_configENS1_29reduce_by_key_config_selectorIffN6thrust23THRUST_200600_302600_NS4plusIfEEEEZZNS1_33reduce_by_key_impl_wrapped_configILNS1_25lookback_scan_determinismE1ES3_S9_NS6_6detail15normal_iteratorINS6_10device_ptrIfEEEESG_SG_SG_PmS8_22is_equal_div_10_reduceIfEEE10hipError_tPvRmT2_T3_mT4_T5_T6_T7_T8_P12ihipStream_tbENKUlT_T0_E_clISt17integral_constantIbLb0EES10_IbLb1EEEEDaSW_SX_EUlSW_E_NS1_11comp_targetILNS1_3genE8ELNS1_11target_archE1030ELNS1_3gpuE2ELNS1_3repE0EEENS1_30default_config_static_selectorELNS0_4arch9wavefront6targetE0EEEvT1_,comdat
.Lfunc_end163:
	.size	_ZN7rocprim17ROCPRIM_400000_NS6detail17trampoline_kernelINS0_14default_configENS1_29reduce_by_key_config_selectorIffN6thrust23THRUST_200600_302600_NS4plusIfEEEEZZNS1_33reduce_by_key_impl_wrapped_configILNS1_25lookback_scan_determinismE1ES3_S9_NS6_6detail15normal_iteratorINS6_10device_ptrIfEEEESG_SG_SG_PmS8_22is_equal_div_10_reduceIfEEE10hipError_tPvRmT2_T3_mT4_T5_T6_T7_T8_P12ihipStream_tbENKUlT_T0_E_clISt17integral_constantIbLb0EES10_IbLb1EEEEDaSW_SX_EUlSW_E_NS1_11comp_targetILNS1_3genE8ELNS1_11target_archE1030ELNS1_3gpuE2ELNS1_3repE0EEENS1_30default_config_static_selectorELNS0_4arch9wavefront6targetE0EEEvT1_, .Lfunc_end163-_ZN7rocprim17ROCPRIM_400000_NS6detail17trampoline_kernelINS0_14default_configENS1_29reduce_by_key_config_selectorIffN6thrust23THRUST_200600_302600_NS4plusIfEEEEZZNS1_33reduce_by_key_impl_wrapped_configILNS1_25lookback_scan_determinismE1ES3_S9_NS6_6detail15normal_iteratorINS6_10device_ptrIfEEEESG_SG_SG_PmS8_22is_equal_div_10_reduceIfEEE10hipError_tPvRmT2_T3_mT4_T5_T6_T7_T8_P12ihipStream_tbENKUlT_T0_E_clISt17integral_constantIbLb0EES10_IbLb1EEEEDaSW_SX_EUlSW_E_NS1_11comp_targetILNS1_3genE8ELNS1_11target_archE1030ELNS1_3gpuE2ELNS1_3repE0EEENS1_30default_config_static_selectorELNS0_4arch9wavefront6targetE0EEEvT1_
                                        ; -- End function
	.section	.AMDGPU.csdata,"",@progbits
; Kernel info:
; codeLenInByte = 0
; NumSgprs: 0
; NumVgprs: 0
; ScratchSize: 0
; MemoryBound: 0
; FloatMode: 240
; IeeeMode: 1
; LDSByteSize: 0 bytes/workgroup (compile time only)
; SGPRBlocks: 0
; VGPRBlocks: 0
; NumSGPRsForWavesPerEU: 1
; NumVGPRsForWavesPerEU: 1
; Occupancy: 16
; WaveLimiterHint : 0
; COMPUTE_PGM_RSRC2:SCRATCH_EN: 0
; COMPUTE_PGM_RSRC2:USER_SGPR: 15
; COMPUTE_PGM_RSRC2:TRAP_HANDLER: 0
; COMPUTE_PGM_RSRC2:TGID_X_EN: 1
; COMPUTE_PGM_RSRC2:TGID_Y_EN: 0
; COMPUTE_PGM_RSRC2:TGID_Z_EN: 0
; COMPUTE_PGM_RSRC2:TIDIG_COMP_CNT: 0
	.section	.text._ZN7rocprim17ROCPRIM_400000_NS6detail17trampoline_kernelINS0_14default_configENS1_29reduce_by_key_config_selectorIffN6thrust23THRUST_200600_302600_NS4plusIfEEEEZZNS1_33reduce_by_key_impl_wrapped_configILNS1_25lookback_scan_determinismE0ES3_S9_NS6_6detail15normal_iteratorINS6_10device_ptrIfEEEESG_SG_SG_PmS8_NS6_8equal_toIfEEEE10hipError_tPvRmT2_T3_mT4_T5_T6_T7_T8_P12ihipStream_tbENKUlT_T0_E_clISt17integral_constantIbLb0EES11_EEDaSW_SX_EUlSW_E_NS1_11comp_targetILNS1_3genE0ELNS1_11target_archE4294967295ELNS1_3gpuE0ELNS1_3repE0EEENS1_30default_config_static_selectorELNS0_4arch9wavefront6targetE0EEEvT1_,"axG",@progbits,_ZN7rocprim17ROCPRIM_400000_NS6detail17trampoline_kernelINS0_14default_configENS1_29reduce_by_key_config_selectorIffN6thrust23THRUST_200600_302600_NS4plusIfEEEEZZNS1_33reduce_by_key_impl_wrapped_configILNS1_25lookback_scan_determinismE0ES3_S9_NS6_6detail15normal_iteratorINS6_10device_ptrIfEEEESG_SG_SG_PmS8_NS6_8equal_toIfEEEE10hipError_tPvRmT2_T3_mT4_T5_T6_T7_T8_P12ihipStream_tbENKUlT_T0_E_clISt17integral_constantIbLb0EES11_EEDaSW_SX_EUlSW_E_NS1_11comp_targetILNS1_3genE0ELNS1_11target_archE4294967295ELNS1_3gpuE0ELNS1_3repE0EEENS1_30default_config_static_selectorELNS0_4arch9wavefront6targetE0EEEvT1_,comdat
	.protected	_ZN7rocprim17ROCPRIM_400000_NS6detail17trampoline_kernelINS0_14default_configENS1_29reduce_by_key_config_selectorIffN6thrust23THRUST_200600_302600_NS4plusIfEEEEZZNS1_33reduce_by_key_impl_wrapped_configILNS1_25lookback_scan_determinismE0ES3_S9_NS6_6detail15normal_iteratorINS6_10device_ptrIfEEEESG_SG_SG_PmS8_NS6_8equal_toIfEEEE10hipError_tPvRmT2_T3_mT4_T5_T6_T7_T8_P12ihipStream_tbENKUlT_T0_E_clISt17integral_constantIbLb0EES11_EEDaSW_SX_EUlSW_E_NS1_11comp_targetILNS1_3genE0ELNS1_11target_archE4294967295ELNS1_3gpuE0ELNS1_3repE0EEENS1_30default_config_static_selectorELNS0_4arch9wavefront6targetE0EEEvT1_ ; -- Begin function _ZN7rocprim17ROCPRIM_400000_NS6detail17trampoline_kernelINS0_14default_configENS1_29reduce_by_key_config_selectorIffN6thrust23THRUST_200600_302600_NS4plusIfEEEEZZNS1_33reduce_by_key_impl_wrapped_configILNS1_25lookback_scan_determinismE0ES3_S9_NS6_6detail15normal_iteratorINS6_10device_ptrIfEEEESG_SG_SG_PmS8_NS6_8equal_toIfEEEE10hipError_tPvRmT2_T3_mT4_T5_T6_T7_T8_P12ihipStream_tbENKUlT_T0_E_clISt17integral_constantIbLb0EES11_EEDaSW_SX_EUlSW_E_NS1_11comp_targetILNS1_3genE0ELNS1_11target_archE4294967295ELNS1_3gpuE0ELNS1_3repE0EEENS1_30default_config_static_selectorELNS0_4arch9wavefront6targetE0EEEvT1_
	.globl	_ZN7rocprim17ROCPRIM_400000_NS6detail17trampoline_kernelINS0_14default_configENS1_29reduce_by_key_config_selectorIffN6thrust23THRUST_200600_302600_NS4plusIfEEEEZZNS1_33reduce_by_key_impl_wrapped_configILNS1_25lookback_scan_determinismE0ES3_S9_NS6_6detail15normal_iteratorINS6_10device_ptrIfEEEESG_SG_SG_PmS8_NS6_8equal_toIfEEEE10hipError_tPvRmT2_T3_mT4_T5_T6_T7_T8_P12ihipStream_tbENKUlT_T0_E_clISt17integral_constantIbLb0EES11_EEDaSW_SX_EUlSW_E_NS1_11comp_targetILNS1_3genE0ELNS1_11target_archE4294967295ELNS1_3gpuE0ELNS1_3repE0EEENS1_30default_config_static_selectorELNS0_4arch9wavefront6targetE0EEEvT1_
	.p2align	8
	.type	_ZN7rocprim17ROCPRIM_400000_NS6detail17trampoline_kernelINS0_14default_configENS1_29reduce_by_key_config_selectorIffN6thrust23THRUST_200600_302600_NS4plusIfEEEEZZNS1_33reduce_by_key_impl_wrapped_configILNS1_25lookback_scan_determinismE0ES3_S9_NS6_6detail15normal_iteratorINS6_10device_ptrIfEEEESG_SG_SG_PmS8_NS6_8equal_toIfEEEE10hipError_tPvRmT2_T3_mT4_T5_T6_T7_T8_P12ihipStream_tbENKUlT_T0_E_clISt17integral_constantIbLb0EES11_EEDaSW_SX_EUlSW_E_NS1_11comp_targetILNS1_3genE0ELNS1_11target_archE4294967295ELNS1_3gpuE0ELNS1_3repE0EEENS1_30default_config_static_selectorELNS0_4arch9wavefront6targetE0EEEvT1_,@function
_ZN7rocprim17ROCPRIM_400000_NS6detail17trampoline_kernelINS0_14default_configENS1_29reduce_by_key_config_selectorIffN6thrust23THRUST_200600_302600_NS4plusIfEEEEZZNS1_33reduce_by_key_impl_wrapped_configILNS1_25lookback_scan_determinismE0ES3_S9_NS6_6detail15normal_iteratorINS6_10device_ptrIfEEEESG_SG_SG_PmS8_NS6_8equal_toIfEEEE10hipError_tPvRmT2_T3_mT4_T5_T6_T7_T8_P12ihipStream_tbENKUlT_T0_E_clISt17integral_constantIbLb0EES11_EEDaSW_SX_EUlSW_E_NS1_11comp_targetILNS1_3genE0ELNS1_11target_archE4294967295ELNS1_3gpuE0ELNS1_3repE0EEENS1_30default_config_static_selectorELNS0_4arch9wavefront6targetE0EEEvT1_: ; @_ZN7rocprim17ROCPRIM_400000_NS6detail17trampoline_kernelINS0_14default_configENS1_29reduce_by_key_config_selectorIffN6thrust23THRUST_200600_302600_NS4plusIfEEEEZZNS1_33reduce_by_key_impl_wrapped_configILNS1_25lookback_scan_determinismE0ES3_S9_NS6_6detail15normal_iteratorINS6_10device_ptrIfEEEESG_SG_SG_PmS8_NS6_8equal_toIfEEEE10hipError_tPvRmT2_T3_mT4_T5_T6_T7_T8_P12ihipStream_tbENKUlT_T0_E_clISt17integral_constantIbLb0EES11_EEDaSW_SX_EUlSW_E_NS1_11comp_targetILNS1_3genE0ELNS1_11target_archE4294967295ELNS1_3gpuE0ELNS1_3repE0EEENS1_30default_config_static_selectorELNS0_4arch9wavefront6targetE0EEEvT1_
; %bb.0:
	.section	.rodata,"a",@progbits
	.p2align	6, 0x0
	.amdhsa_kernel _ZN7rocprim17ROCPRIM_400000_NS6detail17trampoline_kernelINS0_14default_configENS1_29reduce_by_key_config_selectorIffN6thrust23THRUST_200600_302600_NS4plusIfEEEEZZNS1_33reduce_by_key_impl_wrapped_configILNS1_25lookback_scan_determinismE0ES3_S9_NS6_6detail15normal_iteratorINS6_10device_ptrIfEEEESG_SG_SG_PmS8_NS6_8equal_toIfEEEE10hipError_tPvRmT2_T3_mT4_T5_T6_T7_T8_P12ihipStream_tbENKUlT_T0_E_clISt17integral_constantIbLb0EES11_EEDaSW_SX_EUlSW_E_NS1_11comp_targetILNS1_3genE0ELNS1_11target_archE4294967295ELNS1_3gpuE0ELNS1_3repE0EEENS1_30default_config_static_selectorELNS0_4arch9wavefront6targetE0EEEvT1_
		.amdhsa_group_segment_fixed_size 0
		.amdhsa_private_segment_fixed_size 0
		.amdhsa_kernarg_size 120
		.amdhsa_user_sgpr_count 15
		.amdhsa_user_sgpr_dispatch_ptr 0
		.amdhsa_user_sgpr_queue_ptr 0
		.amdhsa_user_sgpr_kernarg_segment_ptr 1
		.amdhsa_user_sgpr_dispatch_id 0
		.amdhsa_user_sgpr_private_segment_size 0
		.amdhsa_wavefront_size32 1
		.amdhsa_uses_dynamic_stack 0
		.amdhsa_enable_private_segment 0
		.amdhsa_system_sgpr_workgroup_id_x 1
		.amdhsa_system_sgpr_workgroup_id_y 0
		.amdhsa_system_sgpr_workgroup_id_z 0
		.amdhsa_system_sgpr_workgroup_info 0
		.amdhsa_system_vgpr_workitem_id 0
		.amdhsa_next_free_vgpr 1
		.amdhsa_next_free_sgpr 1
		.amdhsa_reserve_vcc 0
		.amdhsa_float_round_mode_32 0
		.amdhsa_float_round_mode_16_64 0
		.amdhsa_float_denorm_mode_32 3
		.amdhsa_float_denorm_mode_16_64 3
		.amdhsa_dx10_clamp 1
		.amdhsa_ieee_mode 1
		.amdhsa_fp16_overflow 0
		.amdhsa_workgroup_processor_mode 1
		.amdhsa_memory_ordered 1
		.amdhsa_forward_progress 0
		.amdhsa_shared_vgpr_count 0
		.amdhsa_exception_fp_ieee_invalid_op 0
		.amdhsa_exception_fp_denorm_src 0
		.amdhsa_exception_fp_ieee_div_zero 0
		.amdhsa_exception_fp_ieee_overflow 0
		.amdhsa_exception_fp_ieee_underflow 0
		.amdhsa_exception_fp_ieee_inexact 0
		.amdhsa_exception_int_div_zero 0
	.end_amdhsa_kernel
	.section	.text._ZN7rocprim17ROCPRIM_400000_NS6detail17trampoline_kernelINS0_14default_configENS1_29reduce_by_key_config_selectorIffN6thrust23THRUST_200600_302600_NS4plusIfEEEEZZNS1_33reduce_by_key_impl_wrapped_configILNS1_25lookback_scan_determinismE0ES3_S9_NS6_6detail15normal_iteratorINS6_10device_ptrIfEEEESG_SG_SG_PmS8_NS6_8equal_toIfEEEE10hipError_tPvRmT2_T3_mT4_T5_T6_T7_T8_P12ihipStream_tbENKUlT_T0_E_clISt17integral_constantIbLb0EES11_EEDaSW_SX_EUlSW_E_NS1_11comp_targetILNS1_3genE0ELNS1_11target_archE4294967295ELNS1_3gpuE0ELNS1_3repE0EEENS1_30default_config_static_selectorELNS0_4arch9wavefront6targetE0EEEvT1_,"axG",@progbits,_ZN7rocprim17ROCPRIM_400000_NS6detail17trampoline_kernelINS0_14default_configENS1_29reduce_by_key_config_selectorIffN6thrust23THRUST_200600_302600_NS4plusIfEEEEZZNS1_33reduce_by_key_impl_wrapped_configILNS1_25lookback_scan_determinismE0ES3_S9_NS6_6detail15normal_iteratorINS6_10device_ptrIfEEEESG_SG_SG_PmS8_NS6_8equal_toIfEEEE10hipError_tPvRmT2_T3_mT4_T5_T6_T7_T8_P12ihipStream_tbENKUlT_T0_E_clISt17integral_constantIbLb0EES11_EEDaSW_SX_EUlSW_E_NS1_11comp_targetILNS1_3genE0ELNS1_11target_archE4294967295ELNS1_3gpuE0ELNS1_3repE0EEENS1_30default_config_static_selectorELNS0_4arch9wavefront6targetE0EEEvT1_,comdat
.Lfunc_end164:
	.size	_ZN7rocprim17ROCPRIM_400000_NS6detail17trampoline_kernelINS0_14default_configENS1_29reduce_by_key_config_selectorIffN6thrust23THRUST_200600_302600_NS4plusIfEEEEZZNS1_33reduce_by_key_impl_wrapped_configILNS1_25lookback_scan_determinismE0ES3_S9_NS6_6detail15normal_iteratorINS6_10device_ptrIfEEEESG_SG_SG_PmS8_NS6_8equal_toIfEEEE10hipError_tPvRmT2_T3_mT4_T5_T6_T7_T8_P12ihipStream_tbENKUlT_T0_E_clISt17integral_constantIbLb0EES11_EEDaSW_SX_EUlSW_E_NS1_11comp_targetILNS1_3genE0ELNS1_11target_archE4294967295ELNS1_3gpuE0ELNS1_3repE0EEENS1_30default_config_static_selectorELNS0_4arch9wavefront6targetE0EEEvT1_, .Lfunc_end164-_ZN7rocprim17ROCPRIM_400000_NS6detail17trampoline_kernelINS0_14default_configENS1_29reduce_by_key_config_selectorIffN6thrust23THRUST_200600_302600_NS4plusIfEEEEZZNS1_33reduce_by_key_impl_wrapped_configILNS1_25lookback_scan_determinismE0ES3_S9_NS6_6detail15normal_iteratorINS6_10device_ptrIfEEEESG_SG_SG_PmS8_NS6_8equal_toIfEEEE10hipError_tPvRmT2_T3_mT4_T5_T6_T7_T8_P12ihipStream_tbENKUlT_T0_E_clISt17integral_constantIbLb0EES11_EEDaSW_SX_EUlSW_E_NS1_11comp_targetILNS1_3genE0ELNS1_11target_archE4294967295ELNS1_3gpuE0ELNS1_3repE0EEENS1_30default_config_static_selectorELNS0_4arch9wavefront6targetE0EEEvT1_
                                        ; -- End function
	.section	.AMDGPU.csdata,"",@progbits
; Kernel info:
; codeLenInByte = 0
; NumSgprs: 0
; NumVgprs: 0
; ScratchSize: 0
; MemoryBound: 0
; FloatMode: 240
; IeeeMode: 1
; LDSByteSize: 0 bytes/workgroup (compile time only)
; SGPRBlocks: 0
; VGPRBlocks: 0
; NumSGPRsForWavesPerEU: 1
; NumVGPRsForWavesPerEU: 1
; Occupancy: 16
; WaveLimiterHint : 0
; COMPUTE_PGM_RSRC2:SCRATCH_EN: 0
; COMPUTE_PGM_RSRC2:USER_SGPR: 15
; COMPUTE_PGM_RSRC2:TRAP_HANDLER: 0
; COMPUTE_PGM_RSRC2:TGID_X_EN: 1
; COMPUTE_PGM_RSRC2:TGID_Y_EN: 0
; COMPUTE_PGM_RSRC2:TGID_Z_EN: 0
; COMPUTE_PGM_RSRC2:TIDIG_COMP_CNT: 0
	.section	.text._ZN7rocprim17ROCPRIM_400000_NS6detail17trampoline_kernelINS0_14default_configENS1_29reduce_by_key_config_selectorIffN6thrust23THRUST_200600_302600_NS4plusIfEEEEZZNS1_33reduce_by_key_impl_wrapped_configILNS1_25lookback_scan_determinismE0ES3_S9_NS6_6detail15normal_iteratorINS6_10device_ptrIfEEEESG_SG_SG_PmS8_NS6_8equal_toIfEEEE10hipError_tPvRmT2_T3_mT4_T5_T6_T7_T8_P12ihipStream_tbENKUlT_T0_E_clISt17integral_constantIbLb0EES11_EEDaSW_SX_EUlSW_E_NS1_11comp_targetILNS1_3genE5ELNS1_11target_archE942ELNS1_3gpuE9ELNS1_3repE0EEENS1_30default_config_static_selectorELNS0_4arch9wavefront6targetE0EEEvT1_,"axG",@progbits,_ZN7rocprim17ROCPRIM_400000_NS6detail17trampoline_kernelINS0_14default_configENS1_29reduce_by_key_config_selectorIffN6thrust23THRUST_200600_302600_NS4plusIfEEEEZZNS1_33reduce_by_key_impl_wrapped_configILNS1_25lookback_scan_determinismE0ES3_S9_NS6_6detail15normal_iteratorINS6_10device_ptrIfEEEESG_SG_SG_PmS8_NS6_8equal_toIfEEEE10hipError_tPvRmT2_T3_mT4_T5_T6_T7_T8_P12ihipStream_tbENKUlT_T0_E_clISt17integral_constantIbLb0EES11_EEDaSW_SX_EUlSW_E_NS1_11comp_targetILNS1_3genE5ELNS1_11target_archE942ELNS1_3gpuE9ELNS1_3repE0EEENS1_30default_config_static_selectorELNS0_4arch9wavefront6targetE0EEEvT1_,comdat
	.protected	_ZN7rocprim17ROCPRIM_400000_NS6detail17trampoline_kernelINS0_14default_configENS1_29reduce_by_key_config_selectorIffN6thrust23THRUST_200600_302600_NS4plusIfEEEEZZNS1_33reduce_by_key_impl_wrapped_configILNS1_25lookback_scan_determinismE0ES3_S9_NS6_6detail15normal_iteratorINS6_10device_ptrIfEEEESG_SG_SG_PmS8_NS6_8equal_toIfEEEE10hipError_tPvRmT2_T3_mT4_T5_T6_T7_T8_P12ihipStream_tbENKUlT_T0_E_clISt17integral_constantIbLb0EES11_EEDaSW_SX_EUlSW_E_NS1_11comp_targetILNS1_3genE5ELNS1_11target_archE942ELNS1_3gpuE9ELNS1_3repE0EEENS1_30default_config_static_selectorELNS0_4arch9wavefront6targetE0EEEvT1_ ; -- Begin function _ZN7rocprim17ROCPRIM_400000_NS6detail17trampoline_kernelINS0_14default_configENS1_29reduce_by_key_config_selectorIffN6thrust23THRUST_200600_302600_NS4plusIfEEEEZZNS1_33reduce_by_key_impl_wrapped_configILNS1_25lookback_scan_determinismE0ES3_S9_NS6_6detail15normal_iteratorINS6_10device_ptrIfEEEESG_SG_SG_PmS8_NS6_8equal_toIfEEEE10hipError_tPvRmT2_T3_mT4_T5_T6_T7_T8_P12ihipStream_tbENKUlT_T0_E_clISt17integral_constantIbLb0EES11_EEDaSW_SX_EUlSW_E_NS1_11comp_targetILNS1_3genE5ELNS1_11target_archE942ELNS1_3gpuE9ELNS1_3repE0EEENS1_30default_config_static_selectorELNS0_4arch9wavefront6targetE0EEEvT1_
	.globl	_ZN7rocprim17ROCPRIM_400000_NS6detail17trampoline_kernelINS0_14default_configENS1_29reduce_by_key_config_selectorIffN6thrust23THRUST_200600_302600_NS4plusIfEEEEZZNS1_33reduce_by_key_impl_wrapped_configILNS1_25lookback_scan_determinismE0ES3_S9_NS6_6detail15normal_iteratorINS6_10device_ptrIfEEEESG_SG_SG_PmS8_NS6_8equal_toIfEEEE10hipError_tPvRmT2_T3_mT4_T5_T6_T7_T8_P12ihipStream_tbENKUlT_T0_E_clISt17integral_constantIbLb0EES11_EEDaSW_SX_EUlSW_E_NS1_11comp_targetILNS1_3genE5ELNS1_11target_archE942ELNS1_3gpuE9ELNS1_3repE0EEENS1_30default_config_static_selectorELNS0_4arch9wavefront6targetE0EEEvT1_
	.p2align	8
	.type	_ZN7rocprim17ROCPRIM_400000_NS6detail17trampoline_kernelINS0_14default_configENS1_29reduce_by_key_config_selectorIffN6thrust23THRUST_200600_302600_NS4plusIfEEEEZZNS1_33reduce_by_key_impl_wrapped_configILNS1_25lookback_scan_determinismE0ES3_S9_NS6_6detail15normal_iteratorINS6_10device_ptrIfEEEESG_SG_SG_PmS8_NS6_8equal_toIfEEEE10hipError_tPvRmT2_T3_mT4_T5_T6_T7_T8_P12ihipStream_tbENKUlT_T0_E_clISt17integral_constantIbLb0EES11_EEDaSW_SX_EUlSW_E_NS1_11comp_targetILNS1_3genE5ELNS1_11target_archE942ELNS1_3gpuE9ELNS1_3repE0EEENS1_30default_config_static_selectorELNS0_4arch9wavefront6targetE0EEEvT1_,@function
_ZN7rocprim17ROCPRIM_400000_NS6detail17trampoline_kernelINS0_14default_configENS1_29reduce_by_key_config_selectorIffN6thrust23THRUST_200600_302600_NS4plusIfEEEEZZNS1_33reduce_by_key_impl_wrapped_configILNS1_25lookback_scan_determinismE0ES3_S9_NS6_6detail15normal_iteratorINS6_10device_ptrIfEEEESG_SG_SG_PmS8_NS6_8equal_toIfEEEE10hipError_tPvRmT2_T3_mT4_T5_T6_T7_T8_P12ihipStream_tbENKUlT_T0_E_clISt17integral_constantIbLb0EES11_EEDaSW_SX_EUlSW_E_NS1_11comp_targetILNS1_3genE5ELNS1_11target_archE942ELNS1_3gpuE9ELNS1_3repE0EEENS1_30default_config_static_selectorELNS0_4arch9wavefront6targetE0EEEvT1_: ; @_ZN7rocprim17ROCPRIM_400000_NS6detail17trampoline_kernelINS0_14default_configENS1_29reduce_by_key_config_selectorIffN6thrust23THRUST_200600_302600_NS4plusIfEEEEZZNS1_33reduce_by_key_impl_wrapped_configILNS1_25lookback_scan_determinismE0ES3_S9_NS6_6detail15normal_iteratorINS6_10device_ptrIfEEEESG_SG_SG_PmS8_NS6_8equal_toIfEEEE10hipError_tPvRmT2_T3_mT4_T5_T6_T7_T8_P12ihipStream_tbENKUlT_T0_E_clISt17integral_constantIbLb0EES11_EEDaSW_SX_EUlSW_E_NS1_11comp_targetILNS1_3genE5ELNS1_11target_archE942ELNS1_3gpuE9ELNS1_3repE0EEENS1_30default_config_static_selectorELNS0_4arch9wavefront6targetE0EEEvT1_
; %bb.0:
	.section	.rodata,"a",@progbits
	.p2align	6, 0x0
	.amdhsa_kernel _ZN7rocprim17ROCPRIM_400000_NS6detail17trampoline_kernelINS0_14default_configENS1_29reduce_by_key_config_selectorIffN6thrust23THRUST_200600_302600_NS4plusIfEEEEZZNS1_33reduce_by_key_impl_wrapped_configILNS1_25lookback_scan_determinismE0ES3_S9_NS6_6detail15normal_iteratorINS6_10device_ptrIfEEEESG_SG_SG_PmS8_NS6_8equal_toIfEEEE10hipError_tPvRmT2_T3_mT4_T5_T6_T7_T8_P12ihipStream_tbENKUlT_T0_E_clISt17integral_constantIbLb0EES11_EEDaSW_SX_EUlSW_E_NS1_11comp_targetILNS1_3genE5ELNS1_11target_archE942ELNS1_3gpuE9ELNS1_3repE0EEENS1_30default_config_static_selectorELNS0_4arch9wavefront6targetE0EEEvT1_
		.amdhsa_group_segment_fixed_size 0
		.amdhsa_private_segment_fixed_size 0
		.amdhsa_kernarg_size 120
		.amdhsa_user_sgpr_count 15
		.amdhsa_user_sgpr_dispatch_ptr 0
		.amdhsa_user_sgpr_queue_ptr 0
		.amdhsa_user_sgpr_kernarg_segment_ptr 1
		.amdhsa_user_sgpr_dispatch_id 0
		.amdhsa_user_sgpr_private_segment_size 0
		.amdhsa_wavefront_size32 1
		.amdhsa_uses_dynamic_stack 0
		.amdhsa_enable_private_segment 0
		.amdhsa_system_sgpr_workgroup_id_x 1
		.amdhsa_system_sgpr_workgroup_id_y 0
		.amdhsa_system_sgpr_workgroup_id_z 0
		.amdhsa_system_sgpr_workgroup_info 0
		.amdhsa_system_vgpr_workitem_id 0
		.amdhsa_next_free_vgpr 1
		.amdhsa_next_free_sgpr 1
		.amdhsa_reserve_vcc 0
		.amdhsa_float_round_mode_32 0
		.amdhsa_float_round_mode_16_64 0
		.amdhsa_float_denorm_mode_32 3
		.amdhsa_float_denorm_mode_16_64 3
		.amdhsa_dx10_clamp 1
		.amdhsa_ieee_mode 1
		.amdhsa_fp16_overflow 0
		.amdhsa_workgroup_processor_mode 1
		.amdhsa_memory_ordered 1
		.amdhsa_forward_progress 0
		.amdhsa_shared_vgpr_count 0
		.amdhsa_exception_fp_ieee_invalid_op 0
		.amdhsa_exception_fp_denorm_src 0
		.amdhsa_exception_fp_ieee_div_zero 0
		.amdhsa_exception_fp_ieee_overflow 0
		.amdhsa_exception_fp_ieee_underflow 0
		.amdhsa_exception_fp_ieee_inexact 0
		.amdhsa_exception_int_div_zero 0
	.end_amdhsa_kernel
	.section	.text._ZN7rocprim17ROCPRIM_400000_NS6detail17trampoline_kernelINS0_14default_configENS1_29reduce_by_key_config_selectorIffN6thrust23THRUST_200600_302600_NS4plusIfEEEEZZNS1_33reduce_by_key_impl_wrapped_configILNS1_25lookback_scan_determinismE0ES3_S9_NS6_6detail15normal_iteratorINS6_10device_ptrIfEEEESG_SG_SG_PmS8_NS6_8equal_toIfEEEE10hipError_tPvRmT2_T3_mT4_T5_T6_T7_T8_P12ihipStream_tbENKUlT_T0_E_clISt17integral_constantIbLb0EES11_EEDaSW_SX_EUlSW_E_NS1_11comp_targetILNS1_3genE5ELNS1_11target_archE942ELNS1_3gpuE9ELNS1_3repE0EEENS1_30default_config_static_selectorELNS0_4arch9wavefront6targetE0EEEvT1_,"axG",@progbits,_ZN7rocprim17ROCPRIM_400000_NS6detail17trampoline_kernelINS0_14default_configENS1_29reduce_by_key_config_selectorIffN6thrust23THRUST_200600_302600_NS4plusIfEEEEZZNS1_33reduce_by_key_impl_wrapped_configILNS1_25lookback_scan_determinismE0ES3_S9_NS6_6detail15normal_iteratorINS6_10device_ptrIfEEEESG_SG_SG_PmS8_NS6_8equal_toIfEEEE10hipError_tPvRmT2_T3_mT4_T5_T6_T7_T8_P12ihipStream_tbENKUlT_T0_E_clISt17integral_constantIbLb0EES11_EEDaSW_SX_EUlSW_E_NS1_11comp_targetILNS1_3genE5ELNS1_11target_archE942ELNS1_3gpuE9ELNS1_3repE0EEENS1_30default_config_static_selectorELNS0_4arch9wavefront6targetE0EEEvT1_,comdat
.Lfunc_end165:
	.size	_ZN7rocprim17ROCPRIM_400000_NS6detail17trampoline_kernelINS0_14default_configENS1_29reduce_by_key_config_selectorIffN6thrust23THRUST_200600_302600_NS4plusIfEEEEZZNS1_33reduce_by_key_impl_wrapped_configILNS1_25lookback_scan_determinismE0ES3_S9_NS6_6detail15normal_iteratorINS6_10device_ptrIfEEEESG_SG_SG_PmS8_NS6_8equal_toIfEEEE10hipError_tPvRmT2_T3_mT4_T5_T6_T7_T8_P12ihipStream_tbENKUlT_T0_E_clISt17integral_constantIbLb0EES11_EEDaSW_SX_EUlSW_E_NS1_11comp_targetILNS1_3genE5ELNS1_11target_archE942ELNS1_3gpuE9ELNS1_3repE0EEENS1_30default_config_static_selectorELNS0_4arch9wavefront6targetE0EEEvT1_, .Lfunc_end165-_ZN7rocprim17ROCPRIM_400000_NS6detail17trampoline_kernelINS0_14default_configENS1_29reduce_by_key_config_selectorIffN6thrust23THRUST_200600_302600_NS4plusIfEEEEZZNS1_33reduce_by_key_impl_wrapped_configILNS1_25lookback_scan_determinismE0ES3_S9_NS6_6detail15normal_iteratorINS6_10device_ptrIfEEEESG_SG_SG_PmS8_NS6_8equal_toIfEEEE10hipError_tPvRmT2_T3_mT4_T5_T6_T7_T8_P12ihipStream_tbENKUlT_T0_E_clISt17integral_constantIbLb0EES11_EEDaSW_SX_EUlSW_E_NS1_11comp_targetILNS1_3genE5ELNS1_11target_archE942ELNS1_3gpuE9ELNS1_3repE0EEENS1_30default_config_static_selectorELNS0_4arch9wavefront6targetE0EEEvT1_
                                        ; -- End function
	.section	.AMDGPU.csdata,"",@progbits
; Kernel info:
; codeLenInByte = 0
; NumSgprs: 0
; NumVgprs: 0
; ScratchSize: 0
; MemoryBound: 0
; FloatMode: 240
; IeeeMode: 1
; LDSByteSize: 0 bytes/workgroup (compile time only)
; SGPRBlocks: 0
; VGPRBlocks: 0
; NumSGPRsForWavesPerEU: 1
; NumVGPRsForWavesPerEU: 1
; Occupancy: 16
; WaveLimiterHint : 0
; COMPUTE_PGM_RSRC2:SCRATCH_EN: 0
; COMPUTE_PGM_RSRC2:USER_SGPR: 15
; COMPUTE_PGM_RSRC2:TRAP_HANDLER: 0
; COMPUTE_PGM_RSRC2:TGID_X_EN: 1
; COMPUTE_PGM_RSRC2:TGID_Y_EN: 0
; COMPUTE_PGM_RSRC2:TGID_Z_EN: 0
; COMPUTE_PGM_RSRC2:TIDIG_COMP_CNT: 0
	.section	.text._ZN7rocprim17ROCPRIM_400000_NS6detail17trampoline_kernelINS0_14default_configENS1_29reduce_by_key_config_selectorIffN6thrust23THRUST_200600_302600_NS4plusIfEEEEZZNS1_33reduce_by_key_impl_wrapped_configILNS1_25lookback_scan_determinismE0ES3_S9_NS6_6detail15normal_iteratorINS6_10device_ptrIfEEEESG_SG_SG_PmS8_NS6_8equal_toIfEEEE10hipError_tPvRmT2_T3_mT4_T5_T6_T7_T8_P12ihipStream_tbENKUlT_T0_E_clISt17integral_constantIbLb0EES11_EEDaSW_SX_EUlSW_E_NS1_11comp_targetILNS1_3genE4ELNS1_11target_archE910ELNS1_3gpuE8ELNS1_3repE0EEENS1_30default_config_static_selectorELNS0_4arch9wavefront6targetE0EEEvT1_,"axG",@progbits,_ZN7rocprim17ROCPRIM_400000_NS6detail17trampoline_kernelINS0_14default_configENS1_29reduce_by_key_config_selectorIffN6thrust23THRUST_200600_302600_NS4plusIfEEEEZZNS1_33reduce_by_key_impl_wrapped_configILNS1_25lookback_scan_determinismE0ES3_S9_NS6_6detail15normal_iteratorINS6_10device_ptrIfEEEESG_SG_SG_PmS8_NS6_8equal_toIfEEEE10hipError_tPvRmT2_T3_mT4_T5_T6_T7_T8_P12ihipStream_tbENKUlT_T0_E_clISt17integral_constantIbLb0EES11_EEDaSW_SX_EUlSW_E_NS1_11comp_targetILNS1_3genE4ELNS1_11target_archE910ELNS1_3gpuE8ELNS1_3repE0EEENS1_30default_config_static_selectorELNS0_4arch9wavefront6targetE0EEEvT1_,comdat
	.protected	_ZN7rocprim17ROCPRIM_400000_NS6detail17trampoline_kernelINS0_14default_configENS1_29reduce_by_key_config_selectorIffN6thrust23THRUST_200600_302600_NS4plusIfEEEEZZNS1_33reduce_by_key_impl_wrapped_configILNS1_25lookback_scan_determinismE0ES3_S9_NS6_6detail15normal_iteratorINS6_10device_ptrIfEEEESG_SG_SG_PmS8_NS6_8equal_toIfEEEE10hipError_tPvRmT2_T3_mT4_T5_T6_T7_T8_P12ihipStream_tbENKUlT_T0_E_clISt17integral_constantIbLb0EES11_EEDaSW_SX_EUlSW_E_NS1_11comp_targetILNS1_3genE4ELNS1_11target_archE910ELNS1_3gpuE8ELNS1_3repE0EEENS1_30default_config_static_selectorELNS0_4arch9wavefront6targetE0EEEvT1_ ; -- Begin function _ZN7rocprim17ROCPRIM_400000_NS6detail17trampoline_kernelINS0_14default_configENS1_29reduce_by_key_config_selectorIffN6thrust23THRUST_200600_302600_NS4plusIfEEEEZZNS1_33reduce_by_key_impl_wrapped_configILNS1_25lookback_scan_determinismE0ES3_S9_NS6_6detail15normal_iteratorINS6_10device_ptrIfEEEESG_SG_SG_PmS8_NS6_8equal_toIfEEEE10hipError_tPvRmT2_T3_mT4_T5_T6_T7_T8_P12ihipStream_tbENKUlT_T0_E_clISt17integral_constantIbLb0EES11_EEDaSW_SX_EUlSW_E_NS1_11comp_targetILNS1_3genE4ELNS1_11target_archE910ELNS1_3gpuE8ELNS1_3repE0EEENS1_30default_config_static_selectorELNS0_4arch9wavefront6targetE0EEEvT1_
	.globl	_ZN7rocprim17ROCPRIM_400000_NS6detail17trampoline_kernelINS0_14default_configENS1_29reduce_by_key_config_selectorIffN6thrust23THRUST_200600_302600_NS4plusIfEEEEZZNS1_33reduce_by_key_impl_wrapped_configILNS1_25lookback_scan_determinismE0ES3_S9_NS6_6detail15normal_iteratorINS6_10device_ptrIfEEEESG_SG_SG_PmS8_NS6_8equal_toIfEEEE10hipError_tPvRmT2_T3_mT4_T5_T6_T7_T8_P12ihipStream_tbENKUlT_T0_E_clISt17integral_constantIbLb0EES11_EEDaSW_SX_EUlSW_E_NS1_11comp_targetILNS1_3genE4ELNS1_11target_archE910ELNS1_3gpuE8ELNS1_3repE0EEENS1_30default_config_static_selectorELNS0_4arch9wavefront6targetE0EEEvT1_
	.p2align	8
	.type	_ZN7rocprim17ROCPRIM_400000_NS6detail17trampoline_kernelINS0_14default_configENS1_29reduce_by_key_config_selectorIffN6thrust23THRUST_200600_302600_NS4plusIfEEEEZZNS1_33reduce_by_key_impl_wrapped_configILNS1_25lookback_scan_determinismE0ES3_S9_NS6_6detail15normal_iteratorINS6_10device_ptrIfEEEESG_SG_SG_PmS8_NS6_8equal_toIfEEEE10hipError_tPvRmT2_T3_mT4_T5_T6_T7_T8_P12ihipStream_tbENKUlT_T0_E_clISt17integral_constantIbLb0EES11_EEDaSW_SX_EUlSW_E_NS1_11comp_targetILNS1_3genE4ELNS1_11target_archE910ELNS1_3gpuE8ELNS1_3repE0EEENS1_30default_config_static_selectorELNS0_4arch9wavefront6targetE0EEEvT1_,@function
_ZN7rocprim17ROCPRIM_400000_NS6detail17trampoline_kernelINS0_14default_configENS1_29reduce_by_key_config_selectorIffN6thrust23THRUST_200600_302600_NS4plusIfEEEEZZNS1_33reduce_by_key_impl_wrapped_configILNS1_25lookback_scan_determinismE0ES3_S9_NS6_6detail15normal_iteratorINS6_10device_ptrIfEEEESG_SG_SG_PmS8_NS6_8equal_toIfEEEE10hipError_tPvRmT2_T3_mT4_T5_T6_T7_T8_P12ihipStream_tbENKUlT_T0_E_clISt17integral_constantIbLb0EES11_EEDaSW_SX_EUlSW_E_NS1_11comp_targetILNS1_3genE4ELNS1_11target_archE910ELNS1_3gpuE8ELNS1_3repE0EEENS1_30default_config_static_selectorELNS0_4arch9wavefront6targetE0EEEvT1_: ; @_ZN7rocprim17ROCPRIM_400000_NS6detail17trampoline_kernelINS0_14default_configENS1_29reduce_by_key_config_selectorIffN6thrust23THRUST_200600_302600_NS4plusIfEEEEZZNS1_33reduce_by_key_impl_wrapped_configILNS1_25lookback_scan_determinismE0ES3_S9_NS6_6detail15normal_iteratorINS6_10device_ptrIfEEEESG_SG_SG_PmS8_NS6_8equal_toIfEEEE10hipError_tPvRmT2_T3_mT4_T5_T6_T7_T8_P12ihipStream_tbENKUlT_T0_E_clISt17integral_constantIbLb0EES11_EEDaSW_SX_EUlSW_E_NS1_11comp_targetILNS1_3genE4ELNS1_11target_archE910ELNS1_3gpuE8ELNS1_3repE0EEENS1_30default_config_static_selectorELNS0_4arch9wavefront6targetE0EEEvT1_
; %bb.0:
	.section	.rodata,"a",@progbits
	.p2align	6, 0x0
	.amdhsa_kernel _ZN7rocprim17ROCPRIM_400000_NS6detail17trampoline_kernelINS0_14default_configENS1_29reduce_by_key_config_selectorIffN6thrust23THRUST_200600_302600_NS4plusIfEEEEZZNS1_33reduce_by_key_impl_wrapped_configILNS1_25lookback_scan_determinismE0ES3_S9_NS6_6detail15normal_iteratorINS6_10device_ptrIfEEEESG_SG_SG_PmS8_NS6_8equal_toIfEEEE10hipError_tPvRmT2_T3_mT4_T5_T6_T7_T8_P12ihipStream_tbENKUlT_T0_E_clISt17integral_constantIbLb0EES11_EEDaSW_SX_EUlSW_E_NS1_11comp_targetILNS1_3genE4ELNS1_11target_archE910ELNS1_3gpuE8ELNS1_3repE0EEENS1_30default_config_static_selectorELNS0_4arch9wavefront6targetE0EEEvT1_
		.amdhsa_group_segment_fixed_size 0
		.amdhsa_private_segment_fixed_size 0
		.amdhsa_kernarg_size 120
		.amdhsa_user_sgpr_count 15
		.amdhsa_user_sgpr_dispatch_ptr 0
		.amdhsa_user_sgpr_queue_ptr 0
		.amdhsa_user_sgpr_kernarg_segment_ptr 1
		.amdhsa_user_sgpr_dispatch_id 0
		.amdhsa_user_sgpr_private_segment_size 0
		.amdhsa_wavefront_size32 1
		.amdhsa_uses_dynamic_stack 0
		.amdhsa_enable_private_segment 0
		.amdhsa_system_sgpr_workgroup_id_x 1
		.amdhsa_system_sgpr_workgroup_id_y 0
		.amdhsa_system_sgpr_workgroup_id_z 0
		.amdhsa_system_sgpr_workgroup_info 0
		.amdhsa_system_vgpr_workitem_id 0
		.amdhsa_next_free_vgpr 1
		.amdhsa_next_free_sgpr 1
		.amdhsa_reserve_vcc 0
		.amdhsa_float_round_mode_32 0
		.amdhsa_float_round_mode_16_64 0
		.amdhsa_float_denorm_mode_32 3
		.amdhsa_float_denorm_mode_16_64 3
		.amdhsa_dx10_clamp 1
		.amdhsa_ieee_mode 1
		.amdhsa_fp16_overflow 0
		.amdhsa_workgroup_processor_mode 1
		.amdhsa_memory_ordered 1
		.amdhsa_forward_progress 0
		.amdhsa_shared_vgpr_count 0
		.amdhsa_exception_fp_ieee_invalid_op 0
		.amdhsa_exception_fp_denorm_src 0
		.amdhsa_exception_fp_ieee_div_zero 0
		.amdhsa_exception_fp_ieee_overflow 0
		.amdhsa_exception_fp_ieee_underflow 0
		.amdhsa_exception_fp_ieee_inexact 0
		.amdhsa_exception_int_div_zero 0
	.end_amdhsa_kernel
	.section	.text._ZN7rocprim17ROCPRIM_400000_NS6detail17trampoline_kernelINS0_14default_configENS1_29reduce_by_key_config_selectorIffN6thrust23THRUST_200600_302600_NS4plusIfEEEEZZNS1_33reduce_by_key_impl_wrapped_configILNS1_25lookback_scan_determinismE0ES3_S9_NS6_6detail15normal_iteratorINS6_10device_ptrIfEEEESG_SG_SG_PmS8_NS6_8equal_toIfEEEE10hipError_tPvRmT2_T3_mT4_T5_T6_T7_T8_P12ihipStream_tbENKUlT_T0_E_clISt17integral_constantIbLb0EES11_EEDaSW_SX_EUlSW_E_NS1_11comp_targetILNS1_3genE4ELNS1_11target_archE910ELNS1_3gpuE8ELNS1_3repE0EEENS1_30default_config_static_selectorELNS0_4arch9wavefront6targetE0EEEvT1_,"axG",@progbits,_ZN7rocprim17ROCPRIM_400000_NS6detail17trampoline_kernelINS0_14default_configENS1_29reduce_by_key_config_selectorIffN6thrust23THRUST_200600_302600_NS4plusIfEEEEZZNS1_33reduce_by_key_impl_wrapped_configILNS1_25lookback_scan_determinismE0ES3_S9_NS6_6detail15normal_iteratorINS6_10device_ptrIfEEEESG_SG_SG_PmS8_NS6_8equal_toIfEEEE10hipError_tPvRmT2_T3_mT4_T5_T6_T7_T8_P12ihipStream_tbENKUlT_T0_E_clISt17integral_constantIbLb0EES11_EEDaSW_SX_EUlSW_E_NS1_11comp_targetILNS1_3genE4ELNS1_11target_archE910ELNS1_3gpuE8ELNS1_3repE0EEENS1_30default_config_static_selectorELNS0_4arch9wavefront6targetE0EEEvT1_,comdat
.Lfunc_end166:
	.size	_ZN7rocprim17ROCPRIM_400000_NS6detail17trampoline_kernelINS0_14default_configENS1_29reduce_by_key_config_selectorIffN6thrust23THRUST_200600_302600_NS4plusIfEEEEZZNS1_33reduce_by_key_impl_wrapped_configILNS1_25lookback_scan_determinismE0ES3_S9_NS6_6detail15normal_iteratorINS6_10device_ptrIfEEEESG_SG_SG_PmS8_NS6_8equal_toIfEEEE10hipError_tPvRmT2_T3_mT4_T5_T6_T7_T8_P12ihipStream_tbENKUlT_T0_E_clISt17integral_constantIbLb0EES11_EEDaSW_SX_EUlSW_E_NS1_11comp_targetILNS1_3genE4ELNS1_11target_archE910ELNS1_3gpuE8ELNS1_3repE0EEENS1_30default_config_static_selectorELNS0_4arch9wavefront6targetE0EEEvT1_, .Lfunc_end166-_ZN7rocprim17ROCPRIM_400000_NS6detail17trampoline_kernelINS0_14default_configENS1_29reduce_by_key_config_selectorIffN6thrust23THRUST_200600_302600_NS4plusIfEEEEZZNS1_33reduce_by_key_impl_wrapped_configILNS1_25lookback_scan_determinismE0ES3_S9_NS6_6detail15normal_iteratorINS6_10device_ptrIfEEEESG_SG_SG_PmS8_NS6_8equal_toIfEEEE10hipError_tPvRmT2_T3_mT4_T5_T6_T7_T8_P12ihipStream_tbENKUlT_T0_E_clISt17integral_constantIbLb0EES11_EEDaSW_SX_EUlSW_E_NS1_11comp_targetILNS1_3genE4ELNS1_11target_archE910ELNS1_3gpuE8ELNS1_3repE0EEENS1_30default_config_static_selectorELNS0_4arch9wavefront6targetE0EEEvT1_
                                        ; -- End function
	.section	.AMDGPU.csdata,"",@progbits
; Kernel info:
; codeLenInByte = 0
; NumSgprs: 0
; NumVgprs: 0
; ScratchSize: 0
; MemoryBound: 0
; FloatMode: 240
; IeeeMode: 1
; LDSByteSize: 0 bytes/workgroup (compile time only)
; SGPRBlocks: 0
; VGPRBlocks: 0
; NumSGPRsForWavesPerEU: 1
; NumVGPRsForWavesPerEU: 1
; Occupancy: 16
; WaveLimiterHint : 0
; COMPUTE_PGM_RSRC2:SCRATCH_EN: 0
; COMPUTE_PGM_RSRC2:USER_SGPR: 15
; COMPUTE_PGM_RSRC2:TRAP_HANDLER: 0
; COMPUTE_PGM_RSRC2:TGID_X_EN: 1
; COMPUTE_PGM_RSRC2:TGID_Y_EN: 0
; COMPUTE_PGM_RSRC2:TGID_Z_EN: 0
; COMPUTE_PGM_RSRC2:TIDIG_COMP_CNT: 0
	.section	.text._ZN7rocprim17ROCPRIM_400000_NS6detail17trampoline_kernelINS0_14default_configENS1_29reduce_by_key_config_selectorIffN6thrust23THRUST_200600_302600_NS4plusIfEEEEZZNS1_33reduce_by_key_impl_wrapped_configILNS1_25lookback_scan_determinismE0ES3_S9_NS6_6detail15normal_iteratorINS6_10device_ptrIfEEEESG_SG_SG_PmS8_NS6_8equal_toIfEEEE10hipError_tPvRmT2_T3_mT4_T5_T6_T7_T8_P12ihipStream_tbENKUlT_T0_E_clISt17integral_constantIbLb0EES11_EEDaSW_SX_EUlSW_E_NS1_11comp_targetILNS1_3genE3ELNS1_11target_archE908ELNS1_3gpuE7ELNS1_3repE0EEENS1_30default_config_static_selectorELNS0_4arch9wavefront6targetE0EEEvT1_,"axG",@progbits,_ZN7rocprim17ROCPRIM_400000_NS6detail17trampoline_kernelINS0_14default_configENS1_29reduce_by_key_config_selectorIffN6thrust23THRUST_200600_302600_NS4plusIfEEEEZZNS1_33reduce_by_key_impl_wrapped_configILNS1_25lookback_scan_determinismE0ES3_S9_NS6_6detail15normal_iteratorINS6_10device_ptrIfEEEESG_SG_SG_PmS8_NS6_8equal_toIfEEEE10hipError_tPvRmT2_T3_mT4_T5_T6_T7_T8_P12ihipStream_tbENKUlT_T0_E_clISt17integral_constantIbLb0EES11_EEDaSW_SX_EUlSW_E_NS1_11comp_targetILNS1_3genE3ELNS1_11target_archE908ELNS1_3gpuE7ELNS1_3repE0EEENS1_30default_config_static_selectorELNS0_4arch9wavefront6targetE0EEEvT1_,comdat
	.protected	_ZN7rocprim17ROCPRIM_400000_NS6detail17trampoline_kernelINS0_14default_configENS1_29reduce_by_key_config_selectorIffN6thrust23THRUST_200600_302600_NS4plusIfEEEEZZNS1_33reduce_by_key_impl_wrapped_configILNS1_25lookback_scan_determinismE0ES3_S9_NS6_6detail15normal_iteratorINS6_10device_ptrIfEEEESG_SG_SG_PmS8_NS6_8equal_toIfEEEE10hipError_tPvRmT2_T3_mT4_T5_T6_T7_T8_P12ihipStream_tbENKUlT_T0_E_clISt17integral_constantIbLb0EES11_EEDaSW_SX_EUlSW_E_NS1_11comp_targetILNS1_3genE3ELNS1_11target_archE908ELNS1_3gpuE7ELNS1_3repE0EEENS1_30default_config_static_selectorELNS0_4arch9wavefront6targetE0EEEvT1_ ; -- Begin function _ZN7rocprim17ROCPRIM_400000_NS6detail17trampoline_kernelINS0_14default_configENS1_29reduce_by_key_config_selectorIffN6thrust23THRUST_200600_302600_NS4plusIfEEEEZZNS1_33reduce_by_key_impl_wrapped_configILNS1_25lookback_scan_determinismE0ES3_S9_NS6_6detail15normal_iteratorINS6_10device_ptrIfEEEESG_SG_SG_PmS8_NS6_8equal_toIfEEEE10hipError_tPvRmT2_T3_mT4_T5_T6_T7_T8_P12ihipStream_tbENKUlT_T0_E_clISt17integral_constantIbLb0EES11_EEDaSW_SX_EUlSW_E_NS1_11comp_targetILNS1_3genE3ELNS1_11target_archE908ELNS1_3gpuE7ELNS1_3repE0EEENS1_30default_config_static_selectorELNS0_4arch9wavefront6targetE0EEEvT1_
	.globl	_ZN7rocprim17ROCPRIM_400000_NS6detail17trampoline_kernelINS0_14default_configENS1_29reduce_by_key_config_selectorIffN6thrust23THRUST_200600_302600_NS4plusIfEEEEZZNS1_33reduce_by_key_impl_wrapped_configILNS1_25lookback_scan_determinismE0ES3_S9_NS6_6detail15normal_iteratorINS6_10device_ptrIfEEEESG_SG_SG_PmS8_NS6_8equal_toIfEEEE10hipError_tPvRmT2_T3_mT4_T5_T6_T7_T8_P12ihipStream_tbENKUlT_T0_E_clISt17integral_constantIbLb0EES11_EEDaSW_SX_EUlSW_E_NS1_11comp_targetILNS1_3genE3ELNS1_11target_archE908ELNS1_3gpuE7ELNS1_3repE0EEENS1_30default_config_static_selectorELNS0_4arch9wavefront6targetE0EEEvT1_
	.p2align	8
	.type	_ZN7rocprim17ROCPRIM_400000_NS6detail17trampoline_kernelINS0_14default_configENS1_29reduce_by_key_config_selectorIffN6thrust23THRUST_200600_302600_NS4plusIfEEEEZZNS1_33reduce_by_key_impl_wrapped_configILNS1_25lookback_scan_determinismE0ES3_S9_NS6_6detail15normal_iteratorINS6_10device_ptrIfEEEESG_SG_SG_PmS8_NS6_8equal_toIfEEEE10hipError_tPvRmT2_T3_mT4_T5_T6_T7_T8_P12ihipStream_tbENKUlT_T0_E_clISt17integral_constantIbLb0EES11_EEDaSW_SX_EUlSW_E_NS1_11comp_targetILNS1_3genE3ELNS1_11target_archE908ELNS1_3gpuE7ELNS1_3repE0EEENS1_30default_config_static_selectorELNS0_4arch9wavefront6targetE0EEEvT1_,@function
_ZN7rocprim17ROCPRIM_400000_NS6detail17trampoline_kernelINS0_14default_configENS1_29reduce_by_key_config_selectorIffN6thrust23THRUST_200600_302600_NS4plusIfEEEEZZNS1_33reduce_by_key_impl_wrapped_configILNS1_25lookback_scan_determinismE0ES3_S9_NS6_6detail15normal_iteratorINS6_10device_ptrIfEEEESG_SG_SG_PmS8_NS6_8equal_toIfEEEE10hipError_tPvRmT2_T3_mT4_T5_T6_T7_T8_P12ihipStream_tbENKUlT_T0_E_clISt17integral_constantIbLb0EES11_EEDaSW_SX_EUlSW_E_NS1_11comp_targetILNS1_3genE3ELNS1_11target_archE908ELNS1_3gpuE7ELNS1_3repE0EEENS1_30default_config_static_selectorELNS0_4arch9wavefront6targetE0EEEvT1_: ; @_ZN7rocprim17ROCPRIM_400000_NS6detail17trampoline_kernelINS0_14default_configENS1_29reduce_by_key_config_selectorIffN6thrust23THRUST_200600_302600_NS4plusIfEEEEZZNS1_33reduce_by_key_impl_wrapped_configILNS1_25lookback_scan_determinismE0ES3_S9_NS6_6detail15normal_iteratorINS6_10device_ptrIfEEEESG_SG_SG_PmS8_NS6_8equal_toIfEEEE10hipError_tPvRmT2_T3_mT4_T5_T6_T7_T8_P12ihipStream_tbENKUlT_T0_E_clISt17integral_constantIbLb0EES11_EEDaSW_SX_EUlSW_E_NS1_11comp_targetILNS1_3genE3ELNS1_11target_archE908ELNS1_3gpuE7ELNS1_3repE0EEENS1_30default_config_static_selectorELNS0_4arch9wavefront6targetE0EEEvT1_
; %bb.0:
	.section	.rodata,"a",@progbits
	.p2align	6, 0x0
	.amdhsa_kernel _ZN7rocprim17ROCPRIM_400000_NS6detail17trampoline_kernelINS0_14default_configENS1_29reduce_by_key_config_selectorIffN6thrust23THRUST_200600_302600_NS4plusIfEEEEZZNS1_33reduce_by_key_impl_wrapped_configILNS1_25lookback_scan_determinismE0ES3_S9_NS6_6detail15normal_iteratorINS6_10device_ptrIfEEEESG_SG_SG_PmS8_NS6_8equal_toIfEEEE10hipError_tPvRmT2_T3_mT4_T5_T6_T7_T8_P12ihipStream_tbENKUlT_T0_E_clISt17integral_constantIbLb0EES11_EEDaSW_SX_EUlSW_E_NS1_11comp_targetILNS1_3genE3ELNS1_11target_archE908ELNS1_3gpuE7ELNS1_3repE0EEENS1_30default_config_static_selectorELNS0_4arch9wavefront6targetE0EEEvT1_
		.amdhsa_group_segment_fixed_size 0
		.amdhsa_private_segment_fixed_size 0
		.amdhsa_kernarg_size 120
		.amdhsa_user_sgpr_count 15
		.amdhsa_user_sgpr_dispatch_ptr 0
		.amdhsa_user_sgpr_queue_ptr 0
		.amdhsa_user_sgpr_kernarg_segment_ptr 1
		.amdhsa_user_sgpr_dispatch_id 0
		.amdhsa_user_sgpr_private_segment_size 0
		.amdhsa_wavefront_size32 1
		.amdhsa_uses_dynamic_stack 0
		.amdhsa_enable_private_segment 0
		.amdhsa_system_sgpr_workgroup_id_x 1
		.amdhsa_system_sgpr_workgroup_id_y 0
		.amdhsa_system_sgpr_workgroup_id_z 0
		.amdhsa_system_sgpr_workgroup_info 0
		.amdhsa_system_vgpr_workitem_id 0
		.amdhsa_next_free_vgpr 1
		.amdhsa_next_free_sgpr 1
		.amdhsa_reserve_vcc 0
		.amdhsa_float_round_mode_32 0
		.amdhsa_float_round_mode_16_64 0
		.amdhsa_float_denorm_mode_32 3
		.amdhsa_float_denorm_mode_16_64 3
		.amdhsa_dx10_clamp 1
		.amdhsa_ieee_mode 1
		.amdhsa_fp16_overflow 0
		.amdhsa_workgroup_processor_mode 1
		.amdhsa_memory_ordered 1
		.amdhsa_forward_progress 0
		.amdhsa_shared_vgpr_count 0
		.amdhsa_exception_fp_ieee_invalid_op 0
		.amdhsa_exception_fp_denorm_src 0
		.amdhsa_exception_fp_ieee_div_zero 0
		.amdhsa_exception_fp_ieee_overflow 0
		.amdhsa_exception_fp_ieee_underflow 0
		.amdhsa_exception_fp_ieee_inexact 0
		.amdhsa_exception_int_div_zero 0
	.end_amdhsa_kernel
	.section	.text._ZN7rocprim17ROCPRIM_400000_NS6detail17trampoline_kernelINS0_14default_configENS1_29reduce_by_key_config_selectorIffN6thrust23THRUST_200600_302600_NS4plusIfEEEEZZNS1_33reduce_by_key_impl_wrapped_configILNS1_25lookback_scan_determinismE0ES3_S9_NS6_6detail15normal_iteratorINS6_10device_ptrIfEEEESG_SG_SG_PmS8_NS6_8equal_toIfEEEE10hipError_tPvRmT2_T3_mT4_T5_T6_T7_T8_P12ihipStream_tbENKUlT_T0_E_clISt17integral_constantIbLb0EES11_EEDaSW_SX_EUlSW_E_NS1_11comp_targetILNS1_3genE3ELNS1_11target_archE908ELNS1_3gpuE7ELNS1_3repE0EEENS1_30default_config_static_selectorELNS0_4arch9wavefront6targetE0EEEvT1_,"axG",@progbits,_ZN7rocprim17ROCPRIM_400000_NS6detail17trampoline_kernelINS0_14default_configENS1_29reduce_by_key_config_selectorIffN6thrust23THRUST_200600_302600_NS4plusIfEEEEZZNS1_33reduce_by_key_impl_wrapped_configILNS1_25lookback_scan_determinismE0ES3_S9_NS6_6detail15normal_iteratorINS6_10device_ptrIfEEEESG_SG_SG_PmS8_NS6_8equal_toIfEEEE10hipError_tPvRmT2_T3_mT4_T5_T6_T7_T8_P12ihipStream_tbENKUlT_T0_E_clISt17integral_constantIbLb0EES11_EEDaSW_SX_EUlSW_E_NS1_11comp_targetILNS1_3genE3ELNS1_11target_archE908ELNS1_3gpuE7ELNS1_3repE0EEENS1_30default_config_static_selectorELNS0_4arch9wavefront6targetE0EEEvT1_,comdat
.Lfunc_end167:
	.size	_ZN7rocprim17ROCPRIM_400000_NS6detail17trampoline_kernelINS0_14default_configENS1_29reduce_by_key_config_selectorIffN6thrust23THRUST_200600_302600_NS4plusIfEEEEZZNS1_33reduce_by_key_impl_wrapped_configILNS1_25lookback_scan_determinismE0ES3_S9_NS6_6detail15normal_iteratorINS6_10device_ptrIfEEEESG_SG_SG_PmS8_NS6_8equal_toIfEEEE10hipError_tPvRmT2_T3_mT4_T5_T6_T7_T8_P12ihipStream_tbENKUlT_T0_E_clISt17integral_constantIbLb0EES11_EEDaSW_SX_EUlSW_E_NS1_11comp_targetILNS1_3genE3ELNS1_11target_archE908ELNS1_3gpuE7ELNS1_3repE0EEENS1_30default_config_static_selectorELNS0_4arch9wavefront6targetE0EEEvT1_, .Lfunc_end167-_ZN7rocprim17ROCPRIM_400000_NS6detail17trampoline_kernelINS0_14default_configENS1_29reduce_by_key_config_selectorIffN6thrust23THRUST_200600_302600_NS4plusIfEEEEZZNS1_33reduce_by_key_impl_wrapped_configILNS1_25lookback_scan_determinismE0ES3_S9_NS6_6detail15normal_iteratorINS6_10device_ptrIfEEEESG_SG_SG_PmS8_NS6_8equal_toIfEEEE10hipError_tPvRmT2_T3_mT4_T5_T6_T7_T8_P12ihipStream_tbENKUlT_T0_E_clISt17integral_constantIbLb0EES11_EEDaSW_SX_EUlSW_E_NS1_11comp_targetILNS1_3genE3ELNS1_11target_archE908ELNS1_3gpuE7ELNS1_3repE0EEENS1_30default_config_static_selectorELNS0_4arch9wavefront6targetE0EEEvT1_
                                        ; -- End function
	.section	.AMDGPU.csdata,"",@progbits
; Kernel info:
; codeLenInByte = 0
; NumSgprs: 0
; NumVgprs: 0
; ScratchSize: 0
; MemoryBound: 0
; FloatMode: 240
; IeeeMode: 1
; LDSByteSize: 0 bytes/workgroup (compile time only)
; SGPRBlocks: 0
; VGPRBlocks: 0
; NumSGPRsForWavesPerEU: 1
; NumVGPRsForWavesPerEU: 1
; Occupancy: 16
; WaveLimiterHint : 0
; COMPUTE_PGM_RSRC2:SCRATCH_EN: 0
; COMPUTE_PGM_RSRC2:USER_SGPR: 15
; COMPUTE_PGM_RSRC2:TRAP_HANDLER: 0
; COMPUTE_PGM_RSRC2:TGID_X_EN: 1
; COMPUTE_PGM_RSRC2:TGID_Y_EN: 0
; COMPUTE_PGM_RSRC2:TGID_Z_EN: 0
; COMPUTE_PGM_RSRC2:TIDIG_COMP_CNT: 0
	.section	.text._ZN7rocprim17ROCPRIM_400000_NS6detail17trampoline_kernelINS0_14default_configENS1_29reduce_by_key_config_selectorIffN6thrust23THRUST_200600_302600_NS4plusIfEEEEZZNS1_33reduce_by_key_impl_wrapped_configILNS1_25lookback_scan_determinismE0ES3_S9_NS6_6detail15normal_iteratorINS6_10device_ptrIfEEEESG_SG_SG_PmS8_NS6_8equal_toIfEEEE10hipError_tPvRmT2_T3_mT4_T5_T6_T7_T8_P12ihipStream_tbENKUlT_T0_E_clISt17integral_constantIbLb0EES11_EEDaSW_SX_EUlSW_E_NS1_11comp_targetILNS1_3genE2ELNS1_11target_archE906ELNS1_3gpuE6ELNS1_3repE0EEENS1_30default_config_static_selectorELNS0_4arch9wavefront6targetE0EEEvT1_,"axG",@progbits,_ZN7rocprim17ROCPRIM_400000_NS6detail17trampoline_kernelINS0_14default_configENS1_29reduce_by_key_config_selectorIffN6thrust23THRUST_200600_302600_NS4plusIfEEEEZZNS1_33reduce_by_key_impl_wrapped_configILNS1_25lookback_scan_determinismE0ES3_S9_NS6_6detail15normal_iteratorINS6_10device_ptrIfEEEESG_SG_SG_PmS8_NS6_8equal_toIfEEEE10hipError_tPvRmT2_T3_mT4_T5_T6_T7_T8_P12ihipStream_tbENKUlT_T0_E_clISt17integral_constantIbLb0EES11_EEDaSW_SX_EUlSW_E_NS1_11comp_targetILNS1_3genE2ELNS1_11target_archE906ELNS1_3gpuE6ELNS1_3repE0EEENS1_30default_config_static_selectorELNS0_4arch9wavefront6targetE0EEEvT1_,comdat
	.protected	_ZN7rocprim17ROCPRIM_400000_NS6detail17trampoline_kernelINS0_14default_configENS1_29reduce_by_key_config_selectorIffN6thrust23THRUST_200600_302600_NS4plusIfEEEEZZNS1_33reduce_by_key_impl_wrapped_configILNS1_25lookback_scan_determinismE0ES3_S9_NS6_6detail15normal_iteratorINS6_10device_ptrIfEEEESG_SG_SG_PmS8_NS6_8equal_toIfEEEE10hipError_tPvRmT2_T3_mT4_T5_T6_T7_T8_P12ihipStream_tbENKUlT_T0_E_clISt17integral_constantIbLb0EES11_EEDaSW_SX_EUlSW_E_NS1_11comp_targetILNS1_3genE2ELNS1_11target_archE906ELNS1_3gpuE6ELNS1_3repE0EEENS1_30default_config_static_selectorELNS0_4arch9wavefront6targetE0EEEvT1_ ; -- Begin function _ZN7rocprim17ROCPRIM_400000_NS6detail17trampoline_kernelINS0_14default_configENS1_29reduce_by_key_config_selectorIffN6thrust23THRUST_200600_302600_NS4plusIfEEEEZZNS1_33reduce_by_key_impl_wrapped_configILNS1_25lookback_scan_determinismE0ES3_S9_NS6_6detail15normal_iteratorINS6_10device_ptrIfEEEESG_SG_SG_PmS8_NS6_8equal_toIfEEEE10hipError_tPvRmT2_T3_mT4_T5_T6_T7_T8_P12ihipStream_tbENKUlT_T0_E_clISt17integral_constantIbLb0EES11_EEDaSW_SX_EUlSW_E_NS1_11comp_targetILNS1_3genE2ELNS1_11target_archE906ELNS1_3gpuE6ELNS1_3repE0EEENS1_30default_config_static_selectorELNS0_4arch9wavefront6targetE0EEEvT1_
	.globl	_ZN7rocprim17ROCPRIM_400000_NS6detail17trampoline_kernelINS0_14default_configENS1_29reduce_by_key_config_selectorIffN6thrust23THRUST_200600_302600_NS4plusIfEEEEZZNS1_33reduce_by_key_impl_wrapped_configILNS1_25lookback_scan_determinismE0ES3_S9_NS6_6detail15normal_iteratorINS6_10device_ptrIfEEEESG_SG_SG_PmS8_NS6_8equal_toIfEEEE10hipError_tPvRmT2_T3_mT4_T5_T6_T7_T8_P12ihipStream_tbENKUlT_T0_E_clISt17integral_constantIbLb0EES11_EEDaSW_SX_EUlSW_E_NS1_11comp_targetILNS1_3genE2ELNS1_11target_archE906ELNS1_3gpuE6ELNS1_3repE0EEENS1_30default_config_static_selectorELNS0_4arch9wavefront6targetE0EEEvT1_
	.p2align	8
	.type	_ZN7rocprim17ROCPRIM_400000_NS6detail17trampoline_kernelINS0_14default_configENS1_29reduce_by_key_config_selectorIffN6thrust23THRUST_200600_302600_NS4plusIfEEEEZZNS1_33reduce_by_key_impl_wrapped_configILNS1_25lookback_scan_determinismE0ES3_S9_NS6_6detail15normal_iteratorINS6_10device_ptrIfEEEESG_SG_SG_PmS8_NS6_8equal_toIfEEEE10hipError_tPvRmT2_T3_mT4_T5_T6_T7_T8_P12ihipStream_tbENKUlT_T0_E_clISt17integral_constantIbLb0EES11_EEDaSW_SX_EUlSW_E_NS1_11comp_targetILNS1_3genE2ELNS1_11target_archE906ELNS1_3gpuE6ELNS1_3repE0EEENS1_30default_config_static_selectorELNS0_4arch9wavefront6targetE0EEEvT1_,@function
_ZN7rocprim17ROCPRIM_400000_NS6detail17trampoline_kernelINS0_14default_configENS1_29reduce_by_key_config_selectorIffN6thrust23THRUST_200600_302600_NS4plusIfEEEEZZNS1_33reduce_by_key_impl_wrapped_configILNS1_25lookback_scan_determinismE0ES3_S9_NS6_6detail15normal_iteratorINS6_10device_ptrIfEEEESG_SG_SG_PmS8_NS6_8equal_toIfEEEE10hipError_tPvRmT2_T3_mT4_T5_T6_T7_T8_P12ihipStream_tbENKUlT_T0_E_clISt17integral_constantIbLb0EES11_EEDaSW_SX_EUlSW_E_NS1_11comp_targetILNS1_3genE2ELNS1_11target_archE906ELNS1_3gpuE6ELNS1_3repE0EEENS1_30default_config_static_selectorELNS0_4arch9wavefront6targetE0EEEvT1_: ; @_ZN7rocprim17ROCPRIM_400000_NS6detail17trampoline_kernelINS0_14default_configENS1_29reduce_by_key_config_selectorIffN6thrust23THRUST_200600_302600_NS4plusIfEEEEZZNS1_33reduce_by_key_impl_wrapped_configILNS1_25lookback_scan_determinismE0ES3_S9_NS6_6detail15normal_iteratorINS6_10device_ptrIfEEEESG_SG_SG_PmS8_NS6_8equal_toIfEEEE10hipError_tPvRmT2_T3_mT4_T5_T6_T7_T8_P12ihipStream_tbENKUlT_T0_E_clISt17integral_constantIbLb0EES11_EEDaSW_SX_EUlSW_E_NS1_11comp_targetILNS1_3genE2ELNS1_11target_archE906ELNS1_3gpuE6ELNS1_3repE0EEENS1_30default_config_static_selectorELNS0_4arch9wavefront6targetE0EEEvT1_
; %bb.0:
	.section	.rodata,"a",@progbits
	.p2align	6, 0x0
	.amdhsa_kernel _ZN7rocprim17ROCPRIM_400000_NS6detail17trampoline_kernelINS0_14default_configENS1_29reduce_by_key_config_selectorIffN6thrust23THRUST_200600_302600_NS4plusIfEEEEZZNS1_33reduce_by_key_impl_wrapped_configILNS1_25lookback_scan_determinismE0ES3_S9_NS6_6detail15normal_iteratorINS6_10device_ptrIfEEEESG_SG_SG_PmS8_NS6_8equal_toIfEEEE10hipError_tPvRmT2_T3_mT4_T5_T6_T7_T8_P12ihipStream_tbENKUlT_T0_E_clISt17integral_constantIbLb0EES11_EEDaSW_SX_EUlSW_E_NS1_11comp_targetILNS1_3genE2ELNS1_11target_archE906ELNS1_3gpuE6ELNS1_3repE0EEENS1_30default_config_static_selectorELNS0_4arch9wavefront6targetE0EEEvT1_
		.amdhsa_group_segment_fixed_size 0
		.amdhsa_private_segment_fixed_size 0
		.amdhsa_kernarg_size 120
		.amdhsa_user_sgpr_count 15
		.amdhsa_user_sgpr_dispatch_ptr 0
		.amdhsa_user_sgpr_queue_ptr 0
		.amdhsa_user_sgpr_kernarg_segment_ptr 1
		.amdhsa_user_sgpr_dispatch_id 0
		.amdhsa_user_sgpr_private_segment_size 0
		.amdhsa_wavefront_size32 1
		.amdhsa_uses_dynamic_stack 0
		.amdhsa_enable_private_segment 0
		.amdhsa_system_sgpr_workgroup_id_x 1
		.amdhsa_system_sgpr_workgroup_id_y 0
		.amdhsa_system_sgpr_workgroup_id_z 0
		.amdhsa_system_sgpr_workgroup_info 0
		.amdhsa_system_vgpr_workitem_id 0
		.amdhsa_next_free_vgpr 1
		.amdhsa_next_free_sgpr 1
		.amdhsa_reserve_vcc 0
		.amdhsa_float_round_mode_32 0
		.amdhsa_float_round_mode_16_64 0
		.amdhsa_float_denorm_mode_32 3
		.amdhsa_float_denorm_mode_16_64 3
		.amdhsa_dx10_clamp 1
		.amdhsa_ieee_mode 1
		.amdhsa_fp16_overflow 0
		.amdhsa_workgroup_processor_mode 1
		.amdhsa_memory_ordered 1
		.amdhsa_forward_progress 0
		.amdhsa_shared_vgpr_count 0
		.amdhsa_exception_fp_ieee_invalid_op 0
		.amdhsa_exception_fp_denorm_src 0
		.amdhsa_exception_fp_ieee_div_zero 0
		.amdhsa_exception_fp_ieee_overflow 0
		.amdhsa_exception_fp_ieee_underflow 0
		.amdhsa_exception_fp_ieee_inexact 0
		.amdhsa_exception_int_div_zero 0
	.end_amdhsa_kernel
	.section	.text._ZN7rocprim17ROCPRIM_400000_NS6detail17trampoline_kernelINS0_14default_configENS1_29reduce_by_key_config_selectorIffN6thrust23THRUST_200600_302600_NS4plusIfEEEEZZNS1_33reduce_by_key_impl_wrapped_configILNS1_25lookback_scan_determinismE0ES3_S9_NS6_6detail15normal_iteratorINS6_10device_ptrIfEEEESG_SG_SG_PmS8_NS6_8equal_toIfEEEE10hipError_tPvRmT2_T3_mT4_T5_T6_T7_T8_P12ihipStream_tbENKUlT_T0_E_clISt17integral_constantIbLb0EES11_EEDaSW_SX_EUlSW_E_NS1_11comp_targetILNS1_3genE2ELNS1_11target_archE906ELNS1_3gpuE6ELNS1_3repE0EEENS1_30default_config_static_selectorELNS0_4arch9wavefront6targetE0EEEvT1_,"axG",@progbits,_ZN7rocprim17ROCPRIM_400000_NS6detail17trampoline_kernelINS0_14default_configENS1_29reduce_by_key_config_selectorIffN6thrust23THRUST_200600_302600_NS4plusIfEEEEZZNS1_33reduce_by_key_impl_wrapped_configILNS1_25lookback_scan_determinismE0ES3_S9_NS6_6detail15normal_iteratorINS6_10device_ptrIfEEEESG_SG_SG_PmS8_NS6_8equal_toIfEEEE10hipError_tPvRmT2_T3_mT4_T5_T6_T7_T8_P12ihipStream_tbENKUlT_T0_E_clISt17integral_constantIbLb0EES11_EEDaSW_SX_EUlSW_E_NS1_11comp_targetILNS1_3genE2ELNS1_11target_archE906ELNS1_3gpuE6ELNS1_3repE0EEENS1_30default_config_static_selectorELNS0_4arch9wavefront6targetE0EEEvT1_,comdat
.Lfunc_end168:
	.size	_ZN7rocprim17ROCPRIM_400000_NS6detail17trampoline_kernelINS0_14default_configENS1_29reduce_by_key_config_selectorIffN6thrust23THRUST_200600_302600_NS4plusIfEEEEZZNS1_33reduce_by_key_impl_wrapped_configILNS1_25lookback_scan_determinismE0ES3_S9_NS6_6detail15normal_iteratorINS6_10device_ptrIfEEEESG_SG_SG_PmS8_NS6_8equal_toIfEEEE10hipError_tPvRmT2_T3_mT4_T5_T6_T7_T8_P12ihipStream_tbENKUlT_T0_E_clISt17integral_constantIbLb0EES11_EEDaSW_SX_EUlSW_E_NS1_11comp_targetILNS1_3genE2ELNS1_11target_archE906ELNS1_3gpuE6ELNS1_3repE0EEENS1_30default_config_static_selectorELNS0_4arch9wavefront6targetE0EEEvT1_, .Lfunc_end168-_ZN7rocprim17ROCPRIM_400000_NS6detail17trampoline_kernelINS0_14default_configENS1_29reduce_by_key_config_selectorIffN6thrust23THRUST_200600_302600_NS4plusIfEEEEZZNS1_33reduce_by_key_impl_wrapped_configILNS1_25lookback_scan_determinismE0ES3_S9_NS6_6detail15normal_iteratorINS6_10device_ptrIfEEEESG_SG_SG_PmS8_NS6_8equal_toIfEEEE10hipError_tPvRmT2_T3_mT4_T5_T6_T7_T8_P12ihipStream_tbENKUlT_T0_E_clISt17integral_constantIbLb0EES11_EEDaSW_SX_EUlSW_E_NS1_11comp_targetILNS1_3genE2ELNS1_11target_archE906ELNS1_3gpuE6ELNS1_3repE0EEENS1_30default_config_static_selectorELNS0_4arch9wavefront6targetE0EEEvT1_
                                        ; -- End function
	.section	.AMDGPU.csdata,"",@progbits
; Kernel info:
; codeLenInByte = 0
; NumSgprs: 0
; NumVgprs: 0
; ScratchSize: 0
; MemoryBound: 0
; FloatMode: 240
; IeeeMode: 1
; LDSByteSize: 0 bytes/workgroup (compile time only)
; SGPRBlocks: 0
; VGPRBlocks: 0
; NumSGPRsForWavesPerEU: 1
; NumVGPRsForWavesPerEU: 1
; Occupancy: 16
; WaveLimiterHint : 0
; COMPUTE_PGM_RSRC2:SCRATCH_EN: 0
; COMPUTE_PGM_RSRC2:USER_SGPR: 15
; COMPUTE_PGM_RSRC2:TRAP_HANDLER: 0
; COMPUTE_PGM_RSRC2:TGID_X_EN: 1
; COMPUTE_PGM_RSRC2:TGID_Y_EN: 0
; COMPUTE_PGM_RSRC2:TGID_Z_EN: 0
; COMPUTE_PGM_RSRC2:TIDIG_COMP_CNT: 0
	.section	.text._ZN7rocprim17ROCPRIM_400000_NS6detail17trampoline_kernelINS0_14default_configENS1_29reduce_by_key_config_selectorIffN6thrust23THRUST_200600_302600_NS4plusIfEEEEZZNS1_33reduce_by_key_impl_wrapped_configILNS1_25lookback_scan_determinismE0ES3_S9_NS6_6detail15normal_iteratorINS6_10device_ptrIfEEEESG_SG_SG_PmS8_NS6_8equal_toIfEEEE10hipError_tPvRmT2_T3_mT4_T5_T6_T7_T8_P12ihipStream_tbENKUlT_T0_E_clISt17integral_constantIbLb0EES11_EEDaSW_SX_EUlSW_E_NS1_11comp_targetILNS1_3genE10ELNS1_11target_archE1201ELNS1_3gpuE5ELNS1_3repE0EEENS1_30default_config_static_selectorELNS0_4arch9wavefront6targetE0EEEvT1_,"axG",@progbits,_ZN7rocprim17ROCPRIM_400000_NS6detail17trampoline_kernelINS0_14default_configENS1_29reduce_by_key_config_selectorIffN6thrust23THRUST_200600_302600_NS4plusIfEEEEZZNS1_33reduce_by_key_impl_wrapped_configILNS1_25lookback_scan_determinismE0ES3_S9_NS6_6detail15normal_iteratorINS6_10device_ptrIfEEEESG_SG_SG_PmS8_NS6_8equal_toIfEEEE10hipError_tPvRmT2_T3_mT4_T5_T6_T7_T8_P12ihipStream_tbENKUlT_T0_E_clISt17integral_constantIbLb0EES11_EEDaSW_SX_EUlSW_E_NS1_11comp_targetILNS1_3genE10ELNS1_11target_archE1201ELNS1_3gpuE5ELNS1_3repE0EEENS1_30default_config_static_selectorELNS0_4arch9wavefront6targetE0EEEvT1_,comdat
	.protected	_ZN7rocprim17ROCPRIM_400000_NS6detail17trampoline_kernelINS0_14default_configENS1_29reduce_by_key_config_selectorIffN6thrust23THRUST_200600_302600_NS4plusIfEEEEZZNS1_33reduce_by_key_impl_wrapped_configILNS1_25lookback_scan_determinismE0ES3_S9_NS6_6detail15normal_iteratorINS6_10device_ptrIfEEEESG_SG_SG_PmS8_NS6_8equal_toIfEEEE10hipError_tPvRmT2_T3_mT4_T5_T6_T7_T8_P12ihipStream_tbENKUlT_T0_E_clISt17integral_constantIbLb0EES11_EEDaSW_SX_EUlSW_E_NS1_11comp_targetILNS1_3genE10ELNS1_11target_archE1201ELNS1_3gpuE5ELNS1_3repE0EEENS1_30default_config_static_selectorELNS0_4arch9wavefront6targetE0EEEvT1_ ; -- Begin function _ZN7rocprim17ROCPRIM_400000_NS6detail17trampoline_kernelINS0_14default_configENS1_29reduce_by_key_config_selectorIffN6thrust23THRUST_200600_302600_NS4plusIfEEEEZZNS1_33reduce_by_key_impl_wrapped_configILNS1_25lookback_scan_determinismE0ES3_S9_NS6_6detail15normal_iteratorINS6_10device_ptrIfEEEESG_SG_SG_PmS8_NS6_8equal_toIfEEEE10hipError_tPvRmT2_T3_mT4_T5_T6_T7_T8_P12ihipStream_tbENKUlT_T0_E_clISt17integral_constantIbLb0EES11_EEDaSW_SX_EUlSW_E_NS1_11comp_targetILNS1_3genE10ELNS1_11target_archE1201ELNS1_3gpuE5ELNS1_3repE0EEENS1_30default_config_static_selectorELNS0_4arch9wavefront6targetE0EEEvT1_
	.globl	_ZN7rocprim17ROCPRIM_400000_NS6detail17trampoline_kernelINS0_14default_configENS1_29reduce_by_key_config_selectorIffN6thrust23THRUST_200600_302600_NS4plusIfEEEEZZNS1_33reduce_by_key_impl_wrapped_configILNS1_25lookback_scan_determinismE0ES3_S9_NS6_6detail15normal_iteratorINS6_10device_ptrIfEEEESG_SG_SG_PmS8_NS6_8equal_toIfEEEE10hipError_tPvRmT2_T3_mT4_T5_T6_T7_T8_P12ihipStream_tbENKUlT_T0_E_clISt17integral_constantIbLb0EES11_EEDaSW_SX_EUlSW_E_NS1_11comp_targetILNS1_3genE10ELNS1_11target_archE1201ELNS1_3gpuE5ELNS1_3repE0EEENS1_30default_config_static_selectorELNS0_4arch9wavefront6targetE0EEEvT1_
	.p2align	8
	.type	_ZN7rocprim17ROCPRIM_400000_NS6detail17trampoline_kernelINS0_14default_configENS1_29reduce_by_key_config_selectorIffN6thrust23THRUST_200600_302600_NS4plusIfEEEEZZNS1_33reduce_by_key_impl_wrapped_configILNS1_25lookback_scan_determinismE0ES3_S9_NS6_6detail15normal_iteratorINS6_10device_ptrIfEEEESG_SG_SG_PmS8_NS6_8equal_toIfEEEE10hipError_tPvRmT2_T3_mT4_T5_T6_T7_T8_P12ihipStream_tbENKUlT_T0_E_clISt17integral_constantIbLb0EES11_EEDaSW_SX_EUlSW_E_NS1_11comp_targetILNS1_3genE10ELNS1_11target_archE1201ELNS1_3gpuE5ELNS1_3repE0EEENS1_30default_config_static_selectorELNS0_4arch9wavefront6targetE0EEEvT1_,@function
_ZN7rocprim17ROCPRIM_400000_NS6detail17trampoline_kernelINS0_14default_configENS1_29reduce_by_key_config_selectorIffN6thrust23THRUST_200600_302600_NS4plusIfEEEEZZNS1_33reduce_by_key_impl_wrapped_configILNS1_25lookback_scan_determinismE0ES3_S9_NS6_6detail15normal_iteratorINS6_10device_ptrIfEEEESG_SG_SG_PmS8_NS6_8equal_toIfEEEE10hipError_tPvRmT2_T3_mT4_T5_T6_T7_T8_P12ihipStream_tbENKUlT_T0_E_clISt17integral_constantIbLb0EES11_EEDaSW_SX_EUlSW_E_NS1_11comp_targetILNS1_3genE10ELNS1_11target_archE1201ELNS1_3gpuE5ELNS1_3repE0EEENS1_30default_config_static_selectorELNS0_4arch9wavefront6targetE0EEEvT1_: ; @_ZN7rocprim17ROCPRIM_400000_NS6detail17trampoline_kernelINS0_14default_configENS1_29reduce_by_key_config_selectorIffN6thrust23THRUST_200600_302600_NS4plusIfEEEEZZNS1_33reduce_by_key_impl_wrapped_configILNS1_25lookback_scan_determinismE0ES3_S9_NS6_6detail15normal_iteratorINS6_10device_ptrIfEEEESG_SG_SG_PmS8_NS6_8equal_toIfEEEE10hipError_tPvRmT2_T3_mT4_T5_T6_T7_T8_P12ihipStream_tbENKUlT_T0_E_clISt17integral_constantIbLb0EES11_EEDaSW_SX_EUlSW_E_NS1_11comp_targetILNS1_3genE10ELNS1_11target_archE1201ELNS1_3gpuE5ELNS1_3repE0EEENS1_30default_config_static_selectorELNS0_4arch9wavefront6targetE0EEEvT1_
; %bb.0:
	.section	.rodata,"a",@progbits
	.p2align	6, 0x0
	.amdhsa_kernel _ZN7rocprim17ROCPRIM_400000_NS6detail17trampoline_kernelINS0_14default_configENS1_29reduce_by_key_config_selectorIffN6thrust23THRUST_200600_302600_NS4plusIfEEEEZZNS1_33reduce_by_key_impl_wrapped_configILNS1_25lookback_scan_determinismE0ES3_S9_NS6_6detail15normal_iteratorINS6_10device_ptrIfEEEESG_SG_SG_PmS8_NS6_8equal_toIfEEEE10hipError_tPvRmT2_T3_mT4_T5_T6_T7_T8_P12ihipStream_tbENKUlT_T0_E_clISt17integral_constantIbLb0EES11_EEDaSW_SX_EUlSW_E_NS1_11comp_targetILNS1_3genE10ELNS1_11target_archE1201ELNS1_3gpuE5ELNS1_3repE0EEENS1_30default_config_static_selectorELNS0_4arch9wavefront6targetE0EEEvT1_
		.amdhsa_group_segment_fixed_size 0
		.amdhsa_private_segment_fixed_size 0
		.amdhsa_kernarg_size 120
		.amdhsa_user_sgpr_count 15
		.amdhsa_user_sgpr_dispatch_ptr 0
		.amdhsa_user_sgpr_queue_ptr 0
		.amdhsa_user_sgpr_kernarg_segment_ptr 1
		.amdhsa_user_sgpr_dispatch_id 0
		.amdhsa_user_sgpr_private_segment_size 0
		.amdhsa_wavefront_size32 1
		.amdhsa_uses_dynamic_stack 0
		.amdhsa_enable_private_segment 0
		.amdhsa_system_sgpr_workgroup_id_x 1
		.amdhsa_system_sgpr_workgroup_id_y 0
		.amdhsa_system_sgpr_workgroup_id_z 0
		.amdhsa_system_sgpr_workgroup_info 0
		.amdhsa_system_vgpr_workitem_id 0
		.amdhsa_next_free_vgpr 1
		.amdhsa_next_free_sgpr 1
		.amdhsa_reserve_vcc 0
		.amdhsa_float_round_mode_32 0
		.amdhsa_float_round_mode_16_64 0
		.amdhsa_float_denorm_mode_32 3
		.amdhsa_float_denorm_mode_16_64 3
		.amdhsa_dx10_clamp 1
		.amdhsa_ieee_mode 1
		.amdhsa_fp16_overflow 0
		.amdhsa_workgroup_processor_mode 1
		.amdhsa_memory_ordered 1
		.amdhsa_forward_progress 0
		.amdhsa_shared_vgpr_count 0
		.amdhsa_exception_fp_ieee_invalid_op 0
		.amdhsa_exception_fp_denorm_src 0
		.amdhsa_exception_fp_ieee_div_zero 0
		.amdhsa_exception_fp_ieee_overflow 0
		.amdhsa_exception_fp_ieee_underflow 0
		.amdhsa_exception_fp_ieee_inexact 0
		.amdhsa_exception_int_div_zero 0
	.end_amdhsa_kernel
	.section	.text._ZN7rocprim17ROCPRIM_400000_NS6detail17trampoline_kernelINS0_14default_configENS1_29reduce_by_key_config_selectorIffN6thrust23THRUST_200600_302600_NS4plusIfEEEEZZNS1_33reduce_by_key_impl_wrapped_configILNS1_25lookback_scan_determinismE0ES3_S9_NS6_6detail15normal_iteratorINS6_10device_ptrIfEEEESG_SG_SG_PmS8_NS6_8equal_toIfEEEE10hipError_tPvRmT2_T3_mT4_T5_T6_T7_T8_P12ihipStream_tbENKUlT_T0_E_clISt17integral_constantIbLb0EES11_EEDaSW_SX_EUlSW_E_NS1_11comp_targetILNS1_3genE10ELNS1_11target_archE1201ELNS1_3gpuE5ELNS1_3repE0EEENS1_30default_config_static_selectorELNS0_4arch9wavefront6targetE0EEEvT1_,"axG",@progbits,_ZN7rocprim17ROCPRIM_400000_NS6detail17trampoline_kernelINS0_14default_configENS1_29reduce_by_key_config_selectorIffN6thrust23THRUST_200600_302600_NS4plusIfEEEEZZNS1_33reduce_by_key_impl_wrapped_configILNS1_25lookback_scan_determinismE0ES3_S9_NS6_6detail15normal_iteratorINS6_10device_ptrIfEEEESG_SG_SG_PmS8_NS6_8equal_toIfEEEE10hipError_tPvRmT2_T3_mT4_T5_T6_T7_T8_P12ihipStream_tbENKUlT_T0_E_clISt17integral_constantIbLb0EES11_EEDaSW_SX_EUlSW_E_NS1_11comp_targetILNS1_3genE10ELNS1_11target_archE1201ELNS1_3gpuE5ELNS1_3repE0EEENS1_30default_config_static_selectorELNS0_4arch9wavefront6targetE0EEEvT1_,comdat
.Lfunc_end169:
	.size	_ZN7rocprim17ROCPRIM_400000_NS6detail17trampoline_kernelINS0_14default_configENS1_29reduce_by_key_config_selectorIffN6thrust23THRUST_200600_302600_NS4plusIfEEEEZZNS1_33reduce_by_key_impl_wrapped_configILNS1_25lookback_scan_determinismE0ES3_S9_NS6_6detail15normal_iteratorINS6_10device_ptrIfEEEESG_SG_SG_PmS8_NS6_8equal_toIfEEEE10hipError_tPvRmT2_T3_mT4_T5_T6_T7_T8_P12ihipStream_tbENKUlT_T0_E_clISt17integral_constantIbLb0EES11_EEDaSW_SX_EUlSW_E_NS1_11comp_targetILNS1_3genE10ELNS1_11target_archE1201ELNS1_3gpuE5ELNS1_3repE0EEENS1_30default_config_static_selectorELNS0_4arch9wavefront6targetE0EEEvT1_, .Lfunc_end169-_ZN7rocprim17ROCPRIM_400000_NS6detail17trampoline_kernelINS0_14default_configENS1_29reduce_by_key_config_selectorIffN6thrust23THRUST_200600_302600_NS4plusIfEEEEZZNS1_33reduce_by_key_impl_wrapped_configILNS1_25lookback_scan_determinismE0ES3_S9_NS6_6detail15normal_iteratorINS6_10device_ptrIfEEEESG_SG_SG_PmS8_NS6_8equal_toIfEEEE10hipError_tPvRmT2_T3_mT4_T5_T6_T7_T8_P12ihipStream_tbENKUlT_T0_E_clISt17integral_constantIbLb0EES11_EEDaSW_SX_EUlSW_E_NS1_11comp_targetILNS1_3genE10ELNS1_11target_archE1201ELNS1_3gpuE5ELNS1_3repE0EEENS1_30default_config_static_selectorELNS0_4arch9wavefront6targetE0EEEvT1_
                                        ; -- End function
	.section	.AMDGPU.csdata,"",@progbits
; Kernel info:
; codeLenInByte = 0
; NumSgprs: 0
; NumVgprs: 0
; ScratchSize: 0
; MemoryBound: 0
; FloatMode: 240
; IeeeMode: 1
; LDSByteSize: 0 bytes/workgroup (compile time only)
; SGPRBlocks: 0
; VGPRBlocks: 0
; NumSGPRsForWavesPerEU: 1
; NumVGPRsForWavesPerEU: 1
; Occupancy: 16
; WaveLimiterHint : 0
; COMPUTE_PGM_RSRC2:SCRATCH_EN: 0
; COMPUTE_PGM_RSRC2:USER_SGPR: 15
; COMPUTE_PGM_RSRC2:TRAP_HANDLER: 0
; COMPUTE_PGM_RSRC2:TGID_X_EN: 1
; COMPUTE_PGM_RSRC2:TGID_Y_EN: 0
; COMPUTE_PGM_RSRC2:TGID_Z_EN: 0
; COMPUTE_PGM_RSRC2:TIDIG_COMP_CNT: 0
	.section	.text._ZN7rocprim17ROCPRIM_400000_NS6detail17trampoline_kernelINS0_14default_configENS1_29reduce_by_key_config_selectorIffN6thrust23THRUST_200600_302600_NS4plusIfEEEEZZNS1_33reduce_by_key_impl_wrapped_configILNS1_25lookback_scan_determinismE0ES3_S9_NS6_6detail15normal_iteratorINS6_10device_ptrIfEEEESG_SG_SG_PmS8_NS6_8equal_toIfEEEE10hipError_tPvRmT2_T3_mT4_T5_T6_T7_T8_P12ihipStream_tbENKUlT_T0_E_clISt17integral_constantIbLb0EES11_EEDaSW_SX_EUlSW_E_NS1_11comp_targetILNS1_3genE10ELNS1_11target_archE1200ELNS1_3gpuE4ELNS1_3repE0EEENS1_30default_config_static_selectorELNS0_4arch9wavefront6targetE0EEEvT1_,"axG",@progbits,_ZN7rocprim17ROCPRIM_400000_NS6detail17trampoline_kernelINS0_14default_configENS1_29reduce_by_key_config_selectorIffN6thrust23THRUST_200600_302600_NS4plusIfEEEEZZNS1_33reduce_by_key_impl_wrapped_configILNS1_25lookback_scan_determinismE0ES3_S9_NS6_6detail15normal_iteratorINS6_10device_ptrIfEEEESG_SG_SG_PmS8_NS6_8equal_toIfEEEE10hipError_tPvRmT2_T3_mT4_T5_T6_T7_T8_P12ihipStream_tbENKUlT_T0_E_clISt17integral_constantIbLb0EES11_EEDaSW_SX_EUlSW_E_NS1_11comp_targetILNS1_3genE10ELNS1_11target_archE1200ELNS1_3gpuE4ELNS1_3repE0EEENS1_30default_config_static_selectorELNS0_4arch9wavefront6targetE0EEEvT1_,comdat
	.protected	_ZN7rocprim17ROCPRIM_400000_NS6detail17trampoline_kernelINS0_14default_configENS1_29reduce_by_key_config_selectorIffN6thrust23THRUST_200600_302600_NS4plusIfEEEEZZNS1_33reduce_by_key_impl_wrapped_configILNS1_25lookback_scan_determinismE0ES3_S9_NS6_6detail15normal_iteratorINS6_10device_ptrIfEEEESG_SG_SG_PmS8_NS6_8equal_toIfEEEE10hipError_tPvRmT2_T3_mT4_T5_T6_T7_T8_P12ihipStream_tbENKUlT_T0_E_clISt17integral_constantIbLb0EES11_EEDaSW_SX_EUlSW_E_NS1_11comp_targetILNS1_3genE10ELNS1_11target_archE1200ELNS1_3gpuE4ELNS1_3repE0EEENS1_30default_config_static_selectorELNS0_4arch9wavefront6targetE0EEEvT1_ ; -- Begin function _ZN7rocprim17ROCPRIM_400000_NS6detail17trampoline_kernelINS0_14default_configENS1_29reduce_by_key_config_selectorIffN6thrust23THRUST_200600_302600_NS4plusIfEEEEZZNS1_33reduce_by_key_impl_wrapped_configILNS1_25lookback_scan_determinismE0ES3_S9_NS6_6detail15normal_iteratorINS6_10device_ptrIfEEEESG_SG_SG_PmS8_NS6_8equal_toIfEEEE10hipError_tPvRmT2_T3_mT4_T5_T6_T7_T8_P12ihipStream_tbENKUlT_T0_E_clISt17integral_constantIbLb0EES11_EEDaSW_SX_EUlSW_E_NS1_11comp_targetILNS1_3genE10ELNS1_11target_archE1200ELNS1_3gpuE4ELNS1_3repE0EEENS1_30default_config_static_selectorELNS0_4arch9wavefront6targetE0EEEvT1_
	.globl	_ZN7rocprim17ROCPRIM_400000_NS6detail17trampoline_kernelINS0_14default_configENS1_29reduce_by_key_config_selectorIffN6thrust23THRUST_200600_302600_NS4plusIfEEEEZZNS1_33reduce_by_key_impl_wrapped_configILNS1_25lookback_scan_determinismE0ES3_S9_NS6_6detail15normal_iteratorINS6_10device_ptrIfEEEESG_SG_SG_PmS8_NS6_8equal_toIfEEEE10hipError_tPvRmT2_T3_mT4_T5_T6_T7_T8_P12ihipStream_tbENKUlT_T0_E_clISt17integral_constantIbLb0EES11_EEDaSW_SX_EUlSW_E_NS1_11comp_targetILNS1_3genE10ELNS1_11target_archE1200ELNS1_3gpuE4ELNS1_3repE0EEENS1_30default_config_static_selectorELNS0_4arch9wavefront6targetE0EEEvT1_
	.p2align	8
	.type	_ZN7rocprim17ROCPRIM_400000_NS6detail17trampoline_kernelINS0_14default_configENS1_29reduce_by_key_config_selectorIffN6thrust23THRUST_200600_302600_NS4plusIfEEEEZZNS1_33reduce_by_key_impl_wrapped_configILNS1_25lookback_scan_determinismE0ES3_S9_NS6_6detail15normal_iteratorINS6_10device_ptrIfEEEESG_SG_SG_PmS8_NS6_8equal_toIfEEEE10hipError_tPvRmT2_T3_mT4_T5_T6_T7_T8_P12ihipStream_tbENKUlT_T0_E_clISt17integral_constantIbLb0EES11_EEDaSW_SX_EUlSW_E_NS1_11comp_targetILNS1_3genE10ELNS1_11target_archE1200ELNS1_3gpuE4ELNS1_3repE0EEENS1_30default_config_static_selectorELNS0_4arch9wavefront6targetE0EEEvT1_,@function
_ZN7rocprim17ROCPRIM_400000_NS6detail17trampoline_kernelINS0_14default_configENS1_29reduce_by_key_config_selectorIffN6thrust23THRUST_200600_302600_NS4plusIfEEEEZZNS1_33reduce_by_key_impl_wrapped_configILNS1_25lookback_scan_determinismE0ES3_S9_NS6_6detail15normal_iteratorINS6_10device_ptrIfEEEESG_SG_SG_PmS8_NS6_8equal_toIfEEEE10hipError_tPvRmT2_T3_mT4_T5_T6_T7_T8_P12ihipStream_tbENKUlT_T0_E_clISt17integral_constantIbLb0EES11_EEDaSW_SX_EUlSW_E_NS1_11comp_targetILNS1_3genE10ELNS1_11target_archE1200ELNS1_3gpuE4ELNS1_3repE0EEENS1_30default_config_static_selectorELNS0_4arch9wavefront6targetE0EEEvT1_: ; @_ZN7rocprim17ROCPRIM_400000_NS6detail17trampoline_kernelINS0_14default_configENS1_29reduce_by_key_config_selectorIffN6thrust23THRUST_200600_302600_NS4plusIfEEEEZZNS1_33reduce_by_key_impl_wrapped_configILNS1_25lookback_scan_determinismE0ES3_S9_NS6_6detail15normal_iteratorINS6_10device_ptrIfEEEESG_SG_SG_PmS8_NS6_8equal_toIfEEEE10hipError_tPvRmT2_T3_mT4_T5_T6_T7_T8_P12ihipStream_tbENKUlT_T0_E_clISt17integral_constantIbLb0EES11_EEDaSW_SX_EUlSW_E_NS1_11comp_targetILNS1_3genE10ELNS1_11target_archE1200ELNS1_3gpuE4ELNS1_3repE0EEENS1_30default_config_static_selectorELNS0_4arch9wavefront6targetE0EEEvT1_
; %bb.0:
	.section	.rodata,"a",@progbits
	.p2align	6, 0x0
	.amdhsa_kernel _ZN7rocprim17ROCPRIM_400000_NS6detail17trampoline_kernelINS0_14default_configENS1_29reduce_by_key_config_selectorIffN6thrust23THRUST_200600_302600_NS4plusIfEEEEZZNS1_33reduce_by_key_impl_wrapped_configILNS1_25lookback_scan_determinismE0ES3_S9_NS6_6detail15normal_iteratorINS6_10device_ptrIfEEEESG_SG_SG_PmS8_NS6_8equal_toIfEEEE10hipError_tPvRmT2_T3_mT4_T5_T6_T7_T8_P12ihipStream_tbENKUlT_T0_E_clISt17integral_constantIbLb0EES11_EEDaSW_SX_EUlSW_E_NS1_11comp_targetILNS1_3genE10ELNS1_11target_archE1200ELNS1_3gpuE4ELNS1_3repE0EEENS1_30default_config_static_selectorELNS0_4arch9wavefront6targetE0EEEvT1_
		.amdhsa_group_segment_fixed_size 0
		.amdhsa_private_segment_fixed_size 0
		.amdhsa_kernarg_size 120
		.amdhsa_user_sgpr_count 15
		.amdhsa_user_sgpr_dispatch_ptr 0
		.amdhsa_user_sgpr_queue_ptr 0
		.amdhsa_user_sgpr_kernarg_segment_ptr 1
		.amdhsa_user_sgpr_dispatch_id 0
		.amdhsa_user_sgpr_private_segment_size 0
		.amdhsa_wavefront_size32 1
		.amdhsa_uses_dynamic_stack 0
		.amdhsa_enable_private_segment 0
		.amdhsa_system_sgpr_workgroup_id_x 1
		.amdhsa_system_sgpr_workgroup_id_y 0
		.amdhsa_system_sgpr_workgroup_id_z 0
		.amdhsa_system_sgpr_workgroup_info 0
		.amdhsa_system_vgpr_workitem_id 0
		.amdhsa_next_free_vgpr 1
		.amdhsa_next_free_sgpr 1
		.amdhsa_reserve_vcc 0
		.amdhsa_float_round_mode_32 0
		.amdhsa_float_round_mode_16_64 0
		.amdhsa_float_denorm_mode_32 3
		.amdhsa_float_denorm_mode_16_64 3
		.amdhsa_dx10_clamp 1
		.amdhsa_ieee_mode 1
		.amdhsa_fp16_overflow 0
		.amdhsa_workgroup_processor_mode 1
		.amdhsa_memory_ordered 1
		.amdhsa_forward_progress 0
		.amdhsa_shared_vgpr_count 0
		.amdhsa_exception_fp_ieee_invalid_op 0
		.amdhsa_exception_fp_denorm_src 0
		.amdhsa_exception_fp_ieee_div_zero 0
		.amdhsa_exception_fp_ieee_overflow 0
		.amdhsa_exception_fp_ieee_underflow 0
		.amdhsa_exception_fp_ieee_inexact 0
		.amdhsa_exception_int_div_zero 0
	.end_amdhsa_kernel
	.section	.text._ZN7rocprim17ROCPRIM_400000_NS6detail17trampoline_kernelINS0_14default_configENS1_29reduce_by_key_config_selectorIffN6thrust23THRUST_200600_302600_NS4plusIfEEEEZZNS1_33reduce_by_key_impl_wrapped_configILNS1_25lookback_scan_determinismE0ES3_S9_NS6_6detail15normal_iteratorINS6_10device_ptrIfEEEESG_SG_SG_PmS8_NS6_8equal_toIfEEEE10hipError_tPvRmT2_T3_mT4_T5_T6_T7_T8_P12ihipStream_tbENKUlT_T0_E_clISt17integral_constantIbLb0EES11_EEDaSW_SX_EUlSW_E_NS1_11comp_targetILNS1_3genE10ELNS1_11target_archE1200ELNS1_3gpuE4ELNS1_3repE0EEENS1_30default_config_static_selectorELNS0_4arch9wavefront6targetE0EEEvT1_,"axG",@progbits,_ZN7rocprim17ROCPRIM_400000_NS6detail17trampoline_kernelINS0_14default_configENS1_29reduce_by_key_config_selectorIffN6thrust23THRUST_200600_302600_NS4plusIfEEEEZZNS1_33reduce_by_key_impl_wrapped_configILNS1_25lookback_scan_determinismE0ES3_S9_NS6_6detail15normal_iteratorINS6_10device_ptrIfEEEESG_SG_SG_PmS8_NS6_8equal_toIfEEEE10hipError_tPvRmT2_T3_mT4_T5_T6_T7_T8_P12ihipStream_tbENKUlT_T0_E_clISt17integral_constantIbLb0EES11_EEDaSW_SX_EUlSW_E_NS1_11comp_targetILNS1_3genE10ELNS1_11target_archE1200ELNS1_3gpuE4ELNS1_3repE0EEENS1_30default_config_static_selectorELNS0_4arch9wavefront6targetE0EEEvT1_,comdat
.Lfunc_end170:
	.size	_ZN7rocprim17ROCPRIM_400000_NS6detail17trampoline_kernelINS0_14default_configENS1_29reduce_by_key_config_selectorIffN6thrust23THRUST_200600_302600_NS4plusIfEEEEZZNS1_33reduce_by_key_impl_wrapped_configILNS1_25lookback_scan_determinismE0ES3_S9_NS6_6detail15normal_iteratorINS6_10device_ptrIfEEEESG_SG_SG_PmS8_NS6_8equal_toIfEEEE10hipError_tPvRmT2_T3_mT4_T5_T6_T7_T8_P12ihipStream_tbENKUlT_T0_E_clISt17integral_constantIbLb0EES11_EEDaSW_SX_EUlSW_E_NS1_11comp_targetILNS1_3genE10ELNS1_11target_archE1200ELNS1_3gpuE4ELNS1_3repE0EEENS1_30default_config_static_selectorELNS0_4arch9wavefront6targetE0EEEvT1_, .Lfunc_end170-_ZN7rocprim17ROCPRIM_400000_NS6detail17trampoline_kernelINS0_14default_configENS1_29reduce_by_key_config_selectorIffN6thrust23THRUST_200600_302600_NS4plusIfEEEEZZNS1_33reduce_by_key_impl_wrapped_configILNS1_25lookback_scan_determinismE0ES3_S9_NS6_6detail15normal_iteratorINS6_10device_ptrIfEEEESG_SG_SG_PmS8_NS6_8equal_toIfEEEE10hipError_tPvRmT2_T3_mT4_T5_T6_T7_T8_P12ihipStream_tbENKUlT_T0_E_clISt17integral_constantIbLb0EES11_EEDaSW_SX_EUlSW_E_NS1_11comp_targetILNS1_3genE10ELNS1_11target_archE1200ELNS1_3gpuE4ELNS1_3repE0EEENS1_30default_config_static_selectorELNS0_4arch9wavefront6targetE0EEEvT1_
                                        ; -- End function
	.section	.AMDGPU.csdata,"",@progbits
; Kernel info:
; codeLenInByte = 0
; NumSgprs: 0
; NumVgprs: 0
; ScratchSize: 0
; MemoryBound: 0
; FloatMode: 240
; IeeeMode: 1
; LDSByteSize: 0 bytes/workgroup (compile time only)
; SGPRBlocks: 0
; VGPRBlocks: 0
; NumSGPRsForWavesPerEU: 1
; NumVGPRsForWavesPerEU: 1
; Occupancy: 16
; WaveLimiterHint : 0
; COMPUTE_PGM_RSRC2:SCRATCH_EN: 0
; COMPUTE_PGM_RSRC2:USER_SGPR: 15
; COMPUTE_PGM_RSRC2:TRAP_HANDLER: 0
; COMPUTE_PGM_RSRC2:TGID_X_EN: 1
; COMPUTE_PGM_RSRC2:TGID_Y_EN: 0
; COMPUTE_PGM_RSRC2:TGID_Z_EN: 0
; COMPUTE_PGM_RSRC2:TIDIG_COMP_CNT: 0
	.section	.text._ZN7rocprim17ROCPRIM_400000_NS6detail17trampoline_kernelINS0_14default_configENS1_29reduce_by_key_config_selectorIffN6thrust23THRUST_200600_302600_NS4plusIfEEEEZZNS1_33reduce_by_key_impl_wrapped_configILNS1_25lookback_scan_determinismE0ES3_S9_NS6_6detail15normal_iteratorINS6_10device_ptrIfEEEESG_SG_SG_PmS8_NS6_8equal_toIfEEEE10hipError_tPvRmT2_T3_mT4_T5_T6_T7_T8_P12ihipStream_tbENKUlT_T0_E_clISt17integral_constantIbLb0EES11_EEDaSW_SX_EUlSW_E_NS1_11comp_targetILNS1_3genE9ELNS1_11target_archE1100ELNS1_3gpuE3ELNS1_3repE0EEENS1_30default_config_static_selectorELNS0_4arch9wavefront6targetE0EEEvT1_,"axG",@progbits,_ZN7rocprim17ROCPRIM_400000_NS6detail17trampoline_kernelINS0_14default_configENS1_29reduce_by_key_config_selectorIffN6thrust23THRUST_200600_302600_NS4plusIfEEEEZZNS1_33reduce_by_key_impl_wrapped_configILNS1_25lookback_scan_determinismE0ES3_S9_NS6_6detail15normal_iteratorINS6_10device_ptrIfEEEESG_SG_SG_PmS8_NS6_8equal_toIfEEEE10hipError_tPvRmT2_T3_mT4_T5_T6_T7_T8_P12ihipStream_tbENKUlT_T0_E_clISt17integral_constantIbLb0EES11_EEDaSW_SX_EUlSW_E_NS1_11comp_targetILNS1_3genE9ELNS1_11target_archE1100ELNS1_3gpuE3ELNS1_3repE0EEENS1_30default_config_static_selectorELNS0_4arch9wavefront6targetE0EEEvT1_,comdat
	.protected	_ZN7rocprim17ROCPRIM_400000_NS6detail17trampoline_kernelINS0_14default_configENS1_29reduce_by_key_config_selectorIffN6thrust23THRUST_200600_302600_NS4plusIfEEEEZZNS1_33reduce_by_key_impl_wrapped_configILNS1_25lookback_scan_determinismE0ES3_S9_NS6_6detail15normal_iteratorINS6_10device_ptrIfEEEESG_SG_SG_PmS8_NS6_8equal_toIfEEEE10hipError_tPvRmT2_T3_mT4_T5_T6_T7_T8_P12ihipStream_tbENKUlT_T0_E_clISt17integral_constantIbLb0EES11_EEDaSW_SX_EUlSW_E_NS1_11comp_targetILNS1_3genE9ELNS1_11target_archE1100ELNS1_3gpuE3ELNS1_3repE0EEENS1_30default_config_static_selectorELNS0_4arch9wavefront6targetE0EEEvT1_ ; -- Begin function _ZN7rocprim17ROCPRIM_400000_NS6detail17trampoline_kernelINS0_14default_configENS1_29reduce_by_key_config_selectorIffN6thrust23THRUST_200600_302600_NS4plusIfEEEEZZNS1_33reduce_by_key_impl_wrapped_configILNS1_25lookback_scan_determinismE0ES3_S9_NS6_6detail15normal_iteratorINS6_10device_ptrIfEEEESG_SG_SG_PmS8_NS6_8equal_toIfEEEE10hipError_tPvRmT2_T3_mT4_T5_T6_T7_T8_P12ihipStream_tbENKUlT_T0_E_clISt17integral_constantIbLb0EES11_EEDaSW_SX_EUlSW_E_NS1_11comp_targetILNS1_3genE9ELNS1_11target_archE1100ELNS1_3gpuE3ELNS1_3repE0EEENS1_30default_config_static_selectorELNS0_4arch9wavefront6targetE0EEEvT1_
	.globl	_ZN7rocprim17ROCPRIM_400000_NS6detail17trampoline_kernelINS0_14default_configENS1_29reduce_by_key_config_selectorIffN6thrust23THRUST_200600_302600_NS4plusIfEEEEZZNS1_33reduce_by_key_impl_wrapped_configILNS1_25lookback_scan_determinismE0ES3_S9_NS6_6detail15normal_iteratorINS6_10device_ptrIfEEEESG_SG_SG_PmS8_NS6_8equal_toIfEEEE10hipError_tPvRmT2_T3_mT4_T5_T6_T7_T8_P12ihipStream_tbENKUlT_T0_E_clISt17integral_constantIbLb0EES11_EEDaSW_SX_EUlSW_E_NS1_11comp_targetILNS1_3genE9ELNS1_11target_archE1100ELNS1_3gpuE3ELNS1_3repE0EEENS1_30default_config_static_selectorELNS0_4arch9wavefront6targetE0EEEvT1_
	.p2align	8
	.type	_ZN7rocprim17ROCPRIM_400000_NS6detail17trampoline_kernelINS0_14default_configENS1_29reduce_by_key_config_selectorIffN6thrust23THRUST_200600_302600_NS4plusIfEEEEZZNS1_33reduce_by_key_impl_wrapped_configILNS1_25lookback_scan_determinismE0ES3_S9_NS6_6detail15normal_iteratorINS6_10device_ptrIfEEEESG_SG_SG_PmS8_NS6_8equal_toIfEEEE10hipError_tPvRmT2_T3_mT4_T5_T6_T7_T8_P12ihipStream_tbENKUlT_T0_E_clISt17integral_constantIbLb0EES11_EEDaSW_SX_EUlSW_E_NS1_11comp_targetILNS1_3genE9ELNS1_11target_archE1100ELNS1_3gpuE3ELNS1_3repE0EEENS1_30default_config_static_selectorELNS0_4arch9wavefront6targetE0EEEvT1_,@function
_ZN7rocprim17ROCPRIM_400000_NS6detail17trampoline_kernelINS0_14default_configENS1_29reduce_by_key_config_selectorIffN6thrust23THRUST_200600_302600_NS4plusIfEEEEZZNS1_33reduce_by_key_impl_wrapped_configILNS1_25lookback_scan_determinismE0ES3_S9_NS6_6detail15normal_iteratorINS6_10device_ptrIfEEEESG_SG_SG_PmS8_NS6_8equal_toIfEEEE10hipError_tPvRmT2_T3_mT4_T5_T6_T7_T8_P12ihipStream_tbENKUlT_T0_E_clISt17integral_constantIbLb0EES11_EEDaSW_SX_EUlSW_E_NS1_11comp_targetILNS1_3genE9ELNS1_11target_archE1100ELNS1_3gpuE3ELNS1_3repE0EEENS1_30default_config_static_selectorELNS0_4arch9wavefront6targetE0EEEvT1_: ; @_ZN7rocprim17ROCPRIM_400000_NS6detail17trampoline_kernelINS0_14default_configENS1_29reduce_by_key_config_selectorIffN6thrust23THRUST_200600_302600_NS4plusIfEEEEZZNS1_33reduce_by_key_impl_wrapped_configILNS1_25lookback_scan_determinismE0ES3_S9_NS6_6detail15normal_iteratorINS6_10device_ptrIfEEEESG_SG_SG_PmS8_NS6_8equal_toIfEEEE10hipError_tPvRmT2_T3_mT4_T5_T6_T7_T8_P12ihipStream_tbENKUlT_T0_E_clISt17integral_constantIbLb0EES11_EEDaSW_SX_EUlSW_E_NS1_11comp_targetILNS1_3genE9ELNS1_11target_archE1100ELNS1_3gpuE3ELNS1_3repE0EEENS1_30default_config_static_selectorELNS0_4arch9wavefront6targetE0EEEvT1_
; %bb.0:
	s_clause 0x4
	s_load_b256 s[16:23], s[0:1], 0x0
	s_load_b256 s[24:31], s[0:1], 0x38
	s_load_b128 s[36:39], s[0:1], 0x20
	s_load_b64 s[34:35], s[0:1], 0x68
	s_load_b128 s[40:43], s[0:1], 0x58
	s_mov_b32 s3, 0
	s_mul_i32 s2, s15, 0xf00
	s_waitcnt lgkmcnt(0)
	s_lshl_b64 s[0:1], s[18:19], 2
	s_mul_i32 s4, s28, s27
	s_add_u32 s8, s16, s0
	s_mul_hi_u32 s5, s28, s26
	s_addc_u32 s9, s17, s1
	s_add_u32 s10, s20, s0
	s_mul_i32 s6, s29, s26
	s_addc_u32 s11, s21, s1
	s_add_i32 s4, s5, s4
	s_lshl_b64 s[0:1], s[2:3], 2
	s_add_i32 s4, s4, s6
	s_add_u32 s33, s8, s0
	s_addc_u32 s29, s9, s1
	s_mul_i32 s7, s28, s26
	s_add_u32 s18, s10, s0
	s_addc_u32 s19, s11, s1
	s_add_u32 s16, s7, s15
	s_addc_u32 s17, s4, 0
	s_add_u32 s0, s30, -1
	s_addc_u32 s1, s31, -1
	s_mul_i32 s21, s0, 0xfffff100
	s_cmp_eq_u64 s[16:17], s[0:1]
	s_cselect_b32 s20, -1, 0
	s_cmp_lg_u64 s[16:17], s[0:1]
	s_cselect_b32 s14, -1, 0
	s_and_b32 vcc_lo, exec_lo, s20
	s_cbranch_vccnz .LBB171_2
; %bb.1:
	v_lshlrev_b32_e32 v8, 2, v0
	s_delay_alu instid0(VALU_DEP_1) | instskip(NEXT) | instid1(VALU_DEP_1)
	v_add_co_u32 v1, s0, s33, v8
	v_add_co_ci_u32_e64 v2, null, s29, 0, s0
	s_delay_alu instid0(VALU_DEP_2) | instskip(NEXT) | instid1(VALU_DEP_2)
	v_add_co_u32 v3, vcc_lo, 0x1000, v1
	v_add_co_ci_u32_e32 v4, vcc_lo, 0, v2, vcc_lo
	s_clause 0x7
	flat_load_b32 v9, v[1:2]
	flat_load_b32 v10, v[1:2] offset:1024
	flat_load_b32 v11, v[1:2] offset:2048
	;; [unrolled: 1-line block ×3, first 2 shown]
	flat_load_b32 v13, v[3:4]
	flat_load_b32 v14, v[3:4] offset:1024
	flat_load_b32 v15, v[3:4] offset:2048
	;; [unrolled: 1-line block ×3, first 2 shown]
	v_add_co_u32 v3, vcc_lo, 0x2000, v1
	v_add_co_ci_u32_e32 v4, vcc_lo, 0, v2, vcc_lo
	v_add_co_u32 v1, vcc_lo, 0x3000, v1
	v_add_co_ci_u32_e32 v2, vcc_lo, 0, v2, vcc_lo
	s_clause 0x6
	flat_load_b32 v17, v[3:4]
	flat_load_b32 v18, v[3:4] offset:1024
	flat_load_b32 v19, v[3:4] offset:2048
	;; [unrolled: 1-line block ×3, first 2 shown]
	flat_load_b32 v21, v[1:2]
	flat_load_b32 v22, v[1:2] offset:1024
	flat_load_b32 v25, v[1:2] offset:2048
	v_add_co_u32 v2, s0, s18, v8
	s_delay_alu instid0(VALU_DEP_1) | instskip(SKIP_1) | instid1(VALU_DEP_3)
	v_add_co_ci_u32_e64 v3, null, s19, 0, s0
	v_mad_u32_u24 v1, v0, 56, v8
	v_add_co_u32 v4, vcc_lo, 0x1000, v2
	s_delay_alu instid0(VALU_DEP_3)
	v_add_co_ci_u32_e32 v5, vcc_lo, 0, v3, vcc_lo
	v_add_co_u32 v6, vcc_lo, 0x2000, v2
	v_add_co_ci_u32_e32 v7, vcc_lo, 0, v3, vcc_lo
	v_add_co_u32 v23, vcc_lo, 0x3000, v2
	v_add_co_ci_u32_e32 v24, vcc_lo, 0, v3, vcc_lo
	s_waitcnt vmcnt(13) lgkmcnt(13)
	ds_store_2addr_stride64_b32 v8, v9, v10 offset1:4
	s_waitcnt vmcnt(11) lgkmcnt(12)
	ds_store_2addr_stride64_b32 v8, v11, v12 offset0:8 offset1:12
	s_waitcnt vmcnt(9) lgkmcnt(11)
	ds_store_2addr_stride64_b32 v8, v13, v14 offset0:16 offset1:20
	s_waitcnt vmcnt(7) lgkmcnt(10)
	ds_store_2addr_stride64_b32 v8, v15, v16 offset0:24 offset1:28
	s_waitcnt vmcnt(5) lgkmcnt(9)
	ds_store_2addr_stride64_b32 v8, v17, v18 offset0:32 offset1:36
	s_waitcnt vmcnt(3) lgkmcnt(8)
	ds_store_2addr_stride64_b32 v8, v19, v20 offset0:40 offset1:44
	s_waitcnt vmcnt(1) lgkmcnt(7)
	ds_store_2addr_stride64_b32 v8, v21, v22 offset0:48 offset1:52
	s_waitcnt vmcnt(0) lgkmcnt(7)
	ds_store_b32 v8, v25 offset:14336
	s_waitcnt lgkmcnt(0)
	s_barrier
	buffer_gl0_inv
	ds_load_2addr_b32 v[21:22], v1 offset1:1
	ds_load_2addr_b32 v[19:20], v1 offset0:2 offset1:3
	ds_load_2addr_b32 v[17:18], v1 offset0:4 offset1:5
	;; [unrolled: 1-line block ×6, first 2 shown]
	ds_load_b32 v58, v1 offset:56
	s_waitcnt lgkmcnt(0)
	s_barrier
	buffer_gl0_inv
	s_clause 0xe
	flat_load_b32 v25, v[2:3]
	flat_load_b32 v26, v[2:3] offset:1024
	flat_load_b32 v27, v[2:3] offset:2048
	flat_load_b32 v2, v[2:3] offset:3072
	flat_load_b32 v3, v[4:5]
	flat_load_b32 v28, v[4:5] offset:1024
	flat_load_b32 v29, v[4:5] offset:2048
	flat_load_b32 v4, v[4:5] offset:3072
	;; [unrolled: 4-line block ×3, first 2 shown]
	flat_load_b32 v7, v[23:24]
	flat_load_b32 v32, v[23:24] offset:1024
	flat_load_b32 v23, v[23:24] offset:2048
	s_waitcnt vmcnt(13) lgkmcnt(13)
	ds_store_2addr_stride64_b32 v8, v25, v26 offset1:4
	s_waitcnt vmcnt(11) lgkmcnt(12)
	ds_store_2addr_stride64_b32 v8, v27, v2 offset0:8 offset1:12
	s_waitcnt vmcnt(9) lgkmcnt(11)
	ds_store_2addr_stride64_b32 v8, v3, v28 offset0:16 offset1:20
	;; [unrolled: 2-line block ×6, first 2 shown]
	s_waitcnt vmcnt(0) lgkmcnt(7)
	ds_store_b32 v8, v23 offset:14336
	s_waitcnt lgkmcnt(0)
	s_barrier
	s_and_not1_b32 vcc_lo, exec_lo, s3
	s_add_i32 s21, s21, s40
	s_cbranch_vccz .LBB171_3
	s_branch .LBB171_50
.LBB171_2:
                                        ; implicit-def: $vgpr1
                                        ; implicit-def: $vgpr21
                                        ; implicit-def: $vgpr19
                                        ; implicit-def: $vgpr17
                                        ; implicit-def: $vgpr15
                                        ; implicit-def: $vgpr13
                                        ; implicit-def: $vgpr11
                                        ; implicit-def: $vgpr9
                                        ; implicit-def: $vgpr58
	s_add_i32 s21, s21, s40
.LBB171_3:
	s_delay_alu instid0(SALU_CYCLE_1)
	v_cmp_gt_u32_e32 vcc_lo, s21, v0
                                        ; implicit-def: $vgpr1
	s_and_saveexec_b32 s0, vcc_lo
	s_cbranch_execz .LBB171_5
; %bb.4:
	v_lshlrev_b32_e32 v1, 2, v0
	s_delay_alu instid0(VALU_DEP_1) | instskip(NEXT) | instid1(VALU_DEP_1)
	v_add_co_u32 v1, s1, s33, v1
	v_add_co_ci_u32_e64 v2, null, s29, 0, s1
	flat_load_b32 v1, v[1:2]
.LBB171_5:
	s_or_b32 exec_lo, exec_lo, s0
	v_or_b32_e32 v2, 0x100, v0
                                        ; implicit-def: $vgpr9
	s_delay_alu instid0(VALU_DEP_1) | instskip(NEXT) | instid1(VALU_DEP_1)
	v_cmp_gt_u32_e64 s0, s21, v2
	s_and_saveexec_b32 s1, s0
	s_cbranch_execz .LBB171_7
; %bb.6:
	v_lshlrev_b32_e32 v2, 2, v0
	s_delay_alu instid0(VALU_DEP_1) | instskip(NEXT) | instid1(VALU_DEP_1)
	v_add_co_u32 v2, s2, s33, v2
	v_add_co_ci_u32_e64 v3, null, s29, 0, s2
	flat_load_b32 v9, v[2:3] offset:1024
.LBB171_7:
	s_or_b32 exec_lo, exec_lo, s1
	v_or_b32_e32 v2, 0x200, v0
                                        ; implicit-def: $vgpr10
	s_delay_alu instid0(VALU_DEP_1) | instskip(NEXT) | instid1(VALU_DEP_1)
	v_cmp_gt_u32_e64 s1, s21, v2
	s_and_saveexec_b32 s2, s1
	s_cbranch_execz .LBB171_9
; %bb.8:
	v_lshlrev_b32_e32 v2, 2, v0
	s_delay_alu instid0(VALU_DEP_1) | instskip(NEXT) | instid1(VALU_DEP_1)
	v_add_co_u32 v2, s3, s33, v2
	v_add_co_ci_u32_e64 v3, null, s29, 0, s3
	flat_load_b32 v10, v[2:3] offset:2048
.LBB171_9:
	s_or_b32 exec_lo, exec_lo, s2
	v_or_b32_e32 v2, 0x300, v0
                                        ; implicit-def: $vgpr11
	s_delay_alu instid0(VALU_DEP_1) | instskip(NEXT) | instid1(VALU_DEP_1)
	v_cmp_gt_u32_e64 s2, s21, v2
	s_and_saveexec_b32 s3, s2
	s_cbranch_execz .LBB171_11
; %bb.10:
	v_lshlrev_b32_e32 v2, 2, v0
	s_delay_alu instid0(VALU_DEP_1) | instskip(NEXT) | instid1(VALU_DEP_1)
	v_add_co_u32 v2, s4, s33, v2
	v_add_co_ci_u32_e64 v3, null, s29, 0, s4
	flat_load_b32 v11, v[2:3] offset:3072
.LBB171_11:
	s_or_b32 exec_lo, exec_lo, s3
	v_or_b32_e32 v2, 0x400, v0
                                        ; implicit-def: $vgpr12
	s_delay_alu instid0(VALU_DEP_1) | instskip(SKIP_1) | instid1(VALU_DEP_2)
	v_cmp_gt_u32_e64 s3, s21, v2
	v_lshlrev_b32_e32 v2, 2, v2
	s_and_saveexec_b32 s4, s3
	s_cbranch_execz .LBB171_13
; %bb.12:
	s_delay_alu instid0(VALU_DEP_1) | instskip(NEXT) | instid1(VALU_DEP_1)
	v_add_co_u32 v3, s5, s33, v2
	v_add_co_ci_u32_e64 v4, null, s29, 0, s5
	flat_load_b32 v12, v[3:4]
.LBB171_13:
	s_or_b32 exec_lo, exec_lo, s4
	v_or_b32_e32 v3, 0x500, v0
                                        ; implicit-def: $vgpr13
	s_delay_alu instid0(VALU_DEP_1) | instskip(SKIP_1) | instid1(VALU_DEP_2)
	v_cmp_gt_u32_e64 s4, s21, v3
	v_lshlrev_b32_e32 v3, 2, v3
	s_and_saveexec_b32 s5, s4
	s_cbranch_execz .LBB171_15
; %bb.14:
	s_delay_alu instid0(VALU_DEP_1) | instskip(NEXT) | instid1(VALU_DEP_1)
	v_add_co_u32 v4, s6, s33, v3
	v_add_co_ci_u32_e64 v5, null, s29, 0, s6
	flat_load_b32 v13, v[4:5]
.LBB171_15:
	s_or_b32 exec_lo, exec_lo, s5
	v_or_b32_e32 v4, 0x600, v0
                                        ; implicit-def: $vgpr14
	s_delay_alu instid0(VALU_DEP_1) | instskip(SKIP_1) | instid1(VALU_DEP_2)
	v_cmp_gt_u32_e64 s5, s21, v4
	v_lshlrev_b32_e32 v4, 2, v4
	s_and_saveexec_b32 s6, s5
	s_cbranch_execz .LBB171_17
; %bb.16:
	s_delay_alu instid0(VALU_DEP_1) | instskip(NEXT) | instid1(VALU_DEP_1)
	v_add_co_u32 v5, s7, s33, v4
	v_add_co_ci_u32_e64 v6, null, s29, 0, s7
	flat_load_b32 v14, v[5:6]
.LBB171_17:
	s_or_b32 exec_lo, exec_lo, s6
	v_or_b32_e32 v5, 0x700, v0
                                        ; implicit-def: $vgpr15
	s_delay_alu instid0(VALU_DEP_1) | instskip(SKIP_1) | instid1(VALU_DEP_2)
	v_cmp_gt_u32_e64 s6, s21, v5
	v_lshlrev_b32_e32 v5, 2, v5
	s_and_saveexec_b32 s7, s6
	s_cbranch_execz .LBB171_19
; %bb.18:
	s_delay_alu instid0(VALU_DEP_1) | instskip(NEXT) | instid1(VALU_DEP_1)
	v_add_co_u32 v6, s8, s33, v5
	v_add_co_ci_u32_e64 v7, null, s29, 0, s8
	flat_load_b32 v15, v[6:7]
.LBB171_19:
	s_or_b32 exec_lo, exec_lo, s7
	v_or_b32_e32 v6, 0x800, v0
                                        ; implicit-def: $vgpr16
	s_delay_alu instid0(VALU_DEP_1) | instskip(SKIP_1) | instid1(VALU_DEP_2)
	v_cmp_gt_u32_e64 s7, s21, v6
	v_lshlrev_b32_e32 v6, 2, v6
	s_and_saveexec_b32 s8, s7
	s_cbranch_execz .LBB171_21
; %bb.20:
	s_delay_alu instid0(VALU_DEP_1) | instskip(NEXT) | instid1(VALU_DEP_1)
	v_add_co_u32 v7, s9, s33, v6
	v_add_co_ci_u32_e64 v8, null, s29, 0, s9
	flat_load_b32 v16, v[7:8]
.LBB171_21:
	s_or_b32 exec_lo, exec_lo, s8
	v_or_b32_e32 v7, 0x900, v0
                                        ; implicit-def: $vgpr17
	s_delay_alu instid0(VALU_DEP_1) | instskip(SKIP_1) | instid1(VALU_DEP_2)
	v_cmp_gt_u32_e64 s8, s21, v7
	v_lshlrev_b32_e32 v7, 2, v7
	s_and_saveexec_b32 s9, s8
	s_cbranch_execz .LBB171_23
; %bb.22:
	s_delay_alu instid0(VALU_DEP_1) | instskip(NEXT) | instid1(VALU_DEP_1)
	v_add_co_u32 v17, s10, s33, v7
	v_add_co_ci_u32_e64 v18, null, s29, 0, s10
	flat_load_b32 v17, v[17:18]
.LBB171_23:
	s_or_b32 exec_lo, exec_lo, s9
	v_or_b32_e32 v8, 0xa00, v0
                                        ; implicit-def: $vgpr18
	s_delay_alu instid0(VALU_DEP_1) | instskip(SKIP_1) | instid1(VALU_DEP_2)
	v_cmp_gt_u32_e64 s9, s21, v8
	v_lshlrev_b32_e32 v23, 2, v8
	s_and_saveexec_b32 s10, s9
	s_cbranch_execz .LBB171_25
; %bb.24:
	s_delay_alu instid0(VALU_DEP_1) | instskip(NEXT) | instid1(VALU_DEP_1)
	v_add_co_u32 v18, s11, s33, v23
	v_add_co_ci_u32_e64 v19, null, s29, 0, s11
	flat_load_b32 v18, v[18:19]
.LBB171_25:
	s_or_b32 exec_lo, exec_lo, s10
	v_or_b32_e32 v8, 0xb00, v0
                                        ; implicit-def: $vgpr19
	s_delay_alu instid0(VALU_DEP_1) | instskip(SKIP_1) | instid1(VALU_DEP_2)
	v_cmp_gt_u32_e64 s10, s21, v8
	v_lshlrev_b32_e32 v24, 2, v8
	s_and_saveexec_b32 s11, s10
	s_cbranch_execz .LBB171_27
; %bb.26:
	s_delay_alu instid0(VALU_DEP_1) | instskip(NEXT) | instid1(VALU_DEP_1)
	v_add_co_u32 v19, s12, s33, v24
	v_add_co_ci_u32_e64 v20, null, s29, 0, s12
	flat_load_b32 v19, v[19:20]
.LBB171_27:
	s_or_b32 exec_lo, exec_lo, s11
	v_or_b32_e32 v8, 0xc00, v0
                                        ; implicit-def: $vgpr20
	s_delay_alu instid0(VALU_DEP_1) | instskip(SKIP_1) | instid1(VALU_DEP_2)
	v_cmp_gt_u32_e64 s11, s21, v8
	v_lshlrev_b32_e32 v25, 2, v8
	s_and_saveexec_b32 s12, s11
	s_cbranch_execz .LBB171_29
; %bb.28:
	s_delay_alu instid0(VALU_DEP_1) | instskip(NEXT) | instid1(VALU_DEP_1)
	v_add_co_u32 v20, s13, s33, v25
	v_add_co_ci_u32_e64 v21, null, s29, 0, s13
	flat_load_b32 v20, v[20:21]
.LBB171_29:
	s_or_b32 exec_lo, exec_lo, s12
	v_or_b32_e32 v8, 0xd00, v0
                                        ; implicit-def: $vgpr21
	s_delay_alu instid0(VALU_DEP_1) | instskip(SKIP_1) | instid1(VALU_DEP_2)
	v_cmp_gt_u32_e64 s12, s21, v8
	v_lshlrev_b32_e32 v26, 2, v8
	s_and_saveexec_b32 s13, s12
	s_cbranch_execz .LBB171_31
; %bb.30:
	s_delay_alu instid0(VALU_DEP_1) | instskip(NEXT) | instid1(VALU_DEP_1)
	v_add_co_u32 v21, s28, s33, v26
	v_add_co_ci_u32_e64 v22, null, s29, 0, s28
	flat_load_b32 v21, v[21:22]
.LBB171_31:
	s_or_b32 exec_lo, exec_lo, s13
	v_or_b32_e32 v8, 0xe00, v0
                                        ; implicit-def: $vgpr22
	s_delay_alu instid0(VALU_DEP_1) | instskip(SKIP_1) | instid1(VALU_DEP_2)
	v_cmp_gt_u32_e64 s13, s21, v8
	v_lshlrev_b32_e32 v27, 2, v8
	s_and_saveexec_b32 s28, s13
	s_cbranch_execz .LBB171_33
; %bb.32:
	s_delay_alu instid0(VALU_DEP_1) | instskip(NEXT) | instid1(VALU_DEP_1)
	v_add_co_u32 v28, s30, s33, v27
	v_add_co_ci_u32_e64 v29, null, s29, 0, s30
	flat_load_b32 v22, v[28:29]
.LBB171_33:
	s_or_b32 exec_lo, exec_lo, s28
	v_lshlrev_b32_e32 v8, 2, v0
                                        ; implicit-def: $vgpr28
	s_waitcnt vmcnt(0) lgkmcnt(0)
	ds_store_2addr_stride64_b32 v8, v1, v9 offset1:4
	ds_store_2addr_stride64_b32 v8, v10, v11 offset0:8 offset1:12
	ds_store_2addr_stride64_b32 v8, v12, v13 offset0:16 offset1:20
	;; [unrolled: 1-line block ×6, first 2 shown]
	v_mad_u32_u24 v1, v0, 56, v8
	ds_store_b32 v8, v22 offset:14336
	s_waitcnt lgkmcnt(0)
	s_barrier
	buffer_gl0_inv
	ds_load_2addr_b32 v[21:22], v1 offset1:1
	ds_load_2addr_b32 v[19:20], v1 offset0:2 offset1:3
	ds_load_2addr_b32 v[17:18], v1 offset0:4 offset1:5
	ds_load_2addr_b32 v[15:16], v1 offset0:6 offset1:7
	ds_load_2addr_b32 v[13:14], v1 offset0:8 offset1:9
	ds_load_2addr_b32 v[11:12], v1 offset0:10 offset1:11
	ds_load_2addr_b32 v[9:10], v1 offset0:12 offset1:13
	ds_load_b32 v58, v1 offset:56
	s_waitcnt lgkmcnt(0)
	s_barrier
	buffer_gl0_inv
	s_and_saveexec_b32 s28, vcc_lo
	s_cbranch_execnz .LBB171_57
; %bb.34:
	s_or_b32 exec_lo, exec_lo, s28
                                        ; implicit-def: $vgpr29
	s_and_saveexec_b32 s28, s0
	s_cbranch_execnz .LBB171_58
.LBB171_35:
	s_or_b32 exec_lo, exec_lo, s28
                                        ; implicit-def: $vgpr30
	s_and_saveexec_b32 s0, s1
	s_cbranch_execnz .LBB171_59
.LBB171_36:
	s_or_b32 exec_lo, exec_lo, s0
                                        ; implicit-def: $vgpr31
	s_and_saveexec_b32 s0, s2
	s_cbranch_execnz .LBB171_60
.LBB171_37:
	s_or_b32 exec_lo, exec_lo, s0
                                        ; implicit-def: $vgpr32
	s_and_saveexec_b32 s0, s3
	s_cbranch_execnz .LBB171_61
.LBB171_38:
	s_or_b32 exec_lo, exec_lo, s0
                                        ; implicit-def: $vgpr2
	s_and_saveexec_b32 s0, s4
	s_cbranch_execnz .LBB171_62
.LBB171_39:
	s_or_b32 exec_lo, exec_lo, s0
                                        ; implicit-def: $vgpr3
	s_and_saveexec_b32 s0, s5
	s_cbranch_execnz .LBB171_63
.LBB171_40:
	s_or_b32 exec_lo, exec_lo, s0
                                        ; implicit-def: $vgpr4
	s_and_saveexec_b32 s0, s6
	s_cbranch_execnz .LBB171_64
.LBB171_41:
	s_or_b32 exec_lo, exec_lo, s0
                                        ; implicit-def: $vgpr5
	s_and_saveexec_b32 s0, s7
	s_cbranch_execnz .LBB171_65
.LBB171_42:
	s_or_b32 exec_lo, exec_lo, s0
                                        ; implicit-def: $vgpr6
	s_and_saveexec_b32 s0, s8
	s_cbranch_execnz .LBB171_66
.LBB171_43:
	s_or_b32 exec_lo, exec_lo, s0
                                        ; implicit-def: $vgpr7
	s_and_saveexec_b32 s0, s9
	s_cbranch_execnz .LBB171_67
.LBB171_44:
	s_or_b32 exec_lo, exec_lo, s0
                                        ; implicit-def: $vgpr23
	s_and_saveexec_b32 s0, s10
	s_cbranch_execnz .LBB171_68
.LBB171_45:
	s_or_b32 exec_lo, exec_lo, s0
                                        ; implicit-def: $vgpr24
	s_and_saveexec_b32 s0, s11
	s_cbranch_execnz .LBB171_69
.LBB171_46:
	s_or_b32 exec_lo, exec_lo, s0
                                        ; implicit-def: $vgpr25
	s_and_saveexec_b32 s0, s12
	s_cbranch_execnz .LBB171_70
.LBB171_47:
	s_or_b32 exec_lo, exec_lo, s0
                                        ; implicit-def: $vgpr26
	s_and_saveexec_b32 s0, s13
	s_cbranch_execz .LBB171_49
.LBB171_48:
	v_add_co_u32 v26, s1, s18, v27
	s_delay_alu instid0(VALU_DEP_1)
	v_add_co_ci_u32_e64 v27, null, s19, 0, s1
	flat_load_b32 v26, v[26:27]
.LBB171_49:
	s_or_b32 exec_lo, exec_lo, s0
	s_waitcnt vmcnt(0) lgkmcnt(0)
	ds_store_2addr_stride64_b32 v8, v28, v29 offset1:4
	ds_store_2addr_stride64_b32 v8, v30, v31 offset0:8 offset1:12
	ds_store_2addr_stride64_b32 v8, v32, v2 offset0:16 offset1:20
	;; [unrolled: 1-line block ×6, first 2 shown]
	ds_store_b32 v8, v26 offset:14336
	s_waitcnt lgkmcnt(0)
	s_barrier
.LBB171_50:
	buffer_gl0_inv
	ds_load_2addr_b32 v[35:36], v1 offset1:1
	ds_load_2addr_b32 v[33:34], v1 offset0:2 offset1:3
	ds_load_2addr_b32 v[31:32], v1 offset0:4 offset1:5
	;; [unrolled: 1-line block ×6, first 2 shown]
	ds_load_b32 v65, v1 offset:56
	s_cmp_eq_u64 s[16:17], 0
	s_waitcnt lgkmcnt(0)
	s_cselect_b32 s28, -1, 0
	s_cmp_lg_u64 s[16:17], 0
	s_barrier
	s_cselect_b32 s31, -1, 0
	s_and_b32 vcc_lo, exec_lo, s14
	buffer_gl0_inv
	s_cbranch_vccz .LBB171_56
; %bb.51:
	s_and_b32 vcc_lo, exec_lo, s31
	s_cbranch_vccz .LBB171_71
; %bb.52:
	v_add_co_u32 v1, s0, -4, s33
	s_delay_alu instid0(VALU_DEP_1)
	v_add_co_ci_u32_e64 v2, null, -1, s29, s0
	v_cmp_neq_f32_e32 vcc_lo, v10, v58
	v_cmp_neq_f32_e64 s0, v9, v10
	v_cmp_neq_f32_e64 s1, v12, v9
	flat_load_b32 v1, v[1:2]
	v_lshlrev_b32_e32 v2, 2, v0
	v_cmp_neq_f32_e64 s2, v11, v12
	v_cmp_neq_f32_e64 s3, v14, v11
	;; [unrolled: 1-line block ×11, first 2 shown]
	s_mov_b32 s30, -1
	s_mov_b32 s14, 0
	s_mov_b32 s18, exec_lo
	ds_store_b32 v2, v58
	s_waitcnt vmcnt(0) lgkmcnt(0)
	s_barrier
	buffer_gl0_inv
	v_cmpx_ne_u32_e32 0, v0
	s_cbranch_execz .LBB171_54
; %bb.53:
	v_add_nc_u32_e32 v1, -4, v2
	ds_load_b32 v1, v1
.LBB171_54:
	s_or_b32 exec_lo, exec_lo, s18
	v_cndmask_b32_e64 v59, 0, 1, vcc_lo
	v_cndmask_b32_e64 v54, 0, 1, s0
	v_cndmask_b32_e64 v52, 0, 1, s1
	;; [unrolled: 1-line block ×13, first 2 shown]
	s_waitcnt lgkmcnt(0)
	v_cmp_neq_f32_e64 s0, v1, v21
	s_and_b32 vcc_lo, exec_lo, s14
	s_cbranch_vccnz .LBB171_72
.LBB171_55:
                                        ; implicit-def: $sgpr1
	s_branch .LBB171_83
.LBB171_56:
	s_mov_b32 s30, 0
                                        ; implicit-def: $sgpr0
                                        ; implicit-def: $vgpr59
                                        ; implicit-def: $vgpr54
                                        ; implicit-def: $vgpr52
                                        ; implicit-def: $vgpr50
                                        ; implicit-def: $vgpr48
                                        ; implicit-def: $vgpr46
                                        ; implicit-def: $vgpr44
                                        ; implicit-def: $vgpr60
                                        ; implicit-def: $vgpr61
                                        ; implicit-def: $vgpr62
                                        ; implicit-def: $vgpr63
                                        ; implicit-def: $vgpr64
                                        ; implicit-def: $vgpr56
                                        ; implicit-def: $vgpr57
                                        ; implicit-def: $sgpr1
	s_cbranch_execnz .LBB171_75
	s_branch .LBB171_83
.LBB171_57:
	v_add_co_u32 v28, s30, s18, v8
	s_delay_alu instid0(VALU_DEP_1)
	v_add_co_ci_u32_e64 v29, null, s19, 0, s30
	flat_load_b32 v28, v[28:29]
	s_or_b32 exec_lo, exec_lo, s28
                                        ; implicit-def: $vgpr29
	s_and_saveexec_b32 s28, s0
	s_cbranch_execz .LBB171_35
.LBB171_58:
	v_add_co_u32 v29, s0, s18, v8
	s_delay_alu instid0(VALU_DEP_1)
	v_add_co_ci_u32_e64 v30, null, s19, 0, s0
	flat_load_b32 v29, v[29:30] offset:1024
	s_or_b32 exec_lo, exec_lo, s28
                                        ; implicit-def: $vgpr30
	s_and_saveexec_b32 s0, s1
	s_cbranch_execz .LBB171_36
.LBB171_59:
	v_add_co_u32 v30, s1, s18, v8
	s_delay_alu instid0(VALU_DEP_1)
	v_add_co_ci_u32_e64 v31, null, s19, 0, s1
	flat_load_b32 v30, v[30:31] offset:2048
	s_or_b32 exec_lo, exec_lo, s0
                                        ; implicit-def: $vgpr31
	s_and_saveexec_b32 s0, s2
	s_cbranch_execz .LBB171_37
.LBB171_60:
	v_add_co_u32 v31, s1, s18, v8
	s_delay_alu instid0(VALU_DEP_1)
	v_add_co_ci_u32_e64 v32, null, s19, 0, s1
	flat_load_b32 v31, v[31:32] offset:3072
	s_or_b32 exec_lo, exec_lo, s0
                                        ; implicit-def: $vgpr32
	s_and_saveexec_b32 s0, s3
	s_cbranch_execz .LBB171_38
.LBB171_61:
	v_add_co_u32 v32, s1, s18, v2
	s_delay_alu instid0(VALU_DEP_1)
	v_add_co_ci_u32_e64 v33, null, s19, 0, s1
	flat_load_b32 v32, v[32:33]
	s_or_b32 exec_lo, exec_lo, s0
                                        ; implicit-def: $vgpr2
	s_and_saveexec_b32 s0, s4
	s_cbranch_execz .LBB171_39
.LBB171_62:
	v_add_co_u32 v2, s1, s18, v3
	s_delay_alu instid0(VALU_DEP_1)
	v_add_co_ci_u32_e64 v3, null, s19, 0, s1
	flat_load_b32 v2, v[2:3]
	s_or_b32 exec_lo, exec_lo, s0
                                        ; implicit-def: $vgpr3
	s_and_saveexec_b32 s0, s5
	s_cbranch_execz .LBB171_40
.LBB171_63:
	v_add_co_u32 v3, s1, s18, v4
	s_delay_alu instid0(VALU_DEP_1)
	v_add_co_ci_u32_e64 v4, null, s19, 0, s1
	flat_load_b32 v3, v[3:4]
	s_or_b32 exec_lo, exec_lo, s0
                                        ; implicit-def: $vgpr4
	s_and_saveexec_b32 s0, s6
	s_cbranch_execz .LBB171_41
.LBB171_64:
	v_add_co_u32 v4, s1, s18, v5
	s_delay_alu instid0(VALU_DEP_1)
	v_add_co_ci_u32_e64 v5, null, s19, 0, s1
	flat_load_b32 v4, v[4:5]
	s_or_b32 exec_lo, exec_lo, s0
                                        ; implicit-def: $vgpr5
	s_and_saveexec_b32 s0, s7
	s_cbranch_execz .LBB171_42
.LBB171_65:
	v_add_co_u32 v5, s1, s18, v6
	s_delay_alu instid0(VALU_DEP_1)
	v_add_co_ci_u32_e64 v6, null, s19, 0, s1
	flat_load_b32 v5, v[5:6]
	s_or_b32 exec_lo, exec_lo, s0
                                        ; implicit-def: $vgpr6
	s_and_saveexec_b32 s0, s8
	s_cbranch_execz .LBB171_43
.LBB171_66:
	v_add_co_u32 v6, s1, s18, v7
	s_delay_alu instid0(VALU_DEP_1)
	v_add_co_ci_u32_e64 v7, null, s19, 0, s1
	flat_load_b32 v6, v[6:7]
	s_or_b32 exec_lo, exec_lo, s0
                                        ; implicit-def: $vgpr7
	s_and_saveexec_b32 s0, s9
	s_cbranch_execz .LBB171_44
.LBB171_67:
	v_add_co_u32 v33, s1, s18, v23
	s_delay_alu instid0(VALU_DEP_1)
	v_add_co_ci_u32_e64 v34, null, s19, 0, s1
	flat_load_b32 v7, v[33:34]
	s_or_b32 exec_lo, exec_lo, s0
                                        ; implicit-def: $vgpr23
	s_and_saveexec_b32 s0, s10
	s_cbranch_execz .LBB171_45
.LBB171_68:
	v_add_co_u32 v23, s1, s18, v24
	s_delay_alu instid0(VALU_DEP_1)
	v_add_co_ci_u32_e64 v24, null, s19, 0, s1
	flat_load_b32 v23, v[23:24]
	s_or_b32 exec_lo, exec_lo, s0
                                        ; implicit-def: $vgpr24
	s_and_saveexec_b32 s0, s11
	s_cbranch_execz .LBB171_46
.LBB171_69:
	v_add_co_u32 v24, s1, s18, v25
	s_delay_alu instid0(VALU_DEP_1)
	v_add_co_ci_u32_e64 v25, null, s19, 0, s1
	flat_load_b32 v24, v[24:25]
	s_or_b32 exec_lo, exec_lo, s0
                                        ; implicit-def: $vgpr25
	s_and_saveexec_b32 s0, s12
	s_cbranch_execz .LBB171_47
.LBB171_70:
	v_add_co_u32 v25, s1, s18, v26
	s_delay_alu instid0(VALU_DEP_1)
	v_add_co_ci_u32_e64 v26, null, s19, 0, s1
	flat_load_b32 v25, v[25:26]
	s_or_b32 exec_lo, exec_lo, s0
                                        ; implicit-def: $vgpr26
	s_and_saveexec_b32 s0, s13
	s_cbranch_execnz .LBB171_48
	s_branch .LBB171_49
.LBB171_71:
	s_mov_b32 s30, 0
                                        ; implicit-def: $sgpr0
                                        ; implicit-def: $vgpr59
                                        ; implicit-def: $vgpr54
                                        ; implicit-def: $vgpr52
                                        ; implicit-def: $vgpr50
                                        ; implicit-def: $vgpr48
                                        ; implicit-def: $vgpr46
                                        ; implicit-def: $vgpr44
                                        ; implicit-def: $vgpr60
                                        ; implicit-def: $vgpr61
                                        ; implicit-def: $vgpr62
                                        ; implicit-def: $vgpr63
                                        ; implicit-def: $vgpr64
                                        ; implicit-def: $vgpr56
                                        ; implicit-def: $vgpr57
	s_cbranch_execz .LBB171_55
.LBB171_72:
	v_cmp_neq_f32_e32 vcc_lo, v10, v58
	v_lshlrev_b32_e32 v1, 2, v0
	s_mov_b32 s1, exec_lo
                                        ; implicit-def: $sgpr0
	v_cndmask_b32_e64 v59, 0, 1, vcc_lo
	v_cmp_neq_f32_e32 vcc_lo, v9, v10
	ds_store_b32 v1, v58
	s_waitcnt lgkmcnt(0)
	s_barrier
	buffer_gl0_inv
	v_cndmask_b32_e64 v54, 0, 1, vcc_lo
	v_cmp_neq_f32_e32 vcc_lo, v12, v9
	v_cndmask_b32_e64 v52, 0, 1, vcc_lo
	v_cmp_neq_f32_e32 vcc_lo, v11, v12
	;; [unrolled: 2-line block ×12, first 2 shown]
	v_cndmask_b32_e64 v57, 0, 1, vcc_lo
	v_cmpx_ne_u32_e32 0, v0
	s_xor_b32 s1, exec_lo, s1
	s_cbranch_execz .LBB171_74
; %bb.73:
	v_add_nc_u32_e32 v1, -4, v1
	s_or_b32 s30, s30, exec_lo
	ds_load_b32 v1, v1
	s_waitcnt lgkmcnt(0)
	v_cmp_neq_f32_e32 vcc_lo, v1, v21
	s_and_b32 s0, vcc_lo, exec_lo
.LBB171_74:
	s_or_b32 exec_lo, exec_lo, s1
	s_mov_b32 s1, 1
	s_branch .LBB171_83
.LBB171_75:
	s_mul_hi_u32 s0, s16, 0xfffff100
	s_mul_i32 s1, s17, 0xfffff100
	s_sub_i32 s0, s0, s16
	s_mul_i32 s2, s16, 0xfffff100
	s_add_i32 s0, s0, s1
	s_add_u32 s18, s2, s40
	s_addc_u32 s19, s0, s41
	v_cmp_neq_f32_e64 s13, v10, v58
	v_cmp_neq_f32_e64 s14, v9, v10
	;; [unrolled: 1-line block ×14, first 2 shown]
	v_mad_u32_u24 v1, v0, 15, 14
	v_mad_u32_u24 v55, v0, 15, 13
	;; [unrolled: 1-line block ×14, first 2 shown]
	v_cmp_ne_u32_e64 s6, 0, v0
	s_and_b32 vcc_lo, exec_lo, s31
	s_cbranch_vccz .LBB171_80
; %bb.76:
	v_add_co_u32 v56, s16, -4, s33
	s_delay_alu instid0(VALU_DEP_1)
	v_add_co_ci_u32_e64 v57, null, -1, s29, s16
	v_mov_b32_e32 v2, 0
	s_mov_b32 s30, -1
	s_mov_b32 s17, 0
	flat_load_b32 v66, v[56:57]
	v_lshlrev_b32_e32 v57, 2, v0
	v_cmp_gt_u64_e32 vcc_lo, s[18:19], v[1:2]
	v_mov_b32_e32 v56, v2
	v_mov_b32_e32 v54, v2
	;; [unrolled: 1-line block ×5, first 2 shown]
	v_cmp_gt_u64_e64 s16, s[18:19], v[55:56]
	s_and_b32 s29, vcc_lo, s13
	v_cmp_gt_u64_e32 vcc_lo, s[18:19], v[53:54]
	v_mov_b32_e32 v46, v2
	v_mov_b32_e32 v44, v2
	v_cmp_gt_u64_e64 s13, s[18:19], v[51:52]
	s_and_b32 s31, s16, s14
	v_mov_b32_e32 v42, v2
	s_and_b32 s33, vcc_lo, s12
	v_cmp_gt_u64_e32 vcc_lo, s[18:19], v[49:50]
	v_cmp_gt_u64_e64 s12, s[18:19], v[47:48]
	v_cmp_gt_u64_e64 s14, s[18:19], v[45:46]
	;; [unrolled: 1-line block ×3, first 2 shown]
	v_mov_b32_e32 v40, v2
	v_mov_b32_e32 v38, v2
	;; [unrolled: 1-line block ×5, first 2 shown]
	s_and_b32 s13, s13, s11
	s_and_b32 s40, vcc_lo, s7
	s_and_b32 s12, s12, s8
	s_and_b32 s14, s14, s9
	s_and_b32 s16, s16, s10
	v_cmp_gt_u64_e32 vcc_lo, s[18:19], v[41:42]
	v_cmp_gt_u64_e64 s7, s[18:19], v[39:40]
	v_cmp_gt_u64_e64 s8, s[18:19], v[37:38]
	;; [unrolled: 1-line block ×5, first 2 shown]
	v_mul_u32_u24_e32 v56, 15, v0
	s_and_b32 s0, vcc_lo, s0
	s_and_b32 s7, s7, s1
	s_and_b32 s8, s8, s2
	;; [unrolled: 1-line block ×5, first 2 shown]
	ds_store_b32 v57, v58
	s_waitcnt vmcnt(0) lgkmcnt(0)
	s_barrier
	buffer_gl0_inv
	s_and_saveexec_b32 s4, s6
	s_cbranch_execz .LBB171_78
; %bb.77:
	v_add_nc_u32_e32 v4, -4, v57
	ds_load_b32 v66, v4
.LBB171_78:
	s_or_b32 exec_lo, exec_lo, s4
	v_mov_b32_e32 v57, v2
	v_cndmask_b32_e64 v61, 0, 1, s0
	s_waitcnt lgkmcnt(0)
	v_cmp_neq_f32_e64 s0, v66, v21
	v_cndmask_b32_e64 v59, 0, 1, s29
	v_cndmask_b32_e64 v54, 0, 1, s31
	v_cmp_gt_u64_e32 vcc_lo, s[18:19], v[56:57]
	v_cndmask_b32_e64 v52, 0, 1, s33
	v_cndmask_b32_e64 v50, 0, 1, s13
	;; [unrolled: 1-line block ×11, first 2 shown]
	s_and_b32 s0, vcc_lo, s0
	s_and_b32 vcc_lo, exec_lo, s17
	s_cbranch_vccnz .LBB171_81
.LBB171_79:
                                        ; implicit-def: $sgpr1
	v_mov_b32_e32 v43, s1
	s_and_saveexec_b32 s1, s30
	s_cbranch_execnz .LBB171_84
	s_branch .LBB171_85
.LBB171_80:
                                        ; implicit-def: $sgpr0
                                        ; implicit-def: $vgpr59
                                        ; implicit-def: $vgpr54
                                        ; implicit-def: $vgpr52
                                        ; implicit-def: $vgpr50
                                        ; implicit-def: $vgpr48
                                        ; implicit-def: $vgpr46
                                        ; implicit-def: $vgpr44
                                        ; implicit-def: $vgpr60
                                        ; implicit-def: $vgpr61
                                        ; implicit-def: $vgpr62
                                        ; implicit-def: $vgpr63
                                        ; implicit-def: $vgpr64
                                        ; implicit-def: $vgpr56
                                        ; implicit-def: $vgpr57
	s_cbranch_execz .LBB171_79
.LBB171_81:
	v_mov_b32_e32 v2, 0
	v_cmp_neq_f32_e64 s1, v12, v9
	v_cmp_neq_f32_e32 vcc_lo, v10, v58
	v_cmp_neq_f32_e64 s0, v9, v10
	v_lshlrev_b32_e32 v66, 2, v0
	v_mov_b32_e32 v54, v2
	v_mov_b32_e32 v56, v2
	v_cmp_gt_u64_e64 s2, s[18:19], v[1:2]
	v_mov_b32_e32 v52, v2
	v_mov_b32_e32 v50, v2
	v_cmp_gt_u64_e64 s4, s[18:19], v[53:54]
	v_cmp_gt_u64_e64 s3, s[18:19], v[55:56]
	v_mov_b32_e32 v48, v2
	s_and_b32 s2, s2, vcc_lo
	v_cmp_gt_u64_e32 vcc_lo, s[18:19], v[51:52]
	v_cndmask_b32_e64 v59, 0, 1, s2
	s_and_b32 s1, s4, s1
	s_and_b32 s0, s3, s0
	v_cndmask_b32_e64 v52, 0, 1, s1
	v_cmp_gt_u64_e64 s1, s[18:19], v[49:50]
	v_cmp_neq_f32_e64 s2, v14, v11
	v_cndmask_b32_e64 v54, 0, 1, s0
	v_cmp_neq_f32_e64 s0, v11, v12
	v_mov_b32_e32 v46, v2
	v_mov_b32_e32 v44, v2
	s_and_b32 s1, s1, s2
	v_cmp_neq_f32_e64 s2, v16, v13
	s_and_b32 s0, vcc_lo, s0
	v_cmp_gt_u64_e32 vcc_lo, s[18:19], v[47:48]
	v_cndmask_b32_e64 v48, 0, 1, s1
	v_cmp_gt_u64_e64 s1, s[18:19], v[45:46]
	v_cndmask_b32_e64 v50, 0, 1, s0
	v_cmp_neq_f32_e64 s0, v13, v14
	v_mov_b32_e32 v42, v2
	v_mov_b32_e32 v40, v2
	;; [unrolled: 1-line block ×3, first 2 shown]
	s_and_b32 s1, s1, s2
	s_and_b32 s0, vcc_lo, s0
	v_cmp_gt_u64_e32 vcc_lo, s[18:19], v[43:44]
	v_cndmask_b32_e64 v46, 0, 1, s0
	v_cmp_neq_f32_e64 s0, v15, v16
	v_cndmask_b32_e64 v44, 0, 1, s1
	v_cmp_gt_u64_e64 s1, s[18:19], v[41:42]
	v_cmp_neq_f32_e64 s2, v18, v15
	v_mov_b32_e32 v8, v2
	s_and_b32 s0, vcc_lo, s0
	v_cmp_gt_u64_e32 vcc_lo, s[18:19], v[39:40]
	v_cndmask_b32_e64 v60, 0, 1, s0
	s_and_b32 s1, s1, s2
	v_cmp_neq_f32_e64 s0, v17, v18
	v_cndmask_b32_e64 v61, 0, 1, s1
	v_cmp_gt_u64_e64 s1, s[18:19], v[37:38]
	v_cmp_neq_f32_e64 s2, v20, v17
	v_mov_b32_e32 v6, v2
	s_and_b32 s0, vcc_lo, s0
	v_mov_b32_e32 v4, v2
	v_cndmask_b32_e64 v62, 0, 1, s0
	s_and_b32 s0, s1, s2
	v_cmp_gt_u64_e32 vcc_lo, s[18:19], v[7:8]
	v_cndmask_b32_e64 v63, 0, 1, s0
	v_cmp_neq_f32_e64 s0, v19, v20
	v_cmp_gt_u64_e64 s1, s[18:19], v[5:6]
	v_cmp_neq_f32_e64 s2, v22, v19
	v_cmp_gt_u64_e64 s3, s[18:19], v[3:4]
	v_cmp_neq_f32_e64 s4, v21, v22
	s_and_b32 s0, vcc_lo, s0
	ds_store_b32 v66, v58
	v_cndmask_b32_e64 v64, 0, 1, s0
	s_and_b32 s0, s1, s2
	s_mov_b32 s1, 1
	v_cndmask_b32_e64 v56, 0, 1, s0
	s_and_b32 s0, s3, s4
	s_mov_b32 s2, exec_lo
	v_cndmask_b32_e64 v57, 0, 1, s0
	s_waitcnt lgkmcnt(0)
	s_barrier
	buffer_gl0_inv
                                        ; implicit-def: $sgpr0
	v_cmpx_ne_u32_e32 0, v0
	s_cbranch_execz .LBB171_163
; %bb.82:
	v_add_nc_u32_e32 v1, -4, v66
	s_or_b32 s30, s30, exec_lo
	ds_load_b32 v3, v1
	v_mul_u32_u24_e32 v1, 15, v0
	s_delay_alu instid0(VALU_DEP_1) | instskip(SKIP_2) | instid1(VALU_DEP_1)
	v_cmp_gt_u64_e32 vcc_lo, s[18:19], v[1:2]
	s_waitcnt lgkmcnt(0)
	v_cmp_neq_f32_e64 s0, v3, v21
	s_and_b32 s0, vcc_lo, s0
	s_delay_alu instid0(SALU_CYCLE_1)
	s_and_b32 s0, s0, exec_lo
	s_or_b32 exec_lo, exec_lo, s2
.LBB171_83:
	v_mov_b32_e32 v43, s1
	s_and_saveexec_b32 s1, s30
.LBB171_84:
	v_cndmask_b32_e64 v43, 0, 1, s0
.LBB171_85:
	s_or_b32 exec_lo, exec_lo, s1
	s_delay_alu instid0(VALU_DEP_1)
	v_add3_u32 v1, v57, v43, v56
	v_add_f32_e32 v74, v35, v36
	v_cmp_eq_u32_e64 s12, 0, v57
	v_cmp_eq_u32_e64 s11, 0, v56
	;; [unrolled: 1-line block ×3, first 2 shown]
	v_add3_u32 v73, v1, v64, v63
	v_cmp_eq_u32_e64 s10, 0, v63
	v_cmp_eq_u32_e64 s8, 0, v62
	;; [unrolled: 1-line block ×10, first 2 shown]
	v_cmp_eq_u32_e32 vcc_lo, 0, v59
	v_mbcnt_lo_u32_b32 v70, -1, 0
	v_lshrrev_b32_e32 v71, 5, v0
	v_or_b32_e32 v72, 31, v0
	s_cmp_eq_u64 s[26:27], 0
	s_cselect_b32 s16, -1, 0
	s_cmp_lg_u32 s15, 0
	s_cbranch_scc0 .LBB171_111
; %bb.86:
	v_add3_u32 v2, v73, v62, v61
	v_cndmask_b32_e64 v1, v36, v74, s12
	s_mov_b32 s14, exec_lo
	v_and_b32_e32 v4, 15, v70
	v_and_b32_e32 v6, 16, v70
	v_add3_u32 v2, v2, v60, v44
	v_add_f32_e32 v1, v33, v1
	s_delay_alu instid0(VALU_DEP_2) | instskip(NEXT) | instid1(VALU_DEP_2)
	v_add3_u32 v2, v2, v46, v48
	v_cndmask_b32_e64 v1, v33, v1, s11
	s_delay_alu instid0(VALU_DEP_2) | instskip(NEXT) | instid1(VALU_DEP_1)
	v_add3_u32 v2, v2, v50, v52
	v_add3_u32 v2, v2, v54, v59
	s_delay_alu instid0(VALU_DEP_3) | instskip(NEXT) | instid1(VALU_DEP_2)
	v_add_f32_e32 v1, v34, v1
	v_mov_b32_dpp v5, v2 row_shr:1 row_mask:0xf bank_mask:0xf
	s_delay_alu instid0(VALU_DEP_2) | instskip(NEXT) | instid1(VALU_DEP_1)
	v_cndmask_b32_e64 v1, v34, v1, s9
	v_add_f32_e32 v1, v31, v1
	s_delay_alu instid0(VALU_DEP_1) | instskip(NEXT) | instid1(VALU_DEP_1)
	v_cndmask_b32_e64 v1, v31, v1, s10
	v_add_f32_e32 v1, v32, v1
	s_delay_alu instid0(VALU_DEP_1) | instskip(NEXT) | instid1(VALU_DEP_1)
	;; [unrolled: 3-line block ×10, first 2 shown]
	v_cndmask_b32_e64 v1, v24, v1, s0
	v_add_f32_e32 v1, v65, v1
	s_delay_alu instid0(VALU_DEP_1) | instskip(SKIP_1) | instid1(VALU_DEP_2)
	v_cndmask_b32_e32 v1, v65, v1, vcc_lo
	v_cmp_eq_u32_e32 vcc_lo, 0, v2
	v_mov_b32_dpp v3, v1 row_shr:1 row_mask:0xf bank_mask:0xf
	s_delay_alu instid0(VALU_DEP_1) | instskip(NEXT) | instid1(VALU_DEP_1)
	v_add_f32_e32 v3, v1, v3
	v_cndmask_b32_e32 v3, v1, v3, vcc_lo
	v_cmp_eq_u32_e32 vcc_lo, 0, v4
	v_cndmask_b32_e64 v5, v5, 0, vcc_lo
	s_delay_alu instid0(VALU_DEP_1) | instskip(NEXT) | instid1(VALU_DEP_1)
	v_dual_cndmask_b32 v1, v3, v1 :: v_dual_add_nc_u32 v2, v5, v2
	v_mov_b32_dpp v3, v1 row_shr:2 row_mask:0xf bank_mask:0xf
	s_delay_alu instid0(VALU_DEP_2) | instskip(NEXT) | instid1(VALU_DEP_2)
	v_cmp_eq_u32_e32 vcc_lo, 0, v2
	v_add_f32_e32 v3, v1, v3
	v_mov_b32_dpp v5, v2 row_shr:2 row_mask:0xf bank_mask:0xf
	s_delay_alu instid0(VALU_DEP_2) | instskip(SKIP_1) | instid1(VALU_DEP_2)
	v_cndmask_b32_e32 v3, v1, v3, vcc_lo
	v_cmp_lt_u32_e32 vcc_lo, 1, v4
	v_cndmask_b32_e32 v1, v1, v3, vcc_lo
	s_delay_alu instid0(VALU_DEP_4) | instskip(NEXT) | instid1(VALU_DEP_2)
	v_cndmask_b32_e32 v3, 0, v5, vcc_lo
	v_mov_b32_dpp v5, v1 row_shr:4 row_mask:0xf bank_mask:0xf
	s_delay_alu instid0(VALU_DEP_1) | instskip(NEXT) | instid1(VALU_DEP_1)
	v_dual_add_f32 v3, v1, v5 :: v_dual_add_nc_u32 v2, v2, v3
	v_cmp_eq_u32_e32 vcc_lo, 0, v2
	v_mov_b32_dpp v5, v2 row_shr:4 row_mask:0xf bank_mask:0xf
	s_delay_alu instid0(VALU_DEP_3) | instskip(SKIP_1) | instid1(VALU_DEP_2)
	v_cndmask_b32_e32 v3, v1, v3, vcc_lo
	v_cmp_lt_u32_e32 vcc_lo, 3, v4
	v_cndmask_b32_e32 v1, v1, v3, vcc_lo
	s_delay_alu instid0(VALU_DEP_4) | instskip(NEXT) | instid1(VALU_DEP_2)
	v_cndmask_b32_e32 v3, 0, v5, vcc_lo
	v_mov_b32_dpp v5, v1 row_shr:8 row_mask:0xf bank_mask:0xf
	s_delay_alu instid0(VALU_DEP_1) | instskip(NEXT) | instid1(VALU_DEP_1)
	v_dual_add_f32 v2, v1, v5 :: v_dual_add_nc_u32 v3, v3, v2
	v_cmp_eq_u32_e32 vcc_lo, 0, v3
	v_mov_b32_dpp v5, v3 row_shr:8 row_mask:0xf bank_mask:0xf
	s_delay_alu instid0(VALU_DEP_3) | instskip(SKIP_1) | instid1(VALU_DEP_2)
	v_cndmask_b32_e32 v2, v1, v2, vcc_lo
	v_cmp_lt_u32_e32 vcc_lo, 7, v4
	v_dual_cndmask_b32 v2, v1, v2 :: v_dual_cndmask_b32 v1, 0, v5
	v_bfe_i32 v5, v70, 4, 1
	s_delay_alu instid0(VALU_DEP_2)
	v_add_nc_u32_e32 v1, v1, v3
	ds_swizzle_b32 v3, v2 offset:swizzle(BROADCAST,32,15)
	ds_swizzle_b32 v4, v1 offset:swizzle(BROADCAST,32,15)
	v_cmp_eq_u32_e32 vcc_lo, 0, v1
	s_waitcnt lgkmcnt(1)
	v_add_f32_e32 v3, v2, v3
	s_waitcnt lgkmcnt(0)
	v_and_b32_e32 v7, v5, v4
	s_delay_alu instid0(VALU_DEP_2) | instskip(SKIP_2) | instid1(VALU_DEP_4)
	v_cndmask_b32_e32 v5, v2, v3, vcc_lo
	v_cmp_eq_u32_e32 vcc_lo, 0, v6
	v_lshlrev_b32_e32 v4, 3, v71
	v_add_nc_u32_e32 v1, v7, v1
	s_delay_alu instid0(VALU_DEP_4)
	v_cndmask_b32_e32 v3, v5, v2, vcc_lo
	v_cmpx_eq_u32_e64 v72, v0
	s_cbranch_execz .LBB171_88
; %bb.87:
	v_cndmask_b32_e32 v2, v5, v2, vcc_lo
	ds_store_b64 v4, v[1:2] offset:2064
.LBB171_88:
	s_or_b32 exec_lo, exec_lo, s14
	s_delay_alu instid0(SALU_CYCLE_1)
	s_mov_b32 s14, exec_lo
	s_waitcnt lgkmcnt(0)
	s_barrier
	buffer_gl0_inv
	v_cmpx_gt_u32_e32 8, v0
	s_cbranch_execz .LBB171_90
; %bb.89:
	v_lshlrev_b32_e32 v2, 3, v0
	ds_load_b64 v[5:6], v2 offset:2064
	s_waitcnt lgkmcnt(0)
	v_mov_b32_dpp v7, v6 row_shr:1 row_mask:0xf bank_mask:0xf
	v_cmp_eq_u32_e32 vcc_lo, 0, v5
	v_mov_b32_dpp v37, v5 row_shr:1 row_mask:0xf bank_mask:0xf
	s_delay_alu instid0(VALU_DEP_3) | instskip(NEXT) | instid1(VALU_DEP_1)
	v_dual_add_f32 v7, v6, v7 :: v_dual_and_b32 v8, 7, v70
	v_cndmask_b32_e32 v7, v6, v7, vcc_lo
	s_delay_alu instid0(VALU_DEP_2) | instskip(NEXT) | instid1(VALU_DEP_4)
	v_cmp_eq_u32_e32 vcc_lo, 0, v8
	v_cndmask_b32_e64 v37, v37, 0, vcc_lo
	s_delay_alu instid0(VALU_DEP_1) | instskip(NEXT) | instid1(VALU_DEP_1)
	v_dual_cndmask_b32 v6, v7, v6 :: v_dual_add_nc_u32 v5, v37, v5
	v_mov_b32_dpp v7, v6 row_shr:2 row_mask:0xf bank_mask:0xf
	s_delay_alu instid0(VALU_DEP_2) | instskip(NEXT) | instid1(VALU_DEP_2)
	v_cmp_eq_u32_e32 vcc_lo, 0, v5
	v_add_f32_e32 v7, v6, v7
	v_mov_b32_dpp v37, v5 row_shr:2 row_mask:0xf bank_mask:0xf
	s_delay_alu instid0(VALU_DEP_2) | instskip(SKIP_1) | instid1(VALU_DEP_2)
	v_cndmask_b32_e32 v7, v6, v7, vcc_lo
	v_cmp_lt_u32_e32 vcc_lo, 1, v8
	v_dual_cndmask_b32 v6, v6, v7 :: v_dual_cndmask_b32 v7, 0, v37
	v_cmp_lt_u32_e32 vcc_lo, 3, v8
	s_delay_alu instid0(VALU_DEP_2) | instskip(NEXT) | instid1(VALU_DEP_1)
	v_mov_b32_dpp v37, v6 row_shr:4 row_mask:0xf bank_mask:0xf
	v_add_f32_e32 v8, v6, v37
	s_delay_alu instid0(VALU_DEP_4) | instskip(NEXT) | instid1(VALU_DEP_1)
	v_add_nc_u32_e32 v5, v7, v5
	v_mov_b32_dpp v7, v5 row_shr:4 row_mask:0xf bank_mask:0xf
	v_cmp_eq_u32_e64 s13, 0, v5
	s_delay_alu instid0(VALU_DEP_2) | instskip(NEXT) | instid1(VALU_DEP_2)
	v_cndmask_b32_e32 v7, 0, v7, vcc_lo
	s_and_b32 vcc_lo, vcc_lo, s13
	s_delay_alu instid0(VALU_DEP_1)
	v_dual_cndmask_b32 v6, v6, v8 :: v_dual_add_nc_u32 v5, v7, v5
	ds_store_b64 v2, v[5:6] offset:2064
.LBB171_90:
	s_or_b32 exec_lo, exec_lo, s14
	v_cmp_gt_u32_e32 vcc_lo, 32, v0
	v_dual_mov_b32 v37, 0 :: v_dual_mov_b32 v38, 0
	s_mov_b32 s14, exec_lo
	s_waitcnt lgkmcnt(0)
	s_barrier
	buffer_gl0_inv
	v_cmpx_lt_u32_e32 31, v0
	s_cbranch_execz .LBB171_92
; %bb.91:
	ds_load_b64 v[37:38], v4 offset:2056
	v_cmp_eq_u32_e64 s13, 0, v1
	s_waitcnt lgkmcnt(0)
	v_add_nc_u32_e32 v4, v37, v1
	s_delay_alu instid0(VALU_DEP_1) | instskip(NEXT) | instid1(VALU_DEP_1)
	v_dual_add_f32 v2, v3, v38 :: v_dual_mov_b32 v1, v4
	v_cndmask_b32_e64 v3, v3, v2, s13
.LBB171_92:
	s_or_b32 exec_lo, exec_lo, s14
	v_add_nc_u32_e32 v2, -1, v70
	s_delay_alu instid0(VALU_DEP_1) | instskip(NEXT) | instid1(VALU_DEP_1)
	v_cmp_gt_i32_e64 s13, 0, v2
	v_cndmask_b32_e64 v2, v2, v70, s13
	v_cmp_eq_u32_e64 s13, 0, v70
	s_delay_alu instid0(VALU_DEP_2)
	v_lshlrev_b32_e32 v2, 2, v2
	ds_bpermute_b32 v45, v2, v1
	ds_bpermute_b32 v47, v2, v3
	s_and_saveexec_b32 s17, vcc_lo
	s_cbranch_execz .LBB171_110
; %bb.93:
	v_mov_b32_e32 v4, 0
	ds_load_b64 v[1:2], v4 offset:2120
	s_waitcnt lgkmcnt(0)
	v_readfirstlane_b32 s18, v2
	s_and_saveexec_b32 s14, s13
	s_cbranch_execz .LBB171_95
; %bb.94:
	s_add_i32 s26, s15, 32
	s_mov_b32 s27, 0
	v_mov_b32_e32 v3, 1
	s_lshl_b64 s[30:31], s[26:27], 4
	s_mov_b32 s40, s27
	s_add_u32 s30, s24, s30
	s_addc_u32 s31, s25, s31
	s_and_b32 s41, s18, 0xff000000
	s_and_b32 s45, s18, 0xff0000
	s_mov_b32 s44, s27
	v_dual_mov_b32 v5, s30 :: v_dual_mov_b32 v6, s31
	s_or_b64 s[40:41], s[44:45], s[40:41]
	s_and_b32 s45, s18, 0xff00
	s_delay_alu instid0(SALU_CYCLE_1) | instskip(SKIP_1) | instid1(SALU_CYCLE_1)
	s_or_b64 s[40:41], s[40:41], s[44:45]
	s_and_b32 s45, s18, 0xff
	s_or_b64 s[26:27], s[40:41], s[44:45]
	s_delay_alu instid0(SALU_CYCLE_1)
	v_mov_b32_e32 v2, s27
	;;#ASMSTART
	global_store_dwordx4 v[5:6], v[1:4] off	
s_waitcnt vmcnt(0)
	;;#ASMEND
.LBB171_95:
	s_or_b32 exec_lo, exec_lo, s14
	v_xad_u32 v39, v70, -1, s15
	s_mov_b32 s19, 0
	s_mov_b32 s14, exec_lo
	s_delay_alu instid0(VALU_DEP_1) | instskip(NEXT) | instid1(VALU_DEP_1)
	v_add_nc_u32_e32 v3, 32, v39
	v_lshlrev_b64 v[2:3], 4, v[3:4]
	s_delay_alu instid0(VALU_DEP_1) | instskip(NEXT) | instid1(VALU_DEP_2)
	v_add_co_u32 v2, vcc_lo, s24, v2
	v_add_co_ci_u32_e32 v3, vcc_lo, s25, v3, vcc_lo
	;;#ASMSTART
	global_load_dwordx4 v[5:8], v[2:3] off glc	
s_waitcnt vmcnt(0)
	;;#ASMEND
	v_perm_b32 v4, v6, v7, 0x70605
	v_perm_b32 v8, v6, v7, 0x1000706
	;; [unrolled: 1-line block ×3, first 2 shown]
	v_and_b32_e32 v49, 0xff, v7
	s_delay_alu instid0(VALU_DEP_4) | instskip(NEXT) | instid1(VALU_DEP_4)
	v_lshlrev_b32_e32 v4, 8, v4
	v_lshlrev_b32_e32 v8, 16, v8
	s_delay_alu instid0(VALU_DEP_4) | instskip(SKIP_1) | instid1(VALU_DEP_4)
	v_lshlrev_b32_e32 v41, 24, v40
	v_alignbit_b32 v40, v6, v5, 16
	v_perm_b32 v4, v4, v6, 0xc0c0500
	s_delay_alu instid0(VALU_DEP_4) | instskip(SKIP_2) | instid1(VALU_DEP_3)
	v_and_b32_e32 v42, 0xff0000, v8
	v_alignbit_b32 v8, v6, v5, 8
	v_alignbit_b32 v6, v6, v5, 24
	v_or3_b32 v4, v4, v42, v41
	v_cmpx_eq_u16_e32 0, v49
	s_cbranch_execz .LBB171_98
.LBB171_96:                             ; =>This Inner Loop Header: Depth=1
	;;#ASMSTART
	global_load_dwordx4 v[5:8], v[2:3] off glc	
s_waitcnt vmcnt(0)
	;;#ASMEND
	v_and_b32_e32 v4, 0xff, v7
	s_delay_alu instid0(VALU_DEP_1) | instskip(SKIP_1) | instid1(SALU_CYCLE_1)
	v_cmp_ne_u16_e32 vcc_lo, 0, v4
	s_or_b32 s19, vcc_lo, s19
	s_and_not1_b32 exec_lo, exec_lo, s19
	s_cbranch_execnz .LBB171_96
; %bb.97:
	s_or_b32 exec_lo, exec_lo, s19
	v_perm_b32 v2, v6, v7, 0x70605
	v_perm_b32 v3, v6, v7, 0x1000706
	;; [unrolled: 1-line block ×3, first 2 shown]
	v_alignbit_b32 v8, v6, v5, 8
	v_alignbit_b32 v40, v6, v5, 16
	v_lshlrev_b32_e32 v2, 8, v2
	v_lshlrev_b32_e32 v3, 16, v3
	;; [unrolled: 1-line block ×3, first 2 shown]
	s_delay_alu instid0(VALU_DEP_3) | instskip(NEXT) | instid1(VALU_DEP_3)
	v_perm_b32 v2, v2, v6, 0xc0c0500
	v_and_b32_e32 v3, 0xff0000, v3
	v_alignbit_b32 v6, v6, v5, 24
	s_delay_alu instid0(VALU_DEP_2)
	v_or3_b32 v4, v2, v3, v4
.LBB171_98:
	s_or_b32 exec_lo, exec_lo, s14
	v_cmp_ne_u32_e32 vcc_lo, 31, v70
	v_lshlrev_b32_e32 v8, 8, v8
	v_cmp_gt_u32_e64 s14, 30, v70
	v_and_b32_e32 v5, 0xff, v5
	v_lshlrev_b32_e64 v49, v70, -1
	v_add_co_ci_u32_e32 v2, vcc_lo, 0, v70, vcc_lo
	v_and_b32_e32 v8, 0xff00, v8
	v_add_nc_u32_e32 v53, 2, v70
	v_add_nc_u32_e32 v66, 4, v70
	s_delay_alu instid0(VALU_DEP_4)
	v_lshlrev_b32_e32 v2, 2, v2
	v_add_nc_u32_e32 v68, 8, v70
	v_add_nc_u32_e32 v75, 16, v70
	ds_bpermute_b32 v3, v2, v4
	s_waitcnt lgkmcnt(0)
	v_dual_add_f32 v3, v4, v3 :: v_dual_lshlrev_b32 v40, 16, v40
	s_delay_alu instid0(VALU_DEP_1) | instskip(SKIP_1) | instid1(VALU_DEP_2)
	v_perm_b32 v6, v6, v40, 0x4020c0c
	v_cndmask_b32_e64 v40, 0, 1, s14
	v_or3_b32 v5, v6, v8, v5
	s_delay_alu instid0(VALU_DEP_2) | instskip(NEXT) | instid1(VALU_DEP_1)
	v_lshlrev_b32_e32 v6, 1, v40
	v_add_lshl_u32 v51, v6, v70, 2
	ds_bpermute_b32 v6, v2, v5
	v_and_b32_e32 v41, 0xff, v7
	s_delay_alu instid0(VALU_DEP_1) | instskip(SKIP_2) | instid1(VALU_DEP_2)
	v_cmp_eq_u16_e32 vcc_lo, 2, v41
	v_and_or_b32 v41, vcc_lo, v49, 0x80000000
	v_cmp_eq_u32_e32 vcc_lo, 0, v5
	v_ctz_i32_b32_e32 v8, v41
	v_cndmask_b32_e32 v3, v4, v3, vcc_lo
	s_delay_alu instid0(VALU_DEP_2) | instskip(SKIP_1) | instid1(VALU_DEP_2)
	v_cmp_lt_u32_e32 vcc_lo, v70, v8
	s_waitcnt lgkmcnt(0)
	v_dual_cndmask_b32 v6, 0, v6 :: v_dual_cndmask_b32 v3, v4, v3
	v_cmp_gt_u32_e32 vcc_lo, 28, v70
	ds_bpermute_b32 v4, v51, v3
	v_cndmask_b32_e64 v40, 0, 1, vcc_lo
	s_waitcnt lgkmcnt(0)
	v_dual_add_f32 v4, v3, v4 :: v_dual_add_nc_u32 v5, v6, v5
	s_delay_alu instid0(VALU_DEP_2) | instskip(NEXT) | instid1(VALU_DEP_2)
	v_lshlrev_b32_e32 v6, 2, v40
	v_cmp_eq_u32_e32 vcc_lo, 0, v5
	s_delay_alu instid0(VALU_DEP_2) | instskip(NEXT) | instid1(VALU_DEP_4)
	v_add_lshl_u32 v55, v6, v70, 2
	v_cndmask_b32_e32 v4, v3, v4, vcc_lo
	v_cmp_gt_u32_e32 vcc_lo, v53, v8
	ds_bpermute_b32 v40, v51, v5
	v_cndmask_b32_e32 v3, v4, v3, vcc_lo
	ds_bpermute_b32 v4, v55, v3
	s_waitcnt lgkmcnt(1)
	v_cndmask_b32_e64 v6, v40, 0, vcc_lo
	v_cmp_gt_u32_e32 vcc_lo, 24, v70
	s_waitcnt lgkmcnt(0)
	s_delay_alu instid0(VALU_DEP_2) | instskip(SKIP_1) | instid1(VALU_DEP_2)
	v_dual_add_f32 v4, v3, v4 :: v_dual_add_nc_u32 v5, v5, v6
	v_cndmask_b32_e64 v6, 0, 1, vcc_lo
	v_cmp_eq_u32_e32 vcc_lo, 0, v5
	s_delay_alu instid0(VALU_DEP_2) | instskip(NEXT) | instid1(VALU_DEP_4)
	v_lshlrev_b32_e32 v6, 3, v6
	v_cndmask_b32_e32 v4, v3, v4, vcc_lo
	ds_bpermute_b32 v40, v55, v5
	v_cmp_gt_u32_e32 vcc_lo, v66, v8
	v_add_lshl_u32 v67, v6, v70, 2
	v_cndmask_b32_e32 v3, v4, v3, vcc_lo
	ds_bpermute_b32 v4, v67, v3
	s_waitcnt lgkmcnt(1)
	v_cndmask_b32_e64 v6, v40, 0, vcc_lo
	v_cmp_gt_u32_e32 vcc_lo, 16, v70
	s_delay_alu instid0(VALU_DEP_2)
	v_add_nc_u32_e32 v5, v5, v6
	v_cndmask_b32_e64 v40, 0, 1, vcc_lo
	s_waitcnt lgkmcnt(0)
	v_add_f32_e32 v4, v3, v4
	ds_bpermute_b32 v6, v67, v5
	v_cmp_eq_u32_e32 vcc_lo, 0, v5
	v_lshlrev_b32_e32 v40, 4, v40
	v_cndmask_b32_e32 v4, v3, v4, vcc_lo
	v_cmp_gt_u32_e32 vcc_lo, v68, v8
	s_delay_alu instid0(VALU_DEP_3) | instskip(SKIP_2) | instid1(VALU_DEP_1)
	v_add_lshl_u32 v69, v40, v70, 2
	s_waitcnt lgkmcnt(0)
	v_cndmask_b32_e64 v6, v6, 0, vcc_lo
	v_add_nc_u32_e32 v5, v5, v6
	v_cndmask_b32_e32 v3, v4, v3, vcc_lo
	ds_bpermute_b32 v40, v69, v5
	ds_bpermute_b32 v4, v69, v3
	v_cmp_eq_u32_e32 vcc_lo, 0, v5
	s_waitcnt lgkmcnt(0)
	v_add_f32_e32 v4, v3, v4
	s_delay_alu instid0(VALU_DEP_1) | instskip(SKIP_1) | instid1(VALU_DEP_2)
	v_cndmask_b32_e32 v4, v3, v4, vcc_lo
	v_cmp_gt_u32_e32 vcc_lo, v75, v8
	v_cndmask_b32_e32 v6, v4, v3, vcc_lo
	v_cndmask_b32_e64 v3, v40, 0, vcc_lo
	s_delay_alu instid0(VALU_DEP_1)
	v_dual_mov_b32 v40, 0 :: v_dual_add_nc_u32 v5, v3, v5
	s_branch .LBB171_100
.LBB171_99:                             ;   in Loop: Header=BB171_100 Depth=1
	s_or_b32 exec_lo, exec_lo, s14
	ds_bpermute_b32 v41, v2, v6
	v_lshlrev_b32_e32 v42, 16, v77
	v_lshlrev_b32_e32 v8, 8, v8
	v_and_b32_e32 v5, 0xff, v5
	v_and_b32_e32 v77, 0xff, v7
	v_subrev_nc_u32_e32 v39, 32, v39
	v_perm_b32 v42, v76, v42, 0x4020c0c
	v_and_b32_e32 v8, 0xff00, v8
	s_delay_alu instid0(VALU_DEP_1)
	v_or3_b32 v5, v42, v8, v5
	ds_bpermute_b32 v42, v2, v5
	s_waitcnt lgkmcnt(1)
	v_add_f32_e32 v8, v6, v41
	v_cmp_eq_u16_e32 vcc_lo, 2, v77
	v_and_or_b32 v76, vcc_lo, v49, 0x80000000
	v_cmp_eq_u32_e32 vcc_lo, 0, v5
	s_delay_alu instid0(VALU_DEP_2) | instskip(SKIP_1) | instid1(VALU_DEP_2)
	v_ctz_i32_b32_e32 v41, v76
	v_cndmask_b32_e32 v8, v6, v8, vcc_lo
	v_cmp_lt_u32_e32 vcc_lo, v70, v41
	s_waitcnt lgkmcnt(0)
	v_cndmask_b32_e32 v42, 0, v42, vcc_lo
	s_delay_alu instid0(VALU_DEP_1)
	v_add_nc_u32_e32 v5, v42, v5
	v_cndmask_b32_e32 v6, v6, v8, vcc_lo
	ds_bpermute_b32 v42, v51, v5
	ds_bpermute_b32 v8, v51, v6
	v_cmp_eq_u32_e32 vcc_lo, 0, v5
	s_waitcnt lgkmcnt(0)
	v_add_f32_e32 v8, v6, v8
	s_delay_alu instid0(VALU_DEP_1) | instskip(SKIP_2) | instid1(VALU_DEP_1)
	v_cndmask_b32_e32 v8, v6, v8, vcc_lo
	v_cmp_gt_u32_e32 vcc_lo, v53, v41
	v_cndmask_b32_e64 v42, v42, 0, vcc_lo
	v_add_nc_u32_e32 v5, v5, v42
	s_delay_alu instid0(VALU_DEP_4) | instskip(NEXT) | instid1(VALU_DEP_2)
	v_cndmask_b32_e32 v6, v8, v6, vcc_lo
	v_cmp_eq_u32_e32 vcc_lo, 0, v5
	ds_bpermute_b32 v8, v55, v6
	ds_bpermute_b32 v42, v55, v5
	s_waitcnt lgkmcnt(1)
	v_add_f32_e32 v8, v6, v8
	s_delay_alu instid0(VALU_DEP_1) | instskip(SKIP_1) | instid1(VALU_DEP_2)
	v_cndmask_b32_e32 v8, v6, v8, vcc_lo
	v_cmp_gt_u32_e32 vcc_lo, v66, v41
	v_cndmask_b32_e32 v6, v8, v6, vcc_lo
	s_waitcnt lgkmcnt(0)
	v_cndmask_b32_e64 v42, v42, 0, vcc_lo
	ds_bpermute_b32 v8, v67, v6
	v_add_nc_u32_e32 v5, v5, v42
	ds_bpermute_b32 v42, v67, v5
	v_cmp_eq_u32_e32 vcc_lo, 0, v5
	s_waitcnt lgkmcnt(1)
	v_add_f32_e32 v8, v6, v8
	s_delay_alu instid0(VALU_DEP_1) | instskip(SKIP_1) | instid1(VALU_DEP_2)
	v_cndmask_b32_e32 v8, v6, v8, vcc_lo
	v_cmp_gt_u32_e32 vcc_lo, v68, v41
	v_cndmask_b32_e32 v6, v8, v6, vcc_lo
	s_waitcnt lgkmcnt(0)
	v_cndmask_b32_e64 v42, v42, 0, vcc_lo
	ds_bpermute_b32 v8, v69, v6
	v_add_nc_u32_e32 v5, v5, v42
	ds_bpermute_b32 v42, v69, v5
	v_cmp_eq_u32_e32 vcc_lo, 0, v5
	s_waitcnt lgkmcnt(1)
	v_add_f32_e32 v8, v6, v8
	s_delay_alu instid0(VALU_DEP_1) | instskip(SKIP_1) | instid1(VALU_DEP_2)
	v_cndmask_b32_e32 v8, v6, v8, vcc_lo
	v_cmp_gt_u32_e32 vcc_lo, v75, v41
	v_cndmask_b32_e32 v6, v8, v6, vcc_lo
	s_waitcnt lgkmcnt(0)
	v_cndmask_b32_e64 v8, v42, 0, vcc_lo
	v_cmp_eq_u32_e32 vcc_lo, 0, v3
	s_delay_alu instid0(VALU_DEP_3) | instskip(NEXT) | instid1(VALU_DEP_3)
	v_add_f32_e32 v6, v4, v6
	v_add3_u32 v5, v5, v3, v8
	s_delay_alu instid0(VALU_DEP_2)
	v_cndmask_b32_e32 v6, v4, v6, vcc_lo
.LBB171_100:                            ; =>This Loop Header: Depth=1
                                        ;     Child Loop BB171_103 Depth 2
	s_delay_alu instid0(VALU_DEP_1) | instskip(NEXT) | instid1(VALU_DEP_1)
	v_dual_mov_b32 v4, v6 :: v_dual_and_b32 v3, 0xff, v7
	v_cmp_ne_u16_e32 vcc_lo, 2, v3
	v_cndmask_b32_e64 v3, 0, 1, vcc_lo
	;;#ASMSTART
	;;#ASMEND
	s_delay_alu instid0(VALU_DEP_1)
	v_cmp_ne_u32_e32 vcc_lo, 0, v3
	v_mov_b32_e32 v3, v5
	s_cmp_lg_u32 vcc_lo, exec_lo
	s_cbranch_scc1 .LBB171_105
; %bb.101:                              ;   in Loop: Header=BB171_100 Depth=1
	v_lshlrev_b64 v[5:6], 4, v[39:40]
	s_mov_b32 s14, exec_lo
	s_delay_alu instid0(VALU_DEP_1) | instskip(NEXT) | instid1(VALU_DEP_2)
	v_add_co_u32 v41, vcc_lo, s24, v5
	v_add_co_ci_u32_e32 v42, vcc_lo, s25, v6, vcc_lo
	;;#ASMSTART
	global_load_dwordx4 v[5:8], v[41:42] off glc	
s_waitcnt vmcnt(0)
	;;#ASMEND
	v_perm_b32 v8, v6, v7, 0x70605
	v_perm_b32 v76, v6, v7, 0x1000706
	;; [unrolled: 1-line block ×3, first 2 shown]
	v_and_b32_e32 v81, 0xff, v7
	s_delay_alu instid0(VALU_DEP_4) | instskip(NEXT) | instid1(VALU_DEP_4)
	v_lshlrev_b32_e32 v8, 8, v8
	v_lshlrev_b32_e32 v76, 16, v76
	s_delay_alu instid0(VALU_DEP_4) | instskip(SKIP_1) | instid1(VALU_DEP_4)
	v_lshlrev_b32_e32 v78, 24, v77
	v_alignbit_b32 v77, v6, v5, 16
	v_perm_b32 v79, v8, v6, 0xc0c0500
	s_delay_alu instid0(VALU_DEP_4) | instskip(SKIP_2) | instid1(VALU_DEP_3)
	v_and_b32_e32 v80, 0xff0000, v76
	v_alignbit_b32 v8, v6, v5, 8
	v_alignbit_b32 v76, v6, v5, 24
	v_or3_b32 v6, v79, v80, v78
	v_cmpx_eq_u16_e32 0, v81
	s_cbranch_execz .LBB171_99
; %bb.102:                              ;   in Loop: Header=BB171_100 Depth=1
	s_mov_b32 s19, 0
.LBB171_103:                            ;   Parent Loop BB171_100 Depth=1
                                        ; =>  This Inner Loop Header: Depth=2
	;;#ASMSTART
	global_load_dwordx4 v[5:8], v[41:42] off glc	
s_waitcnt vmcnt(0)
	;;#ASMEND
	v_and_b32_e32 v8, 0xff, v7
	s_delay_alu instid0(VALU_DEP_1) | instskip(SKIP_1) | instid1(SALU_CYCLE_1)
	v_cmp_ne_u16_e32 vcc_lo, 0, v8
	s_or_b32 s19, vcc_lo, s19
	s_and_not1_b32 exec_lo, exec_lo, s19
	s_cbranch_execnz .LBB171_103
; %bb.104:                              ;   in Loop: Header=BB171_100 Depth=1
	s_or_b32 exec_lo, exec_lo, s19
	v_perm_b32 v8, v6, v7, 0x70605
	v_perm_b32 v41, v6, v7, 0x1000706
	;; [unrolled: 1-line block ×3, first 2 shown]
	v_alignbit_b32 v77, v6, v5, 16
	v_alignbit_b32 v76, v6, v5, 24
	v_lshlrev_b32_e32 v8, 8, v8
	v_lshlrev_b32_e32 v41, 16, v41
	;; [unrolled: 1-line block ×3, first 2 shown]
	s_delay_alu instid0(VALU_DEP_3) | instskip(NEXT) | instid1(VALU_DEP_3)
	v_perm_b32 v78, v8, v6, 0xc0c0500
	v_and_b32_e32 v41, 0xff0000, v41
	v_alignbit_b32 v8, v6, v5, 8
	s_delay_alu instid0(VALU_DEP_2)
	v_or3_b32 v6, v78, v41, v42
	s_branch .LBB171_99
.LBB171_105:                            ;   in Loop: Header=BB171_100 Depth=1
                                        ; implicit-def: $vgpr6
                                        ; implicit-def: $vgpr5
                                        ; implicit-def: $vgpr7
	s_cbranch_execz .LBB171_100
; %bb.106:
	s_and_saveexec_b32 s14, s13
	s_cbranch_execz .LBB171_108
; %bb.107:
	v_dual_add_f32 v2, s18, v4 :: v_dual_add_nc_u32 v5, v3, v1
	v_cmp_eq_u32_e32 vcc_lo, 0, v1
	s_mov_b32 s27, 0
	s_add_i32 s26, s15, 32
	v_mov_b32_e32 v8, 0
	s_lshl_b64 s[26:27], s[26:27], 4
	v_cndmask_b32_e32 v2, s18, v2, vcc_lo
	s_add_u32 s26, s24, s26
	s_addc_u32 s27, s25, s27
	s_delay_alu instid0(VALU_DEP_1) | instskip(SKIP_1) | instid1(VALU_DEP_1)
	v_and_b32_e32 v6, 0xff000000, v2
	v_and_b32_e32 v7, 0xff0000, v2
	v_or_b32_e32 v6, v7, v6
	v_mov_b32_e32 v7, 2
	v_and_b32_e32 v39, 0xff00, v2
	v_and_b32_e32 v2, 0xff, v2
	s_delay_alu instid0(VALU_DEP_1)
	v_or3_b32 v6, v6, v39, v2
	v_mov_b32_e32 v2, s18
	v_dual_mov_b32 v40, s27 :: v_dual_mov_b32 v39, s26
	;;#ASMSTART
	global_store_dwordx4 v[39:40], v[5:8] off	
s_waitcnt vmcnt(0)
	;;#ASMEND
	ds_store_b128 v8, v[1:4] offset:2048
.LBB171_108:
	s_or_b32 exec_lo, exec_lo, s14
	v_cmp_eq_u32_e32 vcc_lo, 0, v0
	s_and_b32 exec_lo, exec_lo, vcc_lo
	s_cbranch_execz .LBB171_110
; %bb.109:
	v_mov_b32_e32 v1, 0
	ds_store_b64 v1, v[3:4] offset:2120
.LBB171_110:
	s_or_b32 exec_lo, exec_lo, s17
	s_waitcnt lgkmcnt(1)
	v_cndmask_b32_e64 v7, v45, v37, s13
	s_waitcnt lgkmcnt(0)
	v_cndmask_b32_e64 v2, v47, v38, s13
	s_barrier
	buffer_gl0_inv
	v_cmp_eq_u32_e32 vcc_lo, 0, v7
	v_mov_b32_e32 v1, 0
	v_cmp_eq_u32_e64 s13, 0, v43
	ds_load_b64 v[5:6], v1 offset:2120
	s_waitcnt lgkmcnt(0)
	s_barrier
	buffer_gl0_inv
	v_add_f32_e32 v3, v2, v6
	s_delay_alu instid0(VALU_DEP_1) | instskip(SKIP_1) | instid1(VALU_DEP_2)
	v_cndmask_b32_e32 v2, v2, v3, vcc_lo
	v_cmp_eq_u32_e32 vcc_lo, 0, v0
	v_cndmask_b32_e32 v69, v2, v6, vcc_lo
	s_delay_alu instid0(VALU_DEP_1) | instskip(NEXT) | instid1(VALU_DEP_1)
	v_add_f32_e32 v2, v35, v69
	v_cndmask_b32_e64 v68, v35, v2, s13
	s_delay_alu instid0(VALU_DEP_1) | instskip(NEXT) | instid1(VALU_DEP_1)
	v_add_f32_e32 v2, v36, v68
	v_cndmask_b32_e64 v67, v36, v2, s12
	;; [unrolled: 3-line block ×11, first 2 shown]
	ds_load_b128 v[1:4], v1 offset:2048
	v_add_f32_e32 v6, v26, v39
	s_delay_alu instid0(VALU_DEP_1) | instskip(NEXT) | instid1(VALU_DEP_1)
	v_cndmask_b32_e64 v40, v26, v6, s2
	v_add_f32_e32 v6, v23, v40
	s_delay_alu instid0(VALU_DEP_1)
	v_cndmask_b32_e64 v38, v23, v6, s1
	v_cndmask_b32_e64 v6, v7, 0, vcc_lo
	s_waitcnt lgkmcnt(0)
	v_add_f32_e32 v4, v4, v2
	v_cmp_eq_u32_e32 vcc_lo, 0, v1
	v_add_f32_e32 v7, v24, v38
	v_dual_mov_b32 v5, v3 :: v_dual_add_nc_u32 v6, v5, v6
	s_delay_alu instid0(VALU_DEP_4) | instskip(NEXT) | instid1(VALU_DEP_3)
	v_cndmask_b32_e32 v37, v2, v4, vcc_lo
	v_cndmask_b32_e64 v45, v24, v7, s0
	s_delay_alu instid0(VALU_DEP_3)
	v_mov_b32_e32 v4, v6
	s_branch .LBB171_123
.LBB171_111:
                                        ; implicit-def: $vgpr1
                                        ; implicit-def: $vgpr37
                                        ; implicit-def: $vgpr5
                                        ; implicit-def: $vgpr45
                                        ; implicit-def: $vgpr38
                                        ; implicit-def: $vgpr40
                                        ; implicit-def: $vgpr39
                                        ; implicit-def: $vgpr41
                                        ; implicit-def: $vgpr42
                                        ; implicit-def: $vgpr47
                                        ; implicit-def: $vgpr49
                                        ; implicit-def: $vgpr51
                                        ; implicit-def: $vgpr53
                                        ; implicit-def: $vgpr55
                                        ; implicit-def: $vgpr66
                                        ; implicit-def: $vgpr67
                                        ; implicit-def: $vgpr68
                                        ; implicit-def: $vgpr69
	s_cbranch_execz .LBB171_123
; %bb.112:
	s_and_b32 s0, s16, exec_lo
	v_mov_b32_e32 v5, v35
	s_cselect_b32 s1, 0, s35
	s_cselect_b32 s0, 0, s34
	s_delay_alu instid0(SALU_CYCLE_1)
	s_cmp_eq_u64 s[0:1], 0
	s_cbranch_scc1 .LBB171_114
; %bb.113:
	v_mov_b32_e32 v1, 0
	global_load_b32 v5, v1, s[0:1]
.LBB171_114:
	v_cmp_eq_u32_e64 s0, 0, v57
	v_cmp_eq_u32_e64 s1, 0, v56
	v_add3_u32 v2, v73, v62, v61
	v_cmp_eq_u32_e64 s2, 0, v64
	v_cmp_eq_u32_e64 s3, 0, v63
	v_cndmask_b32_e64 v1, v36, v74, s0
	v_cmp_eq_u32_e64 s4, 0, v62
	v_add3_u32 v2, v2, v60, v44
	v_cmp_eq_u32_e64 s5, 0, v61
	v_cmp_eq_u32_e64 s6, 0, v60
	v_dual_add_f32 v1, v33, v1 :: v_dual_and_b32 v4, 15, v70
	s_delay_alu instid0(VALU_DEP_4) | instskip(SKIP_2) | instid1(VALU_DEP_4)
	v_add3_u32 v2, v2, v46, v48
	v_cmp_eq_u32_e64 s7, 0, v44
	v_cmp_eq_u32_e64 s9, 0, v46
	v_cndmask_b32_e64 v1, v33, v1, s1
	v_cmp_eq_u32_e64 s11, 0, v48
	v_add3_u32 v2, v2, v50, v52
	v_cmp_eq_u32_e64 s8, 0, v50
	v_cmp_eq_u32_e64 s10, 0, v52
	v_add_f32_e32 v1, v34, v1
	v_cmp_eq_u32_e32 vcc_lo, 0, v54
	v_add3_u32 v2, v2, v54, v59
	v_cmp_eq_u32_e64 s12, 0, v59
	v_and_b32_e32 v7, 16, v70
	v_cndmask_b32_e64 v1, v34, v1, s2
	s_delay_alu instid0(VALU_DEP_4) | instskip(NEXT) | instid1(VALU_DEP_3)
	v_mov_b32_dpp v6, v2 row_shr:1 row_mask:0xf bank_mask:0xf
	v_cmp_eq_u32_e64 s13, 0, v7
	s_delay_alu instid0(VALU_DEP_3) | instskip(NEXT) | instid1(VALU_DEP_1)
	v_add_f32_e32 v1, v31, v1
	v_cndmask_b32_e64 v1, v31, v1, s3
	s_delay_alu instid0(VALU_DEP_1) | instskip(NEXT) | instid1(VALU_DEP_1)
	v_add_f32_e32 v1, v32, v1
	v_cndmask_b32_e64 v1, v32, v1, s4
	s_delay_alu instid0(VALU_DEP_1) | instskip(NEXT) | instid1(VALU_DEP_1)
	;; [unrolled: 3-line block ×9, first 2 shown]
	v_add_f32_e32 v1, v24, v1
	v_cndmask_b32_e32 v1, v24, v1, vcc_lo
	s_delay_alu instid0(VALU_DEP_1) | instskip(NEXT) | instid1(VALU_DEP_1)
	v_add_f32_e32 v1, v65, v1
	v_cndmask_b32_e64 v1, v65, v1, s12
	v_cmp_eq_u32_e64 s12, 0, v2
	s_delay_alu instid0(VALU_DEP_2) | instskip(NEXT) | instid1(VALU_DEP_1)
	v_mov_b32_dpp v3, v1 row_shr:1 row_mask:0xf bank_mask:0xf
	v_add_f32_e32 v3, v1, v3
	s_delay_alu instid0(VALU_DEP_1) | instskip(SKIP_1) | instid1(VALU_DEP_1)
	v_cndmask_b32_e64 v3, v1, v3, s12
	v_cmp_eq_u32_e64 s12, 0, v4
	v_cndmask_b32_e64 v6, v6, 0, s12
	s_delay_alu instid0(VALU_DEP_3) | instskip(NEXT) | instid1(VALU_DEP_2)
	v_cndmask_b32_e64 v1, v3, v1, s12
	v_add_nc_u32_e32 v2, v6, v2
	s_delay_alu instid0(VALU_DEP_2) | instskip(NEXT) | instid1(VALU_DEP_2)
	v_mov_b32_dpp v3, v1 row_shr:2 row_mask:0xf bank_mask:0xf
	v_cmp_eq_u32_e64 s12, 0, v2
	s_delay_alu instid0(VALU_DEP_2) | instskip(SKIP_1) | instid1(VALU_DEP_2)
	v_add_f32_e32 v3, v1, v3
	v_mov_b32_dpp v6, v2 row_shr:2 row_mask:0xf bank_mask:0xf
	v_cndmask_b32_e64 v3, v1, v3, s12
	v_cmp_lt_u32_e64 s12, 1, v4
	s_delay_alu instid0(VALU_DEP_1) | instskip(NEXT) | instid1(VALU_DEP_4)
	v_cndmask_b32_e64 v1, v1, v3, s12
	v_cndmask_b32_e64 v3, 0, v6, s12
	s_delay_alu instid0(VALU_DEP_2) | instskip(NEXT) | instid1(VALU_DEP_1)
	v_mov_b32_dpp v6, v1 row_shr:4 row_mask:0xf bank_mask:0xf
	v_dual_add_f32 v3, v1, v6 :: v_dual_add_nc_u32 v2, v2, v3
	s_delay_alu instid0(VALU_DEP_1) | instskip(SKIP_1) | instid1(VALU_DEP_2)
	v_cmp_eq_u32_e64 s12, 0, v2
	v_mov_b32_dpp v6, v2 row_shr:4 row_mask:0xf bank_mask:0xf
	v_cndmask_b32_e64 v3, v1, v3, s12
	v_cmp_lt_u32_e64 s12, 3, v4
	s_delay_alu instid0(VALU_DEP_1) | instskip(NEXT) | instid1(VALU_DEP_4)
	v_cndmask_b32_e64 v1, v1, v3, s12
	v_cndmask_b32_e64 v3, 0, v6, s12
	s_delay_alu instid0(VALU_DEP_2) | instskip(NEXT) | instid1(VALU_DEP_2)
	v_mov_b32_dpp v6, v1 row_shr:8 row_mask:0xf bank_mask:0xf
	v_add_nc_u32_e32 v2, v3, v2
	s_delay_alu instid0(VALU_DEP_2) | instskip(NEXT) | instid1(VALU_DEP_2)
	v_add_f32_e32 v3, v1, v6
	v_cmp_eq_u32_e64 s12, 0, v2
	v_mov_b32_dpp v6, v2 row_shr:8 row_mask:0xf bank_mask:0xf
	s_delay_alu instid0(VALU_DEP_2) | instskip(SKIP_1) | instid1(VALU_DEP_1)
	v_cndmask_b32_e64 v3, v1, v3, s12
	v_cmp_lt_u32_e64 s12, 7, v4
	v_cndmask_b32_e64 v3, v1, v3, s12
	s_delay_alu instid0(VALU_DEP_4) | instskip(SKIP_1) | instid1(VALU_DEP_2)
	v_cndmask_b32_e64 v1, 0, v6, s12
	v_bfe_i32 v6, v70, 4, 1
	v_add_nc_u32_e32 v1, v1, v2
	ds_swizzle_b32 v2, v3 offset:swizzle(BROADCAST,32,15)
	ds_swizzle_b32 v4, v1 offset:swizzle(BROADCAST,32,15)
	v_cmp_eq_u32_e64 s12, 0, v1
	s_waitcnt lgkmcnt(1)
	v_add_f32_e32 v2, v3, v2
	s_waitcnt lgkmcnt(0)
	v_and_b32_e32 v4, v6, v4
	s_delay_alu instid0(VALU_DEP_2) | instskip(NEXT) | instid1(VALU_DEP_2)
	v_cndmask_b32_e64 v2, v3, v2, s12
	v_add_nc_u32_e32 v1, v4, v1
	s_delay_alu instid0(VALU_DEP_2)
	v_cndmask_b32_e64 v2, v2, v3, s13
	v_lshlrev_b32_e32 v4, 3, v71
	s_mov_b32 s13, exec_lo
	v_cmpx_eq_u32_e64 v72, v0
	s_cbranch_execz .LBB171_116
; %bb.115:
	ds_store_b64 v4, v[1:2] offset:2064
.LBB171_116:
	s_or_b32 exec_lo, exec_lo, s13
	s_delay_alu instid0(SALU_CYCLE_1)
	s_mov_b32 s14, exec_lo
	s_waitcnt vmcnt(0) lgkmcnt(0)
	s_barrier
	buffer_gl0_inv
	v_cmpx_gt_u32_e32 8, v0
	s_cbranch_execz .LBB171_118
; %bb.117:
	v_lshlrev_b32_e32 v3, 3, v0
	v_and_b32_e32 v37, 7, v70
	ds_load_b64 v[6:7], v3 offset:2064
	s_waitcnt lgkmcnt(0)
	v_mov_b32_dpp v8, v7 row_shr:1 row_mask:0xf bank_mask:0xf
	v_cmp_eq_u32_e64 s12, 0, v6
	v_mov_b32_dpp v38, v6 row_shr:1 row_mask:0xf bank_mask:0xf
	s_delay_alu instid0(VALU_DEP_3) | instskip(NEXT) | instid1(VALU_DEP_1)
	v_add_f32_e32 v8, v7, v8
	v_cndmask_b32_e64 v8, v7, v8, s12
	v_cmp_eq_u32_e64 s12, 0, v37
	s_delay_alu instid0(VALU_DEP_1) | instskip(NEXT) | instid1(VALU_DEP_3)
	v_cndmask_b32_e64 v38, v38, 0, s12
	v_cndmask_b32_e64 v7, v8, v7, s12
	s_delay_alu instid0(VALU_DEP_2) | instskip(NEXT) | instid1(VALU_DEP_2)
	v_add_nc_u32_e32 v6, v38, v6
	v_mov_b32_dpp v8, v7 row_shr:2 row_mask:0xf bank_mask:0xf
	s_delay_alu instid0(VALU_DEP_2) | instskip(NEXT) | instid1(VALU_DEP_2)
	v_cmp_eq_u32_e64 s12, 0, v6
	v_add_f32_e32 v8, v7, v8
	v_mov_b32_dpp v38, v6 row_shr:2 row_mask:0xf bank_mask:0xf
	s_delay_alu instid0(VALU_DEP_2) | instskip(SKIP_1) | instid1(VALU_DEP_1)
	v_cndmask_b32_e64 v8, v7, v8, s12
	v_cmp_lt_u32_e64 s12, 1, v37
	v_cndmask_b32_e64 v7, v7, v8, s12
	s_delay_alu instid0(VALU_DEP_4) | instskip(SKIP_1) | instid1(VALU_DEP_3)
	v_cndmask_b32_e64 v8, 0, v38, s12
	v_cmp_lt_u32_e64 s12, 3, v37
	v_mov_b32_dpp v38, v7 row_shr:4 row_mask:0xf bank_mask:0xf
	s_delay_alu instid0(VALU_DEP_3) | instskip(NEXT) | instid1(VALU_DEP_2)
	v_add_nc_u32_e32 v6, v8, v6
	v_add_f32_e32 v37, v7, v38
	s_delay_alu instid0(VALU_DEP_2) | instskip(SKIP_1) | instid1(VALU_DEP_2)
	v_mov_b32_dpp v8, v6 row_shr:4 row_mask:0xf bank_mask:0xf
	v_cmp_eq_u32_e64 s13, 0, v6
	v_cndmask_b32_e64 v8, 0, v8, s12
	s_delay_alu instid0(VALU_DEP_2) | instskip(NEXT) | instid1(SALU_CYCLE_1)
	s_and_b32 s12, s12, s13
	v_cndmask_b32_e64 v7, v7, v37, s12
	s_delay_alu instid0(VALU_DEP_2)
	v_add_nc_u32_e32 v6, v8, v6
	ds_store_b64 v3, v[6:7] offset:2064
.LBB171_118:
	s_or_b32 exec_lo, exec_lo, s14
	v_dual_mov_b32 v6, 0 :: v_dual_mov_b32 v3, 0
	v_mov_b32_e32 v7, v5
	s_mov_b32 s13, exec_lo
	s_waitcnt lgkmcnt(0)
	s_barrier
	buffer_gl0_inv
	v_cmpx_lt_u32_e32 31, v0
	s_cbranch_execz .LBB171_120
; %bb.119:
	ds_load_b64 v[3:4], v4 offset:2056
	s_waitcnt lgkmcnt(0)
	v_add_f32_e32 v7, v5, v4
	v_cmp_eq_u32_e64 s12, 0, v3
	s_delay_alu instid0(VALU_DEP_1)
	v_cndmask_b32_e64 v7, v4, v7, s12
.LBB171_120:
	s_or_b32 exec_lo, exec_lo, s13
	v_add_nc_u32_e32 v4, -1, v70
	s_delay_alu instid0(VALU_DEP_2) | instskip(SKIP_1) | instid1(VALU_DEP_3)
	v_dual_add_f32 v8, v2, v7 :: v_dual_add_nc_u32 v37, v3, v1
	v_cmp_eq_u32_e64 s13, 0, v43
	v_cmp_gt_i32_e64 s12, 0, v4
	s_delay_alu instid0(VALU_DEP_1) | instskip(SKIP_1) | instid1(VALU_DEP_2)
	v_cndmask_b32_e64 v4, v4, v70, s12
	v_cmp_eq_u32_e64 s12, 0, v1
	v_lshlrev_b32_e32 v4, 2, v4
	s_delay_alu instid0(VALU_DEP_2)
	v_cndmask_b32_e64 v1, v2, v8, s12
	v_cmp_eq_u32_e64 s12, 0, v70
	ds_bpermute_b32 v2, v4, v37
	ds_bpermute_b32 v1, v4, v1
	s_waitcnt lgkmcnt(1)
	v_cndmask_b32_e64 v4, v2, v3, s12
	s_waitcnt lgkmcnt(0)
	v_cndmask_b32_e64 v69, v1, v7, s12
	v_cmp_eq_u32_e64 s12, 0, v0
	s_delay_alu instid0(VALU_DEP_1) | instskip(NEXT) | instid1(VALU_DEP_1)
	v_cndmask_b32_e64 v1, v69, v5, s12
	v_add_f32_e32 v1, v35, v1
	s_delay_alu instid0(VALU_DEP_1) | instskip(NEXT) | instid1(VALU_DEP_1)
	v_cndmask_b32_e64 v68, v35, v1, s13
	v_add_f32_e32 v1, v36, v68
	;; [unrolled: 3-line block ×11, first 2 shown]
	s_delay_alu instid0(VALU_DEP_1) | instskip(SKIP_2) | instid1(VALU_DEP_1)
	v_cndmask_b32_e64 v39, v25, v1, s11
	ds_load_b64 v[1:2], v6 offset:2120
	v_add_f32_e32 v3, v26, v39
	v_cndmask_b32_e64 v40, v26, v3, s8
	s_delay_alu instid0(VALU_DEP_1) | instskip(NEXT) | instid1(VALU_DEP_1)
	v_add_f32_e32 v3, v23, v40
	v_cndmask_b32_e64 v38, v23, v3, s10
	s_waitcnt lgkmcnt(0)
	v_add_f32_e32 v3, v5, v2
	v_cmp_eq_u32_e64 s0, 0, v1
	s_delay_alu instid0(VALU_DEP_3) | instskip(NEXT) | instid1(VALU_DEP_2)
	v_add_f32_e32 v6, v24, v38
	v_cndmask_b32_e64 v37, v2, v3, s0
	s_and_saveexec_b32 s0, s12
	s_cbranch_execz .LBB171_122
; %bb.121:
	s_delay_alu instid0(VALU_DEP_1)
	v_and_b32_e32 v2, 0xff000000, v37
	v_dual_mov_b32 v4, 0 :: v_dual_and_b32 v3, 0xff0000, v37
	s_add_u32 s2, s24, 0x200
	v_and_b32_e32 v7, 0xff00, v37
	s_addc_u32 s3, s25, 0
	v_and_b32_e32 v8, 0xff, v37
	v_or_b32_e32 v2, v3, v2
	v_mov_b32_e32 v3, 2
	v_mov_b32_e32 v69, v5
	s_delay_alu instid0(VALU_DEP_3)
	v_or3_b32 v2, v2, v7, v8
	v_dual_mov_b32 v8, s3 :: v_dual_mov_b32 v7, s2
	;;#ASMSTART
	global_store_dwordx4 v[7:8], v[1:4] off	
s_waitcnt vmcnt(0)
	;;#ASMEND
.LBB171_122:
	s_or_b32 exec_lo, exec_lo, s0
	v_cndmask_b32_e32 v45, v24, v6, vcc_lo
	v_mov_b32_e32 v5, 0
.LBB171_123:
	v_mov_b32_e32 v7, 0
	s_and_b32 s0, s16, exec_lo
	v_mov_b32_e32 v8, 0
	s_cselect_b32 s1, 0, s43
	s_cselect_b32 s0, 0, s42
	s_delay_alu instid0(SALU_CYCLE_1)
	s_cmp_eq_u64 s[0:1], 0
	s_barrier
	buffer_gl0_inv
	s_cbranch_scc1 .LBB171_125
; %bb.124:
	v_mov_b32_e32 v2, 0
	global_load_b64 v[7:8], v2, s[0:1]
.LBB171_125:
	v_cmp_eq_u32_e32 vcc_lo, 0, v43
	v_add_nc_u32_e32 v35, v4, v43
	v_cmp_ne_u32_e64 s12, 0, v43
	v_cmp_ne_u32_e64 s11, 0, v57
	;; [unrolled: 1-line block ×3, first 2 shown]
	v_cndmask_b32_e64 v2, 1, 2, vcc_lo
	v_cmp_eq_u32_e32 vcc_lo, 0, v57
	v_cmp_ne_u32_e64 s8, 0, v64
	v_cmp_ne_u32_e64 s14, 0, v63
	;; [unrolled: 1-line block ×4, first 2 shown]
	v_cndmask_b32_e64 v3, 1, 2, vcc_lo
	v_cmp_eq_u32_e32 vcc_lo, 0, v56
	v_cmp_ne_u32_e64 s7, 0, v60
	v_cmp_ne_u32_e64 s6, 0, v44
	;; [unrolled: 1-line block ×3, first 2 shown]
	v_and_b32_e32 v2, v3, v2
	v_cndmask_b32_e64 v6, 1, 2, vcc_lo
	v_cmp_eq_u32_e32 vcc_lo, 0, v64
	v_cmp_ne_u32_e64 s4, 0, v48
	v_cmp_ne_u32_e64 s3, 0, v50
	;; [unrolled: 1-line block ×3, first 2 shown]
	v_and_b32_e32 v6, v2, v6
	v_cndmask_b32_e64 v23, 1, 2, vcc_lo
	v_cmp_eq_u32_e32 vcc_lo, 0, v63
	s_waitcnt vmcnt(0)
	v_lshlrev_b64 v[2:3], 2, v[7:8]
	v_cmp_ne_u32_e64 s1, 0, v54
	v_cmp_ne_u32_e64 s0, 0, v59
	v_dual_mov_b32 v6, 0 :: v_dual_and_b32 v23, v6, v23
	v_cndmask_b32_e64 v24, 1, 2, vcc_lo
	v_cmp_eq_u32_e32 vcc_lo, 0, v62
	v_add_nc_u32_e32 v65, v35, v57
	s_mov_b32 s16, -1
	s_delay_alu instid0(VALU_DEP_3) | instskip(SKIP_3) | instid1(VALU_DEP_3)
	v_and_b32_e32 v23, v23, v24
	v_cndmask_b32_e64 v25, 1, 2, vcc_lo
	v_cmp_eq_u32_e32 vcc_lo, 0, v61
	v_add_nc_u32_e32 v36, v65, v56
	v_and_b32_e32 v23, v23, v25
	v_cndmask_b32_e64 v24, 1, 2, vcc_lo
	v_cmp_eq_u32_e32 vcc_lo, 0, v60
	s_delay_alu instid0(VALU_DEP_4) | instskip(NEXT) | instid1(VALU_DEP_3)
	v_add_nc_u32_e32 v34, v36, v64
	v_and_b32_e32 v23, v23, v24
	v_cndmask_b32_e64 v25, 1, 2, vcc_lo
	v_cmp_eq_u32_e32 vcc_lo, 0, v44
	s_delay_alu instid0(VALU_DEP_4) | instskip(NEXT) | instid1(VALU_DEP_3)
	;; [unrolled: 5-line block ×4, first 2 shown]
	v_add_nc_u32_e32 v31, v32, v61
	v_and_b32_e32 v25, v23, v25
	v_cndmask_b32_e64 v26, 1, 2, vcc_lo
	v_cmp_eq_u32_e32 vcc_lo, 0, v50
	s_delay_alu instid0(VALU_DEP_4) | instskip(SKIP_1) | instid1(VALU_DEP_4)
	v_add_nc_u32_e32 v30, v31, v60
	v_lshlrev_b64 v[23:24], 2, v[5:6]
	v_and_b32_e32 v6, v25, v26
	v_cndmask_b32_e64 v70, 1, 2, vcc_lo
	v_cmp_eq_u32_e32 vcc_lo, 0, v52
	v_add_nc_u32_e32 v29, v30, v44
	s_delay_alu instid0(VALU_DEP_3) | instskip(SKIP_4) | instid1(VALU_DEP_3)
	v_and_b32_e32 v74, v6, v70
	v_cndmask_b32_e64 v72, 1, 2, vcc_lo
	v_add_co_u32 v71, vcc_lo, s22, v2
	v_add_co_ci_u32_e32 v73, vcc_lo, s23, v3, vcc_lo
	v_add_nc_u32_e32 v28, v29, v46
	v_add_co_u32 v70, vcc_lo, v71, v23
	s_delay_alu instid0(VALU_DEP_3) | instskip(SKIP_1) | instid1(VALU_DEP_4)
	v_add_co_ci_u32_e32 v71, vcc_lo, v73, v24, vcc_lo
	v_cmp_eq_u32_e32 vcc_lo, 0, v54
	v_add_nc_u32_e32 v27, v28, v48
	v_and_b32_e32 v72, v74, v72
	v_cndmask_b32_e64 v73, 1, 2, vcc_lo
	v_cmp_eq_u32_e32 vcc_lo, 0, v59
	s_delay_alu instid0(VALU_DEP_4) | instskip(NEXT) | instid1(VALU_DEP_3)
	v_add_nc_u32_e32 v26, v27, v50
	v_and_b32_e32 v72, v72, v73
	v_cndmask_b32_e64 v73, 1, 2, vcc_lo
	s_delay_alu instid0(VALU_DEP_3) | instskip(SKIP_1) | instid1(VALU_DEP_3)
	v_add_nc_u32_e32 v25, v26, v52
	v_cmp_gt_u32_e32 vcc_lo, 0x100, v1
	v_and_b32_e32 v72, v72, v73
	s_delay_alu instid0(VALU_DEP_3) | instskip(NEXT) | instid1(VALU_DEP_2)
	v_add_nc_u32_e32 v6, v25, v54
	v_cmp_gt_i16_e64 s15, 2, v72
	s_cbranch_vccz .LBB171_132
; %bb.126:
	s_delay_alu instid0(VALU_DEP_1)
	s_and_saveexec_b32 s16, s15
	s_cbranch_execz .LBB171_131
; %bb.127:
	s_mov_b32 s17, 0
	s_mov_b32 s15, exec_lo
	v_cmpx_ne_u16_e32 1, v72
	s_xor_b32 s15, exec_lo, s15
	s_cbranch_execnz .LBB171_164
; %bb.128:
	s_and_not1_saveexec_b32 s15, s15
	s_cbranch_execnz .LBB171_180
.LBB171_129:
	s_or_b32 exec_lo, exec_lo, s15
	s_delay_alu instid0(SALU_CYCLE_1)
	s_and_b32 exec_lo, exec_lo, s17
	s_cbranch_execz .LBB171_131
.LBB171_130:
	v_sub_nc_u32_e32 v73, v6, v5
	v_mov_b32_e32 v74, 0
	s_delay_alu instid0(VALU_DEP_1) | instskip(NEXT) | instid1(VALU_DEP_1)
	v_lshlrev_b64 v[73:74], 2, v[73:74]
	v_add_co_u32 v73, vcc_lo, v70, v73
	s_delay_alu instid0(VALU_DEP_2)
	v_add_co_ci_u32_e32 v74, vcc_lo, v71, v74, vcc_lo
	global_store_b32 v[73:74], v58, off
.LBB171_131:
	s_or_b32 exec_lo, exec_lo, s16
	s_mov_b32 s16, 0
.LBB171_132:
	s_delay_alu instid0(SALU_CYCLE_1)
	s_and_b32 vcc_lo, exec_lo, s16
	s_cbranch_vccz .LBB171_142
; %bb.133:
	s_mov_b32 s15, exec_lo
	v_cmpx_gt_i16_e32 2, v72
	s_cbranch_execz .LBB171_138
; %bb.134:
	s_mov_b32 s17, 0
	s_mov_b32 s16, exec_lo
	v_cmpx_ne_u16_e32 1, v72
	s_xor_b32 s16, exec_lo, s16
	s_cbranch_execnz .LBB171_181
; %bb.135:
	s_and_not1_saveexec_b32 s0, s16
	s_cbranch_execnz .LBB171_197
.LBB171_136:
	s_or_b32 exec_lo, exec_lo, s0
	s_delay_alu instid0(SALU_CYCLE_1)
	s_and_b32 exec_lo, exec_lo, s17
	s_cbranch_execz .LBB171_138
.LBB171_137:
	v_sub_nc_u32_e32 v9, v6, v5
	s_delay_alu instid0(VALU_DEP_1)
	v_lshlrev_b32_e32 v9, 2, v9
	ds_store_b32 v9, v58
.LBB171_138:
	s_or_b32 exec_lo, exec_lo, s15
	s_delay_alu instid0(SALU_CYCLE_1)
	s_mov_b32 s1, exec_lo
	s_waitcnt lgkmcnt(0)
	s_waitcnt_vscnt null, 0x0
	s_barrier
	buffer_gl0_inv
	v_cmpx_lt_u32_e64 v0, v1
	s_cbranch_execz .LBB171_141
; %bb.139:
	v_dual_mov_b32 v10, 0 :: v_dual_lshlrev_b32 v11, 2, v0
	v_mov_b32_e32 v9, v0
	s_mov_b32 s2, 0
	.p2align	6
.LBB171_140:                            ; =>This Inner Loop Header: Depth=1
	ds_load_b32 v14, v11
	v_lshlrev_b64 v[12:13], 2, v[9:10]
	v_add_nc_u32_e32 v9, 0x100, v9
	v_add_nc_u32_e32 v11, 0x400, v11
	s_delay_alu instid0(VALU_DEP_2) | instskip(NEXT) | instid1(VALU_DEP_4)
	v_cmp_ge_u32_e32 vcc_lo, v9, v1
	v_add_co_u32 v12, s0, v70, v12
	s_delay_alu instid0(VALU_DEP_1)
	v_add_co_ci_u32_e64 v13, s0, v71, v13, s0
	s_or_b32 s2, vcc_lo, s2
	s_waitcnt lgkmcnt(0)
	global_store_b32 v[12:13], v14, off
	s_and_not1_b32 exec_lo, exec_lo, s2
	s_cbranch_execnz .LBB171_140
.LBB171_141:
	s_or_b32 exec_lo, exec_lo, s1
.LBB171_142:
	s_cmpk_lg_i32 s21, 0xf00
	v_cmp_eq_u32_e32 vcc_lo, 0, v0
	s_cselect_b32 s0, -1, 0
	v_cndmask_b32_e64 v14, 0, 1, s28
	s_and_b32 s0, s20, s0
	v_mad_i32_i24 v11, v0, -15, s21
	v_cndmask_b32_e64 v10, 0, 1, s0
	s_mul_hi_u32 s0, s21, 0x88888889
	s_and_b32 s1, vcc_lo, s28
	s_lshr_b32 s0, s0, 3
	v_sub_nc_u32_e32 v9, v1, v14
	v_cndmask_b32_e64 v12, v43, 0, s1
	v_cmp_eq_u32_e32 vcc_lo, s0, v0
	v_cmp_ne_u32_e64 s0, 0, v11
	s_mov_b32 s16, -1
	s_waitcnt_vscnt null, 0x0
	s_barrier
	s_and_b32 vcc_lo, s20, vcc_lo
	v_add_nc_u32_e32 v9, v9, v10
	v_cndmask_b32_e64 v10, 1, v12, s0
	v_cmp_ne_u32_e64 s0, 1, v11
	buffer_gl0_inv
	v_cndmask_b32_e32 v18, v12, v10, vcc_lo
	v_cndmask_b32_e64 v13, 1, v57, s0
	v_cmp_ne_u32_e64 s0, 14, v11
	s_delay_alu instid0(VALU_DEP_3) | instskip(NEXT) | instid1(VALU_DEP_2)
	v_cmp_ne_u32_e64 s14, 0, v18
	v_cndmask_b32_e64 v15, 1, v59, s0
	v_cmp_ne_u32_e64 s0, 2, v11
	s_delay_alu instid0(VALU_DEP_2) | instskip(NEXT) | instid1(VALU_DEP_2)
	v_cndmask_b32_e32 v15, v59, v15, vcc_lo
	v_cndmask_b32_e64 v16, 1, v56, s0
	v_cmp_ne_u32_e64 s0, 3, v11
	s_delay_alu instid0(VALU_DEP_2) | instskip(NEXT) | instid1(VALU_DEP_2)
	v_cndmask_b32_e32 v16, v56, v16, vcc_lo
	v_cndmask_b32_e64 v17, 1, v64, s0
	v_cmp_ne_u32_e64 s0, 4, v11
	s_delay_alu instid0(VALU_DEP_3) | instskip(NEXT) | instid1(VALU_DEP_2)
	v_cmp_ne_u32_e64 s12, 0, v16
	v_cndmask_b32_e64 v10, 1, v63, s0
	v_cmp_ne_u32_e64 s0, 5, v11
	s_delay_alu instid0(VALU_DEP_2) | instskip(NEXT) | instid1(VALU_DEP_2)
	v_dual_cndmask_b32 v19, v57, v13 :: v_dual_cndmask_b32 v56, v63, v10
	v_cndmask_b32_e64 v12, 1, v62, s0
	v_cmp_eq_u32_e64 s0, 0, v18
	s_delay_alu instid0(VALU_DEP_3) | instskip(NEXT) | instid1(VALU_DEP_4)
	v_cmp_ne_u32_e64 s13, 0, v19
	v_cmp_ne_u32_e64 s10, 0, v56
	s_delay_alu instid0(VALU_DEP_4) | instskip(NEXT) | instid1(VALU_DEP_4)
	v_cndmask_b32_e32 v57, v62, v12, vcc_lo
	v_cndmask_b32_e64 v13, 1, 2, s0
	v_cmp_eq_u32_e64 s0, 0, v19
	s_delay_alu instid0(VALU_DEP_1) | instskip(SKIP_1) | instid1(VALU_DEP_2)
	v_cndmask_b32_e64 v20, 1, 2, s0
	v_cmp_ne_u32_e64 s0, 6, v11
	v_and_b32_e32 v13, v20, v13
	s_delay_alu instid0(VALU_DEP_2) | instskip(SKIP_1) | instid1(VALU_DEP_1)
	v_cndmask_b32_e64 v21, 1, v61, s0
	v_cmp_eq_u32_e64 s0, 0, v16
	v_cndmask_b32_e64 v20, 1, 2, s0
	v_cmp_ne_u32_e64 s0, 7, v11
	s_delay_alu instid0(VALU_DEP_1) | instskip(SKIP_1) | instid1(VALU_DEP_2)
	v_cndmask_b32_e64 v22, 1, v60, s0
	v_cmp_ne_u32_e64 s0, 8, v11
	v_dual_cndmask_b32 v22, v60, v22 :: v_dual_and_b32 v13, v13, v20
	v_cndmask_b32_e32 v17, v64, v17, vcc_lo
	s_delay_alu instid0(VALU_DEP_3) | instskip(NEXT) | instid1(VALU_DEP_3)
	v_cndmask_b32_e64 v43, 1, v44, s0
	v_cmp_ne_u32_e64 s7, 0, v22
	s_delay_alu instid0(VALU_DEP_3) | instskip(NEXT) | instid1(VALU_DEP_1)
	v_cmp_eq_u32_e64 s0, 0, v17
	v_cndmask_b32_e64 v20, 1, 2, s0
	v_cmp_ne_u32_e64 s0, 9, v11
	s_delay_alu instid0(VALU_DEP_2) | instskip(NEXT) | instid1(VALU_DEP_2)
	v_and_b32_e32 v12, v13, v20
	v_cndmask_b32_e64 v10, 1, v46, s0
	v_cmp_eq_u32_e64 s0, 0, v56
	v_cndmask_b32_e32 v43, v44, v43, vcc_lo
	v_cmp_ne_u32_e64 s11, 0, v17
	s_delay_alu instid0(VALU_DEP_4) | instskip(NEXT) | instid1(VALU_DEP_4)
	v_cndmask_b32_e32 v46, v46, v10, vcc_lo
	v_cndmask_b32_e64 v13, 1, 2, s0
	v_cmp_ne_u32_e64 s0, 10, v11
	v_cmp_ne_u32_e64 s6, 0, v43
	s_delay_alu instid0(VALU_DEP_4) | instskip(NEXT) | instid1(VALU_DEP_4)
	v_cmp_ne_u32_e64 s5, 0, v46
	v_and_b32_e32 v12, v12, v13
	s_delay_alu instid0(VALU_DEP_4) | instskip(SKIP_2) | instid1(VALU_DEP_3)
	v_cndmask_b32_e64 v20, 1, v48, s0
	v_cmp_ne_u32_e64 s0, 12, v11
	v_cmp_ne_u32_e64 s9, 0, v57
	v_cndmask_b32_e32 v20, v48, v20, vcc_lo
	s_delay_alu instid0(VALU_DEP_3) | instskip(SKIP_1) | instid1(VALU_DEP_2)
	v_cndmask_b32_e64 v58, 1, v52, s0
	v_cmp_eq_u32_e64 s0, 0, v57
	v_dual_cndmask_b32 v21, v61, v21 :: v_dual_cndmask_b32 v52, v52, v58
	s_delay_alu instid0(VALU_DEP_2) | instskip(SKIP_1) | instid1(VALU_DEP_3)
	v_cndmask_b32_e64 v13, 1, 2, s0
	v_cmp_ne_u32_e64 s0, 13, v11
	v_cmp_ne_u32_e64 s8, 0, v21
	s_delay_alu instid0(VALU_DEP_4) | instskip(NEXT) | instid1(VALU_DEP_4)
	v_cmp_ne_u32_e64 s2, 0, v52
	v_and_b32_e32 v12, v12, v13
	s_delay_alu instid0(VALU_DEP_4) | instskip(SKIP_1) | instid1(VALU_DEP_2)
	v_cndmask_b32_e64 v59, 1, v54, s0
	v_cmp_eq_u32_e64 s0, 0, v21
	v_cndmask_b32_e32 v54, v54, v59, vcc_lo
	s_delay_alu instid0(VALU_DEP_2) | instskip(SKIP_1) | instid1(VALU_DEP_3)
	v_cndmask_b32_e64 v13, 1, 2, s0
	v_cmp_ne_u32_e64 s0, 11, v11
	v_cmp_ne_u32_e64 s1, 0, v54
	s_delay_alu instid0(VALU_DEP_3) | instskip(NEXT) | instid1(VALU_DEP_3)
	v_and_b32_e32 v12, v12, v13
	v_cndmask_b32_e64 v11, 1, v50, s0
	v_cmp_eq_u32_e64 s0, 0, v22
	s_delay_alu instid0(VALU_DEP_2) | instskip(SKIP_1) | instid1(VALU_DEP_3)
	v_cndmask_b32_e32 v44, v50, v11, vcc_lo
	v_cmp_eq_u32_e32 vcc_lo, 0, v43
	v_cndmask_b32_e64 v13, 1, 2, s0
	v_cmp_ne_u32_e64 s0, 0, v15
	v_cndmask_b32_e64 v11, 1, 2, vcc_lo
	v_add_co_u32 v2, vcc_lo, s36, v2
	v_add_co_ci_u32_e32 v3, vcc_lo, s37, v3, vcc_lo
	v_and_b32_e32 v10, v12, v13
	v_cmp_eq_u32_e32 vcc_lo, 0, v46
	s_delay_alu instid0(VALU_DEP_2) | instskip(SKIP_3) | instid1(VALU_DEP_3)
	v_and_b32_e32 v12, v10, v11
	v_cndmask_b32_e64 v13, 1, 2, vcc_lo
	v_add_co_u32 v10, vcc_lo, v2, v23
	v_add_co_ci_u32_e32 v11, vcc_lo, v3, v24, vcc_lo
	v_and_b32_e32 v3, v12, v13
	v_lshlrev_b32_e32 v2, 2, v14
	v_cmp_eq_u32_e32 vcc_lo, 0, v20
	v_cmp_ne_u32_e64 s3, 0, v44
	v_cndmask_b32_e64 v12, 1, 2, vcc_lo
	s_delay_alu instid0(VALU_DEP_4) | instskip(SKIP_2) | instid1(VALU_DEP_4)
	v_add_co_u32 v2, vcc_lo, v2, v10
	v_add_co_ci_u32_e32 v13, vcc_lo, 0, v11, vcc_lo
	v_cmp_eq_u32_e32 vcc_lo, 0, v44
	v_and_b32_e32 v3, v3, v12
	v_cndmask_b32_e64 v23, 1, 2, vcc_lo
	v_add_co_u32 v12, vcc_lo, v2, -4
	v_add_co_ci_u32_e32 v13, vcc_lo, -1, v13, vcc_lo
	v_cmp_eq_u32_e32 vcc_lo, 0, v52
	v_add_nc_u32_e32 v2, v5, v14
	v_and_b32_e32 v3, v3, v23
	v_cmp_ne_u32_e64 s4, 0, v20
	v_cndmask_b32_e64 v14, 1, 2, vcc_lo
	v_cmp_eq_u32_e32 vcc_lo, 0, v54
	s_delay_alu instid0(VALU_DEP_2) | instskip(SKIP_2) | instid1(VALU_DEP_2)
	v_and_b32_e32 v3, v3, v14
	v_cndmask_b32_e64 v14, 1, 2, vcc_lo
	v_cmp_eq_u32_e32 vcc_lo, 0, v15
	v_and_b32_e32 v3, v3, v14
	v_cndmask_b32_e64 v14, 1, 2, vcc_lo
	v_cmp_gt_u32_e32 vcc_lo, 0x100, v9
	s_delay_alu instid0(VALU_DEP_2) | instskip(NEXT) | instid1(VALU_DEP_1)
	v_and_b32_e32 v3, v3, v14
	v_cmp_gt_i16_e64 s15, 2, v3
	s_cbranch_vccnz .LBB171_146
; %bb.143:
	s_and_b32 vcc_lo, exec_lo, s16
	s_cbranch_vccnz .LBB171_152
.LBB171_144:
	v_cmp_eq_u32_e32 vcc_lo, 0xff, v0
	s_and_b32 s0, vcc_lo, s20
	s_delay_alu instid0(SALU_CYCLE_1)
	s_and_saveexec_b32 s1, s0
	s_cbranch_execnz .LBB171_161
.LBB171_145:
	s_nop 0
	s_sendmsg sendmsg(MSG_DEALLOC_VGPRS)
	s_endpgm
.LBB171_146:
	s_delay_alu instid0(VALU_DEP_1)
	s_and_saveexec_b32 s16, s15
	s_cbranch_execz .LBB171_151
; %bb.147:
	s_mov_b32 s17, 0
	s_mov_b32 s15, exec_lo
	v_cmpx_ne_u16_e32 1, v3
	s_xor_b32 s15, exec_lo, s15
	s_cbranch_execnz .LBB171_198
; %bb.148:
	s_and_not1_saveexec_b32 s15, s15
	s_cbranch_execnz .LBB171_214
.LBB171_149:
	s_or_b32 exec_lo, exec_lo, s15
	s_delay_alu instid0(SALU_CYCLE_1)
	s_and_b32 exec_lo, exec_lo, s17
	s_cbranch_execz .LBB171_151
.LBB171_150:
	v_sub_nc_u32_e32 v14, v6, v2
	v_mov_b32_e32 v15, 0
	s_delay_alu instid0(VALU_DEP_1) | instskip(NEXT) | instid1(VALU_DEP_1)
	v_lshlrev_b64 v[14:15], 2, v[14:15]
	v_add_co_u32 v14, vcc_lo, v12, v14
	s_delay_alu instid0(VALU_DEP_2)
	v_add_co_ci_u32_e32 v15, vcc_lo, v13, v15, vcc_lo
	global_store_b32 v[14:15], v45, off
.LBB171_151:
	s_or_b32 exec_lo, exec_lo, s16
	s_branch .LBB171_144
.LBB171_152:
	s_mov_b32 s15, exec_lo
	v_cmpx_gt_i16_e32 2, v3
	s_cbranch_execz .LBB171_157
; %bb.153:
	s_mov_b32 s17, 0
	s_mov_b32 s16, exec_lo
	v_cmpx_ne_u16_e32 1, v3
	s_xor_b32 s16, exec_lo, s16
	s_cbranch_execnz .LBB171_215
; %bb.154:
	s_and_not1_saveexec_b32 s0, s16
	s_cbranch_execnz .LBB171_231
.LBB171_155:
	s_or_b32 exec_lo, exec_lo, s0
	s_delay_alu instid0(SALU_CYCLE_1)
	s_and_b32 exec_lo, exec_lo, s17
	s_cbranch_execz .LBB171_157
.LBB171_156:
	v_sub_nc_u32_e32 v2, v6, v2
	s_delay_alu instid0(VALU_DEP_1)
	v_lshlrev_b32_e32 v2, 2, v2
	ds_store_b32 v2, v45
.LBB171_157:
	s_or_b32 exec_lo, exec_lo, s15
	s_delay_alu instid0(SALU_CYCLE_1)
	s_mov_b32 s1, exec_lo
	s_waitcnt lgkmcnt(0)
	s_waitcnt_vscnt null, 0x0
	s_barrier
	buffer_gl0_inv
	v_cmpx_lt_u32_e64 v0, v9
	s_cbranch_execz .LBB171_160
; %bb.158:
	v_dual_mov_b32 v3, 0 :: v_dual_lshlrev_b32 v4, 2, v0
	v_mov_b32_e32 v2, v0
	s_mov_b32 s2, 0
	.p2align	6
.LBB171_159:                            ; =>This Inner Loop Header: Depth=1
	ds_load_b32 v6, v4
	v_lshlrev_b64 v[14:15], 2, v[2:3]
	v_add_nc_u32_e32 v2, 0x100, v2
	v_add_nc_u32_e32 v4, 0x400, v4
	s_delay_alu instid0(VALU_DEP_2) | instskip(NEXT) | instid1(VALU_DEP_4)
	v_cmp_ge_u32_e32 vcc_lo, v2, v9
	v_add_co_u32 v14, s0, v12, v14
	s_delay_alu instid0(VALU_DEP_1)
	v_add_co_ci_u32_e64 v15, s0, v13, v15, s0
	s_or_b32 s2, vcc_lo, s2
	s_waitcnt lgkmcnt(0)
	global_store_b32 v[14:15], v6, off
	s_and_not1_b32 exec_lo, exec_lo, s2
	s_cbranch_execnz .LBB171_159
.LBB171_160:
	s_or_b32 exec_lo, exec_lo, s1
	v_cmp_eq_u32_e32 vcc_lo, 0xff, v0
	s_and_b32 s0, vcc_lo, s20
	s_delay_alu instid0(SALU_CYCLE_1)
	s_and_saveexec_b32 s1, s0
	s_cbranch_execz .LBB171_145
.LBB171_161:
	v_add_co_u32 v0, s0, v1, v5
	s_delay_alu instid0(VALU_DEP_1) | instskip(SKIP_1) | instid1(VALU_DEP_3)
	v_add_co_ci_u32_e64 v4, null, 0, 0, s0
	v_mov_b32_e32 v2, 0
	v_add_co_u32 v3, vcc_lo, v0, v7
	s_delay_alu instid0(VALU_DEP_3)
	v_add_co_ci_u32_e32 v4, vcc_lo, v4, v8, vcc_lo
	s_cmpk_lg_i32 s21, 0xf00
	global_store_b64 v2, v[3:4], s[38:39]
	s_cbranch_scc1 .LBB171_145
; %bb.162:
	v_lshlrev_b64 v[0:1], 2, v[1:2]
	s_delay_alu instid0(VALU_DEP_1) | instskip(NEXT) | instid1(VALU_DEP_2)
	v_add_co_u32 v0, vcc_lo, v10, v0
	v_add_co_ci_u32_e32 v1, vcc_lo, v11, v1, vcc_lo
	global_store_b32 v[0:1], v37, off offset:-4
	s_nop 0
	s_sendmsg sendmsg(MSG_DEALLOC_VGPRS)
	s_endpgm
.LBB171_163:
	s_or_b32 exec_lo, exec_lo, s2
	v_mov_b32_e32 v43, s1
	s_and_saveexec_b32 s1, s30
	s_cbranch_execnz .LBB171_84
	s_branch .LBB171_85
.LBB171_164:
	s_and_saveexec_b32 s17, s12
	s_cbranch_execnz .LBB171_232
; %bb.165:
	s_or_b32 exec_lo, exec_lo, s17
	s_and_saveexec_b32 s17, s11
	s_cbranch_execnz .LBB171_233
.LBB171_166:
	s_or_b32 exec_lo, exec_lo, s17
	s_and_saveexec_b32 s17, s9
	s_cbranch_execnz .LBB171_234
.LBB171_167:
	s_or_b32 exec_lo, exec_lo, s17
	s_and_saveexec_b32 s17, s8
	s_cbranch_execnz .LBB171_235
.LBB171_168:
	s_or_b32 exec_lo, exec_lo, s17
	s_and_saveexec_b32 s17, s14
	s_cbranch_execnz .LBB171_236
.LBB171_169:
	s_or_b32 exec_lo, exec_lo, s17
	s_and_saveexec_b32 s17, s13
	s_cbranch_execnz .LBB171_237
.LBB171_170:
	s_or_b32 exec_lo, exec_lo, s17
	s_and_saveexec_b32 s17, s10
	s_cbranch_execnz .LBB171_238
.LBB171_171:
	s_or_b32 exec_lo, exec_lo, s17
	s_and_saveexec_b32 s17, s7
	s_cbranch_execnz .LBB171_239
.LBB171_172:
	s_or_b32 exec_lo, exec_lo, s17
	s_and_saveexec_b32 s17, s6
	s_cbranch_execnz .LBB171_240
.LBB171_173:
	s_or_b32 exec_lo, exec_lo, s17
	s_and_saveexec_b32 s17, s5
	s_cbranch_execnz .LBB171_241
.LBB171_174:
	s_or_b32 exec_lo, exec_lo, s17
	s_and_saveexec_b32 s17, s4
	s_cbranch_execnz .LBB171_242
.LBB171_175:
	s_or_b32 exec_lo, exec_lo, s17
	s_and_saveexec_b32 s17, s3
	s_cbranch_execnz .LBB171_243
.LBB171_176:
	s_or_b32 exec_lo, exec_lo, s17
	s_and_saveexec_b32 s17, s2
	s_cbranch_execnz .LBB171_244
.LBB171_177:
	s_or_b32 exec_lo, exec_lo, s17
	s_and_saveexec_b32 s17, s1
	s_cbranch_execz .LBB171_179
.LBB171_178:
	v_sub_nc_u32_e32 v73, v25, v5
	v_mov_b32_e32 v74, 0
	s_delay_alu instid0(VALU_DEP_1) | instskip(NEXT) | instid1(VALU_DEP_1)
	v_lshlrev_b64 v[73:74], 2, v[73:74]
	v_add_co_u32 v73, vcc_lo, v70, v73
	s_delay_alu instid0(VALU_DEP_2)
	v_add_co_ci_u32_e32 v74, vcc_lo, v71, v74, vcc_lo
	global_store_b32 v[73:74], v10, off
.LBB171_179:
	s_or_b32 exec_lo, exec_lo, s17
	s_delay_alu instid0(SALU_CYCLE_1)
	s_and_b32 s17, s0, exec_lo
	s_and_not1_saveexec_b32 s15, s15
	s_cbranch_execz .LBB171_129
.LBB171_180:
	v_sub_nc_u32_e32 v73, v4, v5
	v_mov_b32_e32 v74, 0
	s_or_b32 s17, s17, exec_lo
	s_delay_alu instid0(VALU_DEP_1) | instskip(SKIP_1) | instid1(VALU_DEP_1)
	v_lshlrev_b64 v[75:76], 2, v[73:74]
	v_sub_nc_u32_e32 v73, v35, v5
	v_lshlrev_b64 v[77:78], 2, v[73:74]
	v_sub_nc_u32_e32 v73, v65, v5
	s_delay_alu instid0(VALU_DEP_4) | instskip(SKIP_1) | instid1(VALU_DEP_3)
	v_add_co_u32 v75, vcc_lo, v70, v75
	v_add_co_ci_u32_e32 v76, vcc_lo, v71, v76, vcc_lo
	v_lshlrev_b64 v[79:80], 2, v[73:74]
	v_sub_nc_u32_e32 v73, v36, v5
	v_add_co_u32 v77, vcc_lo, v70, v77
	v_add_co_ci_u32_e32 v78, vcc_lo, v71, v78, vcc_lo
	global_store_b32 v[75:76], v21, off
	v_lshlrev_b64 v[75:76], 2, v[73:74]
	v_sub_nc_u32_e32 v73, v34, v5
	global_store_b32 v[77:78], v22, off
	v_add_co_u32 v77, vcc_lo, v70, v79
	v_add_co_ci_u32_e32 v78, vcc_lo, v71, v80, vcc_lo
	v_lshlrev_b64 v[79:80], 2, v[73:74]
	v_sub_nc_u32_e32 v73, v33, v5
	v_add_co_u32 v75, vcc_lo, v70, v75
	v_add_co_ci_u32_e32 v76, vcc_lo, v71, v76, vcc_lo
	s_delay_alu instid0(VALU_DEP_3) | instskip(SKIP_3) | instid1(VALU_DEP_3)
	v_lshlrev_b64 v[81:82], 2, v[73:74]
	v_sub_nc_u32_e32 v73, v32, v5
	v_add_co_u32 v79, vcc_lo, v70, v79
	v_add_co_ci_u32_e32 v80, vcc_lo, v71, v80, vcc_lo
	v_lshlrev_b64 v[83:84], 2, v[73:74]
	v_sub_nc_u32_e32 v73, v31, v5
	v_add_co_u32 v81, vcc_lo, v70, v81
	v_add_co_ci_u32_e32 v82, vcc_lo, v71, v82, vcc_lo
	s_clause 0x3
	global_store_b32 v[77:78], v19, off
	global_store_b32 v[75:76], v20, off
	;; [unrolled: 1-line block ×4, first 2 shown]
	v_lshlrev_b64 v[75:76], 2, v[73:74]
	v_sub_nc_u32_e32 v73, v30, v5
	v_add_co_u32 v77, vcc_lo, v70, v83
	v_add_co_ci_u32_e32 v78, vcc_lo, v71, v84, vcc_lo
	s_delay_alu instid0(VALU_DEP_3) | instskip(SKIP_3) | instid1(VALU_DEP_3)
	v_lshlrev_b64 v[79:80], 2, v[73:74]
	v_sub_nc_u32_e32 v73, v29, v5
	v_add_co_u32 v75, vcc_lo, v70, v75
	v_add_co_ci_u32_e32 v76, vcc_lo, v71, v76, vcc_lo
	v_lshlrev_b64 v[81:82], 2, v[73:74]
	v_sub_nc_u32_e32 v73, v28, v5
	v_add_co_u32 v79, vcc_lo, v70, v79
	v_add_co_ci_u32_e32 v80, vcc_lo, v71, v80, vcc_lo
	s_delay_alu instid0(VALU_DEP_3)
	v_lshlrev_b64 v[83:84], 2, v[73:74]
	v_sub_nc_u32_e32 v73, v27, v5
	v_add_co_u32 v81, vcc_lo, v70, v81
	v_add_co_ci_u32_e32 v82, vcc_lo, v71, v82, vcc_lo
	s_clause 0x3
	global_store_b32 v[77:78], v15, off
	global_store_b32 v[75:76], v16, off
	global_store_b32 v[79:80], v13, off
	global_store_b32 v[81:82], v14, off
	v_lshlrev_b64 v[75:76], 2, v[73:74]
	v_sub_nc_u32_e32 v73, v26, v5
	v_add_co_u32 v77, vcc_lo, v70, v83
	v_add_co_ci_u32_e32 v78, vcc_lo, v71, v84, vcc_lo
	s_delay_alu instid0(VALU_DEP_3) | instskip(SKIP_3) | instid1(VALU_DEP_3)
	v_lshlrev_b64 v[79:80], 2, v[73:74]
	v_sub_nc_u32_e32 v73, v25, v5
	v_add_co_u32 v75, vcc_lo, v70, v75
	v_add_co_ci_u32_e32 v76, vcc_lo, v71, v76, vcc_lo
	v_lshlrev_b64 v[73:74], 2, v[73:74]
	v_add_co_u32 v79, vcc_lo, v70, v79
	v_add_co_ci_u32_e32 v80, vcc_lo, v71, v80, vcc_lo
	s_clause 0x2
	global_store_b32 v[77:78], v11, off
	global_store_b32 v[75:76], v12, off
	;; [unrolled: 1-line block ×3, first 2 shown]
	v_add_co_u32 v73, vcc_lo, v70, v73
	v_add_co_ci_u32_e32 v74, vcc_lo, v71, v74, vcc_lo
	global_store_b32 v[73:74], v10, off
	s_or_b32 exec_lo, exec_lo, s15
	s_delay_alu instid0(SALU_CYCLE_1)
	s_and_b32 exec_lo, exec_lo, s17
	s_cbranch_execnz .LBB171_130
	s_branch .LBB171_131
.LBB171_181:
	s_and_saveexec_b32 s17, s12
	s_cbranch_execnz .LBB171_245
; %bb.182:
	s_or_b32 exec_lo, exec_lo, s17
	s_and_saveexec_b32 s12, s11
	s_cbranch_execnz .LBB171_246
.LBB171_183:
	s_or_b32 exec_lo, exec_lo, s12
	s_and_saveexec_b32 s11, s9
	s_cbranch_execnz .LBB171_247
.LBB171_184:
	s_or_b32 exec_lo, exec_lo, s11
	s_and_saveexec_b32 s9, s8
	s_cbranch_execnz .LBB171_248
.LBB171_185:
	s_or_b32 exec_lo, exec_lo, s9
	s_and_saveexec_b32 s8, s14
	s_cbranch_execnz .LBB171_249
.LBB171_186:
	s_or_b32 exec_lo, exec_lo, s8
	s_and_saveexec_b32 s8, s13
	s_cbranch_execnz .LBB171_250
.LBB171_187:
	s_or_b32 exec_lo, exec_lo, s8
	s_and_saveexec_b32 s8, s10
	s_cbranch_execnz .LBB171_251
.LBB171_188:
	s_or_b32 exec_lo, exec_lo, s8
	s_and_saveexec_b32 s8, s7
	s_cbranch_execnz .LBB171_252
.LBB171_189:
	s_or_b32 exec_lo, exec_lo, s8
	s_and_saveexec_b32 s7, s6
	s_cbranch_execnz .LBB171_253
.LBB171_190:
	s_or_b32 exec_lo, exec_lo, s7
	s_and_saveexec_b32 s6, s5
	s_cbranch_execnz .LBB171_254
.LBB171_191:
	s_or_b32 exec_lo, exec_lo, s6
	s_and_saveexec_b32 s5, s4
	s_cbranch_execnz .LBB171_255
.LBB171_192:
	s_or_b32 exec_lo, exec_lo, s5
	s_and_saveexec_b32 s4, s3
	s_cbranch_execnz .LBB171_256
.LBB171_193:
	s_or_b32 exec_lo, exec_lo, s4
	s_and_saveexec_b32 s3, s2
	s_cbranch_execnz .LBB171_257
.LBB171_194:
	s_or_b32 exec_lo, exec_lo, s3
	s_and_saveexec_b32 s2, s1
	s_cbranch_execz .LBB171_196
.LBB171_195:
	v_sub_nc_u32_e32 v9, v25, v5
	s_delay_alu instid0(VALU_DEP_1)
	v_lshlrev_b32_e32 v9, 2, v9
	ds_store_b32 v9, v10
.LBB171_196:
	s_or_b32 exec_lo, exec_lo, s2
	s_delay_alu instid0(SALU_CYCLE_1)
	s_and_b32 s17, s0, exec_lo
                                        ; implicit-def: $vgpr21
                                        ; implicit-def: $vgpr19
                                        ; implicit-def: $vgpr17
                                        ; implicit-def: $vgpr15
                                        ; implicit-def: $vgpr13
                                        ; implicit-def: $vgpr11
                                        ; implicit-def: $vgpr9
	s_and_not1_saveexec_b32 s0, s16
	s_cbranch_execz .LBB171_136
.LBB171_197:
	v_sub_nc_u32_e32 v72, v4, v5
	v_sub_nc_u32_e32 v75, v36, v5
	;; [unrolled: 1-line block ×4, first 2 shown]
	s_or_b32 s17, s17, exec_lo
	v_lshlrev_b32_e32 v72, 2, v72
	v_lshlrev_b32_e32 v75, 2, v75
	;; [unrolled: 1-line block ×4, first 2 shown]
	ds_store_b32 v72, v21
	ds_store_b32 v73, v22
	;; [unrolled: 1-line block ×3, first 2 shown]
	v_sub_nc_u32_e32 v19, v34, v5
	ds_store_b32 v75, v20
	v_sub_nc_u32_e32 v20, v33, v5
	v_sub_nc_u32_e32 v21, v32, v5
	;; [unrolled: 1-line block ×3, first 2 shown]
	v_lshlrev_b32_e32 v19, 2, v19
	v_sub_nc_u32_e32 v72, v30, v5
	v_lshlrev_b32_e32 v20, 2, v20
	v_lshlrev_b32_e32 v21, 2, v21
	;; [unrolled: 1-line block ×3, first 2 shown]
	ds_store_b32 v19, v17
	v_lshlrev_b32_e32 v17, 2, v72
	ds_store_b32 v20, v18
	ds_store_b32 v21, v15
	;; [unrolled: 1-line block ×3, first 2 shown]
	v_sub_nc_u32_e32 v15, v29, v5
	v_sub_nc_u32_e32 v18, v25, v5
	;; [unrolled: 1-line block ×3, first 2 shown]
	ds_store_b32 v17, v13
	v_sub_nc_u32_e32 v13, v28, v5
	v_lshlrev_b32_e32 v15, 2, v15
	v_sub_nc_u32_e32 v17, v26, v5
	v_lshlrev_b32_e32 v16, 2, v16
	s_delay_alu instid0(VALU_DEP_4)
	v_lshlrev_b32_e32 v13, 2, v13
	ds_store_b32 v15, v14
	v_lshlrev_b32_e32 v14, 2, v18
	v_lshlrev_b32_e32 v17, 2, v17
	ds_store_b32 v13, v11
	ds_store_b32 v16, v12
	;; [unrolled: 1-line block ×4, first 2 shown]
	s_or_b32 exec_lo, exec_lo, s0
	s_delay_alu instid0(SALU_CYCLE_1)
	s_and_b32 exec_lo, exec_lo, s17
	s_cbranch_execnz .LBB171_137
	s_branch .LBB171_138
.LBB171_198:
	s_and_saveexec_b32 s17, s14
	s_cbranch_execnz .LBB171_258
; %bb.199:
	s_or_b32 exec_lo, exec_lo, s17
	s_and_saveexec_b32 s17, s13
	s_cbranch_execnz .LBB171_259
.LBB171_200:
	s_or_b32 exec_lo, exec_lo, s17
	s_and_saveexec_b32 s17, s12
	s_cbranch_execnz .LBB171_260
.LBB171_201:
	s_or_b32 exec_lo, exec_lo, s17
	s_and_saveexec_b32 s17, s11
	s_cbranch_execnz .LBB171_261
.LBB171_202:
	s_or_b32 exec_lo, exec_lo, s17
	s_and_saveexec_b32 s17, s10
	s_cbranch_execnz .LBB171_262
.LBB171_203:
	s_or_b32 exec_lo, exec_lo, s17
	s_and_saveexec_b32 s17, s9
	s_cbranch_execnz .LBB171_263
.LBB171_204:
	s_or_b32 exec_lo, exec_lo, s17
	s_and_saveexec_b32 s17, s8
	s_cbranch_execnz .LBB171_264
.LBB171_205:
	s_or_b32 exec_lo, exec_lo, s17
	s_and_saveexec_b32 s17, s7
	s_cbranch_execnz .LBB171_265
.LBB171_206:
	s_or_b32 exec_lo, exec_lo, s17
	s_and_saveexec_b32 s17, s6
	s_cbranch_execnz .LBB171_266
.LBB171_207:
	s_or_b32 exec_lo, exec_lo, s17
	s_and_saveexec_b32 s17, s5
	s_cbranch_execnz .LBB171_267
.LBB171_208:
	s_or_b32 exec_lo, exec_lo, s17
	s_and_saveexec_b32 s17, s4
	s_cbranch_execnz .LBB171_268
.LBB171_209:
	s_or_b32 exec_lo, exec_lo, s17
	s_and_saveexec_b32 s17, s3
	s_cbranch_execnz .LBB171_269
.LBB171_210:
	s_or_b32 exec_lo, exec_lo, s17
	s_and_saveexec_b32 s17, s2
	s_cbranch_execnz .LBB171_270
.LBB171_211:
	s_or_b32 exec_lo, exec_lo, s17
	s_and_saveexec_b32 s17, s1
	s_cbranch_execz .LBB171_213
.LBB171_212:
	v_sub_nc_u32_e32 v14, v25, v2
	v_mov_b32_e32 v15, 0
	s_delay_alu instid0(VALU_DEP_1) | instskip(NEXT) | instid1(VALU_DEP_1)
	v_lshlrev_b64 v[14:15], 2, v[14:15]
	v_add_co_u32 v14, vcc_lo, v12, v14
	s_delay_alu instid0(VALU_DEP_2)
	v_add_co_ci_u32_e32 v15, vcc_lo, v13, v15, vcc_lo
	global_store_b32 v[14:15], v38, off
.LBB171_213:
	s_or_b32 exec_lo, exec_lo, s17
	s_delay_alu instid0(SALU_CYCLE_1)
	s_and_b32 s17, s0, exec_lo
	s_and_not1_saveexec_b32 s15, s15
	s_cbranch_execz .LBB171_149
.LBB171_214:
	v_sub_nc_u32_e32 v14, v4, v2
	v_mov_b32_e32 v15, 0
	s_or_b32 s17, s17, exec_lo
	s_delay_alu instid0(VALU_DEP_1) | instskip(SKIP_1) | instid1(VALU_DEP_1)
	v_lshlrev_b64 v[16:17], 2, v[14:15]
	v_sub_nc_u32_e32 v14, v35, v2
	v_lshlrev_b64 v[18:19], 2, v[14:15]
	v_sub_nc_u32_e32 v14, v65, v2
	s_delay_alu instid0(VALU_DEP_4) | instskip(SKIP_1) | instid1(VALU_DEP_3)
	v_add_co_u32 v16, vcc_lo, v12, v16
	v_add_co_ci_u32_e32 v17, vcc_lo, v13, v17, vcc_lo
	v_lshlrev_b64 v[20:21], 2, v[14:15]
	v_sub_nc_u32_e32 v14, v36, v2
	v_add_co_u32 v18, vcc_lo, v12, v18
	v_add_co_ci_u32_e32 v19, vcc_lo, v13, v19, vcc_lo
	global_store_b32 v[16:17], v69, off
	v_lshlrev_b64 v[16:17], 2, v[14:15]
	v_sub_nc_u32_e32 v14, v34, v2
	global_store_b32 v[18:19], v68, off
	v_add_co_u32 v18, vcc_lo, v12, v20
	v_add_co_ci_u32_e32 v19, vcc_lo, v13, v21, vcc_lo
	v_lshlrev_b64 v[20:21], 2, v[14:15]
	v_sub_nc_u32_e32 v14, v33, v2
	v_add_co_u32 v16, vcc_lo, v12, v16
	v_add_co_ci_u32_e32 v17, vcc_lo, v13, v17, vcc_lo
	s_delay_alu instid0(VALU_DEP_3) | instskip(SKIP_3) | instid1(VALU_DEP_3)
	v_lshlrev_b64 v[22:23], 2, v[14:15]
	v_sub_nc_u32_e32 v14, v32, v2
	v_add_co_u32 v20, vcc_lo, v12, v20
	v_add_co_ci_u32_e32 v21, vcc_lo, v13, v21, vcc_lo
	v_lshlrev_b64 v[43:44], 2, v[14:15]
	v_sub_nc_u32_e32 v14, v31, v2
	v_add_co_u32 v22, vcc_lo, v12, v22
	v_add_co_ci_u32_e32 v23, vcc_lo, v13, v23, vcc_lo
	s_clause 0x3
	global_store_b32 v[18:19], v67, off
	global_store_b32 v[16:17], v66, off
	global_store_b32 v[20:21], v55, off
	global_store_b32 v[22:23], v53, off
	v_lshlrev_b64 v[16:17], 2, v[14:15]
	v_sub_nc_u32_e32 v14, v30, v2
	v_add_co_u32 v18, vcc_lo, v12, v43
	v_add_co_ci_u32_e32 v19, vcc_lo, v13, v44, vcc_lo
	s_delay_alu instid0(VALU_DEP_3) | instskip(SKIP_3) | instid1(VALU_DEP_3)
	v_lshlrev_b64 v[20:21], 2, v[14:15]
	v_sub_nc_u32_e32 v14, v29, v2
	v_add_co_u32 v16, vcc_lo, v12, v16
	v_add_co_ci_u32_e32 v17, vcc_lo, v13, v17, vcc_lo
	v_lshlrev_b64 v[22:23], 2, v[14:15]
	v_sub_nc_u32_e32 v14, v28, v2
	v_add_co_u32 v20, vcc_lo, v12, v20
	v_add_co_ci_u32_e32 v21, vcc_lo, v13, v21, vcc_lo
	s_delay_alu instid0(VALU_DEP_3)
	v_lshlrev_b64 v[43:44], 2, v[14:15]
	v_sub_nc_u32_e32 v14, v27, v2
	v_add_co_u32 v22, vcc_lo, v12, v22
	v_add_co_ci_u32_e32 v23, vcc_lo, v13, v23, vcc_lo
	s_clause 0x3
	global_store_b32 v[18:19], v51, off
	global_store_b32 v[16:17], v49, off
	;; [unrolled: 1-line block ×4, first 2 shown]
	v_lshlrev_b64 v[16:17], 2, v[14:15]
	v_sub_nc_u32_e32 v14, v26, v2
	v_add_co_u32 v18, vcc_lo, v12, v43
	v_add_co_ci_u32_e32 v19, vcc_lo, v13, v44, vcc_lo
	s_delay_alu instid0(VALU_DEP_3) | instskip(SKIP_3) | instid1(VALU_DEP_3)
	v_lshlrev_b64 v[20:21], 2, v[14:15]
	v_sub_nc_u32_e32 v14, v25, v2
	v_add_co_u32 v16, vcc_lo, v12, v16
	v_add_co_ci_u32_e32 v17, vcc_lo, v13, v17, vcc_lo
	v_lshlrev_b64 v[14:15], 2, v[14:15]
	v_add_co_u32 v20, vcc_lo, v12, v20
	v_add_co_ci_u32_e32 v21, vcc_lo, v13, v21, vcc_lo
	s_clause 0x2
	global_store_b32 v[18:19], v41, off
	global_store_b32 v[16:17], v39, off
	;; [unrolled: 1-line block ×3, first 2 shown]
	v_add_co_u32 v14, vcc_lo, v12, v14
	v_add_co_ci_u32_e32 v15, vcc_lo, v13, v15, vcc_lo
	global_store_b32 v[14:15], v38, off
	s_or_b32 exec_lo, exec_lo, s15
	s_delay_alu instid0(SALU_CYCLE_1)
	s_and_b32 exec_lo, exec_lo, s17
	s_cbranch_execnz .LBB171_150
	s_branch .LBB171_151
.LBB171_215:
	s_and_saveexec_b32 s17, s14
	s_cbranch_execnz .LBB171_271
; %bb.216:
	s_or_b32 exec_lo, exec_lo, s17
	s_and_saveexec_b32 s14, s13
	s_cbranch_execnz .LBB171_272
.LBB171_217:
	s_or_b32 exec_lo, exec_lo, s14
	s_and_saveexec_b32 s13, s12
	s_cbranch_execnz .LBB171_273
.LBB171_218:
	s_or_b32 exec_lo, exec_lo, s13
	s_and_saveexec_b32 s12, s11
	s_cbranch_execnz .LBB171_274
.LBB171_219:
	s_or_b32 exec_lo, exec_lo, s12
	s_and_saveexec_b32 s11, s10
	s_cbranch_execnz .LBB171_275
.LBB171_220:
	s_or_b32 exec_lo, exec_lo, s11
	s_and_saveexec_b32 s10, s9
	s_cbranch_execnz .LBB171_276
.LBB171_221:
	s_or_b32 exec_lo, exec_lo, s10
	s_and_saveexec_b32 s9, s8
	s_cbranch_execnz .LBB171_277
.LBB171_222:
	s_or_b32 exec_lo, exec_lo, s9
	s_and_saveexec_b32 s8, s7
	s_cbranch_execnz .LBB171_278
.LBB171_223:
	s_or_b32 exec_lo, exec_lo, s8
	s_and_saveexec_b32 s7, s6
	s_cbranch_execnz .LBB171_279
.LBB171_224:
	s_or_b32 exec_lo, exec_lo, s7
	s_and_saveexec_b32 s6, s5
	s_cbranch_execnz .LBB171_280
.LBB171_225:
	s_or_b32 exec_lo, exec_lo, s6
	s_and_saveexec_b32 s5, s4
	s_cbranch_execnz .LBB171_281
.LBB171_226:
	s_or_b32 exec_lo, exec_lo, s5
	s_and_saveexec_b32 s4, s3
	s_cbranch_execnz .LBB171_282
.LBB171_227:
	s_or_b32 exec_lo, exec_lo, s4
	s_and_saveexec_b32 s3, s2
	s_cbranch_execnz .LBB171_283
.LBB171_228:
	s_or_b32 exec_lo, exec_lo, s3
	s_and_saveexec_b32 s2, s1
	s_cbranch_execz .LBB171_230
.LBB171_229:
	v_sub_nc_u32_e32 v3, v25, v2
	s_delay_alu instid0(VALU_DEP_1)
	v_lshlrev_b32_e32 v3, 2, v3
	ds_store_b32 v3, v38
.LBB171_230:
	s_or_b32 exec_lo, exec_lo, s2
	s_delay_alu instid0(SALU_CYCLE_1)
	s_and_b32 s17, s0, exec_lo
                                        ; implicit-def: $vgpr38
                                        ; implicit-def: $vgpr40
                                        ; implicit-def: $vgpr39
                                        ; implicit-def: $vgpr41
                                        ; implicit-def: $vgpr42
                                        ; implicit-def: $vgpr47
                                        ; implicit-def: $vgpr49
                                        ; implicit-def: $vgpr51
                                        ; implicit-def: $vgpr53
                                        ; implicit-def: $vgpr55
                                        ; implicit-def: $vgpr66
                                        ; implicit-def: $vgpr67
                                        ; implicit-def: $vgpr68
                                        ; implicit-def: $vgpr69
                                        ; implicit-def: $vgpr35
                                        ; implicit-def: $vgpr65
                                        ; implicit-def: $vgpr36
                                        ; implicit-def: $vgpr34
                                        ; implicit-def: $vgpr33
                                        ; implicit-def: $vgpr32
                                        ; implicit-def: $vgpr31
                                        ; implicit-def: $vgpr30
                                        ; implicit-def: $vgpr29
                                        ; implicit-def: $vgpr28
                                        ; implicit-def: $vgpr27
                                        ; implicit-def: $vgpr26
                                        ; implicit-def: $vgpr25
	s_and_not1_saveexec_b32 s0, s16
	s_cbranch_execz .LBB171_155
.LBB171_231:
	v_sub_nc_u32_e32 v3, v4, v2
	v_sub_nc_u32_e32 v4, v35, v2
	;; [unrolled: 1-line block ×5, first 2 shown]
	v_lshlrev_b32_e32 v3, 2, v3
	v_lshlrev_b32_e32 v4, 2, v4
	;; [unrolled: 1-line block ×4, first 2 shown]
	s_or_b32 s17, s17, exec_lo
	ds_store_b32 v3, v69
	ds_store_b32 v4, v68
	;; [unrolled: 1-line block ×3, first 2 shown]
	v_sub_nc_u32_e32 v3, v34, v2
	v_sub_nc_u32_e32 v4, v33, v2
	;; [unrolled: 1-line block ×3, first 2 shown]
	ds_store_b32 v15, v66
	v_sub_nc_u32_e32 v15, v31, v2
	v_lshlrev_b32_e32 v3, 2, v3
	v_lshlrev_b32_e32 v4, 2, v4
	;; [unrolled: 1-line block ×3, first 2 shown]
	s_delay_alu instid0(VALU_DEP_4)
	v_lshlrev_b32_e32 v15, 2, v15
	ds_store_b32 v3, v55
	v_lshlrev_b32_e32 v3, 2, v16
	ds_store_b32 v4, v53
	ds_store_b32 v14, v51
	;; [unrolled: 1-line block ×3, first 2 shown]
	v_sub_nc_u32_e32 v4, v29, v2
	v_sub_nc_u32_e32 v16, v25, v2
	;; [unrolled: 1-line block ×3, first 2 shown]
	ds_store_b32 v3, v47
	v_sub_nc_u32_e32 v3, v28, v2
	v_lshlrev_b32_e32 v4, 2, v4
	v_sub_nc_u32_e32 v15, v26, v2
	v_lshlrev_b32_e32 v14, 2, v14
	s_delay_alu instid0(VALU_DEP_4)
	v_lshlrev_b32_e32 v3, 2, v3
	ds_store_b32 v4, v42
	v_lshlrev_b32_e32 v4, 2, v16
	v_lshlrev_b32_e32 v15, 2, v15
	ds_store_b32 v3, v41
	ds_store_b32 v14, v39
	;; [unrolled: 1-line block ×4, first 2 shown]
	s_or_b32 exec_lo, exec_lo, s0
	s_delay_alu instid0(SALU_CYCLE_1)
	s_and_b32 exec_lo, exec_lo, s17
	s_cbranch_execnz .LBB171_156
	s_branch .LBB171_157
.LBB171_232:
	v_sub_nc_u32_e32 v73, v4, v5
	v_mov_b32_e32 v74, 0
	s_delay_alu instid0(VALU_DEP_1) | instskip(NEXT) | instid1(VALU_DEP_1)
	v_lshlrev_b64 v[73:74], 2, v[73:74]
	v_add_co_u32 v73, vcc_lo, v70, v73
	s_delay_alu instid0(VALU_DEP_2)
	v_add_co_ci_u32_e32 v74, vcc_lo, v71, v74, vcc_lo
	global_store_b32 v[73:74], v21, off
	s_or_b32 exec_lo, exec_lo, s17
	s_and_saveexec_b32 s17, s11
	s_cbranch_execz .LBB171_166
.LBB171_233:
	v_sub_nc_u32_e32 v73, v35, v5
	v_mov_b32_e32 v74, 0
	s_delay_alu instid0(VALU_DEP_1) | instskip(NEXT) | instid1(VALU_DEP_1)
	v_lshlrev_b64 v[73:74], 2, v[73:74]
	v_add_co_u32 v73, vcc_lo, v70, v73
	s_delay_alu instid0(VALU_DEP_2)
	v_add_co_ci_u32_e32 v74, vcc_lo, v71, v74, vcc_lo
	global_store_b32 v[73:74], v22, off
	s_or_b32 exec_lo, exec_lo, s17
	s_and_saveexec_b32 s17, s9
	s_cbranch_execz .LBB171_167
.LBB171_234:
	v_sub_nc_u32_e32 v73, v65, v5
	v_mov_b32_e32 v74, 0
	s_delay_alu instid0(VALU_DEP_1) | instskip(NEXT) | instid1(VALU_DEP_1)
	v_lshlrev_b64 v[73:74], 2, v[73:74]
	v_add_co_u32 v73, vcc_lo, v70, v73
	s_delay_alu instid0(VALU_DEP_2)
	v_add_co_ci_u32_e32 v74, vcc_lo, v71, v74, vcc_lo
	global_store_b32 v[73:74], v19, off
	s_or_b32 exec_lo, exec_lo, s17
	s_and_saveexec_b32 s17, s8
	s_cbranch_execz .LBB171_168
.LBB171_235:
	v_sub_nc_u32_e32 v73, v36, v5
	v_mov_b32_e32 v74, 0
	s_delay_alu instid0(VALU_DEP_1) | instskip(NEXT) | instid1(VALU_DEP_1)
	v_lshlrev_b64 v[73:74], 2, v[73:74]
	v_add_co_u32 v73, vcc_lo, v70, v73
	s_delay_alu instid0(VALU_DEP_2)
	v_add_co_ci_u32_e32 v74, vcc_lo, v71, v74, vcc_lo
	global_store_b32 v[73:74], v20, off
	s_or_b32 exec_lo, exec_lo, s17
	s_and_saveexec_b32 s17, s14
	s_cbranch_execz .LBB171_169
.LBB171_236:
	v_sub_nc_u32_e32 v73, v34, v5
	v_mov_b32_e32 v74, 0
	s_delay_alu instid0(VALU_DEP_1) | instskip(NEXT) | instid1(VALU_DEP_1)
	v_lshlrev_b64 v[73:74], 2, v[73:74]
	v_add_co_u32 v73, vcc_lo, v70, v73
	s_delay_alu instid0(VALU_DEP_2)
	v_add_co_ci_u32_e32 v74, vcc_lo, v71, v74, vcc_lo
	global_store_b32 v[73:74], v17, off
	s_or_b32 exec_lo, exec_lo, s17
	s_and_saveexec_b32 s17, s13
	s_cbranch_execz .LBB171_170
.LBB171_237:
	v_sub_nc_u32_e32 v73, v33, v5
	v_mov_b32_e32 v74, 0
	s_delay_alu instid0(VALU_DEP_1) | instskip(NEXT) | instid1(VALU_DEP_1)
	v_lshlrev_b64 v[73:74], 2, v[73:74]
	v_add_co_u32 v73, vcc_lo, v70, v73
	s_delay_alu instid0(VALU_DEP_2)
	v_add_co_ci_u32_e32 v74, vcc_lo, v71, v74, vcc_lo
	global_store_b32 v[73:74], v18, off
	s_or_b32 exec_lo, exec_lo, s17
	s_and_saveexec_b32 s17, s10
	s_cbranch_execz .LBB171_171
.LBB171_238:
	v_sub_nc_u32_e32 v73, v32, v5
	v_mov_b32_e32 v74, 0
	s_delay_alu instid0(VALU_DEP_1) | instskip(NEXT) | instid1(VALU_DEP_1)
	v_lshlrev_b64 v[73:74], 2, v[73:74]
	v_add_co_u32 v73, vcc_lo, v70, v73
	s_delay_alu instid0(VALU_DEP_2)
	v_add_co_ci_u32_e32 v74, vcc_lo, v71, v74, vcc_lo
	global_store_b32 v[73:74], v15, off
	s_or_b32 exec_lo, exec_lo, s17
	s_and_saveexec_b32 s17, s7
	s_cbranch_execz .LBB171_172
.LBB171_239:
	v_sub_nc_u32_e32 v73, v31, v5
	v_mov_b32_e32 v74, 0
	s_delay_alu instid0(VALU_DEP_1) | instskip(NEXT) | instid1(VALU_DEP_1)
	v_lshlrev_b64 v[73:74], 2, v[73:74]
	v_add_co_u32 v73, vcc_lo, v70, v73
	s_delay_alu instid0(VALU_DEP_2)
	v_add_co_ci_u32_e32 v74, vcc_lo, v71, v74, vcc_lo
	global_store_b32 v[73:74], v16, off
	s_or_b32 exec_lo, exec_lo, s17
	s_and_saveexec_b32 s17, s6
	s_cbranch_execz .LBB171_173
.LBB171_240:
	v_sub_nc_u32_e32 v73, v30, v5
	v_mov_b32_e32 v74, 0
	s_delay_alu instid0(VALU_DEP_1) | instskip(NEXT) | instid1(VALU_DEP_1)
	v_lshlrev_b64 v[73:74], 2, v[73:74]
	v_add_co_u32 v73, vcc_lo, v70, v73
	s_delay_alu instid0(VALU_DEP_2)
	v_add_co_ci_u32_e32 v74, vcc_lo, v71, v74, vcc_lo
	global_store_b32 v[73:74], v13, off
	s_or_b32 exec_lo, exec_lo, s17
	s_and_saveexec_b32 s17, s5
	s_cbranch_execz .LBB171_174
.LBB171_241:
	v_sub_nc_u32_e32 v73, v29, v5
	v_mov_b32_e32 v74, 0
	s_delay_alu instid0(VALU_DEP_1) | instskip(NEXT) | instid1(VALU_DEP_1)
	v_lshlrev_b64 v[73:74], 2, v[73:74]
	v_add_co_u32 v73, vcc_lo, v70, v73
	s_delay_alu instid0(VALU_DEP_2)
	v_add_co_ci_u32_e32 v74, vcc_lo, v71, v74, vcc_lo
	global_store_b32 v[73:74], v14, off
	s_or_b32 exec_lo, exec_lo, s17
	s_and_saveexec_b32 s17, s4
	s_cbranch_execz .LBB171_175
.LBB171_242:
	v_sub_nc_u32_e32 v73, v28, v5
	v_mov_b32_e32 v74, 0
	s_delay_alu instid0(VALU_DEP_1) | instskip(NEXT) | instid1(VALU_DEP_1)
	v_lshlrev_b64 v[73:74], 2, v[73:74]
	v_add_co_u32 v73, vcc_lo, v70, v73
	s_delay_alu instid0(VALU_DEP_2)
	v_add_co_ci_u32_e32 v74, vcc_lo, v71, v74, vcc_lo
	global_store_b32 v[73:74], v11, off
	s_or_b32 exec_lo, exec_lo, s17
	s_and_saveexec_b32 s17, s3
	s_cbranch_execz .LBB171_176
.LBB171_243:
	v_sub_nc_u32_e32 v73, v27, v5
	v_mov_b32_e32 v74, 0
	s_delay_alu instid0(VALU_DEP_1) | instskip(NEXT) | instid1(VALU_DEP_1)
	v_lshlrev_b64 v[73:74], 2, v[73:74]
	v_add_co_u32 v73, vcc_lo, v70, v73
	s_delay_alu instid0(VALU_DEP_2)
	v_add_co_ci_u32_e32 v74, vcc_lo, v71, v74, vcc_lo
	global_store_b32 v[73:74], v12, off
	s_or_b32 exec_lo, exec_lo, s17
	s_and_saveexec_b32 s17, s2
	s_cbranch_execz .LBB171_177
.LBB171_244:
	v_sub_nc_u32_e32 v73, v26, v5
	v_mov_b32_e32 v74, 0
	s_delay_alu instid0(VALU_DEP_1) | instskip(NEXT) | instid1(VALU_DEP_1)
	v_lshlrev_b64 v[73:74], 2, v[73:74]
	v_add_co_u32 v73, vcc_lo, v70, v73
	s_delay_alu instid0(VALU_DEP_2)
	v_add_co_ci_u32_e32 v74, vcc_lo, v71, v74, vcc_lo
	global_store_b32 v[73:74], v9, off
	s_or_b32 exec_lo, exec_lo, s17
	s_and_saveexec_b32 s17, s1
	s_cbranch_execnz .LBB171_178
	s_branch .LBB171_179
.LBB171_245:
	v_sub_nc_u32_e32 v72, v4, v5
	s_delay_alu instid0(VALU_DEP_1)
	v_lshlrev_b32_e32 v72, 2, v72
	ds_store_b32 v72, v21
	s_or_b32 exec_lo, exec_lo, s17
	s_and_saveexec_b32 s12, s11
	s_cbranch_execz .LBB171_183
.LBB171_246:
	v_sub_nc_u32_e32 v21, v35, v5
	s_delay_alu instid0(VALU_DEP_1)
	v_lshlrev_b32_e32 v21, 2, v21
	ds_store_b32 v21, v22
	s_or_b32 exec_lo, exec_lo, s12
	s_and_saveexec_b32 s11, s9
	s_cbranch_execz .LBB171_184
.LBB171_247:
	v_sub_nc_u32_e32 v21, v65, v5
	s_delay_alu instid0(VALU_DEP_1)
	v_lshlrev_b32_e32 v21, 2, v21
	ds_store_b32 v21, v19
	s_or_b32 exec_lo, exec_lo, s11
	s_and_saveexec_b32 s9, s8
	s_cbranch_execz .LBB171_185
.LBB171_248:
	v_sub_nc_u32_e32 v19, v36, v5
	s_delay_alu instid0(VALU_DEP_1)
	v_lshlrev_b32_e32 v19, 2, v19
	ds_store_b32 v19, v20
	s_or_b32 exec_lo, exec_lo, s9
	s_and_saveexec_b32 s8, s14
	s_cbranch_execz .LBB171_186
.LBB171_249:
	v_sub_nc_u32_e32 v19, v34, v5
	s_delay_alu instid0(VALU_DEP_1)
	v_lshlrev_b32_e32 v19, 2, v19
	ds_store_b32 v19, v17
	s_or_b32 exec_lo, exec_lo, s8
	s_and_saveexec_b32 s8, s13
	s_cbranch_execz .LBB171_187
.LBB171_250:
	v_sub_nc_u32_e32 v17, v33, v5
	s_delay_alu instid0(VALU_DEP_1)
	v_lshlrev_b32_e32 v17, 2, v17
	ds_store_b32 v17, v18
	s_or_b32 exec_lo, exec_lo, s8
	s_and_saveexec_b32 s8, s10
	s_cbranch_execz .LBB171_188
.LBB171_251:
	v_sub_nc_u32_e32 v17, v32, v5
	s_delay_alu instid0(VALU_DEP_1)
	v_lshlrev_b32_e32 v17, 2, v17
	ds_store_b32 v17, v15
	s_or_b32 exec_lo, exec_lo, s8
	s_and_saveexec_b32 s8, s7
	s_cbranch_execz .LBB171_189
.LBB171_252:
	v_sub_nc_u32_e32 v15, v31, v5
	s_delay_alu instid0(VALU_DEP_1)
	v_lshlrev_b32_e32 v15, 2, v15
	ds_store_b32 v15, v16
	s_or_b32 exec_lo, exec_lo, s8
	s_and_saveexec_b32 s7, s6
	s_cbranch_execz .LBB171_190
.LBB171_253:
	v_sub_nc_u32_e32 v15, v30, v5
	s_delay_alu instid0(VALU_DEP_1)
	v_lshlrev_b32_e32 v15, 2, v15
	ds_store_b32 v15, v13
	s_or_b32 exec_lo, exec_lo, s7
	s_and_saveexec_b32 s6, s5
	s_cbranch_execz .LBB171_191
.LBB171_254:
	v_sub_nc_u32_e32 v13, v29, v5
	s_delay_alu instid0(VALU_DEP_1)
	v_lshlrev_b32_e32 v13, 2, v13
	ds_store_b32 v13, v14
	s_or_b32 exec_lo, exec_lo, s6
	s_and_saveexec_b32 s5, s4
	s_cbranch_execz .LBB171_192
.LBB171_255:
	v_sub_nc_u32_e32 v13, v28, v5
	s_delay_alu instid0(VALU_DEP_1)
	v_lshlrev_b32_e32 v13, 2, v13
	ds_store_b32 v13, v11
	s_or_b32 exec_lo, exec_lo, s5
	s_and_saveexec_b32 s4, s3
	s_cbranch_execz .LBB171_193
.LBB171_256:
	v_sub_nc_u32_e32 v11, v27, v5
	s_delay_alu instid0(VALU_DEP_1)
	v_lshlrev_b32_e32 v11, 2, v11
	ds_store_b32 v11, v12
	s_or_b32 exec_lo, exec_lo, s4
	s_and_saveexec_b32 s3, s2
	s_cbranch_execz .LBB171_194
.LBB171_257:
	v_sub_nc_u32_e32 v11, v26, v5
	s_delay_alu instid0(VALU_DEP_1)
	v_lshlrev_b32_e32 v11, 2, v11
	ds_store_b32 v11, v9
	s_or_b32 exec_lo, exec_lo, s3
	s_and_saveexec_b32 s2, s1
	s_cbranch_execnz .LBB171_195
	s_branch .LBB171_196
.LBB171_258:
	v_sub_nc_u32_e32 v14, v4, v2
	v_mov_b32_e32 v15, 0
	s_delay_alu instid0(VALU_DEP_1) | instskip(NEXT) | instid1(VALU_DEP_1)
	v_lshlrev_b64 v[14:15], 2, v[14:15]
	v_add_co_u32 v14, vcc_lo, v12, v14
	s_delay_alu instid0(VALU_DEP_2)
	v_add_co_ci_u32_e32 v15, vcc_lo, v13, v15, vcc_lo
	global_store_b32 v[14:15], v69, off
	s_or_b32 exec_lo, exec_lo, s17
	s_and_saveexec_b32 s17, s13
	s_cbranch_execz .LBB171_200
.LBB171_259:
	v_sub_nc_u32_e32 v14, v35, v2
	v_mov_b32_e32 v15, 0
	s_delay_alu instid0(VALU_DEP_1) | instskip(NEXT) | instid1(VALU_DEP_1)
	v_lshlrev_b64 v[14:15], 2, v[14:15]
	v_add_co_u32 v14, vcc_lo, v12, v14
	s_delay_alu instid0(VALU_DEP_2)
	v_add_co_ci_u32_e32 v15, vcc_lo, v13, v15, vcc_lo
	global_store_b32 v[14:15], v68, off
	s_or_b32 exec_lo, exec_lo, s17
	s_and_saveexec_b32 s17, s12
	s_cbranch_execz .LBB171_201
.LBB171_260:
	v_sub_nc_u32_e32 v14, v65, v2
	v_mov_b32_e32 v15, 0
	s_delay_alu instid0(VALU_DEP_1) | instskip(NEXT) | instid1(VALU_DEP_1)
	v_lshlrev_b64 v[14:15], 2, v[14:15]
	v_add_co_u32 v14, vcc_lo, v12, v14
	s_delay_alu instid0(VALU_DEP_2)
	v_add_co_ci_u32_e32 v15, vcc_lo, v13, v15, vcc_lo
	global_store_b32 v[14:15], v67, off
	s_or_b32 exec_lo, exec_lo, s17
	s_and_saveexec_b32 s17, s11
	s_cbranch_execz .LBB171_202
.LBB171_261:
	v_sub_nc_u32_e32 v14, v36, v2
	v_mov_b32_e32 v15, 0
	s_delay_alu instid0(VALU_DEP_1) | instskip(NEXT) | instid1(VALU_DEP_1)
	v_lshlrev_b64 v[14:15], 2, v[14:15]
	v_add_co_u32 v14, vcc_lo, v12, v14
	s_delay_alu instid0(VALU_DEP_2)
	v_add_co_ci_u32_e32 v15, vcc_lo, v13, v15, vcc_lo
	global_store_b32 v[14:15], v66, off
	s_or_b32 exec_lo, exec_lo, s17
	s_and_saveexec_b32 s17, s10
	s_cbranch_execz .LBB171_203
.LBB171_262:
	v_sub_nc_u32_e32 v14, v34, v2
	v_mov_b32_e32 v15, 0
	s_delay_alu instid0(VALU_DEP_1) | instskip(NEXT) | instid1(VALU_DEP_1)
	v_lshlrev_b64 v[14:15], 2, v[14:15]
	v_add_co_u32 v14, vcc_lo, v12, v14
	s_delay_alu instid0(VALU_DEP_2)
	v_add_co_ci_u32_e32 v15, vcc_lo, v13, v15, vcc_lo
	global_store_b32 v[14:15], v55, off
	s_or_b32 exec_lo, exec_lo, s17
	s_and_saveexec_b32 s17, s9
	s_cbranch_execz .LBB171_204
.LBB171_263:
	v_sub_nc_u32_e32 v14, v33, v2
	v_mov_b32_e32 v15, 0
	s_delay_alu instid0(VALU_DEP_1) | instskip(NEXT) | instid1(VALU_DEP_1)
	v_lshlrev_b64 v[14:15], 2, v[14:15]
	v_add_co_u32 v14, vcc_lo, v12, v14
	s_delay_alu instid0(VALU_DEP_2)
	v_add_co_ci_u32_e32 v15, vcc_lo, v13, v15, vcc_lo
	global_store_b32 v[14:15], v53, off
	s_or_b32 exec_lo, exec_lo, s17
	s_and_saveexec_b32 s17, s8
	s_cbranch_execz .LBB171_205
.LBB171_264:
	v_sub_nc_u32_e32 v14, v32, v2
	v_mov_b32_e32 v15, 0
	s_delay_alu instid0(VALU_DEP_1) | instskip(NEXT) | instid1(VALU_DEP_1)
	v_lshlrev_b64 v[14:15], 2, v[14:15]
	v_add_co_u32 v14, vcc_lo, v12, v14
	s_delay_alu instid0(VALU_DEP_2)
	v_add_co_ci_u32_e32 v15, vcc_lo, v13, v15, vcc_lo
	global_store_b32 v[14:15], v51, off
	s_or_b32 exec_lo, exec_lo, s17
	s_and_saveexec_b32 s17, s7
	s_cbranch_execz .LBB171_206
.LBB171_265:
	v_sub_nc_u32_e32 v14, v31, v2
	v_mov_b32_e32 v15, 0
	s_delay_alu instid0(VALU_DEP_1) | instskip(NEXT) | instid1(VALU_DEP_1)
	v_lshlrev_b64 v[14:15], 2, v[14:15]
	v_add_co_u32 v14, vcc_lo, v12, v14
	s_delay_alu instid0(VALU_DEP_2)
	v_add_co_ci_u32_e32 v15, vcc_lo, v13, v15, vcc_lo
	global_store_b32 v[14:15], v49, off
	s_or_b32 exec_lo, exec_lo, s17
	s_and_saveexec_b32 s17, s6
	s_cbranch_execz .LBB171_207
.LBB171_266:
	v_sub_nc_u32_e32 v14, v30, v2
	v_mov_b32_e32 v15, 0
	s_delay_alu instid0(VALU_DEP_1) | instskip(NEXT) | instid1(VALU_DEP_1)
	v_lshlrev_b64 v[14:15], 2, v[14:15]
	v_add_co_u32 v14, vcc_lo, v12, v14
	s_delay_alu instid0(VALU_DEP_2)
	v_add_co_ci_u32_e32 v15, vcc_lo, v13, v15, vcc_lo
	global_store_b32 v[14:15], v47, off
	s_or_b32 exec_lo, exec_lo, s17
	s_and_saveexec_b32 s17, s5
	s_cbranch_execz .LBB171_208
.LBB171_267:
	v_sub_nc_u32_e32 v14, v29, v2
	v_mov_b32_e32 v15, 0
	s_delay_alu instid0(VALU_DEP_1) | instskip(NEXT) | instid1(VALU_DEP_1)
	v_lshlrev_b64 v[14:15], 2, v[14:15]
	v_add_co_u32 v14, vcc_lo, v12, v14
	s_delay_alu instid0(VALU_DEP_2)
	v_add_co_ci_u32_e32 v15, vcc_lo, v13, v15, vcc_lo
	global_store_b32 v[14:15], v42, off
	s_or_b32 exec_lo, exec_lo, s17
	s_and_saveexec_b32 s17, s4
	s_cbranch_execz .LBB171_209
.LBB171_268:
	v_sub_nc_u32_e32 v14, v28, v2
	v_mov_b32_e32 v15, 0
	s_delay_alu instid0(VALU_DEP_1) | instskip(NEXT) | instid1(VALU_DEP_1)
	v_lshlrev_b64 v[14:15], 2, v[14:15]
	v_add_co_u32 v14, vcc_lo, v12, v14
	s_delay_alu instid0(VALU_DEP_2)
	v_add_co_ci_u32_e32 v15, vcc_lo, v13, v15, vcc_lo
	global_store_b32 v[14:15], v41, off
	s_or_b32 exec_lo, exec_lo, s17
	s_and_saveexec_b32 s17, s3
	s_cbranch_execz .LBB171_210
.LBB171_269:
	v_sub_nc_u32_e32 v14, v27, v2
	v_mov_b32_e32 v15, 0
	s_delay_alu instid0(VALU_DEP_1) | instskip(NEXT) | instid1(VALU_DEP_1)
	v_lshlrev_b64 v[14:15], 2, v[14:15]
	v_add_co_u32 v14, vcc_lo, v12, v14
	s_delay_alu instid0(VALU_DEP_2)
	v_add_co_ci_u32_e32 v15, vcc_lo, v13, v15, vcc_lo
	global_store_b32 v[14:15], v39, off
	s_or_b32 exec_lo, exec_lo, s17
	s_and_saveexec_b32 s17, s2
	s_cbranch_execz .LBB171_211
.LBB171_270:
	v_sub_nc_u32_e32 v14, v26, v2
	v_mov_b32_e32 v15, 0
	s_delay_alu instid0(VALU_DEP_1) | instskip(NEXT) | instid1(VALU_DEP_1)
	v_lshlrev_b64 v[14:15], 2, v[14:15]
	v_add_co_u32 v14, vcc_lo, v12, v14
	s_delay_alu instid0(VALU_DEP_2)
	v_add_co_ci_u32_e32 v15, vcc_lo, v13, v15, vcc_lo
	global_store_b32 v[14:15], v40, off
	s_or_b32 exec_lo, exec_lo, s17
	s_and_saveexec_b32 s17, s1
	s_cbranch_execnz .LBB171_212
	s_branch .LBB171_213
.LBB171_271:
	v_sub_nc_u32_e32 v3, v4, v2
	s_delay_alu instid0(VALU_DEP_1)
	v_lshlrev_b32_e32 v3, 2, v3
	ds_store_b32 v3, v69
	s_or_b32 exec_lo, exec_lo, s17
	s_and_saveexec_b32 s14, s13
	s_cbranch_execz .LBB171_217
.LBB171_272:
	v_sub_nc_u32_e32 v3, v35, v2
	s_delay_alu instid0(VALU_DEP_1)
	v_lshlrev_b32_e32 v3, 2, v3
	ds_store_b32 v3, v68
	s_or_b32 exec_lo, exec_lo, s14
	s_and_saveexec_b32 s13, s12
	s_cbranch_execz .LBB171_218
.LBB171_273:
	v_sub_nc_u32_e32 v3, v65, v2
	s_delay_alu instid0(VALU_DEP_1)
	v_lshlrev_b32_e32 v3, 2, v3
	ds_store_b32 v3, v67
	s_or_b32 exec_lo, exec_lo, s13
	s_and_saveexec_b32 s12, s11
	s_cbranch_execz .LBB171_219
.LBB171_274:
	v_sub_nc_u32_e32 v3, v36, v2
	s_delay_alu instid0(VALU_DEP_1)
	v_lshlrev_b32_e32 v3, 2, v3
	ds_store_b32 v3, v66
	s_or_b32 exec_lo, exec_lo, s12
	s_and_saveexec_b32 s11, s10
	s_cbranch_execz .LBB171_220
.LBB171_275:
	v_sub_nc_u32_e32 v3, v34, v2
	s_delay_alu instid0(VALU_DEP_1)
	v_lshlrev_b32_e32 v3, 2, v3
	ds_store_b32 v3, v55
	s_or_b32 exec_lo, exec_lo, s11
	s_and_saveexec_b32 s10, s9
	s_cbranch_execz .LBB171_221
.LBB171_276:
	v_sub_nc_u32_e32 v3, v33, v2
	s_delay_alu instid0(VALU_DEP_1)
	v_lshlrev_b32_e32 v3, 2, v3
	ds_store_b32 v3, v53
	s_or_b32 exec_lo, exec_lo, s10
	s_and_saveexec_b32 s9, s8
	s_cbranch_execz .LBB171_222
.LBB171_277:
	v_sub_nc_u32_e32 v3, v32, v2
	s_delay_alu instid0(VALU_DEP_1)
	v_lshlrev_b32_e32 v3, 2, v3
	ds_store_b32 v3, v51
	s_or_b32 exec_lo, exec_lo, s9
	s_and_saveexec_b32 s8, s7
	s_cbranch_execz .LBB171_223
.LBB171_278:
	v_sub_nc_u32_e32 v3, v31, v2
	s_delay_alu instid0(VALU_DEP_1)
	v_lshlrev_b32_e32 v3, 2, v3
	ds_store_b32 v3, v49
	s_or_b32 exec_lo, exec_lo, s8
	s_and_saveexec_b32 s7, s6
	s_cbranch_execz .LBB171_224
.LBB171_279:
	v_sub_nc_u32_e32 v3, v30, v2
	s_delay_alu instid0(VALU_DEP_1)
	v_lshlrev_b32_e32 v3, 2, v3
	ds_store_b32 v3, v47
	s_or_b32 exec_lo, exec_lo, s7
	s_and_saveexec_b32 s6, s5
	s_cbranch_execz .LBB171_225
.LBB171_280:
	v_sub_nc_u32_e32 v3, v29, v2
	s_delay_alu instid0(VALU_DEP_1)
	v_lshlrev_b32_e32 v3, 2, v3
	ds_store_b32 v3, v42
	s_or_b32 exec_lo, exec_lo, s6
	s_and_saveexec_b32 s5, s4
	s_cbranch_execz .LBB171_226
.LBB171_281:
	v_sub_nc_u32_e32 v3, v28, v2
	s_delay_alu instid0(VALU_DEP_1)
	v_lshlrev_b32_e32 v3, 2, v3
	ds_store_b32 v3, v41
	s_or_b32 exec_lo, exec_lo, s5
	s_and_saveexec_b32 s4, s3
	s_cbranch_execz .LBB171_227
.LBB171_282:
	v_sub_nc_u32_e32 v3, v27, v2
	s_delay_alu instid0(VALU_DEP_1)
	v_lshlrev_b32_e32 v3, 2, v3
	ds_store_b32 v3, v39
	s_or_b32 exec_lo, exec_lo, s4
	s_and_saveexec_b32 s3, s2
	s_cbranch_execz .LBB171_228
.LBB171_283:
	v_sub_nc_u32_e32 v3, v26, v2
	s_delay_alu instid0(VALU_DEP_1)
	v_lshlrev_b32_e32 v3, 2, v3
	ds_store_b32 v3, v40
	s_or_b32 exec_lo, exec_lo, s3
	s_and_saveexec_b32 s2, s1
	s_cbranch_execnz .LBB171_229
	s_branch .LBB171_230
	.section	.rodata,"a",@progbits
	.p2align	6, 0x0
	.amdhsa_kernel _ZN7rocprim17ROCPRIM_400000_NS6detail17trampoline_kernelINS0_14default_configENS1_29reduce_by_key_config_selectorIffN6thrust23THRUST_200600_302600_NS4plusIfEEEEZZNS1_33reduce_by_key_impl_wrapped_configILNS1_25lookback_scan_determinismE0ES3_S9_NS6_6detail15normal_iteratorINS6_10device_ptrIfEEEESG_SG_SG_PmS8_NS6_8equal_toIfEEEE10hipError_tPvRmT2_T3_mT4_T5_T6_T7_T8_P12ihipStream_tbENKUlT_T0_E_clISt17integral_constantIbLb0EES11_EEDaSW_SX_EUlSW_E_NS1_11comp_targetILNS1_3genE9ELNS1_11target_archE1100ELNS1_3gpuE3ELNS1_3repE0EEENS1_30default_config_static_selectorELNS0_4arch9wavefront6targetE0EEEvT1_
		.amdhsa_group_segment_fixed_size 15360
		.amdhsa_private_segment_fixed_size 0
		.amdhsa_kernarg_size 120
		.amdhsa_user_sgpr_count 15
		.amdhsa_user_sgpr_dispatch_ptr 0
		.amdhsa_user_sgpr_queue_ptr 0
		.amdhsa_user_sgpr_kernarg_segment_ptr 1
		.amdhsa_user_sgpr_dispatch_id 0
		.amdhsa_user_sgpr_private_segment_size 0
		.amdhsa_wavefront_size32 1
		.amdhsa_uses_dynamic_stack 0
		.amdhsa_enable_private_segment 0
		.amdhsa_system_sgpr_workgroup_id_x 1
		.amdhsa_system_sgpr_workgroup_id_y 0
		.amdhsa_system_sgpr_workgroup_id_z 0
		.amdhsa_system_sgpr_workgroup_info 0
		.amdhsa_system_vgpr_workitem_id 0
		.amdhsa_next_free_vgpr 85
		.amdhsa_next_free_sgpr 46
		.amdhsa_reserve_vcc 1
		.amdhsa_float_round_mode_32 0
		.amdhsa_float_round_mode_16_64 0
		.amdhsa_float_denorm_mode_32 3
		.amdhsa_float_denorm_mode_16_64 3
		.amdhsa_dx10_clamp 1
		.amdhsa_ieee_mode 1
		.amdhsa_fp16_overflow 0
		.amdhsa_workgroup_processor_mode 1
		.amdhsa_memory_ordered 1
		.amdhsa_forward_progress 0
		.amdhsa_shared_vgpr_count 0
		.amdhsa_exception_fp_ieee_invalid_op 0
		.amdhsa_exception_fp_denorm_src 0
		.amdhsa_exception_fp_ieee_div_zero 0
		.amdhsa_exception_fp_ieee_overflow 0
		.amdhsa_exception_fp_ieee_underflow 0
		.amdhsa_exception_fp_ieee_inexact 0
		.amdhsa_exception_int_div_zero 0
	.end_amdhsa_kernel
	.section	.text._ZN7rocprim17ROCPRIM_400000_NS6detail17trampoline_kernelINS0_14default_configENS1_29reduce_by_key_config_selectorIffN6thrust23THRUST_200600_302600_NS4plusIfEEEEZZNS1_33reduce_by_key_impl_wrapped_configILNS1_25lookback_scan_determinismE0ES3_S9_NS6_6detail15normal_iteratorINS6_10device_ptrIfEEEESG_SG_SG_PmS8_NS6_8equal_toIfEEEE10hipError_tPvRmT2_T3_mT4_T5_T6_T7_T8_P12ihipStream_tbENKUlT_T0_E_clISt17integral_constantIbLb0EES11_EEDaSW_SX_EUlSW_E_NS1_11comp_targetILNS1_3genE9ELNS1_11target_archE1100ELNS1_3gpuE3ELNS1_3repE0EEENS1_30default_config_static_selectorELNS0_4arch9wavefront6targetE0EEEvT1_,"axG",@progbits,_ZN7rocprim17ROCPRIM_400000_NS6detail17trampoline_kernelINS0_14default_configENS1_29reduce_by_key_config_selectorIffN6thrust23THRUST_200600_302600_NS4plusIfEEEEZZNS1_33reduce_by_key_impl_wrapped_configILNS1_25lookback_scan_determinismE0ES3_S9_NS6_6detail15normal_iteratorINS6_10device_ptrIfEEEESG_SG_SG_PmS8_NS6_8equal_toIfEEEE10hipError_tPvRmT2_T3_mT4_T5_T6_T7_T8_P12ihipStream_tbENKUlT_T0_E_clISt17integral_constantIbLb0EES11_EEDaSW_SX_EUlSW_E_NS1_11comp_targetILNS1_3genE9ELNS1_11target_archE1100ELNS1_3gpuE3ELNS1_3repE0EEENS1_30default_config_static_selectorELNS0_4arch9wavefront6targetE0EEEvT1_,comdat
.Lfunc_end171:
	.size	_ZN7rocprim17ROCPRIM_400000_NS6detail17trampoline_kernelINS0_14default_configENS1_29reduce_by_key_config_selectorIffN6thrust23THRUST_200600_302600_NS4plusIfEEEEZZNS1_33reduce_by_key_impl_wrapped_configILNS1_25lookback_scan_determinismE0ES3_S9_NS6_6detail15normal_iteratorINS6_10device_ptrIfEEEESG_SG_SG_PmS8_NS6_8equal_toIfEEEE10hipError_tPvRmT2_T3_mT4_T5_T6_T7_T8_P12ihipStream_tbENKUlT_T0_E_clISt17integral_constantIbLb0EES11_EEDaSW_SX_EUlSW_E_NS1_11comp_targetILNS1_3genE9ELNS1_11target_archE1100ELNS1_3gpuE3ELNS1_3repE0EEENS1_30default_config_static_selectorELNS0_4arch9wavefront6targetE0EEEvT1_, .Lfunc_end171-_ZN7rocprim17ROCPRIM_400000_NS6detail17trampoline_kernelINS0_14default_configENS1_29reduce_by_key_config_selectorIffN6thrust23THRUST_200600_302600_NS4plusIfEEEEZZNS1_33reduce_by_key_impl_wrapped_configILNS1_25lookback_scan_determinismE0ES3_S9_NS6_6detail15normal_iteratorINS6_10device_ptrIfEEEESG_SG_SG_PmS8_NS6_8equal_toIfEEEE10hipError_tPvRmT2_T3_mT4_T5_T6_T7_T8_P12ihipStream_tbENKUlT_T0_E_clISt17integral_constantIbLb0EES11_EEDaSW_SX_EUlSW_E_NS1_11comp_targetILNS1_3genE9ELNS1_11target_archE1100ELNS1_3gpuE3ELNS1_3repE0EEENS1_30default_config_static_selectorELNS0_4arch9wavefront6targetE0EEEvT1_
                                        ; -- End function
	.section	.AMDGPU.csdata,"",@progbits
; Kernel info:
; codeLenInByte = 17408
; NumSgprs: 48
; NumVgprs: 85
; ScratchSize: 0
; MemoryBound: 0
; FloatMode: 240
; IeeeMode: 1
; LDSByteSize: 15360 bytes/workgroup (compile time only)
; SGPRBlocks: 5
; VGPRBlocks: 10
; NumSGPRsForWavesPerEU: 48
; NumVGPRsForWavesPerEU: 85
; Occupancy: 16
; WaveLimiterHint : 1
; COMPUTE_PGM_RSRC2:SCRATCH_EN: 0
; COMPUTE_PGM_RSRC2:USER_SGPR: 15
; COMPUTE_PGM_RSRC2:TRAP_HANDLER: 0
; COMPUTE_PGM_RSRC2:TGID_X_EN: 1
; COMPUTE_PGM_RSRC2:TGID_Y_EN: 0
; COMPUTE_PGM_RSRC2:TGID_Z_EN: 0
; COMPUTE_PGM_RSRC2:TIDIG_COMP_CNT: 0
	.section	.text._ZN7rocprim17ROCPRIM_400000_NS6detail17trampoline_kernelINS0_14default_configENS1_29reduce_by_key_config_selectorIffN6thrust23THRUST_200600_302600_NS4plusIfEEEEZZNS1_33reduce_by_key_impl_wrapped_configILNS1_25lookback_scan_determinismE0ES3_S9_NS6_6detail15normal_iteratorINS6_10device_ptrIfEEEESG_SG_SG_PmS8_NS6_8equal_toIfEEEE10hipError_tPvRmT2_T3_mT4_T5_T6_T7_T8_P12ihipStream_tbENKUlT_T0_E_clISt17integral_constantIbLb0EES11_EEDaSW_SX_EUlSW_E_NS1_11comp_targetILNS1_3genE8ELNS1_11target_archE1030ELNS1_3gpuE2ELNS1_3repE0EEENS1_30default_config_static_selectorELNS0_4arch9wavefront6targetE0EEEvT1_,"axG",@progbits,_ZN7rocprim17ROCPRIM_400000_NS6detail17trampoline_kernelINS0_14default_configENS1_29reduce_by_key_config_selectorIffN6thrust23THRUST_200600_302600_NS4plusIfEEEEZZNS1_33reduce_by_key_impl_wrapped_configILNS1_25lookback_scan_determinismE0ES3_S9_NS6_6detail15normal_iteratorINS6_10device_ptrIfEEEESG_SG_SG_PmS8_NS6_8equal_toIfEEEE10hipError_tPvRmT2_T3_mT4_T5_T6_T7_T8_P12ihipStream_tbENKUlT_T0_E_clISt17integral_constantIbLb0EES11_EEDaSW_SX_EUlSW_E_NS1_11comp_targetILNS1_3genE8ELNS1_11target_archE1030ELNS1_3gpuE2ELNS1_3repE0EEENS1_30default_config_static_selectorELNS0_4arch9wavefront6targetE0EEEvT1_,comdat
	.protected	_ZN7rocprim17ROCPRIM_400000_NS6detail17trampoline_kernelINS0_14default_configENS1_29reduce_by_key_config_selectorIffN6thrust23THRUST_200600_302600_NS4plusIfEEEEZZNS1_33reduce_by_key_impl_wrapped_configILNS1_25lookback_scan_determinismE0ES3_S9_NS6_6detail15normal_iteratorINS6_10device_ptrIfEEEESG_SG_SG_PmS8_NS6_8equal_toIfEEEE10hipError_tPvRmT2_T3_mT4_T5_T6_T7_T8_P12ihipStream_tbENKUlT_T0_E_clISt17integral_constantIbLb0EES11_EEDaSW_SX_EUlSW_E_NS1_11comp_targetILNS1_3genE8ELNS1_11target_archE1030ELNS1_3gpuE2ELNS1_3repE0EEENS1_30default_config_static_selectorELNS0_4arch9wavefront6targetE0EEEvT1_ ; -- Begin function _ZN7rocprim17ROCPRIM_400000_NS6detail17trampoline_kernelINS0_14default_configENS1_29reduce_by_key_config_selectorIffN6thrust23THRUST_200600_302600_NS4plusIfEEEEZZNS1_33reduce_by_key_impl_wrapped_configILNS1_25lookback_scan_determinismE0ES3_S9_NS6_6detail15normal_iteratorINS6_10device_ptrIfEEEESG_SG_SG_PmS8_NS6_8equal_toIfEEEE10hipError_tPvRmT2_T3_mT4_T5_T6_T7_T8_P12ihipStream_tbENKUlT_T0_E_clISt17integral_constantIbLb0EES11_EEDaSW_SX_EUlSW_E_NS1_11comp_targetILNS1_3genE8ELNS1_11target_archE1030ELNS1_3gpuE2ELNS1_3repE0EEENS1_30default_config_static_selectorELNS0_4arch9wavefront6targetE0EEEvT1_
	.globl	_ZN7rocprim17ROCPRIM_400000_NS6detail17trampoline_kernelINS0_14default_configENS1_29reduce_by_key_config_selectorIffN6thrust23THRUST_200600_302600_NS4plusIfEEEEZZNS1_33reduce_by_key_impl_wrapped_configILNS1_25lookback_scan_determinismE0ES3_S9_NS6_6detail15normal_iteratorINS6_10device_ptrIfEEEESG_SG_SG_PmS8_NS6_8equal_toIfEEEE10hipError_tPvRmT2_T3_mT4_T5_T6_T7_T8_P12ihipStream_tbENKUlT_T0_E_clISt17integral_constantIbLb0EES11_EEDaSW_SX_EUlSW_E_NS1_11comp_targetILNS1_3genE8ELNS1_11target_archE1030ELNS1_3gpuE2ELNS1_3repE0EEENS1_30default_config_static_selectorELNS0_4arch9wavefront6targetE0EEEvT1_
	.p2align	8
	.type	_ZN7rocprim17ROCPRIM_400000_NS6detail17trampoline_kernelINS0_14default_configENS1_29reduce_by_key_config_selectorIffN6thrust23THRUST_200600_302600_NS4plusIfEEEEZZNS1_33reduce_by_key_impl_wrapped_configILNS1_25lookback_scan_determinismE0ES3_S9_NS6_6detail15normal_iteratorINS6_10device_ptrIfEEEESG_SG_SG_PmS8_NS6_8equal_toIfEEEE10hipError_tPvRmT2_T3_mT4_T5_T6_T7_T8_P12ihipStream_tbENKUlT_T0_E_clISt17integral_constantIbLb0EES11_EEDaSW_SX_EUlSW_E_NS1_11comp_targetILNS1_3genE8ELNS1_11target_archE1030ELNS1_3gpuE2ELNS1_3repE0EEENS1_30default_config_static_selectorELNS0_4arch9wavefront6targetE0EEEvT1_,@function
_ZN7rocprim17ROCPRIM_400000_NS6detail17trampoline_kernelINS0_14default_configENS1_29reduce_by_key_config_selectorIffN6thrust23THRUST_200600_302600_NS4plusIfEEEEZZNS1_33reduce_by_key_impl_wrapped_configILNS1_25lookback_scan_determinismE0ES3_S9_NS6_6detail15normal_iteratorINS6_10device_ptrIfEEEESG_SG_SG_PmS8_NS6_8equal_toIfEEEE10hipError_tPvRmT2_T3_mT4_T5_T6_T7_T8_P12ihipStream_tbENKUlT_T0_E_clISt17integral_constantIbLb0EES11_EEDaSW_SX_EUlSW_E_NS1_11comp_targetILNS1_3genE8ELNS1_11target_archE1030ELNS1_3gpuE2ELNS1_3repE0EEENS1_30default_config_static_selectorELNS0_4arch9wavefront6targetE0EEEvT1_: ; @_ZN7rocprim17ROCPRIM_400000_NS6detail17trampoline_kernelINS0_14default_configENS1_29reduce_by_key_config_selectorIffN6thrust23THRUST_200600_302600_NS4plusIfEEEEZZNS1_33reduce_by_key_impl_wrapped_configILNS1_25lookback_scan_determinismE0ES3_S9_NS6_6detail15normal_iteratorINS6_10device_ptrIfEEEESG_SG_SG_PmS8_NS6_8equal_toIfEEEE10hipError_tPvRmT2_T3_mT4_T5_T6_T7_T8_P12ihipStream_tbENKUlT_T0_E_clISt17integral_constantIbLb0EES11_EEDaSW_SX_EUlSW_E_NS1_11comp_targetILNS1_3genE8ELNS1_11target_archE1030ELNS1_3gpuE2ELNS1_3repE0EEENS1_30default_config_static_selectorELNS0_4arch9wavefront6targetE0EEEvT1_
; %bb.0:
	.section	.rodata,"a",@progbits
	.p2align	6, 0x0
	.amdhsa_kernel _ZN7rocprim17ROCPRIM_400000_NS6detail17trampoline_kernelINS0_14default_configENS1_29reduce_by_key_config_selectorIffN6thrust23THRUST_200600_302600_NS4plusIfEEEEZZNS1_33reduce_by_key_impl_wrapped_configILNS1_25lookback_scan_determinismE0ES3_S9_NS6_6detail15normal_iteratorINS6_10device_ptrIfEEEESG_SG_SG_PmS8_NS6_8equal_toIfEEEE10hipError_tPvRmT2_T3_mT4_T5_T6_T7_T8_P12ihipStream_tbENKUlT_T0_E_clISt17integral_constantIbLb0EES11_EEDaSW_SX_EUlSW_E_NS1_11comp_targetILNS1_3genE8ELNS1_11target_archE1030ELNS1_3gpuE2ELNS1_3repE0EEENS1_30default_config_static_selectorELNS0_4arch9wavefront6targetE0EEEvT1_
		.amdhsa_group_segment_fixed_size 0
		.amdhsa_private_segment_fixed_size 0
		.amdhsa_kernarg_size 120
		.amdhsa_user_sgpr_count 15
		.amdhsa_user_sgpr_dispatch_ptr 0
		.amdhsa_user_sgpr_queue_ptr 0
		.amdhsa_user_sgpr_kernarg_segment_ptr 1
		.amdhsa_user_sgpr_dispatch_id 0
		.amdhsa_user_sgpr_private_segment_size 0
		.amdhsa_wavefront_size32 1
		.amdhsa_uses_dynamic_stack 0
		.amdhsa_enable_private_segment 0
		.amdhsa_system_sgpr_workgroup_id_x 1
		.amdhsa_system_sgpr_workgroup_id_y 0
		.amdhsa_system_sgpr_workgroup_id_z 0
		.amdhsa_system_sgpr_workgroup_info 0
		.amdhsa_system_vgpr_workitem_id 0
		.amdhsa_next_free_vgpr 1
		.amdhsa_next_free_sgpr 1
		.amdhsa_reserve_vcc 0
		.amdhsa_float_round_mode_32 0
		.amdhsa_float_round_mode_16_64 0
		.amdhsa_float_denorm_mode_32 3
		.amdhsa_float_denorm_mode_16_64 3
		.amdhsa_dx10_clamp 1
		.amdhsa_ieee_mode 1
		.amdhsa_fp16_overflow 0
		.amdhsa_workgroup_processor_mode 1
		.amdhsa_memory_ordered 1
		.amdhsa_forward_progress 0
		.amdhsa_shared_vgpr_count 0
		.amdhsa_exception_fp_ieee_invalid_op 0
		.amdhsa_exception_fp_denorm_src 0
		.amdhsa_exception_fp_ieee_div_zero 0
		.amdhsa_exception_fp_ieee_overflow 0
		.amdhsa_exception_fp_ieee_underflow 0
		.amdhsa_exception_fp_ieee_inexact 0
		.amdhsa_exception_int_div_zero 0
	.end_amdhsa_kernel
	.section	.text._ZN7rocprim17ROCPRIM_400000_NS6detail17trampoline_kernelINS0_14default_configENS1_29reduce_by_key_config_selectorIffN6thrust23THRUST_200600_302600_NS4plusIfEEEEZZNS1_33reduce_by_key_impl_wrapped_configILNS1_25lookback_scan_determinismE0ES3_S9_NS6_6detail15normal_iteratorINS6_10device_ptrIfEEEESG_SG_SG_PmS8_NS6_8equal_toIfEEEE10hipError_tPvRmT2_T3_mT4_T5_T6_T7_T8_P12ihipStream_tbENKUlT_T0_E_clISt17integral_constantIbLb0EES11_EEDaSW_SX_EUlSW_E_NS1_11comp_targetILNS1_3genE8ELNS1_11target_archE1030ELNS1_3gpuE2ELNS1_3repE0EEENS1_30default_config_static_selectorELNS0_4arch9wavefront6targetE0EEEvT1_,"axG",@progbits,_ZN7rocprim17ROCPRIM_400000_NS6detail17trampoline_kernelINS0_14default_configENS1_29reduce_by_key_config_selectorIffN6thrust23THRUST_200600_302600_NS4plusIfEEEEZZNS1_33reduce_by_key_impl_wrapped_configILNS1_25lookback_scan_determinismE0ES3_S9_NS6_6detail15normal_iteratorINS6_10device_ptrIfEEEESG_SG_SG_PmS8_NS6_8equal_toIfEEEE10hipError_tPvRmT2_T3_mT4_T5_T6_T7_T8_P12ihipStream_tbENKUlT_T0_E_clISt17integral_constantIbLb0EES11_EEDaSW_SX_EUlSW_E_NS1_11comp_targetILNS1_3genE8ELNS1_11target_archE1030ELNS1_3gpuE2ELNS1_3repE0EEENS1_30default_config_static_selectorELNS0_4arch9wavefront6targetE0EEEvT1_,comdat
.Lfunc_end172:
	.size	_ZN7rocprim17ROCPRIM_400000_NS6detail17trampoline_kernelINS0_14default_configENS1_29reduce_by_key_config_selectorIffN6thrust23THRUST_200600_302600_NS4plusIfEEEEZZNS1_33reduce_by_key_impl_wrapped_configILNS1_25lookback_scan_determinismE0ES3_S9_NS6_6detail15normal_iteratorINS6_10device_ptrIfEEEESG_SG_SG_PmS8_NS6_8equal_toIfEEEE10hipError_tPvRmT2_T3_mT4_T5_T6_T7_T8_P12ihipStream_tbENKUlT_T0_E_clISt17integral_constantIbLb0EES11_EEDaSW_SX_EUlSW_E_NS1_11comp_targetILNS1_3genE8ELNS1_11target_archE1030ELNS1_3gpuE2ELNS1_3repE0EEENS1_30default_config_static_selectorELNS0_4arch9wavefront6targetE0EEEvT1_, .Lfunc_end172-_ZN7rocprim17ROCPRIM_400000_NS6detail17trampoline_kernelINS0_14default_configENS1_29reduce_by_key_config_selectorIffN6thrust23THRUST_200600_302600_NS4plusIfEEEEZZNS1_33reduce_by_key_impl_wrapped_configILNS1_25lookback_scan_determinismE0ES3_S9_NS6_6detail15normal_iteratorINS6_10device_ptrIfEEEESG_SG_SG_PmS8_NS6_8equal_toIfEEEE10hipError_tPvRmT2_T3_mT4_T5_T6_T7_T8_P12ihipStream_tbENKUlT_T0_E_clISt17integral_constantIbLb0EES11_EEDaSW_SX_EUlSW_E_NS1_11comp_targetILNS1_3genE8ELNS1_11target_archE1030ELNS1_3gpuE2ELNS1_3repE0EEENS1_30default_config_static_selectorELNS0_4arch9wavefront6targetE0EEEvT1_
                                        ; -- End function
	.section	.AMDGPU.csdata,"",@progbits
; Kernel info:
; codeLenInByte = 0
; NumSgprs: 0
; NumVgprs: 0
; ScratchSize: 0
; MemoryBound: 0
; FloatMode: 240
; IeeeMode: 1
; LDSByteSize: 0 bytes/workgroup (compile time only)
; SGPRBlocks: 0
; VGPRBlocks: 0
; NumSGPRsForWavesPerEU: 1
; NumVGPRsForWavesPerEU: 1
; Occupancy: 16
; WaveLimiterHint : 0
; COMPUTE_PGM_RSRC2:SCRATCH_EN: 0
; COMPUTE_PGM_RSRC2:USER_SGPR: 15
; COMPUTE_PGM_RSRC2:TRAP_HANDLER: 0
; COMPUTE_PGM_RSRC2:TGID_X_EN: 1
; COMPUTE_PGM_RSRC2:TGID_Y_EN: 0
; COMPUTE_PGM_RSRC2:TGID_Z_EN: 0
; COMPUTE_PGM_RSRC2:TIDIG_COMP_CNT: 0
	.section	.text._ZN7rocprim17ROCPRIM_400000_NS6detail17trampoline_kernelINS0_14default_configENS1_29reduce_by_key_config_selectorIffN6thrust23THRUST_200600_302600_NS4plusIfEEEEZZNS1_33reduce_by_key_impl_wrapped_configILNS1_25lookback_scan_determinismE0ES3_S9_NS6_6detail15normal_iteratorINS6_10device_ptrIfEEEESG_SG_SG_PmS8_NS6_8equal_toIfEEEE10hipError_tPvRmT2_T3_mT4_T5_T6_T7_T8_P12ihipStream_tbENKUlT_T0_E_clISt17integral_constantIbLb1EES11_EEDaSW_SX_EUlSW_E_NS1_11comp_targetILNS1_3genE0ELNS1_11target_archE4294967295ELNS1_3gpuE0ELNS1_3repE0EEENS1_30default_config_static_selectorELNS0_4arch9wavefront6targetE0EEEvT1_,"axG",@progbits,_ZN7rocprim17ROCPRIM_400000_NS6detail17trampoline_kernelINS0_14default_configENS1_29reduce_by_key_config_selectorIffN6thrust23THRUST_200600_302600_NS4plusIfEEEEZZNS1_33reduce_by_key_impl_wrapped_configILNS1_25lookback_scan_determinismE0ES3_S9_NS6_6detail15normal_iteratorINS6_10device_ptrIfEEEESG_SG_SG_PmS8_NS6_8equal_toIfEEEE10hipError_tPvRmT2_T3_mT4_T5_T6_T7_T8_P12ihipStream_tbENKUlT_T0_E_clISt17integral_constantIbLb1EES11_EEDaSW_SX_EUlSW_E_NS1_11comp_targetILNS1_3genE0ELNS1_11target_archE4294967295ELNS1_3gpuE0ELNS1_3repE0EEENS1_30default_config_static_selectorELNS0_4arch9wavefront6targetE0EEEvT1_,comdat
	.protected	_ZN7rocprim17ROCPRIM_400000_NS6detail17trampoline_kernelINS0_14default_configENS1_29reduce_by_key_config_selectorIffN6thrust23THRUST_200600_302600_NS4plusIfEEEEZZNS1_33reduce_by_key_impl_wrapped_configILNS1_25lookback_scan_determinismE0ES3_S9_NS6_6detail15normal_iteratorINS6_10device_ptrIfEEEESG_SG_SG_PmS8_NS6_8equal_toIfEEEE10hipError_tPvRmT2_T3_mT4_T5_T6_T7_T8_P12ihipStream_tbENKUlT_T0_E_clISt17integral_constantIbLb1EES11_EEDaSW_SX_EUlSW_E_NS1_11comp_targetILNS1_3genE0ELNS1_11target_archE4294967295ELNS1_3gpuE0ELNS1_3repE0EEENS1_30default_config_static_selectorELNS0_4arch9wavefront6targetE0EEEvT1_ ; -- Begin function _ZN7rocprim17ROCPRIM_400000_NS6detail17trampoline_kernelINS0_14default_configENS1_29reduce_by_key_config_selectorIffN6thrust23THRUST_200600_302600_NS4plusIfEEEEZZNS1_33reduce_by_key_impl_wrapped_configILNS1_25lookback_scan_determinismE0ES3_S9_NS6_6detail15normal_iteratorINS6_10device_ptrIfEEEESG_SG_SG_PmS8_NS6_8equal_toIfEEEE10hipError_tPvRmT2_T3_mT4_T5_T6_T7_T8_P12ihipStream_tbENKUlT_T0_E_clISt17integral_constantIbLb1EES11_EEDaSW_SX_EUlSW_E_NS1_11comp_targetILNS1_3genE0ELNS1_11target_archE4294967295ELNS1_3gpuE0ELNS1_3repE0EEENS1_30default_config_static_selectorELNS0_4arch9wavefront6targetE0EEEvT1_
	.globl	_ZN7rocprim17ROCPRIM_400000_NS6detail17trampoline_kernelINS0_14default_configENS1_29reduce_by_key_config_selectorIffN6thrust23THRUST_200600_302600_NS4plusIfEEEEZZNS1_33reduce_by_key_impl_wrapped_configILNS1_25lookback_scan_determinismE0ES3_S9_NS6_6detail15normal_iteratorINS6_10device_ptrIfEEEESG_SG_SG_PmS8_NS6_8equal_toIfEEEE10hipError_tPvRmT2_T3_mT4_T5_T6_T7_T8_P12ihipStream_tbENKUlT_T0_E_clISt17integral_constantIbLb1EES11_EEDaSW_SX_EUlSW_E_NS1_11comp_targetILNS1_3genE0ELNS1_11target_archE4294967295ELNS1_3gpuE0ELNS1_3repE0EEENS1_30default_config_static_selectorELNS0_4arch9wavefront6targetE0EEEvT1_
	.p2align	8
	.type	_ZN7rocprim17ROCPRIM_400000_NS6detail17trampoline_kernelINS0_14default_configENS1_29reduce_by_key_config_selectorIffN6thrust23THRUST_200600_302600_NS4plusIfEEEEZZNS1_33reduce_by_key_impl_wrapped_configILNS1_25lookback_scan_determinismE0ES3_S9_NS6_6detail15normal_iteratorINS6_10device_ptrIfEEEESG_SG_SG_PmS8_NS6_8equal_toIfEEEE10hipError_tPvRmT2_T3_mT4_T5_T6_T7_T8_P12ihipStream_tbENKUlT_T0_E_clISt17integral_constantIbLb1EES11_EEDaSW_SX_EUlSW_E_NS1_11comp_targetILNS1_3genE0ELNS1_11target_archE4294967295ELNS1_3gpuE0ELNS1_3repE0EEENS1_30default_config_static_selectorELNS0_4arch9wavefront6targetE0EEEvT1_,@function
_ZN7rocprim17ROCPRIM_400000_NS6detail17trampoline_kernelINS0_14default_configENS1_29reduce_by_key_config_selectorIffN6thrust23THRUST_200600_302600_NS4plusIfEEEEZZNS1_33reduce_by_key_impl_wrapped_configILNS1_25lookback_scan_determinismE0ES3_S9_NS6_6detail15normal_iteratorINS6_10device_ptrIfEEEESG_SG_SG_PmS8_NS6_8equal_toIfEEEE10hipError_tPvRmT2_T3_mT4_T5_T6_T7_T8_P12ihipStream_tbENKUlT_T0_E_clISt17integral_constantIbLb1EES11_EEDaSW_SX_EUlSW_E_NS1_11comp_targetILNS1_3genE0ELNS1_11target_archE4294967295ELNS1_3gpuE0ELNS1_3repE0EEENS1_30default_config_static_selectorELNS0_4arch9wavefront6targetE0EEEvT1_: ; @_ZN7rocprim17ROCPRIM_400000_NS6detail17trampoline_kernelINS0_14default_configENS1_29reduce_by_key_config_selectorIffN6thrust23THRUST_200600_302600_NS4plusIfEEEEZZNS1_33reduce_by_key_impl_wrapped_configILNS1_25lookback_scan_determinismE0ES3_S9_NS6_6detail15normal_iteratorINS6_10device_ptrIfEEEESG_SG_SG_PmS8_NS6_8equal_toIfEEEE10hipError_tPvRmT2_T3_mT4_T5_T6_T7_T8_P12ihipStream_tbENKUlT_T0_E_clISt17integral_constantIbLb1EES11_EEDaSW_SX_EUlSW_E_NS1_11comp_targetILNS1_3genE0ELNS1_11target_archE4294967295ELNS1_3gpuE0ELNS1_3repE0EEENS1_30default_config_static_selectorELNS0_4arch9wavefront6targetE0EEEvT1_
; %bb.0:
	.section	.rodata,"a",@progbits
	.p2align	6, 0x0
	.amdhsa_kernel _ZN7rocprim17ROCPRIM_400000_NS6detail17trampoline_kernelINS0_14default_configENS1_29reduce_by_key_config_selectorIffN6thrust23THRUST_200600_302600_NS4plusIfEEEEZZNS1_33reduce_by_key_impl_wrapped_configILNS1_25lookback_scan_determinismE0ES3_S9_NS6_6detail15normal_iteratorINS6_10device_ptrIfEEEESG_SG_SG_PmS8_NS6_8equal_toIfEEEE10hipError_tPvRmT2_T3_mT4_T5_T6_T7_T8_P12ihipStream_tbENKUlT_T0_E_clISt17integral_constantIbLb1EES11_EEDaSW_SX_EUlSW_E_NS1_11comp_targetILNS1_3genE0ELNS1_11target_archE4294967295ELNS1_3gpuE0ELNS1_3repE0EEENS1_30default_config_static_selectorELNS0_4arch9wavefront6targetE0EEEvT1_
		.amdhsa_group_segment_fixed_size 0
		.amdhsa_private_segment_fixed_size 0
		.amdhsa_kernarg_size 120
		.amdhsa_user_sgpr_count 15
		.amdhsa_user_sgpr_dispatch_ptr 0
		.amdhsa_user_sgpr_queue_ptr 0
		.amdhsa_user_sgpr_kernarg_segment_ptr 1
		.amdhsa_user_sgpr_dispatch_id 0
		.amdhsa_user_sgpr_private_segment_size 0
		.amdhsa_wavefront_size32 1
		.amdhsa_uses_dynamic_stack 0
		.amdhsa_enable_private_segment 0
		.amdhsa_system_sgpr_workgroup_id_x 1
		.amdhsa_system_sgpr_workgroup_id_y 0
		.amdhsa_system_sgpr_workgroup_id_z 0
		.amdhsa_system_sgpr_workgroup_info 0
		.amdhsa_system_vgpr_workitem_id 0
		.amdhsa_next_free_vgpr 1
		.amdhsa_next_free_sgpr 1
		.amdhsa_reserve_vcc 0
		.amdhsa_float_round_mode_32 0
		.amdhsa_float_round_mode_16_64 0
		.amdhsa_float_denorm_mode_32 3
		.amdhsa_float_denorm_mode_16_64 3
		.amdhsa_dx10_clamp 1
		.amdhsa_ieee_mode 1
		.amdhsa_fp16_overflow 0
		.amdhsa_workgroup_processor_mode 1
		.amdhsa_memory_ordered 1
		.amdhsa_forward_progress 0
		.amdhsa_shared_vgpr_count 0
		.amdhsa_exception_fp_ieee_invalid_op 0
		.amdhsa_exception_fp_denorm_src 0
		.amdhsa_exception_fp_ieee_div_zero 0
		.amdhsa_exception_fp_ieee_overflow 0
		.amdhsa_exception_fp_ieee_underflow 0
		.amdhsa_exception_fp_ieee_inexact 0
		.amdhsa_exception_int_div_zero 0
	.end_amdhsa_kernel
	.section	.text._ZN7rocprim17ROCPRIM_400000_NS6detail17trampoline_kernelINS0_14default_configENS1_29reduce_by_key_config_selectorIffN6thrust23THRUST_200600_302600_NS4plusIfEEEEZZNS1_33reduce_by_key_impl_wrapped_configILNS1_25lookback_scan_determinismE0ES3_S9_NS6_6detail15normal_iteratorINS6_10device_ptrIfEEEESG_SG_SG_PmS8_NS6_8equal_toIfEEEE10hipError_tPvRmT2_T3_mT4_T5_T6_T7_T8_P12ihipStream_tbENKUlT_T0_E_clISt17integral_constantIbLb1EES11_EEDaSW_SX_EUlSW_E_NS1_11comp_targetILNS1_3genE0ELNS1_11target_archE4294967295ELNS1_3gpuE0ELNS1_3repE0EEENS1_30default_config_static_selectorELNS0_4arch9wavefront6targetE0EEEvT1_,"axG",@progbits,_ZN7rocprim17ROCPRIM_400000_NS6detail17trampoline_kernelINS0_14default_configENS1_29reduce_by_key_config_selectorIffN6thrust23THRUST_200600_302600_NS4plusIfEEEEZZNS1_33reduce_by_key_impl_wrapped_configILNS1_25lookback_scan_determinismE0ES3_S9_NS6_6detail15normal_iteratorINS6_10device_ptrIfEEEESG_SG_SG_PmS8_NS6_8equal_toIfEEEE10hipError_tPvRmT2_T3_mT4_T5_T6_T7_T8_P12ihipStream_tbENKUlT_T0_E_clISt17integral_constantIbLb1EES11_EEDaSW_SX_EUlSW_E_NS1_11comp_targetILNS1_3genE0ELNS1_11target_archE4294967295ELNS1_3gpuE0ELNS1_3repE0EEENS1_30default_config_static_selectorELNS0_4arch9wavefront6targetE0EEEvT1_,comdat
.Lfunc_end173:
	.size	_ZN7rocprim17ROCPRIM_400000_NS6detail17trampoline_kernelINS0_14default_configENS1_29reduce_by_key_config_selectorIffN6thrust23THRUST_200600_302600_NS4plusIfEEEEZZNS1_33reduce_by_key_impl_wrapped_configILNS1_25lookback_scan_determinismE0ES3_S9_NS6_6detail15normal_iteratorINS6_10device_ptrIfEEEESG_SG_SG_PmS8_NS6_8equal_toIfEEEE10hipError_tPvRmT2_T3_mT4_T5_T6_T7_T8_P12ihipStream_tbENKUlT_T0_E_clISt17integral_constantIbLb1EES11_EEDaSW_SX_EUlSW_E_NS1_11comp_targetILNS1_3genE0ELNS1_11target_archE4294967295ELNS1_3gpuE0ELNS1_3repE0EEENS1_30default_config_static_selectorELNS0_4arch9wavefront6targetE0EEEvT1_, .Lfunc_end173-_ZN7rocprim17ROCPRIM_400000_NS6detail17trampoline_kernelINS0_14default_configENS1_29reduce_by_key_config_selectorIffN6thrust23THRUST_200600_302600_NS4plusIfEEEEZZNS1_33reduce_by_key_impl_wrapped_configILNS1_25lookback_scan_determinismE0ES3_S9_NS6_6detail15normal_iteratorINS6_10device_ptrIfEEEESG_SG_SG_PmS8_NS6_8equal_toIfEEEE10hipError_tPvRmT2_T3_mT4_T5_T6_T7_T8_P12ihipStream_tbENKUlT_T0_E_clISt17integral_constantIbLb1EES11_EEDaSW_SX_EUlSW_E_NS1_11comp_targetILNS1_3genE0ELNS1_11target_archE4294967295ELNS1_3gpuE0ELNS1_3repE0EEENS1_30default_config_static_selectorELNS0_4arch9wavefront6targetE0EEEvT1_
                                        ; -- End function
	.section	.AMDGPU.csdata,"",@progbits
; Kernel info:
; codeLenInByte = 0
; NumSgprs: 0
; NumVgprs: 0
; ScratchSize: 0
; MemoryBound: 0
; FloatMode: 240
; IeeeMode: 1
; LDSByteSize: 0 bytes/workgroup (compile time only)
; SGPRBlocks: 0
; VGPRBlocks: 0
; NumSGPRsForWavesPerEU: 1
; NumVGPRsForWavesPerEU: 1
; Occupancy: 16
; WaveLimiterHint : 0
; COMPUTE_PGM_RSRC2:SCRATCH_EN: 0
; COMPUTE_PGM_RSRC2:USER_SGPR: 15
; COMPUTE_PGM_RSRC2:TRAP_HANDLER: 0
; COMPUTE_PGM_RSRC2:TGID_X_EN: 1
; COMPUTE_PGM_RSRC2:TGID_Y_EN: 0
; COMPUTE_PGM_RSRC2:TGID_Z_EN: 0
; COMPUTE_PGM_RSRC2:TIDIG_COMP_CNT: 0
	.section	.text._ZN7rocprim17ROCPRIM_400000_NS6detail17trampoline_kernelINS0_14default_configENS1_29reduce_by_key_config_selectorIffN6thrust23THRUST_200600_302600_NS4plusIfEEEEZZNS1_33reduce_by_key_impl_wrapped_configILNS1_25lookback_scan_determinismE0ES3_S9_NS6_6detail15normal_iteratorINS6_10device_ptrIfEEEESG_SG_SG_PmS8_NS6_8equal_toIfEEEE10hipError_tPvRmT2_T3_mT4_T5_T6_T7_T8_P12ihipStream_tbENKUlT_T0_E_clISt17integral_constantIbLb1EES11_EEDaSW_SX_EUlSW_E_NS1_11comp_targetILNS1_3genE5ELNS1_11target_archE942ELNS1_3gpuE9ELNS1_3repE0EEENS1_30default_config_static_selectorELNS0_4arch9wavefront6targetE0EEEvT1_,"axG",@progbits,_ZN7rocprim17ROCPRIM_400000_NS6detail17trampoline_kernelINS0_14default_configENS1_29reduce_by_key_config_selectorIffN6thrust23THRUST_200600_302600_NS4plusIfEEEEZZNS1_33reduce_by_key_impl_wrapped_configILNS1_25lookback_scan_determinismE0ES3_S9_NS6_6detail15normal_iteratorINS6_10device_ptrIfEEEESG_SG_SG_PmS8_NS6_8equal_toIfEEEE10hipError_tPvRmT2_T3_mT4_T5_T6_T7_T8_P12ihipStream_tbENKUlT_T0_E_clISt17integral_constantIbLb1EES11_EEDaSW_SX_EUlSW_E_NS1_11comp_targetILNS1_3genE5ELNS1_11target_archE942ELNS1_3gpuE9ELNS1_3repE0EEENS1_30default_config_static_selectorELNS0_4arch9wavefront6targetE0EEEvT1_,comdat
	.protected	_ZN7rocprim17ROCPRIM_400000_NS6detail17trampoline_kernelINS0_14default_configENS1_29reduce_by_key_config_selectorIffN6thrust23THRUST_200600_302600_NS4plusIfEEEEZZNS1_33reduce_by_key_impl_wrapped_configILNS1_25lookback_scan_determinismE0ES3_S9_NS6_6detail15normal_iteratorINS6_10device_ptrIfEEEESG_SG_SG_PmS8_NS6_8equal_toIfEEEE10hipError_tPvRmT2_T3_mT4_T5_T6_T7_T8_P12ihipStream_tbENKUlT_T0_E_clISt17integral_constantIbLb1EES11_EEDaSW_SX_EUlSW_E_NS1_11comp_targetILNS1_3genE5ELNS1_11target_archE942ELNS1_3gpuE9ELNS1_3repE0EEENS1_30default_config_static_selectorELNS0_4arch9wavefront6targetE0EEEvT1_ ; -- Begin function _ZN7rocprim17ROCPRIM_400000_NS6detail17trampoline_kernelINS0_14default_configENS1_29reduce_by_key_config_selectorIffN6thrust23THRUST_200600_302600_NS4plusIfEEEEZZNS1_33reduce_by_key_impl_wrapped_configILNS1_25lookback_scan_determinismE0ES3_S9_NS6_6detail15normal_iteratorINS6_10device_ptrIfEEEESG_SG_SG_PmS8_NS6_8equal_toIfEEEE10hipError_tPvRmT2_T3_mT4_T5_T6_T7_T8_P12ihipStream_tbENKUlT_T0_E_clISt17integral_constantIbLb1EES11_EEDaSW_SX_EUlSW_E_NS1_11comp_targetILNS1_3genE5ELNS1_11target_archE942ELNS1_3gpuE9ELNS1_3repE0EEENS1_30default_config_static_selectorELNS0_4arch9wavefront6targetE0EEEvT1_
	.globl	_ZN7rocprim17ROCPRIM_400000_NS6detail17trampoline_kernelINS0_14default_configENS1_29reduce_by_key_config_selectorIffN6thrust23THRUST_200600_302600_NS4plusIfEEEEZZNS1_33reduce_by_key_impl_wrapped_configILNS1_25lookback_scan_determinismE0ES3_S9_NS6_6detail15normal_iteratorINS6_10device_ptrIfEEEESG_SG_SG_PmS8_NS6_8equal_toIfEEEE10hipError_tPvRmT2_T3_mT4_T5_T6_T7_T8_P12ihipStream_tbENKUlT_T0_E_clISt17integral_constantIbLb1EES11_EEDaSW_SX_EUlSW_E_NS1_11comp_targetILNS1_3genE5ELNS1_11target_archE942ELNS1_3gpuE9ELNS1_3repE0EEENS1_30default_config_static_selectorELNS0_4arch9wavefront6targetE0EEEvT1_
	.p2align	8
	.type	_ZN7rocprim17ROCPRIM_400000_NS6detail17trampoline_kernelINS0_14default_configENS1_29reduce_by_key_config_selectorIffN6thrust23THRUST_200600_302600_NS4plusIfEEEEZZNS1_33reduce_by_key_impl_wrapped_configILNS1_25lookback_scan_determinismE0ES3_S9_NS6_6detail15normal_iteratorINS6_10device_ptrIfEEEESG_SG_SG_PmS8_NS6_8equal_toIfEEEE10hipError_tPvRmT2_T3_mT4_T5_T6_T7_T8_P12ihipStream_tbENKUlT_T0_E_clISt17integral_constantIbLb1EES11_EEDaSW_SX_EUlSW_E_NS1_11comp_targetILNS1_3genE5ELNS1_11target_archE942ELNS1_3gpuE9ELNS1_3repE0EEENS1_30default_config_static_selectorELNS0_4arch9wavefront6targetE0EEEvT1_,@function
_ZN7rocprim17ROCPRIM_400000_NS6detail17trampoline_kernelINS0_14default_configENS1_29reduce_by_key_config_selectorIffN6thrust23THRUST_200600_302600_NS4plusIfEEEEZZNS1_33reduce_by_key_impl_wrapped_configILNS1_25lookback_scan_determinismE0ES3_S9_NS6_6detail15normal_iteratorINS6_10device_ptrIfEEEESG_SG_SG_PmS8_NS6_8equal_toIfEEEE10hipError_tPvRmT2_T3_mT4_T5_T6_T7_T8_P12ihipStream_tbENKUlT_T0_E_clISt17integral_constantIbLb1EES11_EEDaSW_SX_EUlSW_E_NS1_11comp_targetILNS1_3genE5ELNS1_11target_archE942ELNS1_3gpuE9ELNS1_3repE0EEENS1_30default_config_static_selectorELNS0_4arch9wavefront6targetE0EEEvT1_: ; @_ZN7rocprim17ROCPRIM_400000_NS6detail17trampoline_kernelINS0_14default_configENS1_29reduce_by_key_config_selectorIffN6thrust23THRUST_200600_302600_NS4plusIfEEEEZZNS1_33reduce_by_key_impl_wrapped_configILNS1_25lookback_scan_determinismE0ES3_S9_NS6_6detail15normal_iteratorINS6_10device_ptrIfEEEESG_SG_SG_PmS8_NS6_8equal_toIfEEEE10hipError_tPvRmT2_T3_mT4_T5_T6_T7_T8_P12ihipStream_tbENKUlT_T0_E_clISt17integral_constantIbLb1EES11_EEDaSW_SX_EUlSW_E_NS1_11comp_targetILNS1_3genE5ELNS1_11target_archE942ELNS1_3gpuE9ELNS1_3repE0EEENS1_30default_config_static_selectorELNS0_4arch9wavefront6targetE0EEEvT1_
; %bb.0:
	.section	.rodata,"a",@progbits
	.p2align	6, 0x0
	.amdhsa_kernel _ZN7rocprim17ROCPRIM_400000_NS6detail17trampoline_kernelINS0_14default_configENS1_29reduce_by_key_config_selectorIffN6thrust23THRUST_200600_302600_NS4plusIfEEEEZZNS1_33reduce_by_key_impl_wrapped_configILNS1_25lookback_scan_determinismE0ES3_S9_NS6_6detail15normal_iteratorINS6_10device_ptrIfEEEESG_SG_SG_PmS8_NS6_8equal_toIfEEEE10hipError_tPvRmT2_T3_mT4_T5_T6_T7_T8_P12ihipStream_tbENKUlT_T0_E_clISt17integral_constantIbLb1EES11_EEDaSW_SX_EUlSW_E_NS1_11comp_targetILNS1_3genE5ELNS1_11target_archE942ELNS1_3gpuE9ELNS1_3repE0EEENS1_30default_config_static_selectorELNS0_4arch9wavefront6targetE0EEEvT1_
		.amdhsa_group_segment_fixed_size 0
		.amdhsa_private_segment_fixed_size 0
		.amdhsa_kernarg_size 120
		.amdhsa_user_sgpr_count 15
		.amdhsa_user_sgpr_dispatch_ptr 0
		.amdhsa_user_sgpr_queue_ptr 0
		.amdhsa_user_sgpr_kernarg_segment_ptr 1
		.amdhsa_user_sgpr_dispatch_id 0
		.amdhsa_user_sgpr_private_segment_size 0
		.amdhsa_wavefront_size32 1
		.amdhsa_uses_dynamic_stack 0
		.amdhsa_enable_private_segment 0
		.amdhsa_system_sgpr_workgroup_id_x 1
		.amdhsa_system_sgpr_workgroup_id_y 0
		.amdhsa_system_sgpr_workgroup_id_z 0
		.amdhsa_system_sgpr_workgroup_info 0
		.amdhsa_system_vgpr_workitem_id 0
		.amdhsa_next_free_vgpr 1
		.amdhsa_next_free_sgpr 1
		.amdhsa_reserve_vcc 0
		.amdhsa_float_round_mode_32 0
		.amdhsa_float_round_mode_16_64 0
		.amdhsa_float_denorm_mode_32 3
		.amdhsa_float_denorm_mode_16_64 3
		.amdhsa_dx10_clamp 1
		.amdhsa_ieee_mode 1
		.amdhsa_fp16_overflow 0
		.amdhsa_workgroup_processor_mode 1
		.amdhsa_memory_ordered 1
		.amdhsa_forward_progress 0
		.amdhsa_shared_vgpr_count 0
		.amdhsa_exception_fp_ieee_invalid_op 0
		.amdhsa_exception_fp_denorm_src 0
		.amdhsa_exception_fp_ieee_div_zero 0
		.amdhsa_exception_fp_ieee_overflow 0
		.amdhsa_exception_fp_ieee_underflow 0
		.amdhsa_exception_fp_ieee_inexact 0
		.amdhsa_exception_int_div_zero 0
	.end_amdhsa_kernel
	.section	.text._ZN7rocprim17ROCPRIM_400000_NS6detail17trampoline_kernelINS0_14default_configENS1_29reduce_by_key_config_selectorIffN6thrust23THRUST_200600_302600_NS4plusIfEEEEZZNS1_33reduce_by_key_impl_wrapped_configILNS1_25lookback_scan_determinismE0ES3_S9_NS6_6detail15normal_iteratorINS6_10device_ptrIfEEEESG_SG_SG_PmS8_NS6_8equal_toIfEEEE10hipError_tPvRmT2_T3_mT4_T5_T6_T7_T8_P12ihipStream_tbENKUlT_T0_E_clISt17integral_constantIbLb1EES11_EEDaSW_SX_EUlSW_E_NS1_11comp_targetILNS1_3genE5ELNS1_11target_archE942ELNS1_3gpuE9ELNS1_3repE0EEENS1_30default_config_static_selectorELNS0_4arch9wavefront6targetE0EEEvT1_,"axG",@progbits,_ZN7rocprim17ROCPRIM_400000_NS6detail17trampoline_kernelINS0_14default_configENS1_29reduce_by_key_config_selectorIffN6thrust23THRUST_200600_302600_NS4plusIfEEEEZZNS1_33reduce_by_key_impl_wrapped_configILNS1_25lookback_scan_determinismE0ES3_S9_NS6_6detail15normal_iteratorINS6_10device_ptrIfEEEESG_SG_SG_PmS8_NS6_8equal_toIfEEEE10hipError_tPvRmT2_T3_mT4_T5_T6_T7_T8_P12ihipStream_tbENKUlT_T0_E_clISt17integral_constantIbLb1EES11_EEDaSW_SX_EUlSW_E_NS1_11comp_targetILNS1_3genE5ELNS1_11target_archE942ELNS1_3gpuE9ELNS1_3repE0EEENS1_30default_config_static_selectorELNS0_4arch9wavefront6targetE0EEEvT1_,comdat
.Lfunc_end174:
	.size	_ZN7rocprim17ROCPRIM_400000_NS6detail17trampoline_kernelINS0_14default_configENS1_29reduce_by_key_config_selectorIffN6thrust23THRUST_200600_302600_NS4plusIfEEEEZZNS1_33reduce_by_key_impl_wrapped_configILNS1_25lookback_scan_determinismE0ES3_S9_NS6_6detail15normal_iteratorINS6_10device_ptrIfEEEESG_SG_SG_PmS8_NS6_8equal_toIfEEEE10hipError_tPvRmT2_T3_mT4_T5_T6_T7_T8_P12ihipStream_tbENKUlT_T0_E_clISt17integral_constantIbLb1EES11_EEDaSW_SX_EUlSW_E_NS1_11comp_targetILNS1_3genE5ELNS1_11target_archE942ELNS1_3gpuE9ELNS1_3repE0EEENS1_30default_config_static_selectorELNS0_4arch9wavefront6targetE0EEEvT1_, .Lfunc_end174-_ZN7rocprim17ROCPRIM_400000_NS6detail17trampoline_kernelINS0_14default_configENS1_29reduce_by_key_config_selectorIffN6thrust23THRUST_200600_302600_NS4plusIfEEEEZZNS1_33reduce_by_key_impl_wrapped_configILNS1_25lookback_scan_determinismE0ES3_S9_NS6_6detail15normal_iteratorINS6_10device_ptrIfEEEESG_SG_SG_PmS8_NS6_8equal_toIfEEEE10hipError_tPvRmT2_T3_mT4_T5_T6_T7_T8_P12ihipStream_tbENKUlT_T0_E_clISt17integral_constantIbLb1EES11_EEDaSW_SX_EUlSW_E_NS1_11comp_targetILNS1_3genE5ELNS1_11target_archE942ELNS1_3gpuE9ELNS1_3repE0EEENS1_30default_config_static_selectorELNS0_4arch9wavefront6targetE0EEEvT1_
                                        ; -- End function
	.section	.AMDGPU.csdata,"",@progbits
; Kernel info:
; codeLenInByte = 0
; NumSgprs: 0
; NumVgprs: 0
; ScratchSize: 0
; MemoryBound: 0
; FloatMode: 240
; IeeeMode: 1
; LDSByteSize: 0 bytes/workgroup (compile time only)
; SGPRBlocks: 0
; VGPRBlocks: 0
; NumSGPRsForWavesPerEU: 1
; NumVGPRsForWavesPerEU: 1
; Occupancy: 16
; WaveLimiterHint : 0
; COMPUTE_PGM_RSRC2:SCRATCH_EN: 0
; COMPUTE_PGM_RSRC2:USER_SGPR: 15
; COMPUTE_PGM_RSRC2:TRAP_HANDLER: 0
; COMPUTE_PGM_RSRC2:TGID_X_EN: 1
; COMPUTE_PGM_RSRC2:TGID_Y_EN: 0
; COMPUTE_PGM_RSRC2:TGID_Z_EN: 0
; COMPUTE_PGM_RSRC2:TIDIG_COMP_CNT: 0
	.section	.text._ZN7rocprim17ROCPRIM_400000_NS6detail17trampoline_kernelINS0_14default_configENS1_29reduce_by_key_config_selectorIffN6thrust23THRUST_200600_302600_NS4plusIfEEEEZZNS1_33reduce_by_key_impl_wrapped_configILNS1_25lookback_scan_determinismE0ES3_S9_NS6_6detail15normal_iteratorINS6_10device_ptrIfEEEESG_SG_SG_PmS8_NS6_8equal_toIfEEEE10hipError_tPvRmT2_T3_mT4_T5_T6_T7_T8_P12ihipStream_tbENKUlT_T0_E_clISt17integral_constantIbLb1EES11_EEDaSW_SX_EUlSW_E_NS1_11comp_targetILNS1_3genE4ELNS1_11target_archE910ELNS1_3gpuE8ELNS1_3repE0EEENS1_30default_config_static_selectorELNS0_4arch9wavefront6targetE0EEEvT1_,"axG",@progbits,_ZN7rocprim17ROCPRIM_400000_NS6detail17trampoline_kernelINS0_14default_configENS1_29reduce_by_key_config_selectorIffN6thrust23THRUST_200600_302600_NS4plusIfEEEEZZNS1_33reduce_by_key_impl_wrapped_configILNS1_25lookback_scan_determinismE0ES3_S9_NS6_6detail15normal_iteratorINS6_10device_ptrIfEEEESG_SG_SG_PmS8_NS6_8equal_toIfEEEE10hipError_tPvRmT2_T3_mT4_T5_T6_T7_T8_P12ihipStream_tbENKUlT_T0_E_clISt17integral_constantIbLb1EES11_EEDaSW_SX_EUlSW_E_NS1_11comp_targetILNS1_3genE4ELNS1_11target_archE910ELNS1_3gpuE8ELNS1_3repE0EEENS1_30default_config_static_selectorELNS0_4arch9wavefront6targetE0EEEvT1_,comdat
	.protected	_ZN7rocprim17ROCPRIM_400000_NS6detail17trampoline_kernelINS0_14default_configENS1_29reduce_by_key_config_selectorIffN6thrust23THRUST_200600_302600_NS4plusIfEEEEZZNS1_33reduce_by_key_impl_wrapped_configILNS1_25lookback_scan_determinismE0ES3_S9_NS6_6detail15normal_iteratorINS6_10device_ptrIfEEEESG_SG_SG_PmS8_NS6_8equal_toIfEEEE10hipError_tPvRmT2_T3_mT4_T5_T6_T7_T8_P12ihipStream_tbENKUlT_T0_E_clISt17integral_constantIbLb1EES11_EEDaSW_SX_EUlSW_E_NS1_11comp_targetILNS1_3genE4ELNS1_11target_archE910ELNS1_3gpuE8ELNS1_3repE0EEENS1_30default_config_static_selectorELNS0_4arch9wavefront6targetE0EEEvT1_ ; -- Begin function _ZN7rocprim17ROCPRIM_400000_NS6detail17trampoline_kernelINS0_14default_configENS1_29reduce_by_key_config_selectorIffN6thrust23THRUST_200600_302600_NS4plusIfEEEEZZNS1_33reduce_by_key_impl_wrapped_configILNS1_25lookback_scan_determinismE0ES3_S9_NS6_6detail15normal_iteratorINS6_10device_ptrIfEEEESG_SG_SG_PmS8_NS6_8equal_toIfEEEE10hipError_tPvRmT2_T3_mT4_T5_T6_T7_T8_P12ihipStream_tbENKUlT_T0_E_clISt17integral_constantIbLb1EES11_EEDaSW_SX_EUlSW_E_NS1_11comp_targetILNS1_3genE4ELNS1_11target_archE910ELNS1_3gpuE8ELNS1_3repE0EEENS1_30default_config_static_selectorELNS0_4arch9wavefront6targetE0EEEvT1_
	.globl	_ZN7rocprim17ROCPRIM_400000_NS6detail17trampoline_kernelINS0_14default_configENS1_29reduce_by_key_config_selectorIffN6thrust23THRUST_200600_302600_NS4plusIfEEEEZZNS1_33reduce_by_key_impl_wrapped_configILNS1_25lookback_scan_determinismE0ES3_S9_NS6_6detail15normal_iteratorINS6_10device_ptrIfEEEESG_SG_SG_PmS8_NS6_8equal_toIfEEEE10hipError_tPvRmT2_T3_mT4_T5_T6_T7_T8_P12ihipStream_tbENKUlT_T0_E_clISt17integral_constantIbLb1EES11_EEDaSW_SX_EUlSW_E_NS1_11comp_targetILNS1_3genE4ELNS1_11target_archE910ELNS1_3gpuE8ELNS1_3repE0EEENS1_30default_config_static_selectorELNS0_4arch9wavefront6targetE0EEEvT1_
	.p2align	8
	.type	_ZN7rocprim17ROCPRIM_400000_NS6detail17trampoline_kernelINS0_14default_configENS1_29reduce_by_key_config_selectorIffN6thrust23THRUST_200600_302600_NS4plusIfEEEEZZNS1_33reduce_by_key_impl_wrapped_configILNS1_25lookback_scan_determinismE0ES3_S9_NS6_6detail15normal_iteratorINS6_10device_ptrIfEEEESG_SG_SG_PmS8_NS6_8equal_toIfEEEE10hipError_tPvRmT2_T3_mT4_T5_T6_T7_T8_P12ihipStream_tbENKUlT_T0_E_clISt17integral_constantIbLb1EES11_EEDaSW_SX_EUlSW_E_NS1_11comp_targetILNS1_3genE4ELNS1_11target_archE910ELNS1_3gpuE8ELNS1_3repE0EEENS1_30default_config_static_selectorELNS0_4arch9wavefront6targetE0EEEvT1_,@function
_ZN7rocprim17ROCPRIM_400000_NS6detail17trampoline_kernelINS0_14default_configENS1_29reduce_by_key_config_selectorIffN6thrust23THRUST_200600_302600_NS4plusIfEEEEZZNS1_33reduce_by_key_impl_wrapped_configILNS1_25lookback_scan_determinismE0ES3_S9_NS6_6detail15normal_iteratorINS6_10device_ptrIfEEEESG_SG_SG_PmS8_NS6_8equal_toIfEEEE10hipError_tPvRmT2_T3_mT4_T5_T6_T7_T8_P12ihipStream_tbENKUlT_T0_E_clISt17integral_constantIbLb1EES11_EEDaSW_SX_EUlSW_E_NS1_11comp_targetILNS1_3genE4ELNS1_11target_archE910ELNS1_3gpuE8ELNS1_3repE0EEENS1_30default_config_static_selectorELNS0_4arch9wavefront6targetE0EEEvT1_: ; @_ZN7rocprim17ROCPRIM_400000_NS6detail17trampoline_kernelINS0_14default_configENS1_29reduce_by_key_config_selectorIffN6thrust23THRUST_200600_302600_NS4plusIfEEEEZZNS1_33reduce_by_key_impl_wrapped_configILNS1_25lookback_scan_determinismE0ES3_S9_NS6_6detail15normal_iteratorINS6_10device_ptrIfEEEESG_SG_SG_PmS8_NS6_8equal_toIfEEEE10hipError_tPvRmT2_T3_mT4_T5_T6_T7_T8_P12ihipStream_tbENKUlT_T0_E_clISt17integral_constantIbLb1EES11_EEDaSW_SX_EUlSW_E_NS1_11comp_targetILNS1_3genE4ELNS1_11target_archE910ELNS1_3gpuE8ELNS1_3repE0EEENS1_30default_config_static_selectorELNS0_4arch9wavefront6targetE0EEEvT1_
; %bb.0:
	.section	.rodata,"a",@progbits
	.p2align	6, 0x0
	.amdhsa_kernel _ZN7rocprim17ROCPRIM_400000_NS6detail17trampoline_kernelINS0_14default_configENS1_29reduce_by_key_config_selectorIffN6thrust23THRUST_200600_302600_NS4plusIfEEEEZZNS1_33reduce_by_key_impl_wrapped_configILNS1_25lookback_scan_determinismE0ES3_S9_NS6_6detail15normal_iteratorINS6_10device_ptrIfEEEESG_SG_SG_PmS8_NS6_8equal_toIfEEEE10hipError_tPvRmT2_T3_mT4_T5_T6_T7_T8_P12ihipStream_tbENKUlT_T0_E_clISt17integral_constantIbLb1EES11_EEDaSW_SX_EUlSW_E_NS1_11comp_targetILNS1_3genE4ELNS1_11target_archE910ELNS1_3gpuE8ELNS1_3repE0EEENS1_30default_config_static_selectorELNS0_4arch9wavefront6targetE0EEEvT1_
		.amdhsa_group_segment_fixed_size 0
		.amdhsa_private_segment_fixed_size 0
		.amdhsa_kernarg_size 120
		.amdhsa_user_sgpr_count 15
		.amdhsa_user_sgpr_dispatch_ptr 0
		.amdhsa_user_sgpr_queue_ptr 0
		.amdhsa_user_sgpr_kernarg_segment_ptr 1
		.amdhsa_user_sgpr_dispatch_id 0
		.amdhsa_user_sgpr_private_segment_size 0
		.amdhsa_wavefront_size32 1
		.amdhsa_uses_dynamic_stack 0
		.amdhsa_enable_private_segment 0
		.amdhsa_system_sgpr_workgroup_id_x 1
		.amdhsa_system_sgpr_workgroup_id_y 0
		.amdhsa_system_sgpr_workgroup_id_z 0
		.amdhsa_system_sgpr_workgroup_info 0
		.amdhsa_system_vgpr_workitem_id 0
		.amdhsa_next_free_vgpr 1
		.amdhsa_next_free_sgpr 1
		.amdhsa_reserve_vcc 0
		.amdhsa_float_round_mode_32 0
		.amdhsa_float_round_mode_16_64 0
		.amdhsa_float_denorm_mode_32 3
		.amdhsa_float_denorm_mode_16_64 3
		.amdhsa_dx10_clamp 1
		.amdhsa_ieee_mode 1
		.amdhsa_fp16_overflow 0
		.amdhsa_workgroup_processor_mode 1
		.amdhsa_memory_ordered 1
		.amdhsa_forward_progress 0
		.amdhsa_shared_vgpr_count 0
		.amdhsa_exception_fp_ieee_invalid_op 0
		.amdhsa_exception_fp_denorm_src 0
		.amdhsa_exception_fp_ieee_div_zero 0
		.amdhsa_exception_fp_ieee_overflow 0
		.amdhsa_exception_fp_ieee_underflow 0
		.amdhsa_exception_fp_ieee_inexact 0
		.amdhsa_exception_int_div_zero 0
	.end_amdhsa_kernel
	.section	.text._ZN7rocprim17ROCPRIM_400000_NS6detail17trampoline_kernelINS0_14default_configENS1_29reduce_by_key_config_selectorIffN6thrust23THRUST_200600_302600_NS4plusIfEEEEZZNS1_33reduce_by_key_impl_wrapped_configILNS1_25lookback_scan_determinismE0ES3_S9_NS6_6detail15normal_iteratorINS6_10device_ptrIfEEEESG_SG_SG_PmS8_NS6_8equal_toIfEEEE10hipError_tPvRmT2_T3_mT4_T5_T6_T7_T8_P12ihipStream_tbENKUlT_T0_E_clISt17integral_constantIbLb1EES11_EEDaSW_SX_EUlSW_E_NS1_11comp_targetILNS1_3genE4ELNS1_11target_archE910ELNS1_3gpuE8ELNS1_3repE0EEENS1_30default_config_static_selectorELNS0_4arch9wavefront6targetE0EEEvT1_,"axG",@progbits,_ZN7rocprim17ROCPRIM_400000_NS6detail17trampoline_kernelINS0_14default_configENS1_29reduce_by_key_config_selectorIffN6thrust23THRUST_200600_302600_NS4plusIfEEEEZZNS1_33reduce_by_key_impl_wrapped_configILNS1_25lookback_scan_determinismE0ES3_S9_NS6_6detail15normal_iteratorINS6_10device_ptrIfEEEESG_SG_SG_PmS8_NS6_8equal_toIfEEEE10hipError_tPvRmT2_T3_mT4_T5_T6_T7_T8_P12ihipStream_tbENKUlT_T0_E_clISt17integral_constantIbLb1EES11_EEDaSW_SX_EUlSW_E_NS1_11comp_targetILNS1_3genE4ELNS1_11target_archE910ELNS1_3gpuE8ELNS1_3repE0EEENS1_30default_config_static_selectorELNS0_4arch9wavefront6targetE0EEEvT1_,comdat
.Lfunc_end175:
	.size	_ZN7rocprim17ROCPRIM_400000_NS6detail17trampoline_kernelINS0_14default_configENS1_29reduce_by_key_config_selectorIffN6thrust23THRUST_200600_302600_NS4plusIfEEEEZZNS1_33reduce_by_key_impl_wrapped_configILNS1_25lookback_scan_determinismE0ES3_S9_NS6_6detail15normal_iteratorINS6_10device_ptrIfEEEESG_SG_SG_PmS8_NS6_8equal_toIfEEEE10hipError_tPvRmT2_T3_mT4_T5_T6_T7_T8_P12ihipStream_tbENKUlT_T0_E_clISt17integral_constantIbLb1EES11_EEDaSW_SX_EUlSW_E_NS1_11comp_targetILNS1_3genE4ELNS1_11target_archE910ELNS1_3gpuE8ELNS1_3repE0EEENS1_30default_config_static_selectorELNS0_4arch9wavefront6targetE0EEEvT1_, .Lfunc_end175-_ZN7rocprim17ROCPRIM_400000_NS6detail17trampoline_kernelINS0_14default_configENS1_29reduce_by_key_config_selectorIffN6thrust23THRUST_200600_302600_NS4plusIfEEEEZZNS1_33reduce_by_key_impl_wrapped_configILNS1_25lookback_scan_determinismE0ES3_S9_NS6_6detail15normal_iteratorINS6_10device_ptrIfEEEESG_SG_SG_PmS8_NS6_8equal_toIfEEEE10hipError_tPvRmT2_T3_mT4_T5_T6_T7_T8_P12ihipStream_tbENKUlT_T0_E_clISt17integral_constantIbLb1EES11_EEDaSW_SX_EUlSW_E_NS1_11comp_targetILNS1_3genE4ELNS1_11target_archE910ELNS1_3gpuE8ELNS1_3repE0EEENS1_30default_config_static_selectorELNS0_4arch9wavefront6targetE0EEEvT1_
                                        ; -- End function
	.section	.AMDGPU.csdata,"",@progbits
; Kernel info:
; codeLenInByte = 0
; NumSgprs: 0
; NumVgprs: 0
; ScratchSize: 0
; MemoryBound: 0
; FloatMode: 240
; IeeeMode: 1
; LDSByteSize: 0 bytes/workgroup (compile time only)
; SGPRBlocks: 0
; VGPRBlocks: 0
; NumSGPRsForWavesPerEU: 1
; NumVGPRsForWavesPerEU: 1
; Occupancy: 16
; WaveLimiterHint : 0
; COMPUTE_PGM_RSRC2:SCRATCH_EN: 0
; COMPUTE_PGM_RSRC2:USER_SGPR: 15
; COMPUTE_PGM_RSRC2:TRAP_HANDLER: 0
; COMPUTE_PGM_RSRC2:TGID_X_EN: 1
; COMPUTE_PGM_RSRC2:TGID_Y_EN: 0
; COMPUTE_PGM_RSRC2:TGID_Z_EN: 0
; COMPUTE_PGM_RSRC2:TIDIG_COMP_CNT: 0
	.section	.text._ZN7rocprim17ROCPRIM_400000_NS6detail17trampoline_kernelINS0_14default_configENS1_29reduce_by_key_config_selectorIffN6thrust23THRUST_200600_302600_NS4plusIfEEEEZZNS1_33reduce_by_key_impl_wrapped_configILNS1_25lookback_scan_determinismE0ES3_S9_NS6_6detail15normal_iteratorINS6_10device_ptrIfEEEESG_SG_SG_PmS8_NS6_8equal_toIfEEEE10hipError_tPvRmT2_T3_mT4_T5_T6_T7_T8_P12ihipStream_tbENKUlT_T0_E_clISt17integral_constantIbLb1EES11_EEDaSW_SX_EUlSW_E_NS1_11comp_targetILNS1_3genE3ELNS1_11target_archE908ELNS1_3gpuE7ELNS1_3repE0EEENS1_30default_config_static_selectorELNS0_4arch9wavefront6targetE0EEEvT1_,"axG",@progbits,_ZN7rocprim17ROCPRIM_400000_NS6detail17trampoline_kernelINS0_14default_configENS1_29reduce_by_key_config_selectorIffN6thrust23THRUST_200600_302600_NS4plusIfEEEEZZNS1_33reduce_by_key_impl_wrapped_configILNS1_25lookback_scan_determinismE0ES3_S9_NS6_6detail15normal_iteratorINS6_10device_ptrIfEEEESG_SG_SG_PmS8_NS6_8equal_toIfEEEE10hipError_tPvRmT2_T3_mT4_T5_T6_T7_T8_P12ihipStream_tbENKUlT_T0_E_clISt17integral_constantIbLb1EES11_EEDaSW_SX_EUlSW_E_NS1_11comp_targetILNS1_3genE3ELNS1_11target_archE908ELNS1_3gpuE7ELNS1_3repE0EEENS1_30default_config_static_selectorELNS0_4arch9wavefront6targetE0EEEvT1_,comdat
	.protected	_ZN7rocprim17ROCPRIM_400000_NS6detail17trampoline_kernelINS0_14default_configENS1_29reduce_by_key_config_selectorIffN6thrust23THRUST_200600_302600_NS4plusIfEEEEZZNS1_33reduce_by_key_impl_wrapped_configILNS1_25lookback_scan_determinismE0ES3_S9_NS6_6detail15normal_iteratorINS6_10device_ptrIfEEEESG_SG_SG_PmS8_NS6_8equal_toIfEEEE10hipError_tPvRmT2_T3_mT4_T5_T6_T7_T8_P12ihipStream_tbENKUlT_T0_E_clISt17integral_constantIbLb1EES11_EEDaSW_SX_EUlSW_E_NS1_11comp_targetILNS1_3genE3ELNS1_11target_archE908ELNS1_3gpuE7ELNS1_3repE0EEENS1_30default_config_static_selectorELNS0_4arch9wavefront6targetE0EEEvT1_ ; -- Begin function _ZN7rocprim17ROCPRIM_400000_NS6detail17trampoline_kernelINS0_14default_configENS1_29reduce_by_key_config_selectorIffN6thrust23THRUST_200600_302600_NS4plusIfEEEEZZNS1_33reduce_by_key_impl_wrapped_configILNS1_25lookback_scan_determinismE0ES3_S9_NS6_6detail15normal_iteratorINS6_10device_ptrIfEEEESG_SG_SG_PmS8_NS6_8equal_toIfEEEE10hipError_tPvRmT2_T3_mT4_T5_T6_T7_T8_P12ihipStream_tbENKUlT_T0_E_clISt17integral_constantIbLb1EES11_EEDaSW_SX_EUlSW_E_NS1_11comp_targetILNS1_3genE3ELNS1_11target_archE908ELNS1_3gpuE7ELNS1_3repE0EEENS1_30default_config_static_selectorELNS0_4arch9wavefront6targetE0EEEvT1_
	.globl	_ZN7rocprim17ROCPRIM_400000_NS6detail17trampoline_kernelINS0_14default_configENS1_29reduce_by_key_config_selectorIffN6thrust23THRUST_200600_302600_NS4plusIfEEEEZZNS1_33reduce_by_key_impl_wrapped_configILNS1_25lookback_scan_determinismE0ES3_S9_NS6_6detail15normal_iteratorINS6_10device_ptrIfEEEESG_SG_SG_PmS8_NS6_8equal_toIfEEEE10hipError_tPvRmT2_T3_mT4_T5_T6_T7_T8_P12ihipStream_tbENKUlT_T0_E_clISt17integral_constantIbLb1EES11_EEDaSW_SX_EUlSW_E_NS1_11comp_targetILNS1_3genE3ELNS1_11target_archE908ELNS1_3gpuE7ELNS1_3repE0EEENS1_30default_config_static_selectorELNS0_4arch9wavefront6targetE0EEEvT1_
	.p2align	8
	.type	_ZN7rocprim17ROCPRIM_400000_NS6detail17trampoline_kernelINS0_14default_configENS1_29reduce_by_key_config_selectorIffN6thrust23THRUST_200600_302600_NS4plusIfEEEEZZNS1_33reduce_by_key_impl_wrapped_configILNS1_25lookback_scan_determinismE0ES3_S9_NS6_6detail15normal_iteratorINS6_10device_ptrIfEEEESG_SG_SG_PmS8_NS6_8equal_toIfEEEE10hipError_tPvRmT2_T3_mT4_T5_T6_T7_T8_P12ihipStream_tbENKUlT_T0_E_clISt17integral_constantIbLb1EES11_EEDaSW_SX_EUlSW_E_NS1_11comp_targetILNS1_3genE3ELNS1_11target_archE908ELNS1_3gpuE7ELNS1_3repE0EEENS1_30default_config_static_selectorELNS0_4arch9wavefront6targetE0EEEvT1_,@function
_ZN7rocprim17ROCPRIM_400000_NS6detail17trampoline_kernelINS0_14default_configENS1_29reduce_by_key_config_selectorIffN6thrust23THRUST_200600_302600_NS4plusIfEEEEZZNS1_33reduce_by_key_impl_wrapped_configILNS1_25lookback_scan_determinismE0ES3_S9_NS6_6detail15normal_iteratorINS6_10device_ptrIfEEEESG_SG_SG_PmS8_NS6_8equal_toIfEEEE10hipError_tPvRmT2_T3_mT4_T5_T6_T7_T8_P12ihipStream_tbENKUlT_T0_E_clISt17integral_constantIbLb1EES11_EEDaSW_SX_EUlSW_E_NS1_11comp_targetILNS1_3genE3ELNS1_11target_archE908ELNS1_3gpuE7ELNS1_3repE0EEENS1_30default_config_static_selectorELNS0_4arch9wavefront6targetE0EEEvT1_: ; @_ZN7rocprim17ROCPRIM_400000_NS6detail17trampoline_kernelINS0_14default_configENS1_29reduce_by_key_config_selectorIffN6thrust23THRUST_200600_302600_NS4plusIfEEEEZZNS1_33reduce_by_key_impl_wrapped_configILNS1_25lookback_scan_determinismE0ES3_S9_NS6_6detail15normal_iteratorINS6_10device_ptrIfEEEESG_SG_SG_PmS8_NS6_8equal_toIfEEEE10hipError_tPvRmT2_T3_mT4_T5_T6_T7_T8_P12ihipStream_tbENKUlT_T0_E_clISt17integral_constantIbLb1EES11_EEDaSW_SX_EUlSW_E_NS1_11comp_targetILNS1_3genE3ELNS1_11target_archE908ELNS1_3gpuE7ELNS1_3repE0EEENS1_30default_config_static_selectorELNS0_4arch9wavefront6targetE0EEEvT1_
; %bb.0:
	.section	.rodata,"a",@progbits
	.p2align	6, 0x0
	.amdhsa_kernel _ZN7rocprim17ROCPRIM_400000_NS6detail17trampoline_kernelINS0_14default_configENS1_29reduce_by_key_config_selectorIffN6thrust23THRUST_200600_302600_NS4plusIfEEEEZZNS1_33reduce_by_key_impl_wrapped_configILNS1_25lookback_scan_determinismE0ES3_S9_NS6_6detail15normal_iteratorINS6_10device_ptrIfEEEESG_SG_SG_PmS8_NS6_8equal_toIfEEEE10hipError_tPvRmT2_T3_mT4_T5_T6_T7_T8_P12ihipStream_tbENKUlT_T0_E_clISt17integral_constantIbLb1EES11_EEDaSW_SX_EUlSW_E_NS1_11comp_targetILNS1_3genE3ELNS1_11target_archE908ELNS1_3gpuE7ELNS1_3repE0EEENS1_30default_config_static_selectorELNS0_4arch9wavefront6targetE0EEEvT1_
		.amdhsa_group_segment_fixed_size 0
		.amdhsa_private_segment_fixed_size 0
		.amdhsa_kernarg_size 120
		.amdhsa_user_sgpr_count 15
		.amdhsa_user_sgpr_dispatch_ptr 0
		.amdhsa_user_sgpr_queue_ptr 0
		.amdhsa_user_sgpr_kernarg_segment_ptr 1
		.amdhsa_user_sgpr_dispatch_id 0
		.amdhsa_user_sgpr_private_segment_size 0
		.amdhsa_wavefront_size32 1
		.amdhsa_uses_dynamic_stack 0
		.amdhsa_enable_private_segment 0
		.amdhsa_system_sgpr_workgroup_id_x 1
		.amdhsa_system_sgpr_workgroup_id_y 0
		.amdhsa_system_sgpr_workgroup_id_z 0
		.amdhsa_system_sgpr_workgroup_info 0
		.amdhsa_system_vgpr_workitem_id 0
		.amdhsa_next_free_vgpr 1
		.amdhsa_next_free_sgpr 1
		.amdhsa_reserve_vcc 0
		.amdhsa_float_round_mode_32 0
		.amdhsa_float_round_mode_16_64 0
		.amdhsa_float_denorm_mode_32 3
		.amdhsa_float_denorm_mode_16_64 3
		.amdhsa_dx10_clamp 1
		.amdhsa_ieee_mode 1
		.amdhsa_fp16_overflow 0
		.amdhsa_workgroup_processor_mode 1
		.amdhsa_memory_ordered 1
		.amdhsa_forward_progress 0
		.amdhsa_shared_vgpr_count 0
		.amdhsa_exception_fp_ieee_invalid_op 0
		.amdhsa_exception_fp_denorm_src 0
		.amdhsa_exception_fp_ieee_div_zero 0
		.amdhsa_exception_fp_ieee_overflow 0
		.amdhsa_exception_fp_ieee_underflow 0
		.amdhsa_exception_fp_ieee_inexact 0
		.amdhsa_exception_int_div_zero 0
	.end_amdhsa_kernel
	.section	.text._ZN7rocprim17ROCPRIM_400000_NS6detail17trampoline_kernelINS0_14default_configENS1_29reduce_by_key_config_selectorIffN6thrust23THRUST_200600_302600_NS4plusIfEEEEZZNS1_33reduce_by_key_impl_wrapped_configILNS1_25lookback_scan_determinismE0ES3_S9_NS6_6detail15normal_iteratorINS6_10device_ptrIfEEEESG_SG_SG_PmS8_NS6_8equal_toIfEEEE10hipError_tPvRmT2_T3_mT4_T5_T6_T7_T8_P12ihipStream_tbENKUlT_T0_E_clISt17integral_constantIbLb1EES11_EEDaSW_SX_EUlSW_E_NS1_11comp_targetILNS1_3genE3ELNS1_11target_archE908ELNS1_3gpuE7ELNS1_3repE0EEENS1_30default_config_static_selectorELNS0_4arch9wavefront6targetE0EEEvT1_,"axG",@progbits,_ZN7rocprim17ROCPRIM_400000_NS6detail17trampoline_kernelINS0_14default_configENS1_29reduce_by_key_config_selectorIffN6thrust23THRUST_200600_302600_NS4plusIfEEEEZZNS1_33reduce_by_key_impl_wrapped_configILNS1_25lookback_scan_determinismE0ES3_S9_NS6_6detail15normal_iteratorINS6_10device_ptrIfEEEESG_SG_SG_PmS8_NS6_8equal_toIfEEEE10hipError_tPvRmT2_T3_mT4_T5_T6_T7_T8_P12ihipStream_tbENKUlT_T0_E_clISt17integral_constantIbLb1EES11_EEDaSW_SX_EUlSW_E_NS1_11comp_targetILNS1_3genE3ELNS1_11target_archE908ELNS1_3gpuE7ELNS1_3repE0EEENS1_30default_config_static_selectorELNS0_4arch9wavefront6targetE0EEEvT1_,comdat
.Lfunc_end176:
	.size	_ZN7rocprim17ROCPRIM_400000_NS6detail17trampoline_kernelINS0_14default_configENS1_29reduce_by_key_config_selectorIffN6thrust23THRUST_200600_302600_NS4plusIfEEEEZZNS1_33reduce_by_key_impl_wrapped_configILNS1_25lookback_scan_determinismE0ES3_S9_NS6_6detail15normal_iteratorINS6_10device_ptrIfEEEESG_SG_SG_PmS8_NS6_8equal_toIfEEEE10hipError_tPvRmT2_T3_mT4_T5_T6_T7_T8_P12ihipStream_tbENKUlT_T0_E_clISt17integral_constantIbLb1EES11_EEDaSW_SX_EUlSW_E_NS1_11comp_targetILNS1_3genE3ELNS1_11target_archE908ELNS1_3gpuE7ELNS1_3repE0EEENS1_30default_config_static_selectorELNS0_4arch9wavefront6targetE0EEEvT1_, .Lfunc_end176-_ZN7rocprim17ROCPRIM_400000_NS6detail17trampoline_kernelINS0_14default_configENS1_29reduce_by_key_config_selectorIffN6thrust23THRUST_200600_302600_NS4plusIfEEEEZZNS1_33reduce_by_key_impl_wrapped_configILNS1_25lookback_scan_determinismE0ES3_S9_NS6_6detail15normal_iteratorINS6_10device_ptrIfEEEESG_SG_SG_PmS8_NS6_8equal_toIfEEEE10hipError_tPvRmT2_T3_mT4_T5_T6_T7_T8_P12ihipStream_tbENKUlT_T0_E_clISt17integral_constantIbLb1EES11_EEDaSW_SX_EUlSW_E_NS1_11comp_targetILNS1_3genE3ELNS1_11target_archE908ELNS1_3gpuE7ELNS1_3repE0EEENS1_30default_config_static_selectorELNS0_4arch9wavefront6targetE0EEEvT1_
                                        ; -- End function
	.section	.AMDGPU.csdata,"",@progbits
; Kernel info:
; codeLenInByte = 0
; NumSgprs: 0
; NumVgprs: 0
; ScratchSize: 0
; MemoryBound: 0
; FloatMode: 240
; IeeeMode: 1
; LDSByteSize: 0 bytes/workgroup (compile time only)
; SGPRBlocks: 0
; VGPRBlocks: 0
; NumSGPRsForWavesPerEU: 1
; NumVGPRsForWavesPerEU: 1
; Occupancy: 16
; WaveLimiterHint : 0
; COMPUTE_PGM_RSRC2:SCRATCH_EN: 0
; COMPUTE_PGM_RSRC2:USER_SGPR: 15
; COMPUTE_PGM_RSRC2:TRAP_HANDLER: 0
; COMPUTE_PGM_RSRC2:TGID_X_EN: 1
; COMPUTE_PGM_RSRC2:TGID_Y_EN: 0
; COMPUTE_PGM_RSRC2:TGID_Z_EN: 0
; COMPUTE_PGM_RSRC2:TIDIG_COMP_CNT: 0
	.section	.text._ZN7rocprim17ROCPRIM_400000_NS6detail17trampoline_kernelINS0_14default_configENS1_29reduce_by_key_config_selectorIffN6thrust23THRUST_200600_302600_NS4plusIfEEEEZZNS1_33reduce_by_key_impl_wrapped_configILNS1_25lookback_scan_determinismE0ES3_S9_NS6_6detail15normal_iteratorINS6_10device_ptrIfEEEESG_SG_SG_PmS8_NS6_8equal_toIfEEEE10hipError_tPvRmT2_T3_mT4_T5_T6_T7_T8_P12ihipStream_tbENKUlT_T0_E_clISt17integral_constantIbLb1EES11_EEDaSW_SX_EUlSW_E_NS1_11comp_targetILNS1_3genE2ELNS1_11target_archE906ELNS1_3gpuE6ELNS1_3repE0EEENS1_30default_config_static_selectorELNS0_4arch9wavefront6targetE0EEEvT1_,"axG",@progbits,_ZN7rocprim17ROCPRIM_400000_NS6detail17trampoline_kernelINS0_14default_configENS1_29reduce_by_key_config_selectorIffN6thrust23THRUST_200600_302600_NS4plusIfEEEEZZNS1_33reduce_by_key_impl_wrapped_configILNS1_25lookback_scan_determinismE0ES3_S9_NS6_6detail15normal_iteratorINS6_10device_ptrIfEEEESG_SG_SG_PmS8_NS6_8equal_toIfEEEE10hipError_tPvRmT2_T3_mT4_T5_T6_T7_T8_P12ihipStream_tbENKUlT_T0_E_clISt17integral_constantIbLb1EES11_EEDaSW_SX_EUlSW_E_NS1_11comp_targetILNS1_3genE2ELNS1_11target_archE906ELNS1_3gpuE6ELNS1_3repE0EEENS1_30default_config_static_selectorELNS0_4arch9wavefront6targetE0EEEvT1_,comdat
	.protected	_ZN7rocprim17ROCPRIM_400000_NS6detail17trampoline_kernelINS0_14default_configENS1_29reduce_by_key_config_selectorIffN6thrust23THRUST_200600_302600_NS4plusIfEEEEZZNS1_33reduce_by_key_impl_wrapped_configILNS1_25lookback_scan_determinismE0ES3_S9_NS6_6detail15normal_iteratorINS6_10device_ptrIfEEEESG_SG_SG_PmS8_NS6_8equal_toIfEEEE10hipError_tPvRmT2_T3_mT4_T5_T6_T7_T8_P12ihipStream_tbENKUlT_T0_E_clISt17integral_constantIbLb1EES11_EEDaSW_SX_EUlSW_E_NS1_11comp_targetILNS1_3genE2ELNS1_11target_archE906ELNS1_3gpuE6ELNS1_3repE0EEENS1_30default_config_static_selectorELNS0_4arch9wavefront6targetE0EEEvT1_ ; -- Begin function _ZN7rocprim17ROCPRIM_400000_NS6detail17trampoline_kernelINS0_14default_configENS1_29reduce_by_key_config_selectorIffN6thrust23THRUST_200600_302600_NS4plusIfEEEEZZNS1_33reduce_by_key_impl_wrapped_configILNS1_25lookback_scan_determinismE0ES3_S9_NS6_6detail15normal_iteratorINS6_10device_ptrIfEEEESG_SG_SG_PmS8_NS6_8equal_toIfEEEE10hipError_tPvRmT2_T3_mT4_T5_T6_T7_T8_P12ihipStream_tbENKUlT_T0_E_clISt17integral_constantIbLb1EES11_EEDaSW_SX_EUlSW_E_NS1_11comp_targetILNS1_3genE2ELNS1_11target_archE906ELNS1_3gpuE6ELNS1_3repE0EEENS1_30default_config_static_selectorELNS0_4arch9wavefront6targetE0EEEvT1_
	.globl	_ZN7rocprim17ROCPRIM_400000_NS6detail17trampoline_kernelINS0_14default_configENS1_29reduce_by_key_config_selectorIffN6thrust23THRUST_200600_302600_NS4plusIfEEEEZZNS1_33reduce_by_key_impl_wrapped_configILNS1_25lookback_scan_determinismE0ES3_S9_NS6_6detail15normal_iteratorINS6_10device_ptrIfEEEESG_SG_SG_PmS8_NS6_8equal_toIfEEEE10hipError_tPvRmT2_T3_mT4_T5_T6_T7_T8_P12ihipStream_tbENKUlT_T0_E_clISt17integral_constantIbLb1EES11_EEDaSW_SX_EUlSW_E_NS1_11comp_targetILNS1_3genE2ELNS1_11target_archE906ELNS1_3gpuE6ELNS1_3repE0EEENS1_30default_config_static_selectorELNS0_4arch9wavefront6targetE0EEEvT1_
	.p2align	8
	.type	_ZN7rocprim17ROCPRIM_400000_NS6detail17trampoline_kernelINS0_14default_configENS1_29reduce_by_key_config_selectorIffN6thrust23THRUST_200600_302600_NS4plusIfEEEEZZNS1_33reduce_by_key_impl_wrapped_configILNS1_25lookback_scan_determinismE0ES3_S9_NS6_6detail15normal_iteratorINS6_10device_ptrIfEEEESG_SG_SG_PmS8_NS6_8equal_toIfEEEE10hipError_tPvRmT2_T3_mT4_T5_T6_T7_T8_P12ihipStream_tbENKUlT_T0_E_clISt17integral_constantIbLb1EES11_EEDaSW_SX_EUlSW_E_NS1_11comp_targetILNS1_3genE2ELNS1_11target_archE906ELNS1_3gpuE6ELNS1_3repE0EEENS1_30default_config_static_selectorELNS0_4arch9wavefront6targetE0EEEvT1_,@function
_ZN7rocprim17ROCPRIM_400000_NS6detail17trampoline_kernelINS0_14default_configENS1_29reduce_by_key_config_selectorIffN6thrust23THRUST_200600_302600_NS4plusIfEEEEZZNS1_33reduce_by_key_impl_wrapped_configILNS1_25lookback_scan_determinismE0ES3_S9_NS6_6detail15normal_iteratorINS6_10device_ptrIfEEEESG_SG_SG_PmS8_NS6_8equal_toIfEEEE10hipError_tPvRmT2_T3_mT4_T5_T6_T7_T8_P12ihipStream_tbENKUlT_T0_E_clISt17integral_constantIbLb1EES11_EEDaSW_SX_EUlSW_E_NS1_11comp_targetILNS1_3genE2ELNS1_11target_archE906ELNS1_3gpuE6ELNS1_3repE0EEENS1_30default_config_static_selectorELNS0_4arch9wavefront6targetE0EEEvT1_: ; @_ZN7rocprim17ROCPRIM_400000_NS6detail17trampoline_kernelINS0_14default_configENS1_29reduce_by_key_config_selectorIffN6thrust23THRUST_200600_302600_NS4plusIfEEEEZZNS1_33reduce_by_key_impl_wrapped_configILNS1_25lookback_scan_determinismE0ES3_S9_NS6_6detail15normal_iteratorINS6_10device_ptrIfEEEESG_SG_SG_PmS8_NS6_8equal_toIfEEEE10hipError_tPvRmT2_T3_mT4_T5_T6_T7_T8_P12ihipStream_tbENKUlT_T0_E_clISt17integral_constantIbLb1EES11_EEDaSW_SX_EUlSW_E_NS1_11comp_targetILNS1_3genE2ELNS1_11target_archE906ELNS1_3gpuE6ELNS1_3repE0EEENS1_30default_config_static_selectorELNS0_4arch9wavefront6targetE0EEEvT1_
; %bb.0:
	.section	.rodata,"a",@progbits
	.p2align	6, 0x0
	.amdhsa_kernel _ZN7rocprim17ROCPRIM_400000_NS6detail17trampoline_kernelINS0_14default_configENS1_29reduce_by_key_config_selectorIffN6thrust23THRUST_200600_302600_NS4plusIfEEEEZZNS1_33reduce_by_key_impl_wrapped_configILNS1_25lookback_scan_determinismE0ES3_S9_NS6_6detail15normal_iteratorINS6_10device_ptrIfEEEESG_SG_SG_PmS8_NS6_8equal_toIfEEEE10hipError_tPvRmT2_T3_mT4_T5_T6_T7_T8_P12ihipStream_tbENKUlT_T0_E_clISt17integral_constantIbLb1EES11_EEDaSW_SX_EUlSW_E_NS1_11comp_targetILNS1_3genE2ELNS1_11target_archE906ELNS1_3gpuE6ELNS1_3repE0EEENS1_30default_config_static_selectorELNS0_4arch9wavefront6targetE0EEEvT1_
		.amdhsa_group_segment_fixed_size 0
		.amdhsa_private_segment_fixed_size 0
		.amdhsa_kernarg_size 120
		.amdhsa_user_sgpr_count 15
		.amdhsa_user_sgpr_dispatch_ptr 0
		.amdhsa_user_sgpr_queue_ptr 0
		.amdhsa_user_sgpr_kernarg_segment_ptr 1
		.amdhsa_user_sgpr_dispatch_id 0
		.amdhsa_user_sgpr_private_segment_size 0
		.amdhsa_wavefront_size32 1
		.amdhsa_uses_dynamic_stack 0
		.amdhsa_enable_private_segment 0
		.amdhsa_system_sgpr_workgroup_id_x 1
		.amdhsa_system_sgpr_workgroup_id_y 0
		.amdhsa_system_sgpr_workgroup_id_z 0
		.amdhsa_system_sgpr_workgroup_info 0
		.amdhsa_system_vgpr_workitem_id 0
		.amdhsa_next_free_vgpr 1
		.amdhsa_next_free_sgpr 1
		.amdhsa_reserve_vcc 0
		.amdhsa_float_round_mode_32 0
		.amdhsa_float_round_mode_16_64 0
		.amdhsa_float_denorm_mode_32 3
		.amdhsa_float_denorm_mode_16_64 3
		.amdhsa_dx10_clamp 1
		.amdhsa_ieee_mode 1
		.amdhsa_fp16_overflow 0
		.amdhsa_workgroup_processor_mode 1
		.amdhsa_memory_ordered 1
		.amdhsa_forward_progress 0
		.amdhsa_shared_vgpr_count 0
		.amdhsa_exception_fp_ieee_invalid_op 0
		.amdhsa_exception_fp_denorm_src 0
		.amdhsa_exception_fp_ieee_div_zero 0
		.amdhsa_exception_fp_ieee_overflow 0
		.amdhsa_exception_fp_ieee_underflow 0
		.amdhsa_exception_fp_ieee_inexact 0
		.amdhsa_exception_int_div_zero 0
	.end_amdhsa_kernel
	.section	.text._ZN7rocprim17ROCPRIM_400000_NS6detail17trampoline_kernelINS0_14default_configENS1_29reduce_by_key_config_selectorIffN6thrust23THRUST_200600_302600_NS4plusIfEEEEZZNS1_33reduce_by_key_impl_wrapped_configILNS1_25lookback_scan_determinismE0ES3_S9_NS6_6detail15normal_iteratorINS6_10device_ptrIfEEEESG_SG_SG_PmS8_NS6_8equal_toIfEEEE10hipError_tPvRmT2_T3_mT4_T5_T6_T7_T8_P12ihipStream_tbENKUlT_T0_E_clISt17integral_constantIbLb1EES11_EEDaSW_SX_EUlSW_E_NS1_11comp_targetILNS1_3genE2ELNS1_11target_archE906ELNS1_3gpuE6ELNS1_3repE0EEENS1_30default_config_static_selectorELNS0_4arch9wavefront6targetE0EEEvT1_,"axG",@progbits,_ZN7rocprim17ROCPRIM_400000_NS6detail17trampoline_kernelINS0_14default_configENS1_29reduce_by_key_config_selectorIffN6thrust23THRUST_200600_302600_NS4plusIfEEEEZZNS1_33reduce_by_key_impl_wrapped_configILNS1_25lookback_scan_determinismE0ES3_S9_NS6_6detail15normal_iteratorINS6_10device_ptrIfEEEESG_SG_SG_PmS8_NS6_8equal_toIfEEEE10hipError_tPvRmT2_T3_mT4_T5_T6_T7_T8_P12ihipStream_tbENKUlT_T0_E_clISt17integral_constantIbLb1EES11_EEDaSW_SX_EUlSW_E_NS1_11comp_targetILNS1_3genE2ELNS1_11target_archE906ELNS1_3gpuE6ELNS1_3repE0EEENS1_30default_config_static_selectorELNS0_4arch9wavefront6targetE0EEEvT1_,comdat
.Lfunc_end177:
	.size	_ZN7rocprim17ROCPRIM_400000_NS6detail17trampoline_kernelINS0_14default_configENS1_29reduce_by_key_config_selectorIffN6thrust23THRUST_200600_302600_NS4plusIfEEEEZZNS1_33reduce_by_key_impl_wrapped_configILNS1_25lookback_scan_determinismE0ES3_S9_NS6_6detail15normal_iteratorINS6_10device_ptrIfEEEESG_SG_SG_PmS8_NS6_8equal_toIfEEEE10hipError_tPvRmT2_T3_mT4_T5_T6_T7_T8_P12ihipStream_tbENKUlT_T0_E_clISt17integral_constantIbLb1EES11_EEDaSW_SX_EUlSW_E_NS1_11comp_targetILNS1_3genE2ELNS1_11target_archE906ELNS1_3gpuE6ELNS1_3repE0EEENS1_30default_config_static_selectorELNS0_4arch9wavefront6targetE0EEEvT1_, .Lfunc_end177-_ZN7rocprim17ROCPRIM_400000_NS6detail17trampoline_kernelINS0_14default_configENS1_29reduce_by_key_config_selectorIffN6thrust23THRUST_200600_302600_NS4plusIfEEEEZZNS1_33reduce_by_key_impl_wrapped_configILNS1_25lookback_scan_determinismE0ES3_S9_NS6_6detail15normal_iteratorINS6_10device_ptrIfEEEESG_SG_SG_PmS8_NS6_8equal_toIfEEEE10hipError_tPvRmT2_T3_mT4_T5_T6_T7_T8_P12ihipStream_tbENKUlT_T0_E_clISt17integral_constantIbLb1EES11_EEDaSW_SX_EUlSW_E_NS1_11comp_targetILNS1_3genE2ELNS1_11target_archE906ELNS1_3gpuE6ELNS1_3repE0EEENS1_30default_config_static_selectorELNS0_4arch9wavefront6targetE0EEEvT1_
                                        ; -- End function
	.section	.AMDGPU.csdata,"",@progbits
; Kernel info:
; codeLenInByte = 0
; NumSgprs: 0
; NumVgprs: 0
; ScratchSize: 0
; MemoryBound: 0
; FloatMode: 240
; IeeeMode: 1
; LDSByteSize: 0 bytes/workgroup (compile time only)
; SGPRBlocks: 0
; VGPRBlocks: 0
; NumSGPRsForWavesPerEU: 1
; NumVGPRsForWavesPerEU: 1
; Occupancy: 16
; WaveLimiterHint : 0
; COMPUTE_PGM_RSRC2:SCRATCH_EN: 0
; COMPUTE_PGM_RSRC2:USER_SGPR: 15
; COMPUTE_PGM_RSRC2:TRAP_HANDLER: 0
; COMPUTE_PGM_RSRC2:TGID_X_EN: 1
; COMPUTE_PGM_RSRC2:TGID_Y_EN: 0
; COMPUTE_PGM_RSRC2:TGID_Z_EN: 0
; COMPUTE_PGM_RSRC2:TIDIG_COMP_CNT: 0
	.section	.text._ZN7rocprim17ROCPRIM_400000_NS6detail17trampoline_kernelINS0_14default_configENS1_29reduce_by_key_config_selectorIffN6thrust23THRUST_200600_302600_NS4plusIfEEEEZZNS1_33reduce_by_key_impl_wrapped_configILNS1_25lookback_scan_determinismE0ES3_S9_NS6_6detail15normal_iteratorINS6_10device_ptrIfEEEESG_SG_SG_PmS8_NS6_8equal_toIfEEEE10hipError_tPvRmT2_T3_mT4_T5_T6_T7_T8_P12ihipStream_tbENKUlT_T0_E_clISt17integral_constantIbLb1EES11_EEDaSW_SX_EUlSW_E_NS1_11comp_targetILNS1_3genE10ELNS1_11target_archE1201ELNS1_3gpuE5ELNS1_3repE0EEENS1_30default_config_static_selectorELNS0_4arch9wavefront6targetE0EEEvT1_,"axG",@progbits,_ZN7rocprim17ROCPRIM_400000_NS6detail17trampoline_kernelINS0_14default_configENS1_29reduce_by_key_config_selectorIffN6thrust23THRUST_200600_302600_NS4plusIfEEEEZZNS1_33reduce_by_key_impl_wrapped_configILNS1_25lookback_scan_determinismE0ES3_S9_NS6_6detail15normal_iteratorINS6_10device_ptrIfEEEESG_SG_SG_PmS8_NS6_8equal_toIfEEEE10hipError_tPvRmT2_T3_mT4_T5_T6_T7_T8_P12ihipStream_tbENKUlT_T0_E_clISt17integral_constantIbLb1EES11_EEDaSW_SX_EUlSW_E_NS1_11comp_targetILNS1_3genE10ELNS1_11target_archE1201ELNS1_3gpuE5ELNS1_3repE0EEENS1_30default_config_static_selectorELNS0_4arch9wavefront6targetE0EEEvT1_,comdat
	.protected	_ZN7rocprim17ROCPRIM_400000_NS6detail17trampoline_kernelINS0_14default_configENS1_29reduce_by_key_config_selectorIffN6thrust23THRUST_200600_302600_NS4plusIfEEEEZZNS1_33reduce_by_key_impl_wrapped_configILNS1_25lookback_scan_determinismE0ES3_S9_NS6_6detail15normal_iteratorINS6_10device_ptrIfEEEESG_SG_SG_PmS8_NS6_8equal_toIfEEEE10hipError_tPvRmT2_T3_mT4_T5_T6_T7_T8_P12ihipStream_tbENKUlT_T0_E_clISt17integral_constantIbLb1EES11_EEDaSW_SX_EUlSW_E_NS1_11comp_targetILNS1_3genE10ELNS1_11target_archE1201ELNS1_3gpuE5ELNS1_3repE0EEENS1_30default_config_static_selectorELNS0_4arch9wavefront6targetE0EEEvT1_ ; -- Begin function _ZN7rocprim17ROCPRIM_400000_NS6detail17trampoline_kernelINS0_14default_configENS1_29reduce_by_key_config_selectorIffN6thrust23THRUST_200600_302600_NS4plusIfEEEEZZNS1_33reduce_by_key_impl_wrapped_configILNS1_25lookback_scan_determinismE0ES3_S9_NS6_6detail15normal_iteratorINS6_10device_ptrIfEEEESG_SG_SG_PmS8_NS6_8equal_toIfEEEE10hipError_tPvRmT2_T3_mT4_T5_T6_T7_T8_P12ihipStream_tbENKUlT_T0_E_clISt17integral_constantIbLb1EES11_EEDaSW_SX_EUlSW_E_NS1_11comp_targetILNS1_3genE10ELNS1_11target_archE1201ELNS1_3gpuE5ELNS1_3repE0EEENS1_30default_config_static_selectorELNS0_4arch9wavefront6targetE0EEEvT1_
	.globl	_ZN7rocprim17ROCPRIM_400000_NS6detail17trampoline_kernelINS0_14default_configENS1_29reduce_by_key_config_selectorIffN6thrust23THRUST_200600_302600_NS4plusIfEEEEZZNS1_33reduce_by_key_impl_wrapped_configILNS1_25lookback_scan_determinismE0ES3_S9_NS6_6detail15normal_iteratorINS6_10device_ptrIfEEEESG_SG_SG_PmS8_NS6_8equal_toIfEEEE10hipError_tPvRmT2_T3_mT4_T5_T6_T7_T8_P12ihipStream_tbENKUlT_T0_E_clISt17integral_constantIbLb1EES11_EEDaSW_SX_EUlSW_E_NS1_11comp_targetILNS1_3genE10ELNS1_11target_archE1201ELNS1_3gpuE5ELNS1_3repE0EEENS1_30default_config_static_selectorELNS0_4arch9wavefront6targetE0EEEvT1_
	.p2align	8
	.type	_ZN7rocprim17ROCPRIM_400000_NS6detail17trampoline_kernelINS0_14default_configENS1_29reduce_by_key_config_selectorIffN6thrust23THRUST_200600_302600_NS4plusIfEEEEZZNS1_33reduce_by_key_impl_wrapped_configILNS1_25lookback_scan_determinismE0ES3_S9_NS6_6detail15normal_iteratorINS6_10device_ptrIfEEEESG_SG_SG_PmS8_NS6_8equal_toIfEEEE10hipError_tPvRmT2_T3_mT4_T5_T6_T7_T8_P12ihipStream_tbENKUlT_T0_E_clISt17integral_constantIbLb1EES11_EEDaSW_SX_EUlSW_E_NS1_11comp_targetILNS1_3genE10ELNS1_11target_archE1201ELNS1_3gpuE5ELNS1_3repE0EEENS1_30default_config_static_selectorELNS0_4arch9wavefront6targetE0EEEvT1_,@function
_ZN7rocprim17ROCPRIM_400000_NS6detail17trampoline_kernelINS0_14default_configENS1_29reduce_by_key_config_selectorIffN6thrust23THRUST_200600_302600_NS4plusIfEEEEZZNS1_33reduce_by_key_impl_wrapped_configILNS1_25lookback_scan_determinismE0ES3_S9_NS6_6detail15normal_iteratorINS6_10device_ptrIfEEEESG_SG_SG_PmS8_NS6_8equal_toIfEEEE10hipError_tPvRmT2_T3_mT4_T5_T6_T7_T8_P12ihipStream_tbENKUlT_T0_E_clISt17integral_constantIbLb1EES11_EEDaSW_SX_EUlSW_E_NS1_11comp_targetILNS1_3genE10ELNS1_11target_archE1201ELNS1_3gpuE5ELNS1_3repE0EEENS1_30default_config_static_selectorELNS0_4arch9wavefront6targetE0EEEvT1_: ; @_ZN7rocprim17ROCPRIM_400000_NS6detail17trampoline_kernelINS0_14default_configENS1_29reduce_by_key_config_selectorIffN6thrust23THRUST_200600_302600_NS4plusIfEEEEZZNS1_33reduce_by_key_impl_wrapped_configILNS1_25lookback_scan_determinismE0ES3_S9_NS6_6detail15normal_iteratorINS6_10device_ptrIfEEEESG_SG_SG_PmS8_NS6_8equal_toIfEEEE10hipError_tPvRmT2_T3_mT4_T5_T6_T7_T8_P12ihipStream_tbENKUlT_T0_E_clISt17integral_constantIbLb1EES11_EEDaSW_SX_EUlSW_E_NS1_11comp_targetILNS1_3genE10ELNS1_11target_archE1201ELNS1_3gpuE5ELNS1_3repE0EEENS1_30default_config_static_selectorELNS0_4arch9wavefront6targetE0EEEvT1_
; %bb.0:
	.section	.rodata,"a",@progbits
	.p2align	6, 0x0
	.amdhsa_kernel _ZN7rocprim17ROCPRIM_400000_NS6detail17trampoline_kernelINS0_14default_configENS1_29reduce_by_key_config_selectorIffN6thrust23THRUST_200600_302600_NS4plusIfEEEEZZNS1_33reduce_by_key_impl_wrapped_configILNS1_25lookback_scan_determinismE0ES3_S9_NS6_6detail15normal_iteratorINS6_10device_ptrIfEEEESG_SG_SG_PmS8_NS6_8equal_toIfEEEE10hipError_tPvRmT2_T3_mT4_T5_T6_T7_T8_P12ihipStream_tbENKUlT_T0_E_clISt17integral_constantIbLb1EES11_EEDaSW_SX_EUlSW_E_NS1_11comp_targetILNS1_3genE10ELNS1_11target_archE1201ELNS1_3gpuE5ELNS1_3repE0EEENS1_30default_config_static_selectorELNS0_4arch9wavefront6targetE0EEEvT1_
		.amdhsa_group_segment_fixed_size 0
		.amdhsa_private_segment_fixed_size 0
		.amdhsa_kernarg_size 120
		.amdhsa_user_sgpr_count 15
		.amdhsa_user_sgpr_dispatch_ptr 0
		.amdhsa_user_sgpr_queue_ptr 0
		.amdhsa_user_sgpr_kernarg_segment_ptr 1
		.amdhsa_user_sgpr_dispatch_id 0
		.amdhsa_user_sgpr_private_segment_size 0
		.amdhsa_wavefront_size32 1
		.amdhsa_uses_dynamic_stack 0
		.amdhsa_enable_private_segment 0
		.amdhsa_system_sgpr_workgroup_id_x 1
		.amdhsa_system_sgpr_workgroup_id_y 0
		.amdhsa_system_sgpr_workgroup_id_z 0
		.amdhsa_system_sgpr_workgroup_info 0
		.amdhsa_system_vgpr_workitem_id 0
		.amdhsa_next_free_vgpr 1
		.amdhsa_next_free_sgpr 1
		.amdhsa_reserve_vcc 0
		.amdhsa_float_round_mode_32 0
		.amdhsa_float_round_mode_16_64 0
		.amdhsa_float_denorm_mode_32 3
		.amdhsa_float_denorm_mode_16_64 3
		.amdhsa_dx10_clamp 1
		.amdhsa_ieee_mode 1
		.amdhsa_fp16_overflow 0
		.amdhsa_workgroup_processor_mode 1
		.amdhsa_memory_ordered 1
		.amdhsa_forward_progress 0
		.amdhsa_shared_vgpr_count 0
		.amdhsa_exception_fp_ieee_invalid_op 0
		.amdhsa_exception_fp_denorm_src 0
		.amdhsa_exception_fp_ieee_div_zero 0
		.amdhsa_exception_fp_ieee_overflow 0
		.amdhsa_exception_fp_ieee_underflow 0
		.amdhsa_exception_fp_ieee_inexact 0
		.amdhsa_exception_int_div_zero 0
	.end_amdhsa_kernel
	.section	.text._ZN7rocprim17ROCPRIM_400000_NS6detail17trampoline_kernelINS0_14default_configENS1_29reduce_by_key_config_selectorIffN6thrust23THRUST_200600_302600_NS4plusIfEEEEZZNS1_33reduce_by_key_impl_wrapped_configILNS1_25lookback_scan_determinismE0ES3_S9_NS6_6detail15normal_iteratorINS6_10device_ptrIfEEEESG_SG_SG_PmS8_NS6_8equal_toIfEEEE10hipError_tPvRmT2_T3_mT4_T5_T6_T7_T8_P12ihipStream_tbENKUlT_T0_E_clISt17integral_constantIbLb1EES11_EEDaSW_SX_EUlSW_E_NS1_11comp_targetILNS1_3genE10ELNS1_11target_archE1201ELNS1_3gpuE5ELNS1_3repE0EEENS1_30default_config_static_selectorELNS0_4arch9wavefront6targetE0EEEvT1_,"axG",@progbits,_ZN7rocprim17ROCPRIM_400000_NS6detail17trampoline_kernelINS0_14default_configENS1_29reduce_by_key_config_selectorIffN6thrust23THRUST_200600_302600_NS4plusIfEEEEZZNS1_33reduce_by_key_impl_wrapped_configILNS1_25lookback_scan_determinismE0ES3_S9_NS6_6detail15normal_iteratorINS6_10device_ptrIfEEEESG_SG_SG_PmS8_NS6_8equal_toIfEEEE10hipError_tPvRmT2_T3_mT4_T5_T6_T7_T8_P12ihipStream_tbENKUlT_T0_E_clISt17integral_constantIbLb1EES11_EEDaSW_SX_EUlSW_E_NS1_11comp_targetILNS1_3genE10ELNS1_11target_archE1201ELNS1_3gpuE5ELNS1_3repE0EEENS1_30default_config_static_selectorELNS0_4arch9wavefront6targetE0EEEvT1_,comdat
.Lfunc_end178:
	.size	_ZN7rocprim17ROCPRIM_400000_NS6detail17trampoline_kernelINS0_14default_configENS1_29reduce_by_key_config_selectorIffN6thrust23THRUST_200600_302600_NS4plusIfEEEEZZNS1_33reduce_by_key_impl_wrapped_configILNS1_25lookback_scan_determinismE0ES3_S9_NS6_6detail15normal_iteratorINS6_10device_ptrIfEEEESG_SG_SG_PmS8_NS6_8equal_toIfEEEE10hipError_tPvRmT2_T3_mT4_T5_T6_T7_T8_P12ihipStream_tbENKUlT_T0_E_clISt17integral_constantIbLb1EES11_EEDaSW_SX_EUlSW_E_NS1_11comp_targetILNS1_3genE10ELNS1_11target_archE1201ELNS1_3gpuE5ELNS1_3repE0EEENS1_30default_config_static_selectorELNS0_4arch9wavefront6targetE0EEEvT1_, .Lfunc_end178-_ZN7rocprim17ROCPRIM_400000_NS6detail17trampoline_kernelINS0_14default_configENS1_29reduce_by_key_config_selectorIffN6thrust23THRUST_200600_302600_NS4plusIfEEEEZZNS1_33reduce_by_key_impl_wrapped_configILNS1_25lookback_scan_determinismE0ES3_S9_NS6_6detail15normal_iteratorINS6_10device_ptrIfEEEESG_SG_SG_PmS8_NS6_8equal_toIfEEEE10hipError_tPvRmT2_T3_mT4_T5_T6_T7_T8_P12ihipStream_tbENKUlT_T0_E_clISt17integral_constantIbLb1EES11_EEDaSW_SX_EUlSW_E_NS1_11comp_targetILNS1_3genE10ELNS1_11target_archE1201ELNS1_3gpuE5ELNS1_3repE0EEENS1_30default_config_static_selectorELNS0_4arch9wavefront6targetE0EEEvT1_
                                        ; -- End function
	.section	.AMDGPU.csdata,"",@progbits
; Kernel info:
; codeLenInByte = 0
; NumSgprs: 0
; NumVgprs: 0
; ScratchSize: 0
; MemoryBound: 0
; FloatMode: 240
; IeeeMode: 1
; LDSByteSize: 0 bytes/workgroup (compile time only)
; SGPRBlocks: 0
; VGPRBlocks: 0
; NumSGPRsForWavesPerEU: 1
; NumVGPRsForWavesPerEU: 1
; Occupancy: 16
; WaveLimiterHint : 0
; COMPUTE_PGM_RSRC2:SCRATCH_EN: 0
; COMPUTE_PGM_RSRC2:USER_SGPR: 15
; COMPUTE_PGM_RSRC2:TRAP_HANDLER: 0
; COMPUTE_PGM_RSRC2:TGID_X_EN: 1
; COMPUTE_PGM_RSRC2:TGID_Y_EN: 0
; COMPUTE_PGM_RSRC2:TGID_Z_EN: 0
; COMPUTE_PGM_RSRC2:TIDIG_COMP_CNT: 0
	.section	.text._ZN7rocprim17ROCPRIM_400000_NS6detail17trampoline_kernelINS0_14default_configENS1_29reduce_by_key_config_selectorIffN6thrust23THRUST_200600_302600_NS4plusIfEEEEZZNS1_33reduce_by_key_impl_wrapped_configILNS1_25lookback_scan_determinismE0ES3_S9_NS6_6detail15normal_iteratorINS6_10device_ptrIfEEEESG_SG_SG_PmS8_NS6_8equal_toIfEEEE10hipError_tPvRmT2_T3_mT4_T5_T6_T7_T8_P12ihipStream_tbENKUlT_T0_E_clISt17integral_constantIbLb1EES11_EEDaSW_SX_EUlSW_E_NS1_11comp_targetILNS1_3genE10ELNS1_11target_archE1200ELNS1_3gpuE4ELNS1_3repE0EEENS1_30default_config_static_selectorELNS0_4arch9wavefront6targetE0EEEvT1_,"axG",@progbits,_ZN7rocprim17ROCPRIM_400000_NS6detail17trampoline_kernelINS0_14default_configENS1_29reduce_by_key_config_selectorIffN6thrust23THRUST_200600_302600_NS4plusIfEEEEZZNS1_33reduce_by_key_impl_wrapped_configILNS1_25lookback_scan_determinismE0ES3_S9_NS6_6detail15normal_iteratorINS6_10device_ptrIfEEEESG_SG_SG_PmS8_NS6_8equal_toIfEEEE10hipError_tPvRmT2_T3_mT4_T5_T6_T7_T8_P12ihipStream_tbENKUlT_T0_E_clISt17integral_constantIbLb1EES11_EEDaSW_SX_EUlSW_E_NS1_11comp_targetILNS1_3genE10ELNS1_11target_archE1200ELNS1_3gpuE4ELNS1_3repE0EEENS1_30default_config_static_selectorELNS0_4arch9wavefront6targetE0EEEvT1_,comdat
	.protected	_ZN7rocprim17ROCPRIM_400000_NS6detail17trampoline_kernelINS0_14default_configENS1_29reduce_by_key_config_selectorIffN6thrust23THRUST_200600_302600_NS4plusIfEEEEZZNS1_33reduce_by_key_impl_wrapped_configILNS1_25lookback_scan_determinismE0ES3_S9_NS6_6detail15normal_iteratorINS6_10device_ptrIfEEEESG_SG_SG_PmS8_NS6_8equal_toIfEEEE10hipError_tPvRmT2_T3_mT4_T5_T6_T7_T8_P12ihipStream_tbENKUlT_T0_E_clISt17integral_constantIbLb1EES11_EEDaSW_SX_EUlSW_E_NS1_11comp_targetILNS1_3genE10ELNS1_11target_archE1200ELNS1_3gpuE4ELNS1_3repE0EEENS1_30default_config_static_selectorELNS0_4arch9wavefront6targetE0EEEvT1_ ; -- Begin function _ZN7rocprim17ROCPRIM_400000_NS6detail17trampoline_kernelINS0_14default_configENS1_29reduce_by_key_config_selectorIffN6thrust23THRUST_200600_302600_NS4plusIfEEEEZZNS1_33reduce_by_key_impl_wrapped_configILNS1_25lookback_scan_determinismE0ES3_S9_NS6_6detail15normal_iteratorINS6_10device_ptrIfEEEESG_SG_SG_PmS8_NS6_8equal_toIfEEEE10hipError_tPvRmT2_T3_mT4_T5_T6_T7_T8_P12ihipStream_tbENKUlT_T0_E_clISt17integral_constantIbLb1EES11_EEDaSW_SX_EUlSW_E_NS1_11comp_targetILNS1_3genE10ELNS1_11target_archE1200ELNS1_3gpuE4ELNS1_3repE0EEENS1_30default_config_static_selectorELNS0_4arch9wavefront6targetE0EEEvT1_
	.globl	_ZN7rocprim17ROCPRIM_400000_NS6detail17trampoline_kernelINS0_14default_configENS1_29reduce_by_key_config_selectorIffN6thrust23THRUST_200600_302600_NS4plusIfEEEEZZNS1_33reduce_by_key_impl_wrapped_configILNS1_25lookback_scan_determinismE0ES3_S9_NS6_6detail15normal_iteratorINS6_10device_ptrIfEEEESG_SG_SG_PmS8_NS6_8equal_toIfEEEE10hipError_tPvRmT2_T3_mT4_T5_T6_T7_T8_P12ihipStream_tbENKUlT_T0_E_clISt17integral_constantIbLb1EES11_EEDaSW_SX_EUlSW_E_NS1_11comp_targetILNS1_3genE10ELNS1_11target_archE1200ELNS1_3gpuE4ELNS1_3repE0EEENS1_30default_config_static_selectorELNS0_4arch9wavefront6targetE0EEEvT1_
	.p2align	8
	.type	_ZN7rocprim17ROCPRIM_400000_NS6detail17trampoline_kernelINS0_14default_configENS1_29reduce_by_key_config_selectorIffN6thrust23THRUST_200600_302600_NS4plusIfEEEEZZNS1_33reduce_by_key_impl_wrapped_configILNS1_25lookback_scan_determinismE0ES3_S9_NS6_6detail15normal_iteratorINS6_10device_ptrIfEEEESG_SG_SG_PmS8_NS6_8equal_toIfEEEE10hipError_tPvRmT2_T3_mT4_T5_T6_T7_T8_P12ihipStream_tbENKUlT_T0_E_clISt17integral_constantIbLb1EES11_EEDaSW_SX_EUlSW_E_NS1_11comp_targetILNS1_3genE10ELNS1_11target_archE1200ELNS1_3gpuE4ELNS1_3repE0EEENS1_30default_config_static_selectorELNS0_4arch9wavefront6targetE0EEEvT1_,@function
_ZN7rocprim17ROCPRIM_400000_NS6detail17trampoline_kernelINS0_14default_configENS1_29reduce_by_key_config_selectorIffN6thrust23THRUST_200600_302600_NS4plusIfEEEEZZNS1_33reduce_by_key_impl_wrapped_configILNS1_25lookback_scan_determinismE0ES3_S9_NS6_6detail15normal_iteratorINS6_10device_ptrIfEEEESG_SG_SG_PmS8_NS6_8equal_toIfEEEE10hipError_tPvRmT2_T3_mT4_T5_T6_T7_T8_P12ihipStream_tbENKUlT_T0_E_clISt17integral_constantIbLb1EES11_EEDaSW_SX_EUlSW_E_NS1_11comp_targetILNS1_3genE10ELNS1_11target_archE1200ELNS1_3gpuE4ELNS1_3repE0EEENS1_30default_config_static_selectorELNS0_4arch9wavefront6targetE0EEEvT1_: ; @_ZN7rocprim17ROCPRIM_400000_NS6detail17trampoline_kernelINS0_14default_configENS1_29reduce_by_key_config_selectorIffN6thrust23THRUST_200600_302600_NS4plusIfEEEEZZNS1_33reduce_by_key_impl_wrapped_configILNS1_25lookback_scan_determinismE0ES3_S9_NS6_6detail15normal_iteratorINS6_10device_ptrIfEEEESG_SG_SG_PmS8_NS6_8equal_toIfEEEE10hipError_tPvRmT2_T3_mT4_T5_T6_T7_T8_P12ihipStream_tbENKUlT_T0_E_clISt17integral_constantIbLb1EES11_EEDaSW_SX_EUlSW_E_NS1_11comp_targetILNS1_3genE10ELNS1_11target_archE1200ELNS1_3gpuE4ELNS1_3repE0EEENS1_30default_config_static_selectorELNS0_4arch9wavefront6targetE0EEEvT1_
; %bb.0:
	.section	.rodata,"a",@progbits
	.p2align	6, 0x0
	.amdhsa_kernel _ZN7rocprim17ROCPRIM_400000_NS6detail17trampoline_kernelINS0_14default_configENS1_29reduce_by_key_config_selectorIffN6thrust23THRUST_200600_302600_NS4plusIfEEEEZZNS1_33reduce_by_key_impl_wrapped_configILNS1_25lookback_scan_determinismE0ES3_S9_NS6_6detail15normal_iteratorINS6_10device_ptrIfEEEESG_SG_SG_PmS8_NS6_8equal_toIfEEEE10hipError_tPvRmT2_T3_mT4_T5_T6_T7_T8_P12ihipStream_tbENKUlT_T0_E_clISt17integral_constantIbLb1EES11_EEDaSW_SX_EUlSW_E_NS1_11comp_targetILNS1_3genE10ELNS1_11target_archE1200ELNS1_3gpuE4ELNS1_3repE0EEENS1_30default_config_static_selectorELNS0_4arch9wavefront6targetE0EEEvT1_
		.amdhsa_group_segment_fixed_size 0
		.amdhsa_private_segment_fixed_size 0
		.amdhsa_kernarg_size 120
		.amdhsa_user_sgpr_count 15
		.amdhsa_user_sgpr_dispatch_ptr 0
		.amdhsa_user_sgpr_queue_ptr 0
		.amdhsa_user_sgpr_kernarg_segment_ptr 1
		.amdhsa_user_sgpr_dispatch_id 0
		.amdhsa_user_sgpr_private_segment_size 0
		.amdhsa_wavefront_size32 1
		.amdhsa_uses_dynamic_stack 0
		.amdhsa_enable_private_segment 0
		.amdhsa_system_sgpr_workgroup_id_x 1
		.amdhsa_system_sgpr_workgroup_id_y 0
		.amdhsa_system_sgpr_workgroup_id_z 0
		.amdhsa_system_sgpr_workgroup_info 0
		.amdhsa_system_vgpr_workitem_id 0
		.amdhsa_next_free_vgpr 1
		.amdhsa_next_free_sgpr 1
		.amdhsa_reserve_vcc 0
		.amdhsa_float_round_mode_32 0
		.amdhsa_float_round_mode_16_64 0
		.amdhsa_float_denorm_mode_32 3
		.amdhsa_float_denorm_mode_16_64 3
		.amdhsa_dx10_clamp 1
		.amdhsa_ieee_mode 1
		.amdhsa_fp16_overflow 0
		.amdhsa_workgroup_processor_mode 1
		.amdhsa_memory_ordered 1
		.amdhsa_forward_progress 0
		.amdhsa_shared_vgpr_count 0
		.amdhsa_exception_fp_ieee_invalid_op 0
		.amdhsa_exception_fp_denorm_src 0
		.amdhsa_exception_fp_ieee_div_zero 0
		.amdhsa_exception_fp_ieee_overflow 0
		.amdhsa_exception_fp_ieee_underflow 0
		.amdhsa_exception_fp_ieee_inexact 0
		.amdhsa_exception_int_div_zero 0
	.end_amdhsa_kernel
	.section	.text._ZN7rocprim17ROCPRIM_400000_NS6detail17trampoline_kernelINS0_14default_configENS1_29reduce_by_key_config_selectorIffN6thrust23THRUST_200600_302600_NS4plusIfEEEEZZNS1_33reduce_by_key_impl_wrapped_configILNS1_25lookback_scan_determinismE0ES3_S9_NS6_6detail15normal_iteratorINS6_10device_ptrIfEEEESG_SG_SG_PmS8_NS6_8equal_toIfEEEE10hipError_tPvRmT2_T3_mT4_T5_T6_T7_T8_P12ihipStream_tbENKUlT_T0_E_clISt17integral_constantIbLb1EES11_EEDaSW_SX_EUlSW_E_NS1_11comp_targetILNS1_3genE10ELNS1_11target_archE1200ELNS1_3gpuE4ELNS1_3repE0EEENS1_30default_config_static_selectorELNS0_4arch9wavefront6targetE0EEEvT1_,"axG",@progbits,_ZN7rocprim17ROCPRIM_400000_NS6detail17trampoline_kernelINS0_14default_configENS1_29reduce_by_key_config_selectorIffN6thrust23THRUST_200600_302600_NS4plusIfEEEEZZNS1_33reduce_by_key_impl_wrapped_configILNS1_25lookback_scan_determinismE0ES3_S9_NS6_6detail15normal_iteratorINS6_10device_ptrIfEEEESG_SG_SG_PmS8_NS6_8equal_toIfEEEE10hipError_tPvRmT2_T3_mT4_T5_T6_T7_T8_P12ihipStream_tbENKUlT_T0_E_clISt17integral_constantIbLb1EES11_EEDaSW_SX_EUlSW_E_NS1_11comp_targetILNS1_3genE10ELNS1_11target_archE1200ELNS1_3gpuE4ELNS1_3repE0EEENS1_30default_config_static_selectorELNS0_4arch9wavefront6targetE0EEEvT1_,comdat
.Lfunc_end179:
	.size	_ZN7rocprim17ROCPRIM_400000_NS6detail17trampoline_kernelINS0_14default_configENS1_29reduce_by_key_config_selectorIffN6thrust23THRUST_200600_302600_NS4plusIfEEEEZZNS1_33reduce_by_key_impl_wrapped_configILNS1_25lookback_scan_determinismE0ES3_S9_NS6_6detail15normal_iteratorINS6_10device_ptrIfEEEESG_SG_SG_PmS8_NS6_8equal_toIfEEEE10hipError_tPvRmT2_T3_mT4_T5_T6_T7_T8_P12ihipStream_tbENKUlT_T0_E_clISt17integral_constantIbLb1EES11_EEDaSW_SX_EUlSW_E_NS1_11comp_targetILNS1_3genE10ELNS1_11target_archE1200ELNS1_3gpuE4ELNS1_3repE0EEENS1_30default_config_static_selectorELNS0_4arch9wavefront6targetE0EEEvT1_, .Lfunc_end179-_ZN7rocprim17ROCPRIM_400000_NS6detail17trampoline_kernelINS0_14default_configENS1_29reduce_by_key_config_selectorIffN6thrust23THRUST_200600_302600_NS4plusIfEEEEZZNS1_33reduce_by_key_impl_wrapped_configILNS1_25lookback_scan_determinismE0ES3_S9_NS6_6detail15normal_iteratorINS6_10device_ptrIfEEEESG_SG_SG_PmS8_NS6_8equal_toIfEEEE10hipError_tPvRmT2_T3_mT4_T5_T6_T7_T8_P12ihipStream_tbENKUlT_T0_E_clISt17integral_constantIbLb1EES11_EEDaSW_SX_EUlSW_E_NS1_11comp_targetILNS1_3genE10ELNS1_11target_archE1200ELNS1_3gpuE4ELNS1_3repE0EEENS1_30default_config_static_selectorELNS0_4arch9wavefront6targetE0EEEvT1_
                                        ; -- End function
	.section	.AMDGPU.csdata,"",@progbits
; Kernel info:
; codeLenInByte = 0
; NumSgprs: 0
; NumVgprs: 0
; ScratchSize: 0
; MemoryBound: 0
; FloatMode: 240
; IeeeMode: 1
; LDSByteSize: 0 bytes/workgroup (compile time only)
; SGPRBlocks: 0
; VGPRBlocks: 0
; NumSGPRsForWavesPerEU: 1
; NumVGPRsForWavesPerEU: 1
; Occupancy: 16
; WaveLimiterHint : 0
; COMPUTE_PGM_RSRC2:SCRATCH_EN: 0
; COMPUTE_PGM_RSRC2:USER_SGPR: 15
; COMPUTE_PGM_RSRC2:TRAP_HANDLER: 0
; COMPUTE_PGM_RSRC2:TGID_X_EN: 1
; COMPUTE_PGM_RSRC2:TGID_Y_EN: 0
; COMPUTE_PGM_RSRC2:TGID_Z_EN: 0
; COMPUTE_PGM_RSRC2:TIDIG_COMP_CNT: 0
	.section	.text._ZN7rocprim17ROCPRIM_400000_NS6detail17trampoline_kernelINS0_14default_configENS1_29reduce_by_key_config_selectorIffN6thrust23THRUST_200600_302600_NS4plusIfEEEEZZNS1_33reduce_by_key_impl_wrapped_configILNS1_25lookback_scan_determinismE0ES3_S9_NS6_6detail15normal_iteratorINS6_10device_ptrIfEEEESG_SG_SG_PmS8_NS6_8equal_toIfEEEE10hipError_tPvRmT2_T3_mT4_T5_T6_T7_T8_P12ihipStream_tbENKUlT_T0_E_clISt17integral_constantIbLb1EES11_EEDaSW_SX_EUlSW_E_NS1_11comp_targetILNS1_3genE9ELNS1_11target_archE1100ELNS1_3gpuE3ELNS1_3repE0EEENS1_30default_config_static_selectorELNS0_4arch9wavefront6targetE0EEEvT1_,"axG",@progbits,_ZN7rocprim17ROCPRIM_400000_NS6detail17trampoline_kernelINS0_14default_configENS1_29reduce_by_key_config_selectorIffN6thrust23THRUST_200600_302600_NS4plusIfEEEEZZNS1_33reduce_by_key_impl_wrapped_configILNS1_25lookback_scan_determinismE0ES3_S9_NS6_6detail15normal_iteratorINS6_10device_ptrIfEEEESG_SG_SG_PmS8_NS6_8equal_toIfEEEE10hipError_tPvRmT2_T3_mT4_T5_T6_T7_T8_P12ihipStream_tbENKUlT_T0_E_clISt17integral_constantIbLb1EES11_EEDaSW_SX_EUlSW_E_NS1_11comp_targetILNS1_3genE9ELNS1_11target_archE1100ELNS1_3gpuE3ELNS1_3repE0EEENS1_30default_config_static_selectorELNS0_4arch9wavefront6targetE0EEEvT1_,comdat
	.protected	_ZN7rocprim17ROCPRIM_400000_NS6detail17trampoline_kernelINS0_14default_configENS1_29reduce_by_key_config_selectorIffN6thrust23THRUST_200600_302600_NS4plusIfEEEEZZNS1_33reduce_by_key_impl_wrapped_configILNS1_25lookback_scan_determinismE0ES3_S9_NS6_6detail15normal_iteratorINS6_10device_ptrIfEEEESG_SG_SG_PmS8_NS6_8equal_toIfEEEE10hipError_tPvRmT2_T3_mT4_T5_T6_T7_T8_P12ihipStream_tbENKUlT_T0_E_clISt17integral_constantIbLb1EES11_EEDaSW_SX_EUlSW_E_NS1_11comp_targetILNS1_3genE9ELNS1_11target_archE1100ELNS1_3gpuE3ELNS1_3repE0EEENS1_30default_config_static_selectorELNS0_4arch9wavefront6targetE0EEEvT1_ ; -- Begin function _ZN7rocprim17ROCPRIM_400000_NS6detail17trampoline_kernelINS0_14default_configENS1_29reduce_by_key_config_selectorIffN6thrust23THRUST_200600_302600_NS4plusIfEEEEZZNS1_33reduce_by_key_impl_wrapped_configILNS1_25lookback_scan_determinismE0ES3_S9_NS6_6detail15normal_iteratorINS6_10device_ptrIfEEEESG_SG_SG_PmS8_NS6_8equal_toIfEEEE10hipError_tPvRmT2_T3_mT4_T5_T6_T7_T8_P12ihipStream_tbENKUlT_T0_E_clISt17integral_constantIbLb1EES11_EEDaSW_SX_EUlSW_E_NS1_11comp_targetILNS1_3genE9ELNS1_11target_archE1100ELNS1_3gpuE3ELNS1_3repE0EEENS1_30default_config_static_selectorELNS0_4arch9wavefront6targetE0EEEvT1_
	.globl	_ZN7rocprim17ROCPRIM_400000_NS6detail17trampoline_kernelINS0_14default_configENS1_29reduce_by_key_config_selectorIffN6thrust23THRUST_200600_302600_NS4plusIfEEEEZZNS1_33reduce_by_key_impl_wrapped_configILNS1_25lookback_scan_determinismE0ES3_S9_NS6_6detail15normal_iteratorINS6_10device_ptrIfEEEESG_SG_SG_PmS8_NS6_8equal_toIfEEEE10hipError_tPvRmT2_T3_mT4_T5_T6_T7_T8_P12ihipStream_tbENKUlT_T0_E_clISt17integral_constantIbLb1EES11_EEDaSW_SX_EUlSW_E_NS1_11comp_targetILNS1_3genE9ELNS1_11target_archE1100ELNS1_3gpuE3ELNS1_3repE0EEENS1_30default_config_static_selectorELNS0_4arch9wavefront6targetE0EEEvT1_
	.p2align	8
	.type	_ZN7rocprim17ROCPRIM_400000_NS6detail17trampoline_kernelINS0_14default_configENS1_29reduce_by_key_config_selectorIffN6thrust23THRUST_200600_302600_NS4plusIfEEEEZZNS1_33reduce_by_key_impl_wrapped_configILNS1_25lookback_scan_determinismE0ES3_S9_NS6_6detail15normal_iteratorINS6_10device_ptrIfEEEESG_SG_SG_PmS8_NS6_8equal_toIfEEEE10hipError_tPvRmT2_T3_mT4_T5_T6_T7_T8_P12ihipStream_tbENKUlT_T0_E_clISt17integral_constantIbLb1EES11_EEDaSW_SX_EUlSW_E_NS1_11comp_targetILNS1_3genE9ELNS1_11target_archE1100ELNS1_3gpuE3ELNS1_3repE0EEENS1_30default_config_static_selectorELNS0_4arch9wavefront6targetE0EEEvT1_,@function
_ZN7rocprim17ROCPRIM_400000_NS6detail17trampoline_kernelINS0_14default_configENS1_29reduce_by_key_config_selectorIffN6thrust23THRUST_200600_302600_NS4plusIfEEEEZZNS1_33reduce_by_key_impl_wrapped_configILNS1_25lookback_scan_determinismE0ES3_S9_NS6_6detail15normal_iteratorINS6_10device_ptrIfEEEESG_SG_SG_PmS8_NS6_8equal_toIfEEEE10hipError_tPvRmT2_T3_mT4_T5_T6_T7_T8_P12ihipStream_tbENKUlT_T0_E_clISt17integral_constantIbLb1EES11_EEDaSW_SX_EUlSW_E_NS1_11comp_targetILNS1_3genE9ELNS1_11target_archE1100ELNS1_3gpuE3ELNS1_3repE0EEENS1_30default_config_static_selectorELNS0_4arch9wavefront6targetE0EEEvT1_: ; @_ZN7rocprim17ROCPRIM_400000_NS6detail17trampoline_kernelINS0_14default_configENS1_29reduce_by_key_config_selectorIffN6thrust23THRUST_200600_302600_NS4plusIfEEEEZZNS1_33reduce_by_key_impl_wrapped_configILNS1_25lookback_scan_determinismE0ES3_S9_NS6_6detail15normal_iteratorINS6_10device_ptrIfEEEESG_SG_SG_PmS8_NS6_8equal_toIfEEEE10hipError_tPvRmT2_T3_mT4_T5_T6_T7_T8_P12ihipStream_tbENKUlT_T0_E_clISt17integral_constantIbLb1EES11_EEDaSW_SX_EUlSW_E_NS1_11comp_targetILNS1_3genE9ELNS1_11target_archE1100ELNS1_3gpuE3ELNS1_3repE0EEENS1_30default_config_static_selectorELNS0_4arch9wavefront6targetE0EEEvT1_
; %bb.0:
	s_clause 0x4
	s_load_b256 s[20:27], s[0:1], 0x0
	s_load_b128 s[28:31], s[0:1], 0x20
	s_load_b256 s[36:43], s[0:1], 0x38
	s_load_b64 s[34:35], s[0:1], 0x68
	s_load_b128 s[44:47], s[0:1], 0x58
	v_cmp_ne_u32_e64 s3, 0, v0
	v_cmp_eq_u32_e64 s2, 0, v0
	s_delay_alu instid0(VALU_DEP_1)
	s_and_saveexec_b32 s4, s2
	s_cbranch_execz .LBB180_4
; %bb.1:
	s_mov_b32 s6, exec_lo
	s_mov_b32 s5, exec_lo
	v_mbcnt_lo_u32_b32 v1, s6, 0
                                        ; implicit-def: $vgpr2
	s_delay_alu instid0(VALU_DEP_1)
	v_cmpx_eq_u32_e32 0, v1
	s_cbranch_execz .LBB180_3
; %bb.2:
	s_load_b64 s[0:1], s[0:1], 0x70
	s_bcnt1_i32_b32 s6, s6
	s_delay_alu instid0(SALU_CYCLE_1)
	v_dual_mov_b32 v2, 0 :: v_dual_mov_b32 v3, s6
	s_waitcnt lgkmcnt(0)
	global_atomic_add_u32 v2, v2, v3, s[0:1] glc
.LBB180_3:
	s_or_b32 exec_lo, exec_lo, s5
	s_waitcnt vmcnt(0)
	v_readfirstlane_b32 s0, v2
	s_delay_alu instid0(VALU_DEP_1)
	v_dual_mov_b32 v2, 0 :: v_dual_add_nc_u32 v1, s0, v1
	ds_store_b32 v2, v1
.LBB180_4:
	s_or_b32 exec_lo, exec_lo, s4
	v_mov_b32_e32 v2, 0
	s_waitcnt lgkmcnt(0)
	s_barrier
	buffer_gl0_inv
	s_lshl_b64 s[4:5], s[22:23], 2
	ds_load_b32 v1, v2
	s_add_u32 s9, s20, s4
	s_mul_i32 s1, s40, s39
	s_mul_hi_u32 s6, s40, s38
	s_addc_u32 s10, s21, s5
	s_add_u32 s11, s24, s4
	s_mul_i32 s7, s41, s38
	s_addc_u32 s12, s25, s5
	s_add_i32 s1, s6, s1
	s_mul_i32 s8, s40, s38
	s_add_i32 s1, s1, s7
	s_mov_b32 s0, 0
	s_waitcnt lgkmcnt(0)
	s_barrier
	buffer_gl0_inv
	v_readfirstlane_b32 s48, v1
	v_mul_lo_u32 v1, 0xf00, v1
	s_delay_alu instid0(VALU_DEP_2) | instskip(SKIP_3) | instid1(VALU_DEP_1)
	s_add_u32 s18, s8, s48
	s_addc_u32 s19, s1, 0
	s_add_u32 s4, s42, -1
	s_addc_u32 s5, s43, -1
	v_lshlrev_b64 v[3:4], 2, v[1:2]
	s_cmp_eq_u64 s[18:19], s[4:5]
	s_mul_i32 s40, s4, 0xfffff100
	s_cselect_b32 s33, -1, 0
	s_cmp_lg_u64 s[18:19], s[4:5]
	s_delay_alu instid0(VALU_DEP_1)
	v_add_co_u32 v2, vcc_lo, s9, v3
	v_add_co_ci_u32_e32 v1, vcc_lo, s10, v4, vcc_lo
	v_add_co_u32 v3, vcc_lo, s11, v3
	v_add_co_ci_u32_e32 v4, vcc_lo, s12, v4, vcc_lo
	s_cselect_b32 s17, -1, 0
	s_and_b32 vcc_lo, exec_lo, s33
	s_cbranch_vccnz .LBB180_6
; %bb.5:
	v_lshlrev_b32_e32 v29, 2, v0
	s_delay_alu instid0(VALU_DEP_1) | instskip(SKIP_1) | instid1(VALU_DEP_2)
	v_add_co_u32 v5, vcc_lo, v2, v29
	v_add_co_ci_u32_e32 v6, vcc_lo, 0, v1, vcc_lo
	v_add_co_u32 v7, vcc_lo, 0x1000, v5
	s_delay_alu instid0(VALU_DEP_2)
	v_add_co_ci_u32_e32 v8, vcc_lo, 0, v6, vcc_lo
	s_clause 0x7
	flat_load_b32 v9, v[5:6]
	flat_load_b32 v10, v[5:6] offset:1024
	flat_load_b32 v11, v[5:6] offset:2048
	;; [unrolled: 1-line block ×3, first 2 shown]
	flat_load_b32 v13, v[7:8]
	flat_load_b32 v14, v[7:8] offset:1024
	flat_load_b32 v15, v[7:8] offset:2048
	;; [unrolled: 1-line block ×3, first 2 shown]
	v_add_co_u32 v7, vcc_lo, 0x2000, v5
	v_add_co_ci_u32_e32 v8, vcc_lo, 0, v6, vcc_lo
	v_add_co_u32 v5, vcc_lo, 0x3000, v5
	v_add_co_ci_u32_e32 v6, vcc_lo, 0, v6, vcc_lo
	s_clause 0x6
	flat_load_b32 v17, v[7:8]
	flat_load_b32 v18, v[7:8] offset:1024
	flat_load_b32 v19, v[7:8] offset:2048
	;; [unrolled: 1-line block ×3, first 2 shown]
	flat_load_b32 v20, v[5:6]
	flat_load_b32 v21, v[5:6] offset:1024
	flat_load_b32 v22, v[5:6] offset:2048
	v_add_co_u32 v6, vcc_lo, v3, v29
	v_add_co_ci_u32_e32 v7, vcc_lo, 0, v4, vcc_lo
	v_mad_u32_u24 v5, v0, 56, v29
	s_delay_alu instid0(VALU_DEP_3) | instskip(NEXT) | instid1(VALU_DEP_3)
	v_add_co_u32 v23, vcc_lo, 0x1000, v6
	v_add_co_ci_u32_e32 v24, vcc_lo, 0, v7, vcc_lo
	v_add_co_u32 v25, vcc_lo, 0x2000, v6
	v_add_co_ci_u32_e32 v26, vcc_lo, 0, v7, vcc_lo
	;; [unrolled: 2-line block ×3, first 2 shown]
	s_waitcnt vmcnt(13) lgkmcnt(13)
	ds_store_2addr_stride64_b32 v29, v9, v10 offset1:4
	s_waitcnt vmcnt(11) lgkmcnt(12)
	ds_store_2addr_stride64_b32 v29, v11, v12 offset0:8 offset1:12
	s_waitcnt vmcnt(9) lgkmcnt(11)
	ds_store_2addr_stride64_b32 v29, v13, v14 offset0:16 offset1:20
	;; [unrolled: 2-line block ×6, first 2 shown]
	s_waitcnt vmcnt(0) lgkmcnt(7)
	ds_store_b32 v29, v22 offset:14336
	s_waitcnt lgkmcnt(0)
	s_barrier
	buffer_gl0_inv
	ds_load_2addr_b32 v[21:22], v5 offset1:1
	ds_load_2addr_b32 v[19:20], v5 offset0:2 offset1:3
	ds_load_2addr_b32 v[17:18], v5 offset0:4 offset1:5
	;; [unrolled: 1-line block ×6, first 2 shown]
	ds_load_b32 v43, v5 offset:56
	s_waitcnt lgkmcnt(0)
	s_barrier
	buffer_gl0_inv
	s_clause 0xe
	flat_load_b32 v8, v[6:7]
	flat_load_b32 v30, v[6:7] offset:1024
	flat_load_b32 v31, v[6:7] offset:2048
	flat_load_b32 v6, v[6:7] offset:3072
	flat_load_b32 v7, v[23:24]
	flat_load_b32 v32, v[23:24] offset:1024
	flat_load_b32 v33, v[23:24] offset:2048
	flat_load_b32 v23, v[23:24] offset:3072
	;; [unrolled: 4-line block ×3, first 2 shown]
	flat_load_b32 v26, v[27:28]
	flat_load_b32 v36, v[27:28] offset:1024
	flat_load_b32 v27, v[27:28] offset:2048
	s_waitcnt vmcnt(13) lgkmcnt(13)
	ds_store_2addr_stride64_b32 v29, v8, v30 offset1:4
	s_waitcnt vmcnt(11) lgkmcnt(12)
	ds_store_2addr_stride64_b32 v29, v31, v6 offset0:8 offset1:12
	s_waitcnt vmcnt(9) lgkmcnt(11)
	ds_store_2addr_stride64_b32 v29, v7, v32 offset0:16 offset1:20
	;; [unrolled: 2-line block ×6, first 2 shown]
	s_waitcnt vmcnt(0) lgkmcnt(7)
	ds_store_b32 v29, v27 offset:14336
	s_waitcnt lgkmcnt(0)
	s_barrier
	s_and_not1_b32 vcc_lo, exec_lo, s0
	s_add_i32 s40, s40, s44
	s_cbranch_vccz .LBB180_7
	s_branch .LBB180_54
.LBB180_6:
                                        ; implicit-def: $vgpr5
                                        ; implicit-def: $vgpr21
                                        ; implicit-def: $vgpr19
                                        ; implicit-def: $vgpr17
                                        ; implicit-def: $vgpr15
                                        ; implicit-def: $vgpr13
                                        ; implicit-def: $vgpr11
                                        ; implicit-def: $vgpr9
                                        ; implicit-def: $vgpr43
	s_add_i32 s40, s40, s44
.LBB180_7:
	s_delay_alu instid0(SALU_CYCLE_1)
	v_cmp_gt_u32_e32 vcc_lo, s40, v0
                                        ; implicit-def: $vgpr5
	s_and_saveexec_b32 s1, vcc_lo
	s_cbranch_execz .LBB180_9
; %bb.8:
	v_lshlrev_b32_e32 v5, 2, v0
	s_delay_alu instid0(VALU_DEP_1) | instskip(NEXT) | instid1(VALU_DEP_1)
	v_add_co_u32 v5, s0, v2, v5
	v_add_co_ci_u32_e64 v6, s0, 0, v1, s0
	flat_load_b32 v5, v[5:6]
.LBB180_9:
	s_or_b32 exec_lo, exec_lo, s1
	v_or_b32_e32 v6, 0x100, v0
                                        ; implicit-def: $vgpr9
	s_delay_alu instid0(VALU_DEP_1) | instskip(NEXT) | instid1(VALU_DEP_1)
	v_cmp_gt_u32_e64 s0, s40, v6
	s_and_saveexec_b32 s4, s0
	s_cbranch_execz .LBB180_11
; %bb.10:
	v_lshlrev_b32_e32 v6, 2, v0
	s_delay_alu instid0(VALU_DEP_1) | instskip(NEXT) | instid1(VALU_DEP_1)
	v_add_co_u32 v6, s1, v2, v6
	v_add_co_ci_u32_e64 v7, s1, 0, v1, s1
	flat_load_b32 v9, v[6:7] offset:1024
.LBB180_11:
	s_or_b32 exec_lo, exec_lo, s4
	v_or_b32_e32 v6, 0x200, v0
                                        ; implicit-def: $vgpr10
	s_delay_alu instid0(VALU_DEP_1) | instskip(NEXT) | instid1(VALU_DEP_1)
	v_cmp_gt_u32_e64 s1, s40, v6
	s_and_saveexec_b32 s5, s1
	s_cbranch_execz .LBB180_13
; %bb.12:
	v_lshlrev_b32_e32 v6, 2, v0
	s_delay_alu instid0(VALU_DEP_1) | instskip(NEXT) | instid1(VALU_DEP_1)
	v_add_co_u32 v6, s4, v2, v6
	v_add_co_ci_u32_e64 v7, s4, 0, v1, s4
	flat_load_b32 v10, v[6:7] offset:2048
.LBB180_13:
	s_or_b32 exec_lo, exec_lo, s5
	v_or_b32_e32 v6, 0x300, v0
                                        ; implicit-def: $vgpr11
	s_delay_alu instid0(VALU_DEP_1) | instskip(NEXT) | instid1(VALU_DEP_1)
	v_cmp_gt_u32_e64 s4, s40, v6
	s_and_saveexec_b32 s6, s4
	s_cbranch_execz .LBB180_15
; %bb.14:
	v_lshlrev_b32_e32 v6, 2, v0
	s_delay_alu instid0(VALU_DEP_1) | instskip(NEXT) | instid1(VALU_DEP_1)
	v_add_co_u32 v6, s5, v2, v6
	v_add_co_ci_u32_e64 v7, s5, 0, v1, s5
	flat_load_b32 v11, v[6:7] offset:3072
.LBB180_15:
	s_or_b32 exec_lo, exec_lo, s6
	v_or_b32_e32 v6, 0x400, v0
                                        ; implicit-def: $vgpr12
	s_delay_alu instid0(VALU_DEP_1) | instskip(NEXT) | instid1(VALU_DEP_1)
	v_cmp_gt_u32_e64 s5, s40, v6
	s_and_saveexec_b32 s7, s5
	s_cbranch_execz .LBB180_17
; %bb.16:
	v_lshlrev_b32_e32 v7, 2, v6
	s_delay_alu instid0(VALU_DEP_1) | instskip(NEXT) | instid1(VALU_DEP_1)
	v_add_co_u32 v7, s6, v2, v7
	v_add_co_ci_u32_e64 v8, s6, 0, v1, s6
	flat_load_b32 v12, v[7:8]
.LBB180_17:
	s_or_b32 exec_lo, exec_lo, s7
	v_or_b32_e32 v7, 0x500, v0
                                        ; implicit-def: $vgpr13
	s_delay_alu instid0(VALU_DEP_1) | instskip(NEXT) | instid1(VALU_DEP_1)
	v_cmp_gt_u32_e64 s6, s40, v7
	s_and_saveexec_b32 s8, s6
	s_cbranch_execz .LBB180_19
; %bb.18:
	v_lshlrev_b32_e32 v8, 2, v7
	s_delay_alu instid0(VALU_DEP_1) | instskip(NEXT) | instid1(VALU_DEP_1)
	v_add_co_u32 v13, s7, v2, v8
	v_add_co_ci_u32_e64 v14, s7, 0, v1, s7
	flat_load_b32 v13, v[13:14]
.LBB180_19:
	s_or_b32 exec_lo, exec_lo, s8
	v_or_b32_e32 v8, 0x600, v0
                                        ; implicit-def: $vgpr14
	s_delay_alu instid0(VALU_DEP_1) | instskip(NEXT) | instid1(VALU_DEP_1)
	v_cmp_gt_u32_e64 s7, s40, v8
	s_and_saveexec_b32 s9, s7
	s_cbranch_execz .LBB180_21
; %bb.20:
	v_lshlrev_b32_e32 v14, 2, v8
	s_delay_alu instid0(VALU_DEP_1) | instskip(NEXT) | instid1(VALU_DEP_1)
	v_add_co_u32 v14, s8, v2, v14
	v_add_co_ci_u32_e64 v15, s8, 0, v1, s8
	flat_load_b32 v14, v[14:15]
.LBB180_21:
	s_or_b32 exec_lo, exec_lo, s9
	v_or_b32_e32 v23, 0x700, v0
                                        ; implicit-def: $vgpr15
	s_delay_alu instid0(VALU_DEP_1) | instskip(NEXT) | instid1(VALU_DEP_1)
	v_cmp_gt_u32_e64 s8, s40, v23
	s_and_saveexec_b32 s10, s8
	s_cbranch_execz .LBB180_23
; %bb.22:
	v_lshlrev_b32_e32 v15, 2, v23
	s_delay_alu instid0(VALU_DEP_1) | instskip(NEXT) | instid1(VALU_DEP_1)
	v_add_co_u32 v15, s9, v2, v15
	v_add_co_ci_u32_e64 v16, s9, 0, v1, s9
	flat_load_b32 v15, v[15:16]
.LBB180_23:
	s_or_b32 exec_lo, exec_lo, s10
	v_or_b32_e32 v24, 0x800, v0
                                        ; implicit-def: $vgpr16
	s_delay_alu instid0(VALU_DEP_1) | instskip(NEXT) | instid1(VALU_DEP_1)
	v_cmp_gt_u32_e64 s9, s40, v24
	s_and_saveexec_b32 s11, s9
	s_cbranch_execz .LBB180_25
; %bb.24:
	v_lshlrev_b32_e32 v16, 2, v24
	s_delay_alu instid0(VALU_DEP_1) | instskip(NEXT) | instid1(VALU_DEP_1)
	v_add_co_u32 v16, s10, v2, v16
	v_add_co_ci_u32_e64 v17, s10, 0, v1, s10
	flat_load_b32 v16, v[16:17]
.LBB180_25:
	s_or_b32 exec_lo, exec_lo, s11
	v_or_b32_e32 v26, 0x900, v0
                                        ; implicit-def: $vgpr17
	s_delay_alu instid0(VALU_DEP_1) | instskip(NEXT) | instid1(VALU_DEP_1)
	v_cmp_gt_u32_e64 s10, s40, v26
	s_and_saveexec_b32 s12, s10
	s_cbranch_execz .LBB180_27
; %bb.26:
	v_lshlrev_b32_e32 v17, 2, v26
	s_delay_alu instid0(VALU_DEP_1) | instskip(NEXT) | instid1(VALU_DEP_1)
	v_add_co_u32 v17, s11, v2, v17
	v_add_co_ci_u32_e64 v18, s11, 0, v1, s11
	flat_load_b32 v17, v[17:18]
.LBB180_27:
	s_or_b32 exec_lo, exec_lo, s12
	v_or_b32_e32 v27, 0xa00, v0
                                        ; implicit-def: $vgpr18
	s_delay_alu instid0(VALU_DEP_1) | instskip(NEXT) | instid1(VALU_DEP_1)
	v_cmp_gt_u32_e64 s11, s40, v27
	s_and_saveexec_b32 s13, s11
	s_cbranch_execz .LBB180_29
; %bb.28:
	v_lshlrev_b32_e32 v18, 2, v27
	s_delay_alu instid0(VALU_DEP_1) | instskip(NEXT) | instid1(VALU_DEP_1)
	v_add_co_u32 v18, s12, v2, v18
	v_add_co_ci_u32_e64 v19, s12, 0, v1, s12
	flat_load_b32 v18, v[18:19]
.LBB180_29:
	s_or_b32 exec_lo, exec_lo, s13
	v_or_b32_e32 v28, 0xb00, v0
                                        ; implicit-def: $vgpr19
	s_delay_alu instid0(VALU_DEP_1) | instskip(NEXT) | instid1(VALU_DEP_1)
	v_cmp_gt_u32_e64 s12, s40, v28
	s_and_saveexec_b32 s14, s12
	s_cbranch_execz .LBB180_31
; %bb.30:
	v_lshlrev_b32_e32 v19, 2, v28
	s_delay_alu instid0(VALU_DEP_1) | instskip(NEXT) | instid1(VALU_DEP_1)
	v_add_co_u32 v19, s13, v2, v19
	v_add_co_ci_u32_e64 v20, s13, 0, v1, s13
	flat_load_b32 v19, v[19:20]
.LBB180_31:
	s_or_b32 exec_lo, exec_lo, s14
	v_or_b32_e32 v29, 0xc00, v0
                                        ; implicit-def: $vgpr20
	s_delay_alu instid0(VALU_DEP_1) | instskip(NEXT) | instid1(VALU_DEP_1)
	v_cmp_gt_u32_e64 s13, s40, v29
	s_and_saveexec_b32 s15, s13
	s_cbranch_execz .LBB180_33
; %bb.32:
	v_lshlrev_b32_e32 v20, 2, v29
	s_delay_alu instid0(VALU_DEP_1) | instskip(NEXT) | instid1(VALU_DEP_1)
	v_add_co_u32 v20, s14, v2, v20
	v_add_co_ci_u32_e64 v21, s14, 0, v1, s14
	flat_load_b32 v20, v[20:21]
.LBB180_33:
	s_or_b32 exec_lo, exec_lo, s15
	v_or_b32_e32 v30, 0xd00, v0
                                        ; implicit-def: $vgpr21
	s_delay_alu instid0(VALU_DEP_1) | instskip(NEXT) | instid1(VALU_DEP_1)
	v_cmp_gt_u32_e64 s14, s40, v30
	s_and_saveexec_b32 s16, s14
	s_cbranch_execz .LBB180_35
; %bb.34:
	v_lshlrev_b32_e32 v21, 2, v30
	s_delay_alu instid0(VALU_DEP_1) | instskip(NEXT) | instid1(VALU_DEP_1)
	v_add_co_u32 v21, s15, v2, v21
	v_add_co_ci_u32_e64 v22, s15, 0, v1, s15
	flat_load_b32 v21, v[21:22]
.LBB180_35:
	s_or_b32 exec_lo, exec_lo, s16
	v_or_b32_e32 v31, 0xe00, v0
                                        ; implicit-def: $vgpr22
	s_delay_alu instid0(VALU_DEP_1) | instskip(NEXT) | instid1(VALU_DEP_1)
	v_cmp_gt_u32_e64 s15, s40, v31
	s_and_saveexec_b32 s20, s15
	s_cbranch_execz .LBB180_37
; %bb.36:
	v_lshlrev_b32_e32 v22, 2, v31
	s_delay_alu instid0(VALU_DEP_1) | instskip(NEXT) | instid1(VALU_DEP_1)
	v_add_co_u32 v32, s16, v2, v22
	v_add_co_ci_u32_e64 v33, s16, 0, v1, s16
	flat_load_b32 v22, v[32:33]
.LBB180_37:
	s_or_b32 exec_lo, exec_lo, s20
	v_lshlrev_b32_e32 v25, 2, v0
                                        ; implicit-def: $vgpr32
	s_waitcnt vmcnt(0) lgkmcnt(0)
	ds_store_2addr_stride64_b32 v25, v5, v9 offset1:4
	ds_store_2addr_stride64_b32 v25, v10, v11 offset0:8 offset1:12
	ds_store_2addr_stride64_b32 v25, v12, v13 offset0:16 offset1:20
	;; [unrolled: 1-line block ×6, first 2 shown]
	v_mad_u32_u24 v5, v0, 56, v25
	ds_store_b32 v25, v22 offset:14336
	s_waitcnt lgkmcnt(0)
	s_barrier
	buffer_gl0_inv
	ds_load_2addr_b32 v[21:22], v5 offset1:1
	ds_load_2addr_b32 v[19:20], v5 offset0:2 offset1:3
	ds_load_2addr_b32 v[17:18], v5 offset0:4 offset1:5
	;; [unrolled: 1-line block ×6, first 2 shown]
	ds_load_b32 v43, v5 offset:56
	s_waitcnt lgkmcnt(0)
	s_barrier
	buffer_gl0_inv
	s_and_saveexec_b32 s16, vcc_lo
	s_cbranch_execnz .LBB180_61
; %bb.38:
	s_or_b32 exec_lo, exec_lo, s16
                                        ; implicit-def: $vgpr33
	s_and_saveexec_b32 s16, s0
	s_cbranch_execnz .LBB180_62
.LBB180_39:
	s_or_b32 exec_lo, exec_lo, s16
                                        ; implicit-def: $vgpr34
	s_and_saveexec_b32 s0, s1
	s_cbranch_execnz .LBB180_63
.LBB180_40:
	s_or_b32 exec_lo, exec_lo, s0
                                        ; implicit-def: $vgpr35
	s_and_saveexec_b32 s0, s4
	s_cbranch_execnz .LBB180_64
.LBB180_41:
	s_or_b32 exec_lo, exec_lo, s0
                                        ; implicit-def: $vgpr36
	s_and_saveexec_b32 s0, s5
	s_cbranch_execnz .LBB180_65
.LBB180_42:
	s_or_b32 exec_lo, exec_lo, s0
                                        ; implicit-def: $vgpr6
	s_and_saveexec_b32 s0, s6
	s_cbranch_execnz .LBB180_66
.LBB180_43:
	s_or_b32 exec_lo, exec_lo, s0
                                        ; implicit-def: $vgpr7
	s_and_saveexec_b32 s0, s7
	s_cbranch_execnz .LBB180_67
.LBB180_44:
	s_or_b32 exec_lo, exec_lo, s0
                                        ; implicit-def: $vgpr8
	s_and_saveexec_b32 s0, s8
	s_cbranch_execnz .LBB180_68
.LBB180_45:
	s_or_b32 exec_lo, exec_lo, s0
                                        ; implicit-def: $vgpr23
	s_and_saveexec_b32 s0, s9
	s_cbranch_execnz .LBB180_69
.LBB180_46:
	s_or_b32 exec_lo, exec_lo, s0
                                        ; implicit-def: $vgpr24
	s_and_saveexec_b32 s0, s10
	s_cbranch_execnz .LBB180_70
.LBB180_47:
	s_or_b32 exec_lo, exec_lo, s0
                                        ; implicit-def: $vgpr26
	s_and_saveexec_b32 s0, s11
	s_cbranch_execnz .LBB180_71
.LBB180_48:
	s_or_b32 exec_lo, exec_lo, s0
                                        ; implicit-def: $vgpr27
	s_and_saveexec_b32 s0, s12
	s_cbranch_execnz .LBB180_72
.LBB180_49:
	s_or_b32 exec_lo, exec_lo, s0
                                        ; implicit-def: $vgpr28
	s_and_saveexec_b32 s0, s13
	s_cbranch_execnz .LBB180_73
.LBB180_50:
	s_or_b32 exec_lo, exec_lo, s0
                                        ; implicit-def: $vgpr29
	s_and_saveexec_b32 s0, s14
	s_cbranch_execnz .LBB180_74
.LBB180_51:
	s_or_b32 exec_lo, exec_lo, s0
                                        ; implicit-def: $vgpr30
	s_and_saveexec_b32 s0, s15
	s_cbranch_execz .LBB180_53
.LBB180_52:
	v_lshlrev_b32_e32 v30, 2, v31
	s_delay_alu instid0(VALU_DEP_1)
	v_add_co_u32 v3, vcc_lo, v3, v30
	v_add_co_ci_u32_e32 v4, vcc_lo, 0, v4, vcc_lo
	flat_load_b32 v30, v[3:4]
.LBB180_53:
	s_or_b32 exec_lo, exec_lo, s0
	s_waitcnt vmcnt(0) lgkmcnt(0)
	ds_store_2addr_stride64_b32 v25, v32, v33 offset1:4
	ds_store_2addr_stride64_b32 v25, v34, v35 offset0:8 offset1:12
	ds_store_2addr_stride64_b32 v25, v36, v6 offset0:16 offset1:20
	;; [unrolled: 1-line block ×6, first 2 shown]
	ds_store_b32 v25, v30 offset:14336
	s_waitcnt lgkmcnt(0)
	s_barrier
.LBB180_54:
	buffer_gl0_inv
	ds_load_2addr_b32 v[35:36], v5 offset1:1
	ds_load_2addr_b32 v[33:34], v5 offset0:2 offset1:3
	ds_load_2addr_b32 v[31:32], v5 offset0:4 offset1:5
	;; [unrolled: 1-line block ×6, first 2 shown]
	ds_load_b32 v59, v5 offset:56
	s_cmp_eq_u64 s[18:19], 0
	s_waitcnt lgkmcnt(0)
	s_cselect_b32 s41, -1, 0
	s_cmp_lg_u64 s[18:19], 0
	s_barrier
	s_cselect_b32 s15, -1, 0
	s_and_b32 vcc_lo, exec_lo, s17
	buffer_gl0_inv
	s_cbranch_vccz .LBB180_60
; %bb.55:
	s_and_b32 vcc_lo, exec_lo, s15
	s_cbranch_vccz .LBB180_75
; %bb.56:
	v_add_co_u32 v3, vcc_lo, -4, v2
	v_add_co_ci_u32_e32 v4, vcc_lo, -1, v1, vcc_lo
	v_cmp_neq_f32_e32 vcc_lo, v10, v43
	v_cmp_neq_f32_e64 s0, v9, v10
	v_cmp_neq_f32_e64 s1, v12, v9
	flat_load_b32 v3, v[3:4]
	v_lshlrev_b32_e32 v4, 2, v0
	v_cmp_neq_f32_e64 s4, v11, v12
	v_cmp_neq_f32_e64 s5, v14, v11
	;; [unrolled: 1-line block ×11, first 2 shown]
	s_mov_b32 s42, -1
	ds_store_b32 v4, v43
	s_waitcnt vmcnt(0) lgkmcnt(0)
	s_barrier
	buffer_gl0_inv
	s_and_saveexec_b32 s16, s3
	s_cbranch_execz .LBB180_58
; %bb.57:
	v_add_nc_u32_e32 v3, -4, v4
	ds_load_b32 v3, v3
.LBB180_58:
	s_or_b32 exec_lo, exec_lo, s16
	v_cndmask_b32_e64 v51, 0, 1, vcc_lo
	v_cndmask_b32_e64 v44, 0, 1, s0
	v_cndmask_b32_e64 v45, 0, 1, s1
	;; [unrolled: 1-line block ×13, first 2 shown]
	s_waitcnt lgkmcnt(0)
	v_cmp_neq_f32_e64 s0, v3, v21
.LBB180_59:
                                        ; implicit-def: $sgpr1
	s_branch .LBB180_87
.LBB180_60:
	s_mov_b32 s42, 0
                                        ; implicit-def: $sgpr0
                                        ; implicit-def: $vgpr51
                                        ; implicit-def: $vgpr44
                                        ; implicit-def: $vgpr45
                                        ; implicit-def: $vgpr46
                                        ; implicit-def: $vgpr47
                                        ; implicit-def: $vgpr48
                                        ; implicit-def: $vgpr49
                                        ; implicit-def: $vgpr50
                                        ; implicit-def: $vgpr52
                                        ; implicit-def: $vgpr53
                                        ; implicit-def: $vgpr54
                                        ; implicit-def: $vgpr55
                                        ; implicit-def: $vgpr56
                                        ; implicit-def: $vgpr57
                                        ; implicit-def: $sgpr1
	s_cbranch_execnz .LBB180_79
	s_branch .LBB180_87
.LBB180_61:
	v_add_co_u32 v32, vcc_lo, v3, v25
	v_add_co_ci_u32_e32 v33, vcc_lo, 0, v4, vcc_lo
	flat_load_b32 v32, v[32:33]
	s_or_b32 exec_lo, exec_lo, s16
                                        ; implicit-def: $vgpr33
	s_and_saveexec_b32 s16, s0
	s_cbranch_execz .LBB180_39
.LBB180_62:
	v_add_co_u32 v33, vcc_lo, v3, v25
	v_add_co_ci_u32_e32 v34, vcc_lo, 0, v4, vcc_lo
	flat_load_b32 v33, v[33:34] offset:1024
	s_or_b32 exec_lo, exec_lo, s16
                                        ; implicit-def: $vgpr34
	s_and_saveexec_b32 s0, s1
	s_cbranch_execz .LBB180_40
.LBB180_63:
	v_add_co_u32 v34, vcc_lo, v3, v25
	v_add_co_ci_u32_e32 v35, vcc_lo, 0, v4, vcc_lo
	flat_load_b32 v34, v[34:35] offset:2048
	s_or_b32 exec_lo, exec_lo, s0
                                        ; implicit-def: $vgpr35
	s_and_saveexec_b32 s0, s4
	s_cbranch_execz .LBB180_41
.LBB180_64:
	v_add_co_u32 v35, vcc_lo, v3, v25
	v_add_co_ci_u32_e32 v36, vcc_lo, 0, v4, vcc_lo
	flat_load_b32 v35, v[35:36] offset:3072
	s_or_b32 exec_lo, exec_lo, s0
                                        ; implicit-def: $vgpr36
	s_and_saveexec_b32 s0, s5
	s_cbranch_execz .LBB180_42
.LBB180_65:
	v_lshlrev_b32_e32 v6, 2, v6
	s_delay_alu instid0(VALU_DEP_1)
	v_add_co_u32 v36, vcc_lo, v3, v6
	v_add_co_ci_u32_e32 v37, vcc_lo, 0, v4, vcc_lo
	flat_load_b32 v36, v[36:37]
	s_or_b32 exec_lo, exec_lo, s0
                                        ; implicit-def: $vgpr6
	s_and_saveexec_b32 s0, s6
	s_cbranch_execz .LBB180_43
.LBB180_66:
	v_lshlrev_b32_e32 v6, 2, v7
	s_delay_alu instid0(VALU_DEP_1)
	v_add_co_u32 v6, vcc_lo, v3, v6
	v_add_co_ci_u32_e32 v7, vcc_lo, 0, v4, vcc_lo
	flat_load_b32 v6, v[6:7]
	s_or_b32 exec_lo, exec_lo, s0
                                        ; implicit-def: $vgpr7
	s_and_saveexec_b32 s0, s7
	s_cbranch_execz .LBB180_44
.LBB180_67:
	v_lshlrev_b32_e32 v7, 2, v8
	s_delay_alu instid0(VALU_DEP_1)
	v_add_co_u32 v7, vcc_lo, v3, v7
	v_add_co_ci_u32_e32 v8, vcc_lo, 0, v4, vcc_lo
	flat_load_b32 v7, v[7:8]
	s_or_b32 exec_lo, exec_lo, s0
                                        ; implicit-def: $vgpr8
	s_and_saveexec_b32 s0, s8
	s_cbranch_execz .LBB180_45
.LBB180_68:
	v_lshlrev_b32_e32 v8, 2, v23
	s_delay_alu instid0(VALU_DEP_1)
	v_add_co_u32 v37, vcc_lo, v3, v8
	v_add_co_ci_u32_e32 v38, vcc_lo, 0, v4, vcc_lo
	flat_load_b32 v8, v[37:38]
	s_or_b32 exec_lo, exec_lo, s0
                                        ; implicit-def: $vgpr23
	s_and_saveexec_b32 s0, s9
	s_cbranch_execz .LBB180_46
.LBB180_69:
	v_lshlrev_b32_e32 v23, 2, v24
	s_delay_alu instid0(VALU_DEP_1)
	v_add_co_u32 v23, vcc_lo, v3, v23
	v_add_co_ci_u32_e32 v24, vcc_lo, 0, v4, vcc_lo
	flat_load_b32 v23, v[23:24]
	s_or_b32 exec_lo, exec_lo, s0
                                        ; implicit-def: $vgpr24
	s_and_saveexec_b32 s0, s10
	s_cbranch_execz .LBB180_47
.LBB180_70:
	v_lshlrev_b32_e32 v24, 2, v26
	s_delay_alu instid0(VALU_DEP_1)
	v_add_co_u32 v37, vcc_lo, v3, v24
	v_add_co_ci_u32_e32 v38, vcc_lo, 0, v4, vcc_lo
	flat_load_b32 v24, v[37:38]
	s_or_b32 exec_lo, exec_lo, s0
                                        ; implicit-def: $vgpr26
	s_and_saveexec_b32 s0, s11
	s_cbranch_execz .LBB180_48
.LBB180_71:
	v_lshlrev_b32_e32 v26, 2, v27
	s_delay_alu instid0(VALU_DEP_1)
	v_add_co_u32 v26, vcc_lo, v3, v26
	v_add_co_ci_u32_e32 v27, vcc_lo, 0, v4, vcc_lo
	flat_load_b32 v26, v[26:27]
	s_or_b32 exec_lo, exec_lo, s0
                                        ; implicit-def: $vgpr27
	s_and_saveexec_b32 s0, s12
	s_cbranch_execz .LBB180_49
.LBB180_72:
	v_lshlrev_b32_e32 v27, 2, v28
	s_delay_alu instid0(VALU_DEP_1)
	v_add_co_u32 v27, vcc_lo, v3, v27
	v_add_co_ci_u32_e32 v28, vcc_lo, 0, v4, vcc_lo
	flat_load_b32 v27, v[27:28]
	s_or_b32 exec_lo, exec_lo, s0
                                        ; implicit-def: $vgpr28
	s_and_saveexec_b32 s0, s13
	s_cbranch_execz .LBB180_50
.LBB180_73:
	v_lshlrev_b32_e32 v28, 2, v29
	s_delay_alu instid0(VALU_DEP_1)
	v_add_co_u32 v28, vcc_lo, v3, v28
	v_add_co_ci_u32_e32 v29, vcc_lo, 0, v4, vcc_lo
	flat_load_b32 v28, v[28:29]
	s_or_b32 exec_lo, exec_lo, s0
                                        ; implicit-def: $vgpr29
	s_and_saveexec_b32 s0, s14
	s_cbranch_execz .LBB180_51
.LBB180_74:
	v_lshlrev_b32_e32 v29, 2, v30
	s_delay_alu instid0(VALU_DEP_1)
	v_add_co_u32 v29, vcc_lo, v3, v29
	v_add_co_ci_u32_e32 v30, vcc_lo, 0, v4, vcc_lo
	flat_load_b32 v29, v[29:30]
	s_or_b32 exec_lo, exec_lo, s0
                                        ; implicit-def: $vgpr30
	s_and_saveexec_b32 s0, s15
	s_cbranch_execnz .LBB180_52
	s_branch .LBB180_53
.LBB180_75:
	s_mov_b32 s42, 0
                                        ; implicit-def: $sgpr0
                                        ; implicit-def: $vgpr51
                                        ; implicit-def: $vgpr44
                                        ; implicit-def: $vgpr45
                                        ; implicit-def: $vgpr46
                                        ; implicit-def: $vgpr47
                                        ; implicit-def: $vgpr48
                                        ; implicit-def: $vgpr49
                                        ; implicit-def: $vgpr50
                                        ; implicit-def: $vgpr52
                                        ; implicit-def: $vgpr53
                                        ; implicit-def: $vgpr54
                                        ; implicit-def: $vgpr55
                                        ; implicit-def: $vgpr56
                                        ; implicit-def: $vgpr57
	s_cbranch_execz .LBB180_59
; %bb.76:
	v_cmp_neq_f32_e32 vcc_lo, v10, v43
	v_lshlrev_b32_e32 v3, 2, v0
                                        ; implicit-def: $sgpr0
	v_cndmask_b32_e64 v51, 0, 1, vcc_lo
	v_cmp_neq_f32_e32 vcc_lo, v9, v10
	ds_store_b32 v3, v43
	s_waitcnt lgkmcnt(0)
	s_barrier
	buffer_gl0_inv
	v_cndmask_b32_e64 v44, 0, 1, vcc_lo
	v_cmp_neq_f32_e32 vcc_lo, v12, v9
	v_cndmask_b32_e64 v45, 0, 1, vcc_lo
	v_cmp_neq_f32_e32 vcc_lo, v11, v12
	;; [unrolled: 2-line block ×12, first 2 shown]
	v_cndmask_b32_e64 v57, 0, 1, vcc_lo
	s_and_saveexec_b32 s1, s3
	s_delay_alu instid0(SALU_CYCLE_1)
	s_xor_b32 s1, exec_lo, s1
	s_cbranch_execz .LBB180_78
; %bb.77:
	v_add_nc_u32_e32 v3, -4, v3
	s_or_b32 s42, s42, exec_lo
	ds_load_b32 v3, v3
	s_waitcnt lgkmcnt(0)
	v_cmp_neq_f32_e32 vcc_lo, v3, v21
	s_and_b32 s0, vcc_lo, exec_lo
.LBB180_78:
	s_or_b32 exec_lo, exec_lo, s1
	s_mov_b32 s1, 1
	s_branch .LBB180_87
.LBB180_79:
	s_mul_hi_u32 s0, s18, 0xfffff100
	s_mul_i32 s1, s19, 0xfffff100
	s_sub_i32 s0, s0, s18
	s_mul_i32 s4, s18, 0xfffff100
	s_add_i32 s0, s0, s1
	s_add_u32 s24, s4, s44
	s_addc_u32 s25, s0, s45
	s_and_b32 vcc_lo, exec_lo, s15
	s_cbranch_vccz .LBB180_84
; %bb.80:
	v_add_co_u32 v2, vcc_lo, -4, v2
	v_add_co_ci_u32_e32 v3, vcc_lo, -1, v1, vcc_lo
	v_mad_u32_u24 v1, v0, 15, 14
	v_cmp_neq_f32_e64 s8, v10, v43
	v_cmp_neq_f32_e64 s10, v12, v9
	flat_load_b32 v5, v[2:3]
	v_mov_b32_e32 v2, 0
	v_cmp_neq_f32_e64 s12, v14, v11
	v_cmp_neq_f32_e64 s11, v11, v12
	v_lshlrev_b32_e32 v4, 2, v0
	v_mul_u32_u24_e32 v3, 15, v0
	v_cmp_gt_u64_e32 vcc_lo, s[24:25], v[1:2]
	v_mad_u32_u24 v1, v0, 15, 13
	s_mov_b32 s42, -1
	s_mov_b32 s14, 0
	ds_store_b32 v4, v43
	s_waitcnt vmcnt(0) lgkmcnt(0)
	v_cmp_gt_u64_e64 s0, s[24:25], v[1:2]
	v_mad_u32_u24 v1, v0, 15, 12
	s_and_b32 s15, vcc_lo, s8
	v_cmp_neq_f32_e64 s8, v9, v10
	s_barrier
	buffer_gl0_inv
	v_cmp_gt_u64_e64 s1, s[24:25], v[1:2]
	v_mad_u32_u24 v1, v0, 15, 11
	s_and_b32 s16, s0, s8
	v_cmp_neq_f32_e64 s8, v18, v15
	s_delay_alu instid0(VALU_DEP_2) | instskip(SKIP_3) | instid1(VALU_DEP_2)
	v_cmp_gt_u64_e64 s4, s[24:25], v[1:2]
	v_mad_u32_u24 v1, v0, 15, 10
	s_and_b32 s17, s1, s10
	v_cmp_neq_f32_e64 s1, v13, v14
	v_cmp_gt_u64_e64 s5, s[24:25], v[1:2]
	v_mad_u32_u24 v1, v0, 15, 9
	s_and_b32 s11, s4, s11
	v_cmp_neq_f32_e64 s4, v16, v13
	s_delay_alu instid0(VALU_DEP_2) | instskip(SKIP_3) | instid1(VALU_DEP_2)
	v_cmp_gt_u64_e64 s6, s[24:25], v[1:2]
	v_mad_u32_u24 v1, v0, 15, 8
	s_and_b32 s12, s5, s12
	v_cmp_neq_f32_e64 s5, v15, v16
	v_cmp_gt_u64_e64 s7, s[24:25], v[1:2]
	v_mad_u32_u24 v1, v0, 15, 7
	s_and_b32 s18, s6, s1
	v_cmp_neq_f32_e64 s1, v17, v18
	v_cmp_neq_f32_e64 s6, v22, v19
	s_delay_alu instid0(VALU_DEP_3) | instskip(SKIP_3) | instid1(VALU_DEP_2)
	v_cmp_gt_u64_e64 s9, s[24:25], v[1:2]
	v_mad_u32_u24 v1, v0, 15, 6
	s_and_b32 s19, s7, s4
	v_cmp_neq_f32_e64 s4, v20, v17
	v_cmp_gt_u64_e32 vcc_lo, s[24:25], v[1:2]
	v_mad_u32_u24 v1, v0, 15, 5
	s_and_b32 s20, s9, s5
	v_cmp_neq_f32_e64 s5, v19, v20
	s_delay_alu instid0(VALU_DEP_2) | instskip(SKIP_3) | instid1(VALU_DEP_2)
	v_cmp_gt_u64_e64 s13, s[24:25], v[1:2]
	v_mad_u32_u24 v1, v0, 15, 4
	s_and_b32 s9, vcc_lo, s8
	v_cmp_neq_f32_e64 s8, v21, v22
	v_cmp_gt_u64_e64 s0, s[24:25], v[1:2]
	v_mad_u32_u24 v1, v0, 15, 3
	s_and_b32 s13, s13, s1
	s_delay_alu instid0(VALU_DEP_1) | instskip(SKIP_1) | instid1(VALU_DEP_4)
	v_cmp_gt_u64_e64 s10, s[24:25], v[1:2]
	v_mad_u32_u24 v1, v0, 15, 2
	s_and_b32 s0, s0, s4
	s_delay_alu instid0(VALU_DEP_1) | instskip(SKIP_1) | instid1(VALU_DEP_4)
	v_cmp_gt_u64_e32 vcc_lo, s[24:25], v[1:2]
	v_mad_u32_u24 v1, v0, 15, 1
	s_and_b32 s5, s10, s5
	s_delay_alu instid0(VALU_DEP_1) | instskip(SKIP_1) | instid1(VALU_DEP_1)
	v_cmp_gt_u64_e64 s7, s[24:25], v[1:2]
	s_and_b32 s1, vcc_lo, s6
	s_and_b32 s4, s7, s8
	s_and_saveexec_b32 s6, s3
	s_cbranch_execz .LBB180_82
; %bb.81:
	v_add_nc_u32_e32 v1, -4, v4
	ds_load_b32 v5, v1
.LBB180_82:
	s_or_b32 exec_lo, exec_lo, s6
	v_mov_b32_e32 v4, v2
	v_cndmask_b32_e64 v54, 0, 1, s0
	s_waitcnt lgkmcnt(0)
	v_cmp_neq_f32_e64 s0, v5, v21
	v_cndmask_b32_e64 v51, 0, 1, s15
	v_cndmask_b32_e64 v44, 0, 1, s16
	v_cmp_gt_u64_e32 vcc_lo, s[24:25], v[3:4]
	v_cndmask_b32_e64 v45, 0, 1, s17
	v_cndmask_b32_e64 v46, 0, 1, s11
	;; [unrolled: 1-line block ×11, first 2 shown]
	s_and_b32 s0, vcc_lo, s0
	s_and_b32 vcc_lo, exec_lo, s14
	s_cbranch_vccnz .LBB180_85
.LBB180_83:
                                        ; implicit-def: $sgpr1
	v_mov_b32_e32 v58, s1
	s_and_saveexec_b32 s1, s42
	s_cbranch_execnz .LBB180_88
	s_branch .LBB180_89
.LBB180_84:
                                        ; implicit-def: $sgpr0
                                        ; implicit-def: $vgpr51
                                        ; implicit-def: $vgpr44
                                        ; implicit-def: $vgpr45
                                        ; implicit-def: $vgpr46
                                        ; implicit-def: $vgpr47
                                        ; implicit-def: $vgpr48
                                        ; implicit-def: $vgpr49
                                        ; implicit-def: $vgpr50
                                        ; implicit-def: $vgpr52
                                        ; implicit-def: $vgpr53
                                        ; implicit-def: $vgpr54
                                        ; implicit-def: $vgpr55
                                        ; implicit-def: $vgpr56
                                        ; implicit-def: $vgpr57
	s_cbranch_execz .LBB180_83
.LBB180_85:
	v_mad_u32_u24 v1, v0, 15, 14
	v_dual_mov_b32 v2, 0 :: v_dual_lshlrev_b32 v3, 2, v0
	v_cmp_neq_f32_e64 s7, v9, v10
	v_cmp_neq_f32_e64 s6, v10, v43
	;; [unrolled: 1-line block ×3, first 2 shown]
	s_delay_alu instid0(VALU_DEP_4)
	v_cmp_gt_u64_e32 vcc_lo, s[24:25], v[1:2]
	v_mad_u32_u24 v1, v0, 15, 13
	v_cmp_neq_f32_e64 s10, v11, v12
	v_cmp_neq_f32_e64 s11, v14, v11
	;; [unrolled: 1-line block ×4, first 2 shown]
	v_cmp_gt_u64_e64 s0, s[24:25], v[1:2]
	v_mad_u32_u24 v1, v0, 15, 12
	s_and_b32 s6, vcc_lo, s6
	v_cmp_neq_f32_e64 s15, v15, v16
	v_cmp_neq_f32_e64 s16, v18, v15
	;; [unrolled: 1-line block ×3, first 2 shown]
	v_cmp_gt_u64_e64 s1, s[24:25], v[1:2]
	v_mad_u32_u24 v1, v0, 15, 11
	s_and_b32 s0, s0, s7
	v_cmp_neq_f32_e64 s18, v20, v17
	v_cndmask_b32_e64 v44, 0, 1, s0
	v_cmp_neq_f32_e64 s20, v19, v20
	v_cmp_gt_u64_e64 s4, s[24:25], v[1:2]
	v_mad_u32_u24 v1, v0, 15, 10
	s_and_b32 s0, s1, s8
	v_cmp_neq_f32_e64 s21, v22, v19
	v_cndmask_b32_e64 v45, 0, 1, s0
	v_cmp_neq_f32_e64 s22, v21, v22
	v_cmp_gt_u64_e64 s5, s[24:25], v[1:2]
	v_mad_u32_u24 v1, v0, 15, 9
	s_and_b32 s0, s4, s10
	v_cndmask_b32_e64 v51, 0, 1, s6
	v_cndmask_b32_e64 v46, 0, 1, s0
	ds_store_b32 v3, v43
	v_cmp_gt_u64_e64 s9, s[24:25], v[1:2]
	v_mad_u32_u24 v1, v0, 15, 8
	s_and_b32 s1, s5, s11
	s_waitcnt lgkmcnt(0)
	v_cndmask_b32_e64 v47, 0, 1, s1
	s_barrier
	v_cmp_gt_u64_e64 s14, s[24:25], v[1:2]
	v_mad_u32_u24 v1, v0, 15, 7
	s_and_b32 s1, s9, s12
	buffer_gl0_inv
	v_cndmask_b32_e64 v48, 0, 1, s1
	v_cmp_gt_u64_e64 s19, s[24:25], v[1:2]
	v_mad_u32_u24 v1, v0, 15, 6
	s_and_b32 s4, s14, s13
	s_delay_alu instid0(SALU_CYCLE_1) | instskip(NEXT) | instid1(VALU_DEP_2)
	v_cndmask_b32_e64 v49, 0, 1, s4
	v_cmp_gt_u64_e64 s23, s[24:25], v[1:2]
	v_mad_u32_u24 v1, v0, 15, 5
	s_and_b32 s4, s19, s15
	s_delay_alu instid0(SALU_CYCLE_1) | instskip(NEXT) | instid1(VALU_DEP_2)
	v_cndmask_b32_e64 v50, 0, 1, s4
	v_cmp_gt_u64_e32 vcc_lo, s[24:25], v[1:2]
	v_mad_u32_u24 v1, v0, 15, 4
	s_and_b32 s5, s23, s16
	s_delay_alu instid0(SALU_CYCLE_1) | instskip(NEXT) | instid1(VALU_DEP_2)
	v_cndmask_b32_e64 v52, 0, 1, s5
	v_cmp_gt_u64_e64 s0, s[24:25], v[1:2]
	v_mad_u32_u24 v1, v0, 15, 3
	s_and_b32 s5, vcc_lo, s17
	s_delay_alu instid0(SALU_CYCLE_1) | instskip(NEXT) | instid1(VALU_DEP_2)
	v_cndmask_b32_e64 v53, 0, 1, s5
	v_cmp_gt_u64_e64 s1, s[24:25], v[1:2]
	v_mad_u32_u24 v1, v0, 15, 2
	s_and_b32 s0, s0, s18
	s_delay_alu instid0(SALU_CYCLE_1) | instskip(NEXT) | instid1(VALU_DEP_2)
	v_cndmask_b32_e64 v54, 0, 1, s0
	v_cmp_gt_u64_e64 s4, s[24:25], v[1:2]
	v_mad_u32_u24 v1, v0, 15, 1
	s_and_b32 s0, s1, s20
	s_mov_b32 s1, 1
	v_cndmask_b32_e64 v55, 0, 1, s0
	s_delay_alu instid0(VALU_DEP_2) | instskip(SKIP_1) | instid1(SALU_CYCLE_1)
	v_cmp_gt_u64_e32 vcc_lo, s[24:25], v[1:2]
	s_and_b32 s0, s4, s21
	v_cndmask_b32_e64 v56, 0, 1, s0
	s_and_b32 s0, vcc_lo, s22
	s_delay_alu instid0(SALU_CYCLE_1)
	v_cndmask_b32_e64 v57, 0, 1, s0
                                        ; implicit-def: $sgpr0
	s_and_saveexec_b32 s4, s3
	s_cbranch_execz .LBB180_172
; %bb.86:
	v_add_nc_u32_e32 v1, -4, v3
	s_or_b32 s42, s42, exec_lo
	ds_load_b32 v3, v1
	v_mul_u32_u24_e32 v1, 15, v0
	s_delay_alu instid0(VALU_DEP_1) | instskip(SKIP_2) | instid1(VALU_DEP_1)
	v_cmp_gt_u64_e32 vcc_lo, s[24:25], v[1:2]
	s_waitcnt lgkmcnt(0)
	v_cmp_neq_f32_e64 s0, v3, v21
	s_and_b32 s0, vcc_lo, s0
	s_delay_alu instid0(SALU_CYCLE_1)
	s_and_b32 s0, s0, exec_lo
	s_or_b32 exec_lo, exec_lo, s4
.LBB180_87:
	v_mov_b32_e32 v58, s1
	s_and_saveexec_b32 s1, s42
.LBB180_88:
	s_delay_alu instid0(VALU_DEP_2)
	v_cndmask_b32_e64 v58, 0, 1, s0
.LBB180_89:
	s_or_b32 exec_lo, exec_lo, s1
	s_delay_alu instid0(VALU_DEP_1)
	v_add3_u32 v1, v57, v58, v56
	v_add_f32_e32 v74, v35, v36
	v_cmp_eq_u32_e64 s13, 0, v57
	v_cmp_eq_u32_e64 s12, 0, v56
	;; [unrolled: 1-line block ×3, first 2 shown]
	v_add3_u32 v73, v1, v55, v54
	v_cmp_eq_u32_e64 s11, 0, v54
	v_cmp_eq_u32_e64 s9, 0, v53
	;; [unrolled: 1-line block ×10, first 2 shown]
	v_cmp_eq_u32_e32 vcc_lo, 0, v51
	v_mbcnt_lo_u32_b32 v70, -1, 0
	v_lshrrev_b32_e32 v71, 5, v0
	v_or_b32_e32 v72, 31, v0
	s_cmp_eq_u64 s[38:39], 0
	s_cselect_b32 s16, -1, 0
	s_cmp_lg_u32 s48, 0
	s_cbranch_scc0 .LBB180_120
; %bb.90:
	v_add3_u32 v2, v73, v53, v52
	v_cndmask_b32_e64 v1, v36, v74, s13
	s_mov_b32 s15, exec_lo
	v_and_b32_e32 v4, 15, v70
	v_and_b32_e32 v6, 16, v70
	v_add3_u32 v2, v2, v50, v49
	v_add_f32_e32 v1, v33, v1
	s_delay_alu instid0(VALU_DEP_2) | instskip(NEXT) | instid1(VALU_DEP_2)
	v_add3_u32 v2, v2, v48, v47
	v_cndmask_b32_e64 v1, v33, v1, s12
	s_delay_alu instid0(VALU_DEP_2) | instskip(NEXT) | instid1(VALU_DEP_1)
	v_add3_u32 v2, v2, v46, v45
	v_add3_u32 v2, v2, v44, v51
	s_delay_alu instid0(VALU_DEP_3) | instskip(NEXT) | instid1(VALU_DEP_2)
	v_add_f32_e32 v1, v34, v1
	v_mov_b32_dpp v5, v2 row_shr:1 row_mask:0xf bank_mask:0xf
	s_delay_alu instid0(VALU_DEP_2) | instskip(NEXT) | instid1(VALU_DEP_1)
	v_cndmask_b32_e64 v1, v34, v1, s10
	v_add_f32_e32 v1, v31, v1
	s_delay_alu instid0(VALU_DEP_1) | instskip(NEXT) | instid1(VALU_DEP_1)
	v_cndmask_b32_e64 v1, v31, v1, s11
	v_add_f32_e32 v1, v32, v1
	s_delay_alu instid0(VALU_DEP_1) | instskip(NEXT) | instid1(VALU_DEP_1)
	;; [unrolled: 3-line block ×10, first 2 shown]
	v_cndmask_b32_e64 v1, v24, v1, s0
	v_add_f32_e32 v1, v59, v1
	s_delay_alu instid0(VALU_DEP_1) | instskip(SKIP_1) | instid1(VALU_DEP_2)
	v_cndmask_b32_e32 v1, v59, v1, vcc_lo
	v_cmp_eq_u32_e32 vcc_lo, 0, v2
	v_mov_b32_dpp v3, v1 row_shr:1 row_mask:0xf bank_mask:0xf
	s_delay_alu instid0(VALU_DEP_1) | instskip(NEXT) | instid1(VALU_DEP_1)
	v_add_f32_e32 v3, v1, v3
	v_cndmask_b32_e32 v3, v1, v3, vcc_lo
	v_cmp_eq_u32_e32 vcc_lo, 0, v4
	v_cndmask_b32_e64 v5, v5, 0, vcc_lo
	s_delay_alu instid0(VALU_DEP_1) | instskip(NEXT) | instid1(VALU_DEP_1)
	v_dual_cndmask_b32 v1, v3, v1 :: v_dual_add_nc_u32 v2, v5, v2
	v_mov_b32_dpp v3, v1 row_shr:2 row_mask:0xf bank_mask:0xf
	s_delay_alu instid0(VALU_DEP_2) | instskip(NEXT) | instid1(VALU_DEP_2)
	v_cmp_eq_u32_e32 vcc_lo, 0, v2
	v_add_f32_e32 v3, v1, v3
	v_mov_b32_dpp v5, v2 row_shr:2 row_mask:0xf bank_mask:0xf
	s_delay_alu instid0(VALU_DEP_2) | instskip(SKIP_1) | instid1(VALU_DEP_2)
	v_cndmask_b32_e32 v3, v1, v3, vcc_lo
	v_cmp_lt_u32_e32 vcc_lo, 1, v4
	v_cndmask_b32_e32 v1, v1, v3, vcc_lo
	s_delay_alu instid0(VALU_DEP_4) | instskip(NEXT) | instid1(VALU_DEP_2)
	v_cndmask_b32_e32 v3, 0, v5, vcc_lo
	v_mov_b32_dpp v5, v1 row_shr:4 row_mask:0xf bank_mask:0xf
	s_delay_alu instid0(VALU_DEP_1) | instskip(NEXT) | instid1(VALU_DEP_1)
	v_dual_add_f32 v3, v1, v5 :: v_dual_add_nc_u32 v2, v2, v3
	v_cmp_eq_u32_e32 vcc_lo, 0, v2
	v_mov_b32_dpp v5, v2 row_shr:4 row_mask:0xf bank_mask:0xf
	s_delay_alu instid0(VALU_DEP_3) | instskip(SKIP_1) | instid1(VALU_DEP_2)
	v_cndmask_b32_e32 v3, v1, v3, vcc_lo
	v_cmp_lt_u32_e32 vcc_lo, 3, v4
	v_cndmask_b32_e32 v1, v1, v3, vcc_lo
	s_delay_alu instid0(VALU_DEP_4) | instskip(NEXT) | instid1(VALU_DEP_2)
	v_cndmask_b32_e32 v3, 0, v5, vcc_lo
	v_mov_b32_dpp v5, v1 row_shr:8 row_mask:0xf bank_mask:0xf
	s_delay_alu instid0(VALU_DEP_1) | instskip(NEXT) | instid1(VALU_DEP_1)
	v_dual_add_f32 v2, v1, v5 :: v_dual_add_nc_u32 v3, v3, v2
	v_cmp_eq_u32_e32 vcc_lo, 0, v3
	v_mov_b32_dpp v5, v3 row_shr:8 row_mask:0xf bank_mask:0xf
	s_delay_alu instid0(VALU_DEP_3) | instskip(SKIP_1) | instid1(VALU_DEP_2)
	v_cndmask_b32_e32 v2, v1, v2, vcc_lo
	v_cmp_lt_u32_e32 vcc_lo, 7, v4
	v_dual_cndmask_b32 v2, v1, v2 :: v_dual_cndmask_b32 v1, 0, v5
	v_bfe_i32 v5, v70, 4, 1
	s_delay_alu instid0(VALU_DEP_2)
	v_add_nc_u32_e32 v1, v1, v3
	ds_swizzle_b32 v3, v2 offset:swizzle(BROADCAST,32,15)
	ds_swizzle_b32 v4, v1 offset:swizzle(BROADCAST,32,15)
	v_cmp_eq_u32_e32 vcc_lo, 0, v1
	s_waitcnt lgkmcnt(1)
	v_add_f32_e32 v3, v2, v3
	s_waitcnt lgkmcnt(0)
	v_and_b32_e32 v7, v5, v4
	s_delay_alu instid0(VALU_DEP_2) | instskip(SKIP_2) | instid1(VALU_DEP_4)
	v_cndmask_b32_e32 v5, v2, v3, vcc_lo
	v_cmp_eq_u32_e32 vcc_lo, 0, v6
	v_lshlrev_b32_e32 v4, 3, v71
	v_add_nc_u32_e32 v1, v7, v1
	s_delay_alu instid0(VALU_DEP_4)
	v_cndmask_b32_e32 v3, v5, v2, vcc_lo
	v_cmpx_eq_u32_e64 v72, v0
	s_cbranch_execz .LBB180_92
; %bb.91:
	v_cndmask_b32_e32 v2, v5, v2, vcc_lo
	ds_store_b64 v4, v[1:2] offset:2064
.LBB180_92:
	s_or_b32 exec_lo, exec_lo, s15
	s_delay_alu instid0(SALU_CYCLE_1)
	s_mov_b32 s15, exec_lo
	s_waitcnt lgkmcnt(0)
	s_barrier
	buffer_gl0_inv
	v_cmpx_gt_u32_e32 8, v0
	s_cbranch_execz .LBB180_94
; %bb.93:
	v_lshlrev_b32_e32 v2, 3, v0
	ds_load_b64 v[5:6], v2 offset:2064
	s_waitcnt lgkmcnt(0)
	v_mov_b32_dpp v7, v6 row_shr:1 row_mask:0xf bank_mask:0xf
	v_cmp_eq_u32_e32 vcc_lo, 0, v5
	v_mov_b32_dpp v37, v5 row_shr:1 row_mask:0xf bank_mask:0xf
	s_delay_alu instid0(VALU_DEP_3) | instskip(NEXT) | instid1(VALU_DEP_1)
	v_dual_add_f32 v7, v6, v7 :: v_dual_and_b32 v8, 7, v70
	v_cndmask_b32_e32 v7, v6, v7, vcc_lo
	s_delay_alu instid0(VALU_DEP_2) | instskip(NEXT) | instid1(VALU_DEP_4)
	v_cmp_eq_u32_e32 vcc_lo, 0, v8
	v_cndmask_b32_e64 v37, v37, 0, vcc_lo
	s_delay_alu instid0(VALU_DEP_1) | instskip(NEXT) | instid1(VALU_DEP_1)
	v_dual_cndmask_b32 v6, v7, v6 :: v_dual_add_nc_u32 v5, v37, v5
	v_mov_b32_dpp v7, v6 row_shr:2 row_mask:0xf bank_mask:0xf
	s_delay_alu instid0(VALU_DEP_2) | instskip(NEXT) | instid1(VALU_DEP_2)
	v_cmp_eq_u32_e32 vcc_lo, 0, v5
	v_add_f32_e32 v7, v6, v7
	v_mov_b32_dpp v37, v5 row_shr:2 row_mask:0xf bank_mask:0xf
	s_delay_alu instid0(VALU_DEP_2) | instskip(SKIP_1) | instid1(VALU_DEP_2)
	v_cndmask_b32_e32 v7, v6, v7, vcc_lo
	v_cmp_lt_u32_e32 vcc_lo, 1, v8
	v_dual_cndmask_b32 v6, v6, v7 :: v_dual_cndmask_b32 v7, 0, v37
	v_cmp_lt_u32_e32 vcc_lo, 3, v8
	s_delay_alu instid0(VALU_DEP_2) | instskip(NEXT) | instid1(VALU_DEP_1)
	v_mov_b32_dpp v37, v6 row_shr:4 row_mask:0xf bank_mask:0xf
	v_add_f32_e32 v8, v6, v37
	s_delay_alu instid0(VALU_DEP_4) | instskip(NEXT) | instid1(VALU_DEP_1)
	v_add_nc_u32_e32 v5, v7, v5
	v_mov_b32_dpp v7, v5 row_shr:4 row_mask:0xf bank_mask:0xf
	v_cmp_eq_u32_e64 s14, 0, v5
	s_delay_alu instid0(VALU_DEP_2) | instskip(NEXT) | instid1(VALU_DEP_2)
	v_cndmask_b32_e32 v7, 0, v7, vcc_lo
	s_and_b32 vcc_lo, vcc_lo, s14
	s_delay_alu instid0(VALU_DEP_1)
	v_dual_cndmask_b32 v6, v6, v8 :: v_dual_add_nc_u32 v5, v7, v5
	ds_store_b64 v2, v[5:6] offset:2064
.LBB180_94:
	s_or_b32 exec_lo, exec_lo, s15
	v_cmp_gt_u32_e32 vcc_lo, 32, v0
	v_dual_mov_b32 v37, 0 :: v_dual_mov_b32 v38, 0
	s_mov_b32 s15, exec_lo
	s_waitcnt lgkmcnt(0)
	s_barrier
	buffer_gl0_inv
	v_cmpx_lt_u32_e32 31, v0
	s_cbranch_execz .LBB180_96
; %bb.95:
	ds_load_b64 v[37:38], v4 offset:2056
	v_cmp_eq_u32_e64 s14, 0, v1
	s_waitcnt lgkmcnt(0)
	v_add_nc_u32_e32 v4, v37, v1
	s_delay_alu instid0(VALU_DEP_1) | instskip(NEXT) | instid1(VALU_DEP_1)
	v_dual_add_f32 v2, v3, v38 :: v_dual_mov_b32 v1, v4
	v_cndmask_b32_e64 v3, v3, v2, s14
.LBB180_96:
	s_or_b32 exec_lo, exec_lo, s15
	v_add_nc_u32_e32 v2, -1, v70
	s_delay_alu instid0(VALU_DEP_1) | instskip(NEXT) | instid1(VALU_DEP_1)
	v_cmp_gt_i32_e64 s14, 0, v2
	v_cndmask_b32_e64 v2, v2, v70, s14
	v_cmp_eq_u32_e64 s14, 0, v70
	s_delay_alu instid0(VALU_DEP_2)
	v_lshlrev_b32_e32 v2, 2, v2
	ds_bpermute_b32 v60, v2, v1
	ds_bpermute_b32 v61, v2, v3
	s_and_saveexec_b32 s17, vcc_lo
	s_cbranch_execz .LBB180_119
; %bb.97:
	v_mov_b32_e32 v4, 0
	ds_load_b64 v[1:2], v4 offset:2120
	s_waitcnt lgkmcnt(0)
	v_readfirstlane_b32 s18, v2
	s_and_saveexec_b32 s15, s14
	s_cbranch_execz .LBB180_99
; %bb.98:
	s_add_i32 s20, s48, 32
	s_mov_b32 s21, 0
	v_mov_b32_e32 v3, 1
	s_lshl_b64 s[22:23], s[20:21], 4
	s_mov_b32 s24, s21
	s_add_u32 s22, s36, s22
	s_addc_u32 s23, s37, s23
	s_and_b32 s25, s18, 0xff000000
	s_and_b32 s39, s18, 0xff0000
	s_mov_b32 s38, s21
	v_dual_mov_b32 v5, s22 :: v_dual_mov_b32 v6, s23
	s_or_b64 s[24:25], s[38:39], s[24:25]
	s_and_b32 s39, s18, 0xff00
	s_delay_alu instid0(SALU_CYCLE_1) | instskip(SKIP_1) | instid1(SALU_CYCLE_1)
	s_or_b64 s[24:25], s[24:25], s[38:39]
	s_and_b32 s39, s18, 0xff
	s_or_b64 s[20:21], s[24:25], s[38:39]
	s_delay_alu instid0(SALU_CYCLE_1)
	v_mov_b32_e32 v2, s21
	;;#ASMSTART
	global_store_dwordx4 v[5:6], v[1:4] off	
s_waitcnt vmcnt(0)
	;;#ASMEND
.LBB180_99:
	s_or_b32 exec_lo, exec_lo, s15
	v_xad_u32 v39, v70, -1, s48
	s_mov_b32 s19, 0
	s_mov_b32 s15, exec_lo
	s_delay_alu instid0(VALU_DEP_1) | instskip(NEXT) | instid1(VALU_DEP_1)
	v_add_nc_u32_e32 v3, 32, v39
	v_lshlrev_b64 v[2:3], 4, v[3:4]
	s_delay_alu instid0(VALU_DEP_1) | instskip(NEXT) | instid1(VALU_DEP_2)
	v_add_co_u32 v2, vcc_lo, s36, v2
	v_add_co_ci_u32_e32 v3, vcc_lo, s37, v3, vcc_lo
	;;#ASMSTART
	global_load_dwordx4 v[5:8], v[2:3] off glc	
s_waitcnt vmcnt(0)
	;;#ASMEND
	v_perm_b32 v4, v6, v7, 0x70605
	v_perm_b32 v8, v6, v7, 0x1000706
	;; [unrolled: 1-line block ×3, first 2 shown]
	v_and_b32_e32 v62, 0xff, v7
	s_delay_alu instid0(VALU_DEP_4) | instskip(NEXT) | instid1(VALU_DEP_4)
	v_lshlrev_b32_e32 v4, 8, v4
	v_lshlrev_b32_e32 v8, 16, v8
	s_delay_alu instid0(VALU_DEP_4) | instskip(SKIP_1) | instid1(VALU_DEP_4)
	v_lshlrev_b32_e32 v41, 24, v40
	v_alignbit_b32 v40, v6, v5, 16
	v_perm_b32 v4, v4, v6, 0xc0c0500
	s_delay_alu instid0(VALU_DEP_4) | instskip(SKIP_2) | instid1(VALU_DEP_3)
	v_and_b32_e32 v42, 0xff0000, v8
	v_alignbit_b32 v8, v6, v5, 8
	v_alignbit_b32 v6, v6, v5, 24
	v_or3_b32 v4, v4, v42, v41
	v_cmpx_eq_u16_e32 0, v62
	s_cbranch_execz .LBB180_105
; %bb.100:
	s_mov_b32 s20, 1
	.p2align	6
.LBB180_101:                            ; =>This Loop Header: Depth=1
                                        ;     Child Loop BB180_102 Depth 2
	s_delay_alu instid0(SALU_CYCLE_1)
	s_max_u32 s21, s20, 1
.LBB180_102:                            ;   Parent Loop BB180_101 Depth=1
                                        ; =>  This Inner Loop Header: Depth=2
	s_delay_alu instid0(SALU_CYCLE_1)
	s_add_i32 s21, s21, -1
	s_sleep 1
	s_cmp_eq_u32 s21, 0
	s_cbranch_scc0 .LBB180_102
; %bb.103:                              ;   in Loop: Header=BB180_101 Depth=1
	;;#ASMSTART
	global_load_dwordx4 v[5:8], v[2:3] off glc	
s_waitcnt vmcnt(0)
	;;#ASMEND
	v_and_b32_e32 v4, 0xff, v7
	s_cmp_lt_u32 s20, 32
	s_cselect_b32 s21, -1, 0
	s_delay_alu instid0(VALU_DEP_1) | instskip(SKIP_3) | instid1(SALU_CYCLE_1)
	v_cmp_ne_u16_e32 vcc_lo, 0, v4
	s_cmp_lg_u32 s21, 0
	s_addc_u32 s20, s20, 0
	s_or_b32 s19, vcc_lo, s19
	s_and_not1_b32 exec_lo, exec_lo, s19
	s_cbranch_execnz .LBB180_101
; %bb.104:
	s_or_b32 exec_lo, exec_lo, s19
	v_perm_b32 v2, v6, v7, 0x70605
	v_perm_b32 v3, v6, v7, 0x1000706
	v_perm_b32 v4, v6, v7, 0x2010007
	v_alignbit_b32 v8, v6, v5, 8
	v_alignbit_b32 v40, v6, v5, 16
	v_lshlrev_b32_e32 v2, 8, v2
	v_lshlrev_b32_e32 v3, 16, v3
	;; [unrolled: 1-line block ×3, first 2 shown]
	s_delay_alu instid0(VALU_DEP_3) | instskip(NEXT) | instid1(VALU_DEP_3)
	v_perm_b32 v2, v2, v6, 0xc0c0500
	v_and_b32_e32 v3, 0xff0000, v3
	v_alignbit_b32 v6, v6, v5, 24
	s_delay_alu instid0(VALU_DEP_2)
	v_or3_b32 v4, v2, v3, v4
.LBB180_105:
	s_or_b32 exec_lo, exec_lo, s15
	v_cmp_ne_u32_e32 vcc_lo, 31, v70
	v_lshlrev_b32_e32 v8, 8, v8
	v_cmp_gt_u32_e64 s15, 30, v70
	v_and_b32_e32 v5, 0xff, v5
	v_lshlrev_b32_e64 v62, v70, -1
	v_add_co_ci_u32_e32 v2, vcc_lo, 0, v70, vcc_lo
	v_and_b32_e32 v8, 0xff00, v8
	v_add_nc_u32_e32 v64, 2, v70
	v_add_nc_u32_e32 v66, 4, v70
	s_delay_alu instid0(VALU_DEP_4)
	v_lshlrev_b32_e32 v2, 2, v2
	v_add_nc_u32_e32 v68, 8, v70
	v_add_nc_u32_e32 v75, 16, v70
	ds_bpermute_b32 v3, v2, v4
	s_waitcnt lgkmcnt(0)
	v_dual_add_f32 v3, v4, v3 :: v_dual_lshlrev_b32 v40, 16, v40
	s_delay_alu instid0(VALU_DEP_1) | instskip(SKIP_1) | instid1(VALU_DEP_2)
	v_perm_b32 v6, v6, v40, 0x4020c0c
	v_cndmask_b32_e64 v40, 0, 1, s15
	v_or3_b32 v5, v6, v8, v5
	s_delay_alu instid0(VALU_DEP_2) | instskip(NEXT) | instid1(VALU_DEP_1)
	v_lshlrev_b32_e32 v6, 1, v40
	v_add_lshl_u32 v63, v6, v70, 2
	ds_bpermute_b32 v6, v2, v5
	v_and_b32_e32 v41, 0xff, v7
	s_delay_alu instid0(VALU_DEP_1) | instskip(SKIP_2) | instid1(VALU_DEP_2)
	v_cmp_eq_u16_e32 vcc_lo, 2, v41
	v_and_or_b32 v41, vcc_lo, v62, 0x80000000
	v_cmp_eq_u32_e32 vcc_lo, 0, v5
	v_ctz_i32_b32_e32 v8, v41
	v_cndmask_b32_e32 v3, v4, v3, vcc_lo
	s_delay_alu instid0(VALU_DEP_2) | instskip(SKIP_1) | instid1(VALU_DEP_2)
	v_cmp_lt_u32_e32 vcc_lo, v70, v8
	s_waitcnt lgkmcnt(0)
	v_dual_cndmask_b32 v6, 0, v6 :: v_dual_cndmask_b32 v3, v4, v3
	v_cmp_gt_u32_e32 vcc_lo, 28, v70
	ds_bpermute_b32 v4, v63, v3
	v_cndmask_b32_e64 v40, 0, 1, vcc_lo
	s_waitcnt lgkmcnt(0)
	v_dual_add_f32 v4, v3, v4 :: v_dual_add_nc_u32 v5, v6, v5
	s_delay_alu instid0(VALU_DEP_2) | instskip(NEXT) | instid1(VALU_DEP_2)
	v_lshlrev_b32_e32 v6, 2, v40
	v_cmp_eq_u32_e32 vcc_lo, 0, v5
	s_delay_alu instid0(VALU_DEP_2) | instskip(NEXT) | instid1(VALU_DEP_4)
	v_add_lshl_u32 v65, v6, v70, 2
	v_cndmask_b32_e32 v4, v3, v4, vcc_lo
	ds_bpermute_b32 v40, v63, v5
	v_cmp_gt_u32_e32 vcc_lo, v64, v8
	v_cndmask_b32_e32 v3, v4, v3, vcc_lo
	ds_bpermute_b32 v4, v65, v3
	s_waitcnt lgkmcnt(1)
	v_cndmask_b32_e64 v6, v40, 0, vcc_lo
	v_cmp_gt_u32_e32 vcc_lo, 24, v70
	s_delay_alu instid0(VALU_DEP_2)
	v_add_nc_u32_e32 v5, v5, v6
	v_cndmask_b32_e64 v6, 0, 1, vcc_lo
	s_waitcnt lgkmcnt(0)
	v_add_f32_e32 v4, v3, v4
	ds_bpermute_b32 v40, v65, v5
	v_cmp_eq_u32_e32 vcc_lo, 0, v5
	v_lshlrev_b32_e32 v6, 3, v6
	v_cndmask_b32_e32 v4, v3, v4, vcc_lo
	v_cmp_gt_u32_e32 vcc_lo, v66, v8
	s_delay_alu instid0(VALU_DEP_3) | instskip(SKIP_2) | instid1(VALU_DEP_1)
	v_add_lshl_u32 v67, v6, v70, 2
	s_waitcnt lgkmcnt(0)
	v_cndmask_b32_e64 v6, v40, 0, vcc_lo
	v_add_nc_u32_e32 v5, v5, v6
	v_cndmask_b32_e32 v3, v4, v3, vcc_lo
	v_cmp_gt_u32_e32 vcc_lo, 16, v70
	ds_bpermute_b32 v6, v67, v5
	ds_bpermute_b32 v4, v67, v3
	v_cndmask_b32_e64 v40, 0, 1, vcc_lo
	v_cmp_eq_u32_e32 vcc_lo, 0, v5
	s_delay_alu instid0(VALU_DEP_2) | instskip(NEXT) | instid1(VALU_DEP_1)
	v_lshlrev_b32_e32 v40, 4, v40
	v_add_lshl_u32 v69, v40, v70, 2
	s_waitcnt lgkmcnt(0)
	v_add_f32_e32 v4, v3, v4
	s_delay_alu instid0(VALU_DEP_1) | instskip(SKIP_1) | instid1(VALU_DEP_2)
	v_cndmask_b32_e32 v4, v3, v4, vcc_lo
	v_cmp_gt_u32_e32 vcc_lo, v68, v8
	v_cndmask_b32_e32 v3, v4, v3, vcc_lo
	v_cndmask_b32_e64 v6, v6, 0, vcc_lo
	ds_bpermute_b32 v4, v69, v3
	v_add_nc_u32_e32 v5, v5, v6
	ds_bpermute_b32 v40, v69, v5
	v_cmp_eq_u32_e32 vcc_lo, 0, v5
	s_waitcnt lgkmcnt(1)
	v_add_f32_e32 v4, v3, v4
	s_delay_alu instid0(VALU_DEP_1) | instskip(SKIP_1) | instid1(VALU_DEP_2)
	v_cndmask_b32_e32 v4, v3, v4, vcc_lo
	v_cmp_gt_u32_e32 vcc_lo, v75, v8
	v_cndmask_b32_e32 v6, v4, v3, vcc_lo
	s_waitcnt lgkmcnt(0)
	v_cndmask_b32_e64 v3, v40, 0, vcc_lo
	s_delay_alu instid0(VALU_DEP_1)
	v_dual_mov_b32 v40, 0 :: v_dual_add_nc_u32 v5, v3, v5
	s_branch .LBB180_107
.LBB180_106:                            ;   in Loop: Header=BB180_107 Depth=1
	s_or_b32 exec_lo, exec_lo, s15
	ds_bpermute_b32 v41, v2, v6
	v_lshlrev_b32_e32 v42, 16, v77
	v_lshlrev_b32_e32 v8, 8, v8
	v_and_b32_e32 v5, 0xff, v5
	v_and_b32_e32 v77, 0xff, v7
	v_subrev_nc_u32_e32 v39, 32, v39
	v_perm_b32 v42, v76, v42, 0x4020c0c
	v_and_b32_e32 v8, 0xff00, v8
	s_delay_alu instid0(VALU_DEP_1)
	v_or3_b32 v5, v42, v8, v5
	ds_bpermute_b32 v42, v2, v5
	s_waitcnt lgkmcnt(1)
	v_add_f32_e32 v8, v6, v41
	v_cmp_eq_u16_e32 vcc_lo, 2, v77
	v_and_or_b32 v76, vcc_lo, v62, 0x80000000
	v_cmp_eq_u32_e32 vcc_lo, 0, v5
	s_delay_alu instid0(VALU_DEP_2) | instskip(SKIP_1) | instid1(VALU_DEP_2)
	v_ctz_i32_b32_e32 v41, v76
	v_cndmask_b32_e32 v8, v6, v8, vcc_lo
	v_cmp_lt_u32_e32 vcc_lo, v70, v41
	s_waitcnt lgkmcnt(0)
	v_cndmask_b32_e32 v42, 0, v42, vcc_lo
	s_delay_alu instid0(VALU_DEP_1)
	v_add_nc_u32_e32 v5, v42, v5
	v_cndmask_b32_e32 v6, v6, v8, vcc_lo
	ds_bpermute_b32 v42, v63, v5
	ds_bpermute_b32 v8, v63, v6
	v_cmp_eq_u32_e32 vcc_lo, 0, v5
	s_waitcnt lgkmcnt(0)
	v_add_f32_e32 v8, v6, v8
	s_delay_alu instid0(VALU_DEP_1) | instskip(SKIP_2) | instid1(VALU_DEP_1)
	v_cndmask_b32_e32 v8, v6, v8, vcc_lo
	v_cmp_gt_u32_e32 vcc_lo, v64, v41
	v_cndmask_b32_e64 v42, v42, 0, vcc_lo
	v_add_nc_u32_e32 v5, v5, v42
	s_delay_alu instid0(VALU_DEP_4) | instskip(NEXT) | instid1(VALU_DEP_2)
	v_cndmask_b32_e32 v6, v8, v6, vcc_lo
	v_cmp_eq_u32_e32 vcc_lo, 0, v5
	ds_bpermute_b32 v8, v65, v6
	ds_bpermute_b32 v42, v65, v5
	s_waitcnt lgkmcnt(1)
	v_add_f32_e32 v8, v6, v8
	s_delay_alu instid0(VALU_DEP_1) | instskip(SKIP_1) | instid1(VALU_DEP_2)
	v_cndmask_b32_e32 v8, v6, v8, vcc_lo
	v_cmp_gt_u32_e32 vcc_lo, v66, v41
	v_cndmask_b32_e32 v6, v8, v6, vcc_lo
	s_waitcnt lgkmcnt(0)
	v_cndmask_b32_e64 v42, v42, 0, vcc_lo
	ds_bpermute_b32 v8, v67, v6
	v_add_nc_u32_e32 v5, v5, v42
	ds_bpermute_b32 v42, v67, v5
	v_cmp_eq_u32_e32 vcc_lo, 0, v5
	s_waitcnt lgkmcnt(1)
	v_add_f32_e32 v8, v6, v8
	s_delay_alu instid0(VALU_DEP_1) | instskip(SKIP_1) | instid1(VALU_DEP_2)
	v_cndmask_b32_e32 v8, v6, v8, vcc_lo
	v_cmp_gt_u32_e32 vcc_lo, v68, v41
	v_cndmask_b32_e32 v6, v8, v6, vcc_lo
	s_waitcnt lgkmcnt(0)
	v_cndmask_b32_e64 v42, v42, 0, vcc_lo
	ds_bpermute_b32 v8, v69, v6
	v_add_nc_u32_e32 v5, v5, v42
	ds_bpermute_b32 v42, v69, v5
	v_cmp_eq_u32_e32 vcc_lo, 0, v5
	s_waitcnt lgkmcnt(1)
	v_add_f32_e32 v8, v6, v8
	s_delay_alu instid0(VALU_DEP_1) | instskip(SKIP_1) | instid1(VALU_DEP_2)
	v_cndmask_b32_e32 v8, v6, v8, vcc_lo
	v_cmp_gt_u32_e32 vcc_lo, v75, v41
	v_cndmask_b32_e32 v6, v8, v6, vcc_lo
	s_waitcnt lgkmcnt(0)
	v_cndmask_b32_e64 v8, v42, 0, vcc_lo
	v_cmp_eq_u32_e32 vcc_lo, 0, v3
	s_delay_alu instid0(VALU_DEP_3) | instskip(NEXT) | instid1(VALU_DEP_3)
	v_add_f32_e32 v6, v4, v6
	v_add3_u32 v5, v5, v3, v8
	s_delay_alu instid0(VALU_DEP_2)
	v_cndmask_b32_e32 v6, v4, v6, vcc_lo
.LBB180_107:                            ; =>This Loop Header: Depth=1
                                        ;     Child Loop BB180_110 Depth 2
                                        ;       Child Loop BB180_111 Depth 3
	s_delay_alu instid0(VALU_DEP_1) | instskip(NEXT) | instid1(VALU_DEP_1)
	v_dual_mov_b32 v4, v6 :: v_dual_and_b32 v3, 0xff, v7
	v_cmp_ne_u16_e32 vcc_lo, 2, v3
	v_cndmask_b32_e64 v3, 0, 1, vcc_lo
	;;#ASMSTART
	;;#ASMEND
	s_delay_alu instid0(VALU_DEP_1)
	v_cmp_ne_u32_e32 vcc_lo, 0, v3
	v_mov_b32_e32 v3, v5
	s_cmp_lg_u32 vcc_lo, exec_lo
	s_cbranch_scc1 .LBB180_114
; %bb.108:                              ;   in Loop: Header=BB180_107 Depth=1
	v_lshlrev_b64 v[5:6], 4, v[39:40]
	s_mov_b32 s15, exec_lo
	s_delay_alu instid0(VALU_DEP_1) | instskip(NEXT) | instid1(VALU_DEP_2)
	v_add_co_u32 v41, vcc_lo, s36, v5
	v_add_co_ci_u32_e32 v42, vcc_lo, s37, v6, vcc_lo
	;;#ASMSTART
	global_load_dwordx4 v[5:8], v[41:42] off glc	
s_waitcnt vmcnt(0)
	;;#ASMEND
	v_perm_b32 v8, v6, v7, 0x70605
	v_perm_b32 v76, v6, v7, 0x1000706
	v_perm_b32 v77, v6, v7, 0x2010007
	v_and_b32_e32 v81, 0xff, v7
	s_delay_alu instid0(VALU_DEP_4) | instskip(NEXT) | instid1(VALU_DEP_4)
	v_lshlrev_b32_e32 v8, 8, v8
	v_lshlrev_b32_e32 v76, 16, v76
	s_delay_alu instid0(VALU_DEP_4) | instskip(SKIP_1) | instid1(VALU_DEP_4)
	v_lshlrev_b32_e32 v78, 24, v77
	v_alignbit_b32 v77, v6, v5, 16
	v_perm_b32 v79, v8, v6, 0xc0c0500
	s_delay_alu instid0(VALU_DEP_4) | instskip(SKIP_2) | instid1(VALU_DEP_3)
	v_and_b32_e32 v80, 0xff0000, v76
	v_alignbit_b32 v8, v6, v5, 8
	v_alignbit_b32 v76, v6, v5, 24
	v_or3_b32 v6, v79, v80, v78
	v_cmpx_eq_u16_e32 0, v81
	s_cbranch_execz .LBB180_106
; %bb.109:                              ;   in Loop: Header=BB180_107 Depth=1
	s_mov_b32 s20, 1
	s_mov_b32 s19, 0
	.p2align	6
.LBB180_110:                            ;   Parent Loop BB180_107 Depth=1
                                        ; =>  This Loop Header: Depth=2
                                        ;       Child Loop BB180_111 Depth 3
	s_max_u32 s21, s20, 1
.LBB180_111:                            ;   Parent Loop BB180_107 Depth=1
                                        ;     Parent Loop BB180_110 Depth=2
                                        ; =>    This Inner Loop Header: Depth=3
	s_delay_alu instid0(SALU_CYCLE_1)
	s_add_i32 s21, s21, -1
	s_sleep 1
	s_cmp_eq_u32 s21, 0
	s_cbranch_scc0 .LBB180_111
; %bb.112:                              ;   in Loop: Header=BB180_110 Depth=2
	;;#ASMSTART
	global_load_dwordx4 v[5:8], v[41:42] off glc	
s_waitcnt vmcnt(0)
	;;#ASMEND
	v_and_b32_e32 v8, 0xff, v7
	s_cmp_lt_u32 s20, 32
	s_cselect_b32 s21, -1, 0
	s_delay_alu instid0(SALU_CYCLE_1) | instskip(NEXT) | instid1(VALU_DEP_1)
	s_cmp_lg_u32 s21, 0
	v_cmp_ne_u16_e32 vcc_lo, 0, v8
	s_addc_u32 s20, s20, 0
	s_or_b32 s19, vcc_lo, s19
	s_delay_alu instid0(SALU_CYCLE_1)
	s_and_not1_b32 exec_lo, exec_lo, s19
	s_cbranch_execnz .LBB180_110
; %bb.113:                              ;   in Loop: Header=BB180_107 Depth=1
	s_or_b32 exec_lo, exec_lo, s19
	v_perm_b32 v8, v6, v7, 0x70605
	v_perm_b32 v41, v6, v7, 0x1000706
	;; [unrolled: 1-line block ×3, first 2 shown]
	v_alignbit_b32 v77, v6, v5, 16
	v_alignbit_b32 v76, v6, v5, 24
	v_lshlrev_b32_e32 v8, 8, v8
	v_lshlrev_b32_e32 v41, 16, v41
	;; [unrolled: 1-line block ×3, first 2 shown]
	s_delay_alu instid0(VALU_DEP_3) | instskip(NEXT) | instid1(VALU_DEP_3)
	v_perm_b32 v78, v8, v6, 0xc0c0500
	v_and_b32_e32 v41, 0xff0000, v41
	v_alignbit_b32 v8, v6, v5, 8
	s_delay_alu instid0(VALU_DEP_2)
	v_or3_b32 v6, v78, v41, v42
	s_branch .LBB180_106
.LBB180_114:                            ;   in Loop: Header=BB180_107 Depth=1
                                        ; implicit-def: $vgpr6
                                        ; implicit-def: $vgpr5
                                        ; implicit-def: $vgpr7
	s_cbranch_execz .LBB180_107
; %bb.115:
	s_and_saveexec_b32 s15, s14
	s_cbranch_execz .LBB180_117
; %bb.116:
	v_dual_add_f32 v2, s18, v4 :: v_dual_add_nc_u32 v5, v3, v1
	v_cmp_eq_u32_e32 vcc_lo, 0, v1
	s_mov_b32 s21, 0
	s_add_i32 s20, s48, 32
	v_mov_b32_e32 v8, 0
	s_lshl_b64 s[20:21], s[20:21], 4
	v_cndmask_b32_e32 v2, s18, v2, vcc_lo
	s_add_u32 s20, s36, s20
	s_addc_u32 s21, s37, s21
	s_delay_alu instid0(VALU_DEP_1) | instskip(SKIP_1) | instid1(VALU_DEP_1)
	v_and_b32_e32 v6, 0xff000000, v2
	v_and_b32_e32 v7, 0xff0000, v2
	v_or_b32_e32 v6, v7, v6
	v_mov_b32_e32 v7, 2
	v_and_b32_e32 v39, 0xff00, v2
	v_and_b32_e32 v2, 0xff, v2
	s_delay_alu instid0(VALU_DEP_1)
	v_or3_b32 v6, v6, v39, v2
	v_mov_b32_e32 v2, s18
	v_dual_mov_b32 v40, s21 :: v_dual_mov_b32 v39, s20
	;;#ASMSTART
	global_store_dwordx4 v[39:40], v[5:8] off	
s_waitcnt vmcnt(0)
	;;#ASMEND
	ds_store_b128 v8, v[1:4] offset:2048
.LBB180_117:
	s_or_b32 exec_lo, exec_lo, s15
	s_delay_alu instid0(SALU_CYCLE_1)
	s_and_b32 exec_lo, exec_lo, s2
	s_cbranch_execz .LBB180_119
; %bb.118:
	v_mov_b32_e32 v1, 0
	ds_store_b64 v1, v[3:4] offset:2120
.LBB180_119:
	s_or_b32 exec_lo, exec_lo, s17
	s_waitcnt lgkmcnt(1)
	v_cndmask_b32_e64 v7, v60, v37, s14
	s_waitcnt lgkmcnt(0)
	v_cndmask_b32_e64 v2, v61, v38, s14
	s_barrier
	buffer_gl0_inv
	v_cmp_eq_u32_e32 vcc_lo, 0, v7
	v_mov_b32_e32 v1, 0
	ds_load_b64 v[5:6], v1 offset:2120
	s_waitcnt lgkmcnt(0)
	s_barrier
	buffer_gl0_inv
	v_add_f32_e32 v3, v2, v6
	s_delay_alu instid0(VALU_DEP_1) | instskip(SKIP_1) | instid1(VALU_DEP_2)
	v_cndmask_b32_e32 v2, v2, v3, vcc_lo
	v_cmp_eq_u32_e32 vcc_lo, 0, v58
	v_cndmask_b32_e64 v69, v2, v6, s2
	s_delay_alu instid0(VALU_DEP_1) | instskip(NEXT) | instid1(VALU_DEP_1)
	v_add_f32_e32 v2, v35, v69
	v_cndmask_b32_e32 v68, v35, v2, vcc_lo
	s_delay_alu instid0(VALU_DEP_1) | instskip(NEXT) | instid1(VALU_DEP_1)
	v_add_f32_e32 v2, v36, v68
	v_cndmask_b32_e64 v67, v36, v2, s13
	s_delay_alu instid0(VALU_DEP_1) | instskip(NEXT) | instid1(VALU_DEP_1)
	v_add_f32_e32 v2, v33, v67
	v_cndmask_b32_e64 v66, v33, v2, s12
	;; [unrolled: 3-line block ×10, first 2 shown]
	ds_load_b128 v[1:4], v1 offset:2048
	v_add_f32_e32 v6, v26, v39
	s_delay_alu instid0(VALU_DEP_1) | instskip(NEXT) | instid1(VALU_DEP_1)
	v_cndmask_b32_e64 v40, v26, v6, s3
	v_add_f32_e32 v6, v23, v40
	s_delay_alu instid0(VALU_DEP_1)
	v_cndmask_b32_e64 v38, v23, v6, s1
	v_cndmask_b32_e64 v6, v7, 0, s2
	s_waitcnt lgkmcnt(0)
	v_add_f32_e32 v4, v4, v2
	v_cmp_eq_u32_e32 vcc_lo, 0, v1
	v_add_f32_e32 v7, v24, v38
	v_dual_mov_b32 v5, v3 :: v_dual_add_nc_u32 v6, v5, v6
	s_delay_alu instid0(VALU_DEP_4) | instskip(NEXT) | instid1(VALU_DEP_3)
	v_cndmask_b32_e32 v37, v2, v4, vcc_lo
	v_cndmask_b32_e64 v60, v24, v7, s0
	s_delay_alu instid0(VALU_DEP_3)
	v_mov_b32_e32 v4, v6
	s_branch .LBB180_132
.LBB180_120:
                                        ; implicit-def: $vgpr1
                                        ; implicit-def: $vgpr37
                                        ; implicit-def: $vgpr5
                                        ; implicit-def: $vgpr60
                                        ; implicit-def: $vgpr38
                                        ; implicit-def: $vgpr40
                                        ; implicit-def: $vgpr39
                                        ; implicit-def: $vgpr41
                                        ; implicit-def: $vgpr42
                                        ; implicit-def: $vgpr61
                                        ; implicit-def: $vgpr62
                                        ; implicit-def: $vgpr63
                                        ; implicit-def: $vgpr64
                                        ; implicit-def: $vgpr65
                                        ; implicit-def: $vgpr66
                                        ; implicit-def: $vgpr67
                                        ; implicit-def: $vgpr68
                                        ; implicit-def: $vgpr69
	s_cbranch_execz .LBB180_132
; %bb.121:
	s_and_b32 s0, s16, exec_lo
	v_mov_b32_e32 v5, v35
	s_cselect_b32 s1, 0, s35
	s_cselect_b32 s0, 0, s34
	s_delay_alu instid0(SALU_CYCLE_1)
	s_cmp_eq_u64 s[0:1], 0
	s_cbranch_scc1 .LBB180_123
; %bb.122:
	v_mov_b32_e32 v1, 0
	global_load_b32 v5, v1, s[0:1]
.LBB180_123:
	v_cmp_eq_u32_e64 s0, 0, v57
	v_cmp_eq_u32_e64 s1, 0, v56
	v_add3_u32 v2, v73, v53, v52
	v_cmp_eq_u32_e64 s3, 0, v55
	v_cmp_eq_u32_e64 s4, 0, v54
	v_cndmask_b32_e64 v1, v36, v74, s0
	v_cmp_eq_u32_e64 s5, 0, v53
	v_add3_u32 v2, v2, v50, v49
	v_cmp_eq_u32_e64 s6, 0, v52
	v_cmp_eq_u32_e64 s7, 0, v50
	v_dual_add_f32 v1, v33, v1 :: v_dual_and_b32 v4, 15, v70
	s_delay_alu instid0(VALU_DEP_4) | instskip(SKIP_2) | instid1(VALU_DEP_4)
	v_add3_u32 v2, v2, v48, v47
	v_cmp_eq_u32_e64 s8, 0, v49
	v_cmp_eq_u32_e64 s10, 0, v48
	v_cndmask_b32_e64 v1, v33, v1, s1
	v_cmp_eq_u32_e64 s12, 0, v47
	v_add3_u32 v2, v2, v46, v45
	v_cmp_eq_u32_e64 s9, 0, v46
	v_cmp_eq_u32_e64 s11, 0, v45
	v_add_f32_e32 v1, v34, v1
	v_cmp_eq_u32_e32 vcc_lo, 0, v44
	v_add3_u32 v2, v2, v44, v51
	v_cmp_eq_u32_e64 s13, 0, v51
	v_and_b32_e32 v7, 16, v70
	v_cndmask_b32_e64 v1, v34, v1, s3
	s_delay_alu instid0(VALU_DEP_4) | instskip(NEXT) | instid1(VALU_DEP_3)
	v_mov_b32_dpp v6, v2 row_shr:1 row_mask:0xf bank_mask:0xf
	v_cmp_eq_u32_e64 s14, 0, v7
	s_delay_alu instid0(VALU_DEP_3) | instskip(NEXT) | instid1(VALU_DEP_1)
	v_add_f32_e32 v1, v31, v1
	v_cndmask_b32_e64 v1, v31, v1, s4
	s_delay_alu instid0(VALU_DEP_1) | instskip(NEXT) | instid1(VALU_DEP_1)
	v_add_f32_e32 v1, v32, v1
	v_cndmask_b32_e64 v1, v32, v1, s5
	s_delay_alu instid0(VALU_DEP_1) | instskip(NEXT) | instid1(VALU_DEP_1)
	;; [unrolled: 3-line block ×9, first 2 shown]
	v_add_f32_e32 v1, v24, v1
	v_cndmask_b32_e32 v1, v24, v1, vcc_lo
	s_delay_alu instid0(VALU_DEP_1) | instskip(NEXT) | instid1(VALU_DEP_1)
	v_add_f32_e32 v1, v59, v1
	v_cndmask_b32_e64 v1, v59, v1, s13
	v_cmp_eq_u32_e64 s13, 0, v2
	s_delay_alu instid0(VALU_DEP_2) | instskip(NEXT) | instid1(VALU_DEP_1)
	v_mov_b32_dpp v3, v1 row_shr:1 row_mask:0xf bank_mask:0xf
	v_add_f32_e32 v3, v1, v3
	s_delay_alu instid0(VALU_DEP_1) | instskip(SKIP_1) | instid1(VALU_DEP_1)
	v_cndmask_b32_e64 v3, v1, v3, s13
	v_cmp_eq_u32_e64 s13, 0, v4
	v_cndmask_b32_e64 v6, v6, 0, s13
	s_delay_alu instid0(VALU_DEP_3) | instskip(NEXT) | instid1(VALU_DEP_2)
	v_cndmask_b32_e64 v1, v3, v1, s13
	v_add_nc_u32_e32 v2, v6, v2
	s_delay_alu instid0(VALU_DEP_2) | instskip(NEXT) | instid1(VALU_DEP_2)
	v_mov_b32_dpp v3, v1 row_shr:2 row_mask:0xf bank_mask:0xf
	v_cmp_eq_u32_e64 s13, 0, v2
	s_delay_alu instid0(VALU_DEP_2) | instskip(SKIP_1) | instid1(VALU_DEP_2)
	v_add_f32_e32 v3, v1, v3
	v_mov_b32_dpp v6, v2 row_shr:2 row_mask:0xf bank_mask:0xf
	v_cndmask_b32_e64 v3, v1, v3, s13
	v_cmp_lt_u32_e64 s13, 1, v4
	s_delay_alu instid0(VALU_DEP_1) | instskip(NEXT) | instid1(VALU_DEP_4)
	v_cndmask_b32_e64 v1, v1, v3, s13
	v_cndmask_b32_e64 v3, 0, v6, s13
	s_delay_alu instid0(VALU_DEP_2) | instskip(NEXT) | instid1(VALU_DEP_1)
	v_mov_b32_dpp v6, v1 row_shr:4 row_mask:0xf bank_mask:0xf
	v_dual_add_f32 v3, v1, v6 :: v_dual_add_nc_u32 v2, v2, v3
	s_delay_alu instid0(VALU_DEP_1) | instskip(SKIP_1) | instid1(VALU_DEP_2)
	v_cmp_eq_u32_e64 s13, 0, v2
	v_mov_b32_dpp v6, v2 row_shr:4 row_mask:0xf bank_mask:0xf
	v_cndmask_b32_e64 v3, v1, v3, s13
	v_cmp_lt_u32_e64 s13, 3, v4
	s_delay_alu instid0(VALU_DEP_1) | instskip(NEXT) | instid1(VALU_DEP_4)
	v_cndmask_b32_e64 v1, v1, v3, s13
	v_cndmask_b32_e64 v3, 0, v6, s13
	s_delay_alu instid0(VALU_DEP_2) | instskip(NEXT) | instid1(VALU_DEP_2)
	v_mov_b32_dpp v6, v1 row_shr:8 row_mask:0xf bank_mask:0xf
	v_add_nc_u32_e32 v2, v3, v2
	s_delay_alu instid0(VALU_DEP_2) | instskip(NEXT) | instid1(VALU_DEP_2)
	v_add_f32_e32 v3, v1, v6
	v_cmp_eq_u32_e64 s13, 0, v2
	v_mov_b32_dpp v6, v2 row_shr:8 row_mask:0xf bank_mask:0xf
	s_delay_alu instid0(VALU_DEP_2) | instskip(SKIP_1) | instid1(VALU_DEP_1)
	v_cndmask_b32_e64 v3, v1, v3, s13
	v_cmp_lt_u32_e64 s13, 7, v4
	v_cndmask_b32_e64 v3, v1, v3, s13
	s_delay_alu instid0(VALU_DEP_4) | instskip(SKIP_1) | instid1(VALU_DEP_2)
	v_cndmask_b32_e64 v1, 0, v6, s13
	v_bfe_i32 v6, v70, 4, 1
	v_add_nc_u32_e32 v1, v1, v2
	ds_swizzle_b32 v2, v3 offset:swizzle(BROADCAST,32,15)
	ds_swizzle_b32 v4, v1 offset:swizzle(BROADCAST,32,15)
	v_cmp_eq_u32_e64 s13, 0, v1
	s_waitcnt lgkmcnt(1)
	v_add_f32_e32 v2, v3, v2
	s_waitcnt lgkmcnt(0)
	v_and_b32_e32 v4, v6, v4
	s_delay_alu instid0(VALU_DEP_2) | instskip(NEXT) | instid1(VALU_DEP_2)
	v_cndmask_b32_e64 v2, v3, v2, s13
	v_add_nc_u32_e32 v1, v4, v1
	s_delay_alu instid0(VALU_DEP_2)
	v_cndmask_b32_e64 v2, v2, v3, s14
	s_mov_b32 s14, exec_lo
	v_cmpx_eq_u32_e64 v72, v0
	s_cbranch_execz .LBB180_125
; %bb.124:
	v_lshlrev_b32_e32 v3, 3, v71
	ds_store_b64 v3, v[1:2] offset:2064
.LBB180_125:
	s_or_b32 exec_lo, exec_lo, s14
	s_delay_alu instid0(SALU_CYCLE_1)
	s_mov_b32 s15, exec_lo
	s_waitcnt vmcnt(0) lgkmcnt(0)
	s_barrier
	buffer_gl0_inv
	v_cmpx_gt_u32_e32 8, v0
	s_cbranch_execz .LBB180_127
; %bb.126:
	v_lshlrev_b32_e32 v6, 3, v0
	v_and_b32_e32 v8, 7, v70
	ds_load_b64 v[3:4], v6 offset:2064
	s_waitcnt lgkmcnt(0)
	v_mov_b32_dpp v7, v4 row_shr:1 row_mask:0xf bank_mask:0xf
	v_cmp_eq_u32_e64 s13, 0, v3
	v_mov_b32_dpp v37, v3 row_shr:1 row_mask:0xf bank_mask:0xf
	s_delay_alu instid0(VALU_DEP_3) | instskip(NEXT) | instid1(VALU_DEP_1)
	v_add_f32_e32 v7, v4, v7
	v_cndmask_b32_e64 v7, v4, v7, s13
	v_cmp_eq_u32_e64 s13, 0, v8
	s_delay_alu instid0(VALU_DEP_1) | instskip(NEXT) | instid1(VALU_DEP_3)
	v_cndmask_b32_e64 v37, v37, 0, s13
	v_cndmask_b32_e64 v4, v7, v4, s13
	s_delay_alu instid0(VALU_DEP_2) | instskip(NEXT) | instid1(VALU_DEP_2)
	v_add_nc_u32_e32 v3, v37, v3
	v_mov_b32_dpp v7, v4 row_shr:2 row_mask:0xf bank_mask:0xf
	s_delay_alu instid0(VALU_DEP_2) | instskip(NEXT) | instid1(VALU_DEP_2)
	v_cmp_eq_u32_e64 s13, 0, v3
	v_add_f32_e32 v7, v4, v7
	v_mov_b32_dpp v37, v3 row_shr:2 row_mask:0xf bank_mask:0xf
	s_delay_alu instid0(VALU_DEP_2) | instskip(SKIP_1) | instid1(VALU_DEP_1)
	v_cndmask_b32_e64 v7, v4, v7, s13
	v_cmp_lt_u32_e64 s13, 1, v8
	v_cndmask_b32_e64 v4, v4, v7, s13
	s_delay_alu instid0(VALU_DEP_4) | instskip(SKIP_1) | instid1(VALU_DEP_3)
	v_cndmask_b32_e64 v7, 0, v37, s13
	v_cmp_lt_u32_e64 s13, 3, v8
	v_mov_b32_dpp v37, v4 row_shr:4 row_mask:0xf bank_mask:0xf
	s_delay_alu instid0(VALU_DEP_1) | instskip(NEXT) | instid1(VALU_DEP_1)
	v_dual_add_f32 v8, v4, v37 :: v_dual_add_nc_u32 v3, v7, v3
	v_mov_b32_dpp v7, v3 row_shr:4 row_mask:0xf bank_mask:0xf
	v_cmp_eq_u32_e64 s14, 0, v3
	s_delay_alu instid0(VALU_DEP_2) | instskip(NEXT) | instid1(VALU_DEP_2)
	v_cndmask_b32_e64 v7, 0, v7, s13
	s_and_b32 s13, s13, s14
	s_delay_alu instid0(SALU_CYCLE_1) | instskip(NEXT) | instid1(VALU_DEP_2)
	v_cndmask_b32_e64 v4, v4, v8, s13
	v_add_nc_u32_e32 v3, v7, v3
	ds_store_b64 v6, v[3:4] offset:2064
.LBB180_127:
	s_or_b32 exec_lo, exec_lo, s15
	v_dual_mov_b32 v6, 0 :: v_dual_mov_b32 v3, 0
	v_mov_b32_e32 v7, v5
	s_mov_b32 s14, exec_lo
	s_waitcnt lgkmcnt(0)
	s_barrier
	buffer_gl0_inv
	v_cmpx_lt_u32_e32 31, v0
	s_cbranch_execz .LBB180_129
; %bb.128:
	v_lshlrev_b32_e32 v3, 3, v71
	ds_load_b64 v[3:4], v3 offset:2056
	s_waitcnt lgkmcnt(0)
	v_add_f32_e32 v7, v5, v4
	v_cmp_eq_u32_e64 s13, 0, v3
	s_delay_alu instid0(VALU_DEP_1)
	v_cndmask_b32_e64 v7, v4, v7, s13
.LBB180_129:
	s_or_b32 exec_lo, exec_lo, s14
	v_add_nc_u32_e32 v4, -1, v70
	s_delay_alu instid0(VALU_DEP_2) | instskip(NEXT) | instid1(VALU_DEP_2)
	v_dual_add_f32 v8, v2, v7 :: v_dual_add_nc_u32 v37, v3, v1
	v_cmp_gt_i32_e64 s13, 0, v4
	s_delay_alu instid0(VALU_DEP_1) | instskip(SKIP_1) | instid1(VALU_DEP_2)
	v_cndmask_b32_e64 v4, v4, v70, s13
	v_cmp_eq_u32_e64 s13, 0, v1
	v_lshlrev_b32_e32 v4, 2, v4
	s_delay_alu instid0(VALU_DEP_2)
	v_cndmask_b32_e64 v1, v2, v8, s13
	v_cmp_eq_u32_e64 s13, 0, v70
	ds_bpermute_b32 v2, v4, v37
	ds_bpermute_b32 v1, v4, v1
	s_waitcnt lgkmcnt(1)
	v_cndmask_b32_e64 v4, v2, v3, s13
	s_waitcnt lgkmcnt(0)
	v_cndmask_b32_e64 v69, v1, v7, s13
	v_cmp_eq_u32_e64 s13, 0, v58
	s_delay_alu instid0(VALU_DEP_2) | instskip(NEXT) | instid1(VALU_DEP_1)
	v_cndmask_b32_e64 v1, v69, v5, s2
	v_add_f32_e32 v1, v35, v1
	s_delay_alu instid0(VALU_DEP_1) | instskip(NEXT) | instid1(VALU_DEP_1)
	v_cndmask_b32_e64 v68, v35, v1, s13
	v_add_f32_e32 v1, v36, v68
	s_delay_alu instid0(VALU_DEP_1) | instskip(NEXT) | instid1(VALU_DEP_1)
	;; [unrolled: 3-line block ×10, first 2 shown]
	v_cndmask_b32_e64 v41, v28, v1, s10
	v_add_f32_e32 v1, v25, v41
	s_delay_alu instid0(VALU_DEP_1) | instskip(SKIP_2) | instid1(VALU_DEP_1)
	v_cndmask_b32_e64 v39, v25, v1, s12
	ds_load_b64 v[1:2], v6 offset:2120
	v_add_f32_e32 v3, v26, v39
	v_cndmask_b32_e64 v40, v26, v3, s9
	s_delay_alu instid0(VALU_DEP_1) | instskip(NEXT) | instid1(VALU_DEP_1)
	v_add_f32_e32 v3, v23, v40
	v_cndmask_b32_e64 v38, v23, v3, s11
	s_waitcnt lgkmcnt(0)
	v_add_f32_e32 v3, v5, v2
	v_cmp_eq_u32_e64 s0, 0, v1
	s_delay_alu instid0(VALU_DEP_3) | instskip(NEXT) | instid1(VALU_DEP_2)
	v_add_f32_e32 v6, v24, v38
	v_cndmask_b32_e64 v37, v2, v3, s0
	s_and_saveexec_b32 s0, s2
	s_cbranch_execz .LBB180_131
; %bb.130:
	s_delay_alu instid0(VALU_DEP_1)
	v_and_b32_e32 v2, 0xff000000, v37
	v_dual_mov_b32 v4, 0 :: v_dual_and_b32 v3, 0xff0000, v37
	s_add_u32 s4, s36, 0x200
	v_and_b32_e32 v7, 0xff00, v37
	s_addc_u32 s5, s37, 0
	v_and_b32_e32 v8, 0xff, v37
	v_or_b32_e32 v2, v3, v2
	v_mov_b32_e32 v3, 2
	v_mov_b32_e32 v69, v5
	s_delay_alu instid0(VALU_DEP_3)
	v_or3_b32 v2, v2, v7, v8
	v_dual_mov_b32 v8, s5 :: v_dual_mov_b32 v7, s4
	;;#ASMSTART
	global_store_dwordx4 v[7:8], v[1:4] off	
s_waitcnt vmcnt(0)
	;;#ASMEND
.LBB180_131:
	s_or_b32 exec_lo, exec_lo, s0
	v_dual_cndmask_b32 v60, v24, v6 :: v_dual_mov_b32 v5, 0
.LBB180_132:
	v_mov_b32_e32 v7, 0
	s_and_b32 s0, s16, exec_lo
	v_mov_b32_e32 v8, 0
	s_cselect_b32 s1, 0, s47
	s_cselect_b32 s0, 0, s46
	s_delay_alu instid0(SALU_CYCLE_1)
	s_cmp_eq_u64 s[0:1], 0
	s_barrier
	buffer_gl0_inv
	s_cbranch_scc1 .LBB180_134
; %bb.133:
	v_mov_b32_e32 v2, 0
	global_load_b64 v[7:8], v2, s[0:1]
.LBB180_134:
	v_cmp_eq_u32_e32 vcc_lo, 0, v58
	v_add_nc_u32_e32 v35, v4, v58
	v_cmp_ne_u32_e64 s13, 0, v58
	v_cmp_ne_u32_e64 s12, 0, v57
	;; [unrolled: 1-line block ×3, first 2 shown]
	v_cndmask_b32_e64 v2, 1, 2, vcc_lo
	v_cmp_eq_u32_e32 vcc_lo, 0, v57
	v_cmp_ne_u32_e64 s9, 0, v55
	v_cmp_ne_u32_e64 s15, 0, v54
	v_cmp_ne_u32_e64 s14, 0, v53
	v_cmp_ne_u32_e64 s11, 0, v52
	v_cndmask_b32_e64 v3, 1, 2, vcc_lo
	v_cmp_eq_u32_e32 vcc_lo, 0, v56
	v_cmp_ne_u32_e64 s8, 0, v50
	v_cmp_ne_u32_e64 s7, 0, v49
	;; [unrolled: 1-line block ×3, first 2 shown]
	v_and_b32_e32 v2, v3, v2
	v_cndmask_b32_e64 v6, 1, 2, vcc_lo
	v_cmp_eq_u32_e32 vcc_lo, 0, v55
	v_cmp_ne_u32_e64 s5, 0, v47
	v_cmp_ne_u32_e64 s4, 0, v46
	;; [unrolled: 1-line block ×3, first 2 shown]
	v_and_b32_e32 v6, v2, v6
	v_cndmask_b32_e64 v23, 1, 2, vcc_lo
	v_cmp_eq_u32_e32 vcc_lo, 0, v54
	s_waitcnt vmcnt(0)
	v_lshlrev_b64 v[2:3], 2, v[7:8]
	v_cmp_ne_u32_e64 s1, 0, v44
	v_cmp_ne_u32_e64 s0, 0, v51
	v_dual_mov_b32 v6, 0 :: v_dual_and_b32 v23, v6, v23
	v_cndmask_b32_e64 v24, 1, 2, vcc_lo
	v_cmp_eq_u32_e32 vcc_lo, 0, v53
	v_add_nc_u32_e32 v59, v35, v57
	s_mov_b32 s17, -1
	s_delay_alu instid0(VALU_DEP_3) | instskip(SKIP_3) | instid1(VALU_DEP_3)
	v_and_b32_e32 v23, v23, v24
	v_cndmask_b32_e64 v25, 1, 2, vcc_lo
	v_cmp_eq_u32_e32 vcc_lo, 0, v52
	v_add_nc_u32_e32 v36, v59, v56
	v_and_b32_e32 v23, v23, v25
	v_cndmask_b32_e64 v24, 1, 2, vcc_lo
	v_cmp_eq_u32_e32 vcc_lo, 0, v50
	s_delay_alu instid0(VALU_DEP_4) | instskip(NEXT) | instid1(VALU_DEP_3)
	v_add_nc_u32_e32 v34, v36, v55
	v_and_b32_e32 v23, v23, v24
	v_cndmask_b32_e64 v25, 1, 2, vcc_lo
	v_cmp_eq_u32_e32 vcc_lo, 0, v49
	s_delay_alu instid0(VALU_DEP_4) | instskip(NEXT) | instid1(VALU_DEP_3)
	;; [unrolled: 5-line block ×4, first 2 shown]
	v_add_nc_u32_e32 v31, v32, v52
	v_and_b32_e32 v25, v23, v25
	v_cndmask_b32_e64 v26, 1, 2, vcc_lo
	v_cmp_eq_u32_e32 vcc_lo, 0, v46
	s_delay_alu instid0(VALU_DEP_4) | instskip(SKIP_1) | instid1(VALU_DEP_4)
	v_add_nc_u32_e32 v30, v31, v50
	v_lshlrev_b64 v[23:24], 2, v[5:6]
	v_and_b32_e32 v6, v25, v26
	v_cndmask_b32_e64 v70, 1, 2, vcc_lo
	v_cmp_eq_u32_e32 vcc_lo, 0, v45
	v_add_nc_u32_e32 v29, v30, v49
	s_delay_alu instid0(VALU_DEP_3) | instskip(SKIP_4) | instid1(VALU_DEP_3)
	v_and_b32_e32 v74, v6, v70
	v_cndmask_b32_e64 v72, 1, 2, vcc_lo
	v_add_co_u32 v71, vcc_lo, s26, v2
	v_add_co_ci_u32_e32 v73, vcc_lo, s27, v3, vcc_lo
	v_add_nc_u32_e32 v28, v29, v48
	v_add_co_u32 v70, vcc_lo, v71, v23
	s_delay_alu instid0(VALU_DEP_3) | instskip(SKIP_1) | instid1(VALU_DEP_4)
	v_add_co_ci_u32_e32 v71, vcc_lo, v73, v24, vcc_lo
	v_cmp_eq_u32_e32 vcc_lo, 0, v44
	v_add_nc_u32_e32 v27, v28, v47
	v_and_b32_e32 v72, v74, v72
	v_cndmask_b32_e64 v73, 1, 2, vcc_lo
	v_cmp_eq_u32_e32 vcc_lo, 0, v51
	s_delay_alu instid0(VALU_DEP_4) | instskip(NEXT) | instid1(VALU_DEP_3)
	v_add_nc_u32_e32 v26, v27, v46
	v_and_b32_e32 v72, v72, v73
	v_cndmask_b32_e64 v73, 1, 2, vcc_lo
	s_delay_alu instid0(VALU_DEP_3) | instskip(SKIP_1) | instid1(VALU_DEP_3)
	v_add_nc_u32_e32 v25, v26, v45
	v_cmp_gt_u32_e32 vcc_lo, 0x100, v1
	v_and_b32_e32 v72, v72, v73
	s_delay_alu instid0(VALU_DEP_3) | instskip(NEXT) | instid1(VALU_DEP_2)
	v_add_nc_u32_e32 v6, v25, v44
	v_cmp_gt_i16_e64 s16, 2, v72
	s_cbranch_vccz .LBB180_141
; %bb.135:
	s_delay_alu instid0(VALU_DEP_1)
	s_and_saveexec_b32 s17, s16
	s_cbranch_execz .LBB180_140
; %bb.136:
	s_mov_b32 s18, 0
	s_mov_b32 s16, exec_lo
	v_cmpx_ne_u16_e32 1, v72
	s_xor_b32 s16, exec_lo, s16
	s_cbranch_execnz .LBB180_173
; %bb.137:
	s_and_not1_saveexec_b32 s16, s16
	s_cbranch_execnz .LBB180_189
.LBB180_138:
	s_or_b32 exec_lo, exec_lo, s16
	s_delay_alu instid0(SALU_CYCLE_1)
	s_and_b32 exec_lo, exec_lo, s18
	s_cbranch_execz .LBB180_140
.LBB180_139:
	v_sub_nc_u32_e32 v73, v6, v5
	v_mov_b32_e32 v74, 0
	s_delay_alu instid0(VALU_DEP_1) | instskip(NEXT) | instid1(VALU_DEP_1)
	v_lshlrev_b64 v[73:74], 2, v[73:74]
	v_add_co_u32 v73, vcc_lo, v70, v73
	s_delay_alu instid0(VALU_DEP_2)
	v_add_co_ci_u32_e32 v74, vcc_lo, v71, v74, vcc_lo
	global_store_b32 v[73:74], v43, off
.LBB180_140:
	s_or_b32 exec_lo, exec_lo, s17
	s_mov_b32 s17, 0
.LBB180_141:
	s_delay_alu instid0(SALU_CYCLE_1)
	s_and_b32 vcc_lo, exec_lo, s17
	s_cbranch_vccz .LBB180_151
; %bb.142:
	s_mov_b32 s16, exec_lo
	v_cmpx_gt_i16_e32 2, v72
	s_cbranch_execz .LBB180_147
; %bb.143:
	s_mov_b32 s18, 0
	s_mov_b32 s17, exec_lo
	v_cmpx_ne_u16_e32 1, v72
	s_xor_b32 s17, exec_lo, s17
	s_cbranch_execnz .LBB180_190
; %bb.144:
	s_and_not1_saveexec_b32 s0, s17
	s_cbranch_execnz .LBB180_206
.LBB180_145:
	s_or_b32 exec_lo, exec_lo, s0
	s_delay_alu instid0(SALU_CYCLE_1)
	s_and_b32 exec_lo, exec_lo, s18
	s_cbranch_execz .LBB180_147
.LBB180_146:
	v_sub_nc_u32_e32 v9, v6, v5
	s_delay_alu instid0(VALU_DEP_1)
	v_lshlrev_b32_e32 v9, 2, v9
	ds_store_b32 v9, v43
.LBB180_147:
	s_or_b32 exec_lo, exec_lo, s16
	s_delay_alu instid0(SALU_CYCLE_1)
	s_mov_b32 s1, exec_lo
	s_waitcnt lgkmcnt(0)
	s_waitcnt_vscnt null, 0x0
	s_barrier
	buffer_gl0_inv
	v_cmpx_lt_u32_e64 v0, v1
	s_cbranch_execz .LBB180_150
; %bb.148:
	v_dual_mov_b32 v10, 0 :: v_dual_lshlrev_b32 v11, 2, v0
	v_mov_b32_e32 v9, v0
	s_mov_b32 s3, 0
	.p2align	6
.LBB180_149:                            ; =>This Inner Loop Header: Depth=1
	ds_load_b32 v14, v11
	v_lshlrev_b64 v[12:13], 2, v[9:10]
	v_add_nc_u32_e32 v9, 0x100, v9
	v_add_nc_u32_e32 v11, 0x400, v11
	s_delay_alu instid0(VALU_DEP_2) | instskip(NEXT) | instid1(VALU_DEP_4)
	v_cmp_ge_u32_e32 vcc_lo, v9, v1
	v_add_co_u32 v12, s0, v70, v12
	s_delay_alu instid0(VALU_DEP_1)
	v_add_co_ci_u32_e64 v13, s0, v71, v13, s0
	s_or_b32 s3, vcc_lo, s3
	s_waitcnt lgkmcnt(0)
	global_store_b32 v[12:13], v14, off
	s_and_not1_b32 exec_lo, exec_lo, s3
	s_cbranch_execnz .LBB180_149
.LBB180_150:
	s_or_b32 exec_lo, exec_lo, s1
.LBB180_151:
	s_cmpk_lg_i32 s40, 0xf00
	v_cndmask_b32_e64 v14, 0, 1, s41
	s_cselect_b32 s0, -1, 0
	v_mad_i32_i24 v11, v0, -15, s40
	s_and_b32 s0, s0, s33
	s_and_b32 s1, s2, s41
	v_cndmask_b32_e64 v10, 0, 1, s0
	s_mul_hi_u32 s0, s40, 0x88888889
	v_sub_nc_u32_e32 v9, v1, v14
	s_lshr_b32 s0, s0, 3
	v_cndmask_b32_e64 v12, v58, 0, s1
	v_cmp_eq_u32_e32 vcc_lo, s0, v0
	v_cmp_ne_u32_e64 s0, 0, v11
	s_mov_b32 s16, -1
	s_waitcnt_vscnt null, 0x0
	s_barrier
	s_and_b32 vcc_lo, vcc_lo, s33
	v_add_nc_u32_e32 v9, v9, v10
	v_cndmask_b32_e64 v10, 1, v12, s0
	v_cmp_ne_u32_e64 s0, 1, v11
	buffer_gl0_inv
	v_cndmask_b32_e32 v18, v12, v10, vcc_lo
	v_cndmask_b32_e64 v13, 1, v57, s0
	v_cmp_ne_u32_e64 s0, 14, v11
	s_delay_alu instid0(VALU_DEP_3) | instskip(NEXT) | instid1(VALU_DEP_3)
	v_cmp_ne_u32_e64 s14, 0, v18
	v_cndmask_b32_e32 v19, v57, v13, vcc_lo
	s_delay_alu instid0(VALU_DEP_3) | instskip(SKIP_1) | instid1(VALU_DEP_2)
	v_cndmask_b32_e64 v15, 1, v51, s0
	v_cmp_ne_u32_e64 s0, 2, v11
	v_cndmask_b32_e32 v15, v51, v15, vcc_lo
	s_delay_alu instid0(VALU_DEP_2) | instskip(SKIP_1) | instid1(VALU_DEP_2)
	v_cndmask_b32_e64 v16, 1, v56, s0
	v_cmp_ne_u32_e64 s0, 3, v11
	v_cndmask_b32_e32 v16, v56, v16, vcc_lo
	s_delay_alu instid0(VALU_DEP_2) | instskip(SKIP_1) | instid1(VALU_DEP_3)
	v_cndmask_b32_e64 v17, 1, v55, s0
	v_cmp_ne_u32_e64 s0, 4, v11
	v_cmp_ne_u32_e64 s12, 0, v16
	s_delay_alu instid0(VALU_DEP_2) | instskip(SKIP_1) | instid1(VALU_DEP_1)
	v_cndmask_b32_e64 v10, 1, v54, s0
	v_cmp_ne_u32_e64 s0, 5, v11
	v_cndmask_b32_e64 v12, 1, v53, s0
	v_cmp_eq_u32_e64 s0, 0, v18
	s_delay_alu instid0(VALU_DEP_2) | instskip(NEXT) | instid1(VALU_DEP_2)
	v_cndmask_b32_e32 v53, v53, v12, vcc_lo
	v_cndmask_b32_e64 v13, 1, 2, s0
	v_cmp_eq_u32_e64 s0, 0, v19
	s_delay_alu instid0(VALU_DEP_1) | instskip(SKIP_1) | instid1(VALU_DEP_2)
	v_cndmask_b32_e64 v20, 1, 2, s0
	v_cmp_ne_u32_e64 s0, 6, v11
	v_and_b32_e32 v13, v20, v13
	s_delay_alu instid0(VALU_DEP_2) | instskip(SKIP_1) | instid1(VALU_DEP_1)
	v_cndmask_b32_e64 v21, 1, v52, s0
	v_cmp_eq_u32_e64 s0, 0, v16
	v_cndmask_b32_e64 v20, 1, 2, s0
	v_cmp_ne_u32_e64 s0, 7, v11
	s_delay_alu instid0(VALU_DEP_2) | instskip(SKIP_1) | instid1(VALU_DEP_3)
	v_and_b32_e32 v13, v13, v20
	v_cndmask_b32_e32 v17, v55, v17, vcc_lo
	v_cndmask_b32_e64 v22, 1, v50, s0
	v_cmp_ne_u32_e64 s0, 8, v11
	s_delay_alu instid0(VALU_DEP_2) | instskip(NEXT) | instid1(VALU_DEP_2)
	v_cndmask_b32_e32 v22, v50, v22, vcc_lo
	v_cndmask_b32_e64 v43, 1, v49, s0
	v_cmp_eq_u32_e64 s0, 0, v17
	v_cmp_ne_u32_e64 s13, 0, v19
	s_delay_alu instid0(VALU_DEP_4) | instskip(NEXT) | instid1(VALU_DEP_4)
	v_cmp_ne_u32_e64 s7, 0, v22
	v_cndmask_b32_e32 v43, v49, v43, vcc_lo
	s_delay_alu instid0(VALU_DEP_4) | instskip(SKIP_1) | instid1(VALU_DEP_3)
	v_cndmask_b32_e64 v20, 1, 2, s0
	v_cmp_ne_u32_e64 s0, 9, v11
	v_cmp_ne_u32_e64 s6, 0, v43
	s_delay_alu instid0(VALU_DEP_3) | instskip(NEXT) | instid1(VALU_DEP_3)
	v_dual_cndmask_b32 v51, v54, v10 :: v_dual_and_b32 v12, v13, v20
	v_cndmask_b32_e64 v10, 1, v48, s0
	v_cmp_ne_u32_e64 s11, 0, v17
	s_delay_alu instid0(VALU_DEP_3) | instskip(NEXT) | instid1(VALU_DEP_1)
	v_cmp_eq_u32_e64 s0, 0, v51
	v_cndmask_b32_e64 v13, 1, 2, s0
	v_cmp_ne_u32_e64 s0, 10, v11
	s_delay_alu instid0(VALU_DEP_2) | instskip(NEXT) | instid1(VALU_DEP_2)
	v_and_b32_e32 v12, v12, v13
	v_cndmask_b32_e64 v20, 1, v47, s0
	v_cmp_ne_u32_e64 s0, 12, v11
	v_cndmask_b32_e32 v21, v52, v21, vcc_lo
	v_cmp_ne_u32_e64 s10, 0, v51
	s_delay_alu instid0(VALU_DEP_4) | instskip(NEXT) | instid1(VALU_DEP_4)
	v_cndmask_b32_e32 v20, v47, v20, vcc_lo
	v_cndmask_b32_e64 v54, 1, v45, s0
	v_cmp_eq_u32_e64 s0, 0, v53
	v_cndmask_b32_e32 v47, v48, v10, vcc_lo
	v_cmp_ne_u32_e64 s8, 0, v21
	v_cmp_ne_u32_e64 s4, 0, v20
	v_cndmask_b32_e32 v45, v45, v54, vcc_lo
	v_cndmask_b32_e64 v13, 1, 2, s0
	v_cmp_ne_u32_e64 s0, 13, v11
	s_delay_alu instid0(VALU_DEP_3) | instskip(NEXT) | instid1(VALU_DEP_3)
	v_cmp_ne_u32_e64 s2, 0, v45
	v_and_b32_e32 v12, v12, v13
	s_delay_alu instid0(VALU_DEP_3) | instskip(SKIP_2) | instid1(VALU_DEP_3)
	v_cndmask_b32_e64 v52, 1, v44, s0
	v_cmp_eq_u32_e64 s0, 0, v21
	v_cmp_ne_u32_e64 s9, 0, v53
	v_cndmask_b32_e32 v44, v44, v52, vcc_lo
	s_delay_alu instid0(VALU_DEP_3) | instskip(SKIP_1) | instid1(VALU_DEP_3)
	v_cndmask_b32_e64 v13, 1, 2, s0
	v_cmp_ne_u32_e64 s0, 11, v11
	v_cmp_ne_u32_e64 s1, 0, v44
	s_delay_alu instid0(VALU_DEP_3) | instskip(NEXT) | instid1(VALU_DEP_3)
	v_and_b32_e32 v12, v12, v13
	v_cndmask_b32_e64 v11, 1, v46, s0
	v_cmp_eq_u32_e64 s0, 0, v22
	s_delay_alu instid0(VALU_DEP_2) | instskip(NEXT) | instid1(VALU_DEP_2)
	v_cndmask_b32_e32 v46, v46, v11, vcc_lo
	v_cndmask_b32_e64 v13, 1, 2, s0
	v_cmp_eq_u32_e32 vcc_lo, 0, v43
	v_cmp_ne_u32_e64 s0, 0, v15
	s_delay_alu instid0(VALU_DEP_4) | instskip(NEXT) | instid1(VALU_DEP_4)
	v_cmp_ne_u32_e64 s3, 0, v46
	v_and_b32_e32 v10, v12, v13
	v_cndmask_b32_e64 v11, 1, 2, vcc_lo
	v_add_co_u32 v2, vcc_lo, s28, v2
	v_add_co_ci_u32_e32 v3, vcc_lo, s29, v3, vcc_lo
	s_delay_alu instid0(VALU_DEP_3)
	v_and_b32_e32 v12, v10, v11
	v_cmp_eq_u32_e32 vcc_lo, 0, v47
	v_cmp_ne_u32_e64 s5, 0, v47
	v_cndmask_b32_e64 v13, 1, 2, vcc_lo
	v_add_co_u32 v10, vcc_lo, v2, v23
	v_add_co_ci_u32_e32 v11, vcc_lo, v3, v24, vcc_lo
	v_lshlrev_b32_e32 v2, 2, v14
	v_cmp_eq_u32_e32 vcc_lo, 0, v20
	v_and_b32_e32 v3, v12, v13
	v_cndmask_b32_e64 v12, 1, 2, vcc_lo
	s_delay_alu instid0(VALU_DEP_4) | instskip(SKIP_2) | instid1(VALU_DEP_4)
	v_add_co_u32 v2, vcc_lo, v2, v10
	v_add_co_ci_u32_e32 v13, vcc_lo, 0, v11, vcc_lo
	v_cmp_eq_u32_e32 vcc_lo, 0, v46
	v_and_b32_e32 v3, v3, v12
	v_cndmask_b32_e64 v23, 1, 2, vcc_lo
	v_add_co_u32 v12, vcc_lo, v2, -4
	v_add_co_ci_u32_e32 v13, vcc_lo, -1, v13, vcc_lo
	v_cmp_eq_u32_e32 vcc_lo, 0, v45
	v_add_nc_u32_e32 v2, v5, v14
	v_and_b32_e32 v3, v3, v23
	v_cndmask_b32_e64 v14, 1, 2, vcc_lo
	v_cmp_eq_u32_e32 vcc_lo, 0, v44
	s_delay_alu instid0(VALU_DEP_2) | instskip(SKIP_2) | instid1(VALU_DEP_2)
	v_and_b32_e32 v3, v3, v14
	v_cndmask_b32_e64 v14, 1, 2, vcc_lo
	v_cmp_eq_u32_e32 vcc_lo, 0, v15
	v_and_b32_e32 v3, v3, v14
	v_cndmask_b32_e64 v14, 1, 2, vcc_lo
	v_cmp_gt_u32_e32 vcc_lo, 0x100, v9
	s_delay_alu instid0(VALU_DEP_2) | instskip(NEXT) | instid1(VALU_DEP_1)
	v_and_b32_e32 v3, v3, v14
	v_cmp_gt_i16_e64 s15, 2, v3
	s_cbranch_vccnz .LBB180_155
; %bb.152:
	s_and_b32 vcc_lo, exec_lo, s16
	s_cbranch_vccnz .LBB180_161
.LBB180_153:
	v_cmp_eq_u32_e32 vcc_lo, 0xff, v0
	s_and_b32 s0, vcc_lo, s33
	s_delay_alu instid0(SALU_CYCLE_1)
	s_and_saveexec_b32 s1, s0
	s_cbranch_execnz .LBB180_170
.LBB180_154:
	s_nop 0
	s_sendmsg sendmsg(MSG_DEALLOC_VGPRS)
	s_endpgm
.LBB180_155:
	s_delay_alu instid0(VALU_DEP_1)
	s_and_saveexec_b32 s16, s15
	s_cbranch_execz .LBB180_160
; %bb.156:
	s_mov_b32 s17, 0
	s_mov_b32 s15, exec_lo
	v_cmpx_ne_u16_e32 1, v3
	s_xor_b32 s15, exec_lo, s15
	s_cbranch_execnz .LBB180_207
; %bb.157:
	s_and_not1_saveexec_b32 s15, s15
	s_cbranch_execnz .LBB180_223
.LBB180_158:
	s_or_b32 exec_lo, exec_lo, s15
	s_delay_alu instid0(SALU_CYCLE_1)
	s_and_b32 exec_lo, exec_lo, s17
	s_cbranch_execz .LBB180_160
.LBB180_159:
	v_sub_nc_u32_e32 v14, v6, v2
	v_mov_b32_e32 v15, 0
	s_delay_alu instid0(VALU_DEP_1) | instskip(NEXT) | instid1(VALU_DEP_1)
	v_lshlrev_b64 v[14:15], 2, v[14:15]
	v_add_co_u32 v14, vcc_lo, v12, v14
	s_delay_alu instid0(VALU_DEP_2)
	v_add_co_ci_u32_e32 v15, vcc_lo, v13, v15, vcc_lo
	global_store_b32 v[14:15], v60, off
.LBB180_160:
	s_or_b32 exec_lo, exec_lo, s16
	s_branch .LBB180_153
.LBB180_161:
	s_mov_b32 s15, exec_lo
	v_cmpx_gt_i16_e32 2, v3
	s_cbranch_execz .LBB180_166
; %bb.162:
	s_mov_b32 s17, 0
	s_mov_b32 s16, exec_lo
	v_cmpx_ne_u16_e32 1, v3
	s_xor_b32 s16, exec_lo, s16
	s_cbranch_execnz .LBB180_224
; %bb.163:
	s_and_not1_saveexec_b32 s0, s16
	s_cbranch_execnz .LBB180_240
.LBB180_164:
	s_or_b32 exec_lo, exec_lo, s0
	s_delay_alu instid0(SALU_CYCLE_1)
	s_and_b32 exec_lo, exec_lo, s17
	s_cbranch_execz .LBB180_166
.LBB180_165:
	v_sub_nc_u32_e32 v2, v6, v2
	s_delay_alu instid0(VALU_DEP_1)
	v_lshlrev_b32_e32 v2, 2, v2
	ds_store_b32 v2, v60
.LBB180_166:
	s_or_b32 exec_lo, exec_lo, s15
	s_delay_alu instid0(SALU_CYCLE_1)
	s_mov_b32 s1, exec_lo
	s_waitcnt lgkmcnt(0)
	s_waitcnt_vscnt null, 0x0
	s_barrier
	buffer_gl0_inv
	v_cmpx_lt_u32_e64 v0, v9
	s_cbranch_execz .LBB180_169
; %bb.167:
	v_dual_mov_b32 v3, 0 :: v_dual_lshlrev_b32 v4, 2, v0
	v_mov_b32_e32 v2, v0
	s_mov_b32 s2, 0
	.p2align	6
.LBB180_168:                            ; =>This Inner Loop Header: Depth=1
	ds_load_b32 v6, v4
	v_lshlrev_b64 v[14:15], 2, v[2:3]
	v_add_nc_u32_e32 v2, 0x100, v2
	v_add_nc_u32_e32 v4, 0x400, v4
	s_delay_alu instid0(VALU_DEP_2) | instskip(NEXT) | instid1(VALU_DEP_4)
	v_cmp_ge_u32_e32 vcc_lo, v2, v9
	v_add_co_u32 v14, s0, v12, v14
	s_delay_alu instid0(VALU_DEP_1)
	v_add_co_ci_u32_e64 v15, s0, v13, v15, s0
	s_or_b32 s2, vcc_lo, s2
	s_waitcnt lgkmcnt(0)
	global_store_b32 v[14:15], v6, off
	s_and_not1_b32 exec_lo, exec_lo, s2
	s_cbranch_execnz .LBB180_168
.LBB180_169:
	s_or_b32 exec_lo, exec_lo, s1
	v_cmp_eq_u32_e32 vcc_lo, 0xff, v0
	s_and_b32 s0, vcc_lo, s33
	s_delay_alu instid0(SALU_CYCLE_1)
	s_and_saveexec_b32 s1, s0
	s_cbranch_execz .LBB180_154
.LBB180_170:
	v_add_co_u32 v0, s0, v1, v5
	s_delay_alu instid0(VALU_DEP_1) | instskip(SKIP_1) | instid1(VALU_DEP_3)
	v_add_co_ci_u32_e64 v4, null, 0, 0, s0
	v_mov_b32_e32 v2, 0
	v_add_co_u32 v3, vcc_lo, v0, v7
	s_delay_alu instid0(VALU_DEP_3)
	v_add_co_ci_u32_e32 v4, vcc_lo, v4, v8, vcc_lo
	s_cmpk_lg_i32 s40, 0xf00
	global_store_b64 v2, v[3:4], s[30:31]
	s_cbranch_scc1 .LBB180_154
; %bb.171:
	v_lshlrev_b64 v[0:1], 2, v[1:2]
	s_delay_alu instid0(VALU_DEP_1) | instskip(NEXT) | instid1(VALU_DEP_2)
	v_add_co_u32 v0, vcc_lo, v10, v0
	v_add_co_ci_u32_e32 v1, vcc_lo, v11, v1, vcc_lo
	global_store_b32 v[0:1], v37, off offset:-4
	s_nop 0
	s_sendmsg sendmsg(MSG_DEALLOC_VGPRS)
	s_endpgm
.LBB180_172:
	s_or_b32 exec_lo, exec_lo, s4
	v_mov_b32_e32 v58, s1
	s_and_saveexec_b32 s1, s42
	s_cbranch_execnz .LBB180_88
	s_branch .LBB180_89
.LBB180_173:
	s_and_saveexec_b32 s18, s13
	s_cbranch_execnz .LBB180_241
; %bb.174:
	s_or_b32 exec_lo, exec_lo, s18
	s_and_saveexec_b32 s18, s12
	s_cbranch_execnz .LBB180_242
.LBB180_175:
	s_or_b32 exec_lo, exec_lo, s18
	s_and_saveexec_b32 s18, s10
	s_cbranch_execnz .LBB180_243
.LBB180_176:
	s_or_b32 exec_lo, exec_lo, s18
	s_and_saveexec_b32 s18, s9
	s_cbranch_execnz .LBB180_244
.LBB180_177:
	s_or_b32 exec_lo, exec_lo, s18
	s_and_saveexec_b32 s18, s15
	s_cbranch_execnz .LBB180_245
.LBB180_178:
	s_or_b32 exec_lo, exec_lo, s18
	s_and_saveexec_b32 s18, s14
	s_cbranch_execnz .LBB180_246
.LBB180_179:
	s_or_b32 exec_lo, exec_lo, s18
	s_and_saveexec_b32 s18, s11
	s_cbranch_execnz .LBB180_247
.LBB180_180:
	s_or_b32 exec_lo, exec_lo, s18
	s_and_saveexec_b32 s18, s8
	s_cbranch_execnz .LBB180_248
.LBB180_181:
	s_or_b32 exec_lo, exec_lo, s18
	s_and_saveexec_b32 s18, s7
	s_cbranch_execnz .LBB180_249
.LBB180_182:
	s_or_b32 exec_lo, exec_lo, s18
	s_and_saveexec_b32 s18, s6
	s_cbranch_execnz .LBB180_250
.LBB180_183:
	s_or_b32 exec_lo, exec_lo, s18
	s_and_saveexec_b32 s18, s5
	s_cbranch_execnz .LBB180_251
.LBB180_184:
	s_or_b32 exec_lo, exec_lo, s18
	s_and_saveexec_b32 s18, s4
	s_cbranch_execnz .LBB180_252
.LBB180_185:
	s_or_b32 exec_lo, exec_lo, s18
	s_and_saveexec_b32 s18, s3
	s_cbranch_execnz .LBB180_253
.LBB180_186:
	s_or_b32 exec_lo, exec_lo, s18
	s_and_saveexec_b32 s18, s1
	s_cbranch_execz .LBB180_188
.LBB180_187:
	v_sub_nc_u32_e32 v73, v25, v5
	v_mov_b32_e32 v74, 0
	s_delay_alu instid0(VALU_DEP_1) | instskip(NEXT) | instid1(VALU_DEP_1)
	v_lshlrev_b64 v[73:74], 2, v[73:74]
	v_add_co_u32 v73, vcc_lo, v70, v73
	s_delay_alu instid0(VALU_DEP_2)
	v_add_co_ci_u32_e32 v74, vcc_lo, v71, v74, vcc_lo
	global_store_b32 v[73:74], v10, off
.LBB180_188:
	s_or_b32 exec_lo, exec_lo, s18
	s_delay_alu instid0(SALU_CYCLE_1)
	s_and_b32 s18, s0, exec_lo
	s_and_not1_saveexec_b32 s16, s16
	s_cbranch_execz .LBB180_138
.LBB180_189:
	v_sub_nc_u32_e32 v73, v4, v5
	v_mov_b32_e32 v74, 0
	s_or_b32 s18, s18, exec_lo
	s_delay_alu instid0(VALU_DEP_1) | instskip(SKIP_1) | instid1(VALU_DEP_1)
	v_lshlrev_b64 v[75:76], 2, v[73:74]
	v_sub_nc_u32_e32 v73, v35, v5
	v_lshlrev_b64 v[77:78], 2, v[73:74]
	v_sub_nc_u32_e32 v73, v59, v5
	s_delay_alu instid0(VALU_DEP_4) | instskip(SKIP_1) | instid1(VALU_DEP_3)
	v_add_co_u32 v75, vcc_lo, v70, v75
	v_add_co_ci_u32_e32 v76, vcc_lo, v71, v76, vcc_lo
	v_lshlrev_b64 v[79:80], 2, v[73:74]
	v_sub_nc_u32_e32 v73, v36, v5
	v_add_co_u32 v77, vcc_lo, v70, v77
	v_add_co_ci_u32_e32 v78, vcc_lo, v71, v78, vcc_lo
	global_store_b32 v[75:76], v21, off
	v_lshlrev_b64 v[75:76], 2, v[73:74]
	v_sub_nc_u32_e32 v73, v34, v5
	global_store_b32 v[77:78], v22, off
	v_add_co_u32 v77, vcc_lo, v70, v79
	v_add_co_ci_u32_e32 v78, vcc_lo, v71, v80, vcc_lo
	v_lshlrev_b64 v[79:80], 2, v[73:74]
	v_sub_nc_u32_e32 v73, v33, v5
	v_add_co_u32 v75, vcc_lo, v70, v75
	v_add_co_ci_u32_e32 v76, vcc_lo, v71, v76, vcc_lo
	s_delay_alu instid0(VALU_DEP_3) | instskip(SKIP_3) | instid1(VALU_DEP_3)
	v_lshlrev_b64 v[81:82], 2, v[73:74]
	v_sub_nc_u32_e32 v73, v32, v5
	v_add_co_u32 v79, vcc_lo, v70, v79
	v_add_co_ci_u32_e32 v80, vcc_lo, v71, v80, vcc_lo
	v_lshlrev_b64 v[83:84], 2, v[73:74]
	v_sub_nc_u32_e32 v73, v31, v5
	v_add_co_u32 v81, vcc_lo, v70, v81
	v_add_co_ci_u32_e32 v82, vcc_lo, v71, v82, vcc_lo
	s_clause 0x3
	global_store_b32 v[77:78], v19, off
	global_store_b32 v[75:76], v20, off
	;; [unrolled: 1-line block ×4, first 2 shown]
	v_lshlrev_b64 v[75:76], 2, v[73:74]
	v_sub_nc_u32_e32 v73, v30, v5
	v_add_co_u32 v77, vcc_lo, v70, v83
	v_add_co_ci_u32_e32 v78, vcc_lo, v71, v84, vcc_lo
	s_delay_alu instid0(VALU_DEP_3) | instskip(SKIP_3) | instid1(VALU_DEP_3)
	v_lshlrev_b64 v[79:80], 2, v[73:74]
	v_sub_nc_u32_e32 v73, v29, v5
	v_add_co_u32 v75, vcc_lo, v70, v75
	v_add_co_ci_u32_e32 v76, vcc_lo, v71, v76, vcc_lo
	v_lshlrev_b64 v[81:82], 2, v[73:74]
	v_sub_nc_u32_e32 v73, v28, v5
	v_add_co_u32 v79, vcc_lo, v70, v79
	v_add_co_ci_u32_e32 v80, vcc_lo, v71, v80, vcc_lo
	s_delay_alu instid0(VALU_DEP_3)
	v_lshlrev_b64 v[83:84], 2, v[73:74]
	v_sub_nc_u32_e32 v73, v27, v5
	v_add_co_u32 v81, vcc_lo, v70, v81
	v_add_co_ci_u32_e32 v82, vcc_lo, v71, v82, vcc_lo
	s_clause 0x3
	global_store_b32 v[77:78], v15, off
	global_store_b32 v[75:76], v16, off
	;; [unrolled: 1-line block ×4, first 2 shown]
	v_lshlrev_b64 v[75:76], 2, v[73:74]
	v_sub_nc_u32_e32 v73, v26, v5
	v_add_co_u32 v77, vcc_lo, v70, v83
	v_add_co_ci_u32_e32 v78, vcc_lo, v71, v84, vcc_lo
	s_delay_alu instid0(VALU_DEP_3) | instskip(SKIP_3) | instid1(VALU_DEP_3)
	v_lshlrev_b64 v[79:80], 2, v[73:74]
	v_sub_nc_u32_e32 v73, v25, v5
	v_add_co_u32 v75, vcc_lo, v70, v75
	v_add_co_ci_u32_e32 v76, vcc_lo, v71, v76, vcc_lo
	v_lshlrev_b64 v[73:74], 2, v[73:74]
	v_add_co_u32 v79, vcc_lo, v70, v79
	v_add_co_ci_u32_e32 v80, vcc_lo, v71, v80, vcc_lo
	s_clause 0x2
	global_store_b32 v[77:78], v11, off
	global_store_b32 v[75:76], v12, off
	;; [unrolled: 1-line block ×3, first 2 shown]
	v_add_co_u32 v73, vcc_lo, v70, v73
	v_add_co_ci_u32_e32 v74, vcc_lo, v71, v74, vcc_lo
	global_store_b32 v[73:74], v10, off
	s_or_b32 exec_lo, exec_lo, s16
	s_delay_alu instid0(SALU_CYCLE_1)
	s_and_b32 exec_lo, exec_lo, s18
	s_cbranch_execnz .LBB180_139
	s_branch .LBB180_140
.LBB180_190:
	s_and_saveexec_b32 s18, s13
	s_cbranch_execnz .LBB180_254
; %bb.191:
	s_or_b32 exec_lo, exec_lo, s18
	s_and_saveexec_b32 s13, s12
	s_cbranch_execnz .LBB180_255
.LBB180_192:
	s_or_b32 exec_lo, exec_lo, s13
	s_and_saveexec_b32 s12, s10
	s_cbranch_execnz .LBB180_256
.LBB180_193:
	s_or_b32 exec_lo, exec_lo, s12
	s_and_saveexec_b32 s10, s9
	s_cbranch_execnz .LBB180_257
.LBB180_194:
	s_or_b32 exec_lo, exec_lo, s10
	s_and_saveexec_b32 s9, s15
	s_cbranch_execnz .LBB180_258
.LBB180_195:
	s_or_b32 exec_lo, exec_lo, s9
	s_and_saveexec_b32 s9, s14
	s_cbranch_execnz .LBB180_259
.LBB180_196:
	s_or_b32 exec_lo, exec_lo, s9
	s_and_saveexec_b32 s9, s11
	s_cbranch_execnz .LBB180_260
.LBB180_197:
	s_or_b32 exec_lo, exec_lo, s9
	s_and_saveexec_b32 s9, s8
	s_cbranch_execnz .LBB180_261
.LBB180_198:
	s_or_b32 exec_lo, exec_lo, s9
	s_and_saveexec_b32 s8, s7
	s_cbranch_execnz .LBB180_262
.LBB180_199:
	s_or_b32 exec_lo, exec_lo, s8
	s_and_saveexec_b32 s7, s6
	s_cbranch_execnz .LBB180_263
.LBB180_200:
	s_or_b32 exec_lo, exec_lo, s7
	s_and_saveexec_b32 s6, s5
	s_cbranch_execnz .LBB180_264
.LBB180_201:
	s_or_b32 exec_lo, exec_lo, s6
	s_and_saveexec_b32 s5, s4
	s_cbranch_execnz .LBB180_265
.LBB180_202:
	s_or_b32 exec_lo, exec_lo, s5
	s_and_saveexec_b32 s4, s3
	s_cbranch_execnz .LBB180_266
.LBB180_203:
	s_or_b32 exec_lo, exec_lo, s4
	s_and_saveexec_b32 s3, s1
	s_cbranch_execz .LBB180_205
.LBB180_204:
	v_sub_nc_u32_e32 v9, v25, v5
	s_delay_alu instid0(VALU_DEP_1)
	v_lshlrev_b32_e32 v9, 2, v9
	ds_store_b32 v9, v10
.LBB180_205:
	s_or_b32 exec_lo, exec_lo, s3
	s_delay_alu instid0(SALU_CYCLE_1)
	s_and_b32 s18, s0, exec_lo
                                        ; implicit-def: $vgpr21
                                        ; implicit-def: $vgpr19
                                        ; implicit-def: $vgpr17
                                        ; implicit-def: $vgpr15
                                        ; implicit-def: $vgpr13
                                        ; implicit-def: $vgpr11
                                        ; implicit-def: $vgpr9
	s_and_not1_saveexec_b32 s0, s17
	s_cbranch_execz .LBB180_145
.LBB180_206:
	v_sub_nc_u32_e32 v72, v4, v5
	v_sub_nc_u32_e32 v75, v36, v5
	;; [unrolled: 1-line block ×4, first 2 shown]
	s_or_b32 s18, s18, exec_lo
	v_lshlrev_b32_e32 v72, 2, v72
	v_lshlrev_b32_e32 v75, 2, v75
	;; [unrolled: 1-line block ×4, first 2 shown]
	ds_store_b32 v72, v21
	ds_store_b32 v73, v22
	;; [unrolled: 1-line block ×3, first 2 shown]
	v_sub_nc_u32_e32 v19, v34, v5
	ds_store_b32 v75, v20
	v_sub_nc_u32_e32 v20, v33, v5
	v_sub_nc_u32_e32 v21, v32, v5
	;; [unrolled: 1-line block ×3, first 2 shown]
	v_lshlrev_b32_e32 v19, 2, v19
	v_sub_nc_u32_e32 v72, v30, v5
	v_lshlrev_b32_e32 v20, 2, v20
	v_lshlrev_b32_e32 v21, 2, v21
	;; [unrolled: 1-line block ×3, first 2 shown]
	ds_store_b32 v19, v17
	v_lshlrev_b32_e32 v17, 2, v72
	ds_store_b32 v20, v18
	ds_store_b32 v21, v15
	;; [unrolled: 1-line block ×3, first 2 shown]
	v_sub_nc_u32_e32 v15, v29, v5
	v_sub_nc_u32_e32 v18, v25, v5
	;; [unrolled: 1-line block ×3, first 2 shown]
	ds_store_b32 v17, v13
	v_sub_nc_u32_e32 v13, v28, v5
	v_lshlrev_b32_e32 v15, 2, v15
	v_sub_nc_u32_e32 v17, v26, v5
	v_lshlrev_b32_e32 v16, 2, v16
	s_delay_alu instid0(VALU_DEP_4)
	v_lshlrev_b32_e32 v13, 2, v13
	ds_store_b32 v15, v14
	v_lshlrev_b32_e32 v14, 2, v18
	v_lshlrev_b32_e32 v17, 2, v17
	ds_store_b32 v13, v11
	ds_store_b32 v16, v12
	;; [unrolled: 1-line block ×4, first 2 shown]
	s_or_b32 exec_lo, exec_lo, s0
	s_delay_alu instid0(SALU_CYCLE_1)
	s_and_b32 exec_lo, exec_lo, s18
	s_cbranch_execnz .LBB180_146
	s_branch .LBB180_147
.LBB180_207:
	s_and_saveexec_b32 s17, s14
	s_cbranch_execnz .LBB180_267
; %bb.208:
	s_or_b32 exec_lo, exec_lo, s17
	s_and_saveexec_b32 s17, s13
	s_cbranch_execnz .LBB180_268
.LBB180_209:
	s_or_b32 exec_lo, exec_lo, s17
	s_and_saveexec_b32 s17, s12
	s_cbranch_execnz .LBB180_269
.LBB180_210:
	s_or_b32 exec_lo, exec_lo, s17
	s_and_saveexec_b32 s17, s11
	s_cbranch_execnz .LBB180_270
.LBB180_211:
	s_or_b32 exec_lo, exec_lo, s17
	s_and_saveexec_b32 s17, s10
	s_cbranch_execnz .LBB180_271
.LBB180_212:
	s_or_b32 exec_lo, exec_lo, s17
	s_and_saveexec_b32 s17, s9
	s_cbranch_execnz .LBB180_272
.LBB180_213:
	s_or_b32 exec_lo, exec_lo, s17
	s_and_saveexec_b32 s17, s8
	s_cbranch_execnz .LBB180_273
.LBB180_214:
	s_or_b32 exec_lo, exec_lo, s17
	s_and_saveexec_b32 s17, s7
	s_cbranch_execnz .LBB180_274
.LBB180_215:
	s_or_b32 exec_lo, exec_lo, s17
	s_and_saveexec_b32 s17, s6
	s_cbranch_execnz .LBB180_275
.LBB180_216:
	s_or_b32 exec_lo, exec_lo, s17
	s_and_saveexec_b32 s17, s5
	s_cbranch_execnz .LBB180_276
.LBB180_217:
	s_or_b32 exec_lo, exec_lo, s17
	s_and_saveexec_b32 s17, s4
	s_cbranch_execnz .LBB180_277
.LBB180_218:
	s_or_b32 exec_lo, exec_lo, s17
	s_and_saveexec_b32 s17, s3
	s_cbranch_execnz .LBB180_278
.LBB180_219:
	s_or_b32 exec_lo, exec_lo, s17
	s_and_saveexec_b32 s17, s2
	s_cbranch_execnz .LBB180_279
.LBB180_220:
	s_or_b32 exec_lo, exec_lo, s17
	s_and_saveexec_b32 s17, s1
	s_cbranch_execz .LBB180_222
.LBB180_221:
	v_sub_nc_u32_e32 v14, v25, v2
	v_mov_b32_e32 v15, 0
	s_delay_alu instid0(VALU_DEP_1) | instskip(NEXT) | instid1(VALU_DEP_1)
	v_lshlrev_b64 v[14:15], 2, v[14:15]
	v_add_co_u32 v14, vcc_lo, v12, v14
	s_delay_alu instid0(VALU_DEP_2)
	v_add_co_ci_u32_e32 v15, vcc_lo, v13, v15, vcc_lo
	global_store_b32 v[14:15], v38, off
.LBB180_222:
	s_or_b32 exec_lo, exec_lo, s17
	s_delay_alu instid0(SALU_CYCLE_1)
	s_and_b32 s17, s0, exec_lo
	s_and_not1_saveexec_b32 s15, s15
	s_cbranch_execz .LBB180_158
.LBB180_223:
	v_sub_nc_u32_e32 v14, v4, v2
	v_mov_b32_e32 v15, 0
	s_or_b32 s17, s17, exec_lo
	s_delay_alu instid0(VALU_DEP_1) | instskip(SKIP_1) | instid1(VALU_DEP_1)
	v_lshlrev_b64 v[16:17], 2, v[14:15]
	v_sub_nc_u32_e32 v14, v35, v2
	v_lshlrev_b64 v[18:19], 2, v[14:15]
	v_sub_nc_u32_e32 v14, v59, v2
	s_delay_alu instid0(VALU_DEP_4) | instskip(SKIP_1) | instid1(VALU_DEP_3)
	v_add_co_u32 v16, vcc_lo, v12, v16
	v_add_co_ci_u32_e32 v17, vcc_lo, v13, v17, vcc_lo
	v_lshlrev_b64 v[20:21], 2, v[14:15]
	v_sub_nc_u32_e32 v14, v36, v2
	v_add_co_u32 v18, vcc_lo, v12, v18
	v_add_co_ci_u32_e32 v19, vcc_lo, v13, v19, vcc_lo
	global_store_b32 v[16:17], v69, off
	v_lshlrev_b64 v[16:17], 2, v[14:15]
	v_sub_nc_u32_e32 v14, v34, v2
	global_store_b32 v[18:19], v68, off
	v_add_co_u32 v18, vcc_lo, v12, v20
	v_add_co_ci_u32_e32 v19, vcc_lo, v13, v21, vcc_lo
	v_lshlrev_b64 v[20:21], 2, v[14:15]
	v_sub_nc_u32_e32 v14, v33, v2
	v_add_co_u32 v16, vcc_lo, v12, v16
	v_add_co_ci_u32_e32 v17, vcc_lo, v13, v17, vcc_lo
	s_delay_alu instid0(VALU_DEP_3) | instskip(SKIP_3) | instid1(VALU_DEP_3)
	v_lshlrev_b64 v[22:23], 2, v[14:15]
	v_sub_nc_u32_e32 v14, v32, v2
	v_add_co_u32 v20, vcc_lo, v12, v20
	v_add_co_ci_u32_e32 v21, vcc_lo, v13, v21, vcc_lo
	v_lshlrev_b64 v[43:44], 2, v[14:15]
	v_sub_nc_u32_e32 v14, v31, v2
	v_add_co_u32 v22, vcc_lo, v12, v22
	v_add_co_ci_u32_e32 v23, vcc_lo, v13, v23, vcc_lo
	s_clause 0x3
	global_store_b32 v[18:19], v67, off
	global_store_b32 v[16:17], v66, off
	;; [unrolled: 1-line block ×4, first 2 shown]
	v_lshlrev_b64 v[16:17], 2, v[14:15]
	v_sub_nc_u32_e32 v14, v30, v2
	v_add_co_u32 v18, vcc_lo, v12, v43
	v_add_co_ci_u32_e32 v19, vcc_lo, v13, v44, vcc_lo
	s_delay_alu instid0(VALU_DEP_3) | instskip(SKIP_3) | instid1(VALU_DEP_3)
	v_lshlrev_b64 v[20:21], 2, v[14:15]
	v_sub_nc_u32_e32 v14, v29, v2
	v_add_co_u32 v16, vcc_lo, v12, v16
	v_add_co_ci_u32_e32 v17, vcc_lo, v13, v17, vcc_lo
	v_lshlrev_b64 v[22:23], 2, v[14:15]
	v_sub_nc_u32_e32 v14, v28, v2
	v_add_co_u32 v20, vcc_lo, v12, v20
	v_add_co_ci_u32_e32 v21, vcc_lo, v13, v21, vcc_lo
	s_delay_alu instid0(VALU_DEP_3)
	v_lshlrev_b64 v[43:44], 2, v[14:15]
	v_sub_nc_u32_e32 v14, v27, v2
	v_add_co_u32 v22, vcc_lo, v12, v22
	v_add_co_ci_u32_e32 v23, vcc_lo, v13, v23, vcc_lo
	s_clause 0x3
	global_store_b32 v[18:19], v63, off
	global_store_b32 v[16:17], v62, off
	;; [unrolled: 1-line block ×4, first 2 shown]
	v_lshlrev_b64 v[16:17], 2, v[14:15]
	v_sub_nc_u32_e32 v14, v26, v2
	v_add_co_u32 v18, vcc_lo, v12, v43
	v_add_co_ci_u32_e32 v19, vcc_lo, v13, v44, vcc_lo
	s_delay_alu instid0(VALU_DEP_3) | instskip(SKIP_3) | instid1(VALU_DEP_3)
	v_lshlrev_b64 v[20:21], 2, v[14:15]
	v_sub_nc_u32_e32 v14, v25, v2
	v_add_co_u32 v16, vcc_lo, v12, v16
	v_add_co_ci_u32_e32 v17, vcc_lo, v13, v17, vcc_lo
	v_lshlrev_b64 v[14:15], 2, v[14:15]
	v_add_co_u32 v20, vcc_lo, v12, v20
	v_add_co_ci_u32_e32 v21, vcc_lo, v13, v21, vcc_lo
	s_clause 0x2
	global_store_b32 v[18:19], v41, off
	global_store_b32 v[16:17], v39, off
	;; [unrolled: 1-line block ×3, first 2 shown]
	v_add_co_u32 v14, vcc_lo, v12, v14
	v_add_co_ci_u32_e32 v15, vcc_lo, v13, v15, vcc_lo
	global_store_b32 v[14:15], v38, off
	s_or_b32 exec_lo, exec_lo, s15
	s_delay_alu instid0(SALU_CYCLE_1)
	s_and_b32 exec_lo, exec_lo, s17
	s_cbranch_execnz .LBB180_159
	s_branch .LBB180_160
.LBB180_224:
	s_and_saveexec_b32 s17, s14
	s_cbranch_execnz .LBB180_280
; %bb.225:
	s_or_b32 exec_lo, exec_lo, s17
	s_and_saveexec_b32 s14, s13
	s_cbranch_execnz .LBB180_281
.LBB180_226:
	s_or_b32 exec_lo, exec_lo, s14
	s_and_saveexec_b32 s13, s12
	s_cbranch_execnz .LBB180_282
.LBB180_227:
	s_or_b32 exec_lo, exec_lo, s13
	s_and_saveexec_b32 s12, s11
	s_cbranch_execnz .LBB180_283
.LBB180_228:
	s_or_b32 exec_lo, exec_lo, s12
	s_and_saveexec_b32 s11, s10
	s_cbranch_execnz .LBB180_284
.LBB180_229:
	s_or_b32 exec_lo, exec_lo, s11
	s_and_saveexec_b32 s10, s9
	s_cbranch_execnz .LBB180_285
.LBB180_230:
	s_or_b32 exec_lo, exec_lo, s10
	s_and_saveexec_b32 s9, s8
	s_cbranch_execnz .LBB180_286
.LBB180_231:
	s_or_b32 exec_lo, exec_lo, s9
	s_and_saveexec_b32 s8, s7
	s_cbranch_execnz .LBB180_287
.LBB180_232:
	s_or_b32 exec_lo, exec_lo, s8
	s_and_saveexec_b32 s7, s6
	s_cbranch_execnz .LBB180_288
.LBB180_233:
	s_or_b32 exec_lo, exec_lo, s7
	s_and_saveexec_b32 s6, s5
	s_cbranch_execnz .LBB180_289
.LBB180_234:
	s_or_b32 exec_lo, exec_lo, s6
	s_and_saveexec_b32 s5, s4
	s_cbranch_execnz .LBB180_290
.LBB180_235:
	s_or_b32 exec_lo, exec_lo, s5
	s_and_saveexec_b32 s4, s3
	s_cbranch_execnz .LBB180_291
.LBB180_236:
	s_or_b32 exec_lo, exec_lo, s4
	s_and_saveexec_b32 s3, s2
	s_cbranch_execnz .LBB180_292
.LBB180_237:
	s_or_b32 exec_lo, exec_lo, s3
	s_and_saveexec_b32 s2, s1
	s_cbranch_execz .LBB180_239
.LBB180_238:
	v_sub_nc_u32_e32 v3, v25, v2
	s_delay_alu instid0(VALU_DEP_1)
	v_lshlrev_b32_e32 v3, 2, v3
	ds_store_b32 v3, v38
.LBB180_239:
	s_or_b32 exec_lo, exec_lo, s2
	s_delay_alu instid0(SALU_CYCLE_1)
	s_and_b32 s17, s0, exec_lo
                                        ; implicit-def: $vgpr38
                                        ; implicit-def: $vgpr40
                                        ; implicit-def: $vgpr39
                                        ; implicit-def: $vgpr41
                                        ; implicit-def: $vgpr42
                                        ; implicit-def: $vgpr61
                                        ; implicit-def: $vgpr62
                                        ; implicit-def: $vgpr63
                                        ; implicit-def: $vgpr64
                                        ; implicit-def: $vgpr65
                                        ; implicit-def: $vgpr66
                                        ; implicit-def: $vgpr67
                                        ; implicit-def: $vgpr68
                                        ; implicit-def: $vgpr69
                                        ; implicit-def: $vgpr35
                                        ; implicit-def: $vgpr59
                                        ; implicit-def: $vgpr36
                                        ; implicit-def: $vgpr34
                                        ; implicit-def: $vgpr33
                                        ; implicit-def: $vgpr32
                                        ; implicit-def: $vgpr31
                                        ; implicit-def: $vgpr30
                                        ; implicit-def: $vgpr29
                                        ; implicit-def: $vgpr28
                                        ; implicit-def: $vgpr27
                                        ; implicit-def: $vgpr26
                                        ; implicit-def: $vgpr25
	s_and_not1_saveexec_b32 s0, s16
	s_cbranch_execz .LBB180_164
.LBB180_240:
	v_sub_nc_u32_e32 v3, v4, v2
	v_sub_nc_u32_e32 v4, v35, v2
	;; [unrolled: 1-line block ×5, first 2 shown]
	v_lshlrev_b32_e32 v3, 2, v3
	v_lshlrev_b32_e32 v4, 2, v4
	;; [unrolled: 1-line block ×4, first 2 shown]
	s_or_b32 s17, s17, exec_lo
	ds_store_b32 v3, v69
	ds_store_b32 v4, v68
	;; [unrolled: 1-line block ×3, first 2 shown]
	v_sub_nc_u32_e32 v3, v34, v2
	v_sub_nc_u32_e32 v4, v33, v2
	;; [unrolled: 1-line block ×3, first 2 shown]
	ds_store_b32 v15, v66
	v_sub_nc_u32_e32 v15, v31, v2
	v_lshlrev_b32_e32 v3, 2, v3
	v_lshlrev_b32_e32 v4, 2, v4
	v_lshlrev_b32_e32 v14, 2, v14
	s_delay_alu instid0(VALU_DEP_4)
	v_lshlrev_b32_e32 v15, 2, v15
	ds_store_b32 v3, v65
	v_lshlrev_b32_e32 v3, 2, v16
	ds_store_b32 v4, v64
	ds_store_b32 v14, v63
	;; [unrolled: 1-line block ×3, first 2 shown]
	v_sub_nc_u32_e32 v4, v29, v2
	v_sub_nc_u32_e32 v16, v25, v2
	;; [unrolled: 1-line block ×3, first 2 shown]
	ds_store_b32 v3, v61
	v_sub_nc_u32_e32 v3, v28, v2
	v_lshlrev_b32_e32 v4, 2, v4
	v_sub_nc_u32_e32 v15, v26, v2
	v_lshlrev_b32_e32 v14, 2, v14
	s_delay_alu instid0(VALU_DEP_4)
	v_lshlrev_b32_e32 v3, 2, v3
	ds_store_b32 v4, v42
	v_lshlrev_b32_e32 v4, 2, v16
	v_lshlrev_b32_e32 v15, 2, v15
	ds_store_b32 v3, v41
	ds_store_b32 v14, v39
	;; [unrolled: 1-line block ×4, first 2 shown]
	s_or_b32 exec_lo, exec_lo, s0
	s_delay_alu instid0(SALU_CYCLE_1)
	s_and_b32 exec_lo, exec_lo, s17
	s_cbranch_execnz .LBB180_165
	s_branch .LBB180_166
.LBB180_241:
	v_sub_nc_u32_e32 v73, v4, v5
	v_mov_b32_e32 v74, 0
	s_delay_alu instid0(VALU_DEP_1) | instskip(NEXT) | instid1(VALU_DEP_1)
	v_lshlrev_b64 v[73:74], 2, v[73:74]
	v_add_co_u32 v73, vcc_lo, v70, v73
	s_delay_alu instid0(VALU_DEP_2)
	v_add_co_ci_u32_e32 v74, vcc_lo, v71, v74, vcc_lo
	global_store_b32 v[73:74], v21, off
	s_or_b32 exec_lo, exec_lo, s18
	s_and_saveexec_b32 s18, s12
	s_cbranch_execz .LBB180_175
.LBB180_242:
	v_sub_nc_u32_e32 v73, v35, v5
	v_mov_b32_e32 v74, 0
	s_delay_alu instid0(VALU_DEP_1) | instskip(NEXT) | instid1(VALU_DEP_1)
	v_lshlrev_b64 v[73:74], 2, v[73:74]
	v_add_co_u32 v73, vcc_lo, v70, v73
	s_delay_alu instid0(VALU_DEP_2)
	v_add_co_ci_u32_e32 v74, vcc_lo, v71, v74, vcc_lo
	global_store_b32 v[73:74], v22, off
	s_or_b32 exec_lo, exec_lo, s18
	s_and_saveexec_b32 s18, s10
	s_cbranch_execz .LBB180_176
.LBB180_243:
	v_sub_nc_u32_e32 v73, v59, v5
	v_mov_b32_e32 v74, 0
	s_delay_alu instid0(VALU_DEP_1) | instskip(NEXT) | instid1(VALU_DEP_1)
	v_lshlrev_b64 v[73:74], 2, v[73:74]
	v_add_co_u32 v73, vcc_lo, v70, v73
	s_delay_alu instid0(VALU_DEP_2)
	v_add_co_ci_u32_e32 v74, vcc_lo, v71, v74, vcc_lo
	global_store_b32 v[73:74], v19, off
	s_or_b32 exec_lo, exec_lo, s18
	s_and_saveexec_b32 s18, s9
	s_cbranch_execz .LBB180_177
.LBB180_244:
	v_sub_nc_u32_e32 v73, v36, v5
	v_mov_b32_e32 v74, 0
	s_delay_alu instid0(VALU_DEP_1) | instskip(NEXT) | instid1(VALU_DEP_1)
	v_lshlrev_b64 v[73:74], 2, v[73:74]
	v_add_co_u32 v73, vcc_lo, v70, v73
	s_delay_alu instid0(VALU_DEP_2)
	v_add_co_ci_u32_e32 v74, vcc_lo, v71, v74, vcc_lo
	global_store_b32 v[73:74], v20, off
	s_or_b32 exec_lo, exec_lo, s18
	s_and_saveexec_b32 s18, s15
	s_cbranch_execz .LBB180_178
.LBB180_245:
	v_sub_nc_u32_e32 v73, v34, v5
	v_mov_b32_e32 v74, 0
	s_delay_alu instid0(VALU_DEP_1) | instskip(NEXT) | instid1(VALU_DEP_1)
	v_lshlrev_b64 v[73:74], 2, v[73:74]
	v_add_co_u32 v73, vcc_lo, v70, v73
	s_delay_alu instid0(VALU_DEP_2)
	v_add_co_ci_u32_e32 v74, vcc_lo, v71, v74, vcc_lo
	global_store_b32 v[73:74], v17, off
	s_or_b32 exec_lo, exec_lo, s18
	s_and_saveexec_b32 s18, s14
	s_cbranch_execz .LBB180_179
.LBB180_246:
	v_sub_nc_u32_e32 v73, v33, v5
	v_mov_b32_e32 v74, 0
	s_delay_alu instid0(VALU_DEP_1) | instskip(NEXT) | instid1(VALU_DEP_1)
	v_lshlrev_b64 v[73:74], 2, v[73:74]
	v_add_co_u32 v73, vcc_lo, v70, v73
	s_delay_alu instid0(VALU_DEP_2)
	v_add_co_ci_u32_e32 v74, vcc_lo, v71, v74, vcc_lo
	global_store_b32 v[73:74], v18, off
	s_or_b32 exec_lo, exec_lo, s18
	s_and_saveexec_b32 s18, s11
	s_cbranch_execz .LBB180_180
.LBB180_247:
	v_sub_nc_u32_e32 v73, v32, v5
	v_mov_b32_e32 v74, 0
	s_delay_alu instid0(VALU_DEP_1) | instskip(NEXT) | instid1(VALU_DEP_1)
	v_lshlrev_b64 v[73:74], 2, v[73:74]
	v_add_co_u32 v73, vcc_lo, v70, v73
	s_delay_alu instid0(VALU_DEP_2)
	v_add_co_ci_u32_e32 v74, vcc_lo, v71, v74, vcc_lo
	global_store_b32 v[73:74], v15, off
	s_or_b32 exec_lo, exec_lo, s18
	s_and_saveexec_b32 s18, s8
	s_cbranch_execz .LBB180_181
.LBB180_248:
	v_sub_nc_u32_e32 v73, v31, v5
	v_mov_b32_e32 v74, 0
	s_delay_alu instid0(VALU_DEP_1) | instskip(NEXT) | instid1(VALU_DEP_1)
	v_lshlrev_b64 v[73:74], 2, v[73:74]
	v_add_co_u32 v73, vcc_lo, v70, v73
	s_delay_alu instid0(VALU_DEP_2)
	v_add_co_ci_u32_e32 v74, vcc_lo, v71, v74, vcc_lo
	global_store_b32 v[73:74], v16, off
	s_or_b32 exec_lo, exec_lo, s18
	s_and_saveexec_b32 s18, s7
	s_cbranch_execz .LBB180_182
.LBB180_249:
	v_sub_nc_u32_e32 v73, v30, v5
	v_mov_b32_e32 v74, 0
	s_delay_alu instid0(VALU_DEP_1) | instskip(NEXT) | instid1(VALU_DEP_1)
	v_lshlrev_b64 v[73:74], 2, v[73:74]
	v_add_co_u32 v73, vcc_lo, v70, v73
	s_delay_alu instid0(VALU_DEP_2)
	v_add_co_ci_u32_e32 v74, vcc_lo, v71, v74, vcc_lo
	global_store_b32 v[73:74], v13, off
	s_or_b32 exec_lo, exec_lo, s18
	s_and_saveexec_b32 s18, s6
	s_cbranch_execz .LBB180_183
.LBB180_250:
	v_sub_nc_u32_e32 v73, v29, v5
	v_mov_b32_e32 v74, 0
	s_delay_alu instid0(VALU_DEP_1) | instskip(NEXT) | instid1(VALU_DEP_1)
	v_lshlrev_b64 v[73:74], 2, v[73:74]
	v_add_co_u32 v73, vcc_lo, v70, v73
	s_delay_alu instid0(VALU_DEP_2)
	v_add_co_ci_u32_e32 v74, vcc_lo, v71, v74, vcc_lo
	global_store_b32 v[73:74], v14, off
	s_or_b32 exec_lo, exec_lo, s18
	s_and_saveexec_b32 s18, s5
	s_cbranch_execz .LBB180_184
.LBB180_251:
	v_sub_nc_u32_e32 v73, v28, v5
	v_mov_b32_e32 v74, 0
	s_delay_alu instid0(VALU_DEP_1) | instskip(NEXT) | instid1(VALU_DEP_1)
	v_lshlrev_b64 v[73:74], 2, v[73:74]
	v_add_co_u32 v73, vcc_lo, v70, v73
	s_delay_alu instid0(VALU_DEP_2)
	v_add_co_ci_u32_e32 v74, vcc_lo, v71, v74, vcc_lo
	global_store_b32 v[73:74], v11, off
	s_or_b32 exec_lo, exec_lo, s18
	s_and_saveexec_b32 s18, s4
	s_cbranch_execz .LBB180_185
.LBB180_252:
	v_sub_nc_u32_e32 v73, v27, v5
	v_mov_b32_e32 v74, 0
	s_delay_alu instid0(VALU_DEP_1) | instskip(NEXT) | instid1(VALU_DEP_1)
	v_lshlrev_b64 v[73:74], 2, v[73:74]
	v_add_co_u32 v73, vcc_lo, v70, v73
	s_delay_alu instid0(VALU_DEP_2)
	v_add_co_ci_u32_e32 v74, vcc_lo, v71, v74, vcc_lo
	global_store_b32 v[73:74], v12, off
	s_or_b32 exec_lo, exec_lo, s18
	s_and_saveexec_b32 s18, s3
	s_cbranch_execz .LBB180_186
.LBB180_253:
	v_sub_nc_u32_e32 v73, v26, v5
	v_mov_b32_e32 v74, 0
	s_delay_alu instid0(VALU_DEP_1) | instskip(NEXT) | instid1(VALU_DEP_1)
	v_lshlrev_b64 v[73:74], 2, v[73:74]
	v_add_co_u32 v73, vcc_lo, v70, v73
	s_delay_alu instid0(VALU_DEP_2)
	v_add_co_ci_u32_e32 v74, vcc_lo, v71, v74, vcc_lo
	global_store_b32 v[73:74], v9, off
	s_or_b32 exec_lo, exec_lo, s18
	s_and_saveexec_b32 s18, s1
	s_cbranch_execnz .LBB180_187
	s_branch .LBB180_188
.LBB180_254:
	v_sub_nc_u32_e32 v72, v4, v5
	s_delay_alu instid0(VALU_DEP_1)
	v_lshlrev_b32_e32 v72, 2, v72
	ds_store_b32 v72, v21
	s_or_b32 exec_lo, exec_lo, s18
	s_and_saveexec_b32 s13, s12
	s_cbranch_execz .LBB180_192
.LBB180_255:
	v_sub_nc_u32_e32 v21, v35, v5
	s_delay_alu instid0(VALU_DEP_1)
	v_lshlrev_b32_e32 v21, 2, v21
	ds_store_b32 v21, v22
	s_or_b32 exec_lo, exec_lo, s13
	s_and_saveexec_b32 s12, s10
	s_cbranch_execz .LBB180_193
.LBB180_256:
	v_sub_nc_u32_e32 v21, v59, v5
	s_delay_alu instid0(VALU_DEP_1)
	v_lshlrev_b32_e32 v21, 2, v21
	ds_store_b32 v21, v19
	s_or_b32 exec_lo, exec_lo, s12
	s_and_saveexec_b32 s10, s9
	s_cbranch_execz .LBB180_194
.LBB180_257:
	v_sub_nc_u32_e32 v19, v36, v5
	s_delay_alu instid0(VALU_DEP_1)
	v_lshlrev_b32_e32 v19, 2, v19
	ds_store_b32 v19, v20
	s_or_b32 exec_lo, exec_lo, s10
	s_and_saveexec_b32 s9, s15
	s_cbranch_execz .LBB180_195
.LBB180_258:
	v_sub_nc_u32_e32 v19, v34, v5
	s_delay_alu instid0(VALU_DEP_1)
	v_lshlrev_b32_e32 v19, 2, v19
	ds_store_b32 v19, v17
	s_or_b32 exec_lo, exec_lo, s9
	s_and_saveexec_b32 s9, s14
	s_cbranch_execz .LBB180_196
.LBB180_259:
	v_sub_nc_u32_e32 v17, v33, v5
	s_delay_alu instid0(VALU_DEP_1)
	v_lshlrev_b32_e32 v17, 2, v17
	ds_store_b32 v17, v18
	s_or_b32 exec_lo, exec_lo, s9
	s_and_saveexec_b32 s9, s11
	s_cbranch_execz .LBB180_197
.LBB180_260:
	v_sub_nc_u32_e32 v17, v32, v5
	s_delay_alu instid0(VALU_DEP_1)
	v_lshlrev_b32_e32 v17, 2, v17
	ds_store_b32 v17, v15
	s_or_b32 exec_lo, exec_lo, s9
	s_and_saveexec_b32 s9, s8
	s_cbranch_execz .LBB180_198
.LBB180_261:
	v_sub_nc_u32_e32 v15, v31, v5
	s_delay_alu instid0(VALU_DEP_1)
	v_lshlrev_b32_e32 v15, 2, v15
	ds_store_b32 v15, v16
	s_or_b32 exec_lo, exec_lo, s9
	s_and_saveexec_b32 s8, s7
	s_cbranch_execz .LBB180_199
.LBB180_262:
	v_sub_nc_u32_e32 v15, v30, v5
	s_delay_alu instid0(VALU_DEP_1)
	v_lshlrev_b32_e32 v15, 2, v15
	ds_store_b32 v15, v13
	s_or_b32 exec_lo, exec_lo, s8
	s_and_saveexec_b32 s7, s6
	s_cbranch_execz .LBB180_200
.LBB180_263:
	v_sub_nc_u32_e32 v13, v29, v5
	s_delay_alu instid0(VALU_DEP_1)
	v_lshlrev_b32_e32 v13, 2, v13
	ds_store_b32 v13, v14
	s_or_b32 exec_lo, exec_lo, s7
	s_and_saveexec_b32 s6, s5
	s_cbranch_execz .LBB180_201
.LBB180_264:
	v_sub_nc_u32_e32 v13, v28, v5
	s_delay_alu instid0(VALU_DEP_1)
	v_lshlrev_b32_e32 v13, 2, v13
	ds_store_b32 v13, v11
	s_or_b32 exec_lo, exec_lo, s6
	s_and_saveexec_b32 s5, s4
	s_cbranch_execz .LBB180_202
.LBB180_265:
	v_sub_nc_u32_e32 v11, v27, v5
	s_delay_alu instid0(VALU_DEP_1)
	v_lshlrev_b32_e32 v11, 2, v11
	ds_store_b32 v11, v12
	s_or_b32 exec_lo, exec_lo, s5
	s_and_saveexec_b32 s4, s3
	s_cbranch_execz .LBB180_203
.LBB180_266:
	v_sub_nc_u32_e32 v11, v26, v5
	s_delay_alu instid0(VALU_DEP_1)
	v_lshlrev_b32_e32 v11, 2, v11
	ds_store_b32 v11, v9
	s_or_b32 exec_lo, exec_lo, s4
	s_and_saveexec_b32 s3, s1
	s_cbranch_execnz .LBB180_204
	s_branch .LBB180_205
.LBB180_267:
	v_sub_nc_u32_e32 v14, v4, v2
	v_mov_b32_e32 v15, 0
	s_delay_alu instid0(VALU_DEP_1) | instskip(NEXT) | instid1(VALU_DEP_1)
	v_lshlrev_b64 v[14:15], 2, v[14:15]
	v_add_co_u32 v14, vcc_lo, v12, v14
	s_delay_alu instid0(VALU_DEP_2)
	v_add_co_ci_u32_e32 v15, vcc_lo, v13, v15, vcc_lo
	global_store_b32 v[14:15], v69, off
	s_or_b32 exec_lo, exec_lo, s17
	s_and_saveexec_b32 s17, s13
	s_cbranch_execz .LBB180_209
.LBB180_268:
	v_sub_nc_u32_e32 v14, v35, v2
	v_mov_b32_e32 v15, 0
	s_delay_alu instid0(VALU_DEP_1) | instskip(NEXT) | instid1(VALU_DEP_1)
	v_lshlrev_b64 v[14:15], 2, v[14:15]
	v_add_co_u32 v14, vcc_lo, v12, v14
	s_delay_alu instid0(VALU_DEP_2)
	v_add_co_ci_u32_e32 v15, vcc_lo, v13, v15, vcc_lo
	global_store_b32 v[14:15], v68, off
	s_or_b32 exec_lo, exec_lo, s17
	s_and_saveexec_b32 s17, s12
	s_cbranch_execz .LBB180_210
.LBB180_269:
	v_sub_nc_u32_e32 v14, v59, v2
	v_mov_b32_e32 v15, 0
	s_delay_alu instid0(VALU_DEP_1) | instskip(NEXT) | instid1(VALU_DEP_1)
	v_lshlrev_b64 v[14:15], 2, v[14:15]
	v_add_co_u32 v14, vcc_lo, v12, v14
	s_delay_alu instid0(VALU_DEP_2)
	v_add_co_ci_u32_e32 v15, vcc_lo, v13, v15, vcc_lo
	global_store_b32 v[14:15], v67, off
	s_or_b32 exec_lo, exec_lo, s17
	s_and_saveexec_b32 s17, s11
	s_cbranch_execz .LBB180_211
.LBB180_270:
	v_sub_nc_u32_e32 v14, v36, v2
	v_mov_b32_e32 v15, 0
	s_delay_alu instid0(VALU_DEP_1) | instskip(NEXT) | instid1(VALU_DEP_1)
	v_lshlrev_b64 v[14:15], 2, v[14:15]
	v_add_co_u32 v14, vcc_lo, v12, v14
	s_delay_alu instid0(VALU_DEP_2)
	v_add_co_ci_u32_e32 v15, vcc_lo, v13, v15, vcc_lo
	global_store_b32 v[14:15], v66, off
	s_or_b32 exec_lo, exec_lo, s17
	s_and_saveexec_b32 s17, s10
	s_cbranch_execz .LBB180_212
.LBB180_271:
	v_sub_nc_u32_e32 v14, v34, v2
	v_mov_b32_e32 v15, 0
	s_delay_alu instid0(VALU_DEP_1) | instskip(NEXT) | instid1(VALU_DEP_1)
	v_lshlrev_b64 v[14:15], 2, v[14:15]
	v_add_co_u32 v14, vcc_lo, v12, v14
	s_delay_alu instid0(VALU_DEP_2)
	v_add_co_ci_u32_e32 v15, vcc_lo, v13, v15, vcc_lo
	global_store_b32 v[14:15], v65, off
	s_or_b32 exec_lo, exec_lo, s17
	s_and_saveexec_b32 s17, s9
	s_cbranch_execz .LBB180_213
.LBB180_272:
	v_sub_nc_u32_e32 v14, v33, v2
	v_mov_b32_e32 v15, 0
	s_delay_alu instid0(VALU_DEP_1) | instskip(NEXT) | instid1(VALU_DEP_1)
	v_lshlrev_b64 v[14:15], 2, v[14:15]
	v_add_co_u32 v14, vcc_lo, v12, v14
	s_delay_alu instid0(VALU_DEP_2)
	v_add_co_ci_u32_e32 v15, vcc_lo, v13, v15, vcc_lo
	global_store_b32 v[14:15], v64, off
	s_or_b32 exec_lo, exec_lo, s17
	s_and_saveexec_b32 s17, s8
	s_cbranch_execz .LBB180_214
.LBB180_273:
	v_sub_nc_u32_e32 v14, v32, v2
	v_mov_b32_e32 v15, 0
	s_delay_alu instid0(VALU_DEP_1) | instskip(NEXT) | instid1(VALU_DEP_1)
	v_lshlrev_b64 v[14:15], 2, v[14:15]
	v_add_co_u32 v14, vcc_lo, v12, v14
	s_delay_alu instid0(VALU_DEP_2)
	v_add_co_ci_u32_e32 v15, vcc_lo, v13, v15, vcc_lo
	global_store_b32 v[14:15], v63, off
	s_or_b32 exec_lo, exec_lo, s17
	s_and_saveexec_b32 s17, s7
	s_cbranch_execz .LBB180_215
.LBB180_274:
	v_sub_nc_u32_e32 v14, v31, v2
	v_mov_b32_e32 v15, 0
	s_delay_alu instid0(VALU_DEP_1) | instskip(NEXT) | instid1(VALU_DEP_1)
	v_lshlrev_b64 v[14:15], 2, v[14:15]
	v_add_co_u32 v14, vcc_lo, v12, v14
	s_delay_alu instid0(VALU_DEP_2)
	v_add_co_ci_u32_e32 v15, vcc_lo, v13, v15, vcc_lo
	global_store_b32 v[14:15], v62, off
	s_or_b32 exec_lo, exec_lo, s17
	s_and_saveexec_b32 s17, s6
	s_cbranch_execz .LBB180_216
.LBB180_275:
	v_sub_nc_u32_e32 v14, v30, v2
	v_mov_b32_e32 v15, 0
	s_delay_alu instid0(VALU_DEP_1) | instskip(NEXT) | instid1(VALU_DEP_1)
	v_lshlrev_b64 v[14:15], 2, v[14:15]
	v_add_co_u32 v14, vcc_lo, v12, v14
	s_delay_alu instid0(VALU_DEP_2)
	v_add_co_ci_u32_e32 v15, vcc_lo, v13, v15, vcc_lo
	global_store_b32 v[14:15], v61, off
	s_or_b32 exec_lo, exec_lo, s17
	s_and_saveexec_b32 s17, s5
	s_cbranch_execz .LBB180_217
.LBB180_276:
	v_sub_nc_u32_e32 v14, v29, v2
	v_mov_b32_e32 v15, 0
	s_delay_alu instid0(VALU_DEP_1) | instskip(NEXT) | instid1(VALU_DEP_1)
	v_lshlrev_b64 v[14:15], 2, v[14:15]
	v_add_co_u32 v14, vcc_lo, v12, v14
	s_delay_alu instid0(VALU_DEP_2)
	v_add_co_ci_u32_e32 v15, vcc_lo, v13, v15, vcc_lo
	global_store_b32 v[14:15], v42, off
	s_or_b32 exec_lo, exec_lo, s17
	s_and_saveexec_b32 s17, s4
	s_cbranch_execz .LBB180_218
.LBB180_277:
	v_sub_nc_u32_e32 v14, v28, v2
	v_mov_b32_e32 v15, 0
	s_delay_alu instid0(VALU_DEP_1) | instskip(NEXT) | instid1(VALU_DEP_1)
	v_lshlrev_b64 v[14:15], 2, v[14:15]
	v_add_co_u32 v14, vcc_lo, v12, v14
	s_delay_alu instid0(VALU_DEP_2)
	v_add_co_ci_u32_e32 v15, vcc_lo, v13, v15, vcc_lo
	global_store_b32 v[14:15], v41, off
	s_or_b32 exec_lo, exec_lo, s17
	s_and_saveexec_b32 s17, s3
	s_cbranch_execz .LBB180_219
.LBB180_278:
	v_sub_nc_u32_e32 v14, v27, v2
	v_mov_b32_e32 v15, 0
	s_delay_alu instid0(VALU_DEP_1) | instskip(NEXT) | instid1(VALU_DEP_1)
	v_lshlrev_b64 v[14:15], 2, v[14:15]
	v_add_co_u32 v14, vcc_lo, v12, v14
	s_delay_alu instid0(VALU_DEP_2)
	v_add_co_ci_u32_e32 v15, vcc_lo, v13, v15, vcc_lo
	global_store_b32 v[14:15], v39, off
	s_or_b32 exec_lo, exec_lo, s17
	s_and_saveexec_b32 s17, s2
	s_cbranch_execz .LBB180_220
.LBB180_279:
	v_sub_nc_u32_e32 v14, v26, v2
	v_mov_b32_e32 v15, 0
	s_delay_alu instid0(VALU_DEP_1) | instskip(NEXT) | instid1(VALU_DEP_1)
	v_lshlrev_b64 v[14:15], 2, v[14:15]
	v_add_co_u32 v14, vcc_lo, v12, v14
	s_delay_alu instid0(VALU_DEP_2)
	v_add_co_ci_u32_e32 v15, vcc_lo, v13, v15, vcc_lo
	global_store_b32 v[14:15], v40, off
	s_or_b32 exec_lo, exec_lo, s17
	s_and_saveexec_b32 s17, s1
	s_cbranch_execnz .LBB180_221
	s_branch .LBB180_222
.LBB180_280:
	v_sub_nc_u32_e32 v3, v4, v2
	s_delay_alu instid0(VALU_DEP_1)
	v_lshlrev_b32_e32 v3, 2, v3
	ds_store_b32 v3, v69
	s_or_b32 exec_lo, exec_lo, s17
	s_and_saveexec_b32 s14, s13
	s_cbranch_execz .LBB180_226
.LBB180_281:
	v_sub_nc_u32_e32 v3, v35, v2
	s_delay_alu instid0(VALU_DEP_1)
	v_lshlrev_b32_e32 v3, 2, v3
	ds_store_b32 v3, v68
	s_or_b32 exec_lo, exec_lo, s14
	s_and_saveexec_b32 s13, s12
	s_cbranch_execz .LBB180_227
.LBB180_282:
	v_sub_nc_u32_e32 v3, v59, v2
	s_delay_alu instid0(VALU_DEP_1)
	v_lshlrev_b32_e32 v3, 2, v3
	ds_store_b32 v3, v67
	s_or_b32 exec_lo, exec_lo, s13
	s_and_saveexec_b32 s12, s11
	s_cbranch_execz .LBB180_228
.LBB180_283:
	v_sub_nc_u32_e32 v3, v36, v2
	s_delay_alu instid0(VALU_DEP_1)
	v_lshlrev_b32_e32 v3, 2, v3
	ds_store_b32 v3, v66
	s_or_b32 exec_lo, exec_lo, s12
	s_and_saveexec_b32 s11, s10
	s_cbranch_execz .LBB180_229
.LBB180_284:
	v_sub_nc_u32_e32 v3, v34, v2
	s_delay_alu instid0(VALU_DEP_1)
	v_lshlrev_b32_e32 v3, 2, v3
	ds_store_b32 v3, v65
	s_or_b32 exec_lo, exec_lo, s11
	s_and_saveexec_b32 s10, s9
	s_cbranch_execz .LBB180_230
.LBB180_285:
	v_sub_nc_u32_e32 v3, v33, v2
	s_delay_alu instid0(VALU_DEP_1)
	v_lshlrev_b32_e32 v3, 2, v3
	ds_store_b32 v3, v64
	s_or_b32 exec_lo, exec_lo, s10
	s_and_saveexec_b32 s9, s8
	s_cbranch_execz .LBB180_231
.LBB180_286:
	v_sub_nc_u32_e32 v3, v32, v2
	s_delay_alu instid0(VALU_DEP_1)
	v_lshlrev_b32_e32 v3, 2, v3
	ds_store_b32 v3, v63
	s_or_b32 exec_lo, exec_lo, s9
	s_and_saveexec_b32 s8, s7
	s_cbranch_execz .LBB180_232
.LBB180_287:
	v_sub_nc_u32_e32 v3, v31, v2
	s_delay_alu instid0(VALU_DEP_1)
	v_lshlrev_b32_e32 v3, 2, v3
	ds_store_b32 v3, v62
	s_or_b32 exec_lo, exec_lo, s8
	s_and_saveexec_b32 s7, s6
	s_cbranch_execz .LBB180_233
.LBB180_288:
	v_sub_nc_u32_e32 v3, v30, v2
	s_delay_alu instid0(VALU_DEP_1)
	v_lshlrev_b32_e32 v3, 2, v3
	ds_store_b32 v3, v61
	s_or_b32 exec_lo, exec_lo, s7
	s_and_saveexec_b32 s6, s5
	s_cbranch_execz .LBB180_234
.LBB180_289:
	v_sub_nc_u32_e32 v3, v29, v2
	s_delay_alu instid0(VALU_DEP_1)
	v_lshlrev_b32_e32 v3, 2, v3
	ds_store_b32 v3, v42
	s_or_b32 exec_lo, exec_lo, s6
	s_and_saveexec_b32 s5, s4
	s_cbranch_execz .LBB180_235
.LBB180_290:
	v_sub_nc_u32_e32 v3, v28, v2
	s_delay_alu instid0(VALU_DEP_1)
	v_lshlrev_b32_e32 v3, 2, v3
	ds_store_b32 v3, v41
	s_or_b32 exec_lo, exec_lo, s5
	s_and_saveexec_b32 s4, s3
	s_cbranch_execz .LBB180_236
.LBB180_291:
	v_sub_nc_u32_e32 v3, v27, v2
	s_delay_alu instid0(VALU_DEP_1)
	v_lshlrev_b32_e32 v3, 2, v3
	ds_store_b32 v3, v39
	s_or_b32 exec_lo, exec_lo, s4
	s_and_saveexec_b32 s3, s2
	s_cbranch_execz .LBB180_237
.LBB180_292:
	v_sub_nc_u32_e32 v3, v26, v2
	s_delay_alu instid0(VALU_DEP_1)
	v_lshlrev_b32_e32 v3, 2, v3
	ds_store_b32 v3, v40
	s_or_b32 exec_lo, exec_lo, s3
	s_and_saveexec_b32 s2, s1
	s_cbranch_execnz .LBB180_238
	s_branch .LBB180_239
	.section	.rodata,"a",@progbits
	.p2align	6, 0x0
	.amdhsa_kernel _ZN7rocprim17ROCPRIM_400000_NS6detail17trampoline_kernelINS0_14default_configENS1_29reduce_by_key_config_selectorIffN6thrust23THRUST_200600_302600_NS4plusIfEEEEZZNS1_33reduce_by_key_impl_wrapped_configILNS1_25lookback_scan_determinismE0ES3_S9_NS6_6detail15normal_iteratorINS6_10device_ptrIfEEEESG_SG_SG_PmS8_NS6_8equal_toIfEEEE10hipError_tPvRmT2_T3_mT4_T5_T6_T7_T8_P12ihipStream_tbENKUlT_T0_E_clISt17integral_constantIbLb1EES11_EEDaSW_SX_EUlSW_E_NS1_11comp_targetILNS1_3genE9ELNS1_11target_archE1100ELNS1_3gpuE3ELNS1_3repE0EEENS1_30default_config_static_selectorELNS0_4arch9wavefront6targetE0EEEvT1_
		.amdhsa_group_segment_fixed_size 15360
		.amdhsa_private_segment_fixed_size 0
		.amdhsa_kernarg_size 120
		.amdhsa_user_sgpr_count 15
		.amdhsa_user_sgpr_dispatch_ptr 0
		.amdhsa_user_sgpr_queue_ptr 0
		.amdhsa_user_sgpr_kernarg_segment_ptr 1
		.amdhsa_user_sgpr_dispatch_id 0
		.amdhsa_user_sgpr_private_segment_size 0
		.amdhsa_wavefront_size32 1
		.amdhsa_uses_dynamic_stack 0
		.amdhsa_enable_private_segment 0
		.amdhsa_system_sgpr_workgroup_id_x 1
		.amdhsa_system_sgpr_workgroup_id_y 0
		.amdhsa_system_sgpr_workgroup_id_z 0
		.amdhsa_system_sgpr_workgroup_info 0
		.amdhsa_system_vgpr_workitem_id 0
		.amdhsa_next_free_vgpr 85
		.amdhsa_next_free_sgpr 49
		.amdhsa_reserve_vcc 1
		.amdhsa_float_round_mode_32 0
		.amdhsa_float_round_mode_16_64 0
		.amdhsa_float_denorm_mode_32 3
		.amdhsa_float_denorm_mode_16_64 3
		.amdhsa_dx10_clamp 1
		.amdhsa_ieee_mode 1
		.amdhsa_fp16_overflow 0
		.amdhsa_workgroup_processor_mode 1
		.amdhsa_memory_ordered 1
		.amdhsa_forward_progress 0
		.amdhsa_shared_vgpr_count 0
		.amdhsa_exception_fp_ieee_invalid_op 0
		.amdhsa_exception_fp_denorm_src 0
		.amdhsa_exception_fp_ieee_div_zero 0
		.amdhsa_exception_fp_ieee_overflow 0
		.amdhsa_exception_fp_ieee_underflow 0
		.amdhsa_exception_fp_ieee_inexact 0
		.amdhsa_exception_int_div_zero 0
	.end_amdhsa_kernel
	.section	.text._ZN7rocprim17ROCPRIM_400000_NS6detail17trampoline_kernelINS0_14default_configENS1_29reduce_by_key_config_selectorIffN6thrust23THRUST_200600_302600_NS4plusIfEEEEZZNS1_33reduce_by_key_impl_wrapped_configILNS1_25lookback_scan_determinismE0ES3_S9_NS6_6detail15normal_iteratorINS6_10device_ptrIfEEEESG_SG_SG_PmS8_NS6_8equal_toIfEEEE10hipError_tPvRmT2_T3_mT4_T5_T6_T7_T8_P12ihipStream_tbENKUlT_T0_E_clISt17integral_constantIbLb1EES11_EEDaSW_SX_EUlSW_E_NS1_11comp_targetILNS1_3genE9ELNS1_11target_archE1100ELNS1_3gpuE3ELNS1_3repE0EEENS1_30default_config_static_selectorELNS0_4arch9wavefront6targetE0EEEvT1_,"axG",@progbits,_ZN7rocprim17ROCPRIM_400000_NS6detail17trampoline_kernelINS0_14default_configENS1_29reduce_by_key_config_selectorIffN6thrust23THRUST_200600_302600_NS4plusIfEEEEZZNS1_33reduce_by_key_impl_wrapped_configILNS1_25lookback_scan_determinismE0ES3_S9_NS6_6detail15normal_iteratorINS6_10device_ptrIfEEEESG_SG_SG_PmS8_NS6_8equal_toIfEEEE10hipError_tPvRmT2_T3_mT4_T5_T6_T7_T8_P12ihipStream_tbENKUlT_T0_E_clISt17integral_constantIbLb1EES11_EEDaSW_SX_EUlSW_E_NS1_11comp_targetILNS1_3genE9ELNS1_11target_archE1100ELNS1_3gpuE3ELNS1_3repE0EEENS1_30default_config_static_selectorELNS0_4arch9wavefront6targetE0EEEvT1_,comdat
.Lfunc_end180:
	.size	_ZN7rocprim17ROCPRIM_400000_NS6detail17trampoline_kernelINS0_14default_configENS1_29reduce_by_key_config_selectorIffN6thrust23THRUST_200600_302600_NS4plusIfEEEEZZNS1_33reduce_by_key_impl_wrapped_configILNS1_25lookback_scan_determinismE0ES3_S9_NS6_6detail15normal_iteratorINS6_10device_ptrIfEEEESG_SG_SG_PmS8_NS6_8equal_toIfEEEE10hipError_tPvRmT2_T3_mT4_T5_T6_T7_T8_P12ihipStream_tbENKUlT_T0_E_clISt17integral_constantIbLb1EES11_EEDaSW_SX_EUlSW_E_NS1_11comp_targetILNS1_3genE9ELNS1_11target_archE1100ELNS1_3gpuE3ELNS1_3repE0EEENS1_30default_config_static_selectorELNS0_4arch9wavefront6targetE0EEEvT1_, .Lfunc_end180-_ZN7rocprim17ROCPRIM_400000_NS6detail17trampoline_kernelINS0_14default_configENS1_29reduce_by_key_config_selectorIffN6thrust23THRUST_200600_302600_NS4plusIfEEEEZZNS1_33reduce_by_key_impl_wrapped_configILNS1_25lookback_scan_determinismE0ES3_S9_NS6_6detail15normal_iteratorINS6_10device_ptrIfEEEESG_SG_SG_PmS8_NS6_8equal_toIfEEEE10hipError_tPvRmT2_T3_mT4_T5_T6_T7_T8_P12ihipStream_tbENKUlT_T0_E_clISt17integral_constantIbLb1EES11_EEDaSW_SX_EUlSW_E_NS1_11comp_targetILNS1_3genE9ELNS1_11target_archE1100ELNS1_3gpuE3ELNS1_3repE0EEENS1_30default_config_static_selectorELNS0_4arch9wavefront6targetE0EEEvT1_
                                        ; -- End function
	.section	.AMDGPU.csdata,"",@progbits
; Kernel info:
; codeLenInByte = 17676
; NumSgprs: 51
; NumVgprs: 85
; ScratchSize: 0
; MemoryBound: 0
; FloatMode: 240
; IeeeMode: 1
; LDSByteSize: 15360 bytes/workgroup (compile time only)
; SGPRBlocks: 6
; VGPRBlocks: 10
; NumSGPRsForWavesPerEU: 51
; NumVGPRsForWavesPerEU: 85
; Occupancy: 16
; WaveLimiterHint : 1
; COMPUTE_PGM_RSRC2:SCRATCH_EN: 0
; COMPUTE_PGM_RSRC2:USER_SGPR: 15
; COMPUTE_PGM_RSRC2:TRAP_HANDLER: 0
; COMPUTE_PGM_RSRC2:TGID_X_EN: 1
; COMPUTE_PGM_RSRC2:TGID_Y_EN: 0
; COMPUTE_PGM_RSRC2:TGID_Z_EN: 0
; COMPUTE_PGM_RSRC2:TIDIG_COMP_CNT: 0
	.section	.text._ZN7rocprim17ROCPRIM_400000_NS6detail17trampoline_kernelINS0_14default_configENS1_29reduce_by_key_config_selectorIffN6thrust23THRUST_200600_302600_NS4plusIfEEEEZZNS1_33reduce_by_key_impl_wrapped_configILNS1_25lookback_scan_determinismE0ES3_S9_NS6_6detail15normal_iteratorINS6_10device_ptrIfEEEESG_SG_SG_PmS8_NS6_8equal_toIfEEEE10hipError_tPvRmT2_T3_mT4_T5_T6_T7_T8_P12ihipStream_tbENKUlT_T0_E_clISt17integral_constantIbLb1EES11_EEDaSW_SX_EUlSW_E_NS1_11comp_targetILNS1_3genE8ELNS1_11target_archE1030ELNS1_3gpuE2ELNS1_3repE0EEENS1_30default_config_static_selectorELNS0_4arch9wavefront6targetE0EEEvT1_,"axG",@progbits,_ZN7rocprim17ROCPRIM_400000_NS6detail17trampoline_kernelINS0_14default_configENS1_29reduce_by_key_config_selectorIffN6thrust23THRUST_200600_302600_NS4plusIfEEEEZZNS1_33reduce_by_key_impl_wrapped_configILNS1_25lookback_scan_determinismE0ES3_S9_NS6_6detail15normal_iteratorINS6_10device_ptrIfEEEESG_SG_SG_PmS8_NS6_8equal_toIfEEEE10hipError_tPvRmT2_T3_mT4_T5_T6_T7_T8_P12ihipStream_tbENKUlT_T0_E_clISt17integral_constantIbLb1EES11_EEDaSW_SX_EUlSW_E_NS1_11comp_targetILNS1_3genE8ELNS1_11target_archE1030ELNS1_3gpuE2ELNS1_3repE0EEENS1_30default_config_static_selectorELNS0_4arch9wavefront6targetE0EEEvT1_,comdat
	.protected	_ZN7rocprim17ROCPRIM_400000_NS6detail17trampoline_kernelINS0_14default_configENS1_29reduce_by_key_config_selectorIffN6thrust23THRUST_200600_302600_NS4plusIfEEEEZZNS1_33reduce_by_key_impl_wrapped_configILNS1_25lookback_scan_determinismE0ES3_S9_NS6_6detail15normal_iteratorINS6_10device_ptrIfEEEESG_SG_SG_PmS8_NS6_8equal_toIfEEEE10hipError_tPvRmT2_T3_mT4_T5_T6_T7_T8_P12ihipStream_tbENKUlT_T0_E_clISt17integral_constantIbLb1EES11_EEDaSW_SX_EUlSW_E_NS1_11comp_targetILNS1_3genE8ELNS1_11target_archE1030ELNS1_3gpuE2ELNS1_3repE0EEENS1_30default_config_static_selectorELNS0_4arch9wavefront6targetE0EEEvT1_ ; -- Begin function _ZN7rocprim17ROCPRIM_400000_NS6detail17trampoline_kernelINS0_14default_configENS1_29reduce_by_key_config_selectorIffN6thrust23THRUST_200600_302600_NS4plusIfEEEEZZNS1_33reduce_by_key_impl_wrapped_configILNS1_25lookback_scan_determinismE0ES3_S9_NS6_6detail15normal_iteratorINS6_10device_ptrIfEEEESG_SG_SG_PmS8_NS6_8equal_toIfEEEE10hipError_tPvRmT2_T3_mT4_T5_T6_T7_T8_P12ihipStream_tbENKUlT_T0_E_clISt17integral_constantIbLb1EES11_EEDaSW_SX_EUlSW_E_NS1_11comp_targetILNS1_3genE8ELNS1_11target_archE1030ELNS1_3gpuE2ELNS1_3repE0EEENS1_30default_config_static_selectorELNS0_4arch9wavefront6targetE0EEEvT1_
	.globl	_ZN7rocprim17ROCPRIM_400000_NS6detail17trampoline_kernelINS0_14default_configENS1_29reduce_by_key_config_selectorIffN6thrust23THRUST_200600_302600_NS4plusIfEEEEZZNS1_33reduce_by_key_impl_wrapped_configILNS1_25lookback_scan_determinismE0ES3_S9_NS6_6detail15normal_iteratorINS6_10device_ptrIfEEEESG_SG_SG_PmS8_NS6_8equal_toIfEEEE10hipError_tPvRmT2_T3_mT4_T5_T6_T7_T8_P12ihipStream_tbENKUlT_T0_E_clISt17integral_constantIbLb1EES11_EEDaSW_SX_EUlSW_E_NS1_11comp_targetILNS1_3genE8ELNS1_11target_archE1030ELNS1_3gpuE2ELNS1_3repE0EEENS1_30default_config_static_selectorELNS0_4arch9wavefront6targetE0EEEvT1_
	.p2align	8
	.type	_ZN7rocprim17ROCPRIM_400000_NS6detail17trampoline_kernelINS0_14default_configENS1_29reduce_by_key_config_selectorIffN6thrust23THRUST_200600_302600_NS4plusIfEEEEZZNS1_33reduce_by_key_impl_wrapped_configILNS1_25lookback_scan_determinismE0ES3_S9_NS6_6detail15normal_iteratorINS6_10device_ptrIfEEEESG_SG_SG_PmS8_NS6_8equal_toIfEEEE10hipError_tPvRmT2_T3_mT4_T5_T6_T7_T8_P12ihipStream_tbENKUlT_T0_E_clISt17integral_constantIbLb1EES11_EEDaSW_SX_EUlSW_E_NS1_11comp_targetILNS1_3genE8ELNS1_11target_archE1030ELNS1_3gpuE2ELNS1_3repE0EEENS1_30default_config_static_selectorELNS0_4arch9wavefront6targetE0EEEvT1_,@function
_ZN7rocprim17ROCPRIM_400000_NS6detail17trampoline_kernelINS0_14default_configENS1_29reduce_by_key_config_selectorIffN6thrust23THRUST_200600_302600_NS4plusIfEEEEZZNS1_33reduce_by_key_impl_wrapped_configILNS1_25lookback_scan_determinismE0ES3_S9_NS6_6detail15normal_iteratorINS6_10device_ptrIfEEEESG_SG_SG_PmS8_NS6_8equal_toIfEEEE10hipError_tPvRmT2_T3_mT4_T5_T6_T7_T8_P12ihipStream_tbENKUlT_T0_E_clISt17integral_constantIbLb1EES11_EEDaSW_SX_EUlSW_E_NS1_11comp_targetILNS1_3genE8ELNS1_11target_archE1030ELNS1_3gpuE2ELNS1_3repE0EEENS1_30default_config_static_selectorELNS0_4arch9wavefront6targetE0EEEvT1_: ; @_ZN7rocprim17ROCPRIM_400000_NS6detail17trampoline_kernelINS0_14default_configENS1_29reduce_by_key_config_selectorIffN6thrust23THRUST_200600_302600_NS4plusIfEEEEZZNS1_33reduce_by_key_impl_wrapped_configILNS1_25lookback_scan_determinismE0ES3_S9_NS6_6detail15normal_iteratorINS6_10device_ptrIfEEEESG_SG_SG_PmS8_NS6_8equal_toIfEEEE10hipError_tPvRmT2_T3_mT4_T5_T6_T7_T8_P12ihipStream_tbENKUlT_T0_E_clISt17integral_constantIbLb1EES11_EEDaSW_SX_EUlSW_E_NS1_11comp_targetILNS1_3genE8ELNS1_11target_archE1030ELNS1_3gpuE2ELNS1_3repE0EEENS1_30default_config_static_selectorELNS0_4arch9wavefront6targetE0EEEvT1_
; %bb.0:
	.section	.rodata,"a",@progbits
	.p2align	6, 0x0
	.amdhsa_kernel _ZN7rocprim17ROCPRIM_400000_NS6detail17trampoline_kernelINS0_14default_configENS1_29reduce_by_key_config_selectorIffN6thrust23THRUST_200600_302600_NS4plusIfEEEEZZNS1_33reduce_by_key_impl_wrapped_configILNS1_25lookback_scan_determinismE0ES3_S9_NS6_6detail15normal_iteratorINS6_10device_ptrIfEEEESG_SG_SG_PmS8_NS6_8equal_toIfEEEE10hipError_tPvRmT2_T3_mT4_T5_T6_T7_T8_P12ihipStream_tbENKUlT_T0_E_clISt17integral_constantIbLb1EES11_EEDaSW_SX_EUlSW_E_NS1_11comp_targetILNS1_3genE8ELNS1_11target_archE1030ELNS1_3gpuE2ELNS1_3repE0EEENS1_30default_config_static_selectorELNS0_4arch9wavefront6targetE0EEEvT1_
		.amdhsa_group_segment_fixed_size 0
		.amdhsa_private_segment_fixed_size 0
		.amdhsa_kernarg_size 120
		.amdhsa_user_sgpr_count 15
		.amdhsa_user_sgpr_dispatch_ptr 0
		.amdhsa_user_sgpr_queue_ptr 0
		.amdhsa_user_sgpr_kernarg_segment_ptr 1
		.amdhsa_user_sgpr_dispatch_id 0
		.amdhsa_user_sgpr_private_segment_size 0
		.amdhsa_wavefront_size32 1
		.amdhsa_uses_dynamic_stack 0
		.amdhsa_enable_private_segment 0
		.amdhsa_system_sgpr_workgroup_id_x 1
		.amdhsa_system_sgpr_workgroup_id_y 0
		.amdhsa_system_sgpr_workgroup_id_z 0
		.amdhsa_system_sgpr_workgroup_info 0
		.amdhsa_system_vgpr_workitem_id 0
		.amdhsa_next_free_vgpr 1
		.amdhsa_next_free_sgpr 1
		.amdhsa_reserve_vcc 0
		.amdhsa_float_round_mode_32 0
		.amdhsa_float_round_mode_16_64 0
		.amdhsa_float_denorm_mode_32 3
		.amdhsa_float_denorm_mode_16_64 3
		.amdhsa_dx10_clamp 1
		.amdhsa_ieee_mode 1
		.amdhsa_fp16_overflow 0
		.amdhsa_workgroup_processor_mode 1
		.amdhsa_memory_ordered 1
		.amdhsa_forward_progress 0
		.amdhsa_shared_vgpr_count 0
		.amdhsa_exception_fp_ieee_invalid_op 0
		.amdhsa_exception_fp_denorm_src 0
		.amdhsa_exception_fp_ieee_div_zero 0
		.amdhsa_exception_fp_ieee_overflow 0
		.amdhsa_exception_fp_ieee_underflow 0
		.amdhsa_exception_fp_ieee_inexact 0
		.amdhsa_exception_int_div_zero 0
	.end_amdhsa_kernel
	.section	.text._ZN7rocprim17ROCPRIM_400000_NS6detail17trampoline_kernelINS0_14default_configENS1_29reduce_by_key_config_selectorIffN6thrust23THRUST_200600_302600_NS4plusIfEEEEZZNS1_33reduce_by_key_impl_wrapped_configILNS1_25lookback_scan_determinismE0ES3_S9_NS6_6detail15normal_iteratorINS6_10device_ptrIfEEEESG_SG_SG_PmS8_NS6_8equal_toIfEEEE10hipError_tPvRmT2_T3_mT4_T5_T6_T7_T8_P12ihipStream_tbENKUlT_T0_E_clISt17integral_constantIbLb1EES11_EEDaSW_SX_EUlSW_E_NS1_11comp_targetILNS1_3genE8ELNS1_11target_archE1030ELNS1_3gpuE2ELNS1_3repE0EEENS1_30default_config_static_selectorELNS0_4arch9wavefront6targetE0EEEvT1_,"axG",@progbits,_ZN7rocprim17ROCPRIM_400000_NS6detail17trampoline_kernelINS0_14default_configENS1_29reduce_by_key_config_selectorIffN6thrust23THRUST_200600_302600_NS4plusIfEEEEZZNS1_33reduce_by_key_impl_wrapped_configILNS1_25lookback_scan_determinismE0ES3_S9_NS6_6detail15normal_iteratorINS6_10device_ptrIfEEEESG_SG_SG_PmS8_NS6_8equal_toIfEEEE10hipError_tPvRmT2_T3_mT4_T5_T6_T7_T8_P12ihipStream_tbENKUlT_T0_E_clISt17integral_constantIbLb1EES11_EEDaSW_SX_EUlSW_E_NS1_11comp_targetILNS1_3genE8ELNS1_11target_archE1030ELNS1_3gpuE2ELNS1_3repE0EEENS1_30default_config_static_selectorELNS0_4arch9wavefront6targetE0EEEvT1_,comdat
.Lfunc_end181:
	.size	_ZN7rocprim17ROCPRIM_400000_NS6detail17trampoline_kernelINS0_14default_configENS1_29reduce_by_key_config_selectorIffN6thrust23THRUST_200600_302600_NS4plusIfEEEEZZNS1_33reduce_by_key_impl_wrapped_configILNS1_25lookback_scan_determinismE0ES3_S9_NS6_6detail15normal_iteratorINS6_10device_ptrIfEEEESG_SG_SG_PmS8_NS6_8equal_toIfEEEE10hipError_tPvRmT2_T3_mT4_T5_T6_T7_T8_P12ihipStream_tbENKUlT_T0_E_clISt17integral_constantIbLb1EES11_EEDaSW_SX_EUlSW_E_NS1_11comp_targetILNS1_3genE8ELNS1_11target_archE1030ELNS1_3gpuE2ELNS1_3repE0EEENS1_30default_config_static_selectorELNS0_4arch9wavefront6targetE0EEEvT1_, .Lfunc_end181-_ZN7rocprim17ROCPRIM_400000_NS6detail17trampoline_kernelINS0_14default_configENS1_29reduce_by_key_config_selectorIffN6thrust23THRUST_200600_302600_NS4plusIfEEEEZZNS1_33reduce_by_key_impl_wrapped_configILNS1_25lookback_scan_determinismE0ES3_S9_NS6_6detail15normal_iteratorINS6_10device_ptrIfEEEESG_SG_SG_PmS8_NS6_8equal_toIfEEEE10hipError_tPvRmT2_T3_mT4_T5_T6_T7_T8_P12ihipStream_tbENKUlT_T0_E_clISt17integral_constantIbLb1EES11_EEDaSW_SX_EUlSW_E_NS1_11comp_targetILNS1_3genE8ELNS1_11target_archE1030ELNS1_3gpuE2ELNS1_3repE0EEENS1_30default_config_static_selectorELNS0_4arch9wavefront6targetE0EEEvT1_
                                        ; -- End function
	.section	.AMDGPU.csdata,"",@progbits
; Kernel info:
; codeLenInByte = 0
; NumSgprs: 0
; NumVgprs: 0
; ScratchSize: 0
; MemoryBound: 0
; FloatMode: 240
; IeeeMode: 1
; LDSByteSize: 0 bytes/workgroup (compile time only)
; SGPRBlocks: 0
; VGPRBlocks: 0
; NumSGPRsForWavesPerEU: 1
; NumVGPRsForWavesPerEU: 1
; Occupancy: 16
; WaveLimiterHint : 0
; COMPUTE_PGM_RSRC2:SCRATCH_EN: 0
; COMPUTE_PGM_RSRC2:USER_SGPR: 15
; COMPUTE_PGM_RSRC2:TRAP_HANDLER: 0
; COMPUTE_PGM_RSRC2:TGID_X_EN: 1
; COMPUTE_PGM_RSRC2:TGID_Y_EN: 0
; COMPUTE_PGM_RSRC2:TGID_Z_EN: 0
; COMPUTE_PGM_RSRC2:TIDIG_COMP_CNT: 0
	.section	.text._ZN7rocprim17ROCPRIM_400000_NS6detail17trampoline_kernelINS0_14default_configENS1_29reduce_by_key_config_selectorIffN6thrust23THRUST_200600_302600_NS4plusIfEEEEZZNS1_33reduce_by_key_impl_wrapped_configILNS1_25lookback_scan_determinismE0ES3_S9_NS6_6detail15normal_iteratorINS6_10device_ptrIfEEEESG_SG_SG_PmS8_NS6_8equal_toIfEEEE10hipError_tPvRmT2_T3_mT4_T5_T6_T7_T8_P12ihipStream_tbENKUlT_T0_E_clISt17integral_constantIbLb1EES10_IbLb0EEEEDaSW_SX_EUlSW_E_NS1_11comp_targetILNS1_3genE0ELNS1_11target_archE4294967295ELNS1_3gpuE0ELNS1_3repE0EEENS1_30default_config_static_selectorELNS0_4arch9wavefront6targetE0EEEvT1_,"axG",@progbits,_ZN7rocprim17ROCPRIM_400000_NS6detail17trampoline_kernelINS0_14default_configENS1_29reduce_by_key_config_selectorIffN6thrust23THRUST_200600_302600_NS4plusIfEEEEZZNS1_33reduce_by_key_impl_wrapped_configILNS1_25lookback_scan_determinismE0ES3_S9_NS6_6detail15normal_iteratorINS6_10device_ptrIfEEEESG_SG_SG_PmS8_NS6_8equal_toIfEEEE10hipError_tPvRmT2_T3_mT4_T5_T6_T7_T8_P12ihipStream_tbENKUlT_T0_E_clISt17integral_constantIbLb1EES10_IbLb0EEEEDaSW_SX_EUlSW_E_NS1_11comp_targetILNS1_3genE0ELNS1_11target_archE4294967295ELNS1_3gpuE0ELNS1_3repE0EEENS1_30default_config_static_selectorELNS0_4arch9wavefront6targetE0EEEvT1_,comdat
	.protected	_ZN7rocprim17ROCPRIM_400000_NS6detail17trampoline_kernelINS0_14default_configENS1_29reduce_by_key_config_selectorIffN6thrust23THRUST_200600_302600_NS4plusIfEEEEZZNS1_33reduce_by_key_impl_wrapped_configILNS1_25lookback_scan_determinismE0ES3_S9_NS6_6detail15normal_iteratorINS6_10device_ptrIfEEEESG_SG_SG_PmS8_NS6_8equal_toIfEEEE10hipError_tPvRmT2_T3_mT4_T5_T6_T7_T8_P12ihipStream_tbENKUlT_T0_E_clISt17integral_constantIbLb1EES10_IbLb0EEEEDaSW_SX_EUlSW_E_NS1_11comp_targetILNS1_3genE0ELNS1_11target_archE4294967295ELNS1_3gpuE0ELNS1_3repE0EEENS1_30default_config_static_selectorELNS0_4arch9wavefront6targetE0EEEvT1_ ; -- Begin function _ZN7rocprim17ROCPRIM_400000_NS6detail17trampoline_kernelINS0_14default_configENS1_29reduce_by_key_config_selectorIffN6thrust23THRUST_200600_302600_NS4plusIfEEEEZZNS1_33reduce_by_key_impl_wrapped_configILNS1_25lookback_scan_determinismE0ES3_S9_NS6_6detail15normal_iteratorINS6_10device_ptrIfEEEESG_SG_SG_PmS8_NS6_8equal_toIfEEEE10hipError_tPvRmT2_T3_mT4_T5_T6_T7_T8_P12ihipStream_tbENKUlT_T0_E_clISt17integral_constantIbLb1EES10_IbLb0EEEEDaSW_SX_EUlSW_E_NS1_11comp_targetILNS1_3genE0ELNS1_11target_archE4294967295ELNS1_3gpuE0ELNS1_3repE0EEENS1_30default_config_static_selectorELNS0_4arch9wavefront6targetE0EEEvT1_
	.globl	_ZN7rocprim17ROCPRIM_400000_NS6detail17trampoline_kernelINS0_14default_configENS1_29reduce_by_key_config_selectorIffN6thrust23THRUST_200600_302600_NS4plusIfEEEEZZNS1_33reduce_by_key_impl_wrapped_configILNS1_25lookback_scan_determinismE0ES3_S9_NS6_6detail15normal_iteratorINS6_10device_ptrIfEEEESG_SG_SG_PmS8_NS6_8equal_toIfEEEE10hipError_tPvRmT2_T3_mT4_T5_T6_T7_T8_P12ihipStream_tbENKUlT_T0_E_clISt17integral_constantIbLb1EES10_IbLb0EEEEDaSW_SX_EUlSW_E_NS1_11comp_targetILNS1_3genE0ELNS1_11target_archE4294967295ELNS1_3gpuE0ELNS1_3repE0EEENS1_30default_config_static_selectorELNS0_4arch9wavefront6targetE0EEEvT1_
	.p2align	8
	.type	_ZN7rocprim17ROCPRIM_400000_NS6detail17trampoline_kernelINS0_14default_configENS1_29reduce_by_key_config_selectorIffN6thrust23THRUST_200600_302600_NS4plusIfEEEEZZNS1_33reduce_by_key_impl_wrapped_configILNS1_25lookback_scan_determinismE0ES3_S9_NS6_6detail15normal_iteratorINS6_10device_ptrIfEEEESG_SG_SG_PmS8_NS6_8equal_toIfEEEE10hipError_tPvRmT2_T3_mT4_T5_T6_T7_T8_P12ihipStream_tbENKUlT_T0_E_clISt17integral_constantIbLb1EES10_IbLb0EEEEDaSW_SX_EUlSW_E_NS1_11comp_targetILNS1_3genE0ELNS1_11target_archE4294967295ELNS1_3gpuE0ELNS1_3repE0EEENS1_30default_config_static_selectorELNS0_4arch9wavefront6targetE0EEEvT1_,@function
_ZN7rocprim17ROCPRIM_400000_NS6detail17trampoline_kernelINS0_14default_configENS1_29reduce_by_key_config_selectorIffN6thrust23THRUST_200600_302600_NS4plusIfEEEEZZNS1_33reduce_by_key_impl_wrapped_configILNS1_25lookback_scan_determinismE0ES3_S9_NS6_6detail15normal_iteratorINS6_10device_ptrIfEEEESG_SG_SG_PmS8_NS6_8equal_toIfEEEE10hipError_tPvRmT2_T3_mT4_T5_T6_T7_T8_P12ihipStream_tbENKUlT_T0_E_clISt17integral_constantIbLb1EES10_IbLb0EEEEDaSW_SX_EUlSW_E_NS1_11comp_targetILNS1_3genE0ELNS1_11target_archE4294967295ELNS1_3gpuE0ELNS1_3repE0EEENS1_30default_config_static_selectorELNS0_4arch9wavefront6targetE0EEEvT1_: ; @_ZN7rocprim17ROCPRIM_400000_NS6detail17trampoline_kernelINS0_14default_configENS1_29reduce_by_key_config_selectorIffN6thrust23THRUST_200600_302600_NS4plusIfEEEEZZNS1_33reduce_by_key_impl_wrapped_configILNS1_25lookback_scan_determinismE0ES3_S9_NS6_6detail15normal_iteratorINS6_10device_ptrIfEEEESG_SG_SG_PmS8_NS6_8equal_toIfEEEE10hipError_tPvRmT2_T3_mT4_T5_T6_T7_T8_P12ihipStream_tbENKUlT_T0_E_clISt17integral_constantIbLb1EES10_IbLb0EEEEDaSW_SX_EUlSW_E_NS1_11comp_targetILNS1_3genE0ELNS1_11target_archE4294967295ELNS1_3gpuE0ELNS1_3repE0EEENS1_30default_config_static_selectorELNS0_4arch9wavefront6targetE0EEEvT1_
; %bb.0:
	.section	.rodata,"a",@progbits
	.p2align	6, 0x0
	.amdhsa_kernel _ZN7rocprim17ROCPRIM_400000_NS6detail17trampoline_kernelINS0_14default_configENS1_29reduce_by_key_config_selectorIffN6thrust23THRUST_200600_302600_NS4plusIfEEEEZZNS1_33reduce_by_key_impl_wrapped_configILNS1_25lookback_scan_determinismE0ES3_S9_NS6_6detail15normal_iteratorINS6_10device_ptrIfEEEESG_SG_SG_PmS8_NS6_8equal_toIfEEEE10hipError_tPvRmT2_T3_mT4_T5_T6_T7_T8_P12ihipStream_tbENKUlT_T0_E_clISt17integral_constantIbLb1EES10_IbLb0EEEEDaSW_SX_EUlSW_E_NS1_11comp_targetILNS1_3genE0ELNS1_11target_archE4294967295ELNS1_3gpuE0ELNS1_3repE0EEENS1_30default_config_static_selectorELNS0_4arch9wavefront6targetE0EEEvT1_
		.amdhsa_group_segment_fixed_size 0
		.amdhsa_private_segment_fixed_size 0
		.amdhsa_kernarg_size 120
		.amdhsa_user_sgpr_count 15
		.amdhsa_user_sgpr_dispatch_ptr 0
		.amdhsa_user_sgpr_queue_ptr 0
		.amdhsa_user_sgpr_kernarg_segment_ptr 1
		.amdhsa_user_sgpr_dispatch_id 0
		.amdhsa_user_sgpr_private_segment_size 0
		.amdhsa_wavefront_size32 1
		.amdhsa_uses_dynamic_stack 0
		.amdhsa_enable_private_segment 0
		.amdhsa_system_sgpr_workgroup_id_x 1
		.amdhsa_system_sgpr_workgroup_id_y 0
		.amdhsa_system_sgpr_workgroup_id_z 0
		.amdhsa_system_sgpr_workgroup_info 0
		.amdhsa_system_vgpr_workitem_id 0
		.amdhsa_next_free_vgpr 1
		.amdhsa_next_free_sgpr 1
		.amdhsa_reserve_vcc 0
		.amdhsa_float_round_mode_32 0
		.amdhsa_float_round_mode_16_64 0
		.amdhsa_float_denorm_mode_32 3
		.amdhsa_float_denorm_mode_16_64 3
		.amdhsa_dx10_clamp 1
		.amdhsa_ieee_mode 1
		.amdhsa_fp16_overflow 0
		.amdhsa_workgroup_processor_mode 1
		.amdhsa_memory_ordered 1
		.amdhsa_forward_progress 0
		.amdhsa_shared_vgpr_count 0
		.amdhsa_exception_fp_ieee_invalid_op 0
		.amdhsa_exception_fp_denorm_src 0
		.amdhsa_exception_fp_ieee_div_zero 0
		.amdhsa_exception_fp_ieee_overflow 0
		.amdhsa_exception_fp_ieee_underflow 0
		.amdhsa_exception_fp_ieee_inexact 0
		.amdhsa_exception_int_div_zero 0
	.end_amdhsa_kernel
	.section	.text._ZN7rocprim17ROCPRIM_400000_NS6detail17trampoline_kernelINS0_14default_configENS1_29reduce_by_key_config_selectorIffN6thrust23THRUST_200600_302600_NS4plusIfEEEEZZNS1_33reduce_by_key_impl_wrapped_configILNS1_25lookback_scan_determinismE0ES3_S9_NS6_6detail15normal_iteratorINS6_10device_ptrIfEEEESG_SG_SG_PmS8_NS6_8equal_toIfEEEE10hipError_tPvRmT2_T3_mT4_T5_T6_T7_T8_P12ihipStream_tbENKUlT_T0_E_clISt17integral_constantIbLb1EES10_IbLb0EEEEDaSW_SX_EUlSW_E_NS1_11comp_targetILNS1_3genE0ELNS1_11target_archE4294967295ELNS1_3gpuE0ELNS1_3repE0EEENS1_30default_config_static_selectorELNS0_4arch9wavefront6targetE0EEEvT1_,"axG",@progbits,_ZN7rocprim17ROCPRIM_400000_NS6detail17trampoline_kernelINS0_14default_configENS1_29reduce_by_key_config_selectorIffN6thrust23THRUST_200600_302600_NS4plusIfEEEEZZNS1_33reduce_by_key_impl_wrapped_configILNS1_25lookback_scan_determinismE0ES3_S9_NS6_6detail15normal_iteratorINS6_10device_ptrIfEEEESG_SG_SG_PmS8_NS6_8equal_toIfEEEE10hipError_tPvRmT2_T3_mT4_T5_T6_T7_T8_P12ihipStream_tbENKUlT_T0_E_clISt17integral_constantIbLb1EES10_IbLb0EEEEDaSW_SX_EUlSW_E_NS1_11comp_targetILNS1_3genE0ELNS1_11target_archE4294967295ELNS1_3gpuE0ELNS1_3repE0EEENS1_30default_config_static_selectorELNS0_4arch9wavefront6targetE0EEEvT1_,comdat
.Lfunc_end182:
	.size	_ZN7rocprim17ROCPRIM_400000_NS6detail17trampoline_kernelINS0_14default_configENS1_29reduce_by_key_config_selectorIffN6thrust23THRUST_200600_302600_NS4plusIfEEEEZZNS1_33reduce_by_key_impl_wrapped_configILNS1_25lookback_scan_determinismE0ES3_S9_NS6_6detail15normal_iteratorINS6_10device_ptrIfEEEESG_SG_SG_PmS8_NS6_8equal_toIfEEEE10hipError_tPvRmT2_T3_mT4_T5_T6_T7_T8_P12ihipStream_tbENKUlT_T0_E_clISt17integral_constantIbLb1EES10_IbLb0EEEEDaSW_SX_EUlSW_E_NS1_11comp_targetILNS1_3genE0ELNS1_11target_archE4294967295ELNS1_3gpuE0ELNS1_3repE0EEENS1_30default_config_static_selectorELNS0_4arch9wavefront6targetE0EEEvT1_, .Lfunc_end182-_ZN7rocprim17ROCPRIM_400000_NS6detail17trampoline_kernelINS0_14default_configENS1_29reduce_by_key_config_selectorIffN6thrust23THRUST_200600_302600_NS4plusIfEEEEZZNS1_33reduce_by_key_impl_wrapped_configILNS1_25lookback_scan_determinismE0ES3_S9_NS6_6detail15normal_iteratorINS6_10device_ptrIfEEEESG_SG_SG_PmS8_NS6_8equal_toIfEEEE10hipError_tPvRmT2_T3_mT4_T5_T6_T7_T8_P12ihipStream_tbENKUlT_T0_E_clISt17integral_constantIbLb1EES10_IbLb0EEEEDaSW_SX_EUlSW_E_NS1_11comp_targetILNS1_3genE0ELNS1_11target_archE4294967295ELNS1_3gpuE0ELNS1_3repE0EEENS1_30default_config_static_selectorELNS0_4arch9wavefront6targetE0EEEvT1_
                                        ; -- End function
	.section	.AMDGPU.csdata,"",@progbits
; Kernel info:
; codeLenInByte = 0
; NumSgprs: 0
; NumVgprs: 0
; ScratchSize: 0
; MemoryBound: 0
; FloatMode: 240
; IeeeMode: 1
; LDSByteSize: 0 bytes/workgroup (compile time only)
; SGPRBlocks: 0
; VGPRBlocks: 0
; NumSGPRsForWavesPerEU: 1
; NumVGPRsForWavesPerEU: 1
; Occupancy: 16
; WaveLimiterHint : 0
; COMPUTE_PGM_RSRC2:SCRATCH_EN: 0
; COMPUTE_PGM_RSRC2:USER_SGPR: 15
; COMPUTE_PGM_RSRC2:TRAP_HANDLER: 0
; COMPUTE_PGM_RSRC2:TGID_X_EN: 1
; COMPUTE_PGM_RSRC2:TGID_Y_EN: 0
; COMPUTE_PGM_RSRC2:TGID_Z_EN: 0
; COMPUTE_PGM_RSRC2:TIDIG_COMP_CNT: 0
	.section	.text._ZN7rocprim17ROCPRIM_400000_NS6detail17trampoline_kernelINS0_14default_configENS1_29reduce_by_key_config_selectorIffN6thrust23THRUST_200600_302600_NS4plusIfEEEEZZNS1_33reduce_by_key_impl_wrapped_configILNS1_25lookback_scan_determinismE0ES3_S9_NS6_6detail15normal_iteratorINS6_10device_ptrIfEEEESG_SG_SG_PmS8_NS6_8equal_toIfEEEE10hipError_tPvRmT2_T3_mT4_T5_T6_T7_T8_P12ihipStream_tbENKUlT_T0_E_clISt17integral_constantIbLb1EES10_IbLb0EEEEDaSW_SX_EUlSW_E_NS1_11comp_targetILNS1_3genE5ELNS1_11target_archE942ELNS1_3gpuE9ELNS1_3repE0EEENS1_30default_config_static_selectorELNS0_4arch9wavefront6targetE0EEEvT1_,"axG",@progbits,_ZN7rocprim17ROCPRIM_400000_NS6detail17trampoline_kernelINS0_14default_configENS1_29reduce_by_key_config_selectorIffN6thrust23THRUST_200600_302600_NS4plusIfEEEEZZNS1_33reduce_by_key_impl_wrapped_configILNS1_25lookback_scan_determinismE0ES3_S9_NS6_6detail15normal_iteratorINS6_10device_ptrIfEEEESG_SG_SG_PmS8_NS6_8equal_toIfEEEE10hipError_tPvRmT2_T3_mT4_T5_T6_T7_T8_P12ihipStream_tbENKUlT_T0_E_clISt17integral_constantIbLb1EES10_IbLb0EEEEDaSW_SX_EUlSW_E_NS1_11comp_targetILNS1_3genE5ELNS1_11target_archE942ELNS1_3gpuE9ELNS1_3repE0EEENS1_30default_config_static_selectorELNS0_4arch9wavefront6targetE0EEEvT1_,comdat
	.protected	_ZN7rocprim17ROCPRIM_400000_NS6detail17trampoline_kernelINS0_14default_configENS1_29reduce_by_key_config_selectorIffN6thrust23THRUST_200600_302600_NS4plusIfEEEEZZNS1_33reduce_by_key_impl_wrapped_configILNS1_25lookback_scan_determinismE0ES3_S9_NS6_6detail15normal_iteratorINS6_10device_ptrIfEEEESG_SG_SG_PmS8_NS6_8equal_toIfEEEE10hipError_tPvRmT2_T3_mT4_T5_T6_T7_T8_P12ihipStream_tbENKUlT_T0_E_clISt17integral_constantIbLb1EES10_IbLb0EEEEDaSW_SX_EUlSW_E_NS1_11comp_targetILNS1_3genE5ELNS1_11target_archE942ELNS1_3gpuE9ELNS1_3repE0EEENS1_30default_config_static_selectorELNS0_4arch9wavefront6targetE0EEEvT1_ ; -- Begin function _ZN7rocprim17ROCPRIM_400000_NS6detail17trampoline_kernelINS0_14default_configENS1_29reduce_by_key_config_selectorIffN6thrust23THRUST_200600_302600_NS4plusIfEEEEZZNS1_33reduce_by_key_impl_wrapped_configILNS1_25lookback_scan_determinismE0ES3_S9_NS6_6detail15normal_iteratorINS6_10device_ptrIfEEEESG_SG_SG_PmS8_NS6_8equal_toIfEEEE10hipError_tPvRmT2_T3_mT4_T5_T6_T7_T8_P12ihipStream_tbENKUlT_T0_E_clISt17integral_constantIbLb1EES10_IbLb0EEEEDaSW_SX_EUlSW_E_NS1_11comp_targetILNS1_3genE5ELNS1_11target_archE942ELNS1_3gpuE9ELNS1_3repE0EEENS1_30default_config_static_selectorELNS0_4arch9wavefront6targetE0EEEvT1_
	.globl	_ZN7rocprim17ROCPRIM_400000_NS6detail17trampoline_kernelINS0_14default_configENS1_29reduce_by_key_config_selectorIffN6thrust23THRUST_200600_302600_NS4plusIfEEEEZZNS1_33reduce_by_key_impl_wrapped_configILNS1_25lookback_scan_determinismE0ES3_S9_NS6_6detail15normal_iteratorINS6_10device_ptrIfEEEESG_SG_SG_PmS8_NS6_8equal_toIfEEEE10hipError_tPvRmT2_T3_mT4_T5_T6_T7_T8_P12ihipStream_tbENKUlT_T0_E_clISt17integral_constantIbLb1EES10_IbLb0EEEEDaSW_SX_EUlSW_E_NS1_11comp_targetILNS1_3genE5ELNS1_11target_archE942ELNS1_3gpuE9ELNS1_3repE0EEENS1_30default_config_static_selectorELNS0_4arch9wavefront6targetE0EEEvT1_
	.p2align	8
	.type	_ZN7rocprim17ROCPRIM_400000_NS6detail17trampoline_kernelINS0_14default_configENS1_29reduce_by_key_config_selectorIffN6thrust23THRUST_200600_302600_NS4plusIfEEEEZZNS1_33reduce_by_key_impl_wrapped_configILNS1_25lookback_scan_determinismE0ES3_S9_NS6_6detail15normal_iteratorINS6_10device_ptrIfEEEESG_SG_SG_PmS8_NS6_8equal_toIfEEEE10hipError_tPvRmT2_T3_mT4_T5_T6_T7_T8_P12ihipStream_tbENKUlT_T0_E_clISt17integral_constantIbLb1EES10_IbLb0EEEEDaSW_SX_EUlSW_E_NS1_11comp_targetILNS1_3genE5ELNS1_11target_archE942ELNS1_3gpuE9ELNS1_3repE0EEENS1_30default_config_static_selectorELNS0_4arch9wavefront6targetE0EEEvT1_,@function
_ZN7rocprim17ROCPRIM_400000_NS6detail17trampoline_kernelINS0_14default_configENS1_29reduce_by_key_config_selectorIffN6thrust23THRUST_200600_302600_NS4plusIfEEEEZZNS1_33reduce_by_key_impl_wrapped_configILNS1_25lookback_scan_determinismE0ES3_S9_NS6_6detail15normal_iteratorINS6_10device_ptrIfEEEESG_SG_SG_PmS8_NS6_8equal_toIfEEEE10hipError_tPvRmT2_T3_mT4_T5_T6_T7_T8_P12ihipStream_tbENKUlT_T0_E_clISt17integral_constantIbLb1EES10_IbLb0EEEEDaSW_SX_EUlSW_E_NS1_11comp_targetILNS1_3genE5ELNS1_11target_archE942ELNS1_3gpuE9ELNS1_3repE0EEENS1_30default_config_static_selectorELNS0_4arch9wavefront6targetE0EEEvT1_: ; @_ZN7rocprim17ROCPRIM_400000_NS6detail17trampoline_kernelINS0_14default_configENS1_29reduce_by_key_config_selectorIffN6thrust23THRUST_200600_302600_NS4plusIfEEEEZZNS1_33reduce_by_key_impl_wrapped_configILNS1_25lookback_scan_determinismE0ES3_S9_NS6_6detail15normal_iteratorINS6_10device_ptrIfEEEESG_SG_SG_PmS8_NS6_8equal_toIfEEEE10hipError_tPvRmT2_T3_mT4_T5_T6_T7_T8_P12ihipStream_tbENKUlT_T0_E_clISt17integral_constantIbLb1EES10_IbLb0EEEEDaSW_SX_EUlSW_E_NS1_11comp_targetILNS1_3genE5ELNS1_11target_archE942ELNS1_3gpuE9ELNS1_3repE0EEENS1_30default_config_static_selectorELNS0_4arch9wavefront6targetE0EEEvT1_
; %bb.0:
	.section	.rodata,"a",@progbits
	.p2align	6, 0x0
	.amdhsa_kernel _ZN7rocprim17ROCPRIM_400000_NS6detail17trampoline_kernelINS0_14default_configENS1_29reduce_by_key_config_selectorIffN6thrust23THRUST_200600_302600_NS4plusIfEEEEZZNS1_33reduce_by_key_impl_wrapped_configILNS1_25lookback_scan_determinismE0ES3_S9_NS6_6detail15normal_iteratorINS6_10device_ptrIfEEEESG_SG_SG_PmS8_NS6_8equal_toIfEEEE10hipError_tPvRmT2_T3_mT4_T5_T6_T7_T8_P12ihipStream_tbENKUlT_T0_E_clISt17integral_constantIbLb1EES10_IbLb0EEEEDaSW_SX_EUlSW_E_NS1_11comp_targetILNS1_3genE5ELNS1_11target_archE942ELNS1_3gpuE9ELNS1_3repE0EEENS1_30default_config_static_selectorELNS0_4arch9wavefront6targetE0EEEvT1_
		.amdhsa_group_segment_fixed_size 0
		.amdhsa_private_segment_fixed_size 0
		.amdhsa_kernarg_size 120
		.amdhsa_user_sgpr_count 15
		.amdhsa_user_sgpr_dispatch_ptr 0
		.amdhsa_user_sgpr_queue_ptr 0
		.amdhsa_user_sgpr_kernarg_segment_ptr 1
		.amdhsa_user_sgpr_dispatch_id 0
		.amdhsa_user_sgpr_private_segment_size 0
		.amdhsa_wavefront_size32 1
		.amdhsa_uses_dynamic_stack 0
		.amdhsa_enable_private_segment 0
		.amdhsa_system_sgpr_workgroup_id_x 1
		.amdhsa_system_sgpr_workgroup_id_y 0
		.amdhsa_system_sgpr_workgroup_id_z 0
		.amdhsa_system_sgpr_workgroup_info 0
		.amdhsa_system_vgpr_workitem_id 0
		.amdhsa_next_free_vgpr 1
		.amdhsa_next_free_sgpr 1
		.amdhsa_reserve_vcc 0
		.amdhsa_float_round_mode_32 0
		.amdhsa_float_round_mode_16_64 0
		.amdhsa_float_denorm_mode_32 3
		.amdhsa_float_denorm_mode_16_64 3
		.amdhsa_dx10_clamp 1
		.amdhsa_ieee_mode 1
		.amdhsa_fp16_overflow 0
		.amdhsa_workgroup_processor_mode 1
		.amdhsa_memory_ordered 1
		.amdhsa_forward_progress 0
		.amdhsa_shared_vgpr_count 0
		.amdhsa_exception_fp_ieee_invalid_op 0
		.amdhsa_exception_fp_denorm_src 0
		.amdhsa_exception_fp_ieee_div_zero 0
		.amdhsa_exception_fp_ieee_overflow 0
		.amdhsa_exception_fp_ieee_underflow 0
		.amdhsa_exception_fp_ieee_inexact 0
		.amdhsa_exception_int_div_zero 0
	.end_amdhsa_kernel
	.section	.text._ZN7rocprim17ROCPRIM_400000_NS6detail17trampoline_kernelINS0_14default_configENS1_29reduce_by_key_config_selectorIffN6thrust23THRUST_200600_302600_NS4plusIfEEEEZZNS1_33reduce_by_key_impl_wrapped_configILNS1_25lookback_scan_determinismE0ES3_S9_NS6_6detail15normal_iteratorINS6_10device_ptrIfEEEESG_SG_SG_PmS8_NS6_8equal_toIfEEEE10hipError_tPvRmT2_T3_mT4_T5_T6_T7_T8_P12ihipStream_tbENKUlT_T0_E_clISt17integral_constantIbLb1EES10_IbLb0EEEEDaSW_SX_EUlSW_E_NS1_11comp_targetILNS1_3genE5ELNS1_11target_archE942ELNS1_3gpuE9ELNS1_3repE0EEENS1_30default_config_static_selectorELNS0_4arch9wavefront6targetE0EEEvT1_,"axG",@progbits,_ZN7rocprim17ROCPRIM_400000_NS6detail17trampoline_kernelINS0_14default_configENS1_29reduce_by_key_config_selectorIffN6thrust23THRUST_200600_302600_NS4plusIfEEEEZZNS1_33reduce_by_key_impl_wrapped_configILNS1_25lookback_scan_determinismE0ES3_S9_NS6_6detail15normal_iteratorINS6_10device_ptrIfEEEESG_SG_SG_PmS8_NS6_8equal_toIfEEEE10hipError_tPvRmT2_T3_mT4_T5_T6_T7_T8_P12ihipStream_tbENKUlT_T0_E_clISt17integral_constantIbLb1EES10_IbLb0EEEEDaSW_SX_EUlSW_E_NS1_11comp_targetILNS1_3genE5ELNS1_11target_archE942ELNS1_3gpuE9ELNS1_3repE0EEENS1_30default_config_static_selectorELNS0_4arch9wavefront6targetE0EEEvT1_,comdat
.Lfunc_end183:
	.size	_ZN7rocprim17ROCPRIM_400000_NS6detail17trampoline_kernelINS0_14default_configENS1_29reduce_by_key_config_selectorIffN6thrust23THRUST_200600_302600_NS4plusIfEEEEZZNS1_33reduce_by_key_impl_wrapped_configILNS1_25lookback_scan_determinismE0ES3_S9_NS6_6detail15normal_iteratorINS6_10device_ptrIfEEEESG_SG_SG_PmS8_NS6_8equal_toIfEEEE10hipError_tPvRmT2_T3_mT4_T5_T6_T7_T8_P12ihipStream_tbENKUlT_T0_E_clISt17integral_constantIbLb1EES10_IbLb0EEEEDaSW_SX_EUlSW_E_NS1_11comp_targetILNS1_3genE5ELNS1_11target_archE942ELNS1_3gpuE9ELNS1_3repE0EEENS1_30default_config_static_selectorELNS0_4arch9wavefront6targetE0EEEvT1_, .Lfunc_end183-_ZN7rocprim17ROCPRIM_400000_NS6detail17trampoline_kernelINS0_14default_configENS1_29reduce_by_key_config_selectorIffN6thrust23THRUST_200600_302600_NS4plusIfEEEEZZNS1_33reduce_by_key_impl_wrapped_configILNS1_25lookback_scan_determinismE0ES3_S9_NS6_6detail15normal_iteratorINS6_10device_ptrIfEEEESG_SG_SG_PmS8_NS6_8equal_toIfEEEE10hipError_tPvRmT2_T3_mT4_T5_T6_T7_T8_P12ihipStream_tbENKUlT_T0_E_clISt17integral_constantIbLb1EES10_IbLb0EEEEDaSW_SX_EUlSW_E_NS1_11comp_targetILNS1_3genE5ELNS1_11target_archE942ELNS1_3gpuE9ELNS1_3repE0EEENS1_30default_config_static_selectorELNS0_4arch9wavefront6targetE0EEEvT1_
                                        ; -- End function
	.section	.AMDGPU.csdata,"",@progbits
; Kernel info:
; codeLenInByte = 0
; NumSgprs: 0
; NumVgprs: 0
; ScratchSize: 0
; MemoryBound: 0
; FloatMode: 240
; IeeeMode: 1
; LDSByteSize: 0 bytes/workgroup (compile time only)
; SGPRBlocks: 0
; VGPRBlocks: 0
; NumSGPRsForWavesPerEU: 1
; NumVGPRsForWavesPerEU: 1
; Occupancy: 16
; WaveLimiterHint : 0
; COMPUTE_PGM_RSRC2:SCRATCH_EN: 0
; COMPUTE_PGM_RSRC2:USER_SGPR: 15
; COMPUTE_PGM_RSRC2:TRAP_HANDLER: 0
; COMPUTE_PGM_RSRC2:TGID_X_EN: 1
; COMPUTE_PGM_RSRC2:TGID_Y_EN: 0
; COMPUTE_PGM_RSRC2:TGID_Z_EN: 0
; COMPUTE_PGM_RSRC2:TIDIG_COMP_CNT: 0
	.section	.text._ZN7rocprim17ROCPRIM_400000_NS6detail17trampoline_kernelINS0_14default_configENS1_29reduce_by_key_config_selectorIffN6thrust23THRUST_200600_302600_NS4plusIfEEEEZZNS1_33reduce_by_key_impl_wrapped_configILNS1_25lookback_scan_determinismE0ES3_S9_NS6_6detail15normal_iteratorINS6_10device_ptrIfEEEESG_SG_SG_PmS8_NS6_8equal_toIfEEEE10hipError_tPvRmT2_T3_mT4_T5_T6_T7_T8_P12ihipStream_tbENKUlT_T0_E_clISt17integral_constantIbLb1EES10_IbLb0EEEEDaSW_SX_EUlSW_E_NS1_11comp_targetILNS1_3genE4ELNS1_11target_archE910ELNS1_3gpuE8ELNS1_3repE0EEENS1_30default_config_static_selectorELNS0_4arch9wavefront6targetE0EEEvT1_,"axG",@progbits,_ZN7rocprim17ROCPRIM_400000_NS6detail17trampoline_kernelINS0_14default_configENS1_29reduce_by_key_config_selectorIffN6thrust23THRUST_200600_302600_NS4plusIfEEEEZZNS1_33reduce_by_key_impl_wrapped_configILNS1_25lookback_scan_determinismE0ES3_S9_NS6_6detail15normal_iteratorINS6_10device_ptrIfEEEESG_SG_SG_PmS8_NS6_8equal_toIfEEEE10hipError_tPvRmT2_T3_mT4_T5_T6_T7_T8_P12ihipStream_tbENKUlT_T0_E_clISt17integral_constantIbLb1EES10_IbLb0EEEEDaSW_SX_EUlSW_E_NS1_11comp_targetILNS1_3genE4ELNS1_11target_archE910ELNS1_3gpuE8ELNS1_3repE0EEENS1_30default_config_static_selectorELNS0_4arch9wavefront6targetE0EEEvT1_,comdat
	.protected	_ZN7rocprim17ROCPRIM_400000_NS6detail17trampoline_kernelINS0_14default_configENS1_29reduce_by_key_config_selectorIffN6thrust23THRUST_200600_302600_NS4plusIfEEEEZZNS1_33reduce_by_key_impl_wrapped_configILNS1_25lookback_scan_determinismE0ES3_S9_NS6_6detail15normal_iteratorINS6_10device_ptrIfEEEESG_SG_SG_PmS8_NS6_8equal_toIfEEEE10hipError_tPvRmT2_T3_mT4_T5_T6_T7_T8_P12ihipStream_tbENKUlT_T0_E_clISt17integral_constantIbLb1EES10_IbLb0EEEEDaSW_SX_EUlSW_E_NS1_11comp_targetILNS1_3genE4ELNS1_11target_archE910ELNS1_3gpuE8ELNS1_3repE0EEENS1_30default_config_static_selectorELNS0_4arch9wavefront6targetE0EEEvT1_ ; -- Begin function _ZN7rocprim17ROCPRIM_400000_NS6detail17trampoline_kernelINS0_14default_configENS1_29reduce_by_key_config_selectorIffN6thrust23THRUST_200600_302600_NS4plusIfEEEEZZNS1_33reduce_by_key_impl_wrapped_configILNS1_25lookback_scan_determinismE0ES3_S9_NS6_6detail15normal_iteratorINS6_10device_ptrIfEEEESG_SG_SG_PmS8_NS6_8equal_toIfEEEE10hipError_tPvRmT2_T3_mT4_T5_T6_T7_T8_P12ihipStream_tbENKUlT_T0_E_clISt17integral_constantIbLb1EES10_IbLb0EEEEDaSW_SX_EUlSW_E_NS1_11comp_targetILNS1_3genE4ELNS1_11target_archE910ELNS1_3gpuE8ELNS1_3repE0EEENS1_30default_config_static_selectorELNS0_4arch9wavefront6targetE0EEEvT1_
	.globl	_ZN7rocprim17ROCPRIM_400000_NS6detail17trampoline_kernelINS0_14default_configENS1_29reduce_by_key_config_selectorIffN6thrust23THRUST_200600_302600_NS4plusIfEEEEZZNS1_33reduce_by_key_impl_wrapped_configILNS1_25lookback_scan_determinismE0ES3_S9_NS6_6detail15normal_iteratorINS6_10device_ptrIfEEEESG_SG_SG_PmS8_NS6_8equal_toIfEEEE10hipError_tPvRmT2_T3_mT4_T5_T6_T7_T8_P12ihipStream_tbENKUlT_T0_E_clISt17integral_constantIbLb1EES10_IbLb0EEEEDaSW_SX_EUlSW_E_NS1_11comp_targetILNS1_3genE4ELNS1_11target_archE910ELNS1_3gpuE8ELNS1_3repE0EEENS1_30default_config_static_selectorELNS0_4arch9wavefront6targetE0EEEvT1_
	.p2align	8
	.type	_ZN7rocprim17ROCPRIM_400000_NS6detail17trampoline_kernelINS0_14default_configENS1_29reduce_by_key_config_selectorIffN6thrust23THRUST_200600_302600_NS4plusIfEEEEZZNS1_33reduce_by_key_impl_wrapped_configILNS1_25lookback_scan_determinismE0ES3_S9_NS6_6detail15normal_iteratorINS6_10device_ptrIfEEEESG_SG_SG_PmS8_NS6_8equal_toIfEEEE10hipError_tPvRmT2_T3_mT4_T5_T6_T7_T8_P12ihipStream_tbENKUlT_T0_E_clISt17integral_constantIbLb1EES10_IbLb0EEEEDaSW_SX_EUlSW_E_NS1_11comp_targetILNS1_3genE4ELNS1_11target_archE910ELNS1_3gpuE8ELNS1_3repE0EEENS1_30default_config_static_selectorELNS0_4arch9wavefront6targetE0EEEvT1_,@function
_ZN7rocprim17ROCPRIM_400000_NS6detail17trampoline_kernelINS0_14default_configENS1_29reduce_by_key_config_selectorIffN6thrust23THRUST_200600_302600_NS4plusIfEEEEZZNS1_33reduce_by_key_impl_wrapped_configILNS1_25lookback_scan_determinismE0ES3_S9_NS6_6detail15normal_iteratorINS6_10device_ptrIfEEEESG_SG_SG_PmS8_NS6_8equal_toIfEEEE10hipError_tPvRmT2_T3_mT4_T5_T6_T7_T8_P12ihipStream_tbENKUlT_T0_E_clISt17integral_constantIbLb1EES10_IbLb0EEEEDaSW_SX_EUlSW_E_NS1_11comp_targetILNS1_3genE4ELNS1_11target_archE910ELNS1_3gpuE8ELNS1_3repE0EEENS1_30default_config_static_selectorELNS0_4arch9wavefront6targetE0EEEvT1_: ; @_ZN7rocprim17ROCPRIM_400000_NS6detail17trampoline_kernelINS0_14default_configENS1_29reduce_by_key_config_selectorIffN6thrust23THRUST_200600_302600_NS4plusIfEEEEZZNS1_33reduce_by_key_impl_wrapped_configILNS1_25lookback_scan_determinismE0ES3_S9_NS6_6detail15normal_iteratorINS6_10device_ptrIfEEEESG_SG_SG_PmS8_NS6_8equal_toIfEEEE10hipError_tPvRmT2_T3_mT4_T5_T6_T7_T8_P12ihipStream_tbENKUlT_T0_E_clISt17integral_constantIbLb1EES10_IbLb0EEEEDaSW_SX_EUlSW_E_NS1_11comp_targetILNS1_3genE4ELNS1_11target_archE910ELNS1_3gpuE8ELNS1_3repE0EEENS1_30default_config_static_selectorELNS0_4arch9wavefront6targetE0EEEvT1_
; %bb.0:
	.section	.rodata,"a",@progbits
	.p2align	6, 0x0
	.amdhsa_kernel _ZN7rocprim17ROCPRIM_400000_NS6detail17trampoline_kernelINS0_14default_configENS1_29reduce_by_key_config_selectorIffN6thrust23THRUST_200600_302600_NS4plusIfEEEEZZNS1_33reduce_by_key_impl_wrapped_configILNS1_25lookback_scan_determinismE0ES3_S9_NS6_6detail15normal_iteratorINS6_10device_ptrIfEEEESG_SG_SG_PmS8_NS6_8equal_toIfEEEE10hipError_tPvRmT2_T3_mT4_T5_T6_T7_T8_P12ihipStream_tbENKUlT_T0_E_clISt17integral_constantIbLb1EES10_IbLb0EEEEDaSW_SX_EUlSW_E_NS1_11comp_targetILNS1_3genE4ELNS1_11target_archE910ELNS1_3gpuE8ELNS1_3repE0EEENS1_30default_config_static_selectorELNS0_4arch9wavefront6targetE0EEEvT1_
		.amdhsa_group_segment_fixed_size 0
		.amdhsa_private_segment_fixed_size 0
		.amdhsa_kernarg_size 120
		.amdhsa_user_sgpr_count 15
		.amdhsa_user_sgpr_dispatch_ptr 0
		.amdhsa_user_sgpr_queue_ptr 0
		.amdhsa_user_sgpr_kernarg_segment_ptr 1
		.amdhsa_user_sgpr_dispatch_id 0
		.amdhsa_user_sgpr_private_segment_size 0
		.amdhsa_wavefront_size32 1
		.amdhsa_uses_dynamic_stack 0
		.amdhsa_enable_private_segment 0
		.amdhsa_system_sgpr_workgroup_id_x 1
		.amdhsa_system_sgpr_workgroup_id_y 0
		.amdhsa_system_sgpr_workgroup_id_z 0
		.amdhsa_system_sgpr_workgroup_info 0
		.amdhsa_system_vgpr_workitem_id 0
		.amdhsa_next_free_vgpr 1
		.amdhsa_next_free_sgpr 1
		.amdhsa_reserve_vcc 0
		.amdhsa_float_round_mode_32 0
		.amdhsa_float_round_mode_16_64 0
		.amdhsa_float_denorm_mode_32 3
		.amdhsa_float_denorm_mode_16_64 3
		.amdhsa_dx10_clamp 1
		.amdhsa_ieee_mode 1
		.amdhsa_fp16_overflow 0
		.amdhsa_workgroup_processor_mode 1
		.amdhsa_memory_ordered 1
		.amdhsa_forward_progress 0
		.amdhsa_shared_vgpr_count 0
		.amdhsa_exception_fp_ieee_invalid_op 0
		.amdhsa_exception_fp_denorm_src 0
		.amdhsa_exception_fp_ieee_div_zero 0
		.amdhsa_exception_fp_ieee_overflow 0
		.amdhsa_exception_fp_ieee_underflow 0
		.amdhsa_exception_fp_ieee_inexact 0
		.amdhsa_exception_int_div_zero 0
	.end_amdhsa_kernel
	.section	.text._ZN7rocprim17ROCPRIM_400000_NS6detail17trampoline_kernelINS0_14default_configENS1_29reduce_by_key_config_selectorIffN6thrust23THRUST_200600_302600_NS4plusIfEEEEZZNS1_33reduce_by_key_impl_wrapped_configILNS1_25lookback_scan_determinismE0ES3_S9_NS6_6detail15normal_iteratorINS6_10device_ptrIfEEEESG_SG_SG_PmS8_NS6_8equal_toIfEEEE10hipError_tPvRmT2_T3_mT4_T5_T6_T7_T8_P12ihipStream_tbENKUlT_T0_E_clISt17integral_constantIbLb1EES10_IbLb0EEEEDaSW_SX_EUlSW_E_NS1_11comp_targetILNS1_3genE4ELNS1_11target_archE910ELNS1_3gpuE8ELNS1_3repE0EEENS1_30default_config_static_selectorELNS0_4arch9wavefront6targetE0EEEvT1_,"axG",@progbits,_ZN7rocprim17ROCPRIM_400000_NS6detail17trampoline_kernelINS0_14default_configENS1_29reduce_by_key_config_selectorIffN6thrust23THRUST_200600_302600_NS4plusIfEEEEZZNS1_33reduce_by_key_impl_wrapped_configILNS1_25lookback_scan_determinismE0ES3_S9_NS6_6detail15normal_iteratorINS6_10device_ptrIfEEEESG_SG_SG_PmS8_NS6_8equal_toIfEEEE10hipError_tPvRmT2_T3_mT4_T5_T6_T7_T8_P12ihipStream_tbENKUlT_T0_E_clISt17integral_constantIbLb1EES10_IbLb0EEEEDaSW_SX_EUlSW_E_NS1_11comp_targetILNS1_3genE4ELNS1_11target_archE910ELNS1_3gpuE8ELNS1_3repE0EEENS1_30default_config_static_selectorELNS0_4arch9wavefront6targetE0EEEvT1_,comdat
.Lfunc_end184:
	.size	_ZN7rocprim17ROCPRIM_400000_NS6detail17trampoline_kernelINS0_14default_configENS1_29reduce_by_key_config_selectorIffN6thrust23THRUST_200600_302600_NS4plusIfEEEEZZNS1_33reduce_by_key_impl_wrapped_configILNS1_25lookback_scan_determinismE0ES3_S9_NS6_6detail15normal_iteratorINS6_10device_ptrIfEEEESG_SG_SG_PmS8_NS6_8equal_toIfEEEE10hipError_tPvRmT2_T3_mT4_T5_T6_T7_T8_P12ihipStream_tbENKUlT_T0_E_clISt17integral_constantIbLb1EES10_IbLb0EEEEDaSW_SX_EUlSW_E_NS1_11comp_targetILNS1_3genE4ELNS1_11target_archE910ELNS1_3gpuE8ELNS1_3repE0EEENS1_30default_config_static_selectorELNS0_4arch9wavefront6targetE0EEEvT1_, .Lfunc_end184-_ZN7rocprim17ROCPRIM_400000_NS6detail17trampoline_kernelINS0_14default_configENS1_29reduce_by_key_config_selectorIffN6thrust23THRUST_200600_302600_NS4plusIfEEEEZZNS1_33reduce_by_key_impl_wrapped_configILNS1_25lookback_scan_determinismE0ES3_S9_NS6_6detail15normal_iteratorINS6_10device_ptrIfEEEESG_SG_SG_PmS8_NS6_8equal_toIfEEEE10hipError_tPvRmT2_T3_mT4_T5_T6_T7_T8_P12ihipStream_tbENKUlT_T0_E_clISt17integral_constantIbLb1EES10_IbLb0EEEEDaSW_SX_EUlSW_E_NS1_11comp_targetILNS1_3genE4ELNS1_11target_archE910ELNS1_3gpuE8ELNS1_3repE0EEENS1_30default_config_static_selectorELNS0_4arch9wavefront6targetE0EEEvT1_
                                        ; -- End function
	.section	.AMDGPU.csdata,"",@progbits
; Kernel info:
; codeLenInByte = 0
; NumSgprs: 0
; NumVgprs: 0
; ScratchSize: 0
; MemoryBound: 0
; FloatMode: 240
; IeeeMode: 1
; LDSByteSize: 0 bytes/workgroup (compile time only)
; SGPRBlocks: 0
; VGPRBlocks: 0
; NumSGPRsForWavesPerEU: 1
; NumVGPRsForWavesPerEU: 1
; Occupancy: 16
; WaveLimiterHint : 0
; COMPUTE_PGM_RSRC2:SCRATCH_EN: 0
; COMPUTE_PGM_RSRC2:USER_SGPR: 15
; COMPUTE_PGM_RSRC2:TRAP_HANDLER: 0
; COMPUTE_PGM_RSRC2:TGID_X_EN: 1
; COMPUTE_PGM_RSRC2:TGID_Y_EN: 0
; COMPUTE_PGM_RSRC2:TGID_Z_EN: 0
; COMPUTE_PGM_RSRC2:TIDIG_COMP_CNT: 0
	.section	.text._ZN7rocprim17ROCPRIM_400000_NS6detail17trampoline_kernelINS0_14default_configENS1_29reduce_by_key_config_selectorIffN6thrust23THRUST_200600_302600_NS4plusIfEEEEZZNS1_33reduce_by_key_impl_wrapped_configILNS1_25lookback_scan_determinismE0ES3_S9_NS6_6detail15normal_iteratorINS6_10device_ptrIfEEEESG_SG_SG_PmS8_NS6_8equal_toIfEEEE10hipError_tPvRmT2_T3_mT4_T5_T6_T7_T8_P12ihipStream_tbENKUlT_T0_E_clISt17integral_constantIbLb1EES10_IbLb0EEEEDaSW_SX_EUlSW_E_NS1_11comp_targetILNS1_3genE3ELNS1_11target_archE908ELNS1_3gpuE7ELNS1_3repE0EEENS1_30default_config_static_selectorELNS0_4arch9wavefront6targetE0EEEvT1_,"axG",@progbits,_ZN7rocprim17ROCPRIM_400000_NS6detail17trampoline_kernelINS0_14default_configENS1_29reduce_by_key_config_selectorIffN6thrust23THRUST_200600_302600_NS4plusIfEEEEZZNS1_33reduce_by_key_impl_wrapped_configILNS1_25lookback_scan_determinismE0ES3_S9_NS6_6detail15normal_iteratorINS6_10device_ptrIfEEEESG_SG_SG_PmS8_NS6_8equal_toIfEEEE10hipError_tPvRmT2_T3_mT4_T5_T6_T7_T8_P12ihipStream_tbENKUlT_T0_E_clISt17integral_constantIbLb1EES10_IbLb0EEEEDaSW_SX_EUlSW_E_NS1_11comp_targetILNS1_3genE3ELNS1_11target_archE908ELNS1_3gpuE7ELNS1_3repE0EEENS1_30default_config_static_selectorELNS0_4arch9wavefront6targetE0EEEvT1_,comdat
	.protected	_ZN7rocprim17ROCPRIM_400000_NS6detail17trampoline_kernelINS0_14default_configENS1_29reduce_by_key_config_selectorIffN6thrust23THRUST_200600_302600_NS4plusIfEEEEZZNS1_33reduce_by_key_impl_wrapped_configILNS1_25lookback_scan_determinismE0ES3_S9_NS6_6detail15normal_iteratorINS6_10device_ptrIfEEEESG_SG_SG_PmS8_NS6_8equal_toIfEEEE10hipError_tPvRmT2_T3_mT4_T5_T6_T7_T8_P12ihipStream_tbENKUlT_T0_E_clISt17integral_constantIbLb1EES10_IbLb0EEEEDaSW_SX_EUlSW_E_NS1_11comp_targetILNS1_3genE3ELNS1_11target_archE908ELNS1_3gpuE7ELNS1_3repE0EEENS1_30default_config_static_selectorELNS0_4arch9wavefront6targetE0EEEvT1_ ; -- Begin function _ZN7rocprim17ROCPRIM_400000_NS6detail17trampoline_kernelINS0_14default_configENS1_29reduce_by_key_config_selectorIffN6thrust23THRUST_200600_302600_NS4plusIfEEEEZZNS1_33reduce_by_key_impl_wrapped_configILNS1_25lookback_scan_determinismE0ES3_S9_NS6_6detail15normal_iteratorINS6_10device_ptrIfEEEESG_SG_SG_PmS8_NS6_8equal_toIfEEEE10hipError_tPvRmT2_T3_mT4_T5_T6_T7_T8_P12ihipStream_tbENKUlT_T0_E_clISt17integral_constantIbLb1EES10_IbLb0EEEEDaSW_SX_EUlSW_E_NS1_11comp_targetILNS1_3genE3ELNS1_11target_archE908ELNS1_3gpuE7ELNS1_3repE0EEENS1_30default_config_static_selectorELNS0_4arch9wavefront6targetE0EEEvT1_
	.globl	_ZN7rocprim17ROCPRIM_400000_NS6detail17trampoline_kernelINS0_14default_configENS1_29reduce_by_key_config_selectorIffN6thrust23THRUST_200600_302600_NS4plusIfEEEEZZNS1_33reduce_by_key_impl_wrapped_configILNS1_25lookback_scan_determinismE0ES3_S9_NS6_6detail15normal_iteratorINS6_10device_ptrIfEEEESG_SG_SG_PmS8_NS6_8equal_toIfEEEE10hipError_tPvRmT2_T3_mT4_T5_T6_T7_T8_P12ihipStream_tbENKUlT_T0_E_clISt17integral_constantIbLb1EES10_IbLb0EEEEDaSW_SX_EUlSW_E_NS1_11comp_targetILNS1_3genE3ELNS1_11target_archE908ELNS1_3gpuE7ELNS1_3repE0EEENS1_30default_config_static_selectorELNS0_4arch9wavefront6targetE0EEEvT1_
	.p2align	8
	.type	_ZN7rocprim17ROCPRIM_400000_NS6detail17trampoline_kernelINS0_14default_configENS1_29reduce_by_key_config_selectorIffN6thrust23THRUST_200600_302600_NS4plusIfEEEEZZNS1_33reduce_by_key_impl_wrapped_configILNS1_25lookback_scan_determinismE0ES3_S9_NS6_6detail15normal_iteratorINS6_10device_ptrIfEEEESG_SG_SG_PmS8_NS6_8equal_toIfEEEE10hipError_tPvRmT2_T3_mT4_T5_T6_T7_T8_P12ihipStream_tbENKUlT_T0_E_clISt17integral_constantIbLb1EES10_IbLb0EEEEDaSW_SX_EUlSW_E_NS1_11comp_targetILNS1_3genE3ELNS1_11target_archE908ELNS1_3gpuE7ELNS1_3repE0EEENS1_30default_config_static_selectorELNS0_4arch9wavefront6targetE0EEEvT1_,@function
_ZN7rocprim17ROCPRIM_400000_NS6detail17trampoline_kernelINS0_14default_configENS1_29reduce_by_key_config_selectorIffN6thrust23THRUST_200600_302600_NS4plusIfEEEEZZNS1_33reduce_by_key_impl_wrapped_configILNS1_25lookback_scan_determinismE0ES3_S9_NS6_6detail15normal_iteratorINS6_10device_ptrIfEEEESG_SG_SG_PmS8_NS6_8equal_toIfEEEE10hipError_tPvRmT2_T3_mT4_T5_T6_T7_T8_P12ihipStream_tbENKUlT_T0_E_clISt17integral_constantIbLb1EES10_IbLb0EEEEDaSW_SX_EUlSW_E_NS1_11comp_targetILNS1_3genE3ELNS1_11target_archE908ELNS1_3gpuE7ELNS1_3repE0EEENS1_30default_config_static_selectorELNS0_4arch9wavefront6targetE0EEEvT1_: ; @_ZN7rocprim17ROCPRIM_400000_NS6detail17trampoline_kernelINS0_14default_configENS1_29reduce_by_key_config_selectorIffN6thrust23THRUST_200600_302600_NS4plusIfEEEEZZNS1_33reduce_by_key_impl_wrapped_configILNS1_25lookback_scan_determinismE0ES3_S9_NS6_6detail15normal_iteratorINS6_10device_ptrIfEEEESG_SG_SG_PmS8_NS6_8equal_toIfEEEE10hipError_tPvRmT2_T3_mT4_T5_T6_T7_T8_P12ihipStream_tbENKUlT_T0_E_clISt17integral_constantIbLb1EES10_IbLb0EEEEDaSW_SX_EUlSW_E_NS1_11comp_targetILNS1_3genE3ELNS1_11target_archE908ELNS1_3gpuE7ELNS1_3repE0EEENS1_30default_config_static_selectorELNS0_4arch9wavefront6targetE0EEEvT1_
; %bb.0:
	.section	.rodata,"a",@progbits
	.p2align	6, 0x0
	.amdhsa_kernel _ZN7rocprim17ROCPRIM_400000_NS6detail17trampoline_kernelINS0_14default_configENS1_29reduce_by_key_config_selectorIffN6thrust23THRUST_200600_302600_NS4plusIfEEEEZZNS1_33reduce_by_key_impl_wrapped_configILNS1_25lookback_scan_determinismE0ES3_S9_NS6_6detail15normal_iteratorINS6_10device_ptrIfEEEESG_SG_SG_PmS8_NS6_8equal_toIfEEEE10hipError_tPvRmT2_T3_mT4_T5_T6_T7_T8_P12ihipStream_tbENKUlT_T0_E_clISt17integral_constantIbLb1EES10_IbLb0EEEEDaSW_SX_EUlSW_E_NS1_11comp_targetILNS1_3genE3ELNS1_11target_archE908ELNS1_3gpuE7ELNS1_3repE0EEENS1_30default_config_static_selectorELNS0_4arch9wavefront6targetE0EEEvT1_
		.amdhsa_group_segment_fixed_size 0
		.amdhsa_private_segment_fixed_size 0
		.amdhsa_kernarg_size 120
		.amdhsa_user_sgpr_count 15
		.amdhsa_user_sgpr_dispatch_ptr 0
		.amdhsa_user_sgpr_queue_ptr 0
		.amdhsa_user_sgpr_kernarg_segment_ptr 1
		.amdhsa_user_sgpr_dispatch_id 0
		.amdhsa_user_sgpr_private_segment_size 0
		.amdhsa_wavefront_size32 1
		.amdhsa_uses_dynamic_stack 0
		.amdhsa_enable_private_segment 0
		.amdhsa_system_sgpr_workgroup_id_x 1
		.amdhsa_system_sgpr_workgroup_id_y 0
		.amdhsa_system_sgpr_workgroup_id_z 0
		.amdhsa_system_sgpr_workgroup_info 0
		.amdhsa_system_vgpr_workitem_id 0
		.amdhsa_next_free_vgpr 1
		.amdhsa_next_free_sgpr 1
		.amdhsa_reserve_vcc 0
		.amdhsa_float_round_mode_32 0
		.amdhsa_float_round_mode_16_64 0
		.amdhsa_float_denorm_mode_32 3
		.amdhsa_float_denorm_mode_16_64 3
		.amdhsa_dx10_clamp 1
		.amdhsa_ieee_mode 1
		.amdhsa_fp16_overflow 0
		.amdhsa_workgroup_processor_mode 1
		.amdhsa_memory_ordered 1
		.amdhsa_forward_progress 0
		.amdhsa_shared_vgpr_count 0
		.amdhsa_exception_fp_ieee_invalid_op 0
		.amdhsa_exception_fp_denorm_src 0
		.amdhsa_exception_fp_ieee_div_zero 0
		.amdhsa_exception_fp_ieee_overflow 0
		.amdhsa_exception_fp_ieee_underflow 0
		.amdhsa_exception_fp_ieee_inexact 0
		.amdhsa_exception_int_div_zero 0
	.end_amdhsa_kernel
	.section	.text._ZN7rocprim17ROCPRIM_400000_NS6detail17trampoline_kernelINS0_14default_configENS1_29reduce_by_key_config_selectorIffN6thrust23THRUST_200600_302600_NS4plusIfEEEEZZNS1_33reduce_by_key_impl_wrapped_configILNS1_25lookback_scan_determinismE0ES3_S9_NS6_6detail15normal_iteratorINS6_10device_ptrIfEEEESG_SG_SG_PmS8_NS6_8equal_toIfEEEE10hipError_tPvRmT2_T3_mT4_T5_T6_T7_T8_P12ihipStream_tbENKUlT_T0_E_clISt17integral_constantIbLb1EES10_IbLb0EEEEDaSW_SX_EUlSW_E_NS1_11comp_targetILNS1_3genE3ELNS1_11target_archE908ELNS1_3gpuE7ELNS1_3repE0EEENS1_30default_config_static_selectorELNS0_4arch9wavefront6targetE0EEEvT1_,"axG",@progbits,_ZN7rocprim17ROCPRIM_400000_NS6detail17trampoline_kernelINS0_14default_configENS1_29reduce_by_key_config_selectorIffN6thrust23THRUST_200600_302600_NS4plusIfEEEEZZNS1_33reduce_by_key_impl_wrapped_configILNS1_25lookback_scan_determinismE0ES3_S9_NS6_6detail15normal_iteratorINS6_10device_ptrIfEEEESG_SG_SG_PmS8_NS6_8equal_toIfEEEE10hipError_tPvRmT2_T3_mT4_T5_T6_T7_T8_P12ihipStream_tbENKUlT_T0_E_clISt17integral_constantIbLb1EES10_IbLb0EEEEDaSW_SX_EUlSW_E_NS1_11comp_targetILNS1_3genE3ELNS1_11target_archE908ELNS1_3gpuE7ELNS1_3repE0EEENS1_30default_config_static_selectorELNS0_4arch9wavefront6targetE0EEEvT1_,comdat
.Lfunc_end185:
	.size	_ZN7rocprim17ROCPRIM_400000_NS6detail17trampoline_kernelINS0_14default_configENS1_29reduce_by_key_config_selectorIffN6thrust23THRUST_200600_302600_NS4plusIfEEEEZZNS1_33reduce_by_key_impl_wrapped_configILNS1_25lookback_scan_determinismE0ES3_S9_NS6_6detail15normal_iteratorINS6_10device_ptrIfEEEESG_SG_SG_PmS8_NS6_8equal_toIfEEEE10hipError_tPvRmT2_T3_mT4_T5_T6_T7_T8_P12ihipStream_tbENKUlT_T0_E_clISt17integral_constantIbLb1EES10_IbLb0EEEEDaSW_SX_EUlSW_E_NS1_11comp_targetILNS1_3genE3ELNS1_11target_archE908ELNS1_3gpuE7ELNS1_3repE0EEENS1_30default_config_static_selectorELNS0_4arch9wavefront6targetE0EEEvT1_, .Lfunc_end185-_ZN7rocprim17ROCPRIM_400000_NS6detail17trampoline_kernelINS0_14default_configENS1_29reduce_by_key_config_selectorIffN6thrust23THRUST_200600_302600_NS4plusIfEEEEZZNS1_33reduce_by_key_impl_wrapped_configILNS1_25lookback_scan_determinismE0ES3_S9_NS6_6detail15normal_iteratorINS6_10device_ptrIfEEEESG_SG_SG_PmS8_NS6_8equal_toIfEEEE10hipError_tPvRmT2_T3_mT4_T5_T6_T7_T8_P12ihipStream_tbENKUlT_T0_E_clISt17integral_constantIbLb1EES10_IbLb0EEEEDaSW_SX_EUlSW_E_NS1_11comp_targetILNS1_3genE3ELNS1_11target_archE908ELNS1_3gpuE7ELNS1_3repE0EEENS1_30default_config_static_selectorELNS0_4arch9wavefront6targetE0EEEvT1_
                                        ; -- End function
	.section	.AMDGPU.csdata,"",@progbits
; Kernel info:
; codeLenInByte = 0
; NumSgprs: 0
; NumVgprs: 0
; ScratchSize: 0
; MemoryBound: 0
; FloatMode: 240
; IeeeMode: 1
; LDSByteSize: 0 bytes/workgroup (compile time only)
; SGPRBlocks: 0
; VGPRBlocks: 0
; NumSGPRsForWavesPerEU: 1
; NumVGPRsForWavesPerEU: 1
; Occupancy: 16
; WaveLimiterHint : 0
; COMPUTE_PGM_RSRC2:SCRATCH_EN: 0
; COMPUTE_PGM_RSRC2:USER_SGPR: 15
; COMPUTE_PGM_RSRC2:TRAP_HANDLER: 0
; COMPUTE_PGM_RSRC2:TGID_X_EN: 1
; COMPUTE_PGM_RSRC2:TGID_Y_EN: 0
; COMPUTE_PGM_RSRC2:TGID_Z_EN: 0
; COMPUTE_PGM_RSRC2:TIDIG_COMP_CNT: 0
	.section	.text._ZN7rocprim17ROCPRIM_400000_NS6detail17trampoline_kernelINS0_14default_configENS1_29reduce_by_key_config_selectorIffN6thrust23THRUST_200600_302600_NS4plusIfEEEEZZNS1_33reduce_by_key_impl_wrapped_configILNS1_25lookback_scan_determinismE0ES3_S9_NS6_6detail15normal_iteratorINS6_10device_ptrIfEEEESG_SG_SG_PmS8_NS6_8equal_toIfEEEE10hipError_tPvRmT2_T3_mT4_T5_T6_T7_T8_P12ihipStream_tbENKUlT_T0_E_clISt17integral_constantIbLb1EES10_IbLb0EEEEDaSW_SX_EUlSW_E_NS1_11comp_targetILNS1_3genE2ELNS1_11target_archE906ELNS1_3gpuE6ELNS1_3repE0EEENS1_30default_config_static_selectorELNS0_4arch9wavefront6targetE0EEEvT1_,"axG",@progbits,_ZN7rocprim17ROCPRIM_400000_NS6detail17trampoline_kernelINS0_14default_configENS1_29reduce_by_key_config_selectorIffN6thrust23THRUST_200600_302600_NS4plusIfEEEEZZNS1_33reduce_by_key_impl_wrapped_configILNS1_25lookback_scan_determinismE0ES3_S9_NS6_6detail15normal_iteratorINS6_10device_ptrIfEEEESG_SG_SG_PmS8_NS6_8equal_toIfEEEE10hipError_tPvRmT2_T3_mT4_T5_T6_T7_T8_P12ihipStream_tbENKUlT_T0_E_clISt17integral_constantIbLb1EES10_IbLb0EEEEDaSW_SX_EUlSW_E_NS1_11comp_targetILNS1_3genE2ELNS1_11target_archE906ELNS1_3gpuE6ELNS1_3repE0EEENS1_30default_config_static_selectorELNS0_4arch9wavefront6targetE0EEEvT1_,comdat
	.protected	_ZN7rocprim17ROCPRIM_400000_NS6detail17trampoline_kernelINS0_14default_configENS1_29reduce_by_key_config_selectorIffN6thrust23THRUST_200600_302600_NS4plusIfEEEEZZNS1_33reduce_by_key_impl_wrapped_configILNS1_25lookback_scan_determinismE0ES3_S9_NS6_6detail15normal_iteratorINS6_10device_ptrIfEEEESG_SG_SG_PmS8_NS6_8equal_toIfEEEE10hipError_tPvRmT2_T3_mT4_T5_T6_T7_T8_P12ihipStream_tbENKUlT_T0_E_clISt17integral_constantIbLb1EES10_IbLb0EEEEDaSW_SX_EUlSW_E_NS1_11comp_targetILNS1_3genE2ELNS1_11target_archE906ELNS1_3gpuE6ELNS1_3repE0EEENS1_30default_config_static_selectorELNS0_4arch9wavefront6targetE0EEEvT1_ ; -- Begin function _ZN7rocprim17ROCPRIM_400000_NS6detail17trampoline_kernelINS0_14default_configENS1_29reduce_by_key_config_selectorIffN6thrust23THRUST_200600_302600_NS4plusIfEEEEZZNS1_33reduce_by_key_impl_wrapped_configILNS1_25lookback_scan_determinismE0ES3_S9_NS6_6detail15normal_iteratorINS6_10device_ptrIfEEEESG_SG_SG_PmS8_NS6_8equal_toIfEEEE10hipError_tPvRmT2_T3_mT4_T5_T6_T7_T8_P12ihipStream_tbENKUlT_T0_E_clISt17integral_constantIbLb1EES10_IbLb0EEEEDaSW_SX_EUlSW_E_NS1_11comp_targetILNS1_3genE2ELNS1_11target_archE906ELNS1_3gpuE6ELNS1_3repE0EEENS1_30default_config_static_selectorELNS0_4arch9wavefront6targetE0EEEvT1_
	.globl	_ZN7rocprim17ROCPRIM_400000_NS6detail17trampoline_kernelINS0_14default_configENS1_29reduce_by_key_config_selectorIffN6thrust23THRUST_200600_302600_NS4plusIfEEEEZZNS1_33reduce_by_key_impl_wrapped_configILNS1_25lookback_scan_determinismE0ES3_S9_NS6_6detail15normal_iteratorINS6_10device_ptrIfEEEESG_SG_SG_PmS8_NS6_8equal_toIfEEEE10hipError_tPvRmT2_T3_mT4_T5_T6_T7_T8_P12ihipStream_tbENKUlT_T0_E_clISt17integral_constantIbLb1EES10_IbLb0EEEEDaSW_SX_EUlSW_E_NS1_11comp_targetILNS1_3genE2ELNS1_11target_archE906ELNS1_3gpuE6ELNS1_3repE0EEENS1_30default_config_static_selectorELNS0_4arch9wavefront6targetE0EEEvT1_
	.p2align	8
	.type	_ZN7rocprim17ROCPRIM_400000_NS6detail17trampoline_kernelINS0_14default_configENS1_29reduce_by_key_config_selectorIffN6thrust23THRUST_200600_302600_NS4plusIfEEEEZZNS1_33reduce_by_key_impl_wrapped_configILNS1_25lookback_scan_determinismE0ES3_S9_NS6_6detail15normal_iteratorINS6_10device_ptrIfEEEESG_SG_SG_PmS8_NS6_8equal_toIfEEEE10hipError_tPvRmT2_T3_mT4_T5_T6_T7_T8_P12ihipStream_tbENKUlT_T0_E_clISt17integral_constantIbLb1EES10_IbLb0EEEEDaSW_SX_EUlSW_E_NS1_11comp_targetILNS1_3genE2ELNS1_11target_archE906ELNS1_3gpuE6ELNS1_3repE0EEENS1_30default_config_static_selectorELNS0_4arch9wavefront6targetE0EEEvT1_,@function
_ZN7rocprim17ROCPRIM_400000_NS6detail17trampoline_kernelINS0_14default_configENS1_29reduce_by_key_config_selectorIffN6thrust23THRUST_200600_302600_NS4plusIfEEEEZZNS1_33reduce_by_key_impl_wrapped_configILNS1_25lookback_scan_determinismE0ES3_S9_NS6_6detail15normal_iteratorINS6_10device_ptrIfEEEESG_SG_SG_PmS8_NS6_8equal_toIfEEEE10hipError_tPvRmT2_T3_mT4_T5_T6_T7_T8_P12ihipStream_tbENKUlT_T0_E_clISt17integral_constantIbLb1EES10_IbLb0EEEEDaSW_SX_EUlSW_E_NS1_11comp_targetILNS1_3genE2ELNS1_11target_archE906ELNS1_3gpuE6ELNS1_3repE0EEENS1_30default_config_static_selectorELNS0_4arch9wavefront6targetE0EEEvT1_: ; @_ZN7rocprim17ROCPRIM_400000_NS6detail17trampoline_kernelINS0_14default_configENS1_29reduce_by_key_config_selectorIffN6thrust23THRUST_200600_302600_NS4plusIfEEEEZZNS1_33reduce_by_key_impl_wrapped_configILNS1_25lookback_scan_determinismE0ES3_S9_NS6_6detail15normal_iteratorINS6_10device_ptrIfEEEESG_SG_SG_PmS8_NS6_8equal_toIfEEEE10hipError_tPvRmT2_T3_mT4_T5_T6_T7_T8_P12ihipStream_tbENKUlT_T0_E_clISt17integral_constantIbLb1EES10_IbLb0EEEEDaSW_SX_EUlSW_E_NS1_11comp_targetILNS1_3genE2ELNS1_11target_archE906ELNS1_3gpuE6ELNS1_3repE0EEENS1_30default_config_static_selectorELNS0_4arch9wavefront6targetE0EEEvT1_
; %bb.0:
	.section	.rodata,"a",@progbits
	.p2align	6, 0x0
	.amdhsa_kernel _ZN7rocprim17ROCPRIM_400000_NS6detail17trampoline_kernelINS0_14default_configENS1_29reduce_by_key_config_selectorIffN6thrust23THRUST_200600_302600_NS4plusIfEEEEZZNS1_33reduce_by_key_impl_wrapped_configILNS1_25lookback_scan_determinismE0ES3_S9_NS6_6detail15normal_iteratorINS6_10device_ptrIfEEEESG_SG_SG_PmS8_NS6_8equal_toIfEEEE10hipError_tPvRmT2_T3_mT4_T5_T6_T7_T8_P12ihipStream_tbENKUlT_T0_E_clISt17integral_constantIbLb1EES10_IbLb0EEEEDaSW_SX_EUlSW_E_NS1_11comp_targetILNS1_3genE2ELNS1_11target_archE906ELNS1_3gpuE6ELNS1_3repE0EEENS1_30default_config_static_selectorELNS0_4arch9wavefront6targetE0EEEvT1_
		.amdhsa_group_segment_fixed_size 0
		.amdhsa_private_segment_fixed_size 0
		.amdhsa_kernarg_size 120
		.amdhsa_user_sgpr_count 15
		.amdhsa_user_sgpr_dispatch_ptr 0
		.amdhsa_user_sgpr_queue_ptr 0
		.amdhsa_user_sgpr_kernarg_segment_ptr 1
		.amdhsa_user_sgpr_dispatch_id 0
		.amdhsa_user_sgpr_private_segment_size 0
		.amdhsa_wavefront_size32 1
		.amdhsa_uses_dynamic_stack 0
		.amdhsa_enable_private_segment 0
		.amdhsa_system_sgpr_workgroup_id_x 1
		.amdhsa_system_sgpr_workgroup_id_y 0
		.amdhsa_system_sgpr_workgroup_id_z 0
		.amdhsa_system_sgpr_workgroup_info 0
		.amdhsa_system_vgpr_workitem_id 0
		.amdhsa_next_free_vgpr 1
		.amdhsa_next_free_sgpr 1
		.amdhsa_reserve_vcc 0
		.amdhsa_float_round_mode_32 0
		.amdhsa_float_round_mode_16_64 0
		.amdhsa_float_denorm_mode_32 3
		.amdhsa_float_denorm_mode_16_64 3
		.amdhsa_dx10_clamp 1
		.amdhsa_ieee_mode 1
		.amdhsa_fp16_overflow 0
		.amdhsa_workgroup_processor_mode 1
		.amdhsa_memory_ordered 1
		.amdhsa_forward_progress 0
		.amdhsa_shared_vgpr_count 0
		.amdhsa_exception_fp_ieee_invalid_op 0
		.amdhsa_exception_fp_denorm_src 0
		.amdhsa_exception_fp_ieee_div_zero 0
		.amdhsa_exception_fp_ieee_overflow 0
		.amdhsa_exception_fp_ieee_underflow 0
		.amdhsa_exception_fp_ieee_inexact 0
		.amdhsa_exception_int_div_zero 0
	.end_amdhsa_kernel
	.section	.text._ZN7rocprim17ROCPRIM_400000_NS6detail17trampoline_kernelINS0_14default_configENS1_29reduce_by_key_config_selectorIffN6thrust23THRUST_200600_302600_NS4plusIfEEEEZZNS1_33reduce_by_key_impl_wrapped_configILNS1_25lookback_scan_determinismE0ES3_S9_NS6_6detail15normal_iteratorINS6_10device_ptrIfEEEESG_SG_SG_PmS8_NS6_8equal_toIfEEEE10hipError_tPvRmT2_T3_mT4_T5_T6_T7_T8_P12ihipStream_tbENKUlT_T0_E_clISt17integral_constantIbLb1EES10_IbLb0EEEEDaSW_SX_EUlSW_E_NS1_11comp_targetILNS1_3genE2ELNS1_11target_archE906ELNS1_3gpuE6ELNS1_3repE0EEENS1_30default_config_static_selectorELNS0_4arch9wavefront6targetE0EEEvT1_,"axG",@progbits,_ZN7rocprim17ROCPRIM_400000_NS6detail17trampoline_kernelINS0_14default_configENS1_29reduce_by_key_config_selectorIffN6thrust23THRUST_200600_302600_NS4plusIfEEEEZZNS1_33reduce_by_key_impl_wrapped_configILNS1_25lookback_scan_determinismE0ES3_S9_NS6_6detail15normal_iteratorINS6_10device_ptrIfEEEESG_SG_SG_PmS8_NS6_8equal_toIfEEEE10hipError_tPvRmT2_T3_mT4_T5_T6_T7_T8_P12ihipStream_tbENKUlT_T0_E_clISt17integral_constantIbLb1EES10_IbLb0EEEEDaSW_SX_EUlSW_E_NS1_11comp_targetILNS1_3genE2ELNS1_11target_archE906ELNS1_3gpuE6ELNS1_3repE0EEENS1_30default_config_static_selectorELNS0_4arch9wavefront6targetE0EEEvT1_,comdat
.Lfunc_end186:
	.size	_ZN7rocprim17ROCPRIM_400000_NS6detail17trampoline_kernelINS0_14default_configENS1_29reduce_by_key_config_selectorIffN6thrust23THRUST_200600_302600_NS4plusIfEEEEZZNS1_33reduce_by_key_impl_wrapped_configILNS1_25lookback_scan_determinismE0ES3_S9_NS6_6detail15normal_iteratorINS6_10device_ptrIfEEEESG_SG_SG_PmS8_NS6_8equal_toIfEEEE10hipError_tPvRmT2_T3_mT4_T5_T6_T7_T8_P12ihipStream_tbENKUlT_T0_E_clISt17integral_constantIbLb1EES10_IbLb0EEEEDaSW_SX_EUlSW_E_NS1_11comp_targetILNS1_3genE2ELNS1_11target_archE906ELNS1_3gpuE6ELNS1_3repE0EEENS1_30default_config_static_selectorELNS0_4arch9wavefront6targetE0EEEvT1_, .Lfunc_end186-_ZN7rocprim17ROCPRIM_400000_NS6detail17trampoline_kernelINS0_14default_configENS1_29reduce_by_key_config_selectorIffN6thrust23THRUST_200600_302600_NS4plusIfEEEEZZNS1_33reduce_by_key_impl_wrapped_configILNS1_25lookback_scan_determinismE0ES3_S9_NS6_6detail15normal_iteratorINS6_10device_ptrIfEEEESG_SG_SG_PmS8_NS6_8equal_toIfEEEE10hipError_tPvRmT2_T3_mT4_T5_T6_T7_T8_P12ihipStream_tbENKUlT_T0_E_clISt17integral_constantIbLb1EES10_IbLb0EEEEDaSW_SX_EUlSW_E_NS1_11comp_targetILNS1_3genE2ELNS1_11target_archE906ELNS1_3gpuE6ELNS1_3repE0EEENS1_30default_config_static_selectorELNS0_4arch9wavefront6targetE0EEEvT1_
                                        ; -- End function
	.section	.AMDGPU.csdata,"",@progbits
; Kernel info:
; codeLenInByte = 0
; NumSgprs: 0
; NumVgprs: 0
; ScratchSize: 0
; MemoryBound: 0
; FloatMode: 240
; IeeeMode: 1
; LDSByteSize: 0 bytes/workgroup (compile time only)
; SGPRBlocks: 0
; VGPRBlocks: 0
; NumSGPRsForWavesPerEU: 1
; NumVGPRsForWavesPerEU: 1
; Occupancy: 16
; WaveLimiterHint : 0
; COMPUTE_PGM_RSRC2:SCRATCH_EN: 0
; COMPUTE_PGM_RSRC2:USER_SGPR: 15
; COMPUTE_PGM_RSRC2:TRAP_HANDLER: 0
; COMPUTE_PGM_RSRC2:TGID_X_EN: 1
; COMPUTE_PGM_RSRC2:TGID_Y_EN: 0
; COMPUTE_PGM_RSRC2:TGID_Z_EN: 0
; COMPUTE_PGM_RSRC2:TIDIG_COMP_CNT: 0
	.section	.text._ZN7rocprim17ROCPRIM_400000_NS6detail17trampoline_kernelINS0_14default_configENS1_29reduce_by_key_config_selectorIffN6thrust23THRUST_200600_302600_NS4plusIfEEEEZZNS1_33reduce_by_key_impl_wrapped_configILNS1_25lookback_scan_determinismE0ES3_S9_NS6_6detail15normal_iteratorINS6_10device_ptrIfEEEESG_SG_SG_PmS8_NS6_8equal_toIfEEEE10hipError_tPvRmT2_T3_mT4_T5_T6_T7_T8_P12ihipStream_tbENKUlT_T0_E_clISt17integral_constantIbLb1EES10_IbLb0EEEEDaSW_SX_EUlSW_E_NS1_11comp_targetILNS1_3genE10ELNS1_11target_archE1201ELNS1_3gpuE5ELNS1_3repE0EEENS1_30default_config_static_selectorELNS0_4arch9wavefront6targetE0EEEvT1_,"axG",@progbits,_ZN7rocprim17ROCPRIM_400000_NS6detail17trampoline_kernelINS0_14default_configENS1_29reduce_by_key_config_selectorIffN6thrust23THRUST_200600_302600_NS4plusIfEEEEZZNS1_33reduce_by_key_impl_wrapped_configILNS1_25lookback_scan_determinismE0ES3_S9_NS6_6detail15normal_iteratorINS6_10device_ptrIfEEEESG_SG_SG_PmS8_NS6_8equal_toIfEEEE10hipError_tPvRmT2_T3_mT4_T5_T6_T7_T8_P12ihipStream_tbENKUlT_T0_E_clISt17integral_constantIbLb1EES10_IbLb0EEEEDaSW_SX_EUlSW_E_NS1_11comp_targetILNS1_3genE10ELNS1_11target_archE1201ELNS1_3gpuE5ELNS1_3repE0EEENS1_30default_config_static_selectorELNS0_4arch9wavefront6targetE0EEEvT1_,comdat
	.protected	_ZN7rocprim17ROCPRIM_400000_NS6detail17trampoline_kernelINS0_14default_configENS1_29reduce_by_key_config_selectorIffN6thrust23THRUST_200600_302600_NS4plusIfEEEEZZNS1_33reduce_by_key_impl_wrapped_configILNS1_25lookback_scan_determinismE0ES3_S9_NS6_6detail15normal_iteratorINS6_10device_ptrIfEEEESG_SG_SG_PmS8_NS6_8equal_toIfEEEE10hipError_tPvRmT2_T3_mT4_T5_T6_T7_T8_P12ihipStream_tbENKUlT_T0_E_clISt17integral_constantIbLb1EES10_IbLb0EEEEDaSW_SX_EUlSW_E_NS1_11comp_targetILNS1_3genE10ELNS1_11target_archE1201ELNS1_3gpuE5ELNS1_3repE0EEENS1_30default_config_static_selectorELNS0_4arch9wavefront6targetE0EEEvT1_ ; -- Begin function _ZN7rocprim17ROCPRIM_400000_NS6detail17trampoline_kernelINS0_14default_configENS1_29reduce_by_key_config_selectorIffN6thrust23THRUST_200600_302600_NS4plusIfEEEEZZNS1_33reduce_by_key_impl_wrapped_configILNS1_25lookback_scan_determinismE0ES3_S9_NS6_6detail15normal_iteratorINS6_10device_ptrIfEEEESG_SG_SG_PmS8_NS6_8equal_toIfEEEE10hipError_tPvRmT2_T3_mT4_T5_T6_T7_T8_P12ihipStream_tbENKUlT_T0_E_clISt17integral_constantIbLb1EES10_IbLb0EEEEDaSW_SX_EUlSW_E_NS1_11comp_targetILNS1_3genE10ELNS1_11target_archE1201ELNS1_3gpuE5ELNS1_3repE0EEENS1_30default_config_static_selectorELNS0_4arch9wavefront6targetE0EEEvT1_
	.globl	_ZN7rocprim17ROCPRIM_400000_NS6detail17trampoline_kernelINS0_14default_configENS1_29reduce_by_key_config_selectorIffN6thrust23THRUST_200600_302600_NS4plusIfEEEEZZNS1_33reduce_by_key_impl_wrapped_configILNS1_25lookback_scan_determinismE0ES3_S9_NS6_6detail15normal_iteratorINS6_10device_ptrIfEEEESG_SG_SG_PmS8_NS6_8equal_toIfEEEE10hipError_tPvRmT2_T3_mT4_T5_T6_T7_T8_P12ihipStream_tbENKUlT_T0_E_clISt17integral_constantIbLb1EES10_IbLb0EEEEDaSW_SX_EUlSW_E_NS1_11comp_targetILNS1_3genE10ELNS1_11target_archE1201ELNS1_3gpuE5ELNS1_3repE0EEENS1_30default_config_static_selectorELNS0_4arch9wavefront6targetE0EEEvT1_
	.p2align	8
	.type	_ZN7rocprim17ROCPRIM_400000_NS6detail17trampoline_kernelINS0_14default_configENS1_29reduce_by_key_config_selectorIffN6thrust23THRUST_200600_302600_NS4plusIfEEEEZZNS1_33reduce_by_key_impl_wrapped_configILNS1_25lookback_scan_determinismE0ES3_S9_NS6_6detail15normal_iteratorINS6_10device_ptrIfEEEESG_SG_SG_PmS8_NS6_8equal_toIfEEEE10hipError_tPvRmT2_T3_mT4_T5_T6_T7_T8_P12ihipStream_tbENKUlT_T0_E_clISt17integral_constantIbLb1EES10_IbLb0EEEEDaSW_SX_EUlSW_E_NS1_11comp_targetILNS1_3genE10ELNS1_11target_archE1201ELNS1_3gpuE5ELNS1_3repE0EEENS1_30default_config_static_selectorELNS0_4arch9wavefront6targetE0EEEvT1_,@function
_ZN7rocprim17ROCPRIM_400000_NS6detail17trampoline_kernelINS0_14default_configENS1_29reduce_by_key_config_selectorIffN6thrust23THRUST_200600_302600_NS4plusIfEEEEZZNS1_33reduce_by_key_impl_wrapped_configILNS1_25lookback_scan_determinismE0ES3_S9_NS6_6detail15normal_iteratorINS6_10device_ptrIfEEEESG_SG_SG_PmS8_NS6_8equal_toIfEEEE10hipError_tPvRmT2_T3_mT4_T5_T6_T7_T8_P12ihipStream_tbENKUlT_T0_E_clISt17integral_constantIbLb1EES10_IbLb0EEEEDaSW_SX_EUlSW_E_NS1_11comp_targetILNS1_3genE10ELNS1_11target_archE1201ELNS1_3gpuE5ELNS1_3repE0EEENS1_30default_config_static_selectorELNS0_4arch9wavefront6targetE0EEEvT1_: ; @_ZN7rocprim17ROCPRIM_400000_NS6detail17trampoline_kernelINS0_14default_configENS1_29reduce_by_key_config_selectorIffN6thrust23THRUST_200600_302600_NS4plusIfEEEEZZNS1_33reduce_by_key_impl_wrapped_configILNS1_25lookback_scan_determinismE0ES3_S9_NS6_6detail15normal_iteratorINS6_10device_ptrIfEEEESG_SG_SG_PmS8_NS6_8equal_toIfEEEE10hipError_tPvRmT2_T3_mT4_T5_T6_T7_T8_P12ihipStream_tbENKUlT_T0_E_clISt17integral_constantIbLb1EES10_IbLb0EEEEDaSW_SX_EUlSW_E_NS1_11comp_targetILNS1_3genE10ELNS1_11target_archE1201ELNS1_3gpuE5ELNS1_3repE0EEENS1_30default_config_static_selectorELNS0_4arch9wavefront6targetE0EEEvT1_
; %bb.0:
	.section	.rodata,"a",@progbits
	.p2align	6, 0x0
	.amdhsa_kernel _ZN7rocprim17ROCPRIM_400000_NS6detail17trampoline_kernelINS0_14default_configENS1_29reduce_by_key_config_selectorIffN6thrust23THRUST_200600_302600_NS4plusIfEEEEZZNS1_33reduce_by_key_impl_wrapped_configILNS1_25lookback_scan_determinismE0ES3_S9_NS6_6detail15normal_iteratorINS6_10device_ptrIfEEEESG_SG_SG_PmS8_NS6_8equal_toIfEEEE10hipError_tPvRmT2_T3_mT4_T5_T6_T7_T8_P12ihipStream_tbENKUlT_T0_E_clISt17integral_constantIbLb1EES10_IbLb0EEEEDaSW_SX_EUlSW_E_NS1_11comp_targetILNS1_3genE10ELNS1_11target_archE1201ELNS1_3gpuE5ELNS1_3repE0EEENS1_30default_config_static_selectorELNS0_4arch9wavefront6targetE0EEEvT1_
		.amdhsa_group_segment_fixed_size 0
		.amdhsa_private_segment_fixed_size 0
		.amdhsa_kernarg_size 120
		.amdhsa_user_sgpr_count 15
		.amdhsa_user_sgpr_dispatch_ptr 0
		.amdhsa_user_sgpr_queue_ptr 0
		.amdhsa_user_sgpr_kernarg_segment_ptr 1
		.amdhsa_user_sgpr_dispatch_id 0
		.amdhsa_user_sgpr_private_segment_size 0
		.amdhsa_wavefront_size32 1
		.amdhsa_uses_dynamic_stack 0
		.amdhsa_enable_private_segment 0
		.amdhsa_system_sgpr_workgroup_id_x 1
		.amdhsa_system_sgpr_workgroup_id_y 0
		.amdhsa_system_sgpr_workgroup_id_z 0
		.amdhsa_system_sgpr_workgroup_info 0
		.amdhsa_system_vgpr_workitem_id 0
		.amdhsa_next_free_vgpr 1
		.amdhsa_next_free_sgpr 1
		.amdhsa_reserve_vcc 0
		.amdhsa_float_round_mode_32 0
		.amdhsa_float_round_mode_16_64 0
		.amdhsa_float_denorm_mode_32 3
		.amdhsa_float_denorm_mode_16_64 3
		.amdhsa_dx10_clamp 1
		.amdhsa_ieee_mode 1
		.amdhsa_fp16_overflow 0
		.amdhsa_workgroup_processor_mode 1
		.amdhsa_memory_ordered 1
		.amdhsa_forward_progress 0
		.amdhsa_shared_vgpr_count 0
		.amdhsa_exception_fp_ieee_invalid_op 0
		.amdhsa_exception_fp_denorm_src 0
		.amdhsa_exception_fp_ieee_div_zero 0
		.amdhsa_exception_fp_ieee_overflow 0
		.amdhsa_exception_fp_ieee_underflow 0
		.amdhsa_exception_fp_ieee_inexact 0
		.amdhsa_exception_int_div_zero 0
	.end_amdhsa_kernel
	.section	.text._ZN7rocprim17ROCPRIM_400000_NS6detail17trampoline_kernelINS0_14default_configENS1_29reduce_by_key_config_selectorIffN6thrust23THRUST_200600_302600_NS4plusIfEEEEZZNS1_33reduce_by_key_impl_wrapped_configILNS1_25lookback_scan_determinismE0ES3_S9_NS6_6detail15normal_iteratorINS6_10device_ptrIfEEEESG_SG_SG_PmS8_NS6_8equal_toIfEEEE10hipError_tPvRmT2_T3_mT4_T5_T6_T7_T8_P12ihipStream_tbENKUlT_T0_E_clISt17integral_constantIbLb1EES10_IbLb0EEEEDaSW_SX_EUlSW_E_NS1_11comp_targetILNS1_3genE10ELNS1_11target_archE1201ELNS1_3gpuE5ELNS1_3repE0EEENS1_30default_config_static_selectorELNS0_4arch9wavefront6targetE0EEEvT1_,"axG",@progbits,_ZN7rocprim17ROCPRIM_400000_NS6detail17trampoline_kernelINS0_14default_configENS1_29reduce_by_key_config_selectorIffN6thrust23THRUST_200600_302600_NS4plusIfEEEEZZNS1_33reduce_by_key_impl_wrapped_configILNS1_25lookback_scan_determinismE0ES3_S9_NS6_6detail15normal_iteratorINS6_10device_ptrIfEEEESG_SG_SG_PmS8_NS6_8equal_toIfEEEE10hipError_tPvRmT2_T3_mT4_T5_T6_T7_T8_P12ihipStream_tbENKUlT_T0_E_clISt17integral_constantIbLb1EES10_IbLb0EEEEDaSW_SX_EUlSW_E_NS1_11comp_targetILNS1_3genE10ELNS1_11target_archE1201ELNS1_3gpuE5ELNS1_3repE0EEENS1_30default_config_static_selectorELNS0_4arch9wavefront6targetE0EEEvT1_,comdat
.Lfunc_end187:
	.size	_ZN7rocprim17ROCPRIM_400000_NS6detail17trampoline_kernelINS0_14default_configENS1_29reduce_by_key_config_selectorIffN6thrust23THRUST_200600_302600_NS4plusIfEEEEZZNS1_33reduce_by_key_impl_wrapped_configILNS1_25lookback_scan_determinismE0ES3_S9_NS6_6detail15normal_iteratorINS6_10device_ptrIfEEEESG_SG_SG_PmS8_NS6_8equal_toIfEEEE10hipError_tPvRmT2_T3_mT4_T5_T6_T7_T8_P12ihipStream_tbENKUlT_T0_E_clISt17integral_constantIbLb1EES10_IbLb0EEEEDaSW_SX_EUlSW_E_NS1_11comp_targetILNS1_3genE10ELNS1_11target_archE1201ELNS1_3gpuE5ELNS1_3repE0EEENS1_30default_config_static_selectorELNS0_4arch9wavefront6targetE0EEEvT1_, .Lfunc_end187-_ZN7rocprim17ROCPRIM_400000_NS6detail17trampoline_kernelINS0_14default_configENS1_29reduce_by_key_config_selectorIffN6thrust23THRUST_200600_302600_NS4plusIfEEEEZZNS1_33reduce_by_key_impl_wrapped_configILNS1_25lookback_scan_determinismE0ES3_S9_NS6_6detail15normal_iteratorINS6_10device_ptrIfEEEESG_SG_SG_PmS8_NS6_8equal_toIfEEEE10hipError_tPvRmT2_T3_mT4_T5_T6_T7_T8_P12ihipStream_tbENKUlT_T0_E_clISt17integral_constantIbLb1EES10_IbLb0EEEEDaSW_SX_EUlSW_E_NS1_11comp_targetILNS1_3genE10ELNS1_11target_archE1201ELNS1_3gpuE5ELNS1_3repE0EEENS1_30default_config_static_selectorELNS0_4arch9wavefront6targetE0EEEvT1_
                                        ; -- End function
	.section	.AMDGPU.csdata,"",@progbits
; Kernel info:
; codeLenInByte = 0
; NumSgprs: 0
; NumVgprs: 0
; ScratchSize: 0
; MemoryBound: 0
; FloatMode: 240
; IeeeMode: 1
; LDSByteSize: 0 bytes/workgroup (compile time only)
; SGPRBlocks: 0
; VGPRBlocks: 0
; NumSGPRsForWavesPerEU: 1
; NumVGPRsForWavesPerEU: 1
; Occupancy: 16
; WaveLimiterHint : 0
; COMPUTE_PGM_RSRC2:SCRATCH_EN: 0
; COMPUTE_PGM_RSRC2:USER_SGPR: 15
; COMPUTE_PGM_RSRC2:TRAP_HANDLER: 0
; COMPUTE_PGM_RSRC2:TGID_X_EN: 1
; COMPUTE_PGM_RSRC2:TGID_Y_EN: 0
; COMPUTE_PGM_RSRC2:TGID_Z_EN: 0
; COMPUTE_PGM_RSRC2:TIDIG_COMP_CNT: 0
	.section	.text._ZN7rocprim17ROCPRIM_400000_NS6detail17trampoline_kernelINS0_14default_configENS1_29reduce_by_key_config_selectorIffN6thrust23THRUST_200600_302600_NS4plusIfEEEEZZNS1_33reduce_by_key_impl_wrapped_configILNS1_25lookback_scan_determinismE0ES3_S9_NS6_6detail15normal_iteratorINS6_10device_ptrIfEEEESG_SG_SG_PmS8_NS6_8equal_toIfEEEE10hipError_tPvRmT2_T3_mT4_T5_T6_T7_T8_P12ihipStream_tbENKUlT_T0_E_clISt17integral_constantIbLb1EES10_IbLb0EEEEDaSW_SX_EUlSW_E_NS1_11comp_targetILNS1_3genE10ELNS1_11target_archE1200ELNS1_3gpuE4ELNS1_3repE0EEENS1_30default_config_static_selectorELNS0_4arch9wavefront6targetE0EEEvT1_,"axG",@progbits,_ZN7rocprim17ROCPRIM_400000_NS6detail17trampoline_kernelINS0_14default_configENS1_29reduce_by_key_config_selectorIffN6thrust23THRUST_200600_302600_NS4plusIfEEEEZZNS1_33reduce_by_key_impl_wrapped_configILNS1_25lookback_scan_determinismE0ES3_S9_NS6_6detail15normal_iteratorINS6_10device_ptrIfEEEESG_SG_SG_PmS8_NS6_8equal_toIfEEEE10hipError_tPvRmT2_T3_mT4_T5_T6_T7_T8_P12ihipStream_tbENKUlT_T0_E_clISt17integral_constantIbLb1EES10_IbLb0EEEEDaSW_SX_EUlSW_E_NS1_11comp_targetILNS1_3genE10ELNS1_11target_archE1200ELNS1_3gpuE4ELNS1_3repE0EEENS1_30default_config_static_selectorELNS0_4arch9wavefront6targetE0EEEvT1_,comdat
	.protected	_ZN7rocprim17ROCPRIM_400000_NS6detail17trampoline_kernelINS0_14default_configENS1_29reduce_by_key_config_selectorIffN6thrust23THRUST_200600_302600_NS4plusIfEEEEZZNS1_33reduce_by_key_impl_wrapped_configILNS1_25lookback_scan_determinismE0ES3_S9_NS6_6detail15normal_iteratorINS6_10device_ptrIfEEEESG_SG_SG_PmS8_NS6_8equal_toIfEEEE10hipError_tPvRmT2_T3_mT4_T5_T6_T7_T8_P12ihipStream_tbENKUlT_T0_E_clISt17integral_constantIbLb1EES10_IbLb0EEEEDaSW_SX_EUlSW_E_NS1_11comp_targetILNS1_3genE10ELNS1_11target_archE1200ELNS1_3gpuE4ELNS1_3repE0EEENS1_30default_config_static_selectorELNS0_4arch9wavefront6targetE0EEEvT1_ ; -- Begin function _ZN7rocprim17ROCPRIM_400000_NS6detail17trampoline_kernelINS0_14default_configENS1_29reduce_by_key_config_selectorIffN6thrust23THRUST_200600_302600_NS4plusIfEEEEZZNS1_33reduce_by_key_impl_wrapped_configILNS1_25lookback_scan_determinismE0ES3_S9_NS6_6detail15normal_iteratorINS6_10device_ptrIfEEEESG_SG_SG_PmS8_NS6_8equal_toIfEEEE10hipError_tPvRmT2_T3_mT4_T5_T6_T7_T8_P12ihipStream_tbENKUlT_T0_E_clISt17integral_constantIbLb1EES10_IbLb0EEEEDaSW_SX_EUlSW_E_NS1_11comp_targetILNS1_3genE10ELNS1_11target_archE1200ELNS1_3gpuE4ELNS1_3repE0EEENS1_30default_config_static_selectorELNS0_4arch9wavefront6targetE0EEEvT1_
	.globl	_ZN7rocprim17ROCPRIM_400000_NS6detail17trampoline_kernelINS0_14default_configENS1_29reduce_by_key_config_selectorIffN6thrust23THRUST_200600_302600_NS4plusIfEEEEZZNS1_33reduce_by_key_impl_wrapped_configILNS1_25lookback_scan_determinismE0ES3_S9_NS6_6detail15normal_iteratorINS6_10device_ptrIfEEEESG_SG_SG_PmS8_NS6_8equal_toIfEEEE10hipError_tPvRmT2_T3_mT4_T5_T6_T7_T8_P12ihipStream_tbENKUlT_T0_E_clISt17integral_constantIbLb1EES10_IbLb0EEEEDaSW_SX_EUlSW_E_NS1_11comp_targetILNS1_3genE10ELNS1_11target_archE1200ELNS1_3gpuE4ELNS1_3repE0EEENS1_30default_config_static_selectorELNS0_4arch9wavefront6targetE0EEEvT1_
	.p2align	8
	.type	_ZN7rocprim17ROCPRIM_400000_NS6detail17trampoline_kernelINS0_14default_configENS1_29reduce_by_key_config_selectorIffN6thrust23THRUST_200600_302600_NS4plusIfEEEEZZNS1_33reduce_by_key_impl_wrapped_configILNS1_25lookback_scan_determinismE0ES3_S9_NS6_6detail15normal_iteratorINS6_10device_ptrIfEEEESG_SG_SG_PmS8_NS6_8equal_toIfEEEE10hipError_tPvRmT2_T3_mT4_T5_T6_T7_T8_P12ihipStream_tbENKUlT_T0_E_clISt17integral_constantIbLb1EES10_IbLb0EEEEDaSW_SX_EUlSW_E_NS1_11comp_targetILNS1_3genE10ELNS1_11target_archE1200ELNS1_3gpuE4ELNS1_3repE0EEENS1_30default_config_static_selectorELNS0_4arch9wavefront6targetE0EEEvT1_,@function
_ZN7rocprim17ROCPRIM_400000_NS6detail17trampoline_kernelINS0_14default_configENS1_29reduce_by_key_config_selectorIffN6thrust23THRUST_200600_302600_NS4plusIfEEEEZZNS1_33reduce_by_key_impl_wrapped_configILNS1_25lookback_scan_determinismE0ES3_S9_NS6_6detail15normal_iteratorINS6_10device_ptrIfEEEESG_SG_SG_PmS8_NS6_8equal_toIfEEEE10hipError_tPvRmT2_T3_mT4_T5_T6_T7_T8_P12ihipStream_tbENKUlT_T0_E_clISt17integral_constantIbLb1EES10_IbLb0EEEEDaSW_SX_EUlSW_E_NS1_11comp_targetILNS1_3genE10ELNS1_11target_archE1200ELNS1_3gpuE4ELNS1_3repE0EEENS1_30default_config_static_selectorELNS0_4arch9wavefront6targetE0EEEvT1_: ; @_ZN7rocprim17ROCPRIM_400000_NS6detail17trampoline_kernelINS0_14default_configENS1_29reduce_by_key_config_selectorIffN6thrust23THRUST_200600_302600_NS4plusIfEEEEZZNS1_33reduce_by_key_impl_wrapped_configILNS1_25lookback_scan_determinismE0ES3_S9_NS6_6detail15normal_iteratorINS6_10device_ptrIfEEEESG_SG_SG_PmS8_NS6_8equal_toIfEEEE10hipError_tPvRmT2_T3_mT4_T5_T6_T7_T8_P12ihipStream_tbENKUlT_T0_E_clISt17integral_constantIbLb1EES10_IbLb0EEEEDaSW_SX_EUlSW_E_NS1_11comp_targetILNS1_3genE10ELNS1_11target_archE1200ELNS1_3gpuE4ELNS1_3repE0EEENS1_30default_config_static_selectorELNS0_4arch9wavefront6targetE0EEEvT1_
; %bb.0:
	.section	.rodata,"a",@progbits
	.p2align	6, 0x0
	.amdhsa_kernel _ZN7rocprim17ROCPRIM_400000_NS6detail17trampoline_kernelINS0_14default_configENS1_29reduce_by_key_config_selectorIffN6thrust23THRUST_200600_302600_NS4plusIfEEEEZZNS1_33reduce_by_key_impl_wrapped_configILNS1_25lookback_scan_determinismE0ES3_S9_NS6_6detail15normal_iteratorINS6_10device_ptrIfEEEESG_SG_SG_PmS8_NS6_8equal_toIfEEEE10hipError_tPvRmT2_T3_mT4_T5_T6_T7_T8_P12ihipStream_tbENKUlT_T0_E_clISt17integral_constantIbLb1EES10_IbLb0EEEEDaSW_SX_EUlSW_E_NS1_11comp_targetILNS1_3genE10ELNS1_11target_archE1200ELNS1_3gpuE4ELNS1_3repE0EEENS1_30default_config_static_selectorELNS0_4arch9wavefront6targetE0EEEvT1_
		.amdhsa_group_segment_fixed_size 0
		.amdhsa_private_segment_fixed_size 0
		.amdhsa_kernarg_size 120
		.amdhsa_user_sgpr_count 15
		.amdhsa_user_sgpr_dispatch_ptr 0
		.amdhsa_user_sgpr_queue_ptr 0
		.amdhsa_user_sgpr_kernarg_segment_ptr 1
		.amdhsa_user_sgpr_dispatch_id 0
		.amdhsa_user_sgpr_private_segment_size 0
		.amdhsa_wavefront_size32 1
		.amdhsa_uses_dynamic_stack 0
		.amdhsa_enable_private_segment 0
		.amdhsa_system_sgpr_workgroup_id_x 1
		.amdhsa_system_sgpr_workgroup_id_y 0
		.amdhsa_system_sgpr_workgroup_id_z 0
		.amdhsa_system_sgpr_workgroup_info 0
		.amdhsa_system_vgpr_workitem_id 0
		.amdhsa_next_free_vgpr 1
		.amdhsa_next_free_sgpr 1
		.amdhsa_reserve_vcc 0
		.amdhsa_float_round_mode_32 0
		.amdhsa_float_round_mode_16_64 0
		.amdhsa_float_denorm_mode_32 3
		.amdhsa_float_denorm_mode_16_64 3
		.amdhsa_dx10_clamp 1
		.amdhsa_ieee_mode 1
		.amdhsa_fp16_overflow 0
		.amdhsa_workgroup_processor_mode 1
		.amdhsa_memory_ordered 1
		.amdhsa_forward_progress 0
		.amdhsa_shared_vgpr_count 0
		.amdhsa_exception_fp_ieee_invalid_op 0
		.amdhsa_exception_fp_denorm_src 0
		.amdhsa_exception_fp_ieee_div_zero 0
		.amdhsa_exception_fp_ieee_overflow 0
		.amdhsa_exception_fp_ieee_underflow 0
		.amdhsa_exception_fp_ieee_inexact 0
		.amdhsa_exception_int_div_zero 0
	.end_amdhsa_kernel
	.section	.text._ZN7rocprim17ROCPRIM_400000_NS6detail17trampoline_kernelINS0_14default_configENS1_29reduce_by_key_config_selectorIffN6thrust23THRUST_200600_302600_NS4plusIfEEEEZZNS1_33reduce_by_key_impl_wrapped_configILNS1_25lookback_scan_determinismE0ES3_S9_NS6_6detail15normal_iteratorINS6_10device_ptrIfEEEESG_SG_SG_PmS8_NS6_8equal_toIfEEEE10hipError_tPvRmT2_T3_mT4_T5_T6_T7_T8_P12ihipStream_tbENKUlT_T0_E_clISt17integral_constantIbLb1EES10_IbLb0EEEEDaSW_SX_EUlSW_E_NS1_11comp_targetILNS1_3genE10ELNS1_11target_archE1200ELNS1_3gpuE4ELNS1_3repE0EEENS1_30default_config_static_selectorELNS0_4arch9wavefront6targetE0EEEvT1_,"axG",@progbits,_ZN7rocprim17ROCPRIM_400000_NS6detail17trampoline_kernelINS0_14default_configENS1_29reduce_by_key_config_selectorIffN6thrust23THRUST_200600_302600_NS4plusIfEEEEZZNS1_33reduce_by_key_impl_wrapped_configILNS1_25lookback_scan_determinismE0ES3_S9_NS6_6detail15normal_iteratorINS6_10device_ptrIfEEEESG_SG_SG_PmS8_NS6_8equal_toIfEEEE10hipError_tPvRmT2_T3_mT4_T5_T6_T7_T8_P12ihipStream_tbENKUlT_T0_E_clISt17integral_constantIbLb1EES10_IbLb0EEEEDaSW_SX_EUlSW_E_NS1_11comp_targetILNS1_3genE10ELNS1_11target_archE1200ELNS1_3gpuE4ELNS1_3repE0EEENS1_30default_config_static_selectorELNS0_4arch9wavefront6targetE0EEEvT1_,comdat
.Lfunc_end188:
	.size	_ZN7rocprim17ROCPRIM_400000_NS6detail17trampoline_kernelINS0_14default_configENS1_29reduce_by_key_config_selectorIffN6thrust23THRUST_200600_302600_NS4plusIfEEEEZZNS1_33reduce_by_key_impl_wrapped_configILNS1_25lookback_scan_determinismE0ES3_S9_NS6_6detail15normal_iteratorINS6_10device_ptrIfEEEESG_SG_SG_PmS8_NS6_8equal_toIfEEEE10hipError_tPvRmT2_T3_mT4_T5_T6_T7_T8_P12ihipStream_tbENKUlT_T0_E_clISt17integral_constantIbLb1EES10_IbLb0EEEEDaSW_SX_EUlSW_E_NS1_11comp_targetILNS1_3genE10ELNS1_11target_archE1200ELNS1_3gpuE4ELNS1_3repE0EEENS1_30default_config_static_selectorELNS0_4arch9wavefront6targetE0EEEvT1_, .Lfunc_end188-_ZN7rocprim17ROCPRIM_400000_NS6detail17trampoline_kernelINS0_14default_configENS1_29reduce_by_key_config_selectorIffN6thrust23THRUST_200600_302600_NS4plusIfEEEEZZNS1_33reduce_by_key_impl_wrapped_configILNS1_25lookback_scan_determinismE0ES3_S9_NS6_6detail15normal_iteratorINS6_10device_ptrIfEEEESG_SG_SG_PmS8_NS6_8equal_toIfEEEE10hipError_tPvRmT2_T3_mT4_T5_T6_T7_T8_P12ihipStream_tbENKUlT_T0_E_clISt17integral_constantIbLb1EES10_IbLb0EEEEDaSW_SX_EUlSW_E_NS1_11comp_targetILNS1_3genE10ELNS1_11target_archE1200ELNS1_3gpuE4ELNS1_3repE0EEENS1_30default_config_static_selectorELNS0_4arch9wavefront6targetE0EEEvT1_
                                        ; -- End function
	.section	.AMDGPU.csdata,"",@progbits
; Kernel info:
; codeLenInByte = 0
; NumSgprs: 0
; NumVgprs: 0
; ScratchSize: 0
; MemoryBound: 0
; FloatMode: 240
; IeeeMode: 1
; LDSByteSize: 0 bytes/workgroup (compile time only)
; SGPRBlocks: 0
; VGPRBlocks: 0
; NumSGPRsForWavesPerEU: 1
; NumVGPRsForWavesPerEU: 1
; Occupancy: 16
; WaveLimiterHint : 0
; COMPUTE_PGM_RSRC2:SCRATCH_EN: 0
; COMPUTE_PGM_RSRC2:USER_SGPR: 15
; COMPUTE_PGM_RSRC2:TRAP_HANDLER: 0
; COMPUTE_PGM_RSRC2:TGID_X_EN: 1
; COMPUTE_PGM_RSRC2:TGID_Y_EN: 0
; COMPUTE_PGM_RSRC2:TGID_Z_EN: 0
; COMPUTE_PGM_RSRC2:TIDIG_COMP_CNT: 0
	.section	.text._ZN7rocprim17ROCPRIM_400000_NS6detail17trampoline_kernelINS0_14default_configENS1_29reduce_by_key_config_selectorIffN6thrust23THRUST_200600_302600_NS4plusIfEEEEZZNS1_33reduce_by_key_impl_wrapped_configILNS1_25lookback_scan_determinismE0ES3_S9_NS6_6detail15normal_iteratorINS6_10device_ptrIfEEEESG_SG_SG_PmS8_NS6_8equal_toIfEEEE10hipError_tPvRmT2_T3_mT4_T5_T6_T7_T8_P12ihipStream_tbENKUlT_T0_E_clISt17integral_constantIbLb1EES10_IbLb0EEEEDaSW_SX_EUlSW_E_NS1_11comp_targetILNS1_3genE9ELNS1_11target_archE1100ELNS1_3gpuE3ELNS1_3repE0EEENS1_30default_config_static_selectorELNS0_4arch9wavefront6targetE0EEEvT1_,"axG",@progbits,_ZN7rocprim17ROCPRIM_400000_NS6detail17trampoline_kernelINS0_14default_configENS1_29reduce_by_key_config_selectorIffN6thrust23THRUST_200600_302600_NS4plusIfEEEEZZNS1_33reduce_by_key_impl_wrapped_configILNS1_25lookback_scan_determinismE0ES3_S9_NS6_6detail15normal_iteratorINS6_10device_ptrIfEEEESG_SG_SG_PmS8_NS6_8equal_toIfEEEE10hipError_tPvRmT2_T3_mT4_T5_T6_T7_T8_P12ihipStream_tbENKUlT_T0_E_clISt17integral_constantIbLb1EES10_IbLb0EEEEDaSW_SX_EUlSW_E_NS1_11comp_targetILNS1_3genE9ELNS1_11target_archE1100ELNS1_3gpuE3ELNS1_3repE0EEENS1_30default_config_static_selectorELNS0_4arch9wavefront6targetE0EEEvT1_,comdat
	.protected	_ZN7rocprim17ROCPRIM_400000_NS6detail17trampoline_kernelINS0_14default_configENS1_29reduce_by_key_config_selectorIffN6thrust23THRUST_200600_302600_NS4plusIfEEEEZZNS1_33reduce_by_key_impl_wrapped_configILNS1_25lookback_scan_determinismE0ES3_S9_NS6_6detail15normal_iteratorINS6_10device_ptrIfEEEESG_SG_SG_PmS8_NS6_8equal_toIfEEEE10hipError_tPvRmT2_T3_mT4_T5_T6_T7_T8_P12ihipStream_tbENKUlT_T0_E_clISt17integral_constantIbLb1EES10_IbLb0EEEEDaSW_SX_EUlSW_E_NS1_11comp_targetILNS1_3genE9ELNS1_11target_archE1100ELNS1_3gpuE3ELNS1_3repE0EEENS1_30default_config_static_selectorELNS0_4arch9wavefront6targetE0EEEvT1_ ; -- Begin function _ZN7rocprim17ROCPRIM_400000_NS6detail17trampoline_kernelINS0_14default_configENS1_29reduce_by_key_config_selectorIffN6thrust23THRUST_200600_302600_NS4plusIfEEEEZZNS1_33reduce_by_key_impl_wrapped_configILNS1_25lookback_scan_determinismE0ES3_S9_NS6_6detail15normal_iteratorINS6_10device_ptrIfEEEESG_SG_SG_PmS8_NS6_8equal_toIfEEEE10hipError_tPvRmT2_T3_mT4_T5_T6_T7_T8_P12ihipStream_tbENKUlT_T0_E_clISt17integral_constantIbLb1EES10_IbLb0EEEEDaSW_SX_EUlSW_E_NS1_11comp_targetILNS1_3genE9ELNS1_11target_archE1100ELNS1_3gpuE3ELNS1_3repE0EEENS1_30default_config_static_selectorELNS0_4arch9wavefront6targetE0EEEvT1_
	.globl	_ZN7rocprim17ROCPRIM_400000_NS6detail17trampoline_kernelINS0_14default_configENS1_29reduce_by_key_config_selectorIffN6thrust23THRUST_200600_302600_NS4plusIfEEEEZZNS1_33reduce_by_key_impl_wrapped_configILNS1_25lookback_scan_determinismE0ES3_S9_NS6_6detail15normal_iteratorINS6_10device_ptrIfEEEESG_SG_SG_PmS8_NS6_8equal_toIfEEEE10hipError_tPvRmT2_T3_mT4_T5_T6_T7_T8_P12ihipStream_tbENKUlT_T0_E_clISt17integral_constantIbLb1EES10_IbLb0EEEEDaSW_SX_EUlSW_E_NS1_11comp_targetILNS1_3genE9ELNS1_11target_archE1100ELNS1_3gpuE3ELNS1_3repE0EEENS1_30default_config_static_selectorELNS0_4arch9wavefront6targetE0EEEvT1_
	.p2align	8
	.type	_ZN7rocprim17ROCPRIM_400000_NS6detail17trampoline_kernelINS0_14default_configENS1_29reduce_by_key_config_selectorIffN6thrust23THRUST_200600_302600_NS4plusIfEEEEZZNS1_33reduce_by_key_impl_wrapped_configILNS1_25lookback_scan_determinismE0ES3_S9_NS6_6detail15normal_iteratorINS6_10device_ptrIfEEEESG_SG_SG_PmS8_NS6_8equal_toIfEEEE10hipError_tPvRmT2_T3_mT4_T5_T6_T7_T8_P12ihipStream_tbENKUlT_T0_E_clISt17integral_constantIbLb1EES10_IbLb0EEEEDaSW_SX_EUlSW_E_NS1_11comp_targetILNS1_3genE9ELNS1_11target_archE1100ELNS1_3gpuE3ELNS1_3repE0EEENS1_30default_config_static_selectorELNS0_4arch9wavefront6targetE0EEEvT1_,@function
_ZN7rocprim17ROCPRIM_400000_NS6detail17trampoline_kernelINS0_14default_configENS1_29reduce_by_key_config_selectorIffN6thrust23THRUST_200600_302600_NS4plusIfEEEEZZNS1_33reduce_by_key_impl_wrapped_configILNS1_25lookback_scan_determinismE0ES3_S9_NS6_6detail15normal_iteratorINS6_10device_ptrIfEEEESG_SG_SG_PmS8_NS6_8equal_toIfEEEE10hipError_tPvRmT2_T3_mT4_T5_T6_T7_T8_P12ihipStream_tbENKUlT_T0_E_clISt17integral_constantIbLb1EES10_IbLb0EEEEDaSW_SX_EUlSW_E_NS1_11comp_targetILNS1_3genE9ELNS1_11target_archE1100ELNS1_3gpuE3ELNS1_3repE0EEENS1_30default_config_static_selectorELNS0_4arch9wavefront6targetE0EEEvT1_: ; @_ZN7rocprim17ROCPRIM_400000_NS6detail17trampoline_kernelINS0_14default_configENS1_29reduce_by_key_config_selectorIffN6thrust23THRUST_200600_302600_NS4plusIfEEEEZZNS1_33reduce_by_key_impl_wrapped_configILNS1_25lookback_scan_determinismE0ES3_S9_NS6_6detail15normal_iteratorINS6_10device_ptrIfEEEESG_SG_SG_PmS8_NS6_8equal_toIfEEEE10hipError_tPvRmT2_T3_mT4_T5_T6_T7_T8_P12ihipStream_tbENKUlT_T0_E_clISt17integral_constantIbLb1EES10_IbLb0EEEEDaSW_SX_EUlSW_E_NS1_11comp_targetILNS1_3genE9ELNS1_11target_archE1100ELNS1_3gpuE3ELNS1_3repE0EEENS1_30default_config_static_selectorELNS0_4arch9wavefront6targetE0EEEvT1_
; %bb.0:
	s_clause 0x4
	s_load_b256 s[20:27], s[0:1], 0x0
	s_load_b256 s[36:43], s[0:1], 0x38
	s_load_b128 s[28:31], s[0:1], 0x20
	s_load_b64 s[34:35], s[0:1], 0x68
	s_load_b128 s[44:47], s[0:1], 0x58
	s_mov_b32 s3, 0
	s_mul_i32 s2, s15, 0xf00
	s_waitcnt lgkmcnt(0)
	s_lshl_b64 s[0:1], s[22:23], 2
	s_mul_i32 s4, s40, s39
	s_add_u32 s8, s20, s0
	s_mul_hi_u32 s5, s40, s38
	s_addc_u32 s9, s21, s1
	s_add_u32 s10, s24, s0
	s_mul_i32 s6, s41, s38
	s_addc_u32 s11, s25, s1
	s_add_i32 s4, s5, s4
	s_lshl_b64 s[0:1], s[2:3], 2
	s_add_i32 s4, s4, s6
	s_add_u32 s18, s8, s0
	s_addc_u32 s14, s9, s1
	s_mul_i32 s7, s40, s38
	s_add_u32 s20, s10, s0
	s_addc_u32 s21, s11, s1
	s_add_u32 s16, s7, s15
	s_addc_u32 s17, s4, 0
	s_add_u32 s0, s42, -1
	s_addc_u32 s1, s43, -1
	s_mul_i32 s33, s0, 0xfffff100
	s_cmp_eq_u64 s[16:17], s[0:1]
	s_cselect_b32 s23, -1, 0
	s_cmp_lg_u64 s[16:17], s[0:1]
	s_cselect_b32 s19, -1, 0
	s_and_b32 vcc_lo, exec_lo, s23
	s_cbranch_vccnz .LBB189_2
; %bb.1:
	v_lshlrev_b32_e32 v8, 2, v0
	s_delay_alu instid0(VALU_DEP_1) | instskip(NEXT) | instid1(VALU_DEP_1)
	v_add_co_u32 v1, s0, s18, v8
	v_add_co_ci_u32_e64 v2, null, s14, 0, s0
	s_delay_alu instid0(VALU_DEP_2) | instskip(NEXT) | instid1(VALU_DEP_2)
	v_add_co_u32 v3, vcc_lo, 0x1000, v1
	v_add_co_ci_u32_e32 v4, vcc_lo, 0, v2, vcc_lo
	s_clause 0x7
	flat_load_b32 v9, v[1:2]
	flat_load_b32 v10, v[1:2] offset:1024
	flat_load_b32 v11, v[1:2] offset:2048
	;; [unrolled: 1-line block ×3, first 2 shown]
	flat_load_b32 v13, v[3:4]
	flat_load_b32 v14, v[3:4] offset:1024
	flat_load_b32 v15, v[3:4] offset:2048
	;; [unrolled: 1-line block ×3, first 2 shown]
	v_add_co_u32 v3, vcc_lo, 0x2000, v1
	v_add_co_ci_u32_e32 v4, vcc_lo, 0, v2, vcc_lo
	v_add_co_u32 v1, vcc_lo, 0x3000, v1
	v_add_co_ci_u32_e32 v2, vcc_lo, 0, v2, vcc_lo
	s_clause 0x6
	flat_load_b32 v17, v[3:4]
	flat_load_b32 v18, v[3:4] offset:1024
	flat_load_b32 v19, v[3:4] offset:2048
	;; [unrolled: 1-line block ×3, first 2 shown]
	flat_load_b32 v21, v[1:2]
	flat_load_b32 v22, v[1:2] offset:1024
	flat_load_b32 v25, v[1:2] offset:2048
	v_add_co_u32 v2, s0, s20, v8
	s_delay_alu instid0(VALU_DEP_1) | instskip(SKIP_1) | instid1(VALU_DEP_3)
	v_add_co_ci_u32_e64 v3, null, s21, 0, s0
	v_mad_u32_u24 v1, v0, 56, v8
	v_add_co_u32 v4, vcc_lo, 0x1000, v2
	s_delay_alu instid0(VALU_DEP_3)
	v_add_co_ci_u32_e32 v5, vcc_lo, 0, v3, vcc_lo
	v_add_co_u32 v6, vcc_lo, 0x2000, v2
	v_add_co_ci_u32_e32 v7, vcc_lo, 0, v3, vcc_lo
	v_add_co_u32 v23, vcc_lo, 0x3000, v2
	v_add_co_ci_u32_e32 v24, vcc_lo, 0, v3, vcc_lo
	s_waitcnt vmcnt(13) lgkmcnt(13)
	ds_store_2addr_stride64_b32 v8, v9, v10 offset1:4
	s_waitcnt vmcnt(11) lgkmcnt(12)
	ds_store_2addr_stride64_b32 v8, v11, v12 offset0:8 offset1:12
	s_waitcnt vmcnt(9) lgkmcnt(11)
	ds_store_2addr_stride64_b32 v8, v13, v14 offset0:16 offset1:20
	;; [unrolled: 2-line block ×6, first 2 shown]
	s_waitcnt vmcnt(0) lgkmcnt(7)
	ds_store_b32 v8, v25 offset:14336
	s_waitcnt lgkmcnt(0)
	s_barrier
	buffer_gl0_inv
	ds_load_2addr_b32 v[21:22], v1 offset1:1
	ds_load_2addr_b32 v[19:20], v1 offset0:2 offset1:3
	ds_load_2addr_b32 v[17:18], v1 offset0:4 offset1:5
	;; [unrolled: 1-line block ×6, first 2 shown]
	ds_load_b32 v43, v1 offset:56
	s_waitcnt lgkmcnt(0)
	s_barrier
	buffer_gl0_inv
	s_clause 0xe
	flat_load_b32 v25, v[2:3]
	flat_load_b32 v26, v[2:3] offset:1024
	flat_load_b32 v27, v[2:3] offset:2048
	flat_load_b32 v2, v[2:3] offset:3072
	flat_load_b32 v3, v[4:5]
	flat_load_b32 v28, v[4:5] offset:1024
	flat_load_b32 v29, v[4:5] offset:2048
	flat_load_b32 v4, v[4:5] offset:3072
	;; [unrolled: 4-line block ×3, first 2 shown]
	flat_load_b32 v7, v[23:24]
	flat_load_b32 v32, v[23:24] offset:1024
	flat_load_b32 v23, v[23:24] offset:2048
	s_waitcnt vmcnt(13) lgkmcnt(13)
	ds_store_2addr_stride64_b32 v8, v25, v26 offset1:4
	s_waitcnt vmcnt(11) lgkmcnt(12)
	ds_store_2addr_stride64_b32 v8, v27, v2 offset0:8 offset1:12
	s_waitcnt vmcnt(9) lgkmcnt(11)
	ds_store_2addr_stride64_b32 v8, v3, v28 offset0:16 offset1:20
	;; [unrolled: 2-line block ×6, first 2 shown]
	s_waitcnt vmcnt(0) lgkmcnt(7)
	ds_store_b32 v8, v23 offset:14336
	s_waitcnt lgkmcnt(0)
	s_barrier
	s_and_not1_b32 vcc_lo, exec_lo, s3
	s_add_i32 s33, s33, s44
	s_cbranch_vccz .LBB189_3
	s_branch .LBB189_50
.LBB189_2:
                                        ; implicit-def: $vgpr1
                                        ; implicit-def: $vgpr21
                                        ; implicit-def: $vgpr19
                                        ; implicit-def: $vgpr17
                                        ; implicit-def: $vgpr15
                                        ; implicit-def: $vgpr13
                                        ; implicit-def: $vgpr11
                                        ; implicit-def: $vgpr9
                                        ; implicit-def: $vgpr43
	s_add_i32 s33, s33, s44
.LBB189_3:
	s_delay_alu instid0(SALU_CYCLE_1)
	v_cmp_gt_u32_e32 vcc_lo, s33, v0
                                        ; implicit-def: $vgpr1
	s_and_saveexec_b32 s0, vcc_lo
	s_cbranch_execz .LBB189_5
; %bb.4:
	v_lshlrev_b32_e32 v1, 2, v0
	s_delay_alu instid0(VALU_DEP_1) | instskip(NEXT) | instid1(VALU_DEP_1)
	v_add_co_u32 v1, s1, s18, v1
	v_add_co_ci_u32_e64 v2, null, s14, 0, s1
	flat_load_b32 v1, v[1:2]
.LBB189_5:
	s_or_b32 exec_lo, exec_lo, s0
	v_or_b32_e32 v2, 0x100, v0
                                        ; implicit-def: $vgpr9
	s_delay_alu instid0(VALU_DEP_1) | instskip(NEXT) | instid1(VALU_DEP_1)
	v_cmp_gt_u32_e64 s0, s33, v2
	s_and_saveexec_b32 s1, s0
	s_cbranch_execz .LBB189_7
; %bb.6:
	v_lshlrev_b32_e32 v2, 2, v0
	s_delay_alu instid0(VALU_DEP_1) | instskip(NEXT) | instid1(VALU_DEP_1)
	v_add_co_u32 v2, s2, s18, v2
	v_add_co_ci_u32_e64 v3, null, s14, 0, s2
	flat_load_b32 v9, v[2:3] offset:1024
.LBB189_7:
	s_or_b32 exec_lo, exec_lo, s1
	v_or_b32_e32 v2, 0x200, v0
                                        ; implicit-def: $vgpr10
	s_delay_alu instid0(VALU_DEP_1) | instskip(NEXT) | instid1(VALU_DEP_1)
	v_cmp_gt_u32_e64 s1, s33, v2
	s_and_saveexec_b32 s2, s1
	s_cbranch_execz .LBB189_9
; %bb.8:
	v_lshlrev_b32_e32 v2, 2, v0
	s_delay_alu instid0(VALU_DEP_1) | instskip(NEXT) | instid1(VALU_DEP_1)
	v_add_co_u32 v2, s3, s18, v2
	v_add_co_ci_u32_e64 v3, null, s14, 0, s3
	flat_load_b32 v10, v[2:3] offset:2048
.LBB189_9:
	s_or_b32 exec_lo, exec_lo, s2
	v_or_b32_e32 v2, 0x300, v0
                                        ; implicit-def: $vgpr11
	s_delay_alu instid0(VALU_DEP_1) | instskip(NEXT) | instid1(VALU_DEP_1)
	v_cmp_gt_u32_e64 s2, s33, v2
	s_and_saveexec_b32 s3, s2
	s_cbranch_execz .LBB189_11
; %bb.10:
	v_lshlrev_b32_e32 v2, 2, v0
	s_delay_alu instid0(VALU_DEP_1) | instskip(NEXT) | instid1(VALU_DEP_1)
	v_add_co_u32 v2, s4, s18, v2
	v_add_co_ci_u32_e64 v3, null, s14, 0, s4
	flat_load_b32 v11, v[2:3] offset:3072
.LBB189_11:
	s_or_b32 exec_lo, exec_lo, s3
	v_or_b32_e32 v2, 0x400, v0
                                        ; implicit-def: $vgpr12
	s_delay_alu instid0(VALU_DEP_1) | instskip(NEXT) | instid1(VALU_DEP_1)
	v_cmp_gt_u32_e64 s3, s33, v2
	s_and_saveexec_b32 s4, s3
	s_cbranch_execz .LBB189_13
; %bb.12:
	v_lshlrev_b32_e32 v3, 2, v2
	s_delay_alu instid0(VALU_DEP_1) | instskip(NEXT) | instid1(VALU_DEP_1)
	v_add_co_u32 v3, s5, s18, v3
	v_add_co_ci_u32_e64 v4, null, s14, 0, s5
	flat_load_b32 v12, v[3:4]
.LBB189_13:
	s_or_b32 exec_lo, exec_lo, s4
	v_or_b32_e32 v3, 0x500, v0
                                        ; implicit-def: $vgpr13
	s_delay_alu instid0(VALU_DEP_1) | instskip(NEXT) | instid1(VALU_DEP_1)
	v_cmp_gt_u32_e64 s4, s33, v3
	s_and_saveexec_b32 s5, s4
	s_cbranch_execz .LBB189_15
; %bb.14:
	v_lshlrev_b32_e32 v4, 2, v3
	s_delay_alu instid0(VALU_DEP_1) | instskip(NEXT) | instid1(VALU_DEP_1)
	v_add_co_u32 v4, s6, s18, v4
	v_add_co_ci_u32_e64 v5, null, s14, 0, s6
	flat_load_b32 v13, v[4:5]
.LBB189_15:
	s_or_b32 exec_lo, exec_lo, s5
	v_or_b32_e32 v4, 0x600, v0
                                        ; implicit-def: $vgpr14
	s_delay_alu instid0(VALU_DEP_1) | instskip(NEXT) | instid1(VALU_DEP_1)
	v_cmp_gt_u32_e64 s5, s33, v4
	s_and_saveexec_b32 s6, s5
	s_cbranch_execz .LBB189_17
; %bb.16:
	v_lshlrev_b32_e32 v5, 2, v4
	s_delay_alu instid0(VALU_DEP_1) | instskip(NEXT) | instid1(VALU_DEP_1)
	v_add_co_u32 v5, s7, s18, v5
	v_add_co_ci_u32_e64 v6, null, s14, 0, s7
	flat_load_b32 v14, v[5:6]
.LBB189_17:
	s_or_b32 exec_lo, exec_lo, s6
	v_or_b32_e32 v5, 0x700, v0
                                        ; implicit-def: $vgpr15
	s_delay_alu instid0(VALU_DEP_1) | instskip(NEXT) | instid1(VALU_DEP_1)
	v_cmp_gt_u32_e64 s6, s33, v5
	s_and_saveexec_b32 s7, s6
	s_cbranch_execz .LBB189_19
; %bb.18:
	v_lshlrev_b32_e32 v6, 2, v5
	s_delay_alu instid0(VALU_DEP_1) | instskip(NEXT) | instid1(VALU_DEP_1)
	v_add_co_u32 v6, s8, s18, v6
	v_add_co_ci_u32_e64 v7, null, s14, 0, s8
	flat_load_b32 v15, v[6:7]
.LBB189_19:
	s_or_b32 exec_lo, exec_lo, s7
	v_or_b32_e32 v6, 0x800, v0
                                        ; implicit-def: $vgpr16
	s_delay_alu instid0(VALU_DEP_1) | instskip(NEXT) | instid1(VALU_DEP_1)
	v_cmp_gt_u32_e64 s7, s33, v6
	s_and_saveexec_b32 s8, s7
	s_cbranch_execz .LBB189_21
; %bb.20:
	v_lshlrev_b32_e32 v7, 2, v6
	s_delay_alu instid0(VALU_DEP_1) | instskip(NEXT) | instid1(VALU_DEP_1)
	v_add_co_u32 v7, s9, s18, v7
	v_add_co_ci_u32_e64 v8, null, s14, 0, s9
	flat_load_b32 v16, v[7:8]
.LBB189_21:
	s_or_b32 exec_lo, exec_lo, s8
	v_or_b32_e32 v8, 0x900, v0
                                        ; implicit-def: $vgpr17
	s_delay_alu instid0(VALU_DEP_1) | instskip(NEXT) | instid1(VALU_DEP_1)
	v_cmp_gt_u32_e64 s8, s33, v8
	s_and_saveexec_b32 s9, s8
	s_cbranch_execz .LBB189_23
; %bb.22:
	v_lshlrev_b32_e32 v7, 2, v8
	s_delay_alu instid0(VALU_DEP_1) | instskip(NEXT) | instid1(VALU_DEP_1)
	v_add_co_u32 v17, s10, s18, v7
	v_add_co_ci_u32_e64 v18, null, s14, 0, s10
	flat_load_b32 v17, v[17:18]
.LBB189_23:
	s_or_b32 exec_lo, exec_lo, s9
	v_or_b32_e32 v23, 0xa00, v0
                                        ; implicit-def: $vgpr18
	s_delay_alu instid0(VALU_DEP_1) | instskip(NEXT) | instid1(VALU_DEP_1)
	v_cmp_gt_u32_e64 s9, s33, v23
	s_and_saveexec_b32 s10, s9
	s_cbranch_execz .LBB189_25
; %bb.24:
	v_lshlrev_b32_e32 v7, 2, v23
	s_delay_alu instid0(VALU_DEP_1) | instskip(NEXT) | instid1(VALU_DEP_1)
	v_add_co_u32 v18, s11, s18, v7
	v_add_co_ci_u32_e64 v19, null, s14, 0, s11
	flat_load_b32 v18, v[18:19]
.LBB189_25:
	s_or_b32 exec_lo, exec_lo, s10
	v_or_b32_e32 v24, 0xb00, v0
                                        ; implicit-def: $vgpr19
	s_delay_alu instid0(VALU_DEP_1) | instskip(NEXT) | instid1(VALU_DEP_1)
	v_cmp_gt_u32_e64 s10, s33, v24
	s_and_saveexec_b32 s11, s10
	s_cbranch_execz .LBB189_27
; %bb.26:
	v_lshlrev_b32_e32 v7, 2, v24
	s_delay_alu instid0(VALU_DEP_1) | instskip(NEXT) | instid1(VALU_DEP_1)
	v_add_co_u32 v19, s12, s18, v7
	v_add_co_ci_u32_e64 v20, null, s14, 0, s12
	flat_load_b32 v19, v[19:20]
.LBB189_27:
	s_or_b32 exec_lo, exec_lo, s11
	v_or_b32_e32 v25, 0xc00, v0
                                        ; implicit-def: $vgpr20
	s_delay_alu instid0(VALU_DEP_1) | instskip(NEXT) | instid1(VALU_DEP_1)
	v_cmp_gt_u32_e64 s11, s33, v25
	s_and_saveexec_b32 s12, s11
	s_cbranch_execz .LBB189_29
; %bb.28:
	v_lshlrev_b32_e32 v7, 2, v25
	s_delay_alu instid0(VALU_DEP_1) | instskip(NEXT) | instid1(VALU_DEP_1)
	v_add_co_u32 v20, s13, s18, v7
	v_add_co_ci_u32_e64 v21, null, s14, 0, s13
	flat_load_b32 v20, v[20:21]
.LBB189_29:
	s_or_b32 exec_lo, exec_lo, s12
	v_or_b32_e32 v26, 0xd00, v0
                                        ; implicit-def: $vgpr21
	s_delay_alu instid0(VALU_DEP_1) | instskip(NEXT) | instid1(VALU_DEP_1)
	v_cmp_gt_u32_e64 s12, s33, v26
	s_and_saveexec_b32 s13, s12
	s_cbranch_execz .LBB189_31
; %bb.30:
	v_lshlrev_b32_e32 v7, 2, v26
	s_delay_alu instid0(VALU_DEP_1) | instskip(NEXT) | instid1(VALU_DEP_1)
	v_add_co_u32 v21, s22, s18, v7
	v_add_co_ci_u32_e64 v22, null, s14, 0, s22
	flat_load_b32 v21, v[21:22]
.LBB189_31:
	s_or_b32 exec_lo, exec_lo, s13
	v_or_b32_e32 v27, 0xe00, v0
                                        ; implicit-def: $vgpr22
	s_delay_alu instid0(VALU_DEP_1) | instskip(NEXT) | instid1(VALU_DEP_1)
	v_cmp_gt_u32_e64 s13, s33, v27
	s_and_saveexec_b32 s22, s13
	s_cbranch_execz .LBB189_33
; %bb.32:
	v_lshlrev_b32_e32 v7, 2, v27
	s_delay_alu instid0(VALU_DEP_1) | instskip(NEXT) | instid1(VALU_DEP_1)
	v_add_co_u32 v28, s24, s18, v7
	v_add_co_ci_u32_e64 v29, null, s14, 0, s24
	flat_load_b32 v22, v[28:29]
.LBB189_33:
	s_or_b32 exec_lo, exec_lo, s22
	v_lshlrev_b32_e32 v7, 2, v0
                                        ; implicit-def: $vgpr28
	s_waitcnt vmcnt(0) lgkmcnt(0)
	ds_store_2addr_stride64_b32 v7, v1, v9 offset1:4
	ds_store_2addr_stride64_b32 v7, v10, v11 offset0:8 offset1:12
	ds_store_2addr_stride64_b32 v7, v12, v13 offset0:16 offset1:20
	;; [unrolled: 1-line block ×6, first 2 shown]
	v_mad_u32_u24 v1, v0, 56, v7
	ds_store_b32 v7, v22 offset:14336
	s_waitcnt lgkmcnt(0)
	s_barrier
	buffer_gl0_inv
	ds_load_2addr_b32 v[21:22], v1 offset1:1
	ds_load_2addr_b32 v[19:20], v1 offset0:2 offset1:3
	ds_load_2addr_b32 v[17:18], v1 offset0:4 offset1:5
	;; [unrolled: 1-line block ×6, first 2 shown]
	ds_load_b32 v43, v1 offset:56
	s_waitcnt lgkmcnt(0)
	s_barrier
	buffer_gl0_inv
	s_and_saveexec_b32 s22, vcc_lo
	s_cbranch_execnz .LBB189_57
; %bb.34:
	s_or_b32 exec_lo, exec_lo, s22
                                        ; implicit-def: $vgpr29
	s_and_saveexec_b32 s22, s0
	s_cbranch_execnz .LBB189_58
.LBB189_35:
	s_or_b32 exec_lo, exec_lo, s22
                                        ; implicit-def: $vgpr30
	s_and_saveexec_b32 s0, s1
	s_cbranch_execnz .LBB189_59
.LBB189_36:
	s_or_b32 exec_lo, exec_lo, s0
                                        ; implicit-def: $vgpr31
	s_and_saveexec_b32 s0, s2
	s_cbranch_execnz .LBB189_60
.LBB189_37:
	s_or_b32 exec_lo, exec_lo, s0
                                        ; implicit-def: $vgpr32
	s_and_saveexec_b32 s0, s3
	s_cbranch_execnz .LBB189_61
.LBB189_38:
	s_or_b32 exec_lo, exec_lo, s0
                                        ; implicit-def: $vgpr2
	s_and_saveexec_b32 s0, s4
	s_cbranch_execnz .LBB189_62
.LBB189_39:
	s_or_b32 exec_lo, exec_lo, s0
                                        ; implicit-def: $vgpr3
	s_and_saveexec_b32 s0, s5
	s_cbranch_execnz .LBB189_63
.LBB189_40:
	s_or_b32 exec_lo, exec_lo, s0
                                        ; implicit-def: $vgpr4
	s_and_saveexec_b32 s0, s6
	s_cbranch_execnz .LBB189_64
.LBB189_41:
	s_or_b32 exec_lo, exec_lo, s0
                                        ; implicit-def: $vgpr5
	s_and_saveexec_b32 s0, s7
	s_cbranch_execnz .LBB189_65
.LBB189_42:
	s_or_b32 exec_lo, exec_lo, s0
                                        ; implicit-def: $vgpr6
	s_and_saveexec_b32 s0, s8
	s_cbranch_execnz .LBB189_66
.LBB189_43:
	s_or_b32 exec_lo, exec_lo, s0
                                        ; implicit-def: $vgpr8
	s_and_saveexec_b32 s0, s9
	s_cbranch_execnz .LBB189_67
.LBB189_44:
	s_or_b32 exec_lo, exec_lo, s0
                                        ; implicit-def: $vgpr23
	s_and_saveexec_b32 s0, s10
	s_cbranch_execnz .LBB189_68
.LBB189_45:
	s_or_b32 exec_lo, exec_lo, s0
                                        ; implicit-def: $vgpr24
	s_and_saveexec_b32 s0, s11
	s_cbranch_execnz .LBB189_69
.LBB189_46:
	s_or_b32 exec_lo, exec_lo, s0
                                        ; implicit-def: $vgpr25
	s_and_saveexec_b32 s0, s12
	s_cbranch_execnz .LBB189_70
.LBB189_47:
	s_or_b32 exec_lo, exec_lo, s0
                                        ; implicit-def: $vgpr26
	s_and_saveexec_b32 s0, s13
	s_cbranch_execz .LBB189_49
.LBB189_48:
	v_lshlrev_b32_e32 v26, 2, v27
	s_delay_alu instid0(VALU_DEP_1) | instskip(NEXT) | instid1(VALU_DEP_1)
	v_add_co_u32 v26, s1, s20, v26
	v_add_co_ci_u32_e64 v27, null, s21, 0, s1
	flat_load_b32 v26, v[26:27]
.LBB189_49:
	s_or_b32 exec_lo, exec_lo, s0
	s_waitcnt vmcnt(0) lgkmcnt(0)
	ds_store_2addr_stride64_b32 v7, v28, v29 offset1:4
	ds_store_2addr_stride64_b32 v7, v30, v31 offset0:8 offset1:12
	ds_store_2addr_stride64_b32 v7, v32, v2 offset0:16 offset1:20
	;; [unrolled: 1-line block ×6, first 2 shown]
	ds_store_b32 v7, v26 offset:14336
	s_waitcnt lgkmcnt(0)
	s_barrier
.LBB189_50:
	buffer_gl0_inv
	ds_load_2addr_b32 v[35:36], v1 offset1:1
	ds_load_2addr_b32 v[33:34], v1 offset0:2 offset1:3
	ds_load_2addr_b32 v[31:32], v1 offset0:4 offset1:5
	;; [unrolled: 1-line block ×6, first 2 shown]
	ds_load_b32 v59, v1 offset:56
	s_cmp_eq_u64 s[16:17], 0
	s_waitcnt lgkmcnt(0)
	s_cselect_b32 s40, -1, 0
	s_cmp_lg_u64 s[16:17], 0
	s_barrier
	s_cselect_b32 s20, -1, 0
	s_and_b32 vcc_lo, exec_lo, s19
	buffer_gl0_inv
	s_cbranch_vccz .LBB189_56
; %bb.51:
	s_and_b32 vcc_lo, exec_lo, s20
	s_cbranch_vccz .LBB189_71
; %bb.52:
	v_add_co_u32 v1, s0, -4, s18
	s_delay_alu instid0(VALU_DEP_1)
	v_add_co_ci_u32_e64 v2, null, -1, s14, s0
	v_cmp_neq_f32_e32 vcc_lo, v10, v43
	v_cmp_neq_f32_e64 s0, v9, v10
	v_cmp_neq_f32_e64 s1, v12, v9
	flat_load_b32 v1, v[1:2]
	v_lshlrev_b32_e32 v2, 2, v0
	v_cmp_neq_f32_e64 s2, v11, v12
	v_cmp_neq_f32_e64 s3, v14, v11
	;; [unrolled: 1-line block ×11, first 2 shown]
	s_mov_b32 s41, -1
	s_mov_b32 s19, 0
	s_mov_b32 s21, exec_lo
	ds_store_b32 v2, v43
	s_waitcnt vmcnt(0) lgkmcnt(0)
	s_barrier
	buffer_gl0_inv
	v_cmpx_ne_u32_e32 0, v0
	s_cbranch_execz .LBB189_54
; %bb.53:
	v_add_nc_u32_e32 v1, -4, v2
	ds_load_b32 v1, v1
.LBB189_54:
	s_or_b32 exec_lo, exec_lo, s21
	v_cndmask_b32_e64 v51, 0, 1, vcc_lo
	v_cndmask_b32_e64 v44, 0, 1, s0
	v_cndmask_b32_e64 v45, 0, 1, s1
	;; [unrolled: 1-line block ×13, first 2 shown]
	s_waitcnt lgkmcnt(0)
	v_cmp_neq_f32_e64 s0, v1, v21
	s_and_b32 vcc_lo, exec_lo, s19
	s_cbranch_vccnz .LBB189_72
.LBB189_55:
                                        ; implicit-def: $sgpr1
	s_branch .LBB189_83
.LBB189_56:
	s_mov_b32 s41, 0
                                        ; implicit-def: $sgpr0
                                        ; implicit-def: $vgpr51
                                        ; implicit-def: $vgpr44
                                        ; implicit-def: $vgpr45
                                        ; implicit-def: $vgpr46
                                        ; implicit-def: $vgpr47
                                        ; implicit-def: $vgpr48
                                        ; implicit-def: $vgpr49
                                        ; implicit-def: $vgpr50
                                        ; implicit-def: $vgpr52
                                        ; implicit-def: $vgpr53
                                        ; implicit-def: $vgpr54
                                        ; implicit-def: $vgpr55
                                        ; implicit-def: $vgpr56
                                        ; implicit-def: $vgpr57
                                        ; implicit-def: $sgpr1
	s_cbranch_execnz .LBB189_75
	s_branch .LBB189_83
.LBB189_57:
	v_add_co_u32 v28, s24, s20, v7
	s_delay_alu instid0(VALU_DEP_1)
	v_add_co_ci_u32_e64 v29, null, s21, 0, s24
	flat_load_b32 v28, v[28:29]
	s_or_b32 exec_lo, exec_lo, s22
                                        ; implicit-def: $vgpr29
	s_and_saveexec_b32 s22, s0
	s_cbranch_execz .LBB189_35
.LBB189_58:
	v_add_co_u32 v29, s0, s20, v7
	s_delay_alu instid0(VALU_DEP_1)
	v_add_co_ci_u32_e64 v30, null, s21, 0, s0
	flat_load_b32 v29, v[29:30] offset:1024
	s_or_b32 exec_lo, exec_lo, s22
                                        ; implicit-def: $vgpr30
	s_and_saveexec_b32 s0, s1
	s_cbranch_execz .LBB189_36
.LBB189_59:
	v_add_co_u32 v30, s1, s20, v7
	s_delay_alu instid0(VALU_DEP_1)
	v_add_co_ci_u32_e64 v31, null, s21, 0, s1
	flat_load_b32 v30, v[30:31] offset:2048
	s_or_b32 exec_lo, exec_lo, s0
                                        ; implicit-def: $vgpr31
	s_and_saveexec_b32 s0, s2
	s_cbranch_execz .LBB189_37
.LBB189_60:
	v_add_co_u32 v31, s1, s20, v7
	s_delay_alu instid0(VALU_DEP_1)
	v_add_co_ci_u32_e64 v32, null, s21, 0, s1
	flat_load_b32 v31, v[31:32] offset:3072
	s_or_b32 exec_lo, exec_lo, s0
                                        ; implicit-def: $vgpr32
	s_and_saveexec_b32 s0, s3
	s_cbranch_execz .LBB189_38
.LBB189_61:
	v_lshlrev_b32_e32 v2, 2, v2
	s_delay_alu instid0(VALU_DEP_1) | instskip(NEXT) | instid1(VALU_DEP_1)
	v_add_co_u32 v32, s1, s20, v2
	v_add_co_ci_u32_e64 v33, null, s21, 0, s1
	flat_load_b32 v32, v[32:33]
	s_or_b32 exec_lo, exec_lo, s0
                                        ; implicit-def: $vgpr2
	s_and_saveexec_b32 s0, s4
	s_cbranch_execz .LBB189_39
.LBB189_62:
	v_lshlrev_b32_e32 v2, 2, v3
	s_delay_alu instid0(VALU_DEP_1) | instskip(NEXT) | instid1(VALU_DEP_1)
	v_add_co_u32 v2, s1, s20, v2
	v_add_co_ci_u32_e64 v3, null, s21, 0, s1
	flat_load_b32 v2, v[2:3]
	s_or_b32 exec_lo, exec_lo, s0
                                        ; implicit-def: $vgpr3
	s_and_saveexec_b32 s0, s5
	s_cbranch_execz .LBB189_40
.LBB189_63:
	v_lshlrev_b32_e32 v3, 2, v4
	s_delay_alu instid0(VALU_DEP_1) | instskip(NEXT) | instid1(VALU_DEP_1)
	v_add_co_u32 v3, s1, s20, v3
	v_add_co_ci_u32_e64 v4, null, s21, 0, s1
	flat_load_b32 v3, v[3:4]
	s_or_b32 exec_lo, exec_lo, s0
                                        ; implicit-def: $vgpr4
	s_and_saveexec_b32 s0, s6
	s_cbranch_execz .LBB189_41
.LBB189_64:
	v_lshlrev_b32_e32 v4, 2, v5
	s_delay_alu instid0(VALU_DEP_1) | instskip(NEXT) | instid1(VALU_DEP_1)
	v_add_co_u32 v4, s1, s20, v4
	v_add_co_ci_u32_e64 v5, null, s21, 0, s1
	flat_load_b32 v4, v[4:5]
	s_or_b32 exec_lo, exec_lo, s0
                                        ; implicit-def: $vgpr5
	s_and_saveexec_b32 s0, s7
	s_cbranch_execz .LBB189_42
.LBB189_65:
	v_lshlrev_b32_e32 v5, 2, v6
	s_delay_alu instid0(VALU_DEP_1) | instskip(NEXT) | instid1(VALU_DEP_1)
	v_add_co_u32 v5, s1, s20, v5
	v_add_co_ci_u32_e64 v6, null, s21, 0, s1
	flat_load_b32 v5, v[5:6]
	s_or_b32 exec_lo, exec_lo, s0
                                        ; implicit-def: $vgpr6
	s_and_saveexec_b32 s0, s8
	s_cbranch_execz .LBB189_43
.LBB189_66:
	v_lshlrev_b32_e32 v6, 2, v8
	s_delay_alu instid0(VALU_DEP_1) | instskip(NEXT) | instid1(VALU_DEP_1)
	v_add_co_u32 v33, s1, s20, v6
	v_add_co_ci_u32_e64 v34, null, s21, 0, s1
	flat_load_b32 v6, v[33:34]
	s_or_b32 exec_lo, exec_lo, s0
                                        ; implicit-def: $vgpr8
	s_and_saveexec_b32 s0, s9
	s_cbranch_execz .LBB189_44
.LBB189_67:
	v_lshlrev_b32_e32 v8, 2, v23
	s_delay_alu instid0(VALU_DEP_1) | instskip(NEXT) | instid1(VALU_DEP_1)
	v_add_co_u32 v33, s1, s20, v8
	v_add_co_ci_u32_e64 v34, null, s21, 0, s1
	flat_load_b32 v8, v[33:34]
	s_or_b32 exec_lo, exec_lo, s0
                                        ; implicit-def: $vgpr23
	s_and_saveexec_b32 s0, s10
	s_cbranch_execz .LBB189_45
.LBB189_68:
	v_lshlrev_b32_e32 v23, 2, v24
	s_delay_alu instid0(VALU_DEP_1) | instskip(NEXT) | instid1(VALU_DEP_1)
	v_add_co_u32 v23, s1, s20, v23
	v_add_co_ci_u32_e64 v24, null, s21, 0, s1
	flat_load_b32 v23, v[23:24]
	s_or_b32 exec_lo, exec_lo, s0
                                        ; implicit-def: $vgpr24
	s_and_saveexec_b32 s0, s11
	s_cbranch_execz .LBB189_46
.LBB189_69:
	v_lshlrev_b32_e32 v24, 2, v25
	s_delay_alu instid0(VALU_DEP_1) | instskip(NEXT) | instid1(VALU_DEP_1)
	v_add_co_u32 v24, s1, s20, v24
	v_add_co_ci_u32_e64 v25, null, s21, 0, s1
	flat_load_b32 v24, v[24:25]
	s_or_b32 exec_lo, exec_lo, s0
                                        ; implicit-def: $vgpr25
	s_and_saveexec_b32 s0, s12
	s_cbranch_execz .LBB189_47
.LBB189_70:
	v_lshlrev_b32_e32 v25, 2, v26
	s_delay_alu instid0(VALU_DEP_1) | instskip(NEXT) | instid1(VALU_DEP_1)
	v_add_co_u32 v25, s1, s20, v25
	v_add_co_ci_u32_e64 v26, null, s21, 0, s1
	flat_load_b32 v25, v[25:26]
	s_or_b32 exec_lo, exec_lo, s0
                                        ; implicit-def: $vgpr26
	s_and_saveexec_b32 s0, s13
	s_cbranch_execnz .LBB189_48
	s_branch .LBB189_49
.LBB189_71:
	s_mov_b32 s41, 0
                                        ; implicit-def: $sgpr0
                                        ; implicit-def: $vgpr51
                                        ; implicit-def: $vgpr44
                                        ; implicit-def: $vgpr45
                                        ; implicit-def: $vgpr46
                                        ; implicit-def: $vgpr47
                                        ; implicit-def: $vgpr48
                                        ; implicit-def: $vgpr49
                                        ; implicit-def: $vgpr50
                                        ; implicit-def: $vgpr52
                                        ; implicit-def: $vgpr53
                                        ; implicit-def: $vgpr54
                                        ; implicit-def: $vgpr55
                                        ; implicit-def: $vgpr56
                                        ; implicit-def: $vgpr57
	s_cbranch_execz .LBB189_55
.LBB189_72:
	v_cmp_neq_f32_e32 vcc_lo, v10, v43
	v_lshlrev_b32_e32 v1, 2, v0
	s_mov_b32 s1, exec_lo
                                        ; implicit-def: $sgpr0
	v_cndmask_b32_e64 v51, 0, 1, vcc_lo
	v_cmp_neq_f32_e32 vcc_lo, v9, v10
	ds_store_b32 v1, v43
	s_waitcnt lgkmcnt(0)
	s_barrier
	buffer_gl0_inv
	v_cndmask_b32_e64 v44, 0, 1, vcc_lo
	v_cmp_neq_f32_e32 vcc_lo, v12, v9
	v_cndmask_b32_e64 v45, 0, 1, vcc_lo
	v_cmp_neq_f32_e32 vcc_lo, v11, v12
	;; [unrolled: 2-line block ×12, first 2 shown]
	v_cndmask_b32_e64 v57, 0, 1, vcc_lo
	v_cmpx_ne_u32_e32 0, v0
	s_xor_b32 s1, exec_lo, s1
	s_cbranch_execz .LBB189_74
; %bb.73:
	v_add_nc_u32_e32 v1, -4, v1
	s_or_b32 s41, s41, exec_lo
	ds_load_b32 v1, v1
	s_waitcnt lgkmcnt(0)
	v_cmp_neq_f32_e32 vcc_lo, v1, v21
	s_and_b32 s0, vcc_lo, exec_lo
.LBB189_74:
	s_or_b32 exec_lo, exec_lo, s1
	s_mov_b32 s1, 1
	s_branch .LBB189_83
.LBB189_75:
	s_mul_hi_u32 s0, s16, 0xfffff100
	s_mul_i32 s1, s17, 0xfffff100
	s_sub_i32 s0, s0, s16
	s_mul_i32 s2, s16, 0xfffff100
	s_add_i32 s0, s0, s1
	s_add_u32 s24, s2, s44
	s_addc_u32 s25, s0, s45
	s_and_b32 vcc_lo, exec_lo, s20
	s_cbranch_vccz .LBB189_80
; %bb.76:
	v_add_co_u32 v1, s0, -4, s18
	s_delay_alu instid0(VALU_DEP_1)
	v_add_co_ci_u32_e64 v2, null, -1, s14, s0
	v_cmp_neq_f32_e64 s6, v10, v43
	v_cmp_neq_f32_e64 s8, v9, v10
	v_lshlrev_b32_e32 v4, 2, v0
	flat_load_b32 v5, v[1:2]
	v_mad_u32_u24 v1, v0, 15, 14
	v_mov_b32_e32 v2, 0
	v_mul_u32_u24_e32 v3, 15, v0
	s_mov_b32 s41, -1
	s_mov_b32 s10, 0
	ds_store_b32 v4, v43
	v_cmp_gt_u64_e32 vcc_lo, s[24:25], v[1:2]
	v_mad_u32_u24 v1, v0, 15, 13
	s_waitcnt vmcnt(0) lgkmcnt(0)
	s_barrier
	buffer_gl0_inv
	v_cmp_gt_u64_e64 s0, s[24:25], v[1:2]
	v_mad_u32_u24 v1, v0, 15, 12
	s_and_b32 s11, vcc_lo, s6
	v_cmp_neq_f32_e64 s6, v11, v12
	s_delay_alu instid0(VALU_DEP_2) | instskip(SKIP_4) | instid1(VALU_DEP_3)
	v_cmp_gt_u64_e64 s1, s[24:25], v[1:2]
	v_mad_u32_u24 v1, v0, 15, 11
	s_and_b32 s12, s0, s8
	v_cmp_neq_f32_e64 s0, v12, v9
	v_cmp_neq_f32_e64 s8, v14, v11
	v_cmp_gt_u64_e64 s2, s[24:25], v[1:2]
	v_mad_u32_u24 v1, v0, 15, 10
	s_delay_alu instid0(VALU_DEP_4) | instskip(SKIP_1) | instid1(VALU_DEP_2)
	s_and_b32 s13, s1, s0
	v_cmp_neq_f32_e64 s0, v13, v14
	v_cmp_gt_u64_e64 s3, s[24:25], v[1:2]
	v_mad_u32_u24 v1, v0, 15, 9
	s_and_b32 s14, s2, s6
	v_cmp_neq_f32_e64 s2, v15, v16
	v_cmp_neq_f32_e64 s6, v21, v22
	s_delay_alu instid0(VALU_DEP_3) | instskip(SKIP_3) | instid1(VALU_DEP_2)
	v_cmp_gt_u64_e64 s4, s[24:25], v[1:2]
	v_mad_u32_u24 v1, v0, 15, 8
	s_and_b32 s8, s3, s8
	v_cmp_neq_f32_e64 s3, v18, v15
	v_cmp_gt_u64_e64 s5, s[24:25], v[1:2]
	v_mad_u32_u24 v1, v0, 15, 7
	s_and_b32 s16, s4, s0
	v_cmp_neq_f32_e64 s0, v16, v13
	s_delay_alu instid0(VALU_DEP_2) | instskip(SKIP_1) | instid1(VALU_DEP_3)
	v_cmp_gt_u64_e64 s7, s[24:25], v[1:2]
	v_mad_u32_u24 v1, v0, 15, 6
	s_and_b32 s17, s5, s0
	v_cmp_neq_f32_e64 s0, v17, v18
	s_delay_alu instid0(VALU_DEP_2) | instskip(SKIP_3) | instid1(VALU_DEP_2)
	v_cmp_gt_u64_e32 vcc_lo, s[24:25], v[1:2]
	v_mad_u32_u24 v1, v0, 15, 5
	s_and_b32 s18, s7, s2
	v_cmp_neq_f32_e64 s2, v19, v20
	v_cmp_gt_u64_e64 s9, s[24:25], v[1:2]
	v_mad_u32_u24 v1, v0, 15, 4
	s_and_b32 s7, vcc_lo, s3
	v_cmp_neq_f32_e64 s3, v22, v19
	s_delay_alu instid0(VALU_DEP_2) | instskip(SKIP_3) | instid1(VALU_DEP_2)
	v_cmp_gt_u64_e64 s1, s[24:25], v[1:2]
	v_mad_u32_u24 v1, v0, 15, 3
	s_and_b32 s9, s9, s0
	v_cmp_neq_f32_e64 s0, v20, v17
	v_cmp_gt_u64_e64 s4, s[24:25], v[1:2]
	v_mad_u32_u24 v1, v0, 15, 2
	s_delay_alu instid0(VALU_DEP_3) | instskip(NEXT) | instid1(VALU_DEP_1)
	s_and_b32 s0, s1, s0
	v_cmp_gt_u64_e32 vcc_lo, s[24:25], v[1:2]
	v_mad_u32_u24 v1, v0, 15, 1
	s_delay_alu instid0(VALU_DEP_4) | instskip(SKIP_1) | instid1(VALU_DEP_1)
	s_and_b32 s2, s4, s2
	s_mov_b32 s4, exec_lo
	v_cmp_gt_u64_e64 s5, s[24:25], v[1:2]
	s_and_b32 s1, vcc_lo, s3
	s_delay_alu instid0(VALU_DEP_1)
	s_and_b32 s3, s5, s6
	v_cmpx_ne_u32_e32 0, v0
	s_cbranch_execz .LBB189_78
; %bb.77:
	v_add_nc_u32_e32 v1, -4, v4
	ds_load_b32 v5, v1
.LBB189_78:
	s_or_b32 exec_lo, exec_lo, s4
	v_mov_b32_e32 v4, v2
	v_cndmask_b32_e64 v54, 0, 1, s0
	s_waitcnt lgkmcnt(0)
	v_cmp_neq_f32_e64 s0, v5, v21
	v_cndmask_b32_e64 v51, 0, 1, s11
	v_cndmask_b32_e64 v44, 0, 1, s12
	v_cmp_gt_u64_e32 vcc_lo, s[24:25], v[3:4]
	v_cndmask_b32_e64 v45, 0, 1, s13
	v_cndmask_b32_e64 v46, 0, 1, s14
	;; [unrolled: 1-line block ×11, first 2 shown]
	s_and_b32 s0, vcc_lo, s0
	s_and_b32 vcc_lo, exec_lo, s10
	s_cbranch_vccnz .LBB189_81
.LBB189_79:
                                        ; implicit-def: $sgpr1
	v_mov_b32_e32 v58, s1
	s_and_saveexec_b32 s1, s41
	s_cbranch_execnz .LBB189_84
	s_branch .LBB189_85
.LBB189_80:
                                        ; implicit-def: $sgpr0
                                        ; implicit-def: $vgpr51
                                        ; implicit-def: $vgpr44
                                        ; implicit-def: $vgpr45
                                        ; implicit-def: $vgpr46
                                        ; implicit-def: $vgpr47
                                        ; implicit-def: $vgpr48
                                        ; implicit-def: $vgpr49
                                        ; implicit-def: $vgpr50
                                        ; implicit-def: $vgpr52
                                        ; implicit-def: $vgpr53
                                        ; implicit-def: $vgpr54
                                        ; implicit-def: $vgpr55
                                        ; implicit-def: $vgpr56
                                        ; implicit-def: $vgpr57
	s_cbranch_execz .LBB189_79
.LBB189_81:
	v_mad_u32_u24 v1, v0, 15, 14
	v_dual_mov_b32 v2, 0 :: v_dual_lshlrev_b32 v3, 2, v0
	v_cmp_neq_f32_e64 s5, v9, v10
	v_cmp_neq_f32_e64 s4, v10, v43
	;; [unrolled: 1-line block ×3, first 2 shown]
	s_delay_alu instid0(VALU_DEP_4)
	v_cmp_gt_u64_e32 vcc_lo, s[24:25], v[1:2]
	v_mad_u32_u24 v1, v0, 15, 13
	v_cmp_neq_f32_e64 s8, v11, v12
	v_cmp_neq_f32_e64 s9, v14, v11
	;; [unrolled: 1-line block ×4, first 2 shown]
	v_cmp_gt_u64_e64 s0, s[24:25], v[1:2]
	v_mad_u32_u24 v1, v0, 15, 12
	s_and_b32 s4, vcc_lo, s4
	v_cmp_neq_f32_e64 s13, v15, v16
	v_cmp_neq_f32_e64 s14, v18, v15
	;; [unrolled: 1-line block ×3, first 2 shown]
	v_cmp_gt_u64_e64 s1, s[24:25], v[1:2]
	v_mad_u32_u24 v1, v0, 15, 11
	s_and_b32 s0, s0, s5
	v_cmp_neq_f32_e64 s17, v20, v17
	v_cndmask_b32_e64 v44, 0, 1, s0
	v_cmp_neq_f32_e64 s19, v19, v20
	v_cmp_gt_u64_e64 s2, s[24:25], v[1:2]
	v_mad_u32_u24 v1, v0, 15, 10
	s_and_b32 s0, s1, s6
	v_cmp_neq_f32_e64 s20, v22, v19
	v_cndmask_b32_e64 v45, 0, 1, s0
	v_cmp_neq_f32_e64 s21, v21, v22
	v_cmp_gt_u64_e64 s3, s[24:25], v[1:2]
	v_mad_u32_u24 v1, v0, 15, 9
	s_and_b32 s0, s2, s8
	v_cndmask_b32_e64 v51, 0, 1, s4
	v_cndmask_b32_e64 v46, 0, 1, s0
	ds_store_b32 v3, v43
	v_cmp_gt_u64_e64 s7, s[24:25], v[1:2]
	v_mad_u32_u24 v1, v0, 15, 8
	s_and_b32 s1, s3, s9
	s_waitcnt lgkmcnt(0)
	v_cndmask_b32_e64 v47, 0, 1, s1
	s_barrier
	v_cmp_gt_u64_e64 s12, s[24:25], v[1:2]
	v_mad_u32_u24 v1, v0, 15, 7
	s_and_b32 s1, s7, s10
	buffer_gl0_inv
	v_cndmask_b32_e64 v48, 0, 1, s1
	v_cmp_gt_u64_e64 s18, s[24:25], v[1:2]
	v_mad_u32_u24 v1, v0, 15, 6
	s_and_b32 s2, s12, s11
	s_delay_alu instid0(SALU_CYCLE_1) | instskip(NEXT) | instid1(VALU_DEP_2)
	v_cndmask_b32_e64 v49, 0, 1, s2
	v_cmp_gt_u64_e64 s22, s[24:25], v[1:2]
	v_mad_u32_u24 v1, v0, 15, 5
	s_and_b32 s2, s18, s13
	s_delay_alu instid0(SALU_CYCLE_1) | instskip(NEXT) | instid1(VALU_DEP_2)
	v_cndmask_b32_e64 v50, 0, 1, s2
	v_cmp_gt_u64_e32 vcc_lo, s[24:25], v[1:2]
	v_mad_u32_u24 v1, v0, 15, 4
	s_and_b32 s3, s22, s14
	s_delay_alu instid0(SALU_CYCLE_1) | instskip(NEXT) | instid1(VALU_DEP_2)
	v_cndmask_b32_e64 v52, 0, 1, s3
	v_cmp_gt_u64_e64 s0, s[24:25], v[1:2]
	v_mad_u32_u24 v1, v0, 15, 3
	s_and_b32 s3, vcc_lo, s16
	s_delay_alu instid0(SALU_CYCLE_1) | instskip(NEXT) | instid1(VALU_DEP_2)
	v_cndmask_b32_e64 v53, 0, 1, s3
	v_cmp_gt_u64_e64 s1, s[24:25], v[1:2]
	v_mad_u32_u24 v1, v0, 15, 2
	s_and_b32 s0, s0, s17
	s_delay_alu instid0(SALU_CYCLE_1) | instskip(NEXT) | instid1(VALU_DEP_2)
	v_cndmask_b32_e64 v54, 0, 1, s0
	v_cmp_gt_u64_e64 s2, s[24:25], v[1:2]
	v_mad_u32_u24 v1, v0, 15, 1
	s_and_b32 s0, s1, s19
	s_mov_b32 s1, 1
	v_cndmask_b32_e64 v55, 0, 1, s0
	s_delay_alu instid0(VALU_DEP_2) | instskip(SKIP_4) | instid1(SALU_CYCLE_1)
	v_cmp_gt_u64_e32 vcc_lo, s[24:25], v[1:2]
	s_and_b32 s0, s2, s20
	s_mov_b32 s2, exec_lo
	v_cndmask_b32_e64 v56, 0, 1, s0
	s_and_b32 s0, vcc_lo, s21
	v_cndmask_b32_e64 v57, 0, 1, s0
                                        ; implicit-def: $sgpr0
	v_cmpx_ne_u32_e32 0, v0
	s_cbranch_execz .LBB189_168
; %bb.82:
	v_add_nc_u32_e32 v1, -4, v3
	s_or_b32 s41, s41, exec_lo
	ds_load_b32 v3, v1
	v_mul_u32_u24_e32 v1, 15, v0
	s_delay_alu instid0(VALU_DEP_1) | instskip(SKIP_2) | instid1(VALU_DEP_1)
	v_cmp_gt_u64_e32 vcc_lo, s[24:25], v[1:2]
	s_waitcnt lgkmcnt(0)
	v_cmp_neq_f32_e64 s0, v3, v21
	s_and_b32 s0, vcc_lo, s0
	s_delay_alu instid0(SALU_CYCLE_1)
	s_and_b32 s0, s0, exec_lo
	s_or_b32 exec_lo, exec_lo, s2
.LBB189_83:
	v_mov_b32_e32 v58, s1
	s_and_saveexec_b32 s1, s41
.LBB189_84:
	v_cndmask_b32_e64 v58, 0, 1, s0
.LBB189_85:
	s_or_b32 exec_lo, exec_lo, s1
	s_delay_alu instid0(VALU_DEP_1)
	v_add3_u32 v1, v57, v58, v56
	v_add_f32_e32 v74, v35, v36
	v_cmp_eq_u32_e64 s12, 0, v57
	v_cmp_eq_u32_e64 s11, 0, v56
	;; [unrolled: 1-line block ×3, first 2 shown]
	v_add3_u32 v73, v1, v55, v54
	v_cmp_eq_u32_e64 s10, 0, v54
	v_cmp_eq_u32_e64 s8, 0, v53
	;; [unrolled: 1-line block ×10, first 2 shown]
	v_cmp_eq_u32_e32 vcc_lo, 0, v51
	v_mbcnt_lo_u32_b32 v70, -1, 0
	v_lshrrev_b32_e32 v71, 5, v0
	v_or_b32_e32 v72, 31, v0
	s_cmp_eq_u64 s[38:39], 0
	s_cselect_b32 s16, -1, 0
	s_cmp_lg_u32 s15, 0
	s_cbranch_scc0 .LBB189_116
; %bb.86:
	v_add3_u32 v2, v73, v53, v52
	v_cndmask_b32_e64 v1, v36, v74, s12
	s_mov_b32 s14, exec_lo
	v_and_b32_e32 v4, 15, v70
	v_and_b32_e32 v6, 16, v70
	v_add3_u32 v2, v2, v50, v49
	v_add_f32_e32 v1, v33, v1
	s_delay_alu instid0(VALU_DEP_2) | instskip(NEXT) | instid1(VALU_DEP_2)
	v_add3_u32 v2, v2, v48, v47
	v_cndmask_b32_e64 v1, v33, v1, s11
	s_delay_alu instid0(VALU_DEP_2) | instskip(NEXT) | instid1(VALU_DEP_1)
	v_add3_u32 v2, v2, v46, v45
	v_add3_u32 v2, v2, v44, v51
	s_delay_alu instid0(VALU_DEP_3) | instskip(NEXT) | instid1(VALU_DEP_2)
	v_add_f32_e32 v1, v34, v1
	v_mov_b32_dpp v5, v2 row_shr:1 row_mask:0xf bank_mask:0xf
	s_delay_alu instid0(VALU_DEP_2) | instskip(NEXT) | instid1(VALU_DEP_1)
	v_cndmask_b32_e64 v1, v34, v1, s9
	v_add_f32_e32 v1, v31, v1
	s_delay_alu instid0(VALU_DEP_1) | instskip(NEXT) | instid1(VALU_DEP_1)
	v_cndmask_b32_e64 v1, v31, v1, s10
	v_add_f32_e32 v1, v32, v1
	s_delay_alu instid0(VALU_DEP_1) | instskip(NEXT) | instid1(VALU_DEP_1)
	;; [unrolled: 3-line block ×10, first 2 shown]
	v_cndmask_b32_e64 v1, v24, v1, s0
	v_add_f32_e32 v1, v59, v1
	s_delay_alu instid0(VALU_DEP_1) | instskip(SKIP_1) | instid1(VALU_DEP_2)
	v_cndmask_b32_e32 v1, v59, v1, vcc_lo
	v_cmp_eq_u32_e32 vcc_lo, 0, v2
	v_mov_b32_dpp v3, v1 row_shr:1 row_mask:0xf bank_mask:0xf
	s_delay_alu instid0(VALU_DEP_1) | instskip(NEXT) | instid1(VALU_DEP_1)
	v_add_f32_e32 v3, v1, v3
	v_cndmask_b32_e32 v3, v1, v3, vcc_lo
	v_cmp_eq_u32_e32 vcc_lo, 0, v4
	v_cndmask_b32_e64 v5, v5, 0, vcc_lo
	s_delay_alu instid0(VALU_DEP_1) | instskip(NEXT) | instid1(VALU_DEP_1)
	v_dual_cndmask_b32 v1, v3, v1 :: v_dual_add_nc_u32 v2, v5, v2
	v_mov_b32_dpp v3, v1 row_shr:2 row_mask:0xf bank_mask:0xf
	s_delay_alu instid0(VALU_DEP_2) | instskip(NEXT) | instid1(VALU_DEP_2)
	v_cmp_eq_u32_e32 vcc_lo, 0, v2
	v_add_f32_e32 v3, v1, v3
	v_mov_b32_dpp v5, v2 row_shr:2 row_mask:0xf bank_mask:0xf
	s_delay_alu instid0(VALU_DEP_2) | instskip(SKIP_1) | instid1(VALU_DEP_2)
	v_cndmask_b32_e32 v3, v1, v3, vcc_lo
	v_cmp_lt_u32_e32 vcc_lo, 1, v4
	v_cndmask_b32_e32 v1, v1, v3, vcc_lo
	s_delay_alu instid0(VALU_DEP_4) | instskip(NEXT) | instid1(VALU_DEP_2)
	v_cndmask_b32_e32 v3, 0, v5, vcc_lo
	v_mov_b32_dpp v5, v1 row_shr:4 row_mask:0xf bank_mask:0xf
	s_delay_alu instid0(VALU_DEP_1) | instskip(NEXT) | instid1(VALU_DEP_1)
	v_dual_add_f32 v3, v1, v5 :: v_dual_add_nc_u32 v2, v2, v3
	v_cmp_eq_u32_e32 vcc_lo, 0, v2
	v_mov_b32_dpp v5, v2 row_shr:4 row_mask:0xf bank_mask:0xf
	s_delay_alu instid0(VALU_DEP_3) | instskip(SKIP_1) | instid1(VALU_DEP_2)
	v_cndmask_b32_e32 v3, v1, v3, vcc_lo
	v_cmp_lt_u32_e32 vcc_lo, 3, v4
	v_cndmask_b32_e32 v1, v1, v3, vcc_lo
	s_delay_alu instid0(VALU_DEP_4) | instskip(NEXT) | instid1(VALU_DEP_2)
	v_cndmask_b32_e32 v3, 0, v5, vcc_lo
	v_mov_b32_dpp v5, v1 row_shr:8 row_mask:0xf bank_mask:0xf
	s_delay_alu instid0(VALU_DEP_1) | instskip(NEXT) | instid1(VALU_DEP_1)
	v_dual_add_f32 v2, v1, v5 :: v_dual_add_nc_u32 v3, v3, v2
	v_cmp_eq_u32_e32 vcc_lo, 0, v3
	v_mov_b32_dpp v5, v3 row_shr:8 row_mask:0xf bank_mask:0xf
	s_delay_alu instid0(VALU_DEP_3) | instskip(SKIP_1) | instid1(VALU_DEP_2)
	v_cndmask_b32_e32 v2, v1, v2, vcc_lo
	v_cmp_lt_u32_e32 vcc_lo, 7, v4
	v_dual_cndmask_b32 v2, v1, v2 :: v_dual_cndmask_b32 v1, 0, v5
	v_bfe_i32 v5, v70, 4, 1
	s_delay_alu instid0(VALU_DEP_2)
	v_add_nc_u32_e32 v1, v1, v3
	ds_swizzle_b32 v3, v2 offset:swizzle(BROADCAST,32,15)
	ds_swizzle_b32 v4, v1 offset:swizzle(BROADCAST,32,15)
	v_cmp_eq_u32_e32 vcc_lo, 0, v1
	s_waitcnt lgkmcnt(1)
	v_add_f32_e32 v3, v2, v3
	s_waitcnt lgkmcnt(0)
	v_and_b32_e32 v7, v5, v4
	s_delay_alu instid0(VALU_DEP_2) | instskip(SKIP_2) | instid1(VALU_DEP_4)
	v_cndmask_b32_e32 v5, v2, v3, vcc_lo
	v_cmp_eq_u32_e32 vcc_lo, 0, v6
	v_lshlrev_b32_e32 v4, 3, v71
	v_add_nc_u32_e32 v1, v7, v1
	s_delay_alu instid0(VALU_DEP_4)
	v_cndmask_b32_e32 v3, v5, v2, vcc_lo
	v_cmpx_eq_u32_e64 v72, v0
	s_cbranch_execz .LBB189_88
; %bb.87:
	v_cndmask_b32_e32 v2, v5, v2, vcc_lo
	ds_store_b64 v4, v[1:2] offset:2064
.LBB189_88:
	s_or_b32 exec_lo, exec_lo, s14
	s_delay_alu instid0(SALU_CYCLE_1)
	s_mov_b32 s14, exec_lo
	s_waitcnt lgkmcnt(0)
	s_barrier
	buffer_gl0_inv
	v_cmpx_gt_u32_e32 8, v0
	s_cbranch_execz .LBB189_90
; %bb.89:
	v_lshlrev_b32_e32 v2, 3, v0
	ds_load_b64 v[5:6], v2 offset:2064
	s_waitcnt lgkmcnt(0)
	v_mov_b32_dpp v7, v6 row_shr:1 row_mask:0xf bank_mask:0xf
	v_cmp_eq_u32_e32 vcc_lo, 0, v5
	v_mov_b32_dpp v37, v5 row_shr:1 row_mask:0xf bank_mask:0xf
	s_delay_alu instid0(VALU_DEP_3) | instskip(NEXT) | instid1(VALU_DEP_1)
	v_dual_add_f32 v7, v6, v7 :: v_dual_and_b32 v8, 7, v70
	v_cndmask_b32_e32 v7, v6, v7, vcc_lo
	s_delay_alu instid0(VALU_DEP_2) | instskip(NEXT) | instid1(VALU_DEP_4)
	v_cmp_eq_u32_e32 vcc_lo, 0, v8
	v_cndmask_b32_e64 v37, v37, 0, vcc_lo
	s_delay_alu instid0(VALU_DEP_1) | instskip(NEXT) | instid1(VALU_DEP_1)
	v_dual_cndmask_b32 v6, v7, v6 :: v_dual_add_nc_u32 v5, v37, v5
	v_mov_b32_dpp v7, v6 row_shr:2 row_mask:0xf bank_mask:0xf
	s_delay_alu instid0(VALU_DEP_2) | instskip(NEXT) | instid1(VALU_DEP_2)
	v_cmp_eq_u32_e32 vcc_lo, 0, v5
	v_add_f32_e32 v7, v6, v7
	v_mov_b32_dpp v37, v5 row_shr:2 row_mask:0xf bank_mask:0xf
	s_delay_alu instid0(VALU_DEP_2) | instskip(SKIP_1) | instid1(VALU_DEP_2)
	v_cndmask_b32_e32 v7, v6, v7, vcc_lo
	v_cmp_lt_u32_e32 vcc_lo, 1, v8
	v_dual_cndmask_b32 v6, v6, v7 :: v_dual_cndmask_b32 v7, 0, v37
	v_cmp_lt_u32_e32 vcc_lo, 3, v8
	s_delay_alu instid0(VALU_DEP_2) | instskip(NEXT) | instid1(VALU_DEP_1)
	v_mov_b32_dpp v37, v6 row_shr:4 row_mask:0xf bank_mask:0xf
	v_add_f32_e32 v8, v6, v37
	s_delay_alu instid0(VALU_DEP_4) | instskip(NEXT) | instid1(VALU_DEP_1)
	v_add_nc_u32_e32 v5, v7, v5
	v_mov_b32_dpp v7, v5 row_shr:4 row_mask:0xf bank_mask:0xf
	v_cmp_eq_u32_e64 s13, 0, v5
	s_delay_alu instid0(VALU_DEP_2) | instskip(NEXT) | instid1(VALU_DEP_2)
	v_cndmask_b32_e32 v7, 0, v7, vcc_lo
	s_and_b32 vcc_lo, vcc_lo, s13
	s_delay_alu instid0(VALU_DEP_1)
	v_dual_cndmask_b32 v6, v6, v8 :: v_dual_add_nc_u32 v5, v7, v5
	ds_store_b64 v2, v[5:6] offset:2064
.LBB189_90:
	s_or_b32 exec_lo, exec_lo, s14
	v_cmp_gt_u32_e32 vcc_lo, 32, v0
	v_dual_mov_b32 v37, 0 :: v_dual_mov_b32 v38, 0
	s_mov_b32 s14, exec_lo
	s_waitcnt lgkmcnt(0)
	s_barrier
	buffer_gl0_inv
	v_cmpx_lt_u32_e32 31, v0
	s_cbranch_execz .LBB189_92
; %bb.91:
	ds_load_b64 v[37:38], v4 offset:2056
	v_cmp_eq_u32_e64 s13, 0, v1
	s_waitcnt lgkmcnt(0)
	v_add_nc_u32_e32 v4, v37, v1
	s_delay_alu instid0(VALU_DEP_1) | instskip(NEXT) | instid1(VALU_DEP_1)
	v_dual_add_f32 v2, v3, v38 :: v_dual_mov_b32 v1, v4
	v_cndmask_b32_e64 v3, v3, v2, s13
.LBB189_92:
	s_or_b32 exec_lo, exec_lo, s14
	v_add_nc_u32_e32 v2, -1, v70
	s_delay_alu instid0(VALU_DEP_1) | instskip(NEXT) | instid1(VALU_DEP_1)
	v_cmp_gt_i32_e64 s13, 0, v2
	v_cndmask_b32_e64 v2, v2, v70, s13
	v_cmp_eq_u32_e64 s13, 0, v70
	s_delay_alu instid0(VALU_DEP_2)
	v_lshlrev_b32_e32 v2, 2, v2
	ds_bpermute_b32 v60, v2, v1
	ds_bpermute_b32 v61, v2, v3
	s_and_saveexec_b32 s17, vcc_lo
	s_cbranch_execz .LBB189_115
; %bb.93:
	v_mov_b32_e32 v4, 0
	ds_load_b64 v[1:2], v4 offset:2120
	s_waitcnt lgkmcnt(0)
	v_readfirstlane_b32 s18, v2
	s_and_saveexec_b32 s14, s13
	s_cbranch_execz .LBB189_95
; %bb.94:
	s_add_i32 s20, s15, 32
	s_mov_b32 s21, 0
	v_mov_b32_e32 v3, 1
	s_lshl_b64 s[24:25], s[20:21], 4
	s_mov_b32 s38, s21
	s_add_u32 s24, s36, s24
	s_addc_u32 s25, s37, s25
	s_and_b32 s39, s18, 0xff000000
	s_and_b32 s43, s18, 0xff0000
	s_mov_b32 s42, s21
	v_dual_mov_b32 v5, s24 :: v_dual_mov_b32 v6, s25
	s_or_b64 s[38:39], s[42:43], s[38:39]
	s_and_b32 s43, s18, 0xff00
	s_delay_alu instid0(SALU_CYCLE_1) | instskip(SKIP_1) | instid1(SALU_CYCLE_1)
	s_or_b64 s[38:39], s[38:39], s[42:43]
	s_and_b32 s43, s18, 0xff
	s_or_b64 s[20:21], s[38:39], s[42:43]
	s_delay_alu instid0(SALU_CYCLE_1)
	v_mov_b32_e32 v2, s21
	;;#ASMSTART
	global_store_dwordx4 v[5:6], v[1:4] off	
s_waitcnt vmcnt(0)
	;;#ASMEND
.LBB189_95:
	s_or_b32 exec_lo, exec_lo, s14
	v_xad_u32 v39, v70, -1, s15
	s_mov_b32 s19, 0
	s_mov_b32 s14, exec_lo
	s_delay_alu instid0(VALU_DEP_1) | instskip(NEXT) | instid1(VALU_DEP_1)
	v_add_nc_u32_e32 v3, 32, v39
	v_lshlrev_b64 v[2:3], 4, v[3:4]
	s_delay_alu instid0(VALU_DEP_1) | instskip(NEXT) | instid1(VALU_DEP_2)
	v_add_co_u32 v2, vcc_lo, s36, v2
	v_add_co_ci_u32_e32 v3, vcc_lo, s37, v3, vcc_lo
	;;#ASMSTART
	global_load_dwordx4 v[5:8], v[2:3] off glc	
s_waitcnt vmcnt(0)
	;;#ASMEND
	v_perm_b32 v4, v6, v7, 0x70605
	v_perm_b32 v8, v6, v7, 0x1000706
	;; [unrolled: 1-line block ×3, first 2 shown]
	v_and_b32_e32 v62, 0xff, v7
	s_delay_alu instid0(VALU_DEP_4) | instskip(NEXT) | instid1(VALU_DEP_4)
	v_lshlrev_b32_e32 v4, 8, v4
	v_lshlrev_b32_e32 v8, 16, v8
	s_delay_alu instid0(VALU_DEP_4) | instskip(SKIP_1) | instid1(VALU_DEP_4)
	v_lshlrev_b32_e32 v41, 24, v40
	v_alignbit_b32 v40, v6, v5, 16
	v_perm_b32 v4, v4, v6, 0xc0c0500
	s_delay_alu instid0(VALU_DEP_4) | instskip(SKIP_2) | instid1(VALU_DEP_3)
	v_and_b32_e32 v42, 0xff0000, v8
	v_alignbit_b32 v8, v6, v5, 8
	v_alignbit_b32 v6, v6, v5, 24
	v_or3_b32 v4, v4, v42, v41
	v_cmpx_eq_u16_e32 0, v62
	s_cbranch_execz .LBB189_101
; %bb.96:
	s_mov_b32 s20, 1
	.p2align	6
.LBB189_97:                             ; =>This Loop Header: Depth=1
                                        ;     Child Loop BB189_98 Depth 2
	s_delay_alu instid0(SALU_CYCLE_1)
	s_max_u32 s21, s20, 1
.LBB189_98:                             ;   Parent Loop BB189_97 Depth=1
                                        ; =>  This Inner Loop Header: Depth=2
	s_delay_alu instid0(SALU_CYCLE_1)
	s_add_i32 s21, s21, -1
	s_sleep 1
	s_cmp_eq_u32 s21, 0
	s_cbranch_scc0 .LBB189_98
; %bb.99:                               ;   in Loop: Header=BB189_97 Depth=1
	;;#ASMSTART
	global_load_dwordx4 v[5:8], v[2:3] off glc	
s_waitcnt vmcnt(0)
	;;#ASMEND
	v_and_b32_e32 v4, 0xff, v7
	s_cmp_lt_u32 s20, 32
	s_cselect_b32 s21, -1, 0
	s_delay_alu instid0(VALU_DEP_1) | instskip(SKIP_3) | instid1(SALU_CYCLE_1)
	v_cmp_ne_u16_e32 vcc_lo, 0, v4
	s_cmp_lg_u32 s21, 0
	s_addc_u32 s20, s20, 0
	s_or_b32 s19, vcc_lo, s19
	s_and_not1_b32 exec_lo, exec_lo, s19
	s_cbranch_execnz .LBB189_97
; %bb.100:
	s_or_b32 exec_lo, exec_lo, s19
	v_perm_b32 v2, v6, v7, 0x70605
	v_perm_b32 v3, v6, v7, 0x1000706
	;; [unrolled: 1-line block ×3, first 2 shown]
	v_alignbit_b32 v8, v6, v5, 8
	v_alignbit_b32 v40, v6, v5, 16
	v_lshlrev_b32_e32 v2, 8, v2
	v_lshlrev_b32_e32 v3, 16, v3
	;; [unrolled: 1-line block ×3, first 2 shown]
	s_delay_alu instid0(VALU_DEP_3) | instskip(NEXT) | instid1(VALU_DEP_3)
	v_perm_b32 v2, v2, v6, 0xc0c0500
	v_and_b32_e32 v3, 0xff0000, v3
	v_alignbit_b32 v6, v6, v5, 24
	s_delay_alu instid0(VALU_DEP_2)
	v_or3_b32 v4, v2, v3, v4
.LBB189_101:
	s_or_b32 exec_lo, exec_lo, s14
	v_cmp_ne_u32_e32 vcc_lo, 31, v70
	v_lshlrev_b32_e32 v8, 8, v8
	v_cmp_gt_u32_e64 s14, 30, v70
	v_and_b32_e32 v5, 0xff, v5
	v_lshlrev_b32_e64 v62, v70, -1
	v_add_co_ci_u32_e32 v2, vcc_lo, 0, v70, vcc_lo
	v_and_b32_e32 v8, 0xff00, v8
	v_add_nc_u32_e32 v64, 2, v70
	v_add_nc_u32_e32 v66, 4, v70
	s_delay_alu instid0(VALU_DEP_4)
	v_lshlrev_b32_e32 v2, 2, v2
	v_add_nc_u32_e32 v68, 8, v70
	v_add_nc_u32_e32 v75, 16, v70
	ds_bpermute_b32 v3, v2, v4
	s_waitcnt lgkmcnt(0)
	v_dual_add_f32 v3, v4, v3 :: v_dual_lshlrev_b32 v40, 16, v40
	s_delay_alu instid0(VALU_DEP_1) | instskip(SKIP_1) | instid1(VALU_DEP_2)
	v_perm_b32 v6, v6, v40, 0x4020c0c
	v_cndmask_b32_e64 v40, 0, 1, s14
	v_or3_b32 v5, v6, v8, v5
	s_delay_alu instid0(VALU_DEP_2) | instskip(NEXT) | instid1(VALU_DEP_1)
	v_lshlrev_b32_e32 v6, 1, v40
	v_add_lshl_u32 v63, v6, v70, 2
	ds_bpermute_b32 v6, v2, v5
	v_and_b32_e32 v41, 0xff, v7
	s_delay_alu instid0(VALU_DEP_1) | instskip(SKIP_2) | instid1(VALU_DEP_2)
	v_cmp_eq_u16_e32 vcc_lo, 2, v41
	v_and_or_b32 v41, vcc_lo, v62, 0x80000000
	v_cmp_eq_u32_e32 vcc_lo, 0, v5
	v_ctz_i32_b32_e32 v8, v41
	v_cndmask_b32_e32 v3, v4, v3, vcc_lo
	s_delay_alu instid0(VALU_DEP_2) | instskip(SKIP_1) | instid1(VALU_DEP_2)
	v_cmp_lt_u32_e32 vcc_lo, v70, v8
	s_waitcnt lgkmcnt(0)
	v_dual_cndmask_b32 v6, 0, v6 :: v_dual_cndmask_b32 v3, v4, v3
	v_cmp_gt_u32_e32 vcc_lo, 28, v70
	ds_bpermute_b32 v4, v63, v3
	v_cndmask_b32_e64 v40, 0, 1, vcc_lo
	s_waitcnt lgkmcnt(0)
	v_dual_add_f32 v4, v3, v4 :: v_dual_add_nc_u32 v5, v6, v5
	s_delay_alu instid0(VALU_DEP_2) | instskip(NEXT) | instid1(VALU_DEP_2)
	v_lshlrev_b32_e32 v6, 2, v40
	v_cmp_eq_u32_e32 vcc_lo, 0, v5
	s_delay_alu instid0(VALU_DEP_2) | instskip(NEXT) | instid1(VALU_DEP_4)
	v_add_lshl_u32 v65, v6, v70, 2
	v_cndmask_b32_e32 v4, v3, v4, vcc_lo
	ds_bpermute_b32 v40, v63, v5
	v_cmp_gt_u32_e32 vcc_lo, v64, v8
	v_cndmask_b32_e32 v3, v4, v3, vcc_lo
	ds_bpermute_b32 v4, v65, v3
	s_waitcnt lgkmcnt(1)
	v_cndmask_b32_e64 v6, v40, 0, vcc_lo
	v_cmp_gt_u32_e32 vcc_lo, 24, v70
	s_delay_alu instid0(VALU_DEP_2)
	v_add_nc_u32_e32 v5, v5, v6
	v_cndmask_b32_e64 v6, 0, 1, vcc_lo
	s_waitcnt lgkmcnt(0)
	v_add_f32_e32 v4, v3, v4
	ds_bpermute_b32 v40, v65, v5
	v_cmp_eq_u32_e32 vcc_lo, 0, v5
	v_lshlrev_b32_e32 v6, 3, v6
	v_cndmask_b32_e32 v4, v3, v4, vcc_lo
	v_cmp_gt_u32_e32 vcc_lo, v66, v8
	s_delay_alu instid0(VALU_DEP_3) | instskip(SKIP_2) | instid1(VALU_DEP_1)
	v_add_lshl_u32 v67, v6, v70, 2
	s_waitcnt lgkmcnt(0)
	v_cndmask_b32_e64 v6, v40, 0, vcc_lo
	v_add_nc_u32_e32 v5, v5, v6
	v_cndmask_b32_e32 v3, v4, v3, vcc_lo
	v_cmp_gt_u32_e32 vcc_lo, 16, v70
	ds_bpermute_b32 v6, v67, v5
	ds_bpermute_b32 v4, v67, v3
	v_cndmask_b32_e64 v40, 0, 1, vcc_lo
	v_cmp_eq_u32_e32 vcc_lo, 0, v5
	s_delay_alu instid0(VALU_DEP_2) | instskip(NEXT) | instid1(VALU_DEP_1)
	v_lshlrev_b32_e32 v40, 4, v40
	v_add_lshl_u32 v69, v40, v70, 2
	s_waitcnt lgkmcnt(0)
	v_add_f32_e32 v4, v3, v4
	s_delay_alu instid0(VALU_DEP_1) | instskip(SKIP_1) | instid1(VALU_DEP_2)
	v_cndmask_b32_e32 v4, v3, v4, vcc_lo
	v_cmp_gt_u32_e32 vcc_lo, v68, v8
	v_cndmask_b32_e32 v3, v4, v3, vcc_lo
	v_cndmask_b32_e64 v6, v6, 0, vcc_lo
	ds_bpermute_b32 v4, v69, v3
	v_add_nc_u32_e32 v5, v5, v6
	ds_bpermute_b32 v40, v69, v5
	v_cmp_eq_u32_e32 vcc_lo, 0, v5
	s_waitcnt lgkmcnt(1)
	v_add_f32_e32 v4, v3, v4
	s_delay_alu instid0(VALU_DEP_1) | instskip(SKIP_1) | instid1(VALU_DEP_2)
	v_cndmask_b32_e32 v4, v3, v4, vcc_lo
	v_cmp_gt_u32_e32 vcc_lo, v75, v8
	v_cndmask_b32_e32 v6, v4, v3, vcc_lo
	s_waitcnt lgkmcnt(0)
	v_cndmask_b32_e64 v3, v40, 0, vcc_lo
	s_delay_alu instid0(VALU_DEP_1)
	v_dual_mov_b32 v40, 0 :: v_dual_add_nc_u32 v5, v3, v5
	s_branch .LBB189_103
.LBB189_102:                            ;   in Loop: Header=BB189_103 Depth=1
	s_or_b32 exec_lo, exec_lo, s14
	ds_bpermute_b32 v41, v2, v6
	v_lshlrev_b32_e32 v42, 16, v77
	v_lshlrev_b32_e32 v8, 8, v8
	v_and_b32_e32 v5, 0xff, v5
	v_and_b32_e32 v77, 0xff, v7
	v_subrev_nc_u32_e32 v39, 32, v39
	v_perm_b32 v42, v76, v42, 0x4020c0c
	v_and_b32_e32 v8, 0xff00, v8
	s_delay_alu instid0(VALU_DEP_1)
	v_or3_b32 v5, v42, v8, v5
	ds_bpermute_b32 v42, v2, v5
	s_waitcnt lgkmcnt(1)
	v_add_f32_e32 v8, v6, v41
	v_cmp_eq_u16_e32 vcc_lo, 2, v77
	v_and_or_b32 v76, vcc_lo, v62, 0x80000000
	v_cmp_eq_u32_e32 vcc_lo, 0, v5
	s_delay_alu instid0(VALU_DEP_2) | instskip(SKIP_1) | instid1(VALU_DEP_2)
	v_ctz_i32_b32_e32 v41, v76
	v_cndmask_b32_e32 v8, v6, v8, vcc_lo
	v_cmp_lt_u32_e32 vcc_lo, v70, v41
	s_waitcnt lgkmcnt(0)
	v_cndmask_b32_e32 v42, 0, v42, vcc_lo
	s_delay_alu instid0(VALU_DEP_1)
	v_add_nc_u32_e32 v5, v42, v5
	v_cndmask_b32_e32 v6, v6, v8, vcc_lo
	ds_bpermute_b32 v42, v63, v5
	ds_bpermute_b32 v8, v63, v6
	v_cmp_eq_u32_e32 vcc_lo, 0, v5
	s_waitcnt lgkmcnt(0)
	v_add_f32_e32 v8, v6, v8
	s_delay_alu instid0(VALU_DEP_1) | instskip(SKIP_2) | instid1(VALU_DEP_1)
	v_cndmask_b32_e32 v8, v6, v8, vcc_lo
	v_cmp_gt_u32_e32 vcc_lo, v64, v41
	v_cndmask_b32_e64 v42, v42, 0, vcc_lo
	v_add_nc_u32_e32 v5, v5, v42
	s_delay_alu instid0(VALU_DEP_4) | instskip(NEXT) | instid1(VALU_DEP_2)
	v_cndmask_b32_e32 v6, v8, v6, vcc_lo
	v_cmp_eq_u32_e32 vcc_lo, 0, v5
	ds_bpermute_b32 v8, v65, v6
	ds_bpermute_b32 v42, v65, v5
	s_waitcnt lgkmcnt(1)
	v_add_f32_e32 v8, v6, v8
	s_delay_alu instid0(VALU_DEP_1) | instskip(SKIP_1) | instid1(VALU_DEP_2)
	v_cndmask_b32_e32 v8, v6, v8, vcc_lo
	v_cmp_gt_u32_e32 vcc_lo, v66, v41
	v_cndmask_b32_e32 v6, v8, v6, vcc_lo
	s_waitcnt lgkmcnt(0)
	v_cndmask_b32_e64 v42, v42, 0, vcc_lo
	ds_bpermute_b32 v8, v67, v6
	v_add_nc_u32_e32 v5, v5, v42
	ds_bpermute_b32 v42, v67, v5
	v_cmp_eq_u32_e32 vcc_lo, 0, v5
	s_waitcnt lgkmcnt(1)
	v_add_f32_e32 v8, v6, v8
	s_delay_alu instid0(VALU_DEP_1) | instskip(SKIP_1) | instid1(VALU_DEP_2)
	v_cndmask_b32_e32 v8, v6, v8, vcc_lo
	v_cmp_gt_u32_e32 vcc_lo, v68, v41
	v_cndmask_b32_e32 v6, v8, v6, vcc_lo
	s_waitcnt lgkmcnt(0)
	v_cndmask_b32_e64 v42, v42, 0, vcc_lo
	ds_bpermute_b32 v8, v69, v6
	v_add_nc_u32_e32 v5, v5, v42
	ds_bpermute_b32 v42, v69, v5
	v_cmp_eq_u32_e32 vcc_lo, 0, v5
	s_waitcnt lgkmcnt(1)
	v_add_f32_e32 v8, v6, v8
	s_delay_alu instid0(VALU_DEP_1) | instskip(SKIP_1) | instid1(VALU_DEP_2)
	v_cndmask_b32_e32 v8, v6, v8, vcc_lo
	v_cmp_gt_u32_e32 vcc_lo, v75, v41
	v_cndmask_b32_e32 v6, v8, v6, vcc_lo
	s_waitcnt lgkmcnt(0)
	v_cndmask_b32_e64 v8, v42, 0, vcc_lo
	v_cmp_eq_u32_e32 vcc_lo, 0, v3
	s_delay_alu instid0(VALU_DEP_3) | instskip(NEXT) | instid1(VALU_DEP_3)
	v_add_f32_e32 v6, v4, v6
	v_add3_u32 v5, v5, v3, v8
	s_delay_alu instid0(VALU_DEP_2)
	v_cndmask_b32_e32 v6, v4, v6, vcc_lo
.LBB189_103:                            ; =>This Loop Header: Depth=1
                                        ;     Child Loop BB189_106 Depth 2
                                        ;       Child Loop BB189_107 Depth 3
	s_delay_alu instid0(VALU_DEP_1) | instskip(NEXT) | instid1(VALU_DEP_1)
	v_dual_mov_b32 v4, v6 :: v_dual_and_b32 v3, 0xff, v7
	v_cmp_ne_u16_e32 vcc_lo, 2, v3
	v_cndmask_b32_e64 v3, 0, 1, vcc_lo
	;;#ASMSTART
	;;#ASMEND
	s_delay_alu instid0(VALU_DEP_1)
	v_cmp_ne_u32_e32 vcc_lo, 0, v3
	v_mov_b32_e32 v3, v5
	s_cmp_lg_u32 vcc_lo, exec_lo
	s_cbranch_scc1 .LBB189_110
; %bb.104:                              ;   in Loop: Header=BB189_103 Depth=1
	v_lshlrev_b64 v[5:6], 4, v[39:40]
	s_mov_b32 s14, exec_lo
	s_delay_alu instid0(VALU_DEP_1) | instskip(NEXT) | instid1(VALU_DEP_2)
	v_add_co_u32 v41, vcc_lo, s36, v5
	v_add_co_ci_u32_e32 v42, vcc_lo, s37, v6, vcc_lo
	;;#ASMSTART
	global_load_dwordx4 v[5:8], v[41:42] off glc	
s_waitcnt vmcnt(0)
	;;#ASMEND
	v_perm_b32 v8, v6, v7, 0x70605
	v_perm_b32 v76, v6, v7, 0x1000706
	;; [unrolled: 1-line block ×3, first 2 shown]
	v_and_b32_e32 v81, 0xff, v7
	s_delay_alu instid0(VALU_DEP_4) | instskip(NEXT) | instid1(VALU_DEP_4)
	v_lshlrev_b32_e32 v8, 8, v8
	v_lshlrev_b32_e32 v76, 16, v76
	s_delay_alu instid0(VALU_DEP_4) | instskip(SKIP_1) | instid1(VALU_DEP_4)
	v_lshlrev_b32_e32 v78, 24, v77
	v_alignbit_b32 v77, v6, v5, 16
	v_perm_b32 v79, v8, v6, 0xc0c0500
	s_delay_alu instid0(VALU_DEP_4) | instskip(SKIP_2) | instid1(VALU_DEP_3)
	v_and_b32_e32 v80, 0xff0000, v76
	v_alignbit_b32 v8, v6, v5, 8
	v_alignbit_b32 v76, v6, v5, 24
	v_or3_b32 v6, v79, v80, v78
	v_cmpx_eq_u16_e32 0, v81
	s_cbranch_execz .LBB189_102
; %bb.105:                              ;   in Loop: Header=BB189_103 Depth=1
	s_mov_b32 s20, 1
	s_mov_b32 s19, 0
	.p2align	6
.LBB189_106:                            ;   Parent Loop BB189_103 Depth=1
                                        ; =>  This Loop Header: Depth=2
                                        ;       Child Loop BB189_107 Depth 3
	s_max_u32 s21, s20, 1
.LBB189_107:                            ;   Parent Loop BB189_103 Depth=1
                                        ;     Parent Loop BB189_106 Depth=2
                                        ; =>    This Inner Loop Header: Depth=3
	s_delay_alu instid0(SALU_CYCLE_1)
	s_add_i32 s21, s21, -1
	s_sleep 1
	s_cmp_eq_u32 s21, 0
	s_cbranch_scc0 .LBB189_107
; %bb.108:                              ;   in Loop: Header=BB189_106 Depth=2
	;;#ASMSTART
	global_load_dwordx4 v[5:8], v[41:42] off glc	
s_waitcnt vmcnt(0)
	;;#ASMEND
	v_and_b32_e32 v8, 0xff, v7
	s_cmp_lt_u32 s20, 32
	s_cselect_b32 s21, -1, 0
	s_delay_alu instid0(SALU_CYCLE_1) | instskip(NEXT) | instid1(VALU_DEP_1)
	s_cmp_lg_u32 s21, 0
	v_cmp_ne_u16_e32 vcc_lo, 0, v8
	s_addc_u32 s20, s20, 0
	s_or_b32 s19, vcc_lo, s19
	s_delay_alu instid0(SALU_CYCLE_1)
	s_and_not1_b32 exec_lo, exec_lo, s19
	s_cbranch_execnz .LBB189_106
; %bb.109:                              ;   in Loop: Header=BB189_103 Depth=1
	s_or_b32 exec_lo, exec_lo, s19
	v_perm_b32 v8, v6, v7, 0x70605
	v_perm_b32 v41, v6, v7, 0x1000706
	v_perm_b32 v42, v6, v7, 0x2010007
	v_alignbit_b32 v77, v6, v5, 16
	v_alignbit_b32 v76, v6, v5, 24
	v_lshlrev_b32_e32 v8, 8, v8
	v_lshlrev_b32_e32 v41, 16, v41
	;; [unrolled: 1-line block ×3, first 2 shown]
	s_delay_alu instid0(VALU_DEP_3) | instskip(NEXT) | instid1(VALU_DEP_3)
	v_perm_b32 v78, v8, v6, 0xc0c0500
	v_and_b32_e32 v41, 0xff0000, v41
	v_alignbit_b32 v8, v6, v5, 8
	s_delay_alu instid0(VALU_DEP_2)
	v_or3_b32 v6, v78, v41, v42
	s_branch .LBB189_102
.LBB189_110:                            ;   in Loop: Header=BB189_103 Depth=1
                                        ; implicit-def: $vgpr6
                                        ; implicit-def: $vgpr5
                                        ; implicit-def: $vgpr7
	s_cbranch_execz .LBB189_103
; %bb.111:
	s_and_saveexec_b32 s14, s13
	s_cbranch_execz .LBB189_113
; %bb.112:
	v_dual_add_f32 v2, s18, v4 :: v_dual_add_nc_u32 v5, v3, v1
	v_cmp_eq_u32_e32 vcc_lo, 0, v1
	s_mov_b32 s21, 0
	s_add_i32 s20, s15, 32
	v_mov_b32_e32 v8, 0
	s_lshl_b64 s[20:21], s[20:21], 4
	v_cndmask_b32_e32 v2, s18, v2, vcc_lo
	s_add_u32 s20, s36, s20
	s_addc_u32 s21, s37, s21
	s_delay_alu instid0(VALU_DEP_1) | instskip(SKIP_1) | instid1(VALU_DEP_1)
	v_and_b32_e32 v6, 0xff000000, v2
	v_and_b32_e32 v7, 0xff0000, v2
	v_or_b32_e32 v6, v7, v6
	v_mov_b32_e32 v7, 2
	v_and_b32_e32 v39, 0xff00, v2
	v_and_b32_e32 v2, 0xff, v2
	s_delay_alu instid0(VALU_DEP_1)
	v_or3_b32 v6, v6, v39, v2
	v_mov_b32_e32 v2, s18
	v_dual_mov_b32 v40, s21 :: v_dual_mov_b32 v39, s20
	;;#ASMSTART
	global_store_dwordx4 v[39:40], v[5:8] off	
s_waitcnt vmcnt(0)
	;;#ASMEND
	ds_store_b128 v8, v[1:4] offset:2048
.LBB189_113:
	s_or_b32 exec_lo, exec_lo, s14
	v_cmp_eq_u32_e32 vcc_lo, 0, v0
	s_and_b32 exec_lo, exec_lo, vcc_lo
	s_cbranch_execz .LBB189_115
; %bb.114:
	v_mov_b32_e32 v1, 0
	ds_store_b64 v1, v[3:4] offset:2120
.LBB189_115:
	s_or_b32 exec_lo, exec_lo, s17
	s_waitcnt lgkmcnt(1)
	v_cndmask_b32_e64 v7, v60, v37, s13
	s_waitcnt lgkmcnt(0)
	v_cndmask_b32_e64 v2, v61, v38, s13
	s_barrier
	buffer_gl0_inv
	v_cmp_eq_u32_e32 vcc_lo, 0, v7
	v_mov_b32_e32 v1, 0
	v_cmp_eq_u32_e64 s13, 0, v58
	ds_load_b64 v[5:6], v1 offset:2120
	s_waitcnt lgkmcnt(0)
	s_barrier
	buffer_gl0_inv
	v_add_f32_e32 v3, v2, v6
	s_delay_alu instid0(VALU_DEP_1) | instskip(SKIP_1) | instid1(VALU_DEP_2)
	v_cndmask_b32_e32 v2, v2, v3, vcc_lo
	v_cmp_eq_u32_e32 vcc_lo, 0, v0
	v_cndmask_b32_e32 v69, v2, v6, vcc_lo
	s_delay_alu instid0(VALU_DEP_1) | instskip(NEXT) | instid1(VALU_DEP_1)
	v_add_f32_e32 v2, v35, v69
	v_cndmask_b32_e64 v68, v35, v2, s13
	s_delay_alu instid0(VALU_DEP_1) | instskip(NEXT) | instid1(VALU_DEP_1)
	v_add_f32_e32 v2, v36, v68
	v_cndmask_b32_e64 v67, v36, v2, s12
	;; [unrolled: 3-line block ×11, first 2 shown]
	ds_load_b128 v[1:4], v1 offset:2048
	v_add_f32_e32 v6, v26, v39
	s_delay_alu instid0(VALU_DEP_1) | instskip(NEXT) | instid1(VALU_DEP_1)
	v_cndmask_b32_e64 v40, v26, v6, s2
	v_add_f32_e32 v6, v23, v40
	s_delay_alu instid0(VALU_DEP_1)
	v_cndmask_b32_e64 v38, v23, v6, s1
	v_cndmask_b32_e64 v6, v7, 0, vcc_lo
	s_waitcnt lgkmcnt(0)
	v_add_f32_e32 v4, v4, v2
	v_cmp_eq_u32_e32 vcc_lo, 0, v1
	v_add_f32_e32 v7, v24, v38
	v_dual_mov_b32 v5, v3 :: v_dual_add_nc_u32 v6, v5, v6
	s_delay_alu instid0(VALU_DEP_4) | instskip(NEXT) | instid1(VALU_DEP_3)
	v_cndmask_b32_e32 v37, v2, v4, vcc_lo
	v_cndmask_b32_e64 v60, v24, v7, s0
	s_delay_alu instid0(VALU_DEP_3)
	v_mov_b32_e32 v4, v6
	s_branch .LBB189_128
.LBB189_116:
                                        ; implicit-def: $vgpr1
                                        ; implicit-def: $vgpr37
                                        ; implicit-def: $vgpr5
                                        ; implicit-def: $vgpr60
                                        ; implicit-def: $vgpr38
                                        ; implicit-def: $vgpr40
                                        ; implicit-def: $vgpr39
                                        ; implicit-def: $vgpr41
                                        ; implicit-def: $vgpr42
                                        ; implicit-def: $vgpr61
                                        ; implicit-def: $vgpr62
                                        ; implicit-def: $vgpr63
                                        ; implicit-def: $vgpr64
                                        ; implicit-def: $vgpr65
                                        ; implicit-def: $vgpr66
                                        ; implicit-def: $vgpr67
                                        ; implicit-def: $vgpr68
                                        ; implicit-def: $vgpr69
	s_cbranch_execz .LBB189_128
; %bb.117:
	s_and_b32 s0, s16, exec_lo
	v_mov_b32_e32 v5, v35
	s_cselect_b32 s1, 0, s35
	s_cselect_b32 s0, 0, s34
	s_delay_alu instid0(SALU_CYCLE_1)
	s_cmp_eq_u64 s[0:1], 0
	s_cbranch_scc1 .LBB189_119
; %bb.118:
	v_mov_b32_e32 v1, 0
	global_load_b32 v5, v1, s[0:1]
.LBB189_119:
	v_cmp_eq_u32_e64 s0, 0, v57
	v_cmp_eq_u32_e64 s1, 0, v56
	v_add3_u32 v2, v73, v53, v52
	v_cmp_eq_u32_e64 s2, 0, v55
	v_cmp_eq_u32_e64 s3, 0, v54
	v_cndmask_b32_e64 v1, v36, v74, s0
	v_cmp_eq_u32_e64 s4, 0, v53
	v_add3_u32 v2, v2, v50, v49
	v_cmp_eq_u32_e64 s5, 0, v52
	v_cmp_eq_u32_e64 s6, 0, v50
	v_dual_add_f32 v1, v33, v1 :: v_dual_and_b32 v4, 15, v70
	s_delay_alu instid0(VALU_DEP_4) | instskip(SKIP_2) | instid1(VALU_DEP_4)
	v_add3_u32 v2, v2, v48, v47
	v_cmp_eq_u32_e64 s7, 0, v49
	v_cmp_eq_u32_e64 s9, 0, v48
	v_cndmask_b32_e64 v1, v33, v1, s1
	v_cmp_eq_u32_e64 s11, 0, v47
	v_add3_u32 v2, v2, v46, v45
	v_cmp_eq_u32_e64 s8, 0, v46
	v_cmp_eq_u32_e64 s10, 0, v45
	v_add_f32_e32 v1, v34, v1
	v_cmp_eq_u32_e32 vcc_lo, 0, v44
	v_add3_u32 v2, v2, v44, v51
	v_cmp_eq_u32_e64 s12, 0, v51
	v_and_b32_e32 v7, 16, v70
	v_cndmask_b32_e64 v1, v34, v1, s2
	s_delay_alu instid0(VALU_DEP_4) | instskip(NEXT) | instid1(VALU_DEP_3)
	v_mov_b32_dpp v6, v2 row_shr:1 row_mask:0xf bank_mask:0xf
	v_cmp_eq_u32_e64 s13, 0, v7
	s_delay_alu instid0(VALU_DEP_3) | instskip(NEXT) | instid1(VALU_DEP_1)
	v_add_f32_e32 v1, v31, v1
	v_cndmask_b32_e64 v1, v31, v1, s3
	s_delay_alu instid0(VALU_DEP_1) | instskip(NEXT) | instid1(VALU_DEP_1)
	v_add_f32_e32 v1, v32, v1
	v_cndmask_b32_e64 v1, v32, v1, s4
	s_delay_alu instid0(VALU_DEP_1) | instskip(NEXT) | instid1(VALU_DEP_1)
	;; [unrolled: 3-line block ×9, first 2 shown]
	v_add_f32_e32 v1, v24, v1
	v_cndmask_b32_e32 v1, v24, v1, vcc_lo
	s_delay_alu instid0(VALU_DEP_1) | instskip(NEXT) | instid1(VALU_DEP_1)
	v_add_f32_e32 v1, v59, v1
	v_cndmask_b32_e64 v1, v59, v1, s12
	v_cmp_eq_u32_e64 s12, 0, v2
	s_delay_alu instid0(VALU_DEP_2) | instskip(NEXT) | instid1(VALU_DEP_1)
	v_mov_b32_dpp v3, v1 row_shr:1 row_mask:0xf bank_mask:0xf
	v_add_f32_e32 v3, v1, v3
	s_delay_alu instid0(VALU_DEP_1) | instskip(SKIP_1) | instid1(VALU_DEP_1)
	v_cndmask_b32_e64 v3, v1, v3, s12
	v_cmp_eq_u32_e64 s12, 0, v4
	v_cndmask_b32_e64 v6, v6, 0, s12
	s_delay_alu instid0(VALU_DEP_3) | instskip(NEXT) | instid1(VALU_DEP_2)
	v_cndmask_b32_e64 v1, v3, v1, s12
	v_add_nc_u32_e32 v2, v6, v2
	s_delay_alu instid0(VALU_DEP_2) | instskip(NEXT) | instid1(VALU_DEP_2)
	v_mov_b32_dpp v3, v1 row_shr:2 row_mask:0xf bank_mask:0xf
	v_cmp_eq_u32_e64 s12, 0, v2
	s_delay_alu instid0(VALU_DEP_2) | instskip(SKIP_1) | instid1(VALU_DEP_2)
	v_add_f32_e32 v3, v1, v3
	v_mov_b32_dpp v6, v2 row_shr:2 row_mask:0xf bank_mask:0xf
	v_cndmask_b32_e64 v3, v1, v3, s12
	v_cmp_lt_u32_e64 s12, 1, v4
	s_delay_alu instid0(VALU_DEP_1) | instskip(NEXT) | instid1(VALU_DEP_4)
	v_cndmask_b32_e64 v1, v1, v3, s12
	v_cndmask_b32_e64 v3, 0, v6, s12
	s_delay_alu instid0(VALU_DEP_2) | instskip(NEXT) | instid1(VALU_DEP_1)
	v_mov_b32_dpp v6, v1 row_shr:4 row_mask:0xf bank_mask:0xf
	v_dual_add_f32 v3, v1, v6 :: v_dual_add_nc_u32 v2, v2, v3
	s_delay_alu instid0(VALU_DEP_1) | instskip(SKIP_1) | instid1(VALU_DEP_2)
	v_cmp_eq_u32_e64 s12, 0, v2
	v_mov_b32_dpp v6, v2 row_shr:4 row_mask:0xf bank_mask:0xf
	v_cndmask_b32_e64 v3, v1, v3, s12
	v_cmp_lt_u32_e64 s12, 3, v4
	s_delay_alu instid0(VALU_DEP_1) | instskip(NEXT) | instid1(VALU_DEP_4)
	v_cndmask_b32_e64 v1, v1, v3, s12
	v_cndmask_b32_e64 v3, 0, v6, s12
	s_delay_alu instid0(VALU_DEP_2) | instskip(NEXT) | instid1(VALU_DEP_2)
	v_mov_b32_dpp v6, v1 row_shr:8 row_mask:0xf bank_mask:0xf
	v_add_nc_u32_e32 v2, v3, v2
	s_delay_alu instid0(VALU_DEP_2) | instskip(NEXT) | instid1(VALU_DEP_2)
	v_add_f32_e32 v3, v1, v6
	v_cmp_eq_u32_e64 s12, 0, v2
	v_mov_b32_dpp v6, v2 row_shr:8 row_mask:0xf bank_mask:0xf
	s_delay_alu instid0(VALU_DEP_2) | instskip(SKIP_1) | instid1(VALU_DEP_1)
	v_cndmask_b32_e64 v3, v1, v3, s12
	v_cmp_lt_u32_e64 s12, 7, v4
	v_cndmask_b32_e64 v3, v1, v3, s12
	s_delay_alu instid0(VALU_DEP_4) | instskip(SKIP_1) | instid1(VALU_DEP_2)
	v_cndmask_b32_e64 v1, 0, v6, s12
	v_bfe_i32 v6, v70, 4, 1
	v_add_nc_u32_e32 v1, v1, v2
	ds_swizzle_b32 v2, v3 offset:swizzle(BROADCAST,32,15)
	ds_swizzle_b32 v4, v1 offset:swizzle(BROADCAST,32,15)
	v_cmp_eq_u32_e64 s12, 0, v1
	s_waitcnt lgkmcnt(1)
	v_add_f32_e32 v2, v3, v2
	s_waitcnt lgkmcnt(0)
	v_and_b32_e32 v4, v6, v4
	s_delay_alu instid0(VALU_DEP_2) | instskip(NEXT) | instid1(VALU_DEP_2)
	v_cndmask_b32_e64 v2, v3, v2, s12
	v_add_nc_u32_e32 v1, v4, v1
	s_delay_alu instid0(VALU_DEP_2)
	v_cndmask_b32_e64 v2, v2, v3, s13
	s_mov_b32 s13, exec_lo
	v_cmpx_eq_u32_e64 v72, v0
	s_cbranch_execz .LBB189_121
; %bb.120:
	v_lshlrev_b32_e32 v3, 3, v71
	ds_store_b64 v3, v[1:2] offset:2064
.LBB189_121:
	s_or_b32 exec_lo, exec_lo, s13
	s_delay_alu instid0(SALU_CYCLE_1)
	s_mov_b32 s14, exec_lo
	s_waitcnt vmcnt(0) lgkmcnt(0)
	s_barrier
	buffer_gl0_inv
	v_cmpx_gt_u32_e32 8, v0
	s_cbranch_execz .LBB189_123
; %bb.122:
	v_lshlrev_b32_e32 v6, 3, v0
	v_and_b32_e32 v8, 7, v70
	ds_load_b64 v[3:4], v6 offset:2064
	s_waitcnt lgkmcnt(0)
	v_mov_b32_dpp v7, v4 row_shr:1 row_mask:0xf bank_mask:0xf
	v_cmp_eq_u32_e64 s12, 0, v3
	v_mov_b32_dpp v37, v3 row_shr:1 row_mask:0xf bank_mask:0xf
	s_delay_alu instid0(VALU_DEP_3) | instskip(NEXT) | instid1(VALU_DEP_1)
	v_add_f32_e32 v7, v4, v7
	v_cndmask_b32_e64 v7, v4, v7, s12
	v_cmp_eq_u32_e64 s12, 0, v8
	s_delay_alu instid0(VALU_DEP_1) | instskip(NEXT) | instid1(VALU_DEP_3)
	v_cndmask_b32_e64 v37, v37, 0, s12
	v_cndmask_b32_e64 v4, v7, v4, s12
	s_delay_alu instid0(VALU_DEP_2) | instskip(NEXT) | instid1(VALU_DEP_2)
	v_add_nc_u32_e32 v3, v37, v3
	v_mov_b32_dpp v7, v4 row_shr:2 row_mask:0xf bank_mask:0xf
	s_delay_alu instid0(VALU_DEP_2) | instskip(NEXT) | instid1(VALU_DEP_2)
	v_cmp_eq_u32_e64 s12, 0, v3
	v_add_f32_e32 v7, v4, v7
	v_mov_b32_dpp v37, v3 row_shr:2 row_mask:0xf bank_mask:0xf
	s_delay_alu instid0(VALU_DEP_2) | instskip(SKIP_1) | instid1(VALU_DEP_1)
	v_cndmask_b32_e64 v7, v4, v7, s12
	v_cmp_lt_u32_e64 s12, 1, v8
	v_cndmask_b32_e64 v4, v4, v7, s12
	s_delay_alu instid0(VALU_DEP_4) | instskip(SKIP_1) | instid1(VALU_DEP_3)
	v_cndmask_b32_e64 v7, 0, v37, s12
	v_cmp_lt_u32_e64 s12, 3, v8
	v_mov_b32_dpp v37, v4 row_shr:4 row_mask:0xf bank_mask:0xf
	s_delay_alu instid0(VALU_DEP_1) | instskip(NEXT) | instid1(VALU_DEP_1)
	v_dual_add_f32 v8, v4, v37 :: v_dual_add_nc_u32 v3, v7, v3
	v_mov_b32_dpp v7, v3 row_shr:4 row_mask:0xf bank_mask:0xf
	v_cmp_eq_u32_e64 s13, 0, v3
	s_delay_alu instid0(VALU_DEP_2) | instskip(NEXT) | instid1(VALU_DEP_2)
	v_cndmask_b32_e64 v7, 0, v7, s12
	s_and_b32 s12, s12, s13
	s_delay_alu instid0(SALU_CYCLE_1) | instskip(NEXT) | instid1(VALU_DEP_2)
	v_cndmask_b32_e64 v4, v4, v8, s12
	v_add_nc_u32_e32 v3, v7, v3
	ds_store_b64 v6, v[3:4] offset:2064
.LBB189_123:
	s_or_b32 exec_lo, exec_lo, s14
	v_dual_mov_b32 v6, 0 :: v_dual_mov_b32 v3, 0
	v_mov_b32_e32 v7, v5
	s_mov_b32 s13, exec_lo
	s_waitcnt lgkmcnt(0)
	s_barrier
	buffer_gl0_inv
	v_cmpx_lt_u32_e32 31, v0
	s_cbranch_execz .LBB189_125
; %bb.124:
	v_lshlrev_b32_e32 v3, 3, v71
	ds_load_b64 v[3:4], v3 offset:2056
	s_waitcnt lgkmcnt(0)
	v_add_f32_e32 v7, v5, v4
	v_cmp_eq_u32_e64 s12, 0, v3
	s_delay_alu instid0(VALU_DEP_1)
	v_cndmask_b32_e64 v7, v4, v7, s12
.LBB189_125:
	s_or_b32 exec_lo, exec_lo, s13
	v_add_nc_u32_e32 v4, -1, v70
	s_delay_alu instid0(VALU_DEP_2) | instskip(SKIP_1) | instid1(VALU_DEP_3)
	v_dual_add_f32 v8, v2, v7 :: v_dual_add_nc_u32 v37, v3, v1
	v_cmp_eq_u32_e64 s13, 0, v58
	v_cmp_gt_i32_e64 s12, 0, v4
	s_delay_alu instid0(VALU_DEP_1) | instskip(SKIP_1) | instid1(VALU_DEP_2)
	v_cndmask_b32_e64 v4, v4, v70, s12
	v_cmp_eq_u32_e64 s12, 0, v1
	v_lshlrev_b32_e32 v4, 2, v4
	s_delay_alu instid0(VALU_DEP_2)
	v_cndmask_b32_e64 v1, v2, v8, s12
	v_cmp_eq_u32_e64 s12, 0, v70
	ds_bpermute_b32 v2, v4, v37
	ds_bpermute_b32 v1, v4, v1
	s_waitcnt lgkmcnt(1)
	v_cndmask_b32_e64 v4, v2, v3, s12
	s_waitcnt lgkmcnt(0)
	v_cndmask_b32_e64 v69, v1, v7, s12
	v_cmp_eq_u32_e64 s12, 0, v0
	s_delay_alu instid0(VALU_DEP_1) | instskip(NEXT) | instid1(VALU_DEP_1)
	v_cndmask_b32_e64 v1, v69, v5, s12
	v_add_f32_e32 v1, v35, v1
	s_delay_alu instid0(VALU_DEP_1) | instskip(NEXT) | instid1(VALU_DEP_1)
	v_cndmask_b32_e64 v68, v35, v1, s13
	v_add_f32_e32 v1, v36, v68
	s_delay_alu instid0(VALU_DEP_1) | instskip(NEXT) | instid1(VALU_DEP_1)
	v_cndmask_b32_e64 v67, v36, v1, s0
	v_add_f32_e32 v1, v33, v67
	s_delay_alu instid0(VALU_DEP_1) | instskip(NEXT) | instid1(VALU_DEP_1)
	v_cndmask_b32_e64 v66, v33, v1, s1
	v_add_f32_e32 v1, v34, v66
	s_delay_alu instid0(VALU_DEP_1) | instskip(NEXT) | instid1(VALU_DEP_1)
	v_cndmask_b32_e64 v65, v34, v1, s2
	v_add_f32_e32 v1, v31, v65
	s_delay_alu instid0(VALU_DEP_1) | instskip(NEXT) | instid1(VALU_DEP_1)
	v_cndmask_b32_e64 v64, v31, v1, s3
	v_add_f32_e32 v1, v32, v64
	s_delay_alu instid0(VALU_DEP_1) | instskip(NEXT) | instid1(VALU_DEP_1)
	v_cndmask_b32_e64 v63, v32, v1, s4
	v_add_f32_e32 v1, v29, v63
	s_delay_alu instid0(VALU_DEP_1) | instskip(NEXT) | instid1(VALU_DEP_1)
	v_cndmask_b32_e64 v62, v29, v1, s5
	v_add_f32_e32 v1, v30, v62
	s_delay_alu instid0(VALU_DEP_1) | instskip(NEXT) | instid1(VALU_DEP_1)
	v_cndmask_b32_e64 v61, v30, v1, s6
	v_add_f32_e32 v1, v27, v61
	s_delay_alu instid0(VALU_DEP_1) | instskip(NEXT) | instid1(VALU_DEP_1)
	v_cndmask_b32_e64 v42, v27, v1, s7
	v_add_f32_e32 v1, v28, v42
	s_delay_alu instid0(VALU_DEP_1) | instskip(NEXT) | instid1(VALU_DEP_1)
	v_cndmask_b32_e64 v41, v28, v1, s9
	v_add_f32_e32 v1, v25, v41
	s_delay_alu instid0(VALU_DEP_1) | instskip(SKIP_2) | instid1(VALU_DEP_1)
	v_cndmask_b32_e64 v39, v25, v1, s11
	ds_load_b64 v[1:2], v6 offset:2120
	v_add_f32_e32 v3, v26, v39
	v_cndmask_b32_e64 v40, v26, v3, s8
	s_delay_alu instid0(VALU_DEP_1) | instskip(NEXT) | instid1(VALU_DEP_1)
	v_add_f32_e32 v3, v23, v40
	v_cndmask_b32_e64 v38, v23, v3, s10
	s_waitcnt lgkmcnt(0)
	v_add_f32_e32 v3, v5, v2
	v_cmp_eq_u32_e64 s0, 0, v1
	s_delay_alu instid0(VALU_DEP_3) | instskip(NEXT) | instid1(VALU_DEP_2)
	v_add_f32_e32 v6, v24, v38
	v_cndmask_b32_e64 v37, v2, v3, s0
	s_and_saveexec_b32 s0, s12
	s_cbranch_execz .LBB189_127
; %bb.126:
	s_delay_alu instid0(VALU_DEP_1)
	v_and_b32_e32 v2, 0xff000000, v37
	v_dual_mov_b32 v4, 0 :: v_dual_and_b32 v3, 0xff0000, v37
	s_add_u32 s2, s36, 0x200
	v_and_b32_e32 v7, 0xff00, v37
	s_addc_u32 s3, s37, 0
	v_and_b32_e32 v8, 0xff, v37
	v_or_b32_e32 v2, v3, v2
	v_mov_b32_e32 v3, 2
	v_mov_b32_e32 v69, v5
	s_delay_alu instid0(VALU_DEP_3)
	v_or3_b32 v2, v2, v7, v8
	v_dual_mov_b32 v8, s3 :: v_dual_mov_b32 v7, s2
	;;#ASMSTART
	global_store_dwordx4 v[7:8], v[1:4] off	
s_waitcnt vmcnt(0)
	;;#ASMEND
.LBB189_127:
	s_or_b32 exec_lo, exec_lo, s0
	v_dual_cndmask_b32 v60, v24, v6 :: v_dual_mov_b32 v5, 0
.LBB189_128:
	v_mov_b32_e32 v7, 0
	s_and_b32 s0, s16, exec_lo
	v_mov_b32_e32 v8, 0
	s_cselect_b32 s1, 0, s47
	s_cselect_b32 s0, 0, s46
	s_delay_alu instid0(SALU_CYCLE_1)
	s_cmp_eq_u64 s[0:1], 0
	s_barrier
	buffer_gl0_inv
	s_cbranch_scc1 .LBB189_130
; %bb.129:
	v_mov_b32_e32 v2, 0
	global_load_b64 v[7:8], v2, s[0:1]
.LBB189_130:
	v_cmp_eq_u32_e32 vcc_lo, 0, v58
	v_add_nc_u32_e32 v35, v4, v58
	v_cmp_ne_u32_e64 s12, 0, v58
	v_cmp_ne_u32_e64 s11, 0, v57
	;; [unrolled: 1-line block ×3, first 2 shown]
	v_cndmask_b32_e64 v2, 1, 2, vcc_lo
	v_cmp_eq_u32_e32 vcc_lo, 0, v57
	v_cmp_ne_u32_e64 s8, 0, v55
	v_cmp_ne_u32_e64 s14, 0, v54
	;; [unrolled: 1-line block ×4, first 2 shown]
	v_cndmask_b32_e64 v3, 1, 2, vcc_lo
	v_cmp_eq_u32_e32 vcc_lo, 0, v56
	v_cmp_ne_u32_e64 s7, 0, v50
	v_cmp_ne_u32_e64 s6, 0, v49
	;; [unrolled: 1-line block ×3, first 2 shown]
	v_and_b32_e32 v2, v3, v2
	v_cndmask_b32_e64 v6, 1, 2, vcc_lo
	v_cmp_eq_u32_e32 vcc_lo, 0, v55
	v_cmp_ne_u32_e64 s4, 0, v47
	v_cmp_ne_u32_e64 s3, 0, v46
	;; [unrolled: 1-line block ×3, first 2 shown]
	v_and_b32_e32 v6, v2, v6
	v_cndmask_b32_e64 v23, 1, 2, vcc_lo
	v_cmp_eq_u32_e32 vcc_lo, 0, v54
	s_waitcnt vmcnt(0)
	v_lshlrev_b64 v[2:3], 2, v[7:8]
	v_cmp_ne_u32_e64 s1, 0, v44
	v_cmp_ne_u32_e64 s0, 0, v51
	v_dual_mov_b32 v6, 0 :: v_dual_and_b32 v23, v6, v23
	v_cndmask_b32_e64 v24, 1, 2, vcc_lo
	v_cmp_eq_u32_e32 vcc_lo, 0, v53
	v_add_nc_u32_e32 v59, v35, v57
	s_mov_b32 s16, -1
	s_delay_alu instid0(VALU_DEP_3) | instskip(SKIP_3) | instid1(VALU_DEP_3)
	v_and_b32_e32 v23, v23, v24
	v_cndmask_b32_e64 v25, 1, 2, vcc_lo
	v_cmp_eq_u32_e32 vcc_lo, 0, v52
	v_add_nc_u32_e32 v36, v59, v56
	v_and_b32_e32 v23, v23, v25
	v_cndmask_b32_e64 v24, 1, 2, vcc_lo
	v_cmp_eq_u32_e32 vcc_lo, 0, v50
	s_delay_alu instid0(VALU_DEP_4) | instskip(NEXT) | instid1(VALU_DEP_3)
	v_add_nc_u32_e32 v34, v36, v55
	v_and_b32_e32 v23, v23, v24
	v_cndmask_b32_e64 v25, 1, 2, vcc_lo
	v_cmp_eq_u32_e32 vcc_lo, 0, v49
	s_delay_alu instid0(VALU_DEP_4) | instskip(NEXT) | instid1(VALU_DEP_3)
	;; [unrolled: 5-line block ×4, first 2 shown]
	v_add_nc_u32_e32 v31, v32, v52
	v_and_b32_e32 v25, v23, v25
	v_cndmask_b32_e64 v26, 1, 2, vcc_lo
	v_cmp_eq_u32_e32 vcc_lo, 0, v46
	s_delay_alu instid0(VALU_DEP_4) | instskip(SKIP_1) | instid1(VALU_DEP_4)
	v_add_nc_u32_e32 v30, v31, v50
	v_lshlrev_b64 v[23:24], 2, v[5:6]
	v_and_b32_e32 v6, v25, v26
	v_cndmask_b32_e64 v70, 1, 2, vcc_lo
	v_cmp_eq_u32_e32 vcc_lo, 0, v45
	v_add_nc_u32_e32 v29, v30, v49
	s_delay_alu instid0(VALU_DEP_3) | instskip(SKIP_4) | instid1(VALU_DEP_3)
	v_and_b32_e32 v74, v6, v70
	v_cndmask_b32_e64 v72, 1, 2, vcc_lo
	v_add_co_u32 v71, vcc_lo, s26, v2
	v_add_co_ci_u32_e32 v73, vcc_lo, s27, v3, vcc_lo
	v_add_nc_u32_e32 v28, v29, v48
	v_add_co_u32 v70, vcc_lo, v71, v23
	s_delay_alu instid0(VALU_DEP_3) | instskip(SKIP_1) | instid1(VALU_DEP_4)
	v_add_co_ci_u32_e32 v71, vcc_lo, v73, v24, vcc_lo
	v_cmp_eq_u32_e32 vcc_lo, 0, v44
	v_add_nc_u32_e32 v27, v28, v47
	v_and_b32_e32 v72, v74, v72
	v_cndmask_b32_e64 v73, 1, 2, vcc_lo
	v_cmp_eq_u32_e32 vcc_lo, 0, v51
	s_delay_alu instid0(VALU_DEP_4) | instskip(NEXT) | instid1(VALU_DEP_3)
	v_add_nc_u32_e32 v26, v27, v46
	v_and_b32_e32 v72, v72, v73
	v_cndmask_b32_e64 v73, 1, 2, vcc_lo
	s_delay_alu instid0(VALU_DEP_3) | instskip(SKIP_1) | instid1(VALU_DEP_3)
	v_add_nc_u32_e32 v25, v26, v45
	v_cmp_gt_u32_e32 vcc_lo, 0x100, v1
	v_and_b32_e32 v72, v72, v73
	s_delay_alu instid0(VALU_DEP_3) | instskip(NEXT) | instid1(VALU_DEP_2)
	v_add_nc_u32_e32 v6, v25, v44
	v_cmp_gt_i16_e64 s15, 2, v72
	s_cbranch_vccz .LBB189_137
; %bb.131:
	s_delay_alu instid0(VALU_DEP_1)
	s_and_saveexec_b32 s16, s15
	s_cbranch_execz .LBB189_136
; %bb.132:
	s_mov_b32 s17, 0
	s_mov_b32 s15, exec_lo
	v_cmpx_ne_u16_e32 1, v72
	s_xor_b32 s15, exec_lo, s15
	s_cbranch_execnz .LBB189_169
; %bb.133:
	s_and_not1_saveexec_b32 s15, s15
	s_cbranch_execnz .LBB189_185
.LBB189_134:
	s_or_b32 exec_lo, exec_lo, s15
	s_delay_alu instid0(SALU_CYCLE_1)
	s_and_b32 exec_lo, exec_lo, s17
	s_cbranch_execz .LBB189_136
.LBB189_135:
	v_sub_nc_u32_e32 v73, v6, v5
	v_mov_b32_e32 v74, 0
	s_delay_alu instid0(VALU_DEP_1) | instskip(NEXT) | instid1(VALU_DEP_1)
	v_lshlrev_b64 v[73:74], 2, v[73:74]
	v_add_co_u32 v73, vcc_lo, v70, v73
	s_delay_alu instid0(VALU_DEP_2)
	v_add_co_ci_u32_e32 v74, vcc_lo, v71, v74, vcc_lo
	global_store_b32 v[73:74], v43, off
.LBB189_136:
	s_or_b32 exec_lo, exec_lo, s16
	s_mov_b32 s16, 0
.LBB189_137:
	s_delay_alu instid0(SALU_CYCLE_1)
	s_and_b32 vcc_lo, exec_lo, s16
	s_cbranch_vccz .LBB189_147
; %bb.138:
	s_mov_b32 s15, exec_lo
	v_cmpx_gt_i16_e32 2, v72
	s_cbranch_execz .LBB189_143
; %bb.139:
	s_mov_b32 s17, 0
	s_mov_b32 s16, exec_lo
	v_cmpx_ne_u16_e32 1, v72
	s_xor_b32 s16, exec_lo, s16
	s_cbranch_execnz .LBB189_186
; %bb.140:
	s_and_not1_saveexec_b32 s0, s16
	s_cbranch_execnz .LBB189_202
.LBB189_141:
	s_or_b32 exec_lo, exec_lo, s0
	s_delay_alu instid0(SALU_CYCLE_1)
	s_and_b32 exec_lo, exec_lo, s17
	s_cbranch_execz .LBB189_143
.LBB189_142:
	v_sub_nc_u32_e32 v9, v6, v5
	s_delay_alu instid0(VALU_DEP_1)
	v_lshlrev_b32_e32 v9, 2, v9
	ds_store_b32 v9, v43
.LBB189_143:
	s_or_b32 exec_lo, exec_lo, s15
	s_delay_alu instid0(SALU_CYCLE_1)
	s_mov_b32 s1, exec_lo
	s_waitcnt lgkmcnt(0)
	s_waitcnt_vscnt null, 0x0
	s_barrier
	buffer_gl0_inv
	v_cmpx_lt_u32_e64 v0, v1
	s_cbranch_execz .LBB189_146
; %bb.144:
	v_dual_mov_b32 v10, 0 :: v_dual_lshlrev_b32 v11, 2, v0
	v_mov_b32_e32 v9, v0
	s_mov_b32 s2, 0
	.p2align	6
.LBB189_145:                            ; =>This Inner Loop Header: Depth=1
	ds_load_b32 v14, v11
	v_lshlrev_b64 v[12:13], 2, v[9:10]
	v_add_nc_u32_e32 v9, 0x100, v9
	v_add_nc_u32_e32 v11, 0x400, v11
	s_delay_alu instid0(VALU_DEP_2) | instskip(NEXT) | instid1(VALU_DEP_4)
	v_cmp_ge_u32_e32 vcc_lo, v9, v1
	v_add_co_u32 v12, s0, v70, v12
	s_delay_alu instid0(VALU_DEP_1)
	v_add_co_ci_u32_e64 v13, s0, v71, v13, s0
	s_or_b32 s2, vcc_lo, s2
	s_waitcnt lgkmcnt(0)
	global_store_b32 v[12:13], v14, off
	s_and_not1_b32 exec_lo, exec_lo, s2
	s_cbranch_execnz .LBB189_145
.LBB189_146:
	s_or_b32 exec_lo, exec_lo, s1
.LBB189_147:
	s_cmpk_lg_i32 s33, 0xf00
	v_cmp_eq_u32_e32 vcc_lo, 0, v0
	s_cselect_b32 s0, -1, 0
	v_cndmask_b32_e64 v14, 0, 1, s40
	s_and_b32 s0, s23, s0
	v_mad_i32_i24 v11, v0, -15, s33
	v_cndmask_b32_e64 v10, 0, 1, s0
	s_mul_hi_u32 s0, s33, 0x88888889
	s_and_b32 s1, vcc_lo, s40
	s_lshr_b32 s0, s0, 3
	v_sub_nc_u32_e32 v9, v1, v14
	v_cndmask_b32_e64 v12, v58, 0, s1
	v_cmp_eq_u32_e32 vcc_lo, s0, v0
	v_cmp_ne_u32_e64 s0, 0, v11
	s_mov_b32 s16, -1
	s_waitcnt_vscnt null, 0x0
	s_barrier
	s_and_b32 vcc_lo, s23, vcc_lo
	v_add_nc_u32_e32 v9, v9, v10
	v_cndmask_b32_e64 v10, 1, v12, s0
	v_cmp_ne_u32_e64 s0, 1, v11
	buffer_gl0_inv
	v_cndmask_b32_e32 v18, v12, v10, vcc_lo
	v_cndmask_b32_e64 v13, 1, v57, s0
	v_cmp_ne_u32_e64 s0, 14, v11
	s_delay_alu instid0(VALU_DEP_3) | instskip(NEXT) | instid1(VALU_DEP_3)
	v_cmp_ne_u32_e64 s14, 0, v18
	v_cndmask_b32_e32 v19, v57, v13, vcc_lo
	s_delay_alu instid0(VALU_DEP_3) | instskip(SKIP_1) | instid1(VALU_DEP_2)
	v_cndmask_b32_e64 v15, 1, v51, s0
	v_cmp_ne_u32_e64 s0, 2, v11
	v_cndmask_b32_e32 v15, v51, v15, vcc_lo
	s_delay_alu instid0(VALU_DEP_2) | instskip(SKIP_1) | instid1(VALU_DEP_2)
	v_cndmask_b32_e64 v16, 1, v56, s0
	v_cmp_ne_u32_e64 s0, 3, v11
	v_cndmask_b32_e32 v16, v56, v16, vcc_lo
	s_delay_alu instid0(VALU_DEP_2) | instskip(SKIP_1) | instid1(VALU_DEP_3)
	v_cndmask_b32_e64 v17, 1, v55, s0
	v_cmp_ne_u32_e64 s0, 4, v11
	v_cmp_ne_u32_e64 s12, 0, v16
	s_delay_alu instid0(VALU_DEP_2) | instskip(SKIP_1) | instid1(VALU_DEP_1)
	v_cndmask_b32_e64 v10, 1, v54, s0
	v_cmp_ne_u32_e64 s0, 5, v11
	v_cndmask_b32_e64 v12, 1, v53, s0
	v_cmp_eq_u32_e64 s0, 0, v18
	s_delay_alu instid0(VALU_DEP_2) | instskip(NEXT) | instid1(VALU_DEP_2)
	v_cndmask_b32_e32 v53, v53, v12, vcc_lo
	v_cndmask_b32_e64 v13, 1, 2, s0
	v_cmp_eq_u32_e64 s0, 0, v19
	s_delay_alu instid0(VALU_DEP_1) | instskip(SKIP_1) | instid1(VALU_DEP_2)
	v_cndmask_b32_e64 v20, 1, 2, s0
	v_cmp_ne_u32_e64 s0, 6, v11
	v_and_b32_e32 v13, v20, v13
	s_delay_alu instid0(VALU_DEP_2) | instskip(SKIP_1) | instid1(VALU_DEP_1)
	v_cndmask_b32_e64 v21, 1, v52, s0
	v_cmp_eq_u32_e64 s0, 0, v16
	v_cndmask_b32_e64 v20, 1, 2, s0
	v_cmp_ne_u32_e64 s0, 7, v11
	s_delay_alu instid0(VALU_DEP_2) | instskip(SKIP_1) | instid1(VALU_DEP_3)
	v_and_b32_e32 v13, v13, v20
	v_cndmask_b32_e32 v17, v55, v17, vcc_lo
	v_cndmask_b32_e64 v22, 1, v50, s0
	v_cmp_ne_u32_e64 s0, 8, v11
	s_delay_alu instid0(VALU_DEP_2) | instskip(NEXT) | instid1(VALU_DEP_2)
	v_cndmask_b32_e32 v22, v50, v22, vcc_lo
	v_cndmask_b32_e64 v43, 1, v49, s0
	v_cmp_eq_u32_e64 s0, 0, v17
	v_cmp_ne_u32_e64 s13, 0, v19
	s_delay_alu instid0(VALU_DEP_4) | instskip(NEXT) | instid1(VALU_DEP_4)
	v_cmp_ne_u32_e64 s7, 0, v22
	v_cndmask_b32_e32 v43, v49, v43, vcc_lo
	s_delay_alu instid0(VALU_DEP_4) | instskip(SKIP_1) | instid1(VALU_DEP_3)
	v_cndmask_b32_e64 v20, 1, 2, s0
	v_cmp_ne_u32_e64 s0, 9, v11
	v_cmp_ne_u32_e64 s6, 0, v43
	s_delay_alu instid0(VALU_DEP_3) | instskip(NEXT) | instid1(VALU_DEP_3)
	v_dual_cndmask_b32 v51, v54, v10 :: v_dual_and_b32 v12, v13, v20
	v_cndmask_b32_e64 v10, 1, v48, s0
	v_cmp_ne_u32_e64 s11, 0, v17
	s_delay_alu instid0(VALU_DEP_3) | instskip(NEXT) | instid1(VALU_DEP_1)
	v_cmp_eq_u32_e64 s0, 0, v51
	v_cndmask_b32_e64 v13, 1, 2, s0
	v_cmp_ne_u32_e64 s0, 10, v11
	s_delay_alu instid0(VALU_DEP_2) | instskip(NEXT) | instid1(VALU_DEP_2)
	v_and_b32_e32 v12, v12, v13
	v_cndmask_b32_e64 v20, 1, v47, s0
	v_cmp_ne_u32_e64 s0, 12, v11
	v_cndmask_b32_e32 v21, v52, v21, vcc_lo
	v_cmp_ne_u32_e64 s10, 0, v51
	s_delay_alu instid0(VALU_DEP_4) | instskip(NEXT) | instid1(VALU_DEP_4)
	v_cndmask_b32_e32 v20, v47, v20, vcc_lo
	v_cndmask_b32_e64 v54, 1, v45, s0
	v_cmp_eq_u32_e64 s0, 0, v53
	v_cndmask_b32_e32 v47, v48, v10, vcc_lo
	v_cmp_ne_u32_e64 s8, 0, v21
	v_cmp_ne_u32_e64 s4, 0, v20
	v_cndmask_b32_e32 v45, v45, v54, vcc_lo
	v_cndmask_b32_e64 v13, 1, 2, s0
	v_cmp_ne_u32_e64 s0, 13, v11
	s_delay_alu instid0(VALU_DEP_3) | instskip(NEXT) | instid1(VALU_DEP_3)
	v_cmp_ne_u32_e64 s2, 0, v45
	v_and_b32_e32 v12, v12, v13
	s_delay_alu instid0(VALU_DEP_3) | instskip(SKIP_2) | instid1(VALU_DEP_3)
	v_cndmask_b32_e64 v52, 1, v44, s0
	v_cmp_eq_u32_e64 s0, 0, v21
	v_cmp_ne_u32_e64 s9, 0, v53
	v_cndmask_b32_e32 v44, v44, v52, vcc_lo
	s_delay_alu instid0(VALU_DEP_3) | instskip(SKIP_1) | instid1(VALU_DEP_3)
	v_cndmask_b32_e64 v13, 1, 2, s0
	v_cmp_ne_u32_e64 s0, 11, v11
	v_cmp_ne_u32_e64 s1, 0, v44
	s_delay_alu instid0(VALU_DEP_3) | instskip(NEXT) | instid1(VALU_DEP_3)
	v_and_b32_e32 v12, v12, v13
	v_cndmask_b32_e64 v11, 1, v46, s0
	v_cmp_eq_u32_e64 s0, 0, v22
	s_delay_alu instid0(VALU_DEP_2) | instskip(NEXT) | instid1(VALU_DEP_2)
	v_cndmask_b32_e32 v46, v46, v11, vcc_lo
	v_cndmask_b32_e64 v13, 1, 2, s0
	v_cmp_eq_u32_e32 vcc_lo, 0, v43
	v_cmp_ne_u32_e64 s0, 0, v15
	s_delay_alu instid0(VALU_DEP_4) | instskip(NEXT) | instid1(VALU_DEP_4)
	v_cmp_ne_u32_e64 s3, 0, v46
	v_and_b32_e32 v10, v12, v13
	v_cndmask_b32_e64 v11, 1, 2, vcc_lo
	v_add_co_u32 v2, vcc_lo, s28, v2
	v_add_co_ci_u32_e32 v3, vcc_lo, s29, v3, vcc_lo
	s_delay_alu instid0(VALU_DEP_3)
	v_and_b32_e32 v12, v10, v11
	v_cmp_eq_u32_e32 vcc_lo, 0, v47
	v_cmp_ne_u32_e64 s5, 0, v47
	v_cndmask_b32_e64 v13, 1, 2, vcc_lo
	v_add_co_u32 v10, vcc_lo, v2, v23
	v_add_co_ci_u32_e32 v11, vcc_lo, v3, v24, vcc_lo
	v_lshlrev_b32_e32 v2, 2, v14
	v_cmp_eq_u32_e32 vcc_lo, 0, v20
	v_and_b32_e32 v3, v12, v13
	v_cndmask_b32_e64 v12, 1, 2, vcc_lo
	s_delay_alu instid0(VALU_DEP_4) | instskip(SKIP_2) | instid1(VALU_DEP_4)
	v_add_co_u32 v2, vcc_lo, v2, v10
	v_add_co_ci_u32_e32 v13, vcc_lo, 0, v11, vcc_lo
	v_cmp_eq_u32_e32 vcc_lo, 0, v46
	v_and_b32_e32 v3, v3, v12
	v_cndmask_b32_e64 v23, 1, 2, vcc_lo
	v_add_co_u32 v12, vcc_lo, v2, -4
	v_add_co_ci_u32_e32 v13, vcc_lo, -1, v13, vcc_lo
	v_cmp_eq_u32_e32 vcc_lo, 0, v45
	v_add_nc_u32_e32 v2, v5, v14
	v_and_b32_e32 v3, v3, v23
	v_cndmask_b32_e64 v14, 1, 2, vcc_lo
	v_cmp_eq_u32_e32 vcc_lo, 0, v44
	s_delay_alu instid0(VALU_DEP_2) | instskip(SKIP_2) | instid1(VALU_DEP_2)
	v_and_b32_e32 v3, v3, v14
	v_cndmask_b32_e64 v14, 1, 2, vcc_lo
	v_cmp_eq_u32_e32 vcc_lo, 0, v15
	v_and_b32_e32 v3, v3, v14
	v_cndmask_b32_e64 v14, 1, 2, vcc_lo
	v_cmp_gt_u32_e32 vcc_lo, 0x100, v9
	s_delay_alu instid0(VALU_DEP_2) | instskip(NEXT) | instid1(VALU_DEP_1)
	v_and_b32_e32 v3, v3, v14
	v_cmp_gt_i16_e64 s15, 2, v3
	s_cbranch_vccnz .LBB189_151
; %bb.148:
	s_and_b32 vcc_lo, exec_lo, s16
	s_cbranch_vccnz .LBB189_157
.LBB189_149:
	v_cmp_eq_u32_e32 vcc_lo, 0xff, v0
	s_and_b32 s0, vcc_lo, s23
	s_delay_alu instid0(SALU_CYCLE_1)
	s_and_saveexec_b32 s1, s0
	s_cbranch_execnz .LBB189_166
.LBB189_150:
	s_nop 0
	s_sendmsg sendmsg(MSG_DEALLOC_VGPRS)
	s_endpgm
.LBB189_151:
	s_delay_alu instid0(VALU_DEP_1)
	s_and_saveexec_b32 s16, s15
	s_cbranch_execz .LBB189_156
; %bb.152:
	s_mov_b32 s17, 0
	s_mov_b32 s15, exec_lo
	v_cmpx_ne_u16_e32 1, v3
	s_xor_b32 s15, exec_lo, s15
	s_cbranch_execnz .LBB189_203
; %bb.153:
	s_and_not1_saveexec_b32 s15, s15
	s_cbranch_execnz .LBB189_219
.LBB189_154:
	s_or_b32 exec_lo, exec_lo, s15
	s_delay_alu instid0(SALU_CYCLE_1)
	s_and_b32 exec_lo, exec_lo, s17
	s_cbranch_execz .LBB189_156
.LBB189_155:
	v_sub_nc_u32_e32 v14, v6, v2
	v_mov_b32_e32 v15, 0
	s_delay_alu instid0(VALU_DEP_1) | instskip(NEXT) | instid1(VALU_DEP_1)
	v_lshlrev_b64 v[14:15], 2, v[14:15]
	v_add_co_u32 v14, vcc_lo, v12, v14
	s_delay_alu instid0(VALU_DEP_2)
	v_add_co_ci_u32_e32 v15, vcc_lo, v13, v15, vcc_lo
	global_store_b32 v[14:15], v60, off
.LBB189_156:
	s_or_b32 exec_lo, exec_lo, s16
	s_branch .LBB189_149
.LBB189_157:
	s_mov_b32 s15, exec_lo
	v_cmpx_gt_i16_e32 2, v3
	s_cbranch_execz .LBB189_162
; %bb.158:
	s_mov_b32 s17, 0
	s_mov_b32 s16, exec_lo
	v_cmpx_ne_u16_e32 1, v3
	s_xor_b32 s16, exec_lo, s16
	s_cbranch_execnz .LBB189_220
; %bb.159:
	s_and_not1_saveexec_b32 s0, s16
	s_cbranch_execnz .LBB189_236
.LBB189_160:
	s_or_b32 exec_lo, exec_lo, s0
	s_delay_alu instid0(SALU_CYCLE_1)
	s_and_b32 exec_lo, exec_lo, s17
	s_cbranch_execz .LBB189_162
.LBB189_161:
	v_sub_nc_u32_e32 v2, v6, v2
	s_delay_alu instid0(VALU_DEP_1)
	v_lshlrev_b32_e32 v2, 2, v2
	ds_store_b32 v2, v60
.LBB189_162:
	s_or_b32 exec_lo, exec_lo, s15
	s_delay_alu instid0(SALU_CYCLE_1)
	s_mov_b32 s1, exec_lo
	s_waitcnt lgkmcnt(0)
	s_waitcnt_vscnt null, 0x0
	s_barrier
	buffer_gl0_inv
	v_cmpx_lt_u32_e64 v0, v9
	s_cbranch_execz .LBB189_165
; %bb.163:
	v_dual_mov_b32 v3, 0 :: v_dual_lshlrev_b32 v4, 2, v0
	v_mov_b32_e32 v2, v0
	s_mov_b32 s2, 0
	.p2align	6
.LBB189_164:                            ; =>This Inner Loop Header: Depth=1
	ds_load_b32 v6, v4
	v_lshlrev_b64 v[14:15], 2, v[2:3]
	v_add_nc_u32_e32 v2, 0x100, v2
	v_add_nc_u32_e32 v4, 0x400, v4
	s_delay_alu instid0(VALU_DEP_2) | instskip(NEXT) | instid1(VALU_DEP_4)
	v_cmp_ge_u32_e32 vcc_lo, v2, v9
	v_add_co_u32 v14, s0, v12, v14
	s_delay_alu instid0(VALU_DEP_1)
	v_add_co_ci_u32_e64 v15, s0, v13, v15, s0
	s_or_b32 s2, vcc_lo, s2
	s_waitcnt lgkmcnt(0)
	global_store_b32 v[14:15], v6, off
	s_and_not1_b32 exec_lo, exec_lo, s2
	s_cbranch_execnz .LBB189_164
.LBB189_165:
	s_or_b32 exec_lo, exec_lo, s1
	v_cmp_eq_u32_e32 vcc_lo, 0xff, v0
	s_and_b32 s0, vcc_lo, s23
	s_delay_alu instid0(SALU_CYCLE_1)
	s_and_saveexec_b32 s1, s0
	s_cbranch_execz .LBB189_150
.LBB189_166:
	v_add_co_u32 v0, s0, v1, v5
	s_delay_alu instid0(VALU_DEP_1) | instskip(SKIP_1) | instid1(VALU_DEP_3)
	v_add_co_ci_u32_e64 v4, null, 0, 0, s0
	v_mov_b32_e32 v2, 0
	v_add_co_u32 v3, vcc_lo, v0, v7
	s_delay_alu instid0(VALU_DEP_3)
	v_add_co_ci_u32_e32 v4, vcc_lo, v4, v8, vcc_lo
	s_cmpk_lg_i32 s33, 0xf00
	global_store_b64 v2, v[3:4], s[30:31]
	s_cbranch_scc1 .LBB189_150
; %bb.167:
	v_lshlrev_b64 v[0:1], 2, v[1:2]
	s_delay_alu instid0(VALU_DEP_1) | instskip(NEXT) | instid1(VALU_DEP_2)
	v_add_co_u32 v0, vcc_lo, v10, v0
	v_add_co_ci_u32_e32 v1, vcc_lo, v11, v1, vcc_lo
	global_store_b32 v[0:1], v37, off offset:-4
	s_nop 0
	s_sendmsg sendmsg(MSG_DEALLOC_VGPRS)
	s_endpgm
.LBB189_168:
	s_or_b32 exec_lo, exec_lo, s2
	v_mov_b32_e32 v58, s1
	s_and_saveexec_b32 s1, s41
	s_cbranch_execnz .LBB189_84
	s_branch .LBB189_85
.LBB189_169:
	s_and_saveexec_b32 s17, s12
	s_cbranch_execnz .LBB189_237
; %bb.170:
	s_or_b32 exec_lo, exec_lo, s17
	s_and_saveexec_b32 s17, s11
	s_cbranch_execnz .LBB189_238
.LBB189_171:
	s_or_b32 exec_lo, exec_lo, s17
	s_and_saveexec_b32 s17, s9
	s_cbranch_execnz .LBB189_239
.LBB189_172:
	s_or_b32 exec_lo, exec_lo, s17
	s_and_saveexec_b32 s17, s8
	s_cbranch_execnz .LBB189_240
.LBB189_173:
	s_or_b32 exec_lo, exec_lo, s17
	s_and_saveexec_b32 s17, s14
	s_cbranch_execnz .LBB189_241
.LBB189_174:
	s_or_b32 exec_lo, exec_lo, s17
	s_and_saveexec_b32 s17, s13
	s_cbranch_execnz .LBB189_242
.LBB189_175:
	s_or_b32 exec_lo, exec_lo, s17
	s_and_saveexec_b32 s17, s10
	s_cbranch_execnz .LBB189_243
.LBB189_176:
	s_or_b32 exec_lo, exec_lo, s17
	s_and_saveexec_b32 s17, s7
	s_cbranch_execnz .LBB189_244
.LBB189_177:
	s_or_b32 exec_lo, exec_lo, s17
	s_and_saveexec_b32 s17, s6
	s_cbranch_execnz .LBB189_245
.LBB189_178:
	s_or_b32 exec_lo, exec_lo, s17
	s_and_saveexec_b32 s17, s5
	s_cbranch_execnz .LBB189_246
.LBB189_179:
	s_or_b32 exec_lo, exec_lo, s17
	s_and_saveexec_b32 s17, s4
	s_cbranch_execnz .LBB189_247
.LBB189_180:
	s_or_b32 exec_lo, exec_lo, s17
	s_and_saveexec_b32 s17, s3
	s_cbranch_execnz .LBB189_248
.LBB189_181:
	s_or_b32 exec_lo, exec_lo, s17
	s_and_saveexec_b32 s17, s2
	s_cbranch_execnz .LBB189_249
.LBB189_182:
	s_or_b32 exec_lo, exec_lo, s17
	s_and_saveexec_b32 s17, s1
	s_cbranch_execz .LBB189_184
.LBB189_183:
	v_sub_nc_u32_e32 v73, v25, v5
	v_mov_b32_e32 v74, 0
	s_delay_alu instid0(VALU_DEP_1) | instskip(NEXT) | instid1(VALU_DEP_1)
	v_lshlrev_b64 v[73:74], 2, v[73:74]
	v_add_co_u32 v73, vcc_lo, v70, v73
	s_delay_alu instid0(VALU_DEP_2)
	v_add_co_ci_u32_e32 v74, vcc_lo, v71, v74, vcc_lo
	global_store_b32 v[73:74], v10, off
.LBB189_184:
	s_or_b32 exec_lo, exec_lo, s17
	s_delay_alu instid0(SALU_CYCLE_1)
	s_and_b32 s17, s0, exec_lo
	s_and_not1_saveexec_b32 s15, s15
	s_cbranch_execz .LBB189_134
.LBB189_185:
	v_sub_nc_u32_e32 v73, v4, v5
	v_mov_b32_e32 v74, 0
	s_or_b32 s17, s17, exec_lo
	s_delay_alu instid0(VALU_DEP_1) | instskip(SKIP_1) | instid1(VALU_DEP_1)
	v_lshlrev_b64 v[75:76], 2, v[73:74]
	v_sub_nc_u32_e32 v73, v35, v5
	v_lshlrev_b64 v[77:78], 2, v[73:74]
	v_sub_nc_u32_e32 v73, v59, v5
	s_delay_alu instid0(VALU_DEP_4) | instskip(SKIP_1) | instid1(VALU_DEP_3)
	v_add_co_u32 v75, vcc_lo, v70, v75
	v_add_co_ci_u32_e32 v76, vcc_lo, v71, v76, vcc_lo
	v_lshlrev_b64 v[79:80], 2, v[73:74]
	v_sub_nc_u32_e32 v73, v36, v5
	v_add_co_u32 v77, vcc_lo, v70, v77
	v_add_co_ci_u32_e32 v78, vcc_lo, v71, v78, vcc_lo
	global_store_b32 v[75:76], v21, off
	v_lshlrev_b64 v[75:76], 2, v[73:74]
	v_sub_nc_u32_e32 v73, v34, v5
	global_store_b32 v[77:78], v22, off
	v_add_co_u32 v77, vcc_lo, v70, v79
	v_add_co_ci_u32_e32 v78, vcc_lo, v71, v80, vcc_lo
	v_lshlrev_b64 v[79:80], 2, v[73:74]
	v_sub_nc_u32_e32 v73, v33, v5
	v_add_co_u32 v75, vcc_lo, v70, v75
	v_add_co_ci_u32_e32 v76, vcc_lo, v71, v76, vcc_lo
	s_delay_alu instid0(VALU_DEP_3) | instskip(SKIP_3) | instid1(VALU_DEP_3)
	v_lshlrev_b64 v[81:82], 2, v[73:74]
	v_sub_nc_u32_e32 v73, v32, v5
	v_add_co_u32 v79, vcc_lo, v70, v79
	v_add_co_ci_u32_e32 v80, vcc_lo, v71, v80, vcc_lo
	v_lshlrev_b64 v[83:84], 2, v[73:74]
	v_sub_nc_u32_e32 v73, v31, v5
	v_add_co_u32 v81, vcc_lo, v70, v81
	v_add_co_ci_u32_e32 v82, vcc_lo, v71, v82, vcc_lo
	s_clause 0x3
	global_store_b32 v[77:78], v19, off
	global_store_b32 v[75:76], v20, off
	;; [unrolled: 1-line block ×4, first 2 shown]
	v_lshlrev_b64 v[75:76], 2, v[73:74]
	v_sub_nc_u32_e32 v73, v30, v5
	v_add_co_u32 v77, vcc_lo, v70, v83
	v_add_co_ci_u32_e32 v78, vcc_lo, v71, v84, vcc_lo
	s_delay_alu instid0(VALU_DEP_3) | instskip(SKIP_3) | instid1(VALU_DEP_3)
	v_lshlrev_b64 v[79:80], 2, v[73:74]
	v_sub_nc_u32_e32 v73, v29, v5
	v_add_co_u32 v75, vcc_lo, v70, v75
	v_add_co_ci_u32_e32 v76, vcc_lo, v71, v76, vcc_lo
	v_lshlrev_b64 v[81:82], 2, v[73:74]
	v_sub_nc_u32_e32 v73, v28, v5
	v_add_co_u32 v79, vcc_lo, v70, v79
	v_add_co_ci_u32_e32 v80, vcc_lo, v71, v80, vcc_lo
	s_delay_alu instid0(VALU_DEP_3)
	v_lshlrev_b64 v[83:84], 2, v[73:74]
	v_sub_nc_u32_e32 v73, v27, v5
	v_add_co_u32 v81, vcc_lo, v70, v81
	v_add_co_ci_u32_e32 v82, vcc_lo, v71, v82, vcc_lo
	s_clause 0x3
	global_store_b32 v[77:78], v15, off
	global_store_b32 v[75:76], v16, off
	;; [unrolled: 1-line block ×4, first 2 shown]
	v_lshlrev_b64 v[75:76], 2, v[73:74]
	v_sub_nc_u32_e32 v73, v26, v5
	v_add_co_u32 v77, vcc_lo, v70, v83
	v_add_co_ci_u32_e32 v78, vcc_lo, v71, v84, vcc_lo
	s_delay_alu instid0(VALU_DEP_3) | instskip(SKIP_3) | instid1(VALU_DEP_3)
	v_lshlrev_b64 v[79:80], 2, v[73:74]
	v_sub_nc_u32_e32 v73, v25, v5
	v_add_co_u32 v75, vcc_lo, v70, v75
	v_add_co_ci_u32_e32 v76, vcc_lo, v71, v76, vcc_lo
	v_lshlrev_b64 v[73:74], 2, v[73:74]
	v_add_co_u32 v79, vcc_lo, v70, v79
	v_add_co_ci_u32_e32 v80, vcc_lo, v71, v80, vcc_lo
	s_clause 0x2
	global_store_b32 v[77:78], v11, off
	global_store_b32 v[75:76], v12, off
	;; [unrolled: 1-line block ×3, first 2 shown]
	v_add_co_u32 v73, vcc_lo, v70, v73
	v_add_co_ci_u32_e32 v74, vcc_lo, v71, v74, vcc_lo
	global_store_b32 v[73:74], v10, off
	s_or_b32 exec_lo, exec_lo, s15
	s_delay_alu instid0(SALU_CYCLE_1)
	s_and_b32 exec_lo, exec_lo, s17
	s_cbranch_execnz .LBB189_135
	s_branch .LBB189_136
.LBB189_186:
	s_and_saveexec_b32 s17, s12
	s_cbranch_execnz .LBB189_250
; %bb.187:
	s_or_b32 exec_lo, exec_lo, s17
	s_and_saveexec_b32 s12, s11
	s_cbranch_execnz .LBB189_251
.LBB189_188:
	s_or_b32 exec_lo, exec_lo, s12
	s_and_saveexec_b32 s11, s9
	s_cbranch_execnz .LBB189_252
.LBB189_189:
	s_or_b32 exec_lo, exec_lo, s11
	s_and_saveexec_b32 s9, s8
	s_cbranch_execnz .LBB189_253
.LBB189_190:
	s_or_b32 exec_lo, exec_lo, s9
	s_and_saveexec_b32 s8, s14
	s_cbranch_execnz .LBB189_254
.LBB189_191:
	s_or_b32 exec_lo, exec_lo, s8
	s_and_saveexec_b32 s8, s13
	s_cbranch_execnz .LBB189_255
.LBB189_192:
	s_or_b32 exec_lo, exec_lo, s8
	s_and_saveexec_b32 s8, s10
	s_cbranch_execnz .LBB189_256
.LBB189_193:
	s_or_b32 exec_lo, exec_lo, s8
	s_and_saveexec_b32 s8, s7
	s_cbranch_execnz .LBB189_257
.LBB189_194:
	s_or_b32 exec_lo, exec_lo, s8
	s_and_saveexec_b32 s7, s6
	s_cbranch_execnz .LBB189_258
.LBB189_195:
	s_or_b32 exec_lo, exec_lo, s7
	s_and_saveexec_b32 s6, s5
	s_cbranch_execnz .LBB189_259
.LBB189_196:
	s_or_b32 exec_lo, exec_lo, s6
	s_and_saveexec_b32 s5, s4
	s_cbranch_execnz .LBB189_260
.LBB189_197:
	s_or_b32 exec_lo, exec_lo, s5
	s_and_saveexec_b32 s4, s3
	s_cbranch_execnz .LBB189_261
.LBB189_198:
	s_or_b32 exec_lo, exec_lo, s4
	s_and_saveexec_b32 s3, s2
	s_cbranch_execnz .LBB189_262
.LBB189_199:
	s_or_b32 exec_lo, exec_lo, s3
	s_and_saveexec_b32 s2, s1
	s_cbranch_execz .LBB189_201
.LBB189_200:
	v_sub_nc_u32_e32 v9, v25, v5
	s_delay_alu instid0(VALU_DEP_1)
	v_lshlrev_b32_e32 v9, 2, v9
	ds_store_b32 v9, v10
.LBB189_201:
	s_or_b32 exec_lo, exec_lo, s2
	s_delay_alu instid0(SALU_CYCLE_1)
	s_and_b32 s17, s0, exec_lo
                                        ; implicit-def: $vgpr21
                                        ; implicit-def: $vgpr19
                                        ; implicit-def: $vgpr17
                                        ; implicit-def: $vgpr15
                                        ; implicit-def: $vgpr13
                                        ; implicit-def: $vgpr11
                                        ; implicit-def: $vgpr9
	s_and_not1_saveexec_b32 s0, s16
	s_cbranch_execz .LBB189_141
.LBB189_202:
	v_sub_nc_u32_e32 v72, v4, v5
	v_sub_nc_u32_e32 v75, v36, v5
	;; [unrolled: 1-line block ×4, first 2 shown]
	s_or_b32 s17, s17, exec_lo
	v_lshlrev_b32_e32 v72, 2, v72
	v_lshlrev_b32_e32 v75, 2, v75
	v_lshlrev_b32_e32 v73, 2, v73
	v_lshlrev_b32_e32 v74, 2, v74
	ds_store_b32 v72, v21
	ds_store_b32 v73, v22
	;; [unrolled: 1-line block ×3, first 2 shown]
	v_sub_nc_u32_e32 v19, v34, v5
	ds_store_b32 v75, v20
	v_sub_nc_u32_e32 v20, v33, v5
	v_sub_nc_u32_e32 v21, v32, v5
	;; [unrolled: 1-line block ×3, first 2 shown]
	v_lshlrev_b32_e32 v19, 2, v19
	v_sub_nc_u32_e32 v72, v30, v5
	v_lshlrev_b32_e32 v20, 2, v20
	v_lshlrev_b32_e32 v21, 2, v21
	;; [unrolled: 1-line block ×3, first 2 shown]
	ds_store_b32 v19, v17
	v_lshlrev_b32_e32 v17, 2, v72
	ds_store_b32 v20, v18
	ds_store_b32 v21, v15
	;; [unrolled: 1-line block ×3, first 2 shown]
	v_sub_nc_u32_e32 v15, v29, v5
	v_sub_nc_u32_e32 v18, v25, v5
	;; [unrolled: 1-line block ×3, first 2 shown]
	ds_store_b32 v17, v13
	v_sub_nc_u32_e32 v13, v28, v5
	v_lshlrev_b32_e32 v15, 2, v15
	v_sub_nc_u32_e32 v17, v26, v5
	v_lshlrev_b32_e32 v16, 2, v16
	s_delay_alu instid0(VALU_DEP_4)
	v_lshlrev_b32_e32 v13, 2, v13
	ds_store_b32 v15, v14
	v_lshlrev_b32_e32 v14, 2, v18
	v_lshlrev_b32_e32 v17, 2, v17
	ds_store_b32 v13, v11
	ds_store_b32 v16, v12
	ds_store_b32 v17, v9
	ds_store_b32 v14, v10
	s_or_b32 exec_lo, exec_lo, s0
	s_delay_alu instid0(SALU_CYCLE_1)
	s_and_b32 exec_lo, exec_lo, s17
	s_cbranch_execnz .LBB189_142
	s_branch .LBB189_143
.LBB189_203:
	s_and_saveexec_b32 s17, s14
	s_cbranch_execnz .LBB189_263
; %bb.204:
	s_or_b32 exec_lo, exec_lo, s17
	s_and_saveexec_b32 s17, s13
	s_cbranch_execnz .LBB189_264
.LBB189_205:
	s_or_b32 exec_lo, exec_lo, s17
	s_and_saveexec_b32 s17, s12
	s_cbranch_execnz .LBB189_265
.LBB189_206:
	s_or_b32 exec_lo, exec_lo, s17
	s_and_saveexec_b32 s17, s11
	s_cbranch_execnz .LBB189_266
.LBB189_207:
	s_or_b32 exec_lo, exec_lo, s17
	s_and_saveexec_b32 s17, s10
	s_cbranch_execnz .LBB189_267
.LBB189_208:
	s_or_b32 exec_lo, exec_lo, s17
	s_and_saveexec_b32 s17, s9
	s_cbranch_execnz .LBB189_268
.LBB189_209:
	s_or_b32 exec_lo, exec_lo, s17
	s_and_saveexec_b32 s17, s8
	s_cbranch_execnz .LBB189_269
.LBB189_210:
	s_or_b32 exec_lo, exec_lo, s17
	s_and_saveexec_b32 s17, s7
	s_cbranch_execnz .LBB189_270
.LBB189_211:
	s_or_b32 exec_lo, exec_lo, s17
	s_and_saveexec_b32 s17, s6
	s_cbranch_execnz .LBB189_271
.LBB189_212:
	s_or_b32 exec_lo, exec_lo, s17
	s_and_saveexec_b32 s17, s5
	s_cbranch_execnz .LBB189_272
.LBB189_213:
	s_or_b32 exec_lo, exec_lo, s17
	s_and_saveexec_b32 s17, s4
	s_cbranch_execnz .LBB189_273
.LBB189_214:
	s_or_b32 exec_lo, exec_lo, s17
	s_and_saveexec_b32 s17, s3
	s_cbranch_execnz .LBB189_274
.LBB189_215:
	s_or_b32 exec_lo, exec_lo, s17
	s_and_saveexec_b32 s17, s2
	s_cbranch_execnz .LBB189_275
.LBB189_216:
	s_or_b32 exec_lo, exec_lo, s17
	s_and_saveexec_b32 s17, s1
	s_cbranch_execz .LBB189_218
.LBB189_217:
	v_sub_nc_u32_e32 v14, v25, v2
	v_mov_b32_e32 v15, 0
	s_delay_alu instid0(VALU_DEP_1) | instskip(NEXT) | instid1(VALU_DEP_1)
	v_lshlrev_b64 v[14:15], 2, v[14:15]
	v_add_co_u32 v14, vcc_lo, v12, v14
	s_delay_alu instid0(VALU_DEP_2)
	v_add_co_ci_u32_e32 v15, vcc_lo, v13, v15, vcc_lo
	global_store_b32 v[14:15], v38, off
.LBB189_218:
	s_or_b32 exec_lo, exec_lo, s17
	s_delay_alu instid0(SALU_CYCLE_1)
	s_and_b32 s17, s0, exec_lo
	s_and_not1_saveexec_b32 s15, s15
	s_cbranch_execz .LBB189_154
.LBB189_219:
	v_sub_nc_u32_e32 v14, v4, v2
	v_mov_b32_e32 v15, 0
	s_or_b32 s17, s17, exec_lo
	s_delay_alu instid0(VALU_DEP_1) | instskip(SKIP_1) | instid1(VALU_DEP_1)
	v_lshlrev_b64 v[16:17], 2, v[14:15]
	v_sub_nc_u32_e32 v14, v35, v2
	v_lshlrev_b64 v[18:19], 2, v[14:15]
	v_sub_nc_u32_e32 v14, v59, v2
	s_delay_alu instid0(VALU_DEP_4) | instskip(SKIP_1) | instid1(VALU_DEP_3)
	v_add_co_u32 v16, vcc_lo, v12, v16
	v_add_co_ci_u32_e32 v17, vcc_lo, v13, v17, vcc_lo
	v_lshlrev_b64 v[20:21], 2, v[14:15]
	v_sub_nc_u32_e32 v14, v36, v2
	v_add_co_u32 v18, vcc_lo, v12, v18
	v_add_co_ci_u32_e32 v19, vcc_lo, v13, v19, vcc_lo
	global_store_b32 v[16:17], v69, off
	v_lshlrev_b64 v[16:17], 2, v[14:15]
	v_sub_nc_u32_e32 v14, v34, v2
	global_store_b32 v[18:19], v68, off
	v_add_co_u32 v18, vcc_lo, v12, v20
	v_add_co_ci_u32_e32 v19, vcc_lo, v13, v21, vcc_lo
	v_lshlrev_b64 v[20:21], 2, v[14:15]
	v_sub_nc_u32_e32 v14, v33, v2
	v_add_co_u32 v16, vcc_lo, v12, v16
	v_add_co_ci_u32_e32 v17, vcc_lo, v13, v17, vcc_lo
	s_delay_alu instid0(VALU_DEP_3) | instskip(SKIP_3) | instid1(VALU_DEP_3)
	v_lshlrev_b64 v[22:23], 2, v[14:15]
	v_sub_nc_u32_e32 v14, v32, v2
	v_add_co_u32 v20, vcc_lo, v12, v20
	v_add_co_ci_u32_e32 v21, vcc_lo, v13, v21, vcc_lo
	v_lshlrev_b64 v[43:44], 2, v[14:15]
	v_sub_nc_u32_e32 v14, v31, v2
	v_add_co_u32 v22, vcc_lo, v12, v22
	v_add_co_ci_u32_e32 v23, vcc_lo, v13, v23, vcc_lo
	s_clause 0x3
	global_store_b32 v[18:19], v67, off
	global_store_b32 v[16:17], v66, off
	;; [unrolled: 1-line block ×4, first 2 shown]
	v_lshlrev_b64 v[16:17], 2, v[14:15]
	v_sub_nc_u32_e32 v14, v30, v2
	v_add_co_u32 v18, vcc_lo, v12, v43
	v_add_co_ci_u32_e32 v19, vcc_lo, v13, v44, vcc_lo
	s_delay_alu instid0(VALU_DEP_3) | instskip(SKIP_3) | instid1(VALU_DEP_3)
	v_lshlrev_b64 v[20:21], 2, v[14:15]
	v_sub_nc_u32_e32 v14, v29, v2
	v_add_co_u32 v16, vcc_lo, v12, v16
	v_add_co_ci_u32_e32 v17, vcc_lo, v13, v17, vcc_lo
	v_lshlrev_b64 v[22:23], 2, v[14:15]
	v_sub_nc_u32_e32 v14, v28, v2
	v_add_co_u32 v20, vcc_lo, v12, v20
	v_add_co_ci_u32_e32 v21, vcc_lo, v13, v21, vcc_lo
	s_delay_alu instid0(VALU_DEP_3)
	v_lshlrev_b64 v[43:44], 2, v[14:15]
	v_sub_nc_u32_e32 v14, v27, v2
	v_add_co_u32 v22, vcc_lo, v12, v22
	v_add_co_ci_u32_e32 v23, vcc_lo, v13, v23, vcc_lo
	s_clause 0x3
	global_store_b32 v[18:19], v63, off
	global_store_b32 v[16:17], v62, off
	;; [unrolled: 1-line block ×4, first 2 shown]
	v_lshlrev_b64 v[16:17], 2, v[14:15]
	v_sub_nc_u32_e32 v14, v26, v2
	v_add_co_u32 v18, vcc_lo, v12, v43
	v_add_co_ci_u32_e32 v19, vcc_lo, v13, v44, vcc_lo
	s_delay_alu instid0(VALU_DEP_3) | instskip(SKIP_3) | instid1(VALU_DEP_3)
	v_lshlrev_b64 v[20:21], 2, v[14:15]
	v_sub_nc_u32_e32 v14, v25, v2
	v_add_co_u32 v16, vcc_lo, v12, v16
	v_add_co_ci_u32_e32 v17, vcc_lo, v13, v17, vcc_lo
	v_lshlrev_b64 v[14:15], 2, v[14:15]
	v_add_co_u32 v20, vcc_lo, v12, v20
	v_add_co_ci_u32_e32 v21, vcc_lo, v13, v21, vcc_lo
	s_clause 0x2
	global_store_b32 v[18:19], v41, off
	global_store_b32 v[16:17], v39, off
	global_store_b32 v[20:21], v40, off
	v_add_co_u32 v14, vcc_lo, v12, v14
	v_add_co_ci_u32_e32 v15, vcc_lo, v13, v15, vcc_lo
	global_store_b32 v[14:15], v38, off
	s_or_b32 exec_lo, exec_lo, s15
	s_delay_alu instid0(SALU_CYCLE_1)
	s_and_b32 exec_lo, exec_lo, s17
	s_cbranch_execnz .LBB189_155
	s_branch .LBB189_156
.LBB189_220:
	s_and_saveexec_b32 s17, s14
	s_cbranch_execnz .LBB189_276
; %bb.221:
	s_or_b32 exec_lo, exec_lo, s17
	s_and_saveexec_b32 s14, s13
	s_cbranch_execnz .LBB189_277
.LBB189_222:
	s_or_b32 exec_lo, exec_lo, s14
	s_and_saveexec_b32 s13, s12
	s_cbranch_execnz .LBB189_278
.LBB189_223:
	s_or_b32 exec_lo, exec_lo, s13
	s_and_saveexec_b32 s12, s11
	s_cbranch_execnz .LBB189_279
.LBB189_224:
	s_or_b32 exec_lo, exec_lo, s12
	s_and_saveexec_b32 s11, s10
	s_cbranch_execnz .LBB189_280
.LBB189_225:
	s_or_b32 exec_lo, exec_lo, s11
	s_and_saveexec_b32 s10, s9
	s_cbranch_execnz .LBB189_281
.LBB189_226:
	s_or_b32 exec_lo, exec_lo, s10
	s_and_saveexec_b32 s9, s8
	s_cbranch_execnz .LBB189_282
.LBB189_227:
	s_or_b32 exec_lo, exec_lo, s9
	s_and_saveexec_b32 s8, s7
	s_cbranch_execnz .LBB189_283
.LBB189_228:
	s_or_b32 exec_lo, exec_lo, s8
	s_and_saveexec_b32 s7, s6
	s_cbranch_execnz .LBB189_284
.LBB189_229:
	s_or_b32 exec_lo, exec_lo, s7
	s_and_saveexec_b32 s6, s5
	s_cbranch_execnz .LBB189_285
.LBB189_230:
	s_or_b32 exec_lo, exec_lo, s6
	s_and_saveexec_b32 s5, s4
	s_cbranch_execnz .LBB189_286
.LBB189_231:
	s_or_b32 exec_lo, exec_lo, s5
	s_and_saveexec_b32 s4, s3
	s_cbranch_execnz .LBB189_287
.LBB189_232:
	s_or_b32 exec_lo, exec_lo, s4
	s_and_saveexec_b32 s3, s2
	s_cbranch_execnz .LBB189_288
.LBB189_233:
	s_or_b32 exec_lo, exec_lo, s3
	s_and_saveexec_b32 s2, s1
	s_cbranch_execz .LBB189_235
.LBB189_234:
	v_sub_nc_u32_e32 v3, v25, v2
	s_delay_alu instid0(VALU_DEP_1)
	v_lshlrev_b32_e32 v3, 2, v3
	ds_store_b32 v3, v38
.LBB189_235:
	s_or_b32 exec_lo, exec_lo, s2
	s_delay_alu instid0(SALU_CYCLE_1)
	s_and_b32 s17, s0, exec_lo
                                        ; implicit-def: $vgpr38
                                        ; implicit-def: $vgpr40
                                        ; implicit-def: $vgpr39
                                        ; implicit-def: $vgpr41
                                        ; implicit-def: $vgpr42
                                        ; implicit-def: $vgpr61
                                        ; implicit-def: $vgpr62
                                        ; implicit-def: $vgpr63
                                        ; implicit-def: $vgpr64
                                        ; implicit-def: $vgpr65
                                        ; implicit-def: $vgpr66
                                        ; implicit-def: $vgpr67
                                        ; implicit-def: $vgpr68
                                        ; implicit-def: $vgpr69
                                        ; implicit-def: $vgpr35
                                        ; implicit-def: $vgpr59
                                        ; implicit-def: $vgpr36
                                        ; implicit-def: $vgpr34
                                        ; implicit-def: $vgpr33
                                        ; implicit-def: $vgpr32
                                        ; implicit-def: $vgpr31
                                        ; implicit-def: $vgpr30
                                        ; implicit-def: $vgpr29
                                        ; implicit-def: $vgpr28
                                        ; implicit-def: $vgpr27
                                        ; implicit-def: $vgpr26
                                        ; implicit-def: $vgpr25
	s_and_not1_saveexec_b32 s0, s16
	s_cbranch_execz .LBB189_160
.LBB189_236:
	v_sub_nc_u32_e32 v3, v4, v2
	v_sub_nc_u32_e32 v4, v35, v2
	;; [unrolled: 1-line block ×5, first 2 shown]
	v_lshlrev_b32_e32 v3, 2, v3
	v_lshlrev_b32_e32 v4, 2, v4
	;; [unrolled: 1-line block ×4, first 2 shown]
	s_or_b32 s17, s17, exec_lo
	ds_store_b32 v3, v69
	ds_store_b32 v4, v68
	;; [unrolled: 1-line block ×3, first 2 shown]
	v_sub_nc_u32_e32 v3, v34, v2
	v_sub_nc_u32_e32 v4, v33, v2
	v_sub_nc_u32_e32 v14, v32, v2
	ds_store_b32 v15, v66
	v_sub_nc_u32_e32 v15, v31, v2
	v_lshlrev_b32_e32 v3, 2, v3
	v_lshlrev_b32_e32 v4, 2, v4
	;; [unrolled: 1-line block ×3, first 2 shown]
	s_delay_alu instid0(VALU_DEP_4)
	v_lshlrev_b32_e32 v15, 2, v15
	ds_store_b32 v3, v65
	v_lshlrev_b32_e32 v3, 2, v16
	ds_store_b32 v4, v64
	ds_store_b32 v14, v63
	;; [unrolled: 1-line block ×3, first 2 shown]
	v_sub_nc_u32_e32 v4, v29, v2
	v_sub_nc_u32_e32 v16, v25, v2
	;; [unrolled: 1-line block ×3, first 2 shown]
	ds_store_b32 v3, v61
	v_sub_nc_u32_e32 v3, v28, v2
	v_lshlrev_b32_e32 v4, 2, v4
	v_sub_nc_u32_e32 v15, v26, v2
	v_lshlrev_b32_e32 v14, 2, v14
	s_delay_alu instid0(VALU_DEP_4)
	v_lshlrev_b32_e32 v3, 2, v3
	ds_store_b32 v4, v42
	v_lshlrev_b32_e32 v4, 2, v16
	v_lshlrev_b32_e32 v15, 2, v15
	ds_store_b32 v3, v41
	ds_store_b32 v14, v39
	;; [unrolled: 1-line block ×4, first 2 shown]
	s_or_b32 exec_lo, exec_lo, s0
	s_delay_alu instid0(SALU_CYCLE_1)
	s_and_b32 exec_lo, exec_lo, s17
	s_cbranch_execnz .LBB189_161
	s_branch .LBB189_162
.LBB189_237:
	v_sub_nc_u32_e32 v73, v4, v5
	v_mov_b32_e32 v74, 0
	s_delay_alu instid0(VALU_DEP_1) | instskip(NEXT) | instid1(VALU_DEP_1)
	v_lshlrev_b64 v[73:74], 2, v[73:74]
	v_add_co_u32 v73, vcc_lo, v70, v73
	s_delay_alu instid0(VALU_DEP_2)
	v_add_co_ci_u32_e32 v74, vcc_lo, v71, v74, vcc_lo
	global_store_b32 v[73:74], v21, off
	s_or_b32 exec_lo, exec_lo, s17
	s_and_saveexec_b32 s17, s11
	s_cbranch_execz .LBB189_171
.LBB189_238:
	v_sub_nc_u32_e32 v73, v35, v5
	v_mov_b32_e32 v74, 0
	s_delay_alu instid0(VALU_DEP_1) | instskip(NEXT) | instid1(VALU_DEP_1)
	v_lshlrev_b64 v[73:74], 2, v[73:74]
	v_add_co_u32 v73, vcc_lo, v70, v73
	s_delay_alu instid0(VALU_DEP_2)
	v_add_co_ci_u32_e32 v74, vcc_lo, v71, v74, vcc_lo
	global_store_b32 v[73:74], v22, off
	s_or_b32 exec_lo, exec_lo, s17
	s_and_saveexec_b32 s17, s9
	s_cbranch_execz .LBB189_172
.LBB189_239:
	v_sub_nc_u32_e32 v73, v59, v5
	v_mov_b32_e32 v74, 0
	s_delay_alu instid0(VALU_DEP_1) | instskip(NEXT) | instid1(VALU_DEP_1)
	v_lshlrev_b64 v[73:74], 2, v[73:74]
	v_add_co_u32 v73, vcc_lo, v70, v73
	s_delay_alu instid0(VALU_DEP_2)
	v_add_co_ci_u32_e32 v74, vcc_lo, v71, v74, vcc_lo
	global_store_b32 v[73:74], v19, off
	s_or_b32 exec_lo, exec_lo, s17
	s_and_saveexec_b32 s17, s8
	s_cbranch_execz .LBB189_173
.LBB189_240:
	v_sub_nc_u32_e32 v73, v36, v5
	v_mov_b32_e32 v74, 0
	s_delay_alu instid0(VALU_DEP_1) | instskip(NEXT) | instid1(VALU_DEP_1)
	v_lshlrev_b64 v[73:74], 2, v[73:74]
	v_add_co_u32 v73, vcc_lo, v70, v73
	s_delay_alu instid0(VALU_DEP_2)
	v_add_co_ci_u32_e32 v74, vcc_lo, v71, v74, vcc_lo
	global_store_b32 v[73:74], v20, off
	s_or_b32 exec_lo, exec_lo, s17
	s_and_saveexec_b32 s17, s14
	s_cbranch_execz .LBB189_174
.LBB189_241:
	v_sub_nc_u32_e32 v73, v34, v5
	v_mov_b32_e32 v74, 0
	s_delay_alu instid0(VALU_DEP_1) | instskip(NEXT) | instid1(VALU_DEP_1)
	v_lshlrev_b64 v[73:74], 2, v[73:74]
	v_add_co_u32 v73, vcc_lo, v70, v73
	s_delay_alu instid0(VALU_DEP_2)
	v_add_co_ci_u32_e32 v74, vcc_lo, v71, v74, vcc_lo
	global_store_b32 v[73:74], v17, off
	s_or_b32 exec_lo, exec_lo, s17
	s_and_saveexec_b32 s17, s13
	s_cbranch_execz .LBB189_175
.LBB189_242:
	v_sub_nc_u32_e32 v73, v33, v5
	v_mov_b32_e32 v74, 0
	s_delay_alu instid0(VALU_DEP_1) | instskip(NEXT) | instid1(VALU_DEP_1)
	v_lshlrev_b64 v[73:74], 2, v[73:74]
	v_add_co_u32 v73, vcc_lo, v70, v73
	s_delay_alu instid0(VALU_DEP_2)
	v_add_co_ci_u32_e32 v74, vcc_lo, v71, v74, vcc_lo
	global_store_b32 v[73:74], v18, off
	s_or_b32 exec_lo, exec_lo, s17
	s_and_saveexec_b32 s17, s10
	s_cbranch_execz .LBB189_176
.LBB189_243:
	v_sub_nc_u32_e32 v73, v32, v5
	v_mov_b32_e32 v74, 0
	s_delay_alu instid0(VALU_DEP_1) | instskip(NEXT) | instid1(VALU_DEP_1)
	v_lshlrev_b64 v[73:74], 2, v[73:74]
	v_add_co_u32 v73, vcc_lo, v70, v73
	s_delay_alu instid0(VALU_DEP_2)
	v_add_co_ci_u32_e32 v74, vcc_lo, v71, v74, vcc_lo
	global_store_b32 v[73:74], v15, off
	s_or_b32 exec_lo, exec_lo, s17
	s_and_saveexec_b32 s17, s7
	s_cbranch_execz .LBB189_177
.LBB189_244:
	v_sub_nc_u32_e32 v73, v31, v5
	v_mov_b32_e32 v74, 0
	s_delay_alu instid0(VALU_DEP_1) | instskip(NEXT) | instid1(VALU_DEP_1)
	v_lshlrev_b64 v[73:74], 2, v[73:74]
	v_add_co_u32 v73, vcc_lo, v70, v73
	s_delay_alu instid0(VALU_DEP_2)
	v_add_co_ci_u32_e32 v74, vcc_lo, v71, v74, vcc_lo
	global_store_b32 v[73:74], v16, off
	s_or_b32 exec_lo, exec_lo, s17
	s_and_saveexec_b32 s17, s6
	s_cbranch_execz .LBB189_178
.LBB189_245:
	v_sub_nc_u32_e32 v73, v30, v5
	v_mov_b32_e32 v74, 0
	s_delay_alu instid0(VALU_DEP_1) | instskip(NEXT) | instid1(VALU_DEP_1)
	v_lshlrev_b64 v[73:74], 2, v[73:74]
	v_add_co_u32 v73, vcc_lo, v70, v73
	s_delay_alu instid0(VALU_DEP_2)
	v_add_co_ci_u32_e32 v74, vcc_lo, v71, v74, vcc_lo
	global_store_b32 v[73:74], v13, off
	s_or_b32 exec_lo, exec_lo, s17
	s_and_saveexec_b32 s17, s5
	s_cbranch_execz .LBB189_179
.LBB189_246:
	v_sub_nc_u32_e32 v73, v29, v5
	v_mov_b32_e32 v74, 0
	s_delay_alu instid0(VALU_DEP_1) | instskip(NEXT) | instid1(VALU_DEP_1)
	v_lshlrev_b64 v[73:74], 2, v[73:74]
	v_add_co_u32 v73, vcc_lo, v70, v73
	s_delay_alu instid0(VALU_DEP_2)
	v_add_co_ci_u32_e32 v74, vcc_lo, v71, v74, vcc_lo
	global_store_b32 v[73:74], v14, off
	s_or_b32 exec_lo, exec_lo, s17
	s_and_saveexec_b32 s17, s4
	s_cbranch_execz .LBB189_180
.LBB189_247:
	v_sub_nc_u32_e32 v73, v28, v5
	v_mov_b32_e32 v74, 0
	s_delay_alu instid0(VALU_DEP_1) | instskip(NEXT) | instid1(VALU_DEP_1)
	v_lshlrev_b64 v[73:74], 2, v[73:74]
	v_add_co_u32 v73, vcc_lo, v70, v73
	s_delay_alu instid0(VALU_DEP_2)
	v_add_co_ci_u32_e32 v74, vcc_lo, v71, v74, vcc_lo
	global_store_b32 v[73:74], v11, off
	s_or_b32 exec_lo, exec_lo, s17
	s_and_saveexec_b32 s17, s3
	s_cbranch_execz .LBB189_181
.LBB189_248:
	v_sub_nc_u32_e32 v73, v27, v5
	v_mov_b32_e32 v74, 0
	s_delay_alu instid0(VALU_DEP_1) | instskip(NEXT) | instid1(VALU_DEP_1)
	v_lshlrev_b64 v[73:74], 2, v[73:74]
	v_add_co_u32 v73, vcc_lo, v70, v73
	s_delay_alu instid0(VALU_DEP_2)
	v_add_co_ci_u32_e32 v74, vcc_lo, v71, v74, vcc_lo
	global_store_b32 v[73:74], v12, off
	s_or_b32 exec_lo, exec_lo, s17
	s_and_saveexec_b32 s17, s2
	s_cbranch_execz .LBB189_182
.LBB189_249:
	v_sub_nc_u32_e32 v73, v26, v5
	v_mov_b32_e32 v74, 0
	s_delay_alu instid0(VALU_DEP_1) | instskip(NEXT) | instid1(VALU_DEP_1)
	v_lshlrev_b64 v[73:74], 2, v[73:74]
	v_add_co_u32 v73, vcc_lo, v70, v73
	s_delay_alu instid0(VALU_DEP_2)
	v_add_co_ci_u32_e32 v74, vcc_lo, v71, v74, vcc_lo
	global_store_b32 v[73:74], v9, off
	s_or_b32 exec_lo, exec_lo, s17
	s_and_saveexec_b32 s17, s1
	s_cbranch_execnz .LBB189_183
	s_branch .LBB189_184
.LBB189_250:
	v_sub_nc_u32_e32 v72, v4, v5
	s_delay_alu instid0(VALU_DEP_1)
	v_lshlrev_b32_e32 v72, 2, v72
	ds_store_b32 v72, v21
	s_or_b32 exec_lo, exec_lo, s17
	s_and_saveexec_b32 s12, s11
	s_cbranch_execz .LBB189_188
.LBB189_251:
	v_sub_nc_u32_e32 v21, v35, v5
	s_delay_alu instid0(VALU_DEP_1)
	v_lshlrev_b32_e32 v21, 2, v21
	ds_store_b32 v21, v22
	s_or_b32 exec_lo, exec_lo, s12
	s_and_saveexec_b32 s11, s9
	s_cbranch_execz .LBB189_189
.LBB189_252:
	v_sub_nc_u32_e32 v21, v59, v5
	s_delay_alu instid0(VALU_DEP_1)
	v_lshlrev_b32_e32 v21, 2, v21
	ds_store_b32 v21, v19
	s_or_b32 exec_lo, exec_lo, s11
	s_and_saveexec_b32 s9, s8
	s_cbranch_execz .LBB189_190
.LBB189_253:
	v_sub_nc_u32_e32 v19, v36, v5
	s_delay_alu instid0(VALU_DEP_1)
	v_lshlrev_b32_e32 v19, 2, v19
	ds_store_b32 v19, v20
	s_or_b32 exec_lo, exec_lo, s9
	s_and_saveexec_b32 s8, s14
	s_cbranch_execz .LBB189_191
.LBB189_254:
	v_sub_nc_u32_e32 v19, v34, v5
	s_delay_alu instid0(VALU_DEP_1)
	v_lshlrev_b32_e32 v19, 2, v19
	ds_store_b32 v19, v17
	s_or_b32 exec_lo, exec_lo, s8
	s_and_saveexec_b32 s8, s13
	s_cbranch_execz .LBB189_192
.LBB189_255:
	v_sub_nc_u32_e32 v17, v33, v5
	s_delay_alu instid0(VALU_DEP_1)
	v_lshlrev_b32_e32 v17, 2, v17
	ds_store_b32 v17, v18
	s_or_b32 exec_lo, exec_lo, s8
	s_and_saveexec_b32 s8, s10
	s_cbranch_execz .LBB189_193
.LBB189_256:
	v_sub_nc_u32_e32 v17, v32, v5
	s_delay_alu instid0(VALU_DEP_1)
	v_lshlrev_b32_e32 v17, 2, v17
	ds_store_b32 v17, v15
	s_or_b32 exec_lo, exec_lo, s8
	s_and_saveexec_b32 s8, s7
	s_cbranch_execz .LBB189_194
.LBB189_257:
	v_sub_nc_u32_e32 v15, v31, v5
	s_delay_alu instid0(VALU_DEP_1)
	v_lshlrev_b32_e32 v15, 2, v15
	ds_store_b32 v15, v16
	s_or_b32 exec_lo, exec_lo, s8
	s_and_saveexec_b32 s7, s6
	s_cbranch_execz .LBB189_195
.LBB189_258:
	v_sub_nc_u32_e32 v15, v30, v5
	s_delay_alu instid0(VALU_DEP_1)
	v_lshlrev_b32_e32 v15, 2, v15
	ds_store_b32 v15, v13
	s_or_b32 exec_lo, exec_lo, s7
	s_and_saveexec_b32 s6, s5
	s_cbranch_execz .LBB189_196
.LBB189_259:
	v_sub_nc_u32_e32 v13, v29, v5
	s_delay_alu instid0(VALU_DEP_1)
	v_lshlrev_b32_e32 v13, 2, v13
	ds_store_b32 v13, v14
	s_or_b32 exec_lo, exec_lo, s6
	s_and_saveexec_b32 s5, s4
	s_cbranch_execz .LBB189_197
.LBB189_260:
	v_sub_nc_u32_e32 v13, v28, v5
	s_delay_alu instid0(VALU_DEP_1)
	v_lshlrev_b32_e32 v13, 2, v13
	ds_store_b32 v13, v11
	s_or_b32 exec_lo, exec_lo, s5
	s_and_saveexec_b32 s4, s3
	s_cbranch_execz .LBB189_198
.LBB189_261:
	v_sub_nc_u32_e32 v11, v27, v5
	s_delay_alu instid0(VALU_DEP_1)
	v_lshlrev_b32_e32 v11, 2, v11
	ds_store_b32 v11, v12
	s_or_b32 exec_lo, exec_lo, s4
	s_and_saveexec_b32 s3, s2
	s_cbranch_execz .LBB189_199
.LBB189_262:
	v_sub_nc_u32_e32 v11, v26, v5
	s_delay_alu instid0(VALU_DEP_1)
	v_lshlrev_b32_e32 v11, 2, v11
	ds_store_b32 v11, v9
	s_or_b32 exec_lo, exec_lo, s3
	s_and_saveexec_b32 s2, s1
	s_cbranch_execnz .LBB189_200
	s_branch .LBB189_201
.LBB189_263:
	v_sub_nc_u32_e32 v14, v4, v2
	v_mov_b32_e32 v15, 0
	s_delay_alu instid0(VALU_DEP_1) | instskip(NEXT) | instid1(VALU_DEP_1)
	v_lshlrev_b64 v[14:15], 2, v[14:15]
	v_add_co_u32 v14, vcc_lo, v12, v14
	s_delay_alu instid0(VALU_DEP_2)
	v_add_co_ci_u32_e32 v15, vcc_lo, v13, v15, vcc_lo
	global_store_b32 v[14:15], v69, off
	s_or_b32 exec_lo, exec_lo, s17
	s_and_saveexec_b32 s17, s13
	s_cbranch_execz .LBB189_205
.LBB189_264:
	v_sub_nc_u32_e32 v14, v35, v2
	v_mov_b32_e32 v15, 0
	s_delay_alu instid0(VALU_DEP_1) | instskip(NEXT) | instid1(VALU_DEP_1)
	v_lshlrev_b64 v[14:15], 2, v[14:15]
	v_add_co_u32 v14, vcc_lo, v12, v14
	s_delay_alu instid0(VALU_DEP_2)
	v_add_co_ci_u32_e32 v15, vcc_lo, v13, v15, vcc_lo
	global_store_b32 v[14:15], v68, off
	s_or_b32 exec_lo, exec_lo, s17
	s_and_saveexec_b32 s17, s12
	s_cbranch_execz .LBB189_206
.LBB189_265:
	v_sub_nc_u32_e32 v14, v59, v2
	v_mov_b32_e32 v15, 0
	s_delay_alu instid0(VALU_DEP_1) | instskip(NEXT) | instid1(VALU_DEP_1)
	v_lshlrev_b64 v[14:15], 2, v[14:15]
	v_add_co_u32 v14, vcc_lo, v12, v14
	s_delay_alu instid0(VALU_DEP_2)
	v_add_co_ci_u32_e32 v15, vcc_lo, v13, v15, vcc_lo
	global_store_b32 v[14:15], v67, off
	s_or_b32 exec_lo, exec_lo, s17
	s_and_saveexec_b32 s17, s11
	s_cbranch_execz .LBB189_207
.LBB189_266:
	v_sub_nc_u32_e32 v14, v36, v2
	v_mov_b32_e32 v15, 0
	s_delay_alu instid0(VALU_DEP_1) | instskip(NEXT) | instid1(VALU_DEP_1)
	v_lshlrev_b64 v[14:15], 2, v[14:15]
	v_add_co_u32 v14, vcc_lo, v12, v14
	s_delay_alu instid0(VALU_DEP_2)
	v_add_co_ci_u32_e32 v15, vcc_lo, v13, v15, vcc_lo
	global_store_b32 v[14:15], v66, off
	s_or_b32 exec_lo, exec_lo, s17
	s_and_saveexec_b32 s17, s10
	s_cbranch_execz .LBB189_208
.LBB189_267:
	v_sub_nc_u32_e32 v14, v34, v2
	v_mov_b32_e32 v15, 0
	s_delay_alu instid0(VALU_DEP_1) | instskip(NEXT) | instid1(VALU_DEP_1)
	v_lshlrev_b64 v[14:15], 2, v[14:15]
	v_add_co_u32 v14, vcc_lo, v12, v14
	s_delay_alu instid0(VALU_DEP_2)
	v_add_co_ci_u32_e32 v15, vcc_lo, v13, v15, vcc_lo
	global_store_b32 v[14:15], v65, off
	s_or_b32 exec_lo, exec_lo, s17
	s_and_saveexec_b32 s17, s9
	s_cbranch_execz .LBB189_209
.LBB189_268:
	v_sub_nc_u32_e32 v14, v33, v2
	v_mov_b32_e32 v15, 0
	s_delay_alu instid0(VALU_DEP_1) | instskip(NEXT) | instid1(VALU_DEP_1)
	v_lshlrev_b64 v[14:15], 2, v[14:15]
	v_add_co_u32 v14, vcc_lo, v12, v14
	s_delay_alu instid0(VALU_DEP_2)
	v_add_co_ci_u32_e32 v15, vcc_lo, v13, v15, vcc_lo
	global_store_b32 v[14:15], v64, off
	s_or_b32 exec_lo, exec_lo, s17
	s_and_saveexec_b32 s17, s8
	s_cbranch_execz .LBB189_210
.LBB189_269:
	v_sub_nc_u32_e32 v14, v32, v2
	v_mov_b32_e32 v15, 0
	s_delay_alu instid0(VALU_DEP_1) | instskip(NEXT) | instid1(VALU_DEP_1)
	v_lshlrev_b64 v[14:15], 2, v[14:15]
	v_add_co_u32 v14, vcc_lo, v12, v14
	s_delay_alu instid0(VALU_DEP_2)
	v_add_co_ci_u32_e32 v15, vcc_lo, v13, v15, vcc_lo
	global_store_b32 v[14:15], v63, off
	s_or_b32 exec_lo, exec_lo, s17
	s_and_saveexec_b32 s17, s7
	s_cbranch_execz .LBB189_211
.LBB189_270:
	v_sub_nc_u32_e32 v14, v31, v2
	v_mov_b32_e32 v15, 0
	s_delay_alu instid0(VALU_DEP_1) | instskip(NEXT) | instid1(VALU_DEP_1)
	v_lshlrev_b64 v[14:15], 2, v[14:15]
	v_add_co_u32 v14, vcc_lo, v12, v14
	s_delay_alu instid0(VALU_DEP_2)
	v_add_co_ci_u32_e32 v15, vcc_lo, v13, v15, vcc_lo
	global_store_b32 v[14:15], v62, off
	s_or_b32 exec_lo, exec_lo, s17
	s_and_saveexec_b32 s17, s6
	s_cbranch_execz .LBB189_212
.LBB189_271:
	v_sub_nc_u32_e32 v14, v30, v2
	v_mov_b32_e32 v15, 0
	s_delay_alu instid0(VALU_DEP_1) | instskip(NEXT) | instid1(VALU_DEP_1)
	v_lshlrev_b64 v[14:15], 2, v[14:15]
	v_add_co_u32 v14, vcc_lo, v12, v14
	s_delay_alu instid0(VALU_DEP_2)
	v_add_co_ci_u32_e32 v15, vcc_lo, v13, v15, vcc_lo
	global_store_b32 v[14:15], v61, off
	s_or_b32 exec_lo, exec_lo, s17
	s_and_saveexec_b32 s17, s5
	s_cbranch_execz .LBB189_213
.LBB189_272:
	v_sub_nc_u32_e32 v14, v29, v2
	v_mov_b32_e32 v15, 0
	s_delay_alu instid0(VALU_DEP_1) | instskip(NEXT) | instid1(VALU_DEP_1)
	v_lshlrev_b64 v[14:15], 2, v[14:15]
	v_add_co_u32 v14, vcc_lo, v12, v14
	s_delay_alu instid0(VALU_DEP_2)
	v_add_co_ci_u32_e32 v15, vcc_lo, v13, v15, vcc_lo
	global_store_b32 v[14:15], v42, off
	s_or_b32 exec_lo, exec_lo, s17
	s_and_saveexec_b32 s17, s4
	s_cbranch_execz .LBB189_214
.LBB189_273:
	v_sub_nc_u32_e32 v14, v28, v2
	v_mov_b32_e32 v15, 0
	s_delay_alu instid0(VALU_DEP_1) | instskip(NEXT) | instid1(VALU_DEP_1)
	v_lshlrev_b64 v[14:15], 2, v[14:15]
	v_add_co_u32 v14, vcc_lo, v12, v14
	s_delay_alu instid0(VALU_DEP_2)
	v_add_co_ci_u32_e32 v15, vcc_lo, v13, v15, vcc_lo
	global_store_b32 v[14:15], v41, off
	s_or_b32 exec_lo, exec_lo, s17
	s_and_saveexec_b32 s17, s3
	s_cbranch_execz .LBB189_215
.LBB189_274:
	v_sub_nc_u32_e32 v14, v27, v2
	v_mov_b32_e32 v15, 0
	s_delay_alu instid0(VALU_DEP_1) | instskip(NEXT) | instid1(VALU_DEP_1)
	v_lshlrev_b64 v[14:15], 2, v[14:15]
	v_add_co_u32 v14, vcc_lo, v12, v14
	s_delay_alu instid0(VALU_DEP_2)
	v_add_co_ci_u32_e32 v15, vcc_lo, v13, v15, vcc_lo
	global_store_b32 v[14:15], v39, off
	s_or_b32 exec_lo, exec_lo, s17
	s_and_saveexec_b32 s17, s2
	s_cbranch_execz .LBB189_216
.LBB189_275:
	v_sub_nc_u32_e32 v14, v26, v2
	v_mov_b32_e32 v15, 0
	s_delay_alu instid0(VALU_DEP_1) | instskip(NEXT) | instid1(VALU_DEP_1)
	v_lshlrev_b64 v[14:15], 2, v[14:15]
	v_add_co_u32 v14, vcc_lo, v12, v14
	s_delay_alu instid0(VALU_DEP_2)
	v_add_co_ci_u32_e32 v15, vcc_lo, v13, v15, vcc_lo
	global_store_b32 v[14:15], v40, off
	s_or_b32 exec_lo, exec_lo, s17
	s_and_saveexec_b32 s17, s1
	s_cbranch_execnz .LBB189_217
	s_branch .LBB189_218
.LBB189_276:
	v_sub_nc_u32_e32 v3, v4, v2
	s_delay_alu instid0(VALU_DEP_1)
	v_lshlrev_b32_e32 v3, 2, v3
	ds_store_b32 v3, v69
	s_or_b32 exec_lo, exec_lo, s17
	s_and_saveexec_b32 s14, s13
	s_cbranch_execz .LBB189_222
.LBB189_277:
	v_sub_nc_u32_e32 v3, v35, v2
	s_delay_alu instid0(VALU_DEP_1)
	v_lshlrev_b32_e32 v3, 2, v3
	ds_store_b32 v3, v68
	s_or_b32 exec_lo, exec_lo, s14
	s_and_saveexec_b32 s13, s12
	s_cbranch_execz .LBB189_223
.LBB189_278:
	v_sub_nc_u32_e32 v3, v59, v2
	s_delay_alu instid0(VALU_DEP_1)
	v_lshlrev_b32_e32 v3, 2, v3
	ds_store_b32 v3, v67
	s_or_b32 exec_lo, exec_lo, s13
	s_and_saveexec_b32 s12, s11
	s_cbranch_execz .LBB189_224
.LBB189_279:
	v_sub_nc_u32_e32 v3, v36, v2
	s_delay_alu instid0(VALU_DEP_1)
	v_lshlrev_b32_e32 v3, 2, v3
	ds_store_b32 v3, v66
	s_or_b32 exec_lo, exec_lo, s12
	s_and_saveexec_b32 s11, s10
	s_cbranch_execz .LBB189_225
.LBB189_280:
	v_sub_nc_u32_e32 v3, v34, v2
	s_delay_alu instid0(VALU_DEP_1)
	v_lshlrev_b32_e32 v3, 2, v3
	ds_store_b32 v3, v65
	s_or_b32 exec_lo, exec_lo, s11
	s_and_saveexec_b32 s10, s9
	s_cbranch_execz .LBB189_226
.LBB189_281:
	v_sub_nc_u32_e32 v3, v33, v2
	s_delay_alu instid0(VALU_DEP_1)
	v_lshlrev_b32_e32 v3, 2, v3
	ds_store_b32 v3, v64
	s_or_b32 exec_lo, exec_lo, s10
	s_and_saveexec_b32 s9, s8
	s_cbranch_execz .LBB189_227
.LBB189_282:
	v_sub_nc_u32_e32 v3, v32, v2
	s_delay_alu instid0(VALU_DEP_1)
	v_lshlrev_b32_e32 v3, 2, v3
	ds_store_b32 v3, v63
	s_or_b32 exec_lo, exec_lo, s9
	s_and_saveexec_b32 s8, s7
	s_cbranch_execz .LBB189_228
.LBB189_283:
	v_sub_nc_u32_e32 v3, v31, v2
	s_delay_alu instid0(VALU_DEP_1)
	v_lshlrev_b32_e32 v3, 2, v3
	ds_store_b32 v3, v62
	s_or_b32 exec_lo, exec_lo, s8
	s_and_saveexec_b32 s7, s6
	s_cbranch_execz .LBB189_229
.LBB189_284:
	v_sub_nc_u32_e32 v3, v30, v2
	s_delay_alu instid0(VALU_DEP_1)
	v_lshlrev_b32_e32 v3, 2, v3
	ds_store_b32 v3, v61
	s_or_b32 exec_lo, exec_lo, s7
	s_and_saveexec_b32 s6, s5
	s_cbranch_execz .LBB189_230
.LBB189_285:
	v_sub_nc_u32_e32 v3, v29, v2
	s_delay_alu instid0(VALU_DEP_1)
	v_lshlrev_b32_e32 v3, 2, v3
	ds_store_b32 v3, v42
	s_or_b32 exec_lo, exec_lo, s6
	s_and_saveexec_b32 s5, s4
	s_cbranch_execz .LBB189_231
.LBB189_286:
	v_sub_nc_u32_e32 v3, v28, v2
	s_delay_alu instid0(VALU_DEP_1)
	v_lshlrev_b32_e32 v3, 2, v3
	ds_store_b32 v3, v41
	s_or_b32 exec_lo, exec_lo, s5
	s_and_saveexec_b32 s4, s3
	s_cbranch_execz .LBB189_232
.LBB189_287:
	v_sub_nc_u32_e32 v3, v27, v2
	s_delay_alu instid0(VALU_DEP_1)
	v_lshlrev_b32_e32 v3, 2, v3
	ds_store_b32 v3, v39
	s_or_b32 exec_lo, exec_lo, s4
	s_and_saveexec_b32 s3, s2
	s_cbranch_execz .LBB189_233
.LBB189_288:
	v_sub_nc_u32_e32 v3, v26, v2
	s_delay_alu instid0(VALU_DEP_1)
	v_lshlrev_b32_e32 v3, 2, v3
	ds_store_b32 v3, v40
	s_or_b32 exec_lo, exec_lo, s3
	s_and_saveexec_b32 s2, s1
	s_cbranch_execnz .LBB189_234
	s_branch .LBB189_235
	.section	.rodata,"a",@progbits
	.p2align	6, 0x0
	.amdhsa_kernel _ZN7rocprim17ROCPRIM_400000_NS6detail17trampoline_kernelINS0_14default_configENS1_29reduce_by_key_config_selectorIffN6thrust23THRUST_200600_302600_NS4plusIfEEEEZZNS1_33reduce_by_key_impl_wrapped_configILNS1_25lookback_scan_determinismE0ES3_S9_NS6_6detail15normal_iteratorINS6_10device_ptrIfEEEESG_SG_SG_PmS8_NS6_8equal_toIfEEEE10hipError_tPvRmT2_T3_mT4_T5_T6_T7_T8_P12ihipStream_tbENKUlT_T0_E_clISt17integral_constantIbLb1EES10_IbLb0EEEEDaSW_SX_EUlSW_E_NS1_11comp_targetILNS1_3genE9ELNS1_11target_archE1100ELNS1_3gpuE3ELNS1_3repE0EEENS1_30default_config_static_selectorELNS0_4arch9wavefront6targetE0EEEvT1_
		.amdhsa_group_segment_fixed_size 15360
		.amdhsa_private_segment_fixed_size 0
		.amdhsa_kernarg_size 120
		.amdhsa_user_sgpr_count 15
		.amdhsa_user_sgpr_dispatch_ptr 0
		.amdhsa_user_sgpr_queue_ptr 0
		.amdhsa_user_sgpr_kernarg_segment_ptr 1
		.amdhsa_user_sgpr_dispatch_id 0
		.amdhsa_user_sgpr_private_segment_size 0
		.amdhsa_wavefront_size32 1
		.amdhsa_uses_dynamic_stack 0
		.amdhsa_enable_private_segment 0
		.amdhsa_system_sgpr_workgroup_id_x 1
		.amdhsa_system_sgpr_workgroup_id_y 0
		.amdhsa_system_sgpr_workgroup_id_z 0
		.amdhsa_system_sgpr_workgroup_info 0
		.amdhsa_system_vgpr_workitem_id 0
		.amdhsa_next_free_vgpr 85
		.amdhsa_next_free_sgpr 48
		.amdhsa_reserve_vcc 1
		.amdhsa_float_round_mode_32 0
		.amdhsa_float_round_mode_16_64 0
		.amdhsa_float_denorm_mode_32 3
		.amdhsa_float_denorm_mode_16_64 3
		.amdhsa_dx10_clamp 1
		.amdhsa_ieee_mode 1
		.amdhsa_fp16_overflow 0
		.amdhsa_workgroup_processor_mode 1
		.amdhsa_memory_ordered 1
		.amdhsa_forward_progress 0
		.amdhsa_shared_vgpr_count 0
		.amdhsa_exception_fp_ieee_invalid_op 0
		.amdhsa_exception_fp_denorm_src 0
		.amdhsa_exception_fp_ieee_div_zero 0
		.amdhsa_exception_fp_ieee_overflow 0
		.amdhsa_exception_fp_ieee_underflow 0
		.amdhsa_exception_fp_ieee_inexact 0
		.amdhsa_exception_int_div_zero 0
	.end_amdhsa_kernel
	.section	.text._ZN7rocprim17ROCPRIM_400000_NS6detail17trampoline_kernelINS0_14default_configENS1_29reduce_by_key_config_selectorIffN6thrust23THRUST_200600_302600_NS4plusIfEEEEZZNS1_33reduce_by_key_impl_wrapped_configILNS1_25lookback_scan_determinismE0ES3_S9_NS6_6detail15normal_iteratorINS6_10device_ptrIfEEEESG_SG_SG_PmS8_NS6_8equal_toIfEEEE10hipError_tPvRmT2_T3_mT4_T5_T6_T7_T8_P12ihipStream_tbENKUlT_T0_E_clISt17integral_constantIbLb1EES10_IbLb0EEEEDaSW_SX_EUlSW_E_NS1_11comp_targetILNS1_3genE9ELNS1_11target_archE1100ELNS1_3gpuE3ELNS1_3repE0EEENS1_30default_config_static_selectorELNS0_4arch9wavefront6targetE0EEEvT1_,"axG",@progbits,_ZN7rocprim17ROCPRIM_400000_NS6detail17trampoline_kernelINS0_14default_configENS1_29reduce_by_key_config_selectorIffN6thrust23THRUST_200600_302600_NS4plusIfEEEEZZNS1_33reduce_by_key_impl_wrapped_configILNS1_25lookback_scan_determinismE0ES3_S9_NS6_6detail15normal_iteratorINS6_10device_ptrIfEEEESG_SG_SG_PmS8_NS6_8equal_toIfEEEE10hipError_tPvRmT2_T3_mT4_T5_T6_T7_T8_P12ihipStream_tbENKUlT_T0_E_clISt17integral_constantIbLb1EES10_IbLb0EEEEDaSW_SX_EUlSW_E_NS1_11comp_targetILNS1_3genE9ELNS1_11target_archE1100ELNS1_3gpuE3ELNS1_3repE0EEENS1_30default_config_static_selectorELNS0_4arch9wavefront6targetE0EEEvT1_,comdat
.Lfunc_end189:
	.size	_ZN7rocprim17ROCPRIM_400000_NS6detail17trampoline_kernelINS0_14default_configENS1_29reduce_by_key_config_selectorIffN6thrust23THRUST_200600_302600_NS4plusIfEEEEZZNS1_33reduce_by_key_impl_wrapped_configILNS1_25lookback_scan_determinismE0ES3_S9_NS6_6detail15normal_iteratorINS6_10device_ptrIfEEEESG_SG_SG_PmS8_NS6_8equal_toIfEEEE10hipError_tPvRmT2_T3_mT4_T5_T6_T7_T8_P12ihipStream_tbENKUlT_T0_E_clISt17integral_constantIbLb1EES10_IbLb0EEEEDaSW_SX_EUlSW_E_NS1_11comp_targetILNS1_3genE9ELNS1_11target_archE1100ELNS1_3gpuE3ELNS1_3repE0EEENS1_30default_config_static_selectorELNS0_4arch9wavefront6targetE0EEEvT1_, .Lfunc_end189-_ZN7rocprim17ROCPRIM_400000_NS6detail17trampoline_kernelINS0_14default_configENS1_29reduce_by_key_config_selectorIffN6thrust23THRUST_200600_302600_NS4plusIfEEEEZZNS1_33reduce_by_key_impl_wrapped_configILNS1_25lookback_scan_determinismE0ES3_S9_NS6_6detail15normal_iteratorINS6_10device_ptrIfEEEESG_SG_SG_PmS8_NS6_8equal_toIfEEEE10hipError_tPvRmT2_T3_mT4_T5_T6_T7_T8_P12ihipStream_tbENKUlT_T0_E_clISt17integral_constantIbLb1EES10_IbLb0EEEEDaSW_SX_EUlSW_E_NS1_11comp_targetILNS1_3genE9ELNS1_11target_archE1100ELNS1_3gpuE3ELNS1_3repE0EEENS1_30default_config_static_selectorELNS0_4arch9wavefront6targetE0EEEvT1_
                                        ; -- End function
	.section	.AMDGPU.csdata,"",@progbits
; Kernel info:
; codeLenInByte = 17628
; NumSgprs: 50
; NumVgprs: 85
; ScratchSize: 0
; MemoryBound: 0
; FloatMode: 240
; IeeeMode: 1
; LDSByteSize: 15360 bytes/workgroup (compile time only)
; SGPRBlocks: 6
; VGPRBlocks: 10
; NumSGPRsForWavesPerEU: 50
; NumVGPRsForWavesPerEU: 85
; Occupancy: 16
; WaveLimiterHint : 1
; COMPUTE_PGM_RSRC2:SCRATCH_EN: 0
; COMPUTE_PGM_RSRC2:USER_SGPR: 15
; COMPUTE_PGM_RSRC2:TRAP_HANDLER: 0
; COMPUTE_PGM_RSRC2:TGID_X_EN: 1
; COMPUTE_PGM_RSRC2:TGID_Y_EN: 0
; COMPUTE_PGM_RSRC2:TGID_Z_EN: 0
; COMPUTE_PGM_RSRC2:TIDIG_COMP_CNT: 0
	.section	.text._ZN7rocprim17ROCPRIM_400000_NS6detail17trampoline_kernelINS0_14default_configENS1_29reduce_by_key_config_selectorIffN6thrust23THRUST_200600_302600_NS4plusIfEEEEZZNS1_33reduce_by_key_impl_wrapped_configILNS1_25lookback_scan_determinismE0ES3_S9_NS6_6detail15normal_iteratorINS6_10device_ptrIfEEEESG_SG_SG_PmS8_NS6_8equal_toIfEEEE10hipError_tPvRmT2_T3_mT4_T5_T6_T7_T8_P12ihipStream_tbENKUlT_T0_E_clISt17integral_constantIbLb1EES10_IbLb0EEEEDaSW_SX_EUlSW_E_NS1_11comp_targetILNS1_3genE8ELNS1_11target_archE1030ELNS1_3gpuE2ELNS1_3repE0EEENS1_30default_config_static_selectorELNS0_4arch9wavefront6targetE0EEEvT1_,"axG",@progbits,_ZN7rocprim17ROCPRIM_400000_NS6detail17trampoline_kernelINS0_14default_configENS1_29reduce_by_key_config_selectorIffN6thrust23THRUST_200600_302600_NS4plusIfEEEEZZNS1_33reduce_by_key_impl_wrapped_configILNS1_25lookback_scan_determinismE0ES3_S9_NS6_6detail15normal_iteratorINS6_10device_ptrIfEEEESG_SG_SG_PmS8_NS6_8equal_toIfEEEE10hipError_tPvRmT2_T3_mT4_T5_T6_T7_T8_P12ihipStream_tbENKUlT_T0_E_clISt17integral_constantIbLb1EES10_IbLb0EEEEDaSW_SX_EUlSW_E_NS1_11comp_targetILNS1_3genE8ELNS1_11target_archE1030ELNS1_3gpuE2ELNS1_3repE0EEENS1_30default_config_static_selectorELNS0_4arch9wavefront6targetE0EEEvT1_,comdat
	.protected	_ZN7rocprim17ROCPRIM_400000_NS6detail17trampoline_kernelINS0_14default_configENS1_29reduce_by_key_config_selectorIffN6thrust23THRUST_200600_302600_NS4plusIfEEEEZZNS1_33reduce_by_key_impl_wrapped_configILNS1_25lookback_scan_determinismE0ES3_S9_NS6_6detail15normal_iteratorINS6_10device_ptrIfEEEESG_SG_SG_PmS8_NS6_8equal_toIfEEEE10hipError_tPvRmT2_T3_mT4_T5_T6_T7_T8_P12ihipStream_tbENKUlT_T0_E_clISt17integral_constantIbLb1EES10_IbLb0EEEEDaSW_SX_EUlSW_E_NS1_11comp_targetILNS1_3genE8ELNS1_11target_archE1030ELNS1_3gpuE2ELNS1_3repE0EEENS1_30default_config_static_selectorELNS0_4arch9wavefront6targetE0EEEvT1_ ; -- Begin function _ZN7rocprim17ROCPRIM_400000_NS6detail17trampoline_kernelINS0_14default_configENS1_29reduce_by_key_config_selectorIffN6thrust23THRUST_200600_302600_NS4plusIfEEEEZZNS1_33reduce_by_key_impl_wrapped_configILNS1_25lookback_scan_determinismE0ES3_S9_NS6_6detail15normal_iteratorINS6_10device_ptrIfEEEESG_SG_SG_PmS8_NS6_8equal_toIfEEEE10hipError_tPvRmT2_T3_mT4_T5_T6_T7_T8_P12ihipStream_tbENKUlT_T0_E_clISt17integral_constantIbLb1EES10_IbLb0EEEEDaSW_SX_EUlSW_E_NS1_11comp_targetILNS1_3genE8ELNS1_11target_archE1030ELNS1_3gpuE2ELNS1_3repE0EEENS1_30default_config_static_selectorELNS0_4arch9wavefront6targetE0EEEvT1_
	.globl	_ZN7rocprim17ROCPRIM_400000_NS6detail17trampoline_kernelINS0_14default_configENS1_29reduce_by_key_config_selectorIffN6thrust23THRUST_200600_302600_NS4plusIfEEEEZZNS1_33reduce_by_key_impl_wrapped_configILNS1_25lookback_scan_determinismE0ES3_S9_NS6_6detail15normal_iteratorINS6_10device_ptrIfEEEESG_SG_SG_PmS8_NS6_8equal_toIfEEEE10hipError_tPvRmT2_T3_mT4_T5_T6_T7_T8_P12ihipStream_tbENKUlT_T0_E_clISt17integral_constantIbLb1EES10_IbLb0EEEEDaSW_SX_EUlSW_E_NS1_11comp_targetILNS1_3genE8ELNS1_11target_archE1030ELNS1_3gpuE2ELNS1_3repE0EEENS1_30default_config_static_selectorELNS0_4arch9wavefront6targetE0EEEvT1_
	.p2align	8
	.type	_ZN7rocprim17ROCPRIM_400000_NS6detail17trampoline_kernelINS0_14default_configENS1_29reduce_by_key_config_selectorIffN6thrust23THRUST_200600_302600_NS4plusIfEEEEZZNS1_33reduce_by_key_impl_wrapped_configILNS1_25lookback_scan_determinismE0ES3_S9_NS6_6detail15normal_iteratorINS6_10device_ptrIfEEEESG_SG_SG_PmS8_NS6_8equal_toIfEEEE10hipError_tPvRmT2_T3_mT4_T5_T6_T7_T8_P12ihipStream_tbENKUlT_T0_E_clISt17integral_constantIbLb1EES10_IbLb0EEEEDaSW_SX_EUlSW_E_NS1_11comp_targetILNS1_3genE8ELNS1_11target_archE1030ELNS1_3gpuE2ELNS1_3repE0EEENS1_30default_config_static_selectorELNS0_4arch9wavefront6targetE0EEEvT1_,@function
_ZN7rocprim17ROCPRIM_400000_NS6detail17trampoline_kernelINS0_14default_configENS1_29reduce_by_key_config_selectorIffN6thrust23THRUST_200600_302600_NS4plusIfEEEEZZNS1_33reduce_by_key_impl_wrapped_configILNS1_25lookback_scan_determinismE0ES3_S9_NS6_6detail15normal_iteratorINS6_10device_ptrIfEEEESG_SG_SG_PmS8_NS6_8equal_toIfEEEE10hipError_tPvRmT2_T3_mT4_T5_T6_T7_T8_P12ihipStream_tbENKUlT_T0_E_clISt17integral_constantIbLb1EES10_IbLb0EEEEDaSW_SX_EUlSW_E_NS1_11comp_targetILNS1_3genE8ELNS1_11target_archE1030ELNS1_3gpuE2ELNS1_3repE0EEENS1_30default_config_static_selectorELNS0_4arch9wavefront6targetE0EEEvT1_: ; @_ZN7rocprim17ROCPRIM_400000_NS6detail17trampoline_kernelINS0_14default_configENS1_29reduce_by_key_config_selectorIffN6thrust23THRUST_200600_302600_NS4plusIfEEEEZZNS1_33reduce_by_key_impl_wrapped_configILNS1_25lookback_scan_determinismE0ES3_S9_NS6_6detail15normal_iteratorINS6_10device_ptrIfEEEESG_SG_SG_PmS8_NS6_8equal_toIfEEEE10hipError_tPvRmT2_T3_mT4_T5_T6_T7_T8_P12ihipStream_tbENKUlT_T0_E_clISt17integral_constantIbLb1EES10_IbLb0EEEEDaSW_SX_EUlSW_E_NS1_11comp_targetILNS1_3genE8ELNS1_11target_archE1030ELNS1_3gpuE2ELNS1_3repE0EEENS1_30default_config_static_selectorELNS0_4arch9wavefront6targetE0EEEvT1_
; %bb.0:
	.section	.rodata,"a",@progbits
	.p2align	6, 0x0
	.amdhsa_kernel _ZN7rocprim17ROCPRIM_400000_NS6detail17trampoline_kernelINS0_14default_configENS1_29reduce_by_key_config_selectorIffN6thrust23THRUST_200600_302600_NS4plusIfEEEEZZNS1_33reduce_by_key_impl_wrapped_configILNS1_25lookback_scan_determinismE0ES3_S9_NS6_6detail15normal_iteratorINS6_10device_ptrIfEEEESG_SG_SG_PmS8_NS6_8equal_toIfEEEE10hipError_tPvRmT2_T3_mT4_T5_T6_T7_T8_P12ihipStream_tbENKUlT_T0_E_clISt17integral_constantIbLb1EES10_IbLb0EEEEDaSW_SX_EUlSW_E_NS1_11comp_targetILNS1_3genE8ELNS1_11target_archE1030ELNS1_3gpuE2ELNS1_3repE0EEENS1_30default_config_static_selectorELNS0_4arch9wavefront6targetE0EEEvT1_
		.amdhsa_group_segment_fixed_size 0
		.amdhsa_private_segment_fixed_size 0
		.amdhsa_kernarg_size 120
		.amdhsa_user_sgpr_count 15
		.amdhsa_user_sgpr_dispatch_ptr 0
		.amdhsa_user_sgpr_queue_ptr 0
		.amdhsa_user_sgpr_kernarg_segment_ptr 1
		.amdhsa_user_sgpr_dispatch_id 0
		.amdhsa_user_sgpr_private_segment_size 0
		.amdhsa_wavefront_size32 1
		.amdhsa_uses_dynamic_stack 0
		.amdhsa_enable_private_segment 0
		.amdhsa_system_sgpr_workgroup_id_x 1
		.amdhsa_system_sgpr_workgroup_id_y 0
		.amdhsa_system_sgpr_workgroup_id_z 0
		.amdhsa_system_sgpr_workgroup_info 0
		.amdhsa_system_vgpr_workitem_id 0
		.amdhsa_next_free_vgpr 1
		.amdhsa_next_free_sgpr 1
		.amdhsa_reserve_vcc 0
		.amdhsa_float_round_mode_32 0
		.amdhsa_float_round_mode_16_64 0
		.amdhsa_float_denorm_mode_32 3
		.amdhsa_float_denorm_mode_16_64 3
		.amdhsa_dx10_clamp 1
		.amdhsa_ieee_mode 1
		.amdhsa_fp16_overflow 0
		.amdhsa_workgroup_processor_mode 1
		.amdhsa_memory_ordered 1
		.amdhsa_forward_progress 0
		.amdhsa_shared_vgpr_count 0
		.amdhsa_exception_fp_ieee_invalid_op 0
		.amdhsa_exception_fp_denorm_src 0
		.amdhsa_exception_fp_ieee_div_zero 0
		.amdhsa_exception_fp_ieee_overflow 0
		.amdhsa_exception_fp_ieee_underflow 0
		.amdhsa_exception_fp_ieee_inexact 0
		.amdhsa_exception_int_div_zero 0
	.end_amdhsa_kernel
	.section	.text._ZN7rocprim17ROCPRIM_400000_NS6detail17trampoline_kernelINS0_14default_configENS1_29reduce_by_key_config_selectorIffN6thrust23THRUST_200600_302600_NS4plusIfEEEEZZNS1_33reduce_by_key_impl_wrapped_configILNS1_25lookback_scan_determinismE0ES3_S9_NS6_6detail15normal_iteratorINS6_10device_ptrIfEEEESG_SG_SG_PmS8_NS6_8equal_toIfEEEE10hipError_tPvRmT2_T3_mT4_T5_T6_T7_T8_P12ihipStream_tbENKUlT_T0_E_clISt17integral_constantIbLb1EES10_IbLb0EEEEDaSW_SX_EUlSW_E_NS1_11comp_targetILNS1_3genE8ELNS1_11target_archE1030ELNS1_3gpuE2ELNS1_3repE0EEENS1_30default_config_static_selectorELNS0_4arch9wavefront6targetE0EEEvT1_,"axG",@progbits,_ZN7rocprim17ROCPRIM_400000_NS6detail17trampoline_kernelINS0_14default_configENS1_29reduce_by_key_config_selectorIffN6thrust23THRUST_200600_302600_NS4plusIfEEEEZZNS1_33reduce_by_key_impl_wrapped_configILNS1_25lookback_scan_determinismE0ES3_S9_NS6_6detail15normal_iteratorINS6_10device_ptrIfEEEESG_SG_SG_PmS8_NS6_8equal_toIfEEEE10hipError_tPvRmT2_T3_mT4_T5_T6_T7_T8_P12ihipStream_tbENKUlT_T0_E_clISt17integral_constantIbLb1EES10_IbLb0EEEEDaSW_SX_EUlSW_E_NS1_11comp_targetILNS1_3genE8ELNS1_11target_archE1030ELNS1_3gpuE2ELNS1_3repE0EEENS1_30default_config_static_selectorELNS0_4arch9wavefront6targetE0EEEvT1_,comdat
.Lfunc_end190:
	.size	_ZN7rocprim17ROCPRIM_400000_NS6detail17trampoline_kernelINS0_14default_configENS1_29reduce_by_key_config_selectorIffN6thrust23THRUST_200600_302600_NS4plusIfEEEEZZNS1_33reduce_by_key_impl_wrapped_configILNS1_25lookback_scan_determinismE0ES3_S9_NS6_6detail15normal_iteratorINS6_10device_ptrIfEEEESG_SG_SG_PmS8_NS6_8equal_toIfEEEE10hipError_tPvRmT2_T3_mT4_T5_T6_T7_T8_P12ihipStream_tbENKUlT_T0_E_clISt17integral_constantIbLb1EES10_IbLb0EEEEDaSW_SX_EUlSW_E_NS1_11comp_targetILNS1_3genE8ELNS1_11target_archE1030ELNS1_3gpuE2ELNS1_3repE0EEENS1_30default_config_static_selectorELNS0_4arch9wavefront6targetE0EEEvT1_, .Lfunc_end190-_ZN7rocprim17ROCPRIM_400000_NS6detail17trampoline_kernelINS0_14default_configENS1_29reduce_by_key_config_selectorIffN6thrust23THRUST_200600_302600_NS4plusIfEEEEZZNS1_33reduce_by_key_impl_wrapped_configILNS1_25lookback_scan_determinismE0ES3_S9_NS6_6detail15normal_iteratorINS6_10device_ptrIfEEEESG_SG_SG_PmS8_NS6_8equal_toIfEEEE10hipError_tPvRmT2_T3_mT4_T5_T6_T7_T8_P12ihipStream_tbENKUlT_T0_E_clISt17integral_constantIbLb1EES10_IbLb0EEEEDaSW_SX_EUlSW_E_NS1_11comp_targetILNS1_3genE8ELNS1_11target_archE1030ELNS1_3gpuE2ELNS1_3repE0EEENS1_30default_config_static_selectorELNS0_4arch9wavefront6targetE0EEEvT1_
                                        ; -- End function
	.section	.AMDGPU.csdata,"",@progbits
; Kernel info:
; codeLenInByte = 0
; NumSgprs: 0
; NumVgprs: 0
; ScratchSize: 0
; MemoryBound: 0
; FloatMode: 240
; IeeeMode: 1
; LDSByteSize: 0 bytes/workgroup (compile time only)
; SGPRBlocks: 0
; VGPRBlocks: 0
; NumSGPRsForWavesPerEU: 1
; NumVGPRsForWavesPerEU: 1
; Occupancy: 16
; WaveLimiterHint : 0
; COMPUTE_PGM_RSRC2:SCRATCH_EN: 0
; COMPUTE_PGM_RSRC2:USER_SGPR: 15
; COMPUTE_PGM_RSRC2:TRAP_HANDLER: 0
; COMPUTE_PGM_RSRC2:TGID_X_EN: 1
; COMPUTE_PGM_RSRC2:TGID_Y_EN: 0
; COMPUTE_PGM_RSRC2:TGID_Z_EN: 0
; COMPUTE_PGM_RSRC2:TIDIG_COMP_CNT: 0
	.section	.text._ZN7rocprim17ROCPRIM_400000_NS6detail17trampoline_kernelINS0_14default_configENS1_29reduce_by_key_config_selectorIffN6thrust23THRUST_200600_302600_NS4plusIfEEEEZZNS1_33reduce_by_key_impl_wrapped_configILNS1_25lookback_scan_determinismE0ES3_S9_NS6_6detail15normal_iteratorINS6_10device_ptrIfEEEESG_SG_SG_PmS8_NS6_8equal_toIfEEEE10hipError_tPvRmT2_T3_mT4_T5_T6_T7_T8_P12ihipStream_tbENKUlT_T0_E_clISt17integral_constantIbLb0EES10_IbLb1EEEEDaSW_SX_EUlSW_E_NS1_11comp_targetILNS1_3genE0ELNS1_11target_archE4294967295ELNS1_3gpuE0ELNS1_3repE0EEENS1_30default_config_static_selectorELNS0_4arch9wavefront6targetE0EEEvT1_,"axG",@progbits,_ZN7rocprim17ROCPRIM_400000_NS6detail17trampoline_kernelINS0_14default_configENS1_29reduce_by_key_config_selectorIffN6thrust23THRUST_200600_302600_NS4plusIfEEEEZZNS1_33reduce_by_key_impl_wrapped_configILNS1_25lookback_scan_determinismE0ES3_S9_NS6_6detail15normal_iteratorINS6_10device_ptrIfEEEESG_SG_SG_PmS8_NS6_8equal_toIfEEEE10hipError_tPvRmT2_T3_mT4_T5_T6_T7_T8_P12ihipStream_tbENKUlT_T0_E_clISt17integral_constantIbLb0EES10_IbLb1EEEEDaSW_SX_EUlSW_E_NS1_11comp_targetILNS1_3genE0ELNS1_11target_archE4294967295ELNS1_3gpuE0ELNS1_3repE0EEENS1_30default_config_static_selectorELNS0_4arch9wavefront6targetE0EEEvT1_,comdat
	.protected	_ZN7rocprim17ROCPRIM_400000_NS6detail17trampoline_kernelINS0_14default_configENS1_29reduce_by_key_config_selectorIffN6thrust23THRUST_200600_302600_NS4plusIfEEEEZZNS1_33reduce_by_key_impl_wrapped_configILNS1_25lookback_scan_determinismE0ES3_S9_NS6_6detail15normal_iteratorINS6_10device_ptrIfEEEESG_SG_SG_PmS8_NS6_8equal_toIfEEEE10hipError_tPvRmT2_T3_mT4_T5_T6_T7_T8_P12ihipStream_tbENKUlT_T0_E_clISt17integral_constantIbLb0EES10_IbLb1EEEEDaSW_SX_EUlSW_E_NS1_11comp_targetILNS1_3genE0ELNS1_11target_archE4294967295ELNS1_3gpuE0ELNS1_3repE0EEENS1_30default_config_static_selectorELNS0_4arch9wavefront6targetE0EEEvT1_ ; -- Begin function _ZN7rocprim17ROCPRIM_400000_NS6detail17trampoline_kernelINS0_14default_configENS1_29reduce_by_key_config_selectorIffN6thrust23THRUST_200600_302600_NS4plusIfEEEEZZNS1_33reduce_by_key_impl_wrapped_configILNS1_25lookback_scan_determinismE0ES3_S9_NS6_6detail15normal_iteratorINS6_10device_ptrIfEEEESG_SG_SG_PmS8_NS6_8equal_toIfEEEE10hipError_tPvRmT2_T3_mT4_T5_T6_T7_T8_P12ihipStream_tbENKUlT_T0_E_clISt17integral_constantIbLb0EES10_IbLb1EEEEDaSW_SX_EUlSW_E_NS1_11comp_targetILNS1_3genE0ELNS1_11target_archE4294967295ELNS1_3gpuE0ELNS1_3repE0EEENS1_30default_config_static_selectorELNS0_4arch9wavefront6targetE0EEEvT1_
	.globl	_ZN7rocprim17ROCPRIM_400000_NS6detail17trampoline_kernelINS0_14default_configENS1_29reduce_by_key_config_selectorIffN6thrust23THRUST_200600_302600_NS4plusIfEEEEZZNS1_33reduce_by_key_impl_wrapped_configILNS1_25lookback_scan_determinismE0ES3_S9_NS6_6detail15normal_iteratorINS6_10device_ptrIfEEEESG_SG_SG_PmS8_NS6_8equal_toIfEEEE10hipError_tPvRmT2_T3_mT4_T5_T6_T7_T8_P12ihipStream_tbENKUlT_T0_E_clISt17integral_constantIbLb0EES10_IbLb1EEEEDaSW_SX_EUlSW_E_NS1_11comp_targetILNS1_3genE0ELNS1_11target_archE4294967295ELNS1_3gpuE0ELNS1_3repE0EEENS1_30default_config_static_selectorELNS0_4arch9wavefront6targetE0EEEvT1_
	.p2align	8
	.type	_ZN7rocprim17ROCPRIM_400000_NS6detail17trampoline_kernelINS0_14default_configENS1_29reduce_by_key_config_selectorIffN6thrust23THRUST_200600_302600_NS4plusIfEEEEZZNS1_33reduce_by_key_impl_wrapped_configILNS1_25lookback_scan_determinismE0ES3_S9_NS6_6detail15normal_iteratorINS6_10device_ptrIfEEEESG_SG_SG_PmS8_NS6_8equal_toIfEEEE10hipError_tPvRmT2_T3_mT4_T5_T6_T7_T8_P12ihipStream_tbENKUlT_T0_E_clISt17integral_constantIbLb0EES10_IbLb1EEEEDaSW_SX_EUlSW_E_NS1_11comp_targetILNS1_3genE0ELNS1_11target_archE4294967295ELNS1_3gpuE0ELNS1_3repE0EEENS1_30default_config_static_selectorELNS0_4arch9wavefront6targetE0EEEvT1_,@function
_ZN7rocprim17ROCPRIM_400000_NS6detail17trampoline_kernelINS0_14default_configENS1_29reduce_by_key_config_selectorIffN6thrust23THRUST_200600_302600_NS4plusIfEEEEZZNS1_33reduce_by_key_impl_wrapped_configILNS1_25lookback_scan_determinismE0ES3_S9_NS6_6detail15normal_iteratorINS6_10device_ptrIfEEEESG_SG_SG_PmS8_NS6_8equal_toIfEEEE10hipError_tPvRmT2_T3_mT4_T5_T6_T7_T8_P12ihipStream_tbENKUlT_T0_E_clISt17integral_constantIbLb0EES10_IbLb1EEEEDaSW_SX_EUlSW_E_NS1_11comp_targetILNS1_3genE0ELNS1_11target_archE4294967295ELNS1_3gpuE0ELNS1_3repE0EEENS1_30default_config_static_selectorELNS0_4arch9wavefront6targetE0EEEvT1_: ; @_ZN7rocprim17ROCPRIM_400000_NS6detail17trampoline_kernelINS0_14default_configENS1_29reduce_by_key_config_selectorIffN6thrust23THRUST_200600_302600_NS4plusIfEEEEZZNS1_33reduce_by_key_impl_wrapped_configILNS1_25lookback_scan_determinismE0ES3_S9_NS6_6detail15normal_iteratorINS6_10device_ptrIfEEEESG_SG_SG_PmS8_NS6_8equal_toIfEEEE10hipError_tPvRmT2_T3_mT4_T5_T6_T7_T8_P12ihipStream_tbENKUlT_T0_E_clISt17integral_constantIbLb0EES10_IbLb1EEEEDaSW_SX_EUlSW_E_NS1_11comp_targetILNS1_3genE0ELNS1_11target_archE4294967295ELNS1_3gpuE0ELNS1_3repE0EEENS1_30default_config_static_selectorELNS0_4arch9wavefront6targetE0EEEvT1_
; %bb.0:
	.section	.rodata,"a",@progbits
	.p2align	6, 0x0
	.amdhsa_kernel _ZN7rocprim17ROCPRIM_400000_NS6detail17trampoline_kernelINS0_14default_configENS1_29reduce_by_key_config_selectorIffN6thrust23THRUST_200600_302600_NS4plusIfEEEEZZNS1_33reduce_by_key_impl_wrapped_configILNS1_25lookback_scan_determinismE0ES3_S9_NS6_6detail15normal_iteratorINS6_10device_ptrIfEEEESG_SG_SG_PmS8_NS6_8equal_toIfEEEE10hipError_tPvRmT2_T3_mT4_T5_T6_T7_T8_P12ihipStream_tbENKUlT_T0_E_clISt17integral_constantIbLb0EES10_IbLb1EEEEDaSW_SX_EUlSW_E_NS1_11comp_targetILNS1_3genE0ELNS1_11target_archE4294967295ELNS1_3gpuE0ELNS1_3repE0EEENS1_30default_config_static_selectorELNS0_4arch9wavefront6targetE0EEEvT1_
		.amdhsa_group_segment_fixed_size 0
		.amdhsa_private_segment_fixed_size 0
		.amdhsa_kernarg_size 120
		.amdhsa_user_sgpr_count 15
		.amdhsa_user_sgpr_dispatch_ptr 0
		.amdhsa_user_sgpr_queue_ptr 0
		.amdhsa_user_sgpr_kernarg_segment_ptr 1
		.amdhsa_user_sgpr_dispatch_id 0
		.amdhsa_user_sgpr_private_segment_size 0
		.amdhsa_wavefront_size32 1
		.amdhsa_uses_dynamic_stack 0
		.amdhsa_enable_private_segment 0
		.amdhsa_system_sgpr_workgroup_id_x 1
		.amdhsa_system_sgpr_workgroup_id_y 0
		.amdhsa_system_sgpr_workgroup_id_z 0
		.amdhsa_system_sgpr_workgroup_info 0
		.amdhsa_system_vgpr_workitem_id 0
		.amdhsa_next_free_vgpr 1
		.amdhsa_next_free_sgpr 1
		.amdhsa_reserve_vcc 0
		.amdhsa_float_round_mode_32 0
		.amdhsa_float_round_mode_16_64 0
		.amdhsa_float_denorm_mode_32 3
		.amdhsa_float_denorm_mode_16_64 3
		.amdhsa_dx10_clamp 1
		.amdhsa_ieee_mode 1
		.amdhsa_fp16_overflow 0
		.amdhsa_workgroup_processor_mode 1
		.amdhsa_memory_ordered 1
		.amdhsa_forward_progress 0
		.amdhsa_shared_vgpr_count 0
		.amdhsa_exception_fp_ieee_invalid_op 0
		.amdhsa_exception_fp_denorm_src 0
		.amdhsa_exception_fp_ieee_div_zero 0
		.amdhsa_exception_fp_ieee_overflow 0
		.amdhsa_exception_fp_ieee_underflow 0
		.amdhsa_exception_fp_ieee_inexact 0
		.amdhsa_exception_int_div_zero 0
	.end_amdhsa_kernel
	.section	.text._ZN7rocprim17ROCPRIM_400000_NS6detail17trampoline_kernelINS0_14default_configENS1_29reduce_by_key_config_selectorIffN6thrust23THRUST_200600_302600_NS4plusIfEEEEZZNS1_33reduce_by_key_impl_wrapped_configILNS1_25lookback_scan_determinismE0ES3_S9_NS6_6detail15normal_iteratorINS6_10device_ptrIfEEEESG_SG_SG_PmS8_NS6_8equal_toIfEEEE10hipError_tPvRmT2_T3_mT4_T5_T6_T7_T8_P12ihipStream_tbENKUlT_T0_E_clISt17integral_constantIbLb0EES10_IbLb1EEEEDaSW_SX_EUlSW_E_NS1_11comp_targetILNS1_3genE0ELNS1_11target_archE4294967295ELNS1_3gpuE0ELNS1_3repE0EEENS1_30default_config_static_selectorELNS0_4arch9wavefront6targetE0EEEvT1_,"axG",@progbits,_ZN7rocprim17ROCPRIM_400000_NS6detail17trampoline_kernelINS0_14default_configENS1_29reduce_by_key_config_selectorIffN6thrust23THRUST_200600_302600_NS4plusIfEEEEZZNS1_33reduce_by_key_impl_wrapped_configILNS1_25lookback_scan_determinismE0ES3_S9_NS6_6detail15normal_iteratorINS6_10device_ptrIfEEEESG_SG_SG_PmS8_NS6_8equal_toIfEEEE10hipError_tPvRmT2_T3_mT4_T5_T6_T7_T8_P12ihipStream_tbENKUlT_T0_E_clISt17integral_constantIbLb0EES10_IbLb1EEEEDaSW_SX_EUlSW_E_NS1_11comp_targetILNS1_3genE0ELNS1_11target_archE4294967295ELNS1_3gpuE0ELNS1_3repE0EEENS1_30default_config_static_selectorELNS0_4arch9wavefront6targetE0EEEvT1_,comdat
.Lfunc_end191:
	.size	_ZN7rocprim17ROCPRIM_400000_NS6detail17trampoline_kernelINS0_14default_configENS1_29reduce_by_key_config_selectorIffN6thrust23THRUST_200600_302600_NS4plusIfEEEEZZNS1_33reduce_by_key_impl_wrapped_configILNS1_25lookback_scan_determinismE0ES3_S9_NS6_6detail15normal_iteratorINS6_10device_ptrIfEEEESG_SG_SG_PmS8_NS6_8equal_toIfEEEE10hipError_tPvRmT2_T3_mT4_T5_T6_T7_T8_P12ihipStream_tbENKUlT_T0_E_clISt17integral_constantIbLb0EES10_IbLb1EEEEDaSW_SX_EUlSW_E_NS1_11comp_targetILNS1_3genE0ELNS1_11target_archE4294967295ELNS1_3gpuE0ELNS1_3repE0EEENS1_30default_config_static_selectorELNS0_4arch9wavefront6targetE0EEEvT1_, .Lfunc_end191-_ZN7rocprim17ROCPRIM_400000_NS6detail17trampoline_kernelINS0_14default_configENS1_29reduce_by_key_config_selectorIffN6thrust23THRUST_200600_302600_NS4plusIfEEEEZZNS1_33reduce_by_key_impl_wrapped_configILNS1_25lookback_scan_determinismE0ES3_S9_NS6_6detail15normal_iteratorINS6_10device_ptrIfEEEESG_SG_SG_PmS8_NS6_8equal_toIfEEEE10hipError_tPvRmT2_T3_mT4_T5_T6_T7_T8_P12ihipStream_tbENKUlT_T0_E_clISt17integral_constantIbLb0EES10_IbLb1EEEEDaSW_SX_EUlSW_E_NS1_11comp_targetILNS1_3genE0ELNS1_11target_archE4294967295ELNS1_3gpuE0ELNS1_3repE0EEENS1_30default_config_static_selectorELNS0_4arch9wavefront6targetE0EEEvT1_
                                        ; -- End function
	.section	.AMDGPU.csdata,"",@progbits
; Kernel info:
; codeLenInByte = 0
; NumSgprs: 0
; NumVgprs: 0
; ScratchSize: 0
; MemoryBound: 0
; FloatMode: 240
; IeeeMode: 1
; LDSByteSize: 0 bytes/workgroup (compile time only)
; SGPRBlocks: 0
; VGPRBlocks: 0
; NumSGPRsForWavesPerEU: 1
; NumVGPRsForWavesPerEU: 1
; Occupancy: 16
; WaveLimiterHint : 0
; COMPUTE_PGM_RSRC2:SCRATCH_EN: 0
; COMPUTE_PGM_RSRC2:USER_SGPR: 15
; COMPUTE_PGM_RSRC2:TRAP_HANDLER: 0
; COMPUTE_PGM_RSRC2:TGID_X_EN: 1
; COMPUTE_PGM_RSRC2:TGID_Y_EN: 0
; COMPUTE_PGM_RSRC2:TGID_Z_EN: 0
; COMPUTE_PGM_RSRC2:TIDIG_COMP_CNT: 0
	.section	.text._ZN7rocprim17ROCPRIM_400000_NS6detail17trampoline_kernelINS0_14default_configENS1_29reduce_by_key_config_selectorIffN6thrust23THRUST_200600_302600_NS4plusIfEEEEZZNS1_33reduce_by_key_impl_wrapped_configILNS1_25lookback_scan_determinismE0ES3_S9_NS6_6detail15normal_iteratorINS6_10device_ptrIfEEEESG_SG_SG_PmS8_NS6_8equal_toIfEEEE10hipError_tPvRmT2_T3_mT4_T5_T6_T7_T8_P12ihipStream_tbENKUlT_T0_E_clISt17integral_constantIbLb0EES10_IbLb1EEEEDaSW_SX_EUlSW_E_NS1_11comp_targetILNS1_3genE5ELNS1_11target_archE942ELNS1_3gpuE9ELNS1_3repE0EEENS1_30default_config_static_selectorELNS0_4arch9wavefront6targetE0EEEvT1_,"axG",@progbits,_ZN7rocprim17ROCPRIM_400000_NS6detail17trampoline_kernelINS0_14default_configENS1_29reduce_by_key_config_selectorIffN6thrust23THRUST_200600_302600_NS4plusIfEEEEZZNS1_33reduce_by_key_impl_wrapped_configILNS1_25lookback_scan_determinismE0ES3_S9_NS6_6detail15normal_iteratorINS6_10device_ptrIfEEEESG_SG_SG_PmS8_NS6_8equal_toIfEEEE10hipError_tPvRmT2_T3_mT4_T5_T6_T7_T8_P12ihipStream_tbENKUlT_T0_E_clISt17integral_constantIbLb0EES10_IbLb1EEEEDaSW_SX_EUlSW_E_NS1_11comp_targetILNS1_3genE5ELNS1_11target_archE942ELNS1_3gpuE9ELNS1_3repE0EEENS1_30default_config_static_selectorELNS0_4arch9wavefront6targetE0EEEvT1_,comdat
	.protected	_ZN7rocprim17ROCPRIM_400000_NS6detail17trampoline_kernelINS0_14default_configENS1_29reduce_by_key_config_selectorIffN6thrust23THRUST_200600_302600_NS4plusIfEEEEZZNS1_33reduce_by_key_impl_wrapped_configILNS1_25lookback_scan_determinismE0ES3_S9_NS6_6detail15normal_iteratorINS6_10device_ptrIfEEEESG_SG_SG_PmS8_NS6_8equal_toIfEEEE10hipError_tPvRmT2_T3_mT4_T5_T6_T7_T8_P12ihipStream_tbENKUlT_T0_E_clISt17integral_constantIbLb0EES10_IbLb1EEEEDaSW_SX_EUlSW_E_NS1_11comp_targetILNS1_3genE5ELNS1_11target_archE942ELNS1_3gpuE9ELNS1_3repE0EEENS1_30default_config_static_selectorELNS0_4arch9wavefront6targetE0EEEvT1_ ; -- Begin function _ZN7rocprim17ROCPRIM_400000_NS6detail17trampoline_kernelINS0_14default_configENS1_29reduce_by_key_config_selectorIffN6thrust23THRUST_200600_302600_NS4plusIfEEEEZZNS1_33reduce_by_key_impl_wrapped_configILNS1_25lookback_scan_determinismE0ES3_S9_NS6_6detail15normal_iteratorINS6_10device_ptrIfEEEESG_SG_SG_PmS8_NS6_8equal_toIfEEEE10hipError_tPvRmT2_T3_mT4_T5_T6_T7_T8_P12ihipStream_tbENKUlT_T0_E_clISt17integral_constantIbLb0EES10_IbLb1EEEEDaSW_SX_EUlSW_E_NS1_11comp_targetILNS1_3genE5ELNS1_11target_archE942ELNS1_3gpuE9ELNS1_3repE0EEENS1_30default_config_static_selectorELNS0_4arch9wavefront6targetE0EEEvT1_
	.globl	_ZN7rocprim17ROCPRIM_400000_NS6detail17trampoline_kernelINS0_14default_configENS1_29reduce_by_key_config_selectorIffN6thrust23THRUST_200600_302600_NS4plusIfEEEEZZNS1_33reduce_by_key_impl_wrapped_configILNS1_25lookback_scan_determinismE0ES3_S9_NS6_6detail15normal_iteratorINS6_10device_ptrIfEEEESG_SG_SG_PmS8_NS6_8equal_toIfEEEE10hipError_tPvRmT2_T3_mT4_T5_T6_T7_T8_P12ihipStream_tbENKUlT_T0_E_clISt17integral_constantIbLb0EES10_IbLb1EEEEDaSW_SX_EUlSW_E_NS1_11comp_targetILNS1_3genE5ELNS1_11target_archE942ELNS1_3gpuE9ELNS1_3repE0EEENS1_30default_config_static_selectorELNS0_4arch9wavefront6targetE0EEEvT1_
	.p2align	8
	.type	_ZN7rocprim17ROCPRIM_400000_NS6detail17trampoline_kernelINS0_14default_configENS1_29reduce_by_key_config_selectorIffN6thrust23THRUST_200600_302600_NS4plusIfEEEEZZNS1_33reduce_by_key_impl_wrapped_configILNS1_25lookback_scan_determinismE0ES3_S9_NS6_6detail15normal_iteratorINS6_10device_ptrIfEEEESG_SG_SG_PmS8_NS6_8equal_toIfEEEE10hipError_tPvRmT2_T3_mT4_T5_T6_T7_T8_P12ihipStream_tbENKUlT_T0_E_clISt17integral_constantIbLb0EES10_IbLb1EEEEDaSW_SX_EUlSW_E_NS1_11comp_targetILNS1_3genE5ELNS1_11target_archE942ELNS1_3gpuE9ELNS1_3repE0EEENS1_30default_config_static_selectorELNS0_4arch9wavefront6targetE0EEEvT1_,@function
_ZN7rocprim17ROCPRIM_400000_NS6detail17trampoline_kernelINS0_14default_configENS1_29reduce_by_key_config_selectorIffN6thrust23THRUST_200600_302600_NS4plusIfEEEEZZNS1_33reduce_by_key_impl_wrapped_configILNS1_25lookback_scan_determinismE0ES3_S9_NS6_6detail15normal_iteratorINS6_10device_ptrIfEEEESG_SG_SG_PmS8_NS6_8equal_toIfEEEE10hipError_tPvRmT2_T3_mT4_T5_T6_T7_T8_P12ihipStream_tbENKUlT_T0_E_clISt17integral_constantIbLb0EES10_IbLb1EEEEDaSW_SX_EUlSW_E_NS1_11comp_targetILNS1_3genE5ELNS1_11target_archE942ELNS1_3gpuE9ELNS1_3repE0EEENS1_30default_config_static_selectorELNS0_4arch9wavefront6targetE0EEEvT1_: ; @_ZN7rocprim17ROCPRIM_400000_NS6detail17trampoline_kernelINS0_14default_configENS1_29reduce_by_key_config_selectorIffN6thrust23THRUST_200600_302600_NS4plusIfEEEEZZNS1_33reduce_by_key_impl_wrapped_configILNS1_25lookback_scan_determinismE0ES3_S9_NS6_6detail15normal_iteratorINS6_10device_ptrIfEEEESG_SG_SG_PmS8_NS6_8equal_toIfEEEE10hipError_tPvRmT2_T3_mT4_T5_T6_T7_T8_P12ihipStream_tbENKUlT_T0_E_clISt17integral_constantIbLb0EES10_IbLb1EEEEDaSW_SX_EUlSW_E_NS1_11comp_targetILNS1_3genE5ELNS1_11target_archE942ELNS1_3gpuE9ELNS1_3repE0EEENS1_30default_config_static_selectorELNS0_4arch9wavefront6targetE0EEEvT1_
; %bb.0:
	.section	.rodata,"a",@progbits
	.p2align	6, 0x0
	.amdhsa_kernel _ZN7rocprim17ROCPRIM_400000_NS6detail17trampoline_kernelINS0_14default_configENS1_29reduce_by_key_config_selectorIffN6thrust23THRUST_200600_302600_NS4plusIfEEEEZZNS1_33reduce_by_key_impl_wrapped_configILNS1_25lookback_scan_determinismE0ES3_S9_NS6_6detail15normal_iteratorINS6_10device_ptrIfEEEESG_SG_SG_PmS8_NS6_8equal_toIfEEEE10hipError_tPvRmT2_T3_mT4_T5_T6_T7_T8_P12ihipStream_tbENKUlT_T0_E_clISt17integral_constantIbLb0EES10_IbLb1EEEEDaSW_SX_EUlSW_E_NS1_11comp_targetILNS1_3genE5ELNS1_11target_archE942ELNS1_3gpuE9ELNS1_3repE0EEENS1_30default_config_static_selectorELNS0_4arch9wavefront6targetE0EEEvT1_
		.amdhsa_group_segment_fixed_size 0
		.amdhsa_private_segment_fixed_size 0
		.amdhsa_kernarg_size 120
		.amdhsa_user_sgpr_count 15
		.amdhsa_user_sgpr_dispatch_ptr 0
		.amdhsa_user_sgpr_queue_ptr 0
		.amdhsa_user_sgpr_kernarg_segment_ptr 1
		.amdhsa_user_sgpr_dispatch_id 0
		.amdhsa_user_sgpr_private_segment_size 0
		.amdhsa_wavefront_size32 1
		.amdhsa_uses_dynamic_stack 0
		.amdhsa_enable_private_segment 0
		.amdhsa_system_sgpr_workgroup_id_x 1
		.amdhsa_system_sgpr_workgroup_id_y 0
		.amdhsa_system_sgpr_workgroup_id_z 0
		.amdhsa_system_sgpr_workgroup_info 0
		.amdhsa_system_vgpr_workitem_id 0
		.amdhsa_next_free_vgpr 1
		.amdhsa_next_free_sgpr 1
		.amdhsa_reserve_vcc 0
		.amdhsa_float_round_mode_32 0
		.amdhsa_float_round_mode_16_64 0
		.amdhsa_float_denorm_mode_32 3
		.amdhsa_float_denorm_mode_16_64 3
		.amdhsa_dx10_clamp 1
		.amdhsa_ieee_mode 1
		.amdhsa_fp16_overflow 0
		.amdhsa_workgroup_processor_mode 1
		.amdhsa_memory_ordered 1
		.amdhsa_forward_progress 0
		.amdhsa_shared_vgpr_count 0
		.amdhsa_exception_fp_ieee_invalid_op 0
		.amdhsa_exception_fp_denorm_src 0
		.amdhsa_exception_fp_ieee_div_zero 0
		.amdhsa_exception_fp_ieee_overflow 0
		.amdhsa_exception_fp_ieee_underflow 0
		.amdhsa_exception_fp_ieee_inexact 0
		.amdhsa_exception_int_div_zero 0
	.end_amdhsa_kernel
	.section	.text._ZN7rocprim17ROCPRIM_400000_NS6detail17trampoline_kernelINS0_14default_configENS1_29reduce_by_key_config_selectorIffN6thrust23THRUST_200600_302600_NS4plusIfEEEEZZNS1_33reduce_by_key_impl_wrapped_configILNS1_25lookback_scan_determinismE0ES3_S9_NS6_6detail15normal_iteratorINS6_10device_ptrIfEEEESG_SG_SG_PmS8_NS6_8equal_toIfEEEE10hipError_tPvRmT2_T3_mT4_T5_T6_T7_T8_P12ihipStream_tbENKUlT_T0_E_clISt17integral_constantIbLb0EES10_IbLb1EEEEDaSW_SX_EUlSW_E_NS1_11comp_targetILNS1_3genE5ELNS1_11target_archE942ELNS1_3gpuE9ELNS1_3repE0EEENS1_30default_config_static_selectorELNS0_4arch9wavefront6targetE0EEEvT1_,"axG",@progbits,_ZN7rocprim17ROCPRIM_400000_NS6detail17trampoline_kernelINS0_14default_configENS1_29reduce_by_key_config_selectorIffN6thrust23THRUST_200600_302600_NS4plusIfEEEEZZNS1_33reduce_by_key_impl_wrapped_configILNS1_25lookback_scan_determinismE0ES3_S9_NS6_6detail15normal_iteratorINS6_10device_ptrIfEEEESG_SG_SG_PmS8_NS6_8equal_toIfEEEE10hipError_tPvRmT2_T3_mT4_T5_T6_T7_T8_P12ihipStream_tbENKUlT_T0_E_clISt17integral_constantIbLb0EES10_IbLb1EEEEDaSW_SX_EUlSW_E_NS1_11comp_targetILNS1_3genE5ELNS1_11target_archE942ELNS1_3gpuE9ELNS1_3repE0EEENS1_30default_config_static_selectorELNS0_4arch9wavefront6targetE0EEEvT1_,comdat
.Lfunc_end192:
	.size	_ZN7rocprim17ROCPRIM_400000_NS6detail17trampoline_kernelINS0_14default_configENS1_29reduce_by_key_config_selectorIffN6thrust23THRUST_200600_302600_NS4plusIfEEEEZZNS1_33reduce_by_key_impl_wrapped_configILNS1_25lookback_scan_determinismE0ES3_S9_NS6_6detail15normal_iteratorINS6_10device_ptrIfEEEESG_SG_SG_PmS8_NS6_8equal_toIfEEEE10hipError_tPvRmT2_T3_mT4_T5_T6_T7_T8_P12ihipStream_tbENKUlT_T0_E_clISt17integral_constantIbLb0EES10_IbLb1EEEEDaSW_SX_EUlSW_E_NS1_11comp_targetILNS1_3genE5ELNS1_11target_archE942ELNS1_3gpuE9ELNS1_3repE0EEENS1_30default_config_static_selectorELNS0_4arch9wavefront6targetE0EEEvT1_, .Lfunc_end192-_ZN7rocprim17ROCPRIM_400000_NS6detail17trampoline_kernelINS0_14default_configENS1_29reduce_by_key_config_selectorIffN6thrust23THRUST_200600_302600_NS4plusIfEEEEZZNS1_33reduce_by_key_impl_wrapped_configILNS1_25lookback_scan_determinismE0ES3_S9_NS6_6detail15normal_iteratorINS6_10device_ptrIfEEEESG_SG_SG_PmS8_NS6_8equal_toIfEEEE10hipError_tPvRmT2_T3_mT4_T5_T6_T7_T8_P12ihipStream_tbENKUlT_T0_E_clISt17integral_constantIbLb0EES10_IbLb1EEEEDaSW_SX_EUlSW_E_NS1_11comp_targetILNS1_3genE5ELNS1_11target_archE942ELNS1_3gpuE9ELNS1_3repE0EEENS1_30default_config_static_selectorELNS0_4arch9wavefront6targetE0EEEvT1_
                                        ; -- End function
	.section	.AMDGPU.csdata,"",@progbits
; Kernel info:
; codeLenInByte = 0
; NumSgprs: 0
; NumVgprs: 0
; ScratchSize: 0
; MemoryBound: 0
; FloatMode: 240
; IeeeMode: 1
; LDSByteSize: 0 bytes/workgroup (compile time only)
; SGPRBlocks: 0
; VGPRBlocks: 0
; NumSGPRsForWavesPerEU: 1
; NumVGPRsForWavesPerEU: 1
; Occupancy: 16
; WaveLimiterHint : 0
; COMPUTE_PGM_RSRC2:SCRATCH_EN: 0
; COMPUTE_PGM_RSRC2:USER_SGPR: 15
; COMPUTE_PGM_RSRC2:TRAP_HANDLER: 0
; COMPUTE_PGM_RSRC2:TGID_X_EN: 1
; COMPUTE_PGM_RSRC2:TGID_Y_EN: 0
; COMPUTE_PGM_RSRC2:TGID_Z_EN: 0
; COMPUTE_PGM_RSRC2:TIDIG_COMP_CNT: 0
	.section	.text._ZN7rocprim17ROCPRIM_400000_NS6detail17trampoline_kernelINS0_14default_configENS1_29reduce_by_key_config_selectorIffN6thrust23THRUST_200600_302600_NS4plusIfEEEEZZNS1_33reduce_by_key_impl_wrapped_configILNS1_25lookback_scan_determinismE0ES3_S9_NS6_6detail15normal_iteratorINS6_10device_ptrIfEEEESG_SG_SG_PmS8_NS6_8equal_toIfEEEE10hipError_tPvRmT2_T3_mT4_T5_T6_T7_T8_P12ihipStream_tbENKUlT_T0_E_clISt17integral_constantIbLb0EES10_IbLb1EEEEDaSW_SX_EUlSW_E_NS1_11comp_targetILNS1_3genE4ELNS1_11target_archE910ELNS1_3gpuE8ELNS1_3repE0EEENS1_30default_config_static_selectorELNS0_4arch9wavefront6targetE0EEEvT1_,"axG",@progbits,_ZN7rocprim17ROCPRIM_400000_NS6detail17trampoline_kernelINS0_14default_configENS1_29reduce_by_key_config_selectorIffN6thrust23THRUST_200600_302600_NS4plusIfEEEEZZNS1_33reduce_by_key_impl_wrapped_configILNS1_25lookback_scan_determinismE0ES3_S9_NS6_6detail15normal_iteratorINS6_10device_ptrIfEEEESG_SG_SG_PmS8_NS6_8equal_toIfEEEE10hipError_tPvRmT2_T3_mT4_T5_T6_T7_T8_P12ihipStream_tbENKUlT_T0_E_clISt17integral_constantIbLb0EES10_IbLb1EEEEDaSW_SX_EUlSW_E_NS1_11comp_targetILNS1_3genE4ELNS1_11target_archE910ELNS1_3gpuE8ELNS1_3repE0EEENS1_30default_config_static_selectorELNS0_4arch9wavefront6targetE0EEEvT1_,comdat
	.protected	_ZN7rocprim17ROCPRIM_400000_NS6detail17trampoline_kernelINS0_14default_configENS1_29reduce_by_key_config_selectorIffN6thrust23THRUST_200600_302600_NS4plusIfEEEEZZNS1_33reduce_by_key_impl_wrapped_configILNS1_25lookback_scan_determinismE0ES3_S9_NS6_6detail15normal_iteratorINS6_10device_ptrIfEEEESG_SG_SG_PmS8_NS6_8equal_toIfEEEE10hipError_tPvRmT2_T3_mT4_T5_T6_T7_T8_P12ihipStream_tbENKUlT_T0_E_clISt17integral_constantIbLb0EES10_IbLb1EEEEDaSW_SX_EUlSW_E_NS1_11comp_targetILNS1_3genE4ELNS1_11target_archE910ELNS1_3gpuE8ELNS1_3repE0EEENS1_30default_config_static_selectorELNS0_4arch9wavefront6targetE0EEEvT1_ ; -- Begin function _ZN7rocprim17ROCPRIM_400000_NS6detail17trampoline_kernelINS0_14default_configENS1_29reduce_by_key_config_selectorIffN6thrust23THRUST_200600_302600_NS4plusIfEEEEZZNS1_33reduce_by_key_impl_wrapped_configILNS1_25lookback_scan_determinismE0ES3_S9_NS6_6detail15normal_iteratorINS6_10device_ptrIfEEEESG_SG_SG_PmS8_NS6_8equal_toIfEEEE10hipError_tPvRmT2_T3_mT4_T5_T6_T7_T8_P12ihipStream_tbENKUlT_T0_E_clISt17integral_constantIbLb0EES10_IbLb1EEEEDaSW_SX_EUlSW_E_NS1_11comp_targetILNS1_3genE4ELNS1_11target_archE910ELNS1_3gpuE8ELNS1_3repE0EEENS1_30default_config_static_selectorELNS0_4arch9wavefront6targetE0EEEvT1_
	.globl	_ZN7rocprim17ROCPRIM_400000_NS6detail17trampoline_kernelINS0_14default_configENS1_29reduce_by_key_config_selectorIffN6thrust23THRUST_200600_302600_NS4plusIfEEEEZZNS1_33reduce_by_key_impl_wrapped_configILNS1_25lookback_scan_determinismE0ES3_S9_NS6_6detail15normal_iteratorINS6_10device_ptrIfEEEESG_SG_SG_PmS8_NS6_8equal_toIfEEEE10hipError_tPvRmT2_T3_mT4_T5_T6_T7_T8_P12ihipStream_tbENKUlT_T0_E_clISt17integral_constantIbLb0EES10_IbLb1EEEEDaSW_SX_EUlSW_E_NS1_11comp_targetILNS1_3genE4ELNS1_11target_archE910ELNS1_3gpuE8ELNS1_3repE0EEENS1_30default_config_static_selectorELNS0_4arch9wavefront6targetE0EEEvT1_
	.p2align	8
	.type	_ZN7rocprim17ROCPRIM_400000_NS6detail17trampoline_kernelINS0_14default_configENS1_29reduce_by_key_config_selectorIffN6thrust23THRUST_200600_302600_NS4plusIfEEEEZZNS1_33reduce_by_key_impl_wrapped_configILNS1_25lookback_scan_determinismE0ES3_S9_NS6_6detail15normal_iteratorINS6_10device_ptrIfEEEESG_SG_SG_PmS8_NS6_8equal_toIfEEEE10hipError_tPvRmT2_T3_mT4_T5_T6_T7_T8_P12ihipStream_tbENKUlT_T0_E_clISt17integral_constantIbLb0EES10_IbLb1EEEEDaSW_SX_EUlSW_E_NS1_11comp_targetILNS1_3genE4ELNS1_11target_archE910ELNS1_3gpuE8ELNS1_3repE0EEENS1_30default_config_static_selectorELNS0_4arch9wavefront6targetE0EEEvT1_,@function
_ZN7rocprim17ROCPRIM_400000_NS6detail17trampoline_kernelINS0_14default_configENS1_29reduce_by_key_config_selectorIffN6thrust23THRUST_200600_302600_NS4plusIfEEEEZZNS1_33reduce_by_key_impl_wrapped_configILNS1_25lookback_scan_determinismE0ES3_S9_NS6_6detail15normal_iteratorINS6_10device_ptrIfEEEESG_SG_SG_PmS8_NS6_8equal_toIfEEEE10hipError_tPvRmT2_T3_mT4_T5_T6_T7_T8_P12ihipStream_tbENKUlT_T0_E_clISt17integral_constantIbLb0EES10_IbLb1EEEEDaSW_SX_EUlSW_E_NS1_11comp_targetILNS1_3genE4ELNS1_11target_archE910ELNS1_3gpuE8ELNS1_3repE0EEENS1_30default_config_static_selectorELNS0_4arch9wavefront6targetE0EEEvT1_: ; @_ZN7rocprim17ROCPRIM_400000_NS6detail17trampoline_kernelINS0_14default_configENS1_29reduce_by_key_config_selectorIffN6thrust23THRUST_200600_302600_NS4plusIfEEEEZZNS1_33reduce_by_key_impl_wrapped_configILNS1_25lookback_scan_determinismE0ES3_S9_NS6_6detail15normal_iteratorINS6_10device_ptrIfEEEESG_SG_SG_PmS8_NS6_8equal_toIfEEEE10hipError_tPvRmT2_T3_mT4_T5_T6_T7_T8_P12ihipStream_tbENKUlT_T0_E_clISt17integral_constantIbLb0EES10_IbLb1EEEEDaSW_SX_EUlSW_E_NS1_11comp_targetILNS1_3genE4ELNS1_11target_archE910ELNS1_3gpuE8ELNS1_3repE0EEENS1_30default_config_static_selectorELNS0_4arch9wavefront6targetE0EEEvT1_
; %bb.0:
	.section	.rodata,"a",@progbits
	.p2align	6, 0x0
	.amdhsa_kernel _ZN7rocprim17ROCPRIM_400000_NS6detail17trampoline_kernelINS0_14default_configENS1_29reduce_by_key_config_selectorIffN6thrust23THRUST_200600_302600_NS4plusIfEEEEZZNS1_33reduce_by_key_impl_wrapped_configILNS1_25lookback_scan_determinismE0ES3_S9_NS6_6detail15normal_iteratorINS6_10device_ptrIfEEEESG_SG_SG_PmS8_NS6_8equal_toIfEEEE10hipError_tPvRmT2_T3_mT4_T5_T6_T7_T8_P12ihipStream_tbENKUlT_T0_E_clISt17integral_constantIbLb0EES10_IbLb1EEEEDaSW_SX_EUlSW_E_NS1_11comp_targetILNS1_3genE4ELNS1_11target_archE910ELNS1_3gpuE8ELNS1_3repE0EEENS1_30default_config_static_selectorELNS0_4arch9wavefront6targetE0EEEvT1_
		.amdhsa_group_segment_fixed_size 0
		.amdhsa_private_segment_fixed_size 0
		.amdhsa_kernarg_size 120
		.amdhsa_user_sgpr_count 15
		.amdhsa_user_sgpr_dispatch_ptr 0
		.amdhsa_user_sgpr_queue_ptr 0
		.amdhsa_user_sgpr_kernarg_segment_ptr 1
		.amdhsa_user_sgpr_dispatch_id 0
		.amdhsa_user_sgpr_private_segment_size 0
		.amdhsa_wavefront_size32 1
		.amdhsa_uses_dynamic_stack 0
		.amdhsa_enable_private_segment 0
		.amdhsa_system_sgpr_workgroup_id_x 1
		.amdhsa_system_sgpr_workgroup_id_y 0
		.amdhsa_system_sgpr_workgroup_id_z 0
		.amdhsa_system_sgpr_workgroup_info 0
		.amdhsa_system_vgpr_workitem_id 0
		.amdhsa_next_free_vgpr 1
		.amdhsa_next_free_sgpr 1
		.amdhsa_reserve_vcc 0
		.amdhsa_float_round_mode_32 0
		.amdhsa_float_round_mode_16_64 0
		.amdhsa_float_denorm_mode_32 3
		.amdhsa_float_denorm_mode_16_64 3
		.amdhsa_dx10_clamp 1
		.amdhsa_ieee_mode 1
		.amdhsa_fp16_overflow 0
		.amdhsa_workgroup_processor_mode 1
		.amdhsa_memory_ordered 1
		.amdhsa_forward_progress 0
		.amdhsa_shared_vgpr_count 0
		.amdhsa_exception_fp_ieee_invalid_op 0
		.amdhsa_exception_fp_denorm_src 0
		.amdhsa_exception_fp_ieee_div_zero 0
		.amdhsa_exception_fp_ieee_overflow 0
		.amdhsa_exception_fp_ieee_underflow 0
		.amdhsa_exception_fp_ieee_inexact 0
		.amdhsa_exception_int_div_zero 0
	.end_amdhsa_kernel
	.section	.text._ZN7rocprim17ROCPRIM_400000_NS6detail17trampoline_kernelINS0_14default_configENS1_29reduce_by_key_config_selectorIffN6thrust23THRUST_200600_302600_NS4plusIfEEEEZZNS1_33reduce_by_key_impl_wrapped_configILNS1_25lookback_scan_determinismE0ES3_S9_NS6_6detail15normal_iteratorINS6_10device_ptrIfEEEESG_SG_SG_PmS8_NS6_8equal_toIfEEEE10hipError_tPvRmT2_T3_mT4_T5_T6_T7_T8_P12ihipStream_tbENKUlT_T0_E_clISt17integral_constantIbLb0EES10_IbLb1EEEEDaSW_SX_EUlSW_E_NS1_11comp_targetILNS1_3genE4ELNS1_11target_archE910ELNS1_3gpuE8ELNS1_3repE0EEENS1_30default_config_static_selectorELNS0_4arch9wavefront6targetE0EEEvT1_,"axG",@progbits,_ZN7rocprim17ROCPRIM_400000_NS6detail17trampoline_kernelINS0_14default_configENS1_29reduce_by_key_config_selectorIffN6thrust23THRUST_200600_302600_NS4plusIfEEEEZZNS1_33reduce_by_key_impl_wrapped_configILNS1_25lookback_scan_determinismE0ES3_S9_NS6_6detail15normal_iteratorINS6_10device_ptrIfEEEESG_SG_SG_PmS8_NS6_8equal_toIfEEEE10hipError_tPvRmT2_T3_mT4_T5_T6_T7_T8_P12ihipStream_tbENKUlT_T0_E_clISt17integral_constantIbLb0EES10_IbLb1EEEEDaSW_SX_EUlSW_E_NS1_11comp_targetILNS1_3genE4ELNS1_11target_archE910ELNS1_3gpuE8ELNS1_3repE0EEENS1_30default_config_static_selectorELNS0_4arch9wavefront6targetE0EEEvT1_,comdat
.Lfunc_end193:
	.size	_ZN7rocprim17ROCPRIM_400000_NS6detail17trampoline_kernelINS0_14default_configENS1_29reduce_by_key_config_selectorIffN6thrust23THRUST_200600_302600_NS4plusIfEEEEZZNS1_33reduce_by_key_impl_wrapped_configILNS1_25lookback_scan_determinismE0ES3_S9_NS6_6detail15normal_iteratorINS6_10device_ptrIfEEEESG_SG_SG_PmS8_NS6_8equal_toIfEEEE10hipError_tPvRmT2_T3_mT4_T5_T6_T7_T8_P12ihipStream_tbENKUlT_T0_E_clISt17integral_constantIbLb0EES10_IbLb1EEEEDaSW_SX_EUlSW_E_NS1_11comp_targetILNS1_3genE4ELNS1_11target_archE910ELNS1_3gpuE8ELNS1_3repE0EEENS1_30default_config_static_selectorELNS0_4arch9wavefront6targetE0EEEvT1_, .Lfunc_end193-_ZN7rocprim17ROCPRIM_400000_NS6detail17trampoline_kernelINS0_14default_configENS1_29reduce_by_key_config_selectorIffN6thrust23THRUST_200600_302600_NS4plusIfEEEEZZNS1_33reduce_by_key_impl_wrapped_configILNS1_25lookback_scan_determinismE0ES3_S9_NS6_6detail15normal_iteratorINS6_10device_ptrIfEEEESG_SG_SG_PmS8_NS6_8equal_toIfEEEE10hipError_tPvRmT2_T3_mT4_T5_T6_T7_T8_P12ihipStream_tbENKUlT_T0_E_clISt17integral_constantIbLb0EES10_IbLb1EEEEDaSW_SX_EUlSW_E_NS1_11comp_targetILNS1_3genE4ELNS1_11target_archE910ELNS1_3gpuE8ELNS1_3repE0EEENS1_30default_config_static_selectorELNS0_4arch9wavefront6targetE0EEEvT1_
                                        ; -- End function
	.section	.AMDGPU.csdata,"",@progbits
; Kernel info:
; codeLenInByte = 0
; NumSgprs: 0
; NumVgprs: 0
; ScratchSize: 0
; MemoryBound: 0
; FloatMode: 240
; IeeeMode: 1
; LDSByteSize: 0 bytes/workgroup (compile time only)
; SGPRBlocks: 0
; VGPRBlocks: 0
; NumSGPRsForWavesPerEU: 1
; NumVGPRsForWavesPerEU: 1
; Occupancy: 16
; WaveLimiterHint : 0
; COMPUTE_PGM_RSRC2:SCRATCH_EN: 0
; COMPUTE_PGM_RSRC2:USER_SGPR: 15
; COMPUTE_PGM_RSRC2:TRAP_HANDLER: 0
; COMPUTE_PGM_RSRC2:TGID_X_EN: 1
; COMPUTE_PGM_RSRC2:TGID_Y_EN: 0
; COMPUTE_PGM_RSRC2:TGID_Z_EN: 0
; COMPUTE_PGM_RSRC2:TIDIG_COMP_CNT: 0
	.section	.text._ZN7rocprim17ROCPRIM_400000_NS6detail17trampoline_kernelINS0_14default_configENS1_29reduce_by_key_config_selectorIffN6thrust23THRUST_200600_302600_NS4plusIfEEEEZZNS1_33reduce_by_key_impl_wrapped_configILNS1_25lookback_scan_determinismE0ES3_S9_NS6_6detail15normal_iteratorINS6_10device_ptrIfEEEESG_SG_SG_PmS8_NS6_8equal_toIfEEEE10hipError_tPvRmT2_T3_mT4_T5_T6_T7_T8_P12ihipStream_tbENKUlT_T0_E_clISt17integral_constantIbLb0EES10_IbLb1EEEEDaSW_SX_EUlSW_E_NS1_11comp_targetILNS1_3genE3ELNS1_11target_archE908ELNS1_3gpuE7ELNS1_3repE0EEENS1_30default_config_static_selectorELNS0_4arch9wavefront6targetE0EEEvT1_,"axG",@progbits,_ZN7rocprim17ROCPRIM_400000_NS6detail17trampoline_kernelINS0_14default_configENS1_29reduce_by_key_config_selectorIffN6thrust23THRUST_200600_302600_NS4plusIfEEEEZZNS1_33reduce_by_key_impl_wrapped_configILNS1_25lookback_scan_determinismE0ES3_S9_NS6_6detail15normal_iteratorINS6_10device_ptrIfEEEESG_SG_SG_PmS8_NS6_8equal_toIfEEEE10hipError_tPvRmT2_T3_mT4_T5_T6_T7_T8_P12ihipStream_tbENKUlT_T0_E_clISt17integral_constantIbLb0EES10_IbLb1EEEEDaSW_SX_EUlSW_E_NS1_11comp_targetILNS1_3genE3ELNS1_11target_archE908ELNS1_3gpuE7ELNS1_3repE0EEENS1_30default_config_static_selectorELNS0_4arch9wavefront6targetE0EEEvT1_,comdat
	.protected	_ZN7rocprim17ROCPRIM_400000_NS6detail17trampoline_kernelINS0_14default_configENS1_29reduce_by_key_config_selectorIffN6thrust23THRUST_200600_302600_NS4plusIfEEEEZZNS1_33reduce_by_key_impl_wrapped_configILNS1_25lookback_scan_determinismE0ES3_S9_NS6_6detail15normal_iteratorINS6_10device_ptrIfEEEESG_SG_SG_PmS8_NS6_8equal_toIfEEEE10hipError_tPvRmT2_T3_mT4_T5_T6_T7_T8_P12ihipStream_tbENKUlT_T0_E_clISt17integral_constantIbLb0EES10_IbLb1EEEEDaSW_SX_EUlSW_E_NS1_11comp_targetILNS1_3genE3ELNS1_11target_archE908ELNS1_3gpuE7ELNS1_3repE0EEENS1_30default_config_static_selectorELNS0_4arch9wavefront6targetE0EEEvT1_ ; -- Begin function _ZN7rocprim17ROCPRIM_400000_NS6detail17trampoline_kernelINS0_14default_configENS1_29reduce_by_key_config_selectorIffN6thrust23THRUST_200600_302600_NS4plusIfEEEEZZNS1_33reduce_by_key_impl_wrapped_configILNS1_25lookback_scan_determinismE0ES3_S9_NS6_6detail15normal_iteratorINS6_10device_ptrIfEEEESG_SG_SG_PmS8_NS6_8equal_toIfEEEE10hipError_tPvRmT2_T3_mT4_T5_T6_T7_T8_P12ihipStream_tbENKUlT_T0_E_clISt17integral_constantIbLb0EES10_IbLb1EEEEDaSW_SX_EUlSW_E_NS1_11comp_targetILNS1_3genE3ELNS1_11target_archE908ELNS1_3gpuE7ELNS1_3repE0EEENS1_30default_config_static_selectorELNS0_4arch9wavefront6targetE0EEEvT1_
	.globl	_ZN7rocprim17ROCPRIM_400000_NS6detail17trampoline_kernelINS0_14default_configENS1_29reduce_by_key_config_selectorIffN6thrust23THRUST_200600_302600_NS4plusIfEEEEZZNS1_33reduce_by_key_impl_wrapped_configILNS1_25lookback_scan_determinismE0ES3_S9_NS6_6detail15normal_iteratorINS6_10device_ptrIfEEEESG_SG_SG_PmS8_NS6_8equal_toIfEEEE10hipError_tPvRmT2_T3_mT4_T5_T6_T7_T8_P12ihipStream_tbENKUlT_T0_E_clISt17integral_constantIbLb0EES10_IbLb1EEEEDaSW_SX_EUlSW_E_NS1_11comp_targetILNS1_3genE3ELNS1_11target_archE908ELNS1_3gpuE7ELNS1_3repE0EEENS1_30default_config_static_selectorELNS0_4arch9wavefront6targetE0EEEvT1_
	.p2align	8
	.type	_ZN7rocprim17ROCPRIM_400000_NS6detail17trampoline_kernelINS0_14default_configENS1_29reduce_by_key_config_selectorIffN6thrust23THRUST_200600_302600_NS4plusIfEEEEZZNS1_33reduce_by_key_impl_wrapped_configILNS1_25lookback_scan_determinismE0ES3_S9_NS6_6detail15normal_iteratorINS6_10device_ptrIfEEEESG_SG_SG_PmS8_NS6_8equal_toIfEEEE10hipError_tPvRmT2_T3_mT4_T5_T6_T7_T8_P12ihipStream_tbENKUlT_T0_E_clISt17integral_constantIbLb0EES10_IbLb1EEEEDaSW_SX_EUlSW_E_NS1_11comp_targetILNS1_3genE3ELNS1_11target_archE908ELNS1_3gpuE7ELNS1_3repE0EEENS1_30default_config_static_selectorELNS0_4arch9wavefront6targetE0EEEvT1_,@function
_ZN7rocprim17ROCPRIM_400000_NS6detail17trampoline_kernelINS0_14default_configENS1_29reduce_by_key_config_selectorIffN6thrust23THRUST_200600_302600_NS4plusIfEEEEZZNS1_33reduce_by_key_impl_wrapped_configILNS1_25lookback_scan_determinismE0ES3_S9_NS6_6detail15normal_iteratorINS6_10device_ptrIfEEEESG_SG_SG_PmS8_NS6_8equal_toIfEEEE10hipError_tPvRmT2_T3_mT4_T5_T6_T7_T8_P12ihipStream_tbENKUlT_T0_E_clISt17integral_constantIbLb0EES10_IbLb1EEEEDaSW_SX_EUlSW_E_NS1_11comp_targetILNS1_3genE3ELNS1_11target_archE908ELNS1_3gpuE7ELNS1_3repE0EEENS1_30default_config_static_selectorELNS0_4arch9wavefront6targetE0EEEvT1_: ; @_ZN7rocprim17ROCPRIM_400000_NS6detail17trampoline_kernelINS0_14default_configENS1_29reduce_by_key_config_selectorIffN6thrust23THRUST_200600_302600_NS4plusIfEEEEZZNS1_33reduce_by_key_impl_wrapped_configILNS1_25lookback_scan_determinismE0ES3_S9_NS6_6detail15normal_iteratorINS6_10device_ptrIfEEEESG_SG_SG_PmS8_NS6_8equal_toIfEEEE10hipError_tPvRmT2_T3_mT4_T5_T6_T7_T8_P12ihipStream_tbENKUlT_T0_E_clISt17integral_constantIbLb0EES10_IbLb1EEEEDaSW_SX_EUlSW_E_NS1_11comp_targetILNS1_3genE3ELNS1_11target_archE908ELNS1_3gpuE7ELNS1_3repE0EEENS1_30default_config_static_selectorELNS0_4arch9wavefront6targetE0EEEvT1_
; %bb.0:
	.section	.rodata,"a",@progbits
	.p2align	6, 0x0
	.amdhsa_kernel _ZN7rocprim17ROCPRIM_400000_NS6detail17trampoline_kernelINS0_14default_configENS1_29reduce_by_key_config_selectorIffN6thrust23THRUST_200600_302600_NS4plusIfEEEEZZNS1_33reduce_by_key_impl_wrapped_configILNS1_25lookback_scan_determinismE0ES3_S9_NS6_6detail15normal_iteratorINS6_10device_ptrIfEEEESG_SG_SG_PmS8_NS6_8equal_toIfEEEE10hipError_tPvRmT2_T3_mT4_T5_T6_T7_T8_P12ihipStream_tbENKUlT_T0_E_clISt17integral_constantIbLb0EES10_IbLb1EEEEDaSW_SX_EUlSW_E_NS1_11comp_targetILNS1_3genE3ELNS1_11target_archE908ELNS1_3gpuE7ELNS1_3repE0EEENS1_30default_config_static_selectorELNS0_4arch9wavefront6targetE0EEEvT1_
		.amdhsa_group_segment_fixed_size 0
		.amdhsa_private_segment_fixed_size 0
		.amdhsa_kernarg_size 120
		.amdhsa_user_sgpr_count 15
		.amdhsa_user_sgpr_dispatch_ptr 0
		.amdhsa_user_sgpr_queue_ptr 0
		.amdhsa_user_sgpr_kernarg_segment_ptr 1
		.amdhsa_user_sgpr_dispatch_id 0
		.amdhsa_user_sgpr_private_segment_size 0
		.amdhsa_wavefront_size32 1
		.amdhsa_uses_dynamic_stack 0
		.amdhsa_enable_private_segment 0
		.amdhsa_system_sgpr_workgroup_id_x 1
		.amdhsa_system_sgpr_workgroup_id_y 0
		.amdhsa_system_sgpr_workgroup_id_z 0
		.amdhsa_system_sgpr_workgroup_info 0
		.amdhsa_system_vgpr_workitem_id 0
		.amdhsa_next_free_vgpr 1
		.amdhsa_next_free_sgpr 1
		.amdhsa_reserve_vcc 0
		.amdhsa_float_round_mode_32 0
		.amdhsa_float_round_mode_16_64 0
		.amdhsa_float_denorm_mode_32 3
		.amdhsa_float_denorm_mode_16_64 3
		.amdhsa_dx10_clamp 1
		.amdhsa_ieee_mode 1
		.amdhsa_fp16_overflow 0
		.amdhsa_workgroup_processor_mode 1
		.amdhsa_memory_ordered 1
		.amdhsa_forward_progress 0
		.amdhsa_shared_vgpr_count 0
		.amdhsa_exception_fp_ieee_invalid_op 0
		.amdhsa_exception_fp_denorm_src 0
		.amdhsa_exception_fp_ieee_div_zero 0
		.amdhsa_exception_fp_ieee_overflow 0
		.amdhsa_exception_fp_ieee_underflow 0
		.amdhsa_exception_fp_ieee_inexact 0
		.amdhsa_exception_int_div_zero 0
	.end_amdhsa_kernel
	.section	.text._ZN7rocprim17ROCPRIM_400000_NS6detail17trampoline_kernelINS0_14default_configENS1_29reduce_by_key_config_selectorIffN6thrust23THRUST_200600_302600_NS4plusIfEEEEZZNS1_33reduce_by_key_impl_wrapped_configILNS1_25lookback_scan_determinismE0ES3_S9_NS6_6detail15normal_iteratorINS6_10device_ptrIfEEEESG_SG_SG_PmS8_NS6_8equal_toIfEEEE10hipError_tPvRmT2_T3_mT4_T5_T6_T7_T8_P12ihipStream_tbENKUlT_T0_E_clISt17integral_constantIbLb0EES10_IbLb1EEEEDaSW_SX_EUlSW_E_NS1_11comp_targetILNS1_3genE3ELNS1_11target_archE908ELNS1_3gpuE7ELNS1_3repE0EEENS1_30default_config_static_selectorELNS0_4arch9wavefront6targetE0EEEvT1_,"axG",@progbits,_ZN7rocprim17ROCPRIM_400000_NS6detail17trampoline_kernelINS0_14default_configENS1_29reduce_by_key_config_selectorIffN6thrust23THRUST_200600_302600_NS4plusIfEEEEZZNS1_33reduce_by_key_impl_wrapped_configILNS1_25lookback_scan_determinismE0ES3_S9_NS6_6detail15normal_iteratorINS6_10device_ptrIfEEEESG_SG_SG_PmS8_NS6_8equal_toIfEEEE10hipError_tPvRmT2_T3_mT4_T5_T6_T7_T8_P12ihipStream_tbENKUlT_T0_E_clISt17integral_constantIbLb0EES10_IbLb1EEEEDaSW_SX_EUlSW_E_NS1_11comp_targetILNS1_3genE3ELNS1_11target_archE908ELNS1_3gpuE7ELNS1_3repE0EEENS1_30default_config_static_selectorELNS0_4arch9wavefront6targetE0EEEvT1_,comdat
.Lfunc_end194:
	.size	_ZN7rocprim17ROCPRIM_400000_NS6detail17trampoline_kernelINS0_14default_configENS1_29reduce_by_key_config_selectorIffN6thrust23THRUST_200600_302600_NS4plusIfEEEEZZNS1_33reduce_by_key_impl_wrapped_configILNS1_25lookback_scan_determinismE0ES3_S9_NS6_6detail15normal_iteratorINS6_10device_ptrIfEEEESG_SG_SG_PmS8_NS6_8equal_toIfEEEE10hipError_tPvRmT2_T3_mT4_T5_T6_T7_T8_P12ihipStream_tbENKUlT_T0_E_clISt17integral_constantIbLb0EES10_IbLb1EEEEDaSW_SX_EUlSW_E_NS1_11comp_targetILNS1_3genE3ELNS1_11target_archE908ELNS1_3gpuE7ELNS1_3repE0EEENS1_30default_config_static_selectorELNS0_4arch9wavefront6targetE0EEEvT1_, .Lfunc_end194-_ZN7rocprim17ROCPRIM_400000_NS6detail17trampoline_kernelINS0_14default_configENS1_29reduce_by_key_config_selectorIffN6thrust23THRUST_200600_302600_NS4plusIfEEEEZZNS1_33reduce_by_key_impl_wrapped_configILNS1_25lookback_scan_determinismE0ES3_S9_NS6_6detail15normal_iteratorINS6_10device_ptrIfEEEESG_SG_SG_PmS8_NS6_8equal_toIfEEEE10hipError_tPvRmT2_T3_mT4_T5_T6_T7_T8_P12ihipStream_tbENKUlT_T0_E_clISt17integral_constantIbLb0EES10_IbLb1EEEEDaSW_SX_EUlSW_E_NS1_11comp_targetILNS1_3genE3ELNS1_11target_archE908ELNS1_3gpuE7ELNS1_3repE0EEENS1_30default_config_static_selectorELNS0_4arch9wavefront6targetE0EEEvT1_
                                        ; -- End function
	.section	.AMDGPU.csdata,"",@progbits
; Kernel info:
; codeLenInByte = 0
; NumSgprs: 0
; NumVgprs: 0
; ScratchSize: 0
; MemoryBound: 0
; FloatMode: 240
; IeeeMode: 1
; LDSByteSize: 0 bytes/workgroup (compile time only)
; SGPRBlocks: 0
; VGPRBlocks: 0
; NumSGPRsForWavesPerEU: 1
; NumVGPRsForWavesPerEU: 1
; Occupancy: 16
; WaveLimiterHint : 0
; COMPUTE_PGM_RSRC2:SCRATCH_EN: 0
; COMPUTE_PGM_RSRC2:USER_SGPR: 15
; COMPUTE_PGM_RSRC2:TRAP_HANDLER: 0
; COMPUTE_PGM_RSRC2:TGID_X_EN: 1
; COMPUTE_PGM_RSRC2:TGID_Y_EN: 0
; COMPUTE_PGM_RSRC2:TGID_Z_EN: 0
; COMPUTE_PGM_RSRC2:TIDIG_COMP_CNT: 0
	.section	.text._ZN7rocprim17ROCPRIM_400000_NS6detail17trampoline_kernelINS0_14default_configENS1_29reduce_by_key_config_selectorIffN6thrust23THRUST_200600_302600_NS4plusIfEEEEZZNS1_33reduce_by_key_impl_wrapped_configILNS1_25lookback_scan_determinismE0ES3_S9_NS6_6detail15normal_iteratorINS6_10device_ptrIfEEEESG_SG_SG_PmS8_NS6_8equal_toIfEEEE10hipError_tPvRmT2_T3_mT4_T5_T6_T7_T8_P12ihipStream_tbENKUlT_T0_E_clISt17integral_constantIbLb0EES10_IbLb1EEEEDaSW_SX_EUlSW_E_NS1_11comp_targetILNS1_3genE2ELNS1_11target_archE906ELNS1_3gpuE6ELNS1_3repE0EEENS1_30default_config_static_selectorELNS0_4arch9wavefront6targetE0EEEvT1_,"axG",@progbits,_ZN7rocprim17ROCPRIM_400000_NS6detail17trampoline_kernelINS0_14default_configENS1_29reduce_by_key_config_selectorIffN6thrust23THRUST_200600_302600_NS4plusIfEEEEZZNS1_33reduce_by_key_impl_wrapped_configILNS1_25lookback_scan_determinismE0ES3_S9_NS6_6detail15normal_iteratorINS6_10device_ptrIfEEEESG_SG_SG_PmS8_NS6_8equal_toIfEEEE10hipError_tPvRmT2_T3_mT4_T5_T6_T7_T8_P12ihipStream_tbENKUlT_T0_E_clISt17integral_constantIbLb0EES10_IbLb1EEEEDaSW_SX_EUlSW_E_NS1_11comp_targetILNS1_3genE2ELNS1_11target_archE906ELNS1_3gpuE6ELNS1_3repE0EEENS1_30default_config_static_selectorELNS0_4arch9wavefront6targetE0EEEvT1_,comdat
	.protected	_ZN7rocprim17ROCPRIM_400000_NS6detail17trampoline_kernelINS0_14default_configENS1_29reduce_by_key_config_selectorIffN6thrust23THRUST_200600_302600_NS4plusIfEEEEZZNS1_33reduce_by_key_impl_wrapped_configILNS1_25lookback_scan_determinismE0ES3_S9_NS6_6detail15normal_iteratorINS6_10device_ptrIfEEEESG_SG_SG_PmS8_NS6_8equal_toIfEEEE10hipError_tPvRmT2_T3_mT4_T5_T6_T7_T8_P12ihipStream_tbENKUlT_T0_E_clISt17integral_constantIbLb0EES10_IbLb1EEEEDaSW_SX_EUlSW_E_NS1_11comp_targetILNS1_3genE2ELNS1_11target_archE906ELNS1_3gpuE6ELNS1_3repE0EEENS1_30default_config_static_selectorELNS0_4arch9wavefront6targetE0EEEvT1_ ; -- Begin function _ZN7rocprim17ROCPRIM_400000_NS6detail17trampoline_kernelINS0_14default_configENS1_29reduce_by_key_config_selectorIffN6thrust23THRUST_200600_302600_NS4plusIfEEEEZZNS1_33reduce_by_key_impl_wrapped_configILNS1_25lookback_scan_determinismE0ES3_S9_NS6_6detail15normal_iteratorINS6_10device_ptrIfEEEESG_SG_SG_PmS8_NS6_8equal_toIfEEEE10hipError_tPvRmT2_T3_mT4_T5_T6_T7_T8_P12ihipStream_tbENKUlT_T0_E_clISt17integral_constantIbLb0EES10_IbLb1EEEEDaSW_SX_EUlSW_E_NS1_11comp_targetILNS1_3genE2ELNS1_11target_archE906ELNS1_3gpuE6ELNS1_3repE0EEENS1_30default_config_static_selectorELNS0_4arch9wavefront6targetE0EEEvT1_
	.globl	_ZN7rocprim17ROCPRIM_400000_NS6detail17trampoline_kernelINS0_14default_configENS1_29reduce_by_key_config_selectorIffN6thrust23THRUST_200600_302600_NS4plusIfEEEEZZNS1_33reduce_by_key_impl_wrapped_configILNS1_25lookback_scan_determinismE0ES3_S9_NS6_6detail15normal_iteratorINS6_10device_ptrIfEEEESG_SG_SG_PmS8_NS6_8equal_toIfEEEE10hipError_tPvRmT2_T3_mT4_T5_T6_T7_T8_P12ihipStream_tbENKUlT_T0_E_clISt17integral_constantIbLb0EES10_IbLb1EEEEDaSW_SX_EUlSW_E_NS1_11comp_targetILNS1_3genE2ELNS1_11target_archE906ELNS1_3gpuE6ELNS1_3repE0EEENS1_30default_config_static_selectorELNS0_4arch9wavefront6targetE0EEEvT1_
	.p2align	8
	.type	_ZN7rocprim17ROCPRIM_400000_NS6detail17trampoline_kernelINS0_14default_configENS1_29reduce_by_key_config_selectorIffN6thrust23THRUST_200600_302600_NS4plusIfEEEEZZNS1_33reduce_by_key_impl_wrapped_configILNS1_25lookback_scan_determinismE0ES3_S9_NS6_6detail15normal_iteratorINS6_10device_ptrIfEEEESG_SG_SG_PmS8_NS6_8equal_toIfEEEE10hipError_tPvRmT2_T3_mT4_T5_T6_T7_T8_P12ihipStream_tbENKUlT_T0_E_clISt17integral_constantIbLb0EES10_IbLb1EEEEDaSW_SX_EUlSW_E_NS1_11comp_targetILNS1_3genE2ELNS1_11target_archE906ELNS1_3gpuE6ELNS1_3repE0EEENS1_30default_config_static_selectorELNS0_4arch9wavefront6targetE0EEEvT1_,@function
_ZN7rocprim17ROCPRIM_400000_NS6detail17trampoline_kernelINS0_14default_configENS1_29reduce_by_key_config_selectorIffN6thrust23THRUST_200600_302600_NS4plusIfEEEEZZNS1_33reduce_by_key_impl_wrapped_configILNS1_25lookback_scan_determinismE0ES3_S9_NS6_6detail15normal_iteratorINS6_10device_ptrIfEEEESG_SG_SG_PmS8_NS6_8equal_toIfEEEE10hipError_tPvRmT2_T3_mT4_T5_T6_T7_T8_P12ihipStream_tbENKUlT_T0_E_clISt17integral_constantIbLb0EES10_IbLb1EEEEDaSW_SX_EUlSW_E_NS1_11comp_targetILNS1_3genE2ELNS1_11target_archE906ELNS1_3gpuE6ELNS1_3repE0EEENS1_30default_config_static_selectorELNS0_4arch9wavefront6targetE0EEEvT1_: ; @_ZN7rocprim17ROCPRIM_400000_NS6detail17trampoline_kernelINS0_14default_configENS1_29reduce_by_key_config_selectorIffN6thrust23THRUST_200600_302600_NS4plusIfEEEEZZNS1_33reduce_by_key_impl_wrapped_configILNS1_25lookback_scan_determinismE0ES3_S9_NS6_6detail15normal_iteratorINS6_10device_ptrIfEEEESG_SG_SG_PmS8_NS6_8equal_toIfEEEE10hipError_tPvRmT2_T3_mT4_T5_T6_T7_T8_P12ihipStream_tbENKUlT_T0_E_clISt17integral_constantIbLb0EES10_IbLb1EEEEDaSW_SX_EUlSW_E_NS1_11comp_targetILNS1_3genE2ELNS1_11target_archE906ELNS1_3gpuE6ELNS1_3repE0EEENS1_30default_config_static_selectorELNS0_4arch9wavefront6targetE0EEEvT1_
; %bb.0:
	.section	.rodata,"a",@progbits
	.p2align	6, 0x0
	.amdhsa_kernel _ZN7rocprim17ROCPRIM_400000_NS6detail17trampoline_kernelINS0_14default_configENS1_29reduce_by_key_config_selectorIffN6thrust23THRUST_200600_302600_NS4plusIfEEEEZZNS1_33reduce_by_key_impl_wrapped_configILNS1_25lookback_scan_determinismE0ES3_S9_NS6_6detail15normal_iteratorINS6_10device_ptrIfEEEESG_SG_SG_PmS8_NS6_8equal_toIfEEEE10hipError_tPvRmT2_T3_mT4_T5_T6_T7_T8_P12ihipStream_tbENKUlT_T0_E_clISt17integral_constantIbLb0EES10_IbLb1EEEEDaSW_SX_EUlSW_E_NS1_11comp_targetILNS1_3genE2ELNS1_11target_archE906ELNS1_3gpuE6ELNS1_3repE0EEENS1_30default_config_static_selectorELNS0_4arch9wavefront6targetE0EEEvT1_
		.amdhsa_group_segment_fixed_size 0
		.amdhsa_private_segment_fixed_size 0
		.amdhsa_kernarg_size 120
		.amdhsa_user_sgpr_count 15
		.amdhsa_user_sgpr_dispatch_ptr 0
		.amdhsa_user_sgpr_queue_ptr 0
		.amdhsa_user_sgpr_kernarg_segment_ptr 1
		.amdhsa_user_sgpr_dispatch_id 0
		.amdhsa_user_sgpr_private_segment_size 0
		.amdhsa_wavefront_size32 1
		.amdhsa_uses_dynamic_stack 0
		.amdhsa_enable_private_segment 0
		.amdhsa_system_sgpr_workgroup_id_x 1
		.amdhsa_system_sgpr_workgroup_id_y 0
		.amdhsa_system_sgpr_workgroup_id_z 0
		.amdhsa_system_sgpr_workgroup_info 0
		.amdhsa_system_vgpr_workitem_id 0
		.amdhsa_next_free_vgpr 1
		.amdhsa_next_free_sgpr 1
		.amdhsa_reserve_vcc 0
		.amdhsa_float_round_mode_32 0
		.amdhsa_float_round_mode_16_64 0
		.amdhsa_float_denorm_mode_32 3
		.amdhsa_float_denorm_mode_16_64 3
		.amdhsa_dx10_clamp 1
		.amdhsa_ieee_mode 1
		.amdhsa_fp16_overflow 0
		.amdhsa_workgroup_processor_mode 1
		.amdhsa_memory_ordered 1
		.amdhsa_forward_progress 0
		.amdhsa_shared_vgpr_count 0
		.amdhsa_exception_fp_ieee_invalid_op 0
		.amdhsa_exception_fp_denorm_src 0
		.amdhsa_exception_fp_ieee_div_zero 0
		.amdhsa_exception_fp_ieee_overflow 0
		.amdhsa_exception_fp_ieee_underflow 0
		.amdhsa_exception_fp_ieee_inexact 0
		.amdhsa_exception_int_div_zero 0
	.end_amdhsa_kernel
	.section	.text._ZN7rocprim17ROCPRIM_400000_NS6detail17trampoline_kernelINS0_14default_configENS1_29reduce_by_key_config_selectorIffN6thrust23THRUST_200600_302600_NS4plusIfEEEEZZNS1_33reduce_by_key_impl_wrapped_configILNS1_25lookback_scan_determinismE0ES3_S9_NS6_6detail15normal_iteratorINS6_10device_ptrIfEEEESG_SG_SG_PmS8_NS6_8equal_toIfEEEE10hipError_tPvRmT2_T3_mT4_T5_T6_T7_T8_P12ihipStream_tbENKUlT_T0_E_clISt17integral_constantIbLb0EES10_IbLb1EEEEDaSW_SX_EUlSW_E_NS1_11comp_targetILNS1_3genE2ELNS1_11target_archE906ELNS1_3gpuE6ELNS1_3repE0EEENS1_30default_config_static_selectorELNS0_4arch9wavefront6targetE0EEEvT1_,"axG",@progbits,_ZN7rocprim17ROCPRIM_400000_NS6detail17trampoline_kernelINS0_14default_configENS1_29reduce_by_key_config_selectorIffN6thrust23THRUST_200600_302600_NS4plusIfEEEEZZNS1_33reduce_by_key_impl_wrapped_configILNS1_25lookback_scan_determinismE0ES3_S9_NS6_6detail15normal_iteratorINS6_10device_ptrIfEEEESG_SG_SG_PmS8_NS6_8equal_toIfEEEE10hipError_tPvRmT2_T3_mT4_T5_T6_T7_T8_P12ihipStream_tbENKUlT_T0_E_clISt17integral_constantIbLb0EES10_IbLb1EEEEDaSW_SX_EUlSW_E_NS1_11comp_targetILNS1_3genE2ELNS1_11target_archE906ELNS1_3gpuE6ELNS1_3repE0EEENS1_30default_config_static_selectorELNS0_4arch9wavefront6targetE0EEEvT1_,comdat
.Lfunc_end195:
	.size	_ZN7rocprim17ROCPRIM_400000_NS6detail17trampoline_kernelINS0_14default_configENS1_29reduce_by_key_config_selectorIffN6thrust23THRUST_200600_302600_NS4plusIfEEEEZZNS1_33reduce_by_key_impl_wrapped_configILNS1_25lookback_scan_determinismE0ES3_S9_NS6_6detail15normal_iteratorINS6_10device_ptrIfEEEESG_SG_SG_PmS8_NS6_8equal_toIfEEEE10hipError_tPvRmT2_T3_mT4_T5_T6_T7_T8_P12ihipStream_tbENKUlT_T0_E_clISt17integral_constantIbLb0EES10_IbLb1EEEEDaSW_SX_EUlSW_E_NS1_11comp_targetILNS1_3genE2ELNS1_11target_archE906ELNS1_3gpuE6ELNS1_3repE0EEENS1_30default_config_static_selectorELNS0_4arch9wavefront6targetE0EEEvT1_, .Lfunc_end195-_ZN7rocprim17ROCPRIM_400000_NS6detail17trampoline_kernelINS0_14default_configENS1_29reduce_by_key_config_selectorIffN6thrust23THRUST_200600_302600_NS4plusIfEEEEZZNS1_33reduce_by_key_impl_wrapped_configILNS1_25lookback_scan_determinismE0ES3_S9_NS6_6detail15normal_iteratorINS6_10device_ptrIfEEEESG_SG_SG_PmS8_NS6_8equal_toIfEEEE10hipError_tPvRmT2_T3_mT4_T5_T6_T7_T8_P12ihipStream_tbENKUlT_T0_E_clISt17integral_constantIbLb0EES10_IbLb1EEEEDaSW_SX_EUlSW_E_NS1_11comp_targetILNS1_3genE2ELNS1_11target_archE906ELNS1_3gpuE6ELNS1_3repE0EEENS1_30default_config_static_selectorELNS0_4arch9wavefront6targetE0EEEvT1_
                                        ; -- End function
	.section	.AMDGPU.csdata,"",@progbits
; Kernel info:
; codeLenInByte = 0
; NumSgprs: 0
; NumVgprs: 0
; ScratchSize: 0
; MemoryBound: 0
; FloatMode: 240
; IeeeMode: 1
; LDSByteSize: 0 bytes/workgroup (compile time only)
; SGPRBlocks: 0
; VGPRBlocks: 0
; NumSGPRsForWavesPerEU: 1
; NumVGPRsForWavesPerEU: 1
; Occupancy: 16
; WaveLimiterHint : 0
; COMPUTE_PGM_RSRC2:SCRATCH_EN: 0
; COMPUTE_PGM_RSRC2:USER_SGPR: 15
; COMPUTE_PGM_RSRC2:TRAP_HANDLER: 0
; COMPUTE_PGM_RSRC2:TGID_X_EN: 1
; COMPUTE_PGM_RSRC2:TGID_Y_EN: 0
; COMPUTE_PGM_RSRC2:TGID_Z_EN: 0
; COMPUTE_PGM_RSRC2:TIDIG_COMP_CNT: 0
	.section	.text._ZN7rocprim17ROCPRIM_400000_NS6detail17trampoline_kernelINS0_14default_configENS1_29reduce_by_key_config_selectorIffN6thrust23THRUST_200600_302600_NS4plusIfEEEEZZNS1_33reduce_by_key_impl_wrapped_configILNS1_25lookback_scan_determinismE0ES3_S9_NS6_6detail15normal_iteratorINS6_10device_ptrIfEEEESG_SG_SG_PmS8_NS6_8equal_toIfEEEE10hipError_tPvRmT2_T3_mT4_T5_T6_T7_T8_P12ihipStream_tbENKUlT_T0_E_clISt17integral_constantIbLb0EES10_IbLb1EEEEDaSW_SX_EUlSW_E_NS1_11comp_targetILNS1_3genE10ELNS1_11target_archE1201ELNS1_3gpuE5ELNS1_3repE0EEENS1_30default_config_static_selectorELNS0_4arch9wavefront6targetE0EEEvT1_,"axG",@progbits,_ZN7rocprim17ROCPRIM_400000_NS6detail17trampoline_kernelINS0_14default_configENS1_29reduce_by_key_config_selectorIffN6thrust23THRUST_200600_302600_NS4plusIfEEEEZZNS1_33reduce_by_key_impl_wrapped_configILNS1_25lookback_scan_determinismE0ES3_S9_NS6_6detail15normal_iteratorINS6_10device_ptrIfEEEESG_SG_SG_PmS8_NS6_8equal_toIfEEEE10hipError_tPvRmT2_T3_mT4_T5_T6_T7_T8_P12ihipStream_tbENKUlT_T0_E_clISt17integral_constantIbLb0EES10_IbLb1EEEEDaSW_SX_EUlSW_E_NS1_11comp_targetILNS1_3genE10ELNS1_11target_archE1201ELNS1_3gpuE5ELNS1_3repE0EEENS1_30default_config_static_selectorELNS0_4arch9wavefront6targetE0EEEvT1_,comdat
	.protected	_ZN7rocprim17ROCPRIM_400000_NS6detail17trampoline_kernelINS0_14default_configENS1_29reduce_by_key_config_selectorIffN6thrust23THRUST_200600_302600_NS4plusIfEEEEZZNS1_33reduce_by_key_impl_wrapped_configILNS1_25lookback_scan_determinismE0ES3_S9_NS6_6detail15normal_iteratorINS6_10device_ptrIfEEEESG_SG_SG_PmS8_NS6_8equal_toIfEEEE10hipError_tPvRmT2_T3_mT4_T5_T6_T7_T8_P12ihipStream_tbENKUlT_T0_E_clISt17integral_constantIbLb0EES10_IbLb1EEEEDaSW_SX_EUlSW_E_NS1_11comp_targetILNS1_3genE10ELNS1_11target_archE1201ELNS1_3gpuE5ELNS1_3repE0EEENS1_30default_config_static_selectorELNS0_4arch9wavefront6targetE0EEEvT1_ ; -- Begin function _ZN7rocprim17ROCPRIM_400000_NS6detail17trampoline_kernelINS0_14default_configENS1_29reduce_by_key_config_selectorIffN6thrust23THRUST_200600_302600_NS4plusIfEEEEZZNS1_33reduce_by_key_impl_wrapped_configILNS1_25lookback_scan_determinismE0ES3_S9_NS6_6detail15normal_iteratorINS6_10device_ptrIfEEEESG_SG_SG_PmS8_NS6_8equal_toIfEEEE10hipError_tPvRmT2_T3_mT4_T5_T6_T7_T8_P12ihipStream_tbENKUlT_T0_E_clISt17integral_constantIbLb0EES10_IbLb1EEEEDaSW_SX_EUlSW_E_NS1_11comp_targetILNS1_3genE10ELNS1_11target_archE1201ELNS1_3gpuE5ELNS1_3repE0EEENS1_30default_config_static_selectorELNS0_4arch9wavefront6targetE0EEEvT1_
	.globl	_ZN7rocprim17ROCPRIM_400000_NS6detail17trampoline_kernelINS0_14default_configENS1_29reduce_by_key_config_selectorIffN6thrust23THRUST_200600_302600_NS4plusIfEEEEZZNS1_33reduce_by_key_impl_wrapped_configILNS1_25lookback_scan_determinismE0ES3_S9_NS6_6detail15normal_iteratorINS6_10device_ptrIfEEEESG_SG_SG_PmS8_NS6_8equal_toIfEEEE10hipError_tPvRmT2_T3_mT4_T5_T6_T7_T8_P12ihipStream_tbENKUlT_T0_E_clISt17integral_constantIbLb0EES10_IbLb1EEEEDaSW_SX_EUlSW_E_NS1_11comp_targetILNS1_3genE10ELNS1_11target_archE1201ELNS1_3gpuE5ELNS1_3repE0EEENS1_30default_config_static_selectorELNS0_4arch9wavefront6targetE0EEEvT1_
	.p2align	8
	.type	_ZN7rocprim17ROCPRIM_400000_NS6detail17trampoline_kernelINS0_14default_configENS1_29reduce_by_key_config_selectorIffN6thrust23THRUST_200600_302600_NS4plusIfEEEEZZNS1_33reduce_by_key_impl_wrapped_configILNS1_25lookback_scan_determinismE0ES3_S9_NS6_6detail15normal_iteratorINS6_10device_ptrIfEEEESG_SG_SG_PmS8_NS6_8equal_toIfEEEE10hipError_tPvRmT2_T3_mT4_T5_T6_T7_T8_P12ihipStream_tbENKUlT_T0_E_clISt17integral_constantIbLb0EES10_IbLb1EEEEDaSW_SX_EUlSW_E_NS1_11comp_targetILNS1_3genE10ELNS1_11target_archE1201ELNS1_3gpuE5ELNS1_3repE0EEENS1_30default_config_static_selectorELNS0_4arch9wavefront6targetE0EEEvT1_,@function
_ZN7rocprim17ROCPRIM_400000_NS6detail17trampoline_kernelINS0_14default_configENS1_29reduce_by_key_config_selectorIffN6thrust23THRUST_200600_302600_NS4plusIfEEEEZZNS1_33reduce_by_key_impl_wrapped_configILNS1_25lookback_scan_determinismE0ES3_S9_NS6_6detail15normal_iteratorINS6_10device_ptrIfEEEESG_SG_SG_PmS8_NS6_8equal_toIfEEEE10hipError_tPvRmT2_T3_mT4_T5_T6_T7_T8_P12ihipStream_tbENKUlT_T0_E_clISt17integral_constantIbLb0EES10_IbLb1EEEEDaSW_SX_EUlSW_E_NS1_11comp_targetILNS1_3genE10ELNS1_11target_archE1201ELNS1_3gpuE5ELNS1_3repE0EEENS1_30default_config_static_selectorELNS0_4arch9wavefront6targetE0EEEvT1_: ; @_ZN7rocprim17ROCPRIM_400000_NS6detail17trampoline_kernelINS0_14default_configENS1_29reduce_by_key_config_selectorIffN6thrust23THRUST_200600_302600_NS4plusIfEEEEZZNS1_33reduce_by_key_impl_wrapped_configILNS1_25lookback_scan_determinismE0ES3_S9_NS6_6detail15normal_iteratorINS6_10device_ptrIfEEEESG_SG_SG_PmS8_NS6_8equal_toIfEEEE10hipError_tPvRmT2_T3_mT4_T5_T6_T7_T8_P12ihipStream_tbENKUlT_T0_E_clISt17integral_constantIbLb0EES10_IbLb1EEEEDaSW_SX_EUlSW_E_NS1_11comp_targetILNS1_3genE10ELNS1_11target_archE1201ELNS1_3gpuE5ELNS1_3repE0EEENS1_30default_config_static_selectorELNS0_4arch9wavefront6targetE0EEEvT1_
; %bb.0:
	.section	.rodata,"a",@progbits
	.p2align	6, 0x0
	.amdhsa_kernel _ZN7rocprim17ROCPRIM_400000_NS6detail17trampoline_kernelINS0_14default_configENS1_29reduce_by_key_config_selectorIffN6thrust23THRUST_200600_302600_NS4plusIfEEEEZZNS1_33reduce_by_key_impl_wrapped_configILNS1_25lookback_scan_determinismE0ES3_S9_NS6_6detail15normal_iteratorINS6_10device_ptrIfEEEESG_SG_SG_PmS8_NS6_8equal_toIfEEEE10hipError_tPvRmT2_T3_mT4_T5_T6_T7_T8_P12ihipStream_tbENKUlT_T0_E_clISt17integral_constantIbLb0EES10_IbLb1EEEEDaSW_SX_EUlSW_E_NS1_11comp_targetILNS1_3genE10ELNS1_11target_archE1201ELNS1_3gpuE5ELNS1_3repE0EEENS1_30default_config_static_selectorELNS0_4arch9wavefront6targetE0EEEvT1_
		.amdhsa_group_segment_fixed_size 0
		.amdhsa_private_segment_fixed_size 0
		.amdhsa_kernarg_size 120
		.amdhsa_user_sgpr_count 15
		.amdhsa_user_sgpr_dispatch_ptr 0
		.amdhsa_user_sgpr_queue_ptr 0
		.amdhsa_user_sgpr_kernarg_segment_ptr 1
		.amdhsa_user_sgpr_dispatch_id 0
		.amdhsa_user_sgpr_private_segment_size 0
		.amdhsa_wavefront_size32 1
		.amdhsa_uses_dynamic_stack 0
		.amdhsa_enable_private_segment 0
		.amdhsa_system_sgpr_workgroup_id_x 1
		.amdhsa_system_sgpr_workgroup_id_y 0
		.amdhsa_system_sgpr_workgroup_id_z 0
		.amdhsa_system_sgpr_workgroup_info 0
		.amdhsa_system_vgpr_workitem_id 0
		.amdhsa_next_free_vgpr 1
		.amdhsa_next_free_sgpr 1
		.amdhsa_reserve_vcc 0
		.amdhsa_float_round_mode_32 0
		.amdhsa_float_round_mode_16_64 0
		.amdhsa_float_denorm_mode_32 3
		.amdhsa_float_denorm_mode_16_64 3
		.amdhsa_dx10_clamp 1
		.amdhsa_ieee_mode 1
		.amdhsa_fp16_overflow 0
		.amdhsa_workgroup_processor_mode 1
		.amdhsa_memory_ordered 1
		.amdhsa_forward_progress 0
		.amdhsa_shared_vgpr_count 0
		.amdhsa_exception_fp_ieee_invalid_op 0
		.amdhsa_exception_fp_denorm_src 0
		.amdhsa_exception_fp_ieee_div_zero 0
		.amdhsa_exception_fp_ieee_overflow 0
		.amdhsa_exception_fp_ieee_underflow 0
		.amdhsa_exception_fp_ieee_inexact 0
		.amdhsa_exception_int_div_zero 0
	.end_amdhsa_kernel
	.section	.text._ZN7rocprim17ROCPRIM_400000_NS6detail17trampoline_kernelINS0_14default_configENS1_29reduce_by_key_config_selectorIffN6thrust23THRUST_200600_302600_NS4plusIfEEEEZZNS1_33reduce_by_key_impl_wrapped_configILNS1_25lookback_scan_determinismE0ES3_S9_NS6_6detail15normal_iteratorINS6_10device_ptrIfEEEESG_SG_SG_PmS8_NS6_8equal_toIfEEEE10hipError_tPvRmT2_T3_mT4_T5_T6_T7_T8_P12ihipStream_tbENKUlT_T0_E_clISt17integral_constantIbLb0EES10_IbLb1EEEEDaSW_SX_EUlSW_E_NS1_11comp_targetILNS1_3genE10ELNS1_11target_archE1201ELNS1_3gpuE5ELNS1_3repE0EEENS1_30default_config_static_selectorELNS0_4arch9wavefront6targetE0EEEvT1_,"axG",@progbits,_ZN7rocprim17ROCPRIM_400000_NS6detail17trampoline_kernelINS0_14default_configENS1_29reduce_by_key_config_selectorIffN6thrust23THRUST_200600_302600_NS4plusIfEEEEZZNS1_33reduce_by_key_impl_wrapped_configILNS1_25lookback_scan_determinismE0ES3_S9_NS6_6detail15normal_iteratorINS6_10device_ptrIfEEEESG_SG_SG_PmS8_NS6_8equal_toIfEEEE10hipError_tPvRmT2_T3_mT4_T5_T6_T7_T8_P12ihipStream_tbENKUlT_T0_E_clISt17integral_constantIbLb0EES10_IbLb1EEEEDaSW_SX_EUlSW_E_NS1_11comp_targetILNS1_3genE10ELNS1_11target_archE1201ELNS1_3gpuE5ELNS1_3repE0EEENS1_30default_config_static_selectorELNS0_4arch9wavefront6targetE0EEEvT1_,comdat
.Lfunc_end196:
	.size	_ZN7rocprim17ROCPRIM_400000_NS6detail17trampoline_kernelINS0_14default_configENS1_29reduce_by_key_config_selectorIffN6thrust23THRUST_200600_302600_NS4plusIfEEEEZZNS1_33reduce_by_key_impl_wrapped_configILNS1_25lookback_scan_determinismE0ES3_S9_NS6_6detail15normal_iteratorINS6_10device_ptrIfEEEESG_SG_SG_PmS8_NS6_8equal_toIfEEEE10hipError_tPvRmT2_T3_mT4_T5_T6_T7_T8_P12ihipStream_tbENKUlT_T0_E_clISt17integral_constantIbLb0EES10_IbLb1EEEEDaSW_SX_EUlSW_E_NS1_11comp_targetILNS1_3genE10ELNS1_11target_archE1201ELNS1_3gpuE5ELNS1_3repE0EEENS1_30default_config_static_selectorELNS0_4arch9wavefront6targetE0EEEvT1_, .Lfunc_end196-_ZN7rocprim17ROCPRIM_400000_NS6detail17trampoline_kernelINS0_14default_configENS1_29reduce_by_key_config_selectorIffN6thrust23THRUST_200600_302600_NS4plusIfEEEEZZNS1_33reduce_by_key_impl_wrapped_configILNS1_25lookback_scan_determinismE0ES3_S9_NS6_6detail15normal_iteratorINS6_10device_ptrIfEEEESG_SG_SG_PmS8_NS6_8equal_toIfEEEE10hipError_tPvRmT2_T3_mT4_T5_T6_T7_T8_P12ihipStream_tbENKUlT_T0_E_clISt17integral_constantIbLb0EES10_IbLb1EEEEDaSW_SX_EUlSW_E_NS1_11comp_targetILNS1_3genE10ELNS1_11target_archE1201ELNS1_3gpuE5ELNS1_3repE0EEENS1_30default_config_static_selectorELNS0_4arch9wavefront6targetE0EEEvT1_
                                        ; -- End function
	.section	.AMDGPU.csdata,"",@progbits
; Kernel info:
; codeLenInByte = 0
; NumSgprs: 0
; NumVgprs: 0
; ScratchSize: 0
; MemoryBound: 0
; FloatMode: 240
; IeeeMode: 1
; LDSByteSize: 0 bytes/workgroup (compile time only)
; SGPRBlocks: 0
; VGPRBlocks: 0
; NumSGPRsForWavesPerEU: 1
; NumVGPRsForWavesPerEU: 1
; Occupancy: 16
; WaveLimiterHint : 0
; COMPUTE_PGM_RSRC2:SCRATCH_EN: 0
; COMPUTE_PGM_RSRC2:USER_SGPR: 15
; COMPUTE_PGM_RSRC2:TRAP_HANDLER: 0
; COMPUTE_PGM_RSRC2:TGID_X_EN: 1
; COMPUTE_PGM_RSRC2:TGID_Y_EN: 0
; COMPUTE_PGM_RSRC2:TGID_Z_EN: 0
; COMPUTE_PGM_RSRC2:TIDIG_COMP_CNT: 0
	.section	.text._ZN7rocprim17ROCPRIM_400000_NS6detail17trampoline_kernelINS0_14default_configENS1_29reduce_by_key_config_selectorIffN6thrust23THRUST_200600_302600_NS4plusIfEEEEZZNS1_33reduce_by_key_impl_wrapped_configILNS1_25lookback_scan_determinismE0ES3_S9_NS6_6detail15normal_iteratorINS6_10device_ptrIfEEEESG_SG_SG_PmS8_NS6_8equal_toIfEEEE10hipError_tPvRmT2_T3_mT4_T5_T6_T7_T8_P12ihipStream_tbENKUlT_T0_E_clISt17integral_constantIbLb0EES10_IbLb1EEEEDaSW_SX_EUlSW_E_NS1_11comp_targetILNS1_3genE10ELNS1_11target_archE1200ELNS1_3gpuE4ELNS1_3repE0EEENS1_30default_config_static_selectorELNS0_4arch9wavefront6targetE0EEEvT1_,"axG",@progbits,_ZN7rocprim17ROCPRIM_400000_NS6detail17trampoline_kernelINS0_14default_configENS1_29reduce_by_key_config_selectorIffN6thrust23THRUST_200600_302600_NS4plusIfEEEEZZNS1_33reduce_by_key_impl_wrapped_configILNS1_25lookback_scan_determinismE0ES3_S9_NS6_6detail15normal_iteratorINS6_10device_ptrIfEEEESG_SG_SG_PmS8_NS6_8equal_toIfEEEE10hipError_tPvRmT2_T3_mT4_T5_T6_T7_T8_P12ihipStream_tbENKUlT_T0_E_clISt17integral_constantIbLb0EES10_IbLb1EEEEDaSW_SX_EUlSW_E_NS1_11comp_targetILNS1_3genE10ELNS1_11target_archE1200ELNS1_3gpuE4ELNS1_3repE0EEENS1_30default_config_static_selectorELNS0_4arch9wavefront6targetE0EEEvT1_,comdat
	.protected	_ZN7rocprim17ROCPRIM_400000_NS6detail17trampoline_kernelINS0_14default_configENS1_29reduce_by_key_config_selectorIffN6thrust23THRUST_200600_302600_NS4plusIfEEEEZZNS1_33reduce_by_key_impl_wrapped_configILNS1_25lookback_scan_determinismE0ES3_S9_NS6_6detail15normal_iteratorINS6_10device_ptrIfEEEESG_SG_SG_PmS8_NS6_8equal_toIfEEEE10hipError_tPvRmT2_T3_mT4_T5_T6_T7_T8_P12ihipStream_tbENKUlT_T0_E_clISt17integral_constantIbLb0EES10_IbLb1EEEEDaSW_SX_EUlSW_E_NS1_11comp_targetILNS1_3genE10ELNS1_11target_archE1200ELNS1_3gpuE4ELNS1_3repE0EEENS1_30default_config_static_selectorELNS0_4arch9wavefront6targetE0EEEvT1_ ; -- Begin function _ZN7rocprim17ROCPRIM_400000_NS6detail17trampoline_kernelINS0_14default_configENS1_29reduce_by_key_config_selectorIffN6thrust23THRUST_200600_302600_NS4plusIfEEEEZZNS1_33reduce_by_key_impl_wrapped_configILNS1_25lookback_scan_determinismE0ES3_S9_NS6_6detail15normal_iteratorINS6_10device_ptrIfEEEESG_SG_SG_PmS8_NS6_8equal_toIfEEEE10hipError_tPvRmT2_T3_mT4_T5_T6_T7_T8_P12ihipStream_tbENKUlT_T0_E_clISt17integral_constantIbLb0EES10_IbLb1EEEEDaSW_SX_EUlSW_E_NS1_11comp_targetILNS1_3genE10ELNS1_11target_archE1200ELNS1_3gpuE4ELNS1_3repE0EEENS1_30default_config_static_selectorELNS0_4arch9wavefront6targetE0EEEvT1_
	.globl	_ZN7rocprim17ROCPRIM_400000_NS6detail17trampoline_kernelINS0_14default_configENS1_29reduce_by_key_config_selectorIffN6thrust23THRUST_200600_302600_NS4plusIfEEEEZZNS1_33reduce_by_key_impl_wrapped_configILNS1_25lookback_scan_determinismE0ES3_S9_NS6_6detail15normal_iteratorINS6_10device_ptrIfEEEESG_SG_SG_PmS8_NS6_8equal_toIfEEEE10hipError_tPvRmT2_T3_mT4_T5_T6_T7_T8_P12ihipStream_tbENKUlT_T0_E_clISt17integral_constantIbLb0EES10_IbLb1EEEEDaSW_SX_EUlSW_E_NS1_11comp_targetILNS1_3genE10ELNS1_11target_archE1200ELNS1_3gpuE4ELNS1_3repE0EEENS1_30default_config_static_selectorELNS0_4arch9wavefront6targetE0EEEvT1_
	.p2align	8
	.type	_ZN7rocprim17ROCPRIM_400000_NS6detail17trampoline_kernelINS0_14default_configENS1_29reduce_by_key_config_selectorIffN6thrust23THRUST_200600_302600_NS4plusIfEEEEZZNS1_33reduce_by_key_impl_wrapped_configILNS1_25lookback_scan_determinismE0ES3_S9_NS6_6detail15normal_iteratorINS6_10device_ptrIfEEEESG_SG_SG_PmS8_NS6_8equal_toIfEEEE10hipError_tPvRmT2_T3_mT4_T5_T6_T7_T8_P12ihipStream_tbENKUlT_T0_E_clISt17integral_constantIbLb0EES10_IbLb1EEEEDaSW_SX_EUlSW_E_NS1_11comp_targetILNS1_3genE10ELNS1_11target_archE1200ELNS1_3gpuE4ELNS1_3repE0EEENS1_30default_config_static_selectorELNS0_4arch9wavefront6targetE0EEEvT1_,@function
_ZN7rocprim17ROCPRIM_400000_NS6detail17trampoline_kernelINS0_14default_configENS1_29reduce_by_key_config_selectorIffN6thrust23THRUST_200600_302600_NS4plusIfEEEEZZNS1_33reduce_by_key_impl_wrapped_configILNS1_25lookback_scan_determinismE0ES3_S9_NS6_6detail15normal_iteratorINS6_10device_ptrIfEEEESG_SG_SG_PmS8_NS6_8equal_toIfEEEE10hipError_tPvRmT2_T3_mT4_T5_T6_T7_T8_P12ihipStream_tbENKUlT_T0_E_clISt17integral_constantIbLb0EES10_IbLb1EEEEDaSW_SX_EUlSW_E_NS1_11comp_targetILNS1_3genE10ELNS1_11target_archE1200ELNS1_3gpuE4ELNS1_3repE0EEENS1_30default_config_static_selectorELNS0_4arch9wavefront6targetE0EEEvT1_: ; @_ZN7rocprim17ROCPRIM_400000_NS6detail17trampoline_kernelINS0_14default_configENS1_29reduce_by_key_config_selectorIffN6thrust23THRUST_200600_302600_NS4plusIfEEEEZZNS1_33reduce_by_key_impl_wrapped_configILNS1_25lookback_scan_determinismE0ES3_S9_NS6_6detail15normal_iteratorINS6_10device_ptrIfEEEESG_SG_SG_PmS8_NS6_8equal_toIfEEEE10hipError_tPvRmT2_T3_mT4_T5_T6_T7_T8_P12ihipStream_tbENKUlT_T0_E_clISt17integral_constantIbLb0EES10_IbLb1EEEEDaSW_SX_EUlSW_E_NS1_11comp_targetILNS1_3genE10ELNS1_11target_archE1200ELNS1_3gpuE4ELNS1_3repE0EEENS1_30default_config_static_selectorELNS0_4arch9wavefront6targetE0EEEvT1_
; %bb.0:
	.section	.rodata,"a",@progbits
	.p2align	6, 0x0
	.amdhsa_kernel _ZN7rocprim17ROCPRIM_400000_NS6detail17trampoline_kernelINS0_14default_configENS1_29reduce_by_key_config_selectorIffN6thrust23THRUST_200600_302600_NS4plusIfEEEEZZNS1_33reduce_by_key_impl_wrapped_configILNS1_25lookback_scan_determinismE0ES3_S9_NS6_6detail15normal_iteratorINS6_10device_ptrIfEEEESG_SG_SG_PmS8_NS6_8equal_toIfEEEE10hipError_tPvRmT2_T3_mT4_T5_T6_T7_T8_P12ihipStream_tbENKUlT_T0_E_clISt17integral_constantIbLb0EES10_IbLb1EEEEDaSW_SX_EUlSW_E_NS1_11comp_targetILNS1_3genE10ELNS1_11target_archE1200ELNS1_3gpuE4ELNS1_3repE0EEENS1_30default_config_static_selectorELNS0_4arch9wavefront6targetE0EEEvT1_
		.amdhsa_group_segment_fixed_size 0
		.amdhsa_private_segment_fixed_size 0
		.amdhsa_kernarg_size 120
		.amdhsa_user_sgpr_count 15
		.amdhsa_user_sgpr_dispatch_ptr 0
		.amdhsa_user_sgpr_queue_ptr 0
		.amdhsa_user_sgpr_kernarg_segment_ptr 1
		.amdhsa_user_sgpr_dispatch_id 0
		.amdhsa_user_sgpr_private_segment_size 0
		.amdhsa_wavefront_size32 1
		.amdhsa_uses_dynamic_stack 0
		.amdhsa_enable_private_segment 0
		.amdhsa_system_sgpr_workgroup_id_x 1
		.amdhsa_system_sgpr_workgroup_id_y 0
		.amdhsa_system_sgpr_workgroup_id_z 0
		.amdhsa_system_sgpr_workgroup_info 0
		.amdhsa_system_vgpr_workitem_id 0
		.amdhsa_next_free_vgpr 1
		.amdhsa_next_free_sgpr 1
		.amdhsa_reserve_vcc 0
		.amdhsa_float_round_mode_32 0
		.amdhsa_float_round_mode_16_64 0
		.amdhsa_float_denorm_mode_32 3
		.amdhsa_float_denorm_mode_16_64 3
		.amdhsa_dx10_clamp 1
		.amdhsa_ieee_mode 1
		.amdhsa_fp16_overflow 0
		.amdhsa_workgroup_processor_mode 1
		.amdhsa_memory_ordered 1
		.amdhsa_forward_progress 0
		.amdhsa_shared_vgpr_count 0
		.amdhsa_exception_fp_ieee_invalid_op 0
		.amdhsa_exception_fp_denorm_src 0
		.amdhsa_exception_fp_ieee_div_zero 0
		.amdhsa_exception_fp_ieee_overflow 0
		.amdhsa_exception_fp_ieee_underflow 0
		.amdhsa_exception_fp_ieee_inexact 0
		.amdhsa_exception_int_div_zero 0
	.end_amdhsa_kernel
	.section	.text._ZN7rocprim17ROCPRIM_400000_NS6detail17trampoline_kernelINS0_14default_configENS1_29reduce_by_key_config_selectorIffN6thrust23THRUST_200600_302600_NS4plusIfEEEEZZNS1_33reduce_by_key_impl_wrapped_configILNS1_25lookback_scan_determinismE0ES3_S9_NS6_6detail15normal_iteratorINS6_10device_ptrIfEEEESG_SG_SG_PmS8_NS6_8equal_toIfEEEE10hipError_tPvRmT2_T3_mT4_T5_T6_T7_T8_P12ihipStream_tbENKUlT_T0_E_clISt17integral_constantIbLb0EES10_IbLb1EEEEDaSW_SX_EUlSW_E_NS1_11comp_targetILNS1_3genE10ELNS1_11target_archE1200ELNS1_3gpuE4ELNS1_3repE0EEENS1_30default_config_static_selectorELNS0_4arch9wavefront6targetE0EEEvT1_,"axG",@progbits,_ZN7rocprim17ROCPRIM_400000_NS6detail17trampoline_kernelINS0_14default_configENS1_29reduce_by_key_config_selectorIffN6thrust23THRUST_200600_302600_NS4plusIfEEEEZZNS1_33reduce_by_key_impl_wrapped_configILNS1_25lookback_scan_determinismE0ES3_S9_NS6_6detail15normal_iteratorINS6_10device_ptrIfEEEESG_SG_SG_PmS8_NS6_8equal_toIfEEEE10hipError_tPvRmT2_T3_mT4_T5_T6_T7_T8_P12ihipStream_tbENKUlT_T0_E_clISt17integral_constantIbLb0EES10_IbLb1EEEEDaSW_SX_EUlSW_E_NS1_11comp_targetILNS1_3genE10ELNS1_11target_archE1200ELNS1_3gpuE4ELNS1_3repE0EEENS1_30default_config_static_selectorELNS0_4arch9wavefront6targetE0EEEvT1_,comdat
.Lfunc_end197:
	.size	_ZN7rocprim17ROCPRIM_400000_NS6detail17trampoline_kernelINS0_14default_configENS1_29reduce_by_key_config_selectorIffN6thrust23THRUST_200600_302600_NS4plusIfEEEEZZNS1_33reduce_by_key_impl_wrapped_configILNS1_25lookback_scan_determinismE0ES3_S9_NS6_6detail15normal_iteratorINS6_10device_ptrIfEEEESG_SG_SG_PmS8_NS6_8equal_toIfEEEE10hipError_tPvRmT2_T3_mT4_T5_T6_T7_T8_P12ihipStream_tbENKUlT_T0_E_clISt17integral_constantIbLb0EES10_IbLb1EEEEDaSW_SX_EUlSW_E_NS1_11comp_targetILNS1_3genE10ELNS1_11target_archE1200ELNS1_3gpuE4ELNS1_3repE0EEENS1_30default_config_static_selectorELNS0_4arch9wavefront6targetE0EEEvT1_, .Lfunc_end197-_ZN7rocprim17ROCPRIM_400000_NS6detail17trampoline_kernelINS0_14default_configENS1_29reduce_by_key_config_selectorIffN6thrust23THRUST_200600_302600_NS4plusIfEEEEZZNS1_33reduce_by_key_impl_wrapped_configILNS1_25lookback_scan_determinismE0ES3_S9_NS6_6detail15normal_iteratorINS6_10device_ptrIfEEEESG_SG_SG_PmS8_NS6_8equal_toIfEEEE10hipError_tPvRmT2_T3_mT4_T5_T6_T7_T8_P12ihipStream_tbENKUlT_T0_E_clISt17integral_constantIbLb0EES10_IbLb1EEEEDaSW_SX_EUlSW_E_NS1_11comp_targetILNS1_3genE10ELNS1_11target_archE1200ELNS1_3gpuE4ELNS1_3repE0EEENS1_30default_config_static_selectorELNS0_4arch9wavefront6targetE0EEEvT1_
                                        ; -- End function
	.section	.AMDGPU.csdata,"",@progbits
; Kernel info:
; codeLenInByte = 0
; NumSgprs: 0
; NumVgprs: 0
; ScratchSize: 0
; MemoryBound: 0
; FloatMode: 240
; IeeeMode: 1
; LDSByteSize: 0 bytes/workgroup (compile time only)
; SGPRBlocks: 0
; VGPRBlocks: 0
; NumSGPRsForWavesPerEU: 1
; NumVGPRsForWavesPerEU: 1
; Occupancy: 16
; WaveLimiterHint : 0
; COMPUTE_PGM_RSRC2:SCRATCH_EN: 0
; COMPUTE_PGM_RSRC2:USER_SGPR: 15
; COMPUTE_PGM_RSRC2:TRAP_HANDLER: 0
; COMPUTE_PGM_RSRC2:TGID_X_EN: 1
; COMPUTE_PGM_RSRC2:TGID_Y_EN: 0
; COMPUTE_PGM_RSRC2:TGID_Z_EN: 0
; COMPUTE_PGM_RSRC2:TIDIG_COMP_CNT: 0
	.section	.text._ZN7rocprim17ROCPRIM_400000_NS6detail17trampoline_kernelINS0_14default_configENS1_29reduce_by_key_config_selectorIffN6thrust23THRUST_200600_302600_NS4plusIfEEEEZZNS1_33reduce_by_key_impl_wrapped_configILNS1_25lookback_scan_determinismE0ES3_S9_NS6_6detail15normal_iteratorINS6_10device_ptrIfEEEESG_SG_SG_PmS8_NS6_8equal_toIfEEEE10hipError_tPvRmT2_T3_mT4_T5_T6_T7_T8_P12ihipStream_tbENKUlT_T0_E_clISt17integral_constantIbLb0EES10_IbLb1EEEEDaSW_SX_EUlSW_E_NS1_11comp_targetILNS1_3genE9ELNS1_11target_archE1100ELNS1_3gpuE3ELNS1_3repE0EEENS1_30default_config_static_selectorELNS0_4arch9wavefront6targetE0EEEvT1_,"axG",@progbits,_ZN7rocprim17ROCPRIM_400000_NS6detail17trampoline_kernelINS0_14default_configENS1_29reduce_by_key_config_selectorIffN6thrust23THRUST_200600_302600_NS4plusIfEEEEZZNS1_33reduce_by_key_impl_wrapped_configILNS1_25lookback_scan_determinismE0ES3_S9_NS6_6detail15normal_iteratorINS6_10device_ptrIfEEEESG_SG_SG_PmS8_NS6_8equal_toIfEEEE10hipError_tPvRmT2_T3_mT4_T5_T6_T7_T8_P12ihipStream_tbENKUlT_T0_E_clISt17integral_constantIbLb0EES10_IbLb1EEEEDaSW_SX_EUlSW_E_NS1_11comp_targetILNS1_3genE9ELNS1_11target_archE1100ELNS1_3gpuE3ELNS1_3repE0EEENS1_30default_config_static_selectorELNS0_4arch9wavefront6targetE0EEEvT1_,comdat
	.protected	_ZN7rocprim17ROCPRIM_400000_NS6detail17trampoline_kernelINS0_14default_configENS1_29reduce_by_key_config_selectorIffN6thrust23THRUST_200600_302600_NS4plusIfEEEEZZNS1_33reduce_by_key_impl_wrapped_configILNS1_25lookback_scan_determinismE0ES3_S9_NS6_6detail15normal_iteratorINS6_10device_ptrIfEEEESG_SG_SG_PmS8_NS6_8equal_toIfEEEE10hipError_tPvRmT2_T3_mT4_T5_T6_T7_T8_P12ihipStream_tbENKUlT_T0_E_clISt17integral_constantIbLb0EES10_IbLb1EEEEDaSW_SX_EUlSW_E_NS1_11comp_targetILNS1_3genE9ELNS1_11target_archE1100ELNS1_3gpuE3ELNS1_3repE0EEENS1_30default_config_static_selectorELNS0_4arch9wavefront6targetE0EEEvT1_ ; -- Begin function _ZN7rocprim17ROCPRIM_400000_NS6detail17trampoline_kernelINS0_14default_configENS1_29reduce_by_key_config_selectorIffN6thrust23THRUST_200600_302600_NS4plusIfEEEEZZNS1_33reduce_by_key_impl_wrapped_configILNS1_25lookback_scan_determinismE0ES3_S9_NS6_6detail15normal_iteratorINS6_10device_ptrIfEEEESG_SG_SG_PmS8_NS6_8equal_toIfEEEE10hipError_tPvRmT2_T3_mT4_T5_T6_T7_T8_P12ihipStream_tbENKUlT_T0_E_clISt17integral_constantIbLb0EES10_IbLb1EEEEDaSW_SX_EUlSW_E_NS1_11comp_targetILNS1_3genE9ELNS1_11target_archE1100ELNS1_3gpuE3ELNS1_3repE0EEENS1_30default_config_static_selectorELNS0_4arch9wavefront6targetE0EEEvT1_
	.globl	_ZN7rocprim17ROCPRIM_400000_NS6detail17trampoline_kernelINS0_14default_configENS1_29reduce_by_key_config_selectorIffN6thrust23THRUST_200600_302600_NS4plusIfEEEEZZNS1_33reduce_by_key_impl_wrapped_configILNS1_25lookback_scan_determinismE0ES3_S9_NS6_6detail15normal_iteratorINS6_10device_ptrIfEEEESG_SG_SG_PmS8_NS6_8equal_toIfEEEE10hipError_tPvRmT2_T3_mT4_T5_T6_T7_T8_P12ihipStream_tbENKUlT_T0_E_clISt17integral_constantIbLb0EES10_IbLb1EEEEDaSW_SX_EUlSW_E_NS1_11comp_targetILNS1_3genE9ELNS1_11target_archE1100ELNS1_3gpuE3ELNS1_3repE0EEENS1_30default_config_static_selectorELNS0_4arch9wavefront6targetE0EEEvT1_
	.p2align	8
	.type	_ZN7rocprim17ROCPRIM_400000_NS6detail17trampoline_kernelINS0_14default_configENS1_29reduce_by_key_config_selectorIffN6thrust23THRUST_200600_302600_NS4plusIfEEEEZZNS1_33reduce_by_key_impl_wrapped_configILNS1_25lookback_scan_determinismE0ES3_S9_NS6_6detail15normal_iteratorINS6_10device_ptrIfEEEESG_SG_SG_PmS8_NS6_8equal_toIfEEEE10hipError_tPvRmT2_T3_mT4_T5_T6_T7_T8_P12ihipStream_tbENKUlT_T0_E_clISt17integral_constantIbLb0EES10_IbLb1EEEEDaSW_SX_EUlSW_E_NS1_11comp_targetILNS1_3genE9ELNS1_11target_archE1100ELNS1_3gpuE3ELNS1_3repE0EEENS1_30default_config_static_selectorELNS0_4arch9wavefront6targetE0EEEvT1_,@function
_ZN7rocprim17ROCPRIM_400000_NS6detail17trampoline_kernelINS0_14default_configENS1_29reduce_by_key_config_selectorIffN6thrust23THRUST_200600_302600_NS4plusIfEEEEZZNS1_33reduce_by_key_impl_wrapped_configILNS1_25lookback_scan_determinismE0ES3_S9_NS6_6detail15normal_iteratorINS6_10device_ptrIfEEEESG_SG_SG_PmS8_NS6_8equal_toIfEEEE10hipError_tPvRmT2_T3_mT4_T5_T6_T7_T8_P12ihipStream_tbENKUlT_T0_E_clISt17integral_constantIbLb0EES10_IbLb1EEEEDaSW_SX_EUlSW_E_NS1_11comp_targetILNS1_3genE9ELNS1_11target_archE1100ELNS1_3gpuE3ELNS1_3repE0EEENS1_30default_config_static_selectorELNS0_4arch9wavefront6targetE0EEEvT1_: ; @_ZN7rocprim17ROCPRIM_400000_NS6detail17trampoline_kernelINS0_14default_configENS1_29reduce_by_key_config_selectorIffN6thrust23THRUST_200600_302600_NS4plusIfEEEEZZNS1_33reduce_by_key_impl_wrapped_configILNS1_25lookback_scan_determinismE0ES3_S9_NS6_6detail15normal_iteratorINS6_10device_ptrIfEEEESG_SG_SG_PmS8_NS6_8equal_toIfEEEE10hipError_tPvRmT2_T3_mT4_T5_T6_T7_T8_P12ihipStream_tbENKUlT_T0_E_clISt17integral_constantIbLb0EES10_IbLb1EEEEDaSW_SX_EUlSW_E_NS1_11comp_targetILNS1_3genE9ELNS1_11target_archE1100ELNS1_3gpuE3ELNS1_3repE0EEENS1_30default_config_static_selectorELNS0_4arch9wavefront6targetE0EEEvT1_
; %bb.0:
	s_clause 0x4
	s_load_b256 s[12:19], s[0:1], 0x0
	s_load_b128 s[28:31], s[0:1], 0x20
	s_load_b256 s[20:27], s[0:1], 0x38
	s_load_b64 s[34:35], s[0:1], 0x68
	s_load_b128 s[36:39], s[0:1], 0x58
	v_cmp_ne_u32_e64 s3, 0, v0
	v_cmp_eq_u32_e64 s2, 0, v0
	s_delay_alu instid0(VALU_DEP_1)
	s_and_saveexec_b32 s4, s2
	s_cbranch_execz .LBB198_4
; %bb.1:
	s_mov_b32 s6, exec_lo
	s_mov_b32 s5, exec_lo
	v_mbcnt_lo_u32_b32 v1, s6, 0
                                        ; implicit-def: $vgpr2
	s_delay_alu instid0(VALU_DEP_1)
	v_cmpx_eq_u32_e32 0, v1
	s_cbranch_execz .LBB198_3
; %bb.2:
	s_load_b64 s[0:1], s[0:1], 0x70
	s_bcnt1_i32_b32 s6, s6
	s_delay_alu instid0(SALU_CYCLE_1)
	v_dual_mov_b32 v2, 0 :: v_dual_mov_b32 v3, s6
	s_waitcnt lgkmcnt(0)
	global_atomic_add_u32 v2, v2, v3, s[0:1] glc
.LBB198_3:
	s_or_b32 exec_lo, exec_lo, s5
	s_waitcnt vmcnt(0)
	v_readfirstlane_b32 s0, v2
	s_delay_alu instid0(VALU_DEP_1)
	v_dual_mov_b32 v2, 0 :: v_dual_add_nc_u32 v1, s0, v1
	ds_store_b32 v2, v1
.LBB198_4:
	s_or_b32 exec_lo, exec_lo, s4
	v_mov_b32_e32 v2, 0
	s_waitcnt lgkmcnt(0)
	s_barrier
	buffer_gl0_inv
	s_lshl_b64 s[4:5], s[14:15], 2
	ds_load_b32 v1, v2
	s_add_u32 s9, s12, s4
	s_mul_i32 s1, s24, s23
	s_mul_hi_u32 s6, s24, s22
	s_addc_u32 s10, s13, s5
	s_add_u32 s11, s16, s4
	s_mul_i32 s7, s25, s22
	s_addc_u32 s12, s17, s5
	s_add_i32 s1, s6, s1
	s_mul_i32 s8, s24, s22
	s_add_i32 s1, s1, s7
	s_mov_b32 s0, 0
	s_waitcnt lgkmcnt(0)
	s_barrier
	buffer_gl0_inv
	v_readfirstlane_b32 s33, v1
	v_mul_lo_u32 v1, 0xf00, v1
	s_delay_alu instid0(VALU_DEP_2) | instskip(SKIP_3) | instid1(VALU_DEP_1)
	s_add_u32 s24, s8, s33
	s_addc_u32 s25, s1, 0
	s_add_u32 s4, s26, -1
	s_addc_u32 s5, s27, -1
	v_lshlrev_b64 v[5:6], 2, v[1:2]
	s_cmp_eq_u64 s[24:25], s[4:5]
	s_mul_i32 s26, s4, 0xfffff100
	s_cselect_b32 s17, -1, 0
	s_cmp_lg_u64 s[24:25], s[4:5]
	s_delay_alu instid0(VALU_DEP_1)
	v_add_co_u32 v4, vcc_lo, s9, v5
	v_add_co_ci_u32_e32 v2, vcc_lo, s10, v6, vcc_lo
	v_add_co_u32 v1, vcc_lo, s11, v5
	v_add_co_ci_u32_e32 v3, vcc_lo, s12, v6, vcc_lo
	s_cselect_b32 s40, -1, 0
	s_and_b32 vcc_lo, exec_lo, s17
	s_cbranch_vccnz .LBB198_6
; %bb.5:
	v_lshlrev_b32_e32 v29, 2, v0
	s_delay_alu instid0(VALU_DEP_1) | instskip(SKIP_1) | instid1(VALU_DEP_2)
	v_add_co_u32 v5, vcc_lo, v4, v29
	v_add_co_ci_u32_e32 v6, vcc_lo, 0, v2, vcc_lo
	v_add_co_u32 v7, vcc_lo, 0x1000, v5
	s_delay_alu instid0(VALU_DEP_2)
	v_add_co_ci_u32_e32 v8, vcc_lo, 0, v6, vcc_lo
	s_clause 0x7
	flat_load_b32 v9, v[5:6]
	flat_load_b32 v10, v[5:6] offset:1024
	flat_load_b32 v11, v[5:6] offset:2048
	;; [unrolled: 1-line block ×3, first 2 shown]
	flat_load_b32 v13, v[7:8]
	flat_load_b32 v14, v[7:8] offset:1024
	flat_load_b32 v15, v[7:8] offset:2048
	;; [unrolled: 1-line block ×3, first 2 shown]
	v_add_co_u32 v7, vcc_lo, 0x2000, v5
	v_add_co_ci_u32_e32 v8, vcc_lo, 0, v6, vcc_lo
	v_add_co_u32 v5, vcc_lo, 0x3000, v5
	v_add_co_ci_u32_e32 v6, vcc_lo, 0, v6, vcc_lo
	s_clause 0x6
	flat_load_b32 v17, v[7:8]
	flat_load_b32 v18, v[7:8] offset:1024
	flat_load_b32 v19, v[7:8] offset:2048
	;; [unrolled: 1-line block ×3, first 2 shown]
	flat_load_b32 v20, v[5:6]
	flat_load_b32 v21, v[5:6] offset:1024
	flat_load_b32 v22, v[5:6] offset:2048
	v_add_co_u32 v6, vcc_lo, v1, v29
	v_add_co_ci_u32_e32 v7, vcc_lo, 0, v3, vcc_lo
	v_mad_u32_u24 v5, v0, 56, v29
	s_delay_alu instid0(VALU_DEP_3) | instskip(NEXT) | instid1(VALU_DEP_3)
	v_add_co_u32 v23, vcc_lo, 0x1000, v6
	v_add_co_ci_u32_e32 v24, vcc_lo, 0, v7, vcc_lo
	v_add_co_u32 v25, vcc_lo, 0x2000, v6
	v_add_co_ci_u32_e32 v26, vcc_lo, 0, v7, vcc_lo
	;; [unrolled: 2-line block ×3, first 2 shown]
	s_waitcnt vmcnt(13) lgkmcnt(13)
	ds_store_2addr_stride64_b32 v29, v9, v10 offset1:4
	s_waitcnt vmcnt(11) lgkmcnt(12)
	ds_store_2addr_stride64_b32 v29, v11, v12 offset0:8 offset1:12
	s_waitcnt vmcnt(9) lgkmcnt(11)
	ds_store_2addr_stride64_b32 v29, v13, v14 offset0:16 offset1:20
	;; [unrolled: 2-line block ×6, first 2 shown]
	s_waitcnt vmcnt(0) lgkmcnt(7)
	ds_store_b32 v29, v22 offset:14336
	s_waitcnt lgkmcnt(0)
	s_barrier
	buffer_gl0_inv
	ds_load_2addr_b32 v[21:22], v5 offset1:1
	ds_load_2addr_b32 v[19:20], v5 offset0:2 offset1:3
	ds_load_2addr_b32 v[17:18], v5 offset0:4 offset1:5
	;; [unrolled: 1-line block ×6, first 2 shown]
	ds_load_b32 v58, v5 offset:56
	s_waitcnt lgkmcnt(0)
	s_barrier
	buffer_gl0_inv
	s_clause 0xe
	flat_load_b32 v8, v[6:7]
	flat_load_b32 v30, v[6:7] offset:1024
	flat_load_b32 v31, v[6:7] offset:2048
	flat_load_b32 v6, v[6:7] offset:3072
	flat_load_b32 v7, v[23:24]
	flat_load_b32 v32, v[23:24] offset:1024
	flat_load_b32 v33, v[23:24] offset:2048
	flat_load_b32 v23, v[23:24] offset:3072
	;; [unrolled: 4-line block ×3, first 2 shown]
	flat_load_b32 v26, v[27:28]
	flat_load_b32 v36, v[27:28] offset:1024
	flat_load_b32 v27, v[27:28] offset:2048
	s_waitcnt vmcnt(13) lgkmcnt(13)
	ds_store_2addr_stride64_b32 v29, v8, v30 offset1:4
	s_waitcnt vmcnt(11) lgkmcnt(12)
	ds_store_2addr_stride64_b32 v29, v31, v6 offset0:8 offset1:12
	s_waitcnt vmcnt(9) lgkmcnt(11)
	ds_store_2addr_stride64_b32 v29, v7, v32 offset0:16 offset1:20
	;; [unrolled: 2-line block ×6, first 2 shown]
	s_waitcnt vmcnt(0) lgkmcnt(7)
	ds_store_b32 v29, v27 offset:14336
	s_waitcnt lgkmcnt(0)
	s_barrier
	s_and_not1_b32 vcc_lo, exec_lo, s0
	s_add_i32 s26, s26, s36
	s_cbranch_vccz .LBB198_7
	s_branch .LBB198_54
.LBB198_6:
                                        ; implicit-def: $vgpr5
                                        ; implicit-def: $vgpr21
                                        ; implicit-def: $vgpr19
                                        ; implicit-def: $vgpr17
                                        ; implicit-def: $vgpr15
                                        ; implicit-def: $vgpr13
                                        ; implicit-def: $vgpr11
                                        ; implicit-def: $vgpr9
                                        ; implicit-def: $vgpr58
	s_add_i32 s26, s26, s36
.LBB198_7:
	s_delay_alu instid0(SALU_CYCLE_1)
	v_cmp_gt_u32_e32 vcc_lo, s26, v0
                                        ; implicit-def: $vgpr5
	s_and_saveexec_b32 s1, vcc_lo
	s_cbranch_execz .LBB198_9
; %bb.8:
	v_lshlrev_b32_e32 v5, 2, v0
	s_delay_alu instid0(VALU_DEP_1) | instskip(NEXT) | instid1(VALU_DEP_1)
	v_add_co_u32 v5, s0, v4, v5
	v_add_co_ci_u32_e64 v6, s0, 0, v2, s0
	flat_load_b32 v5, v[5:6]
.LBB198_9:
	s_or_b32 exec_lo, exec_lo, s1
	v_or_b32_e32 v6, 0x100, v0
                                        ; implicit-def: $vgpr9
	s_delay_alu instid0(VALU_DEP_1) | instskip(NEXT) | instid1(VALU_DEP_1)
	v_cmp_gt_u32_e64 s0, s26, v6
	s_and_saveexec_b32 s4, s0
	s_cbranch_execz .LBB198_11
; %bb.10:
	v_lshlrev_b32_e32 v6, 2, v0
	s_delay_alu instid0(VALU_DEP_1) | instskip(NEXT) | instid1(VALU_DEP_1)
	v_add_co_u32 v6, s1, v4, v6
	v_add_co_ci_u32_e64 v7, s1, 0, v2, s1
	flat_load_b32 v9, v[6:7] offset:1024
.LBB198_11:
	s_or_b32 exec_lo, exec_lo, s4
	v_or_b32_e32 v6, 0x200, v0
                                        ; implicit-def: $vgpr10
	s_delay_alu instid0(VALU_DEP_1) | instskip(NEXT) | instid1(VALU_DEP_1)
	v_cmp_gt_u32_e64 s1, s26, v6
	s_and_saveexec_b32 s5, s1
	s_cbranch_execz .LBB198_13
; %bb.12:
	v_lshlrev_b32_e32 v6, 2, v0
	s_delay_alu instid0(VALU_DEP_1) | instskip(NEXT) | instid1(VALU_DEP_1)
	v_add_co_u32 v6, s4, v4, v6
	v_add_co_ci_u32_e64 v7, s4, 0, v2, s4
	flat_load_b32 v10, v[6:7] offset:2048
.LBB198_13:
	s_or_b32 exec_lo, exec_lo, s5
	v_or_b32_e32 v6, 0x300, v0
                                        ; implicit-def: $vgpr11
	s_delay_alu instid0(VALU_DEP_1) | instskip(NEXT) | instid1(VALU_DEP_1)
	v_cmp_gt_u32_e64 s4, s26, v6
	s_and_saveexec_b32 s6, s4
	s_cbranch_execz .LBB198_15
; %bb.14:
	v_lshlrev_b32_e32 v6, 2, v0
	s_delay_alu instid0(VALU_DEP_1) | instskip(NEXT) | instid1(VALU_DEP_1)
	v_add_co_u32 v6, s5, v4, v6
	v_add_co_ci_u32_e64 v7, s5, 0, v2, s5
	flat_load_b32 v11, v[6:7] offset:3072
.LBB198_15:
	s_or_b32 exec_lo, exec_lo, s6
	v_or_b32_e32 v6, 0x400, v0
                                        ; implicit-def: $vgpr12
	s_delay_alu instid0(VALU_DEP_1) | instskip(SKIP_1) | instid1(VALU_DEP_2)
	v_cmp_gt_u32_e64 s5, s26, v6
	v_lshlrev_b32_e32 v6, 2, v6
	s_and_saveexec_b32 s7, s5
	s_cbranch_execz .LBB198_17
; %bb.16:
	s_delay_alu instid0(VALU_DEP_1) | instskip(NEXT) | instid1(VALU_DEP_1)
	v_add_co_u32 v7, s6, v4, v6
	v_add_co_ci_u32_e64 v8, s6, 0, v2, s6
	flat_load_b32 v12, v[7:8]
.LBB198_17:
	s_or_b32 exec_lo, exec_lo, s7
	v_or_b32_e32 v7, 0x500, v0
                                        ; implicit-def: $vgpr13
	s_delay_alu instid0(VALU_DEP_1) | instskip(SKIP_1) | instid1(VALU_DEP_2)
	v_cmp_gt_u32_e64 s6, s26, v7
	v_lshlrev_b32_e32 v7, 2, v7
	s_and_saveexec_b32 s8, s6
	s_cbranch_execz .LBB198_19
; %bb.18:
	s_delay_alu instid0(VALU_DEP_1) | instskip(NEXT) | instid1(VALU_DEP_1)
	v_add_co_u32 v13, s7, v4, v7
	v_add_co_ci_u32_e64 v14, s7, 0, v2, s7
	flat_load_b32 v13, v[13:14]
.LBB198_19:
	s_or_b32 exec_lo, exec_lo, s8
	v_or_b32_e32 v8, 0x600, v0
                                        ; implicit-def: $vgpr14
	s_delay_alu instid0(VALU_DEP_1) | instskip(SKIP_1) | instid1(VALU_DEP_2)
	v_cmp_gt_u32_e64 s7, s26, v8
	v_lshlrev_b32_e32 v8, 2, v8
	s_and_saveexec_b32 s9, s7
	s_cbranch_execz .LBB198_21
; %bb.20:
	s_delay_alu instid0(VALU_DEP_1) | instskip(NEXT) | instid1(VALU_DEP_1)
	v_add_co_u32 v14, s8, v4, v8
	v_add_co_ci_u32_e64 v15, s8, 0, v2, s8
	flat_load_b32 v14, v[14:15]
.LBB198_21:
	s_or_b32 exec_lo, exec_lo, s9
	v_or_b32_e32 v15, 0x700, v0
	s_delay_alu instid0(VALU_DEP_1) | instskip(SKIP_1) | instid1(VALU_DEP_2)
	v_cmp_gt_u32_e64 s8, s26, v15
	v_lshlrev_b32_e32 v23, 2, v15
                                        ; implicit-def: $vgpr15
	s_and_saveexec_b32 s10, s8
	s_cbranch_execz .LBB198_23
; %bb.22:
	s_delay_alu instid0(VALU_DEP_1) | instskip(NEXT) | instid1(VALU_DEP_1)
	v_add_co_u32 v15, s9, v4, v23
	v_add_co_ci_u32_e64 v16, s9, 0, v2, s9
	flat_load_b32 v15, v[15:16]
.LBB198_23:
	s_or_b32 exec_lo, exec_lo, s10
	v_or_b32_e32 v16, 0x800, v0
	s_delay_alu instid0(VALU_DEP_1) | instskip(SKIP_1) | instid1(VALU_DEP_2)
	v_cmp_gt_u32_e64 s9, s26, v16
	v_lshlrev_b32_e32 v24, 2, v16
                                        ; implicit-def: $vgpr16
	s_and_saveexec_b32 s11, s9
	s_cbranch_execz .LBB198_25
; %bb.24:
	s_delay_alu instid0(VALU_DEP_1) | instskip(NEXT) | instid1(VALU_DEP_1)
	v_add_co_u32 v16, s10, v4, v24
	v_add_co_ci_u32_e64 v17, s10, 0, v2, s10
	flat_load_b32 v16, v[16:17]
.LBB198_25:
	s_or_b32 exec_lo, exec_lo, s11
	v_or_b32_e32 v17, 0x900, v0
	s_delay_alu instid0(VALU_DEP_1) | instskip(SKIP_1) | instid1(VALU_DEP_2)
	v_cmp_gt_u32_e64 s10, s26, v17
	v_lshlrev_b32_e32 v25, 2, v17
                                        ; implicit-def: $vgpr17
	s_and_saveexec_b32 s12, s10
	s_cbranch_execz .LBB198_27
; %bb.26:
	s_delay_alu instid0(VALU_DEP_1) | instskip(NEXT) | instid1(VALU_DEP_1)
	v_add_co_u32 v17, s11, v4, v25
	v_add_co_ci_u32_e64 v18, s11, 0, v2, s11
	flat_load_b32 v17, v[17:18]
.LBB198_27:
	s_or_b32 exec_lo, exec_lo, s12
	v_or_b32_e32 v18, 0xa00, v0
	s_delay_alu instid0(VALU_DEP_1) | instskip(SKIP_1) | instid1(VALU_DEP_2)
	v_cmp_gt_u32_e64 s11, s26, v18
	v_lshlrev_b32_e32 v27, 2, v18
                                        ; implicit-def: $vgpr18
	s_and_saveexec_b32 s13, s11
	s_cbranch_execz .LBB198_29
; %bb.28:
	s_delay_alu instid0(VALU_DEP_1) | instskip(NEXT) | instid1(VALU_DEP_1)
	v_add_co_u32 v18, s12, v4, v27
	v_add_co_ci_u32_e64 v19, s12, 0, v2, s12
	flat_load_b32 v18, v[18:19]
.LBB198_29:
	s_or_b32 exec_lo, exec_lo, s13
	v_or_b32_e32 v19, 0xb00, v0
	s_delay_alu instid0(VALU_DEP_1) | instskip(SKIP_1) | instid1(VALU_DEP_2)
	v_cmp_gt_u32_e64 s12, s26, v19
	v_lshlrev_b32_e32 v28, 2, v19
                                        ; implicit-def: $vgpr19
	s_and_saveexec_b32 s14, s12
	s_cbranch_execz .LBB198_31
; %bb.30:
	s_delay_alu instid0(VALU_DEP_1) | instskip(NEXT) | instid1(VALU_DEP_1)
	v_add_co_u32 v19, s13, v4, v28
	v_add_co_ci_u32_e64 v20, s13, 0, v2, s13
	flat_load_b32 v19, v[19:20]
.LBB198_31:
	s_or_b32 exec_lo, exec_lo, s14
	v_or_b32_e32 v20, 0xc00, v0
	s_delay_alu instid0(VALU_DEP_1) | instskip(SKIP_1) | instid1(VALU_DEP_2)
	v_cmp_gt_u32_e64 s13, s26, v20
	v_lshlrev_b32_e32 v29, 2, v20
                                        ; implicit-def: $vgpr20
	s_and_saveexec_b32 s15, s13
	s_cbranch_execz .LBB198_33
; %bb.32:
	s_delay_alu instid0(VALU_DEP_1) | instskip(NEXT) | instid1(VALU_DEP_1)
	v_add_co_u32 v20, s14, v4, v29
	v_add_co_ci_u32_e64 v21, s14, 0, v2, s14
	flat_load_b32 v20, v[20:21]
.LBB198_33:
	s_or_b32 exec_lo, exec_lo, s15
	v_or_b32_e32 v21, 0xd00, v0
	s_delay_alu instid0(VALU_DEP_1) | instskip(SKIP_1) | instid1(VALU_DEP_2)
	v_cmp_gt_u32_e64 s14, s26, v21
	v_lshlrev_b32_e32 v30, 2, v21
                                        ; implicit-def: $vgpr21
	s_and_saveexec_b32 s16, s14
	s_cbranch_execz .LBB198_35
; %bb.34:
	s_delay_alu instid0(VALU_DEP_1) | instskip(NEXT) | instid1(VALU_DEP_1)
	v_add_co_u32 v21, s15, v4, v30
	v_add_co_ci_u32_e64 v22, s15, 0, v2, s15
	flat_load_b32 v21, v[21:22]
.LBB198_35:
	s_or_b32 exec_lo, exec_lo, s16
	v_or_b32_e32 v22, 0xe00, v0
	s_delay_alu instid0(VALU_DEP_1) | instskip(SKIP_1) | instid1(VALU_DEP_2)
	v_cmp_gt_u32_e64 s15, s26, v22
	v_lshlrev_b32_e32 v31, 2, v22
                                        ; implicit-def: $vgpr22
	s_and_saveexec_b32 s27, s15
	s_cbranch_execz .LBB198_37
; %bb.36:
	s_delay_alu instid0(VALU_DEP_1) | instskip(NEXT) | instid1(VALU_DEP_1)
	v_add_co_u32 v32, s16, v4, v31
	v_add_co_ci_u32_e64 v33, s16, 0, v2, s16
	flat_load_b32 v22, v[32:33]
.LBB198_37:
	s_or_b32 exec_lo, exec_lo, s27
	v_lshlrev_b32_e32 v26, 2, v0
                                        ; implicit-def: $vgpr32
	s_waitcnt vmcnt(0) lgkmcnt(0)
	ds_store_2addr_stride64_b32 v26, v5, v9 offset1:4
	ds_store_2addr_stride64_b32 v26, v10, v11 offset0:8 offset1:12
	ds_store_2addr_stride64_b32 v26, v12, v13 offset0:16 offset1:20
	;; [unrolled: 1-line block ×6, first 2 shown]
	v_mad_u32_u24 v5, v0, 56, v26
	ds_store_b32 v26, v22 offset:14336
	s_waitcnt lgkmcnt(0)
	s_barrier
	buffer_gl0_inv
	ds_load_2addr_b32 v[21:22], v5 offset1:1
	ds_load_2addr_b32 v[19:20], v5 offset0:2 offset1:3
	ds_load_2addr_b32 v[17:18], v5 offset0:4 offset1:5
	;; [unrolled: 1-line block ×6, first 2 shown]
	ds_load_b32 v58, v5 offset:56
	s_waitcnt lgkmcnt(0)
	s_barrier
	buffer_gl0_inv
	s_and_saveexec_b32 s16, vcc_lo
	s_cbranch_execnz .LBB198_61
; %bb.38:
	s_or_b32 exec_lo, exec_lo, s16
                                        ; implicit-def: $vgpr33
	s_and_saveexec_b32 s16, s0
	s_cbranch_execnz .LBB198_62
.LBB198_39:
	s_or_b32 exec_lo, exec_lo, s16
                                        ; implicit-def: $vgpr34
	s_and_saveexec_b32 s0, s1
	s_cbranch_execnz .LBB198_63
.LBB198_40:
	s_or_b32 exec_lo, exec_lo, s0
                                        ; implicit-def: $vgpr35
	s_and_saveexec_b32 s0, s4
	s_cbranch_execnz .LBB198_64
.LBB198_41:
	s_or_b32 exec_lo, exec_lo, s0
                                        ; implicit-def: $vgpr36
	s_and_saveexec_b32 s0, s5
	s_cbranch_execnz .LBB198_65
.LBB198_42:
	s_or_b32 exec_lo, exec_lo, s0
                                        ; implicit-def: $vgpr6
	s_and_saveexec_b32 s0, s6
	s_cbranch_execnz .LBB198_66
.LBB198_43:
	s_or_b32 exec_lo, exec_lo, s0
                                        ; implicit-def: $vgpr7
	s_and_saveexec_b32 s0, s7
	s_cbranch_execnz .LBB198_67
.LBB198_44:
	s_or_b32 exec_lo, exec_lo, s0
                                        ; implicit-def: $vgpr8
	s_and_saveexec_b32 s0, s8
	s_cbranch_execnz .LBB198_68
.LBB198_45:
	s_or_b32 exec_lo, exec_lo, s0
                                        ; implicit-def: $vgpr23
	s_and_saveexec_b32 s0, s9
	s_cbranch_execnz .LBB198_69
.LBB198_46:
	s_or_b32 exec_lo, exec_lo, s0
                                        ; implicit-def: $vgpr24
	s_and_saveexec_b32 s0, s10
	s_cbranch_execnz .LBB198_70
.LBB198_47:
	s_or_b32 exec_lo, exec_lo, s0
                                        ; implicit-def: $vgpr25
	s_and_saveexec_b32 s0, s11
	s_cbranch_execnz .LBB198_71
.LBB198_48:
	s_or_b32 exec_lo, exec_lo, s0
                                        ; implicit-def: $vgpr27
	s_and_saveexec_b32 s0, s12
	s_cbranch_execnz .LBB198_72
.LBB198_49:
	s_or_b32 exec_lo, exec_lo, s0
                                        ; implicit-def: $vgpr28
	s_and_saveexec_b32 s0, s13
	s_cbranch_execnz .LBB198_73
.LBB198_50:
	s_or_b32 exec_lo, exec_lo, s0
                                        ; implicit-def: $vgpr29
	s_and_saveexec_b32 s0, s14
	s_cbranch_execnz .LBB198_74
.LBB198_51:
	s_or_b32 exec_lo, exec_lo, s0
                                        ; implicit-def: $vgpr30
	s_and_saveexec_b32 s0, s15
	s_cbranch_execz .LBB198_53
.LBB198_52:
	v_add_co_u32 v30, vcc_lo, v1, v31
	v_add_co_ci_u32_e32 v31, vcc_lo, 0, v3, vcc_lo
	flat_load_b32 v30, v[30:31]
.LBB198_53:
	s_or_b32 exec_lo, exec_lo, s0
	s_waitcnt vmcnt(0) lgkmcnt(0)
	ds_store_2addr_stride64_b32 v26, v32, v33 offset1:4
	ds_store_2addr_stride64_b32 v26, v34, v35 offset0:8 offset1:12
	ds_store_2addr_stride64_b32 v26, v36, v6 offset0:16 offset1:20
	;; [unrolled: 1-line block ×6, first 2 shown]
	ds_store_b32 v26, v30 offset:14336
	s_waitcnt lgkmcnt(0)
	s_barrier
.LBB198_54:
	buffer_gl0_inv
	ds_load_2addr_b32 v[35:36], v5 offset1:1
	ds_load_2addr_b32 v[33:34], v5 offset0:2 offset1:3
	ds_load_2addr_b32 v[31:32], v5 offset0:4 offset1:5
	;; [unrolled: 1-line block ×6, first 2 shown]
	ds_load_b32 v65, v5 offset:56
	s_cmp_eq_u64 s[24:25], 0
	s_waitcnt lgkmcnt(0)
	s_cselect_b32 s27, -1, 0
	s_cmp_lg_u64 s[24:25], 0
	s_barrier
	s_cselect_b32 s15, -1, 0
	s_and_b32 vcc_lo, exec_lo, s40
	buffer_gl0_inv
	s_cbranch_vccz .LBB198_60
; %bb.55:
	s_and_b32 vcc_lo, exec_lo, s15
	s_cbranch_vccz .LBB198_75
; %bb.56:
	v_add_co_u32 v5, vcc_lo, -4, v4
	v_add_co_ci_u32_e32 v6, vcc_lo, -1, v2, vcc_lo
	v_lshlrev_b32_e32 v3, 2, v0
	v_cmp_neq_f32_e32 vcc_lo, v10, v58
	v_cmp_neq_f32_e64 s0, v9, v10
	flat_load_b32 v1, v[5:6]
	v_cmp_neq_f32_e64 s1, v12, v9
	v_cmp_neq_f32_e64 s4, v11, v12
	;; [unrolled: 1-line block ×12, first 2 shown]
	s_mov_b32 s40, -1
	ds_store_b32 v3, v58
	s_waitcnt vmcnt(0) lgkmcnt(0)
	s_barrier
	buffer_gl0_inv
	s_and_saveexec_b32 s16, s3
	s_cbranch_execz .LBB198_58
; %bb.57:
	v_add_nc_u32_e32 v1, -4, v3
	ds_load_b32 v1, v1
.LBB198_58:
	s_or_b32 exec_lo, exec_lo, s16
	v_cndmask_b32_e64 v59, 0, 1, vcc_lo
	v_cndmask_b32_e64 v54, 0, 1, s0
	v_cndmask_b32_e64 v52, 0, 1, s1
	;; [unrolled: 1-line block ×13, first 2 shown]
	s_waitcnt lgkmcnt(0)
	v_cmp_neq_f32_e64 s0, v1, v21
.LBB198_59:
                                        ; implicit-def: $sgpr1
	s_branch .LBB198_87
.LBB198_60:
	s_mov_b32 s40, 0
                                        ; implicit-def: $sgpr0
                                        ; implicit-def: $vgpr59
                                        ; implicit-def: $vgpr54
                                        ; implicit-def: $vgpr52
                                        ; implicit-def: $vgpr50
                                        ; implicit-def: $vgpr48
                                        ; implicit-def: $vgpr46
                                        ; implicit-def: $vgpr44
                                        ; implicit-def: $vgpr60
                                        ; implicit-def: $vgpr61
                                        ; implicit-def: $vgpr62
                                        ; implicit-def: $vgpr63
                                        ; implicit-def: $vgpr64
                                        ; implicit-def: $vgpr56
                                        ; implicit-def: $vgpr57
                                        ; implicit-def: $sgpr1
	s_cbranch_execnz .LBB198_79
	s_branch .LBB198_87
.LBB198_61:
	v_add_co_u32 v32, vcc_lo, v1, v26
	v_add_co_ci_u32_e32 v33, vcc_lo, 0, v3, vcc_lo
	flat_load_b32 v32, v[32:33]
	s_or_b32 exec_lo, exec_lo, s16
                                        ; implicit-def: $vgpr33
	s_and_saveexec_b32 s16, s0
	s_cbranch_execz .LBB198_39
.LBB198_62:
	v_add_co_u32 v33, vcc_lo, v1, v26
	v_add_co_ci_u32_e32 v34, vcc_lo, 0, v3, vcc_lo
	flat_load_b32 v33, v[33:34] offset:1024
	s_or_b32 exec_lo, exec_lo, s16
                                        ; implicit-def: $vgpr34
	s_and_saveexec_b32 s0, s1
	s_cbranch_execz .LBB198_40
.LBB198_63:
	v_add_co_u32 v34, vcc_lo, v1, v26
	v_add_co_ci_u32_e32 v35, vcc_lo, 0, v3, vcc_lo
	flat_load_b32 v34, v[34:35] offset:2048
	s_or_b32 exec_lo, exec_lo, s0
                                        ; implicit-def: $vgpr35
	s_and_saveexec_b32 s0, s4
	s_cbranch_execz .LBB198_41
.LBB198_64:
	v_add_co_u32 v35, vcc_lo, v1, v26
	v_add_co_ci_u32_e32 v36, vcc_lo, 0, v3, vcc_lo
	flat_load_b32 v35, v[35:36] offset:3072
	s_or_b32 exec_lo, exec_lo, s0
                                        ; implicit-def: $vgpr36
	s_and_saveexec_b32 s0, s5
	s_cbranch_execz .LBB198_42
.LBB198_65:
	v_add_co_u32 v36, vcc_lo, v1, v6
	v_add_co_ci_u32_e32 v37, vcc_lo, 0, v3, vcc_lo
	flat_load_b32 v36, v[36:37]
	s_or_b32 exec_lo, exec_lo, s0
                                        ; implicit-def: $vgpr6
	s_and_saveexec_b32 s0, s6
	s_cbranch_execz .LBB198_43
.LBB198_66:
	v_add_co_u32 v6, vcc_lo, v1, v7
	v_add_co_ci_u32_e32 v7, vcc_lo, 0, v3, vcc_lo
	flat_load_b32 v6, v[6:7]
	s_or_b32 exec_lo, exec_lo, s0
                                        ; implicit-def: $vgpr7
	s_and_saveexec_b32 s0, s7
	s_cbranch_execz .LBB198_44
.LBB198_67:
	v_add_co_u32 v7, vcc_lo, v1, v8
	v_add_co_ci_u32_e32 v8, vcc_lo, 0, v3, vcc_lo
	flat_load_b32 v7, v[7:8]
	s_or_b32 exec_lo, exec_lo, s0
                                        ; implicit-def: $vgpr8
	s_and_saveexec_b32 s0, s8
	s_cbranch_execz .LBB198_45
.LBB198_68:
	v_add_co_u32 v37, vcc_lo, v1, v23
	v_add_co_ci_u32_e32 v38, vcc_lo, 0, v3, vcc_lo
	flat_load_b32 v8, v[37:38]
	s_or_b32 exec_lo, exec_lo, s0
                                        ; implicit-def: $vgpr23
	s_and_saveexec_b32 s0, s9
	s_cbranch_execz .LBB198_46
.LBB198_69:
	v_add_co_u32 v23, vcc_lo, v1, v24
	v_add_co_ci_u32_e32 v24, vcc_lo, 0, v3, vcc_lo
	flat_load_b32 v23, v[23:24]
	s_or_b32 exec_lo, exec_lo, s0
                                        ; implicit-def: $vgpr24
	s_and_saveexec_b32 s0, s10
	s_cbranch_execz .LBB198_47
.LBB198_70:
	v_add_co_u32 v24, vcc_lo, v1, v25
	v_add_co_ci_u32_e32 v25, vcc_lo, 0, v3, vcc_lo
	flat_load_b32 v24, v[24:25]
	s_or_b32 exec_lo, exec_lo, s0
                                        ; implicit-def: $vgpr25
	s_and_saveexec_b32 s0, s11
	s_cbranch_execz .LBB198_48
.LBB198_71:
	v_add_co_u32 v37, vcc_lo, v1, v27
	v_add_co_ci_u32_e32 v38, vcc_lo, 0, v3, vcc_lo
	flat_load_b32 v25, v[37:38]
	s_or_b32 exec_lo, exec_lo, s0
                                        ; implicit-def: $vgpr27
	s_and_saveexec_b32 s0, s12
	s_cbranch_execz .LBB198_49
.LBB198_72:
	v_add_co_u32 v27, vcc_lo, v1, v28
	v_add_co_ci_u32_e32 v28, vcc_lo, 0, v3, vcc_lo
	flat_load_b32 v27, v[27:28]
	s_or_b32 exec_lo, exec_lo, s0
                                        ; implicit-def: $vgpr28
	s_and_saveexec_b32 s0, s13
	s_cbranch_execz .LBB198_50
.LBB198_73:
	v_add_co_u32 v28, vcc_lo, v1, v29
	v_add_co_ci_u32_e32 v29, vcc_lo, 0, v3, vcc_lo
	flat_load_b32 v28, v[28:29]
	s_or_b32 exec_lo, exec_lo, s0
                                        ; implicit-def: $vgpr29
	s_and_saveexec_b32 s0, s14
	s_cbranch_execz .LBB198_51
.LBB198_74:
	v_add_co_u32 v29, vcc_lo, v1, v30
	v_add_co_ci_u32_e32 v30, vcc_lo, 0, v3, vcc_lo
	flat_load_b32 v29, v[29:30]
	s_or_b32 exec_lo, exec_lo, s0
                                        ; implicit-def: $vgpr30
	s_and_saveexec_b32 s0, s15
	s_cbranch_execnz .LBB198_52
	s_branch .LBB198_53
.LBB198_75:
	s_mov_b32 s40, 0
                                        ; implicit-def: $sgpr0
                                        ; implicit-def: $vgpr59
                                        ; implicit-def: $vgpr54
                                        ; implicit-def: $vgpr52
                                        ; implicit-def: $vgpr50
                                        ; implicit-def: $vgpr48
                                        ; implicit-def: $vgpr46
                                        ; implicit-def: $vgpr44
                                        ; implicit-def: $vgpr60
                                        ; implicit-def: $vgpr61
                                        ; implicit-def: $vgpr62
                                        ; implicit-def: $vgpr63
                                        ; implicit-def: $vgpr64
                                        ; implicit-def: $vgpr56
                                        ; implicit-def: $vgpr57
	s_cbranch_execz .LBB198_59
; %bb.76:
	v_cmp_neq_f32_e32 vcc_lo, v10, v58
	v_lshlrev_b32_e32 v1, 2, v0
                                        ; implicit-def: $sgpr0
	v_cndmask_b32_e64 v59, 0, 1, vcc_lo
	v_cmp_neq_f32_e32 vcc_lo, v9, v10
	ds_store_b32 v1, v58
	s_waitcnt lgkmcnt(0)
	s_barrier
	buffer_gl0_inv
	v_cndmask_b32_e64 v54, 0, 1, vcc_lo
	v_cmp_neq_f32_e32 vcc_lo, v12, v9
	v_cndmask_b32_e64 v52, 0, 1, vcc_lo
	v_cmp_neq_f32_e32 vcc_lo, v11, v12
	;; [unrolled: 2-line block ×12, first 2 shown]
	v_cndmask_b32_e64 v57, 0, 1, vcc_lo
	s_and_saveexec_b32 s1, s3
	s_delay_alu instid0(SALU_CYCLE_1)
	s_xor_b32 s1, exec_lo, s1
	s_cbranch_execz .LBB198_78
; %bb.77:
	v_add_nc_u32_e32 v1, -4, v1
	s_or_b32 s40, s40, exec_lo
	ds_load_b32 v1, v1
	s_waitcnt lgkmcnt(0)
	v_cmp_neq_f32_e32 vcc_lo, v1, v21
	s_and_b32 s0, vcc_lo, exec_lo
.LBB198_78:
	s_or_b32 exec_lo, exec_lo, s1
	s_mov_b32 s1, 1
	s_branch .LBB198_87
.LBB198_79:
	s_mul_hi_u32 s0, s24, 0xfffff100
	s_mul_i32 s1, s25, 0xfffff100
	s_sub_i32 s0, s0, s24
	s_mul_i32 s4, s24, 0xfffff100
	s_add_i32 s0, s0, s1
	s_add_u32 s24, s4, s36
	s_addc_u32 s25, s0, s37
	s_and_b32 vcc_lo, exec_lo, s15
	v_cmp_neq_f32_e64 s14, v10, v58
	v_cmp_neq_f32_e64 s15, v9, v10
	;; [unrolled: 1-line block ×14, first 2 shown]
	v_mad_u32_u24 v1, v0, 15, 14
	v_mad_u32_u24 v55, v0, 15, 13
	;; [unrolled: 1-line block ×14, first 2 shown]
	s_cbranch_vccz .LBB198_84
; %bb.80:
	v_add_co_u32 v56, vcc_lo, -4, v4
	v_add_co_ci_u32_e32 v57, vcc_lo, -1, v2, vcc_lo
	v_mov_b32_e32 v2, 0
	s_mov_b32 s40, -1
	s_mov_b32 s36, 0
	flat_load_b32 v66, v[56:57]
	v_lshlrev_b32_e32 v57, 2, v0
	v_cmp_gt_u64_e32 vcc_lo, s[24:25], v[1:2]
	v_mov_b32_e32 v56, v2
	v_mov_b32_e32 v54, v2
	;; [unrolled: 1-line block ×5, first 2 shown]
	v_cmp_gt_u64_e64 s16, s[24:25], v[55:56]
	s_and_b32 s37, vcc_lo, s14
	v_cmp_gt_u64_e32 vcc_lo, s[24:25], v[53:54]
	v_mov_b32_e32 v46, v2
	v_mov_b32_e32 v44, v2
	v_cmp_gt_u64_e64 s14, s[24:25], v[51:52]
	s_and_b32 s41, s16, s15
	v_mov_b32_e32 v42, v2
	s_and_b32 s42, vcc_lo, s13
	v_cmp_gt_u64_e32 vcc_lo, s[24:25], v[49:50]
	v_cmp_gt_u64_e64 s13, s[24:25], v[47:48]
	v_cmp_gt_u64_e64 s15, s[24:25], v[45:46]
	;; [unrolled: 1-line block ×3, first 2 shown]
	v_mov_b32_e32 v40, v2
	v_mov_b32_e32 v38, v2
	;; [unrolled: 1-line block ×5, first 2 shown]
	s_and_b32 s14, s14, s12
	s_and_b32 s43, vcc_lo, s8
	s_and_b32 s13, s13, s9
	s_and_b32 s15, s15, s10
	;; [unrolled: 1-line block ×3, first 2 shown]
	v_cmp_gt_u64_e32 vcc_lo, s[24:25], v[41:42]
	v_cmp_gt_u64_e64 s8, s[24:25], v[39:40]
	v_cmp_gt_u64_e64 s9, s[24:25], v[37:38]
	v_cmp_gt_u64_e64 s10, s[24:25], v[7:8]
	v_cmp_gt_u64_e64 s11, s[24:25], v[5:6]
	v_cmp_gt_u64_e64 s12, s[24:25], v[3:4]
	v_mul_u32_u24_e32 v56, 15, v0
	s_and_b32 s0, vcc_lo, s0
	s_and_b32 s8, s8, s1
	s_and_b32 s9, s9, s4
	;; [unrolled: 1-line block ×5, first 2 shown]
	ds_store_b32 v57, v58
	s_waitcnt vmcnt(0) lgkmcnt(0)
	s_barrier
	buffer_gl0_inv
	s_and_saveexec_b32 s6, s3
	s_cbranch_execz .LBB198_82
; %bb.81:
	v_add_nc_u32_e32 v4, -4, v57
	ds_load_b32 v66, v4
.LBB198_82:
	s_or_b32 exec_lo, exec_lo, s6
	v_mov_b32_e32 v57, v2
	v_cndmask_b32_e64 v61, 0, 1, s0
	s_waitcnt lgkmcnt(0)
	v_cmp_neq_f32_e64 s0, v66, v21
	v_cndmask_b32_e64 v59, 0, 1, s37
	v_cndmask_b32_e64 v54, 0, 1, s41
	v_cmp_gt_u64_e32 vcc_lo, s[24:25], v[56:57]
	v_cndmask_b32_e64 v52, 0, 1, s42
	v_cndmask_b32_e64 v50, 0, 1, s14
	;; [unrolled: 1-line block ×11, first 2 shown]
	s_and_b32 s0, vcc_lo, s0
	s_and_b32 vcc_lo, exec_lo, s36
	s_cbranch_vccnz .LBB198_85
.LBB198_83:
                                        ; implicit-def: $sgpr1
	v_mov_b32_e32 v43, s1
	s_and_saveexec_b32 s1, s40
	s_cbranch_execnz .LBB198_88
	s_branch .LBB198_89
.LBB198_84:
                                        ; implicit-def: $sgpr0
                                        ; implicit-def: $vgpr59
                                        ; implicit-def: $vgpr54
                                        ; implicit-def: $vgpr52
                                        ; implicit-def: $vgpr50
                                        ; implicit-def: $vgpr48
                                        ; implicit-def: $vgpr46
                                        ; implicit-def: $vgpr44
                                        ; implicit-def: $vgpr60
                                        ; implicit-def: $vgpr61
                                        ; implicit-def: $vgpr62
                                        ; implicit-def: $vgpr63
                                        ; implicit-def: $vgpr64
                                        ; implicit-def: $vgpr56
                                        ; implicit-def: $vgpr57
	s_cbranch_execz .LBB198_83
.LBB198_85:
	v_mov_b32_e32 v2, 0
	v_cmp_neq_f32_e64 s1, v12, v9
	v_cmp_neq_f32_e32 vcc_lo, v10, v58
	v_cmp_neq_f32_e64 s0, v9, v10
	v_lshlrev_b32_e32 v66, 2, v0
	v_mov_b32_e32 v54, v2
	v_mov_b32_e32 v56, v2
	v_cmp_gt_u64_e64 s4, s[24:25], v[1:2]
	v_mov_b32_e32 v52, v2
	v_mov_b32_e32 v50, v2
	v_cmp_gt_u64_e64 s6, s[24:25], v[53:54]
	v_cmp_gt_u64_e64 s5, s[24:25], v[55:56]
	v_mov_b32_e32 v48, v2
	s_and_b32 s4, s4, vcc_lo
	v_cmp_gt_u64_e32 vcc_lo, s[24:25], v[51:52]
	v_cndmask_b32_e64 v59, 0, 1, s4
	s_and_b32 s1, s6, s1
	s_and_b32 s0, s5, s0
	v_cndmask_b32_e64 v52, 0, 1, s1
	v_cmp_gt_u64_e64 s1, s[24:25], v[49:50]
	v_cmp_neq_f32_e64 s4, v14, v11
	v_cndmask_b32_e64 v54, 0, 1, s0
	v_cmp_neq_f32_e64 s0, v11, v12
	v_mov_b32_e32 v46, v2
	v_mov_b32_e32 v44, v2
	s_and_b32 s1, s1, s4
	v_cmp_neq_f32_e64 s4, v16, v13
	s_and_b32 s0, vcc_lo, s0
	v_cmp_gt_u64_e32 vcc_lo, s[24:25], v[47:48]
	v_cndmask_b32_e64 v48, 0, 1, s1
	v_cmp_gt_u64_e64 s1, s[24:25], v[45:46]
	v_cndmask_b32_e64 v50, 0, 1, s0
	v_cmp_neq_f32_e64 s0, v13, v14
	v_mov_b32_e32 v42, v2
	v_mov_b32_e32 v40, v2
	;; [unrolled: 1-line block ×3, first 2 shown]
	s_and_b32 s1, s1, s4
	s_and_b32 s0, vcc_lo, s0
	v_cmp_gt_u64_e32 vcc_lo, s[24:25], v[43:44]
	v_cndmask_b32_e64 v46, 0, 1, s0
	v_cmp_neq_f32_e64 s0, v15, v16
	v_cndmask_b32_e64 v44, 0, 1, s1
	v_cmp_gt_u64_e64 s1, s[24:25], v[41:42]
	v_cmp_neq_f32_e64 s4, v18, v15
	v_mov_b32_e32 v8, v2
	s_and_b32 s0, vcc_lo, s0
	v_cmp_gt_u64_e32 vcc_lo, s[24:25], v[39:40]
	v_cndmask_b32_e64 v60, 0, 1, s0
	s_and_b32 s1, s1, s4
	v_cmp_neq_f32_e64 s0, v17, v18
	v_cndmask_b32_e64 v61, 0, 1, s1
	v_cmp_gt_u64_e64 s1, s[24:25], v[37:38]
	v_cmp_neq_f32_e64 s4, v20, v17
	v_mov_b32_e32 v6, v2
	s_and_b32 s0, vcc_lo, s0
	v_mov_b32_e32 v4, v2
	v_cndmask_b32_e64 v62, 0, 1, s0
	s_and_b32 s0, s1, s4
	v_cmp_gt_u64_e32 vcc_lo, s[24:25], v[7:8]
	v_cndmask_b32_e64 v63, 0, 1, s0
	v_cmp_neq_f32_e64 s0, v19, v20
	v_cmp_gt_u64_e64 s1, s[24:25], v[5:6]
	v_cmp_neq_f32_e64 s4, v22, v19
	v_cmp_gt_u64_e64 s5, s[24:25], v[3:4]
	v_cmp_neq_f32_e64 s6, v21, v22
	s_and_b32 s0, vcc_lo, s0
	ds_store_b32 v66, v58
	v_cndmask_b32_e64 v64, 0, 1, s0
	s_and_b32 s0, s1, s4
	s_mov_b32 s1, 1
	v_cndmask_b32_e64 v56, 0, 1, s0
	s_and_b32 s0, s5, s6
	s_waitcnt lgkmcnt(0)
	v_cndmask_b32_e64 v57, 0, 1, s0
	s_barrier
	buffer_gl0_inv
                                        ; implicit-def: $sgpr0
	s_and_saveexec_b32 s4, s3
	s_cbranch_execz .LBB198_167
; %bb.86:
	v_add_nc_u32_e32 v1, -4, v66
	s_or_b32 s40, s40, exec_lo
	ds_load_b32 v3, v1
	v_mul_u32_u24_e32 v1, 15, v0
	s_delay_alu instid0(VALU_DEP_1) | instskip(SKIP_2) | instid1(VALU_DEP_1)
	v_cmp_gt_u64_e32 vcc_lo, s[24:25], v[1:2]
	s_waitcnt lgkmcnt(0)
	v_cmp_neq_f32_e64 s0, v3, v21
	s_and_b32 s0, vcc_lo, s0
	s_delay_alu instid0(SALU_CYCLE_1)
	s_and_b32 s0, s0, exec_lo
	s_or_b32 exec_lo, exec_lo, s4
.LBB198_87:
	v_mov_b32_e32 v43, s1
	s_and_saveexec_b32 s1, s40
.LBB198_88:
	s_delay_alu instid0(VALU_DEP_2)
	v_cndmask_b32_e64 v43, 0, 1, s0
.LBB198_89:
	s_or_b32 exec_lo, exec_lo, s1
	s_delay_alu instid0(VALU_DEP_1)
	v_add3_u32 v1, v57, v43, v56
	v_add_f32_e32 v74, v35, v36
	v_cmp_eq_u32_e64 s13, 0, v57
	v_cmp_eq_u32_e64 s12, 0, v56
	;; [unrolled: 1-line block ×3, first 2 shown]
	v_add3_u32 v73, v1, v64, v63
	v_cmp_eq_u32_e64 s11, 0, v63
	v_cmp_eq_u32_e64 s9, 0, v62
	;; [unrolled: 1-line block ×10, first 2 shown]
	v_cmp_eq_u32_e32 vcc_lo, 0, v59
	v_mbcnt_lo_u32_b32 v70, -1, 0
	v_lshrrev_b32_e32 v71, 5, v0
	v_or_b32_e32 v72, 31, v0
	s_cmp_eq_u64 s[22:23], 0
	s_cselect_b32 s16, -1, 0
	s_cmp_lg_u32 s33, 0
	s_cbranch_scc0 .LBB198_115
; %bb.90:
	v_add3_u32 v2, v73, v62, v61
	v_cndmask_b32_e64 v1, v36, v74, s13
	s_mov_b32 s15, exec_lo
	v_and_b32_e32 v4, 15, v70
	v_and_b32_e32 v6, 16, v70
	v_add3_u32 v2, v2, v60, v44
	v_add_f32_e32 v1, v33, v1
	s_delay_alu instid0(VALU_DEP_2) | instskip(NEXT) | instid1(VALU_DEP_2)
	v_add3_u32 v2, v2, v46, v48
	v_cndmask_b32_e64 v1, v33, v1, s12
	s_delay_alu instid0(VALU_DEP_2) | instskip(NEXT) | instid1(VALU_DEP_1)
	v_add3_u32 v2, v2, v50, v52
	v_add3_u32 v2, v2, v54, v59
	s_delay_alu instid0(VALU_DEP_3) | instskip(NEXT) | instid1(VALU_DEP_2)
	v_add_f32_e32 v1, v34, v1
	v_mov_b32_dpp v5, v2 row_shr:1 row_mask:0xf bank_mask:0xf
	s_delay_alu instid0(VALU_DEP_2) | instskip(NEXT) | instid1(VALU_DEP_1)
	v_cndmask_b32_e64 v1, v34, v1, s10
	v_add_f32_e32 v1, v31, v1
	s_delay_alu instid0(VALU_DEP_1) | instskip(NEXT) | instid1(VALU_DEP_1)
	v_cndmask_b32_e64 v1, v31, v1, s11
	v_add_f32_e32 v1, v32, v1
	s_delay_alu instid0(VALU_DEP_1) | instskip(NEXT) | instid1(VALU_DEP_1)
	;; [unrolled: 3-line block ×10, first 2 shown]
	v_cndmask_b32_e64 v1, v24, v1, s0
	v_add_f32_e32 v1, v65, v1
	s_delay_alu instid0(VALU_DEP_1) | instskip(SKIP_1) | instid1(VALU_DEP_2)
	v_cndmask_b32_e32 v1, v65, v1, vcc_lo
	v_cmp_eq_u32_e32 vcc_lo, 0, v2
	v_mov_b32_dpp v3, v1 row_shr:1 row_mask:0xf bank_mask:0xf
	s_delay_alu instid0(VALU_DEP_1) | instskip(NEXT) | instid1(VALU_DEP_1)
	v_add_f32_e32 v3, v1, v3
	v_cndmask_b32_e32 v3, v1, v3, vcc_lo
	v_cmp_eq_u32_e32 vcc_lo, 0, v4
	v_cndmask_b32_e64 v5, v5, 0, vcc_lo
	s_delay_alu instid0(VALU_DEP_1) | instskip(NEXT) | instid1(VALU_DEP_1)
	v_dual_cndmask_b32 v1, v3, v1 :: v_dual_add_nc_u32 v2, v5, v2
	v_mov_b32_dpp v3, v1 row_shr:2 row_mask:0xf bank_mask:0xf
	s_delay_alu instid0(VALU_DEP_2) | instskip(NEXT) | instid1(VALU_DEP_2)
	v_cmp_eq_u32_e32 vcc_lo, 0, v2
	v_add_f32_e32 v3, v1, v3
	v_mov_b32_dpp v5, v2 row_shr:2 row_mask:0xf bank_mask:0xf
	s_delay_alu instid0(VALU_DEP_2) | instskip(SKIP_1) | instid1(VALU_DEP_2)
	v_cndmask_b32_e32 v3, v1, v3, vcc_lo
	v_cmp_lt_u32_e32 vcc_lo, 1, v4
	v_cndmask_b32_e32 v1, v1, v3, vcc_lo
	s_delay_alu instid0(VALU_DEP_4) | instskip(NEXT) | instid1(VALU_DEP_2)
	v_cndmask_b32_e32 v3, 0, v5, vcc_lo
	v_mov_b32_dpp v5, v1 row_shr:4 row_mask:0xf bank_mask:0xf
	s_delay_alu instid0(VALU_DEP_1) | instskip(NEXT) | instid1(VALU_DEP_1)
	v_dual_add_f32 v3, v1, v5 :: v_dual_add_nc_u32 v2, v2, v3
	v_cmp_eq_u32_e32 vcc_lo, 0, v2
	v_mov_b32_dpp v5, v2 row_shr:4 row_mask:0xf bank_mask:0xf
	s_delay_alu instid0(VALU_DEP_3) | instskip(SKIP_1) | instid1(VALU_DEP_2)
	v_cndmask_b32_e32 v3, v1, v3, vcc_lo
	v_cmp_lt_u32_e32 vcc_lo, 3, v4
	v_cndmask_b32_e32 v1, v1, v3, vcc_lo
	s_delay_alu instid0(VALU_DEP_4) | instskip(NEXT) | instid1(VALU_DEP_2)
	v_cndmask_b32_e32 v3, 0, v5, vcc_lo
	v_mov_b32_dpp v5, v1 row_shr:8 row_mask:0xf bank_mask:0xf
	s_delay_alu instid0(VALU_DEP_1) | instskip(NEXT) | instid1(VALU_DEP_1)
	v_dual_add_f32 v2, v1, v5 :: v_dual_add_nc_u32 v3, v3, v2
	v_cmp_eq_u32_e32 vcc_lo, 0, v3
	v_mov_b32_dpp v5, v3 row_shr:8 row_mask:0xf bank_mask:0xf
	s_delay_alu instid0(VALU_DEP_3) | instskip(SKIP_1) | instid1(VALU_DEP_2)
	v_cndmask_b32_e32 v2, v1, v2, vcc_lo
	v_cmp_lt_u32_e32 vcc_lo, 7, v4
	v_dual_cndmask_b32 v2, v1, v2 :: v_dual_cndmask_b32 v1, 0, v5
	v_bfe_i32 v5, v70, 4, 1
	s_delay_alu instid0(VALU_DEP_2)
	v_add_nc_u32_e32 v1, v1, v3
	ds_swizzle_b32 v3, v2 offset:swizzle(BROADCAST,32,15)
	ds_swizzle_b32 v4, v1 offset:swizzle(BROADCAST,32,15)
	v_cmp_eq_u32_e32 vcc_lo, 0, v1
	s_waitcnt lgkmcnt(1)
	v_add_f32_e32 v3, v2, v3
	s_waitcnt lgkmcnt(0)
	v_and_b32_e32 v7, v5, v4
	s_delay_alu instid0(VALU_DEP_2) | instskip(SKIP_2) | instid1(VALU_DEP_4)
	v_cndmask_b32_e32 v5, v2, v3, vcc_lo
	v_cmp_eq_u32_e32 vcc_lo, 0, v6
	v_lshlrev_b32_e32 v4, 3, v71
	v_add_nc_u32_e32 v1, v7, v1
	s_delay_alu instid0(VALU_DEP_4)
	v_cndmask_b32_e32 v3, v5, v2, vcc_lo
	v_cmpx_eq_u32_e64 v72, v0
	s_cbranch_execz .LBB198_92
; %bb.91:
	v_cndmask_b32_e32 v2, v5, v2, vcc_lo
	ds_store_b64 v4, v[1:2] offset:2064
.LBB198_92:
	s_or_b32 exec_lo, exec_lo, s15
	s_delay_alu instid0(SALU_CYCLE_1)
	s_mov_b32 s15, exec_lo
	s_waitcnt lgkmcnt(0)
	s_barrier
	buffer_gl0_inv
	v_cmpx_gt_u32_e32 8, v0
	s_cbranch_execz .LBB198_94
; %bb.93:
	v_lshlrev_b32_e32 v2, 3, v0
	ds_load_b64 v[5:6], v2 offset:2064
	s_waitcnt lgkmcnt(0)
	v_mov_b32_dpp v7, v6 row_shr:1 row_mask:0xf bank_mask:0xf
	v_cmp_eq_u32_e32 vcc_lo, 0, v5
	v_mov_b32_dpp v37, v5 row_shr:1 row_mask:0xf bank_mask:0xf
	s_delay_alu instid0(VALU_DEP_3) | instskip(NEXT) | instid1(VALU_DEP_1)
	v_dual_add_f32 v7, v6, v7 :: v_dual_and_b32 v8, 7, v70
	v_cndmask_b32_e32 v7, v6, v7, vcc_lo
	s_delay_alu instid0(VALU_DEP_2) | instskip(NEXT) | instid1(VALU_DEP_4)
	v_cmp_eq_u32_e32 vcc_lo, 0, v8
	v_cndmask_b32_e64 v37, v37, 0, vcc_lo
	s_delay_alu instid0(VALU_DEP_1) | instskip(NEXT) | instid1(VALU_DEP_1)
	v_dual_cndmask_b32 v6, v7, v6 :: v_dual_add_nc_u32 v5, v37, v5
	v_mov_b32_dpp v7, v6 row_shr:2 row_mask:0xf bank_mask:0xf
	s_delay_alu instid0(VALU_DEP_2) | instskip(NEXT) | instid1(VALU_DEP_2)
	v_cmp_eq_u32_e32 vcc_lo, 0, v5
	v_add_f32_e32 v7, v6, v7
	v_mov_b32_dpp v37, v5 row_shr:2 row_mask:0xf bank_mask:0xf
	s_delay_alu instid0(VALU_DEP_2) | instskip(SKIP_1) | instid1(VALU_DEP_2)
	v_cndmask_b32_e32 v7, v6, v7, vcc_lo
	v_cmp_lt_u32_e32 vcc_lo, 1, v8
	v_dual_cndmask_b32 v6, v6, v7 :: v_dual_cndmask_b32 v7, 0, v37
	v_cmp_lt_u32_e32 vcc_lo, 3, v8
	s_delay_alu instid0(VALU_DEP_2) | instskip(NEXT) | instid1(VALU_DEP_1)
	v_mov_b32_dpp v37, v6 row_shr:4 row_mask:0xf bank_mask:0xf
	v_add_f32_e32 v8, v6, v37
	s_delay_alu instid0(VALU_DEP_4) | instskip(NEXT) | instid1(VALU_DEP_1)
	v_add_nc_u32_e32 v5, v7, v5
	v_mov_b32_dpp v7, v5 row_shr:4 row_mask:0xf bank_mask:0xf
	v_cmp_eq_u32_e64 s14, 0, v5
	s_delay_alu instid0(VALU_DEP_2) | instskip(NEXT) | instid1(VALU_DEP_2)
	v_cndmask_b32_e32 v7, 0, v7, vcc_lo
	s_and_b32 vcc_lo, vcc_lo, s14
	s_delay_alu instid0(VALU_DEP_1)
	v_dual_cndmask_b32 v6, v6, v8 :: v_dual_add_nc_u32 v5, v7, v5
	ds_store_b64 v2, v[5:6] offset:2064
.LBB198_94:
	s_or_b32 exec_lo, exec_lo, s15
	v_cmp_gt_u32_e32 vcc_lo, 32, v0
	v_dual_mov_b32 v37, 0 :: v_dual_mov_b32 v38, 0
	s_mov_b32 s15, exec_lo
	s_waitcnt lgkmcnt(0)
	s_barrier
	buffer_gl0_inv
	v_cmpx_lt_u32_e32 31, v0
	s_cbranch_execz .LBB198_96
; %bb.95:
	ds_load_b64 v[37:38], v4 offset:2056
	v_cmp_eq_u32_e64 s14, 0, v1
	s_waitcnt lgkmcnt(0)
	v_add_nc_u32_e32 v4, v37, v1
	s_delay_alu instid0(VALU_DEP_1) | instskip(NEXT) | instid1(VALU_DEP_1)
	v_dual_add_f32 v2, v3, v38 :: v_dual_mov_b32 v1, v4
	v_cndmask_b32_e64 v3, v3, v2, s14
.LBB198_96:
	s_or_b32 exec_lo, exec_lo, s15
	v_add_nc_u32_e32 v2, -1, v70
	s_delay_alu instid0(VALU_DEP_1) | instskip(NEXT) | instid1(VALU_DEP_1)
	v_cmp_gt_i32_e64 s14, 0, v2
	v_cndmask_b32_e64 v2, v2, v70, s14
	v_cmp_eq_u32_e64 s14, 0, v70
	s_delay_alu instid0(VALU_DEP_2)
	v_lshlrev_b32_e32 v2, 2, v2
	ds_bpermute_b32 v45, v2, v1
	ds_bpermute_b32 v47, v2, v3
	s_and_saveexec_b32 s22, vcc_lo
	s_cbranch_execz .LBB198_114
; %bb.97:
	v_mov_b32_e32 v4, 0
	ds_load_b64 v[1:2], v4 offset:2120
	s_waitcnt lgkmcnt(0)
	v_readfirstlane_b32 s23, v2
	s_and_saveexec_b32 s15, s14
	s_cbranch_execz .LBB198_99
; %bb.98:
	s_add_i32 s24, s33, 32
	s_mov_b32 s25, 0
	v_mov_b32_e32 v3, 1
	s_lshl_b64 s[36:37], s[24:25], 4
	s_mov_b32 s40, s25
	s_add_u32 s36, s20, s36
	s_addc_u32 s37, s21, s37
	s_and_b32 s41, s23, 0xff000000
	s_and_b32 s43, s23, 0xff0000
	s_mov_b32 s42, s25
	v_dual_mov_b32 v5, s36 :: v_dual_mov_b32 v6, s37
	s_or_b64 s[40:41], s[42:43], s[40:41]
	s_and_b32 s43, s23, 0xff00
	s_delay_alu instid0(SALU_CYCLE_1) | instskip(SKIP_1) | instid1(SALU_CYCLE_1)
	s_or_b64 s[40:41], s[40:41], s[42:43]
	s_and_b32 s43, s23, 0xff
	s_or_b64 s[24:25], s[40:41], s[42:43]
	s_delay_alu instid0(SALU_CYCLE_1)
	v_mov_b32_e32 v2, s25
	;;#ASMSTART
	global_store_dwordx4 v[5:6], v[1:4] off	
s_waitcnt vmcnt(0)
	;;#ASMEND
.LBB198_99:
	s_or_b32 exec_lo, exec_lo, s15
	v_xad_u32 v39, v70, -1, s33
	s_mov_b32 s24, 0
	s_mov_b32 s15, exec_lo
	s_delay_alu instid0(VALU_DEP_1) | instskip(NEXT) | instid1(VALU_DEP_1)
	v_add_nc_u32_e32 v3, 32, v39
	v_lshlrev_b64 v[2:3], 4, v[3:4]
	s_delay_alu instid0(VALU_DEP_1) | instskip(NEXT) | instid1(VALU_DEP_2)
	v_add_co_u32 v2, vcc_lo, s20, v2
	v_add_co_ci_u32_e32 v3, vcc_lo, s21, v3, vcc_lo
	;;#ASMSTART
	global_load_dwordx4 v[5:8], v[2:3] off glc	
s_waitcnt vmcnt(0)
	;;#ASMEND
	v_perm_b32 v4, v6, v7, 0x70605
	v_perm_b32 v8, v6, v7, 0x1000706
	;; [unrolled: 1-line block ×3, first 2 shown]
	v_and_b32_e32 v49, 0xff, v7
	s_delay_alu instid0(VALU_DEP_4) | instskip(NEXT) | instid1(VALU_DEP_4)
	v_lshlrev_b32_e32 v4, 8, v4
	v_lshlrev_b32_e32 v8, 16, v8
	s_delay_alu instid0(VALU_DEP_4) | instskip(SKIP_1) | instid1(VALU_DEP_4)
	v_lshlrev_b32_e32 v41, 24, v40
	v_alignbit_b32 v40, v6, v5, 16
	v_perm_b32 v4, v4, v6, 0xc0c0500
	s_delay_alu instid0(VALU_DEP_4) | instskip(SKIP_2) | instid1(VALU_DEP_3)
	v_and_b32_e32 v42, 0xff0000, v8
	v_alignbit_b32 v8, v6, v5, 8
	v_alignbit_b32 v6, v6, v5, 24
	v_or3_b32 v4, v4, v42, v41
	v_cmpx_eq_u16_e32 0, v49
	s_cbranch_execz .LBB198_102
.LBB198_100:                            ; =>This Inner Loop Header: Depth=1
	;;#ASMSTART
	global_load_dwordx4 v[5:8], v[2:3] off glc	
s_waitcnt vmcnt(0)
	;;#ASMEND
	v_and_b32_e32 v4, 0xff, v7
	s_delay_alu instid0(VALU_DEP_1) | instskip(SKIP_1) | instid1(SALU_CYCLE_1)
	v_cmp_ne_u16_e32 vcc_lo, 0, v4
	s_or_b32 s24, vcc_lo, s24
	s_and_not1_b32 exec_lo, exec_lo, s24
	s_cbranch_execnz .LBB198_100
; %bb.101:
	s_or_b32 exec_lo, exec_lo, s24
	v_perm_b32 v2, v6, v7, 0x70605
	v_perm_b32 v3, v6, v7, 0x1000706
	;; [unrolled: 1-line block ×3, first 2 shown]
	v_alignbit_b32 v8, v6, v5, 8
	v_alignbit_b32 v40, v6, v5, 16
	v_lshlrev_b32_e32 v2, 8, v2
	v_lshlrev_b32_e32 v3, 16, v3
	v_lshlrev_b32_e32 v4, 24, v4
	s_delay_alu instid0(VALU_DEP_3) | instskip(NEXT) | instid1(VALU_DEP_3)
	v_perm_b32 v2, v2, v6, 0xc0c0500
	v_and_b32_e32 v3, 0xff0000, v3
	v_alignbit_b32 v6, v6, v5, 24
	s_delay_alu instid0(VALU_DEP_2)
	v_or3_b32 v4, v2, v3, v4
.LBB198_102:
	s_or_b32 exec_lo, exec_lo, s15
	v_cmp_ne_u32_e32 vcc_lo, 31, v70
	v_lshlrev_b32_e32 v8, 8, v8
	v_cmp_gt_u32_e64 s15, 30, v70
	v_and_b32_e32 v5, 0xff, v5
	v_lshlrev_b32_e64 v49, v70, -1
	v_add_co_ci_u32_e32 v2, vcc_lo, 0, v70, vcc_lo
	v_and_b32_e32 v8, 0xff00, v8
	v_add_nc_u32_e32 v53, 2, v70
	v_add_nc_u32_e32 v66, 4, v70
	s_delay_alu instid0(VALU_DEP_4)
	v_lshlrev_b32_e32 v2, 2, v2
	v_add_nc_u32_e32 v68, 8, v70
	v_add_nc_u32_e32 v75, 16, v70
	ds_bpermute_b32 v3, v2, v4
	s_waitcnt lgkmcnt(0)
	v_dual_add_f32 v3, v4, v3 :: v_dual_lshlrev_b32 v40, 16, v40
	s_delay_alu instid0(VALU_DEP_1) | instskip(SKIP_1) | instid1(VALU_DEP_2)
	v_perm_b32 v6, v6, v40, 0x4020c0c
	v_cndmask_b32_e64 v40, 0, 1, s15
	v_or3_b32 v5, v6, v8, v5
	s_delay_alu instid0(VALU_DEP_2) | instskip(NEXT) | instid1(VALU_DEP_1)
	v_lshlrev_b32_e32 v6, 1, v40
	v_add_lshl_u32 v51, v6, v70, 2
	ds_bpermute_b32 v6, v2, v5
	v_and_b32_e32 v41, 0xff, v7
	s_delay_alu instid0(VALU_DEP_1) | instskip(SKIP_2) | instid1(VALU_DEP_2)
	v_cmp_eq_u16_e32 vcc_lo, 2, v41
	v_and_or_b32 v41, vcc_lo, v49, 0x80000000
	v_cmp_eq_u32_e32 vcc_lo, 0, v5
	v_ctz_i32_b32_e32 v8, v41
	v_cndmask_b32_e32 v3, v4, v3, vcc_lo
	s_delay_alu instid0(VALU_DEP_2) | instskip(SKIP_1) | instid1(VALU_DEP_2)
	v_cmp_lt_u32_e32 vcc_lo, v70, v8
	s_waitcnt lgkmcnt(0)
	v_dual_cndmask_b32 v6, 0, v6 :: v_dual_cndmask_b32 v3, v4, v3
	v_cmp_gt_u32_e32 vcc_lo, 28, v70
	ds_bpermute_b32 v4, v51, v3
	v_cndmask_b32_e64 v40, 0, 1, vcc_lo
	s_waitcnt lgkmcnt(0)
	v_dual_add_f32 v4, v3, v4 :: v_dual_add_nc_u32 v5, v6, v5
	s_delay_alu instid0(VALU_DEP_2) | instskip(NEXT) | instid1(VALU_DEP_2)
	v_lshlrev_b32_e32 v6, 2, v40
	v_cmp_eq_u32_e32 vcc_lo, 0, v5
	s_delay_alu instid0(VALU_DEP_2) | instskip(NEXT) | instid1(VALU_DEP_4)
	v_add_lshl_u32 v55, v6, v70, 2
	v_cndmask_b32_e32 v4, v3, v4, vcc_lo
	v_cmp_gt_u32_e32 vcc_lo, v53, v8
	ds_bpermute_b32 v40, v51, v5
	v_cndmask_b32_e32 v3, v4, v3, vcc_lo
	ds_bpermute_b32 v4, v55, v3
	s_waitcnt lgkmcnt(1)
	v_cndmask_b32_e64 v6, v40, 0, vcc_lo
	v_cmp_gt_u32_e32 vcc_lo, 24, v70
	s_waitcnt lgkmcnt(0)
	s_delay_alu instid0(VALU_DEP_2) | instskip(SKIP_1) | instid1(VALU_DEP_2)
	v_dual_add_f32 v4, v3, v4 :: v_dual_add_nc_u32 v5, v5, v6
	v_cndmask_b32_e64 v6, 0, 1, vcc_lo
	v_cmp_eq_u32_e32 vcc_lo, 0, v5
	s_delay_alu instid0(VALU_DEP_2) | instskip(NEXT) | instid1(VALU_DEP_4)
	v_lshlrev_b32_e32 v6, 3, v6
	v_cndmask_b32_e32 v4, v3, v4, vcc_lo
	ds_bpermute_b32 v40, v55, v5
	v_cmp_gt_u32_e32 vcc_lo, v66, v8
	v_add_lshl_u32 v67, v6, v70, 2
	v_cndmask_b32_e32 v3, v4, v3, vcc_lo
	ds_bpermute_b32 v4, v67, v3
	s_waitcnt lgkmcnt(1)
	v_cndmask_b32_e64 v6, v40, 0, vcc_lo
	v_cmp_gt_u32_e32 vcc_lo, 16, v70
	s_delay_alu instid0(VALU_DEP_2)
	v_add_nc_u32_e32 v5, v5, v6
	v_cndmask_b32_e64 v40, 0, 1, vcc_lo
	s_waitcnt lgkmcnt(0)
	v_add_f32_e32 v4, v3, v4
	ds_bpermute_b32 v6, v67, v5
	v_cmp_eq_u32_e32 vcc_lo, 0, v5
	v_lshlrev_b32_e32 v40, 4, v40
	v_cndmask_b32_e32 v4, v3, v4, vcc_lo
	v_cmp_gt_u32_e32 vcc_lo, v68, v8
	s_delay_alu instid0(VALU_DEP_3) | instskip(SKIP_2) | instid1(VALU_DEP_1)
	v_add_lshl_u32 v69, v40, v70, 2
	s_waitcnt lgkmcnt(0)
	v_cndmask_b32_e64 v6, v6, 0, vcc_lo
	v_add_nc_u32_e32 v5, v5, v6
	v_cndmask_b32_e32 v3, v4, v3, vcc_lo
	ds_bpermute_b32 v40, v69, v5
	ds_bpermute_b32 v4, v69, v3
	v_cmp_eq_u32_e32 vcc_lo, 0, v5
	s_waitcnt lgkmcnt(0)
	v_add_f32_e32 v4, v3, v4
	s_delay_alu instid0(VALU_DEP_1) | instskip(SKIP_1) | instid1(VALU_DEP_2)
	v_cndmask_b32_e32 v4, v3, v4, vcc_lo
	v_cmp_gt_u32_e32 vcc_lo, v75, v8
	v_cndmask_b32_e32 v6, v4, v3, vcc_lo
	v_cndmask_b32_e64 v3, v40, 0, vcc_lo
	s_delay_alu instid0(VALU_DEP_1)
	v_dual_mov_b32 v40, 0 :: v_dual_add_nc_u32 v5, v3, v5
	s_branch .LBB198_104
.LBB198_103:                            ;   in Loop: Header=BB198_104 Depth=1
	s_or_b32 exec_lo, exec_lo, s15
	ds_bpermute_b32 v41, v2, v6
	v_lshlrev_b32_e32 v42, 16, v77
	v_lshlrev_b32_e32 v8, 8, v8
	v_and_b32_e32 v5, 0xff, v5
	v_and_b32_e32 v77, 0xff, v7
	v_subrev_nc_u32_e32 v39, 32, v39
	v_perm_b32 v42, v76, v42, 0x4020c0c
	v_and_b32_e32 v8, 0xff00, v8
	s_delay_alu instid0(VALU_DEP_1)
	v_or3_b32 v5, v42, v8, v5
	ds_bpermute_b32 v42, v2, v5
	s_waitcnt lgkmcnt(1)
	v_add_f32_e32 v8, v6, v41
	v_cmp_eq_u16_e32 vcc_lo, 2, v77
	v_and_or_b32 v76, vcc_lo, v49, 0x80000000
	v_cmp_eq_u32_e32 vcc_lo, 0, v5
	s_delay_alu instid0(VALU_DEP_2) | instskip(SKIP_1) | instid1(VALU_DEP_2)
	v_ctz_i32_b32_e32 v41, v76
	v_cndmask_b32_e32 v8, v6, v8, vcc_lo
	v_cmp_lt_u32_e32 vcc_lo, v70, v41
	s_waitcnt lgkmcnt(0)
	v_cndmask_b32_e32 v42, 0, v42, vcc_lo
	s_delay_alu instid0(VALU_DEP_1)
	v_add_nc_u32_e32 v5, v42, v5
	v_cndmask_b32_e32 v6, v6, v8, vcc_lo
	ds_bpermute_b32 v42, v51, v5
	ds_bpermute_b32 v8, v51, v6
	v_cmp_eq_u32_e32 vcc_lo, 0, v5
	s_waitcnt lgkmcnt(0)
	v_add_f32_e32 v8, v6, v8
	s_delay_alu instid0(VALU_DEP_1) | instskip(SKIP_2) | instid1(VALU_DEP_1)
	v_cndmask_b32_e32 v8, v6, v8, vcc_lo
	v_cmp_gt_u32_e32 vcc_lo, v53, v41
	v_cndmask_b32_e64 v42, v42, 0, vcc_lo
	v_add_nc_u32_e32 v5, v5, v42
	s_delay_alu instid0(VALU_DEP_4) | instskip(NEXT) | instid1(VALU_DEP_2)
	v_cndmask_b32_e32 v6, v8, v6, vcc_lo
	v_cmp_eq_u32_e32 vcc_lo, 0, v5
	ds_bpermute_b32 v8, v55, v6
	ds_bpermute_b32 v42, v55, v5
	s_waitcnt lgkmcnt(1)
	v_add_f32_e32 v8, v6, v8
	s_delay_alu instid0(VALU_DEP_1) | instskip(SKIP_1) | instid1(VALU_DEP_2)
	v_cndmask_b32_e32 v8, v6, v8, vcc_lo
	v_cmp_gt_u32_e32 vcc_lo, v66, v41
	v_cndmask_b32_e32 v6, v8, v6, vcc_lo
	s_waitcnt lgkmcnt(0)
	v_cndmask_b32_e64 v42, v42, 0, vcc_lo
	ds_bpermute_b32 v8, v67, v6
	v_add_nc_u32_e32 v5, v5, v42
	ds_bpermute_b32 v42, v67, v5
	v_cmp_eq_u32_e32 vcc_lo, 0, v5
	s_waitcnt lgkmcnt(1)
	v_add_f32_e32 v8, v6, v8
	s_delay_alu instid0(VALU_DEP_1) | instskip(SKIP_1) | instid1(VALU_DEP_2)
	v_cndmask_b32_e32 v8, v6, v8, vcc_lo
	v_cmp_gt_u32_e32 vcc_lo, v68, v41
	v_cndmask_b32_e32 v6, v8, v6, vcc_lo
	s_waitcnt lgkmcnt(0)
	v_cndmask_b32_e64 v42, v42, 0, vcc_lo
	ds_bpermute_b32 v8, v69, v6
	v_add_nc_u32_e32 v5, v5, v42
	ds_bpermute_b32 v42, v69, v5
	v_cmp_eq_u32_e32 vcc_lo, 0, v5
	s_waitcnt lgkmcnt(1)
	v_add_f32_e32 v8, v6, v8
	s_delay_alu instid0(VALU_DEP_1) | instskip(SKIP_1) | instid1(VALU_DEP_2)
	v_cndmask_b32_e32 v8, v6, v8, vcc_lo
	v_cmp_gt_u32_e32 vcc_lo, v75, v41
	v_cndmask_b32_e32 v6, v8, v6, vcc_lo
	s_waitcnt lgkmcnt(0)
	v_cndmask_b32_e64 v8, v42, 0, vcc_lo
	v_cmp_eq_u32_e32 vcc_lo, 0, v3
	s_delay_alu instid0(VALU_DEP_3) | instskip(NEXT) | instid1(VALU_DEP_3)
	v_add_f32_e32 v6, v4, v6
	v_add3_u32 v5, v5, v3, v8
	s_delay_alu instid0(VALU_DEP_2)
	v_cndmask_b32_e32 v6, v4, v6, vcc_lo
.LBB198_104:                            ; =>This Loop Header: Depth=1
                                        ;     Child Loop BB198_107 Depth 2
	s_delay_alu instid0(VALU_DEP_1) | instskip(NEXT) | instid1(VALU_DEP_1)
	v_dual_mov_b32 v4, v6 :: v_dual_and_b32 v3, 0xff, v7
	v_cmp_ne_u16_e32 vcc_lo, 2, v3
	v_cndmask_b32_e64 v3, 0, 1, vcc_lo
	;;#ASMSTART
	;;#ASMEND
	s_delay_alu instid0(VALU_DEP_1)
	v_cmp_ne_u32_e32 vcc_lo, 0, v3
	v_mov_b32_e32 v3, v5
	s_cmp_lg_u32 vcc_lo, exec_lo
	s_cbranch_scc1 .LBB198_109
; %bb.105:                              ;   in Loop: Header=BB198_104 Depth=1
	v_lshlrev_b64 v[5:6], 4, v[39:40]
	s_mov_b32 s15, exec_lo
	s_delay_alu instid0(VALU_DEP_1) | instskip(NEXT) | instid1(VALU_DEP_2)
	v_add_co_u32 v41, vcc_lo, s20, v5
	v_add_co_ci_u32_e32 v42, vcc_lo, s21, v6, vcc_lo
	;;#ASMSTART
	global_load_dwordx4 v[5:8], v[41:42] off glc	
s_waitcnt vmcnt(0)
	;;#ASMEND
	v_perm_b32 v8, v6, v7, 0x70605
	v_perm_b32 v76, v6, v7, 0x1000706
	v_perm_b32 v77, v6, v7, 0x2010007
	v_and_b32_e32 v81, 0xff, v7
	s_delay_alu instid0(VALU_DEP_4) | instskip(NEXT) | instid1(VALU_DEP_4)
	v_lshlrev_b32_e32 v8, 8, v8
	v_lshlrev_b32_e32 v76, 16, v76
	s_delay_alu instid0(VALU_DEP_4) | instskip(SKIP_1) | instid1(VALU_DEP_4)
	v_lshlrev_b32_e32 v78, 24, v77
	v_alignbit_b32 v77, v6, v5, 16
	v_perm_b32 v79, v8, v6, 0xc0c0500
	s_delay_alu instid0(VALU_DEP_4) | instskip(SKIP_2) | instid1(VALU_DEP_3)
	v_and_b32_e32 v80, 0xff0000, v76
	v_alignbit_b32 v8, v6, v5, 8
	v_alignbit_b32 v76, v6, v5, 24
	v_or3_b32 v6, v79, v80, v78
	v_cmpx_eq_u16_e32 0, v81
	s_cbranch_execz .LBB198_103
; %bb.106:                              ;   in Loop: Header=BB198_104 Depth=1
	s_mov_b32 s24, 0
.LBB198_107:                            ;   Parent Loop BB198_104 Depth=1
                                        ; =>  This Inner Loop Header: Depth=2
	;;#ASMSTART
	global_load_dwordx4 v[5:8], v[41:42] off glc	
s_waitcnt vmcnt(0)
	;;#ASMEND
	v_and_b32_e32 v8, 0xff, v7
	s_delay_alu instid0(VALU_DEP_1) | instskip(SKIP_1) | instid1(SALU_CYCLE_1)
	v_cmp_ne_u16_e32 vcc_lo, 0, v8
	s_or_b32 s24, vcc_lo, s24
	s_and_not1_b32 exec_lo, exec_lo, s24
	s_cbranch_execnz .LBB198_107
; %bb.108:                              ;   in Loop: Header=BB198_104 Depth=1
	s_or_b32 exec_lo, exec_lo, s24
	v_perm_b32 v8, v6, v7, 0x70605
	v_perm_b32 v41, v6, v7, 0x1000706
	;; [unrolled: 1-line block ×3, first 2 shown]
	v_alignbit_b32 v77, v6, v5, 16
	v_alignbit_b32 v76, v6, v5, 24
	v_lshlrev_b32_e32 v8, 8, v8
	v_lshlrev_b32_e32 v41, 16, v41
	;; [unrolled: 1-line block ×3, first 2 shown]
	s_delay_alu instid0(VALU_DEP_3) | instskip(NEXT) | instid1(VALU_DEP_3)
	v_perm_b32 v78, v8, v6, 0xc0c0500
	v_and_b32_e32 v41, 0xff0000, v41
	v_alignbit_b32 v8, v6, v5, 8
	s_delay_alu instid0(VALU_DEP_2)
	v_or3_b32 v6, v78, v41, v42
	s_branch .LBB198_103
.LBB198_109:                            ;   in Loop: Header=BB198_104 Depth=1
                                        ; implicit-def: $vgpr6
                                        ; implicit-def: $vgpr5
                                        ; implicit-def: $vgpr7
	s_cbranch_execz .LBB198_104
; %bb.110:
	s_and_saveexec_b32 s15, s14
	s_cbranch_execz .LBB198_112
; %bb.111:
	v_dual_add_f32 v2, s23, v4 :: v_dual_add_nc_u32 v5, v3, v1
	v_cmp_eq_u32_e32 vcc_lo, 0, v1
	s_mov_b32 s25, 0
	s_add_i32 s24, s33, 32
	v_mov_b32_e32 v8, 0
	s_lshl_b64 s[24:25], s[24:25], 4
	v_cndmask_b32_e32 v2, s23, v2, vcc_lo
	s_add_u32 s24, s20, s24
	s_addc_u32 s25, s21, s25
	s_delay_alu instid0(VALU_DEP_1) | instskip(SKIP_1) | instid1(VALU_DEP_1)
	v_and_b32_e32 v6, 0xff000000, v2
	v_and_b32_e32 v7, 0xff0000, v2
	v_or_b32_e32 v6, v7, v6
	v_mov_b32_e32 v7, 2
	v_and_b32_e32 v39, 0xff00, v2
	v_and_b32_e32 v2, 0xff, v2
	s_delay_alu instid0(VALU_DEP_1)
	v_or3_b32 v6, v6, v39, v2
	v_mov_b32_e32 v2, s23
	v_dual_mov_b32 v40, s25 :: v_dual_mov_b32 v39, s24
	;;#ASMSTART
	global_store_dwordx4 v[39:40], v[5:8] off	
s_waitcnt vmcnt(0)
	;;#ASMEND
	ds_store_b128 v8, v[1:4] offset:2048
.LBB198_112:
	s_or_b32 exec_lo, exec_lo, s15
	s_delay_alu instid0(SALU_CYCLE_1)
	s_and_b32 exec_lo, exec_lo, s2
	s_cbranch_execz .LBB198_114
; %bb.113:
	v_mov_b32_e32 v1, 0
	ds_store_b64 v1, v[3:4] offset:2120
.LBB198_114:
	s_or_b32 exec_lo, exec_lo, s22
	s_waitcnt lgkmcnt(1)
	v_cndmask_b32_e64 v7, v45, v37, s14
	s_waitcnt lgkmcnt(0)
	v_cndmask_b32_e64 v2, v47, v38, s14
	s_barrier
	buffer_gl0_inv
	v_cmp_eq_u32_e32 vcc_lo, 0, v7
	v_mov_b32_e32 v1, 0
	ds_load_b64 v[5:6], v1 offset:2120
	s_waitcnt lgkmcnt(0)
	s_barrier
	buffer_gl0_inv
	v_add_f32_e32 v3, v2, v6
	s_delay_alu instid0(VALU_DEP_1) | instskip(SKIP_1) | instid1(VALU_DEP_2)
	v_cndmask_b32_e32 v2, v2, v3, vcc_lo
	v_cmp_eq_u32_e32 vcc_lo, 0, v43
	v_cndmask_b32_e64 v69, v2, v6, s2
	s_delay_alu instid0(VALU_DEP_1) | instskip(NEXT) | instid1(VALU_DEP_1)
	v_add_f32_e32 v2, v35, v69
	v_cndmask_b32_e32 v68, v35, v2, vcc_lo
	s_delay_alu instid0(VALU_DEP_1) | instskip(NEXT) | instid1(VALU_DEP_1)
	v_add_f32_e32 v2, v36, v68
	v_cndmask_b32_e64 v67, v36, v2, s13
	s_delay_alu instid0(VALU_DEP_1) | instskip(NEXT) | instid1(VALU_DEP_1)
	v_add_f32_e32 v2, v33, v67
	v_cndmask_b32_e64 v66, v33, v2, s12
	;; [unrolled: 3-line block ×10, first 2 shown]
	ds_load_b128 v[1:4], v1 offset:2048
	v_add_f32_e32 v6, v26, v39
	s_delay_alu instid0(VALU_DEP_1) | instskip(NEXT) | instid1(VALU_DEP_1)
	v_cndmask_b32_e64 v40, v26, v6, s3
	v_add_f32_e32 v6, v23, v40
	s_delay_alu instid0(VALU_DEP_1)
	v_cndmask_b32_e64 v38, v23, v6, s1
	v_cndmask_b32_e64 v6, v7, 0, s2
	s_waitcnt lgkmcnt(0)
	v_add_f32_e32 v4, v4, v2
	v_cmp_eq_u32_e32 vcc_lo, 0, v1
	v_add_f32_e32 v7, v24, v38
	v_dual_mov_b32 v5, v3 :: v_dual_add_nc_u32 v6, v5, v6
	s_delay_alu instid0(VALU_DEP_4) | instskip(NEXT) | instid1(VALU_DEP_3)
	v_cndmask_b32_e32 v37, v2, v4, vcc_lo
	v_cndmask_b32_e64 v45, v24, v7, s0
	s_delay_alu instid0(VALU_DEP_3)
	v_mov_b32_e32 v4, v6
	s_branch .LBB198_127
.LBB198_115:
                                        ; implicit-def: $vgpr1
                                        ; implicit-def: $vgpr37
                                        ; implicit-def: $vgpr5
                                        ; implicit-def: $vgpr45
                                        ; implicit-def: $vgpr38
                                        ; implicit-def: $vgpr40
                                        ; implicit-def: $vgpr39
                                        ; implicit-def: $vgpr41
                                        ; implicit-def: $vgpr42
                                        ; implicit-def: $vgpr47
                                        ; implicit-def: $vgpr49
                                        ; implicit-def: $vgpr51
                                        ; implicit-def: $vgpr53
                                        ; implicit-def: $vgpr55
                                        ; implicit-def: $vgpr66
                                        ; implicit-def: $vgpr67
                                        ; implicit-def: $vgpr68
                                        ; implicit-def: $vgpr69
	s_cbranch_execz .LBB198_127
; %bb.116:
	s_and_b32 s0, s16, exec_lo
	v_mov_b32_e32 v5, v35
	s_cselect_b32 s1, 0, s35
	s_cselect_b32 s0, 0, s34
	s_delay_alu instid0(SALU_CYCLE_1)
	s_cmp_eq_u64 s[0:1], 0
	s_cbranch_scc1 .LBB198_118
; %bb.117:
	v_mov_b32_e32 v1, 0
	global_load_b32 v5, v1, s[0:1]
.LBB198_118:
	v_cmp_eq_u32_e64 s0, 0, v57
	v_cmp_eq_u32_e64 s1, 0, v56
	v_add3_u32 v2, v73, v62, v61
	v_cmp_eq_u32_e64 s3, 0, v64
	v_cmp_eq_u32_e64 s4, 0, v63
	v_cndmask_b32_e64 v1, v36, v74, s0
	v_cmp_eq_u32_e64 s5, 0, v62
	v_add3_u32 v2, v2, v60, v44
	v_cmp_eq_u32_e64 s6, 0, v61
	v_cmp_eq_u32_e64 s7, 0, v60
	v_dual_add_f32 v1, v33, v1 :: v_dual_and_b32 v4, 15, v70
	s_delay_alu instid0(VALU_DEP_4) | instskip(SKIP_2) | instid1(VALU_DEP_4)
	v_add3_u32 v2, v2, v46, v48
	v_cmp_eq_u32_e64 s8, 0, v44
	v_cmp_eq_u32_e64 s10, 0, v46
	v_cndmask_b32_e64 v1, v33, v1, s1
	v_cmp_eq_u32_e64 s12, 0, v48
	v_add3_u32 v2, v2, v50, v52
	v_cmp_eq_u32_e64 s9, 0, v50
	v_cmp_eq_u32_e64 s11, 0, v52
	v_add_f32_e32 v1, v34, v1
	v_cmp_eq_u32_e32 vcc_lo, 0, v54
	v_add3_u32 v2, v2, v54, v59
	v_cmp_eq_u32_e64 s13, 0, v59
	v_and_b32_e32 v7, 16, v70
	v_cndmask_b32_e64 v1, v34, v1, s3
	s_delay_alu instid0(VALU_DEP_4) | instskip(NEXT) | instid1(VALU_DEP_3)
	v_mov_b32_dpp v6, v2 row_shr:1 row_mask:0xf bank_mask:0xf
	v_cmp_eq_u32_e64 s14, 0, v7
	s_delay_alu instid0(VALU_DEP_3) | instskip(NEXT) | instid1(VALU_DEP_1)
	v_add_f32_e32 v1, v31, v1
	v_cndmask_b32_e64 v1, v31, v1, s4
	s_delay_alu instid0(VALU_DEP_1) | instskip(NEXT) | instid1(VALU_DEP_1)
	v_add_f32_e32 v1, v32, v1
	v_cndmask_b32_e64 v1, v32, v1, s5
	s_delay_alu instid0(VALU_DEP_1) | instskip(NEXT) | instid1(VALU_DEP_1)
	;; [unrolled: 3-line block ×9, first 2 shown]
	v_add_f32_e32 v1, v24, v1
	v_cndmask_b32_e32 v1, v24, v1, vcc_lo
	s_delay_alu instid0(VALU_DEP_1) | instskip(NEXT) | instid1(VALU_DEP_1)
	v_add_f32_e32 v1, v65, v1
	v_cndmask_b32_e64 v1, v65, v1, s13
	v_cmp_eq_u32_e64 s13, 0, v2
	s_delay_alu instid0(VALU_DEP_2) | instskip(NEXT) | instid1(VALU_DEP_1)
	v_mov_b32_dpp v3, v1 row_shr:1 row_mask:0xf bank_mask:0xf
	v_add_f32_e32 v3, v1, v3
	s_delay_alu instid0(VALU_DEP_1) | instskip(SKIP_1) | instid1(VALU_DEP_1)
	v_cndmask_b32_e64 v3, v1, v3, s13
	v_cmp_eq_u32_e64 s13, 0, v4
	v_cndmask_b32_e64 v6, v6, 0, s13
	s_delay_alu instid0(VALU_DEP_3) | instskip(NEXT) | instid1(VALU_DEP_2)
	v_cndmask_b32_e64 v1, v3, v1, s13
	v_add_nc_u32_e32 v2, v6, v2
	s_delay_alu instid0(VALU_DEP_2) | instskip(NEXT) | instid1(VALU_DEP_2)
	v_mov_b32_dpp v3, v1 row_shr:2 row_mask:0xf bank_mask:0xf
	v_cmp_eq_u32_e64 s13, 0, v2
	s_delay_alu instid0(VALU_DEP_2) | instskip(SKIP_1) | instid1(VALU_DEP_2)
	v_add_f32_e32 v3, v1, v3
	v_mov_b32_dpp v6, v2 row_shr:2 row_mask:0xf bank_mask:0xf
	v_cndmask_b32_e64 v3, v1, v3, s13
	v_cmp_lt_u32_e64 s13, 1, v4
	s_delay_alu instid0(VALU_DEP_1) | instskip(NEXT) | instid1(VALU_DEP_4)
	v_cndmask_b32_e64 v1, v1, v3, s13
	v_cndmask_b32_e64 v3, 0, v6, s13
	s_delay_alu instid0(VALU_DEP_2) | instskip(NEXT) | instid1(VALU_DEP_1)
	v_mov_b32_dpp v6, v1 row_shr:4 row_mask:0xf bank_mask:0xf
	v_dual_add_f32 v3, v1, v6 :: v_dual_add_nc_u32 v2, v2, v3
	s_delay_alu instid0(VALU_DEP_1) | instskip(SKIP_1) | instid1(VALU_DEP_2)
	v_cmp_eq_u32_e64 s13, 0, v2
	v_mov_b32_dpp v6, v2 row_shr:4 row_mask:0xf bank_mask:0xf
	v_cndmask_b32_e64 v3, v1, v3, s13
	v_cmp_lt_u32_e64 s13, 3, v4
	s_delay_alu instid0(VALU_DEP_1) | instskip(NEXT) | instid1(VALU_DEP_4)
	v_cndmask_b32_e64 v1, v1, v3, s13
	v_cndmask_b32_e64 v3, 0, v6, s13
	s_delay_alu instid0(VALU_DEP_2) | instskip(NEXT) | instid1(VALU_DEP_2)
	v_mov_b32_dpp v6, v1 row_shr:8 row_mask:0xf bank_mask:0xf
	v_add_nc_u32_e32 v2, v3, v2
	s_delay_alu instid0(VALU_DEP_2) | instskip(NEXT) | instid1(VALU_DEP_2)
	v_add_f32_e32 v3, v1, v6
	v_cmp_eq_u32_e64 s13, 0, v2
	v_mov_b32_dpp v6, v2 row_shr:8 row_mask:0xf bank_mask:0xf
	s_delay_alu instid0(VALU_DEP_2) | instskip(SKIP_1) | instid1(VALU_DEP_1)
	v_cndmask_b32_e64 v3, v1, v3, s13
	v_cmp_lt_u32_e64 s13, 7, v4
	v_cndmask_b32_e64 v3, v1, v3, s13
	s_delay_alu instid0(VALU_DEP_4) | instskip(SKIP_1) | instid1(VALU_DEP_2)
	v_cndmask_b32_e64 v1, 0, v6, s13
	v_bfe_i32 v6, v70, 4, 1
	v_add_nc_u32_e32 v1, v1, v2
	ds_swizzle_b32 v2, v3 offset:swizzle(BROADCAST,32,15)
	ds_swizzle_b32 v4, v1 offset:swizzle(BROADCAST,32,15)
	v_cmp_eq_u32_e64 s13, 0, v1
	s_waitcnt lgkmcnt(1)
	v_add_f32_e32 v2, v3, v2
	s_waitcnt lgkmcnt(0)
	v_and_b32_e32 v4, v6, v4
	s_delay_alu instid0(VALU_DEP_2) | instskip(NEXT) | instid1(VALU_DEP_2)
	v_cndmask_b32_e64 v2, v3, v2, s13
	v_add_nc_u32_e32 v1, v4, v1
	s_delay_alu instid0(VALU_DEP_2)
	v_cndmask_b32_e64 v2, v2, v3, s14
	v_lshlrev_b32_e32 v4, 3, v71
	s_mov_b32 s14, exec_lo
	v_cmpx_eq_u32_e64 v72, v0
	s_cbranch_execz .LBB198_120
; %bb.119:
	ds_store_b64 v4, v[1:2] offset:2064
.LBB198_120:
	s_or_b32 exec_lo, exec_lo, s14
	s_delay_alu instid0(SALU_CYCLE_1)
	s_mov_b32 s15, exec_lo
	s_waitcnt vmcnt(0) lgkmcnt(0)
	s_barrier
	buffer_gl0_inv
	v_cmpx_gt_u32_e32 8, v0
	s_cbranch_execz .LBB198_122
; %bb.121:
	v_lshlrev_b32_e32 v3, 3, v0
	v_and_b32_e32 v37, 7, v70
	ds_load_b64 v[6:7], v3 offset:2064
	s_waitcnt lgkmcnt(0)
	v_mov_b32_dpp v8, v7 row_shr:1 row_mask:0xf bank_mask:0xf
	v_cmp_eq_u32_e64 s13, 0, v6
	v_mov_b32_dpp v38, v6 row_shr:1 row_mask:0xf bank_mask:0xf
	s_delay_alu instid0(VALU_DEP_3) | instskip(NEXT) | instid1(VALU_DEP_1)
	v_add_f32_e32 v8, v7, v8
	v_cndmask_b32_e64 v8, v7, v8, s13
	v_cmp_eq_u32_e64 s13, 0, v37
	s_delay_alu instid0(VALU_DEP_1) | instskip(NEXT) | instid1(VALU_DEP_3)
	v_cndmask_b32_e64 v38, v38, 0, s13
	v_cndmask_b32_e64 v7, v8, v7, s13
	s_delay_alu instid0(VALU_DEP_2) | instskip(NEXT) | instid1(VALU_DEP_2)
	v_add_nc_u32_e32 v6, v38, v6
	v_mov_b32_dpp v8, v7 row_shr:2 row_mask:0xf bank_mask:0xf
	s_delay_alu instid0(VALU_DEP_2) | instskip(NEXT) | instid1(VALU_DEP_2)
	v_cmp_eq_u32_e64 s13, 0, v6
	v_add_f32_e32 v8, v7, v8
	v_mov_b32_dpp v38, v6 row_shr:2 row_mask:0xf bank_mask:0xf
	s_delay_alu instid0(VALU_DEP_2) | instskip(SKIP_1) | instid1(VALU_DEP_1)
	v_cndmask_b32_e64 v8, v7, v8, s13
	v_cmp_lt_u32_e64 s13, 1, v37
	v_cndmask_b32_e64 v7, v7, v8, s13
	s_delay_alu instid0(VALU_DEP_4) | instskip(SKIP_1) | instid1(VALU_DEP_3)
	v_cndmask_b32_e64 v8, 0, v38, s13
	v_cmp_lt_u32_e64 s13, 3, v37
	v_mov_b32_dpp v38, v7 row_shr:4 row_mask:0xf bank_mask:0xf
	s_delay_alu instid0(VALU_DEP_3) | instskip(NEXT) | instid1(VALU_DEP_2)
	v_add_nc_u32_e32 v6, v8, v6
	v_add_f32_e32 v37, v7, v38
	s_delay_alu instid0(VALU_DEP_2) | instskip(SKIP_1) | instid1(VALU_DEP_2)
	v_mov_b32_dpp v8, v6 row_shr:4 row_mask:0xf bank_mask:0xf
	v_cmp_eq_u32_e64 s14, 0, v6
	v_cndmask_b32_e64 v8, 0, v8, s13
	s_delay_alu instid0(VALU_DEP_2) | instskip(NEXT) | instid1(SALU_CYCLE_1)
	s_and_b32 s13, s13, s14
	v_cndmask_b32_e64 v7, v7, v37, s13
	s_delay_alu instid0(VALU_DEP_2)
	v_add_nc_u32_e32 v6, v8, v6
	ds_store_b64 v3, v[6:7] offset:2064
.LBB198_122:
	s_or_b32 exec_lo, exec_lo, s15
	v_dual_mov_b32 v6, 0 :: v_dual_mov_b32 v3, 0
	v_mov_b32_e32 v7, v5
	s_mov_b32 s14, exec_lo
	s_waitcnt lgkmcnt(0)
	s_barrier
	buffer_gl0_inv
	v_cmpx_lt_u32_e32 31, v0
	s_cbranch_execz .LBB198_124
; %bb.123:
	ds_load_b64 v[3:4], v4 offset:2056
	s_waitcnt lgkmcnt(0)
	v_add_f32_e32 v7, v5, v4
	v_cmp_eq_u32_e64 s13, 0, v3
	s_delay_alu instid0(VALU_DEP_1)
	v_cndmask_b32_e64 v7, v4, v7, s13
.LBB198_124:
	s_or_b32 exec_lo, exec_lo, s14
	v_add_nc_u32_e32 v4, -1, v70
	s_delay_alu instid0(VALU_DEP_2) | instskip(NEXT) | instid1(VALU_DEP_2)
	v_dual_add_f32 v8, v2, v7 :: v_dual_add_nc_u32 v37, v3, v1
	v_cmp_gt_i32_e64 s13, 0, v4
	s_delay_alu instid0(VALU_DEP_1) | instskip(SKIP_1) | instid1(VALU_DEP_2)
	v_cndmask_b32_e64 v4, v4, v70, s13
	v_cmp_eq_u32_e64 s13, 0, v1
	v_lshlrev_b32_e32 v4, 2, v4
	s_delay_alu instid0(VALU_DEP_2)
	v_cndmask_b32_e64 v1, v2, v8, s13
	v_cmp_eq_u32_e64 s13, 0, v70
	ds_bpermute_b32 v2, v4, v37
	ds_bpermute_b32 v1, v4, v1
	s_waitcnt lgkmcnt(1)
	v_cndmask_b32_e64 v4, v2, v3, s13
	s_waitcnt lgkmcnt(0)
	v_cndmask_b32_e64 v69, v1, v7, s13
	v_cmp_eq_u32_e64 s13, 0, v43
	s_delay_alu instid0(VALU_DEP_2) | instskip(NEXT) | instid1(VALU_DEP_1)
	v_cndmask_b32_e64 v1, v69, v5, s2
	v_add_f32_e32 v1, v35, v1
	s_delay_alu instid0(VALU_DEP_1) | instskip(NEXT) | instid1(VALU_DEP_1)
	v_cndmask_b32_e64 v68, v35, v1, s13
	v_add_f32_e32 v1, v36, v68
	s_delay_alu instid0(VALU_DEP_1) | instskip(NEXT) | instid1(VALU_DEP_1)
	;; [unrolled: 3-line block ×10, first 2 shown]
	v_cndmask_b32_e64 v41, v28, v1, s10
	v_add_f32_e32 v1, v25, v41
	s_delay_alu instid0(VALU_DEP_1) | instskip(SKIP_2) | instid1(VALU_DEP_1)
	v_cndmask_b32_e64 v39, v25, v1, s12
	ds_load_b64 v[1:2], v6 offset:2120
	v_add_f32_e32 v3, v26, v39
	v_cndmask_b32_e64 v40, v26, v3, s9
	s_delay_alu instid0(VALU_DEP_1) | instskip(NEXT) | instid1(VALU_DEP_1)
	v_add_f32_e32 v3, v23, v40
	v_cndmask_b32_e64 v38, v23, v3, s11
	s_waitcnt lgkmcnt(0)
	v_add_f32_e32 v3, v5, v2
	v_cmp_eq_u32_e64 s0, 0, v1
	s_delay_alu instid0(VALU_DEP_3) | instskip(NEXT) | instid1(VALU_DEP_2)
	v_add_f32_e32 v6, v24, v38
	v_cndmask_b32_e64 v37, v2, v3, s0
	s_and_saveexec_b32 s0, s2
	s_cbranch_execz .LBB198_126
; %bb.125:
	s_delay_alu instid0(VALU_DEP_1)
	v_and_b32_e32 v2, 0xff000000, v37
	v_dual_mov_b32 v4, 0 :: v_dual_and_b32 v3, 0xff0000, v37
	s_add_u32 s4, s20, 0x200
	v_and_b32_e32 v7, 0xff00, v37
	s_addc_u32 s5, s21, 0
	v_and_b32_e32 v8, 0xff, v37
	v_or_b32_e32 v2, v3, v2
	v_mov_b32_e32 v3, 2
	v_mov_b32_e32 v69, v5
	s_delay_alu instid0(VALU_DEP_3)
	v_or3_b32 v2, v2, v7, v8
	v_dual_mov_b32 v8, s5 :: v_dual_mov_b32 v7, s4
	;;#ASMSTART
	global_store_dwordx4 v[7:8], v[1:4] off	
s_waitcnt vmcnt(0)
	;;#ASMEND
.LBB198_126:
	s_or_b32 exec_lo, exec_lo, s0
	v_cndmask_b32_e32 v45, v24, v6, vcc_lo
	v_mov_b32_e32 v5, 0
.LBB198_127:
	v_mov_b32_e32 v7, 0
	s_and_b32 s0, s16, exec_lo
	v_mov_b32_e32 v8, 0
	s_cselect_b32 s1, 0, s39
	s_cselect_b32 s0, 0, s38
	s_delay_alu instid0(SALU_CYCLE_1)
	s_cmp_eq_u64 s[0:1], 0
	s_barrier
	buffer_gl0_inv
	s_cbranch_scc1 .LBB198_129
; %bb.128:
	v_mov_b32_e32 v2, 0
	global_load_b64 v[7:8], v2, s[0:1]
.LBB198_129:
	v_cmp_eq_u32_e32 vcc_lo, 0, v43
	v_add_nc_u32_e32 v35, v4, v43
	v_cmp_ne_u32_e64 s13, 0, v43
	v_cmp_ne_u32_e64 s12, 0, v57
	v_cmp_ne_u32_e64 s10, 0, v56
	v_cndmask_b32_e64 v2, 1, 2, vcc_lo
	v_cmp_eq_u32_e32 vcc_lo, 0, v57
	v_cmp_ne_u32_e64 s9, 0, v64
	v_cmp_ne_u32_e64 s15, 0, v63
	;; [unrolled: 1-line block ×4, first 2 shown]
	v_cndmask_b32_e64 v3, 1, 2, vcc_lo
	v_cmp_eq_u32_e32 vcc_lo, 0, v56
	v_cmp_ne_u32_e64 s8, 0, v60
	v_cmp_ne_u32_e64 s7, 0, v44
	;; [unrolled: 1-line block ×3, first 2 shown]
	v_and_b32_e32 v2, v3, v2
	v_cndmask_b32_e64 v6, 1, 2, vcc_lo
	v_cmp_eq_u32_e32 vcc_lo, 0, v64
	v_cmp_ne_u32_e64 s5, 0, v48
	v_cmp_ne_u32_e64 s4, 0, v50
	;; [unrolled: 1-line block ×3, first 2 shown]
	v_and_b32_e32 v6, v2, v6
	v_cndmask_b32_e64 v23, 1, 2, vcc_lo
	v_cmp_eq_u32_e32 vcc_lo, 0, v63
	s_waitcnt vmcnt(0)
	v_lshlrev_b64 v[2:3], 2, v[7:8]
	v_cmp_ne_u32_e64 s1, 0, v54
	v_cmp_ne_u32_e64 s0, 0, v59
	v_dual_mov_b32 v6, 0 :: v_dual_and_b32 v23, v6, v23
	v_cndmask_b32_e64 v24, 1, 2, vcc_lo
	v_cmp_eq_u32_e32 vcc_lo, 0, v62
	v_add_nc_u32_e32 v65, v35, v57
	s_delay_alu instid0(VALU_DEP_3) | instskip(SKIP_2) | instid1(VALU_DEP_4)
	v_and_b32_e32 v23, v23, v24
	v_cndmask_b32_e64 v25, 1, 2, vcc_lo
	v_cmp_eq_u32_e32 vcc_lo, 0, v61
	v_add_nc_u32_e32 v36, v65, v56
	s_delay_alu instid0(VALU_DEP_3) | instskip(SKIP_2) | instid1(VALU_DEP_4)
	v_and_b32_e32 v23, v23, v25
	;; [unrolled: 5-line block ×6, first 2 shown]
	v_cndmask_b32_e64 v26, 1, 2, vcc_lo
	v_cmp_eq_u32_e32 vcc_lo, 0, v50
	v_add_nc_u32_e32 v30, v31, v60
	v_lshlrev_b64 v[23:24], 2, v[5:6]
	s_delay_alu instid0(VALU_DEP_4) | instskip(SKIP_3) | instid1(VALU_DEP_3)
	v_and_b32_e32 v6, v25, v26
	v_cndmask_b32_e64 v70, 1, 2, vcc_lo
	v_cmp_eq_u32_e32 vcc_lo, 0, v52
	v_add_nc_u32_e32 v29, v30, v44
	v_and_b32_e32 v74, v6, v70
	v_cndmask_b32_e64 v72, 1, 2, vcc_lo
	v_add_co_u32 v71, vcc_lo, s18, v2
	v_add_co_ci_u32_e32 v73, vcc_lo, s19, v3, vcc_lo
	v_add_nc_u32_e32 v28, v29, v46
	s_delay_alu instid0(VALU_DEP_3) | instskip(NEXT) | instid1(VALU_DEP_3)
	v_add_co_u32 v70, vcc_lo, v71, v23
	v_add_co_ci_u32_e32 v71, vcc_lo, v73, v24, vcc_lo
	v_cmp_eq_u32_e32 vcc_lo, 0, v54
	s_delay_alu instid0(VALU_DEP_4)
	v_add_nc_u32_e32 v27, v28, v48
	v_and_b32_e32 v72, v74, v72
	s_mov_b32 s18, -1
	v_cndmask_b32_e64 v73, 1, 2, vcc_lo
	v_cmp_eq_u32_e32 vcc_lo, 0, v59
	v_add_nc_u32_e32 v26, v27, v50
	s_delay_alu instid0(VALU_DEP_3) | instskip(SKIP_1) | instid1(VALU_DEP_3)
	v_and_b32_e32 v72, v72, v73
	v_cndmask_b32_e64 v73, 1, 2, vcc_lo
	v_add_nc_u32_e32 v25, v26, v52
	v_cmp_gt_u32_e32 vcc_lo, 0x100, v1
	s_delay_alu instid0(VALU_DEP_3) | instskip(NEXT) | instid1(VALU_DEP_3)
	v_and_b32_e32 v72, v72, v73
	v_add_nc_u32_e32 v6, v25, v54
	s_delay_alu instid0(VALU_DEP_2)
	v_cmp_gt_i16_e64 s16, 2, v72
	s_cbranch_vccz .LBB198_136
; %bb.130:
	s_delay_alu instid0(VALU_DEP_1)
	s_and_saveexec_b32 s18, s16
	s_cbranch_execz .LBB198_135
; %bb.131:
	s_mov_b32 s19, 0
	s_mov_b32 s16, exec_lo
	v_cmpx_ne_u16_e32 1, v72
	s_xor_b32 s16, exec_lo, s16
	s_cbranch_execnz .LBB198_168
; %bb.132:
	s_and_not1_saveexec_b32 s16, s16
	s_cbranch_execnz .LBB198_184
.LBB198_133:
	s_or_b32 exec_lo, exec_lo, s16
	s_delay_alu instid0(SALU_CYCLE_1)
	s_and_b32 exec_lo, exec_lo, s19
	s_cbranch_execz .LBB198_135
.LBB198_134:
	v_sub_nc_u32_e32 v73, v6, v5
	v_mov_b32_e32 v74, 0
	s_delay_alu instid0(VALU_DEP_1) | instskip(NEXT) | instid1(VALU_DEP_1)
	v_lshlrev_b64 v[73:74], 2, v[73:74]
	v_add_co_u32 v73, vcc_lo, v70, v73
	s_delay_alu instid0(VALU_DEP_2)
	v_add_co_ci_u32_e32 v74, vcc_lo, v71, v74, vcc_lo
	global_store_b32 v[73:74], v58, off
.LBB198_135:
	s_or_b32 exec_lo, exec_lo, s18
	s_mov_b32 s18, 0
.LBB198_136:
	s_delay_alu instid0(SALU_CYCLE_1)
	s_and_b32 vcc_lo, exec_lo, s18
	s_cbranch_vccz .LBB198_146
; %bb.137:
	s_mov_b32 s16, exec_lo
	v_cmpx_gt_i16_e32 2, v72
	s_cbranch_execz .LBB198_142
; %bb.138:
	s_mov_b32 s19, 0
	s_mov_b32 s18, exec_lo
	v_cmpx_ne_u16_e32 1, v72
	s_xor_b32 s18, exec_lo, s18
	s_cbranch_execnz .LBB198_185
; %bb.139:
	s_and_not1_saveexec_b32 s0, s18
	s_cbranch_execnz .LBB198_201
.LBB198_140:
	s_or_b32 exec_lo, exec_lo, s0
	s_delay_alu instid0(SALU_CYCLE_1)
	s_and_b32 exec_lo, exec_lo, s19
	s_cbranch_execz .LBB198_142
.LBB198_141:
	v_sub_nc_u32_e32 v9, v6, v5
	s_delay_alu instid0(VALU_DEP_1)
	v_lshlrev_b32_e32 v9, 2, v9
	ds_store_b32 v9, v58
.LBB198_142:
	s_or_b32 exec_lo, exec_lo, s16
	s_delay_alu instid0(SALU_CYCLE_1)
	s_mov_b32 s1, exec_lo
	s_waitcnt lgkmcnt(0)
	s_waitcnt_vscnt null, 0x0
	s_barrier
	buffer_gl0_inv
	v_cmpx_lt_u32_e64 v0, v1
	s_cbranch_execz .LBB198_145
; %bb.143:
	v_dual_mov_b32 v10, 0 :: v_dual_lshlrev_b32 v11, 2, v0
	v_mov_b32_e32 v9, v0
	s_mov_b32 s3, 0
	.p2align	6
.LBB198_144:                            ; =>This Inner Loop Header: Depth=1
	ds_load_b32 v14, v11
	v_lshlrev_b64 v[12:13], 2, v[9:10]
	v_add_nc_u32_e32 v9, 0x100, v9
	v_add_nc_u32_e32 v11, 0x400, v11
	s_delay_alu instid0(VALU_DEP_2) | instskip(NEXT) | instid1(VALU_DEP_4)
	v_cmp_ge_u32_e32 vcc_lo, v9, v1
	v_add_co_u32 v12, s0, v70, v12
	s_delay_alu instid0(VALU_DEP_1)
	v_add_co_ci_u32_e64 v13, s0, v71, v13, s0
	s_or_b32 s3, vcc_lo, s3
	s_waitcnt lgkmcnt(0)
	global_store_b32 v[12:13], v14, off
	s_and_not1_b32 exec_lo, exec_lo, s3
	s_cbranch_execnz .LBB198_144
.LBB198_145:
	s_or_b32 exec_lo, exec_lo, s1
.LBB198_146:
	s_cmpk_lg_i32 s26, 0xf00
	v_cndmask_b32_e64 v14, 0, 1, s27
	s_cselect_b32 s0, -1, 0
	v_mad_i32_i24 v11, v0, -15, s26
	s_and_b32 s0, s0, s17
	s_and_b32 s1, s2, s27
	v_cndmask_b32_e64 v10, 0, 1, s0
	s_mul_hi_u32 s0, s26, 0x88888889
	v_sub_nc_u32_e32 v9, v1, v14
	s_lshr_b32 s0, s0, 3
	v_cndmask_b32_e64 v12, v43, 0, s1
	v_cmp_eq_u32_e32 vcc_lo, s0, v0
	v_cmp_ne_u32_e64 s0, 0, v11
	s_mov_b32 s16, -1
	s_waitcnt_vscnt null, 0x0
	s_barrier
	s_and_b32 vcc_lo, vcc_lo, s17
	v_add_nc_u32_e32 v9, v9, v10
	v_cndmask_b32_e64 v10, 1, v12, s0
	v_cmp_ne_u32_e64 s0, 1, v11
	buffer_gl0_inv
	v_cndmask_b32_e32 v18, v12, v10, vcc_lo
	v_cndmask_b32_e64 v13, 1, v57, s0
	v_cmp_ne_u32_e64 s0, 14, v11
	s_delay_alu instid0(VALU_DEP_3) | instskip(NEXT) | instid1(VALU_DEP_2)
	v_cmp_ne_u32_e64 s14, 0, v18
	v_cndmask_b32_e64 v15, 1, v59, s0
	v_cmp_ne_u32_e64 s0, 2, v11
	s_delay_alu instid0(VALU_DEP_2) | instskip(NEXT) | instid1(VALU_DEP_2)
	v_cndmask_b32_e32 v15, v59, v15, vcc_lo
	v_cndmask_b32_e64 v16, 1, v56, s0
	v_cmp_ne_u32_e64 s0, 3, v11
	s_delay_alu instid0(VALU_DEP_2) | instskip(NEXT) | instid1(VALU_DEP_2)
	v_cndmask_b32_e32 v16, v56, v16, vcc_lo
	v_cndmask_b32_e64 v17, 1, v64, s0
	v_cmp_ne_u32_e64 s0, 4, v11
	s_delay_alu instid0(VALU_DEP_3) | instskip(NEXT) | instid1(VALU_DEP_2)
	v_cmp_ne_u32_e64 s12, 0, v16
	v_cndmask_b32_e64 v10, 1, v63, s0
	v_cmp_ne_u32_e64 s0, 5, v11
	s_delay_alu instid0(VALU_DEP_2) | instskip(NEXT) | instid1(VALU_DEP_2)
	v_dual_cndmask_b32 v19, v57, v13 :: v_dual_cndmask_b32 v56, v63, v10
	v_cndmask_b32_e64 v12, 1, v62, s0
	v_cmp_eq_u32_e64 s0, 0, v18
	s_delay_alu instid0(VALU_DEP_3) | instskip(NEXT) | instid1(VALU_DEP_4)
	v_cmp_ne_u32_e64 s13, 0, v19
	v_cmp_ne_u32_e64 s10, 0, v56
	s_delay_alu instid0(VALU_DEP_4) | instskip(NEXT) | instid1(VALU_DEP_4)
	v_cndmask_b32_e32 v57, v62, v12, vcc_lo
	v_cndmask_b32_e64 v13, 1, 2, s0
	v_cmp_eq_u32_e64 s0, 0, v19
	s_delay_alu instid0(VALU_DEP_1) | instskip(SKIP_1) | instid1(VALU_DEP_2)
	v_cndmask_b32_e64 v20, 1, 2, s0
	v_cmp_ne_u32_e64 s0, 6, v11
	v_and_b32_e32 v13, v20, v13
	s_delay_alu instid0(VALU_DEP_2) | instskip(SKIP_1) | instid1(VALU_DEP_1)
	v_cndmask_b32_e64 v21, 1, v61, s0
	v_cmp_eq_u32_e64 s0, 0, v16
	v_cndmask_b32_e64 v20, 1, 2, s0
	v_cmp_ne_u32_e64 s0, 7, v11
	s_delay_alu instid0(VALU_DEP_1) | instskip(SKIP_1) | instid1(VALU_DEP_2)
	v_cndmask_b32_e64 v22, 1, v60, s0
	v_cmp_ne_u32_e64 s0, 8, v11
	v_dual_cndmask_b32 v22, v60, v22 :: v_dual_and_b32 v13, v13, v20
	v_cndmask_b32_e32 v17, v64, v17, vcc_lo
	s_delay_alu instid0(VALU_DEP_3) | instskip(NEXT) | instid1(VALU_DEP_3)
	v_cndmask_b32_e64 v43, 1, v44, s0
	v_cmp_ne_u32_e64 s7, 0, v22
	s_delay_alu instid0(VALU_DEP_3) | instskip(NEXT) | instid1(VALU_DEP_1)
	v_cmp_eq_u32_e64 s0, 0, v17
	v_cndmask_b32_e64 v20, 1, 2, s0
	v_cmp_ne_u32_e64 s0, 9, v11
	s_delay_alu instid0(VALU_DEP_2) | instskip(NEXT) | instid1(VALU_DEP_2)
	v_and_b32_e32 v12, v13, v20
	v_cndmask_b32_e64 v10, 1, v46, s0
	v_cmp_eq_u32_e64 s0, 0, v56
	v_cndmask_b32_e32 v43, v44, v43, vcc_lo
	v_cmp_ne_u32_e64 s11, 0, v17
	s_delay_alu instid0(VALU_DEP_4) | instskip(NEXT) | instid1(VALU_DEP_4)
	v_cndmask_b32_e32 v46, v46, v10, vcc_lo
	v_cndmask_b32_e64 v13, 1, 2, s0
	v_cmp_ne_u32_e64 s0, 10, v11
	v_cmp_ne_u32_e64 s6, 0, v43
	s_delay_alu instid0(VALU_DEP_4) | instskip(NEXT) | instid1(VALU_DEP_4)
	v_cmp_ne_u32_e64 s5, 0, v46
	v_and_b32_e32 v12, v12, v13
	s_delay_alu instid0(VALU_DEP_4) | instskip(SKIP_2) | instid1(VALU_DEP_3)
	v_cndmask_b32_e64 v20, 1, v48, s0
	v_cmp_ne_u32_e64 s0, 12, v11
	v_cmp_ne_u32_e64 s9, 0, v57
	v_cndmask_b32_e32 v20, v48, v20, vcc_lo
	s_delay_alu instid0(VALU_DEP_3) | instskip(SKIP_1) | instid1(VALU_DEP_2)
	v_cndmask_b32_e64 v58, 1, v52, s0
	v_cmp_eq_u32_e64 s0, 0, v57
	v_dual_cndmask_b32 v21, v61, v21 :: v_dual_cndmask_b32 v52, v52, v58
	s_delay_alu instid0(VALU_DEP_2) | instskip(SKIP_1) | instid1(VALU_DEP_3)
	v_cndmask_b32_e64 v13, 1, 2, s0
	v_cmp_ne_u32_e64 s0, 13, v11
	v_cmp_ne_u32_e64 s8, 0, v21
	s_delay_alu instid0(VALU_DEP_4) | instskip(NEXT) | instid1(VALU_DEP_4)
	v_cmp_ne_u32_e64 s2, 0, v52
	v_and_b32_e32 v12, v12, v13
	s_delay_alu instid0(VALU_DEP_4) | instskip(SKIP_1) | instid1(VALU_DEP_2)
	v_cndmask_b32_e64 v59, 1, v54, s0
	v_cmp_eq_u32_e64 s0, 0, v21
	v_cndmask_b32_e32 v54, v54, v59, vcc_lo
	s_delay_alu instid0(VALU_DEP_2) | instskip(SKIP_1) | instid1(VALU_DEP_3)
	v_cndmask_b32_e64 v13, 1, 2, s0
	v_cmp_ne_u32_e64 s0, 11, v11
	v_cmp_ne_u32_e64 s1, 0, v54
	s_delay_alu instid0(VALU_DEP_3) | instskip(NEXT) | instid1(VALU_DEP_3)
	v_and_b32_e32 v12, v12, v13
	v_cndmask_b32_e64 v11, 1, v50, s0
	v_cmp_eq_u32_e64 s0, 0, v22
	s_delay_alu instid0(VALU_DEP_2) | instskip(SKIP_1) | instid1(VALU_DEP_3)
	v_cndmask_b32_e32 v44, v50, v11, vcc_lo
	v_cmp_eq_u32_e32 vcc_lo, 0, v43
	v_cndmask_b32_e64 v13, 1, 2, s0
	v_cmp_ne_u32_e64 s0, 0, v15
	v_cndmask_b32_e64 v11, 1, 2, vcc_lo
	v_add_co_u32 v2, vcc_lo, s28, v2
	v_add_co_ci_u32_e32 v3, vcc_lo, s29, v3, vcc_lo
	v_and_b32_e32 v10, v12, v13
	v_cmp_eq_u32_e32 vcc_lo, 0, v46
	s_delay_alu instid0(VALU_DEP_2) | instskip(SKIP_3) | instid1(VALU_DEP_3)
	v_and_b32_e32 v12, v10, v11
	v_cndmask_b32_e64 v13, 1, 2, vcc_lo
	v_add_co_u32 v10, vcc_lo, v2, v23
	v_add_co_ci_u32_e32 v11, vcc_lo, v3, v24, vcc_lo
	v_and_b32_e32 v3, v12, v13
	v_lshlrev_b32_e32 v2, 2, v14
	v_cmp_eq_u32_e32 vcc_lo, 0, v20
	v_cmp_ne_u32_e64 s3, 0, v44
	v_cndmask_b32_e64 v12, 1, 2, vcc_lo
	s_delay_alu instid0(VALU_DEP_4) | instskip(SKIP_2) | instid1(VALU_DEP_4)
	v_add_co_u32 v2, vcc_lo, v2, v10
	v_add_co_ci_u32_e32 v13, vcc_lo, 0, v11, vcc_lo
	v_cmp_eq_u32_e32 vcc_lo, 0, v44
	v_and_b32_e32 v3, v3, v12
	v_cndmask_b32_e64 v23, 1, 2, vcc_lo
	v_add_co_u32 v12, vcc_lo, v2, -4
	v_add_co_ci_u32_e32 v13, vcc_lo, -1, v13, vcc_lo
	v_cmp_eq_u32_e32 vcc_lo, 0, v52
	v_add_nc_u32_e32 v2, v5, v14
	v_and_b32_e32 v3, v3, v23
	v_cmp_ne_u32_e64 s4, 0, v20
	v_cndmask_b32_e64 v14, 1, 2, vcc_lo
	v_cmp_eq_u32_e32 vcc_lo, 0, v54
	s_delay_alu instid0(VALU_DEP_2) | instskip(SKIP_2) | instid1(VALU_DEP_2)
	v_and_b32_e32 v3, v3, v14
	v_cndmask_b32_e64 v14, 1, 2, vcc_lo
	v_cmp_eq_u32_e32 vcc_lo, 0, v15
	v_and_b32_e32 v3, v3, v14
	v_cndmask_b32_e64 v14, 1, 2, vcc_lo
	v_cmp_gt_u32_e32 vcc_lo, 0x100, v9
	s_delay_alu instid0(VALU_DEP_2) | instskip(NEXT) | instid1(VALU_DEP_1)
	v_and_b32_e32 v3, v3, v14
	v_cmp_gt_i16_e64 s15, 2, v3
	s_cbranch_vccnz .LBB198_150
; %bb.147:
	s_and_b32 vcc_lo, exec_lo, s16
	s_cbranch_vccnz .LBB198_156
.LBB198_148:
	v_cmp_eq_u32_e32 vcc_lo, 0xff, v0
	s_and_b32 s0, vcc_lo, s17
	s_delay_alu instid0(SALU_CYCLE_1)
	s_and_saveexec_b32 s1, s0
	s_cbranch_execnz .LBB198_165
.LBB198_149:
	s_nop 0
	s_sendmsg sendmsg(MSG_DEALLOC_VGPRS)
	s_endpgm
.LBB198_150:
	s_delay_alu instid0(VALU_DEP_1)
	s_and_saveexec_b32 s16, s15
	s_cbranch_execz .LBB198_155
; %bb.151:
	s_mov_b32 s18, 0
	s_mov_b32 s15, exec_lo
	v_cmpx_ne_u16_e32 1, v3
	s_xor_b32 s15, exec_lo, s15
	s_cbranch_execnz .LBB198_202
; %bb.152:
	s_and_not1_saveexec_b32 s15, s15
	s_cbranch_execnz .LBB198_218
.LBB198_153:
	s_or_b32 exec_lo, exec_lo, s15
	s_delay_alu instid0(SALU_CYCLE_1)
	s_and_b32 exec_lo, exec_lo, s18
	s_cbranch_execz .LBB198_155
.LBB198_154:
	v_sub_nc_u32_e32 v14, v6, v2
	v_mov_b32_e32 v15, 0
	s_delay_alu instid0(VALU_DEP_1) | instskip(NEXT) | instid1(VALU_DEP_1)
	v_lshlrev_b64 v[14:15], 2, v[14:15]
	v_add_co_u32 v14, vcc_lo, v12, v14
	s_delay_alu instid0(VALU_DEP_2)
	v_add_co_ci_u32_e32 v15, vcc_lo, v13, v15, vcc_lo
	global_store_b32 v[14:15], v45, off
.LBB198_155:
	s_or_b32 exec_lo, exec_lo, s16
	s_branch .LBB198_148
.LBB198_156:
	s_mov_b32 s15, exec_lo
	v_cmpx_gt_i16_e32 2, v3
	s_cbranch_execz .LBB198_161
; %bb.157:
	s_mov_b32 s18, 0
	s_mov_b32 s16, exec_lo
	v_cmpx_ne_u16_e32 1, v3
	s_xor_b32 s16, exec_lo, s16
	s_cbranch_execnz .LBB198_219
; %bb.158:
	s_and_not1_saveexec_b32 s0, s16
	s_cbranch_execnz .LBB198_235
.LBB198_159:
	s_or_b32 exec_lo, exec_lo, s0
	s_delay_alu instid0(SALU_CYCLE_1)
	s_and_b32 exec_lo, exec_lo, s18
	s_cbranch_execz .LBB198_161
.LBB198_160:
	v_sub_nc_u32_e32 v2, v6, v2
	s_delay_alu instid0(VALU_DEP_1)
	v_lshlrev_b32_e32 v2, 2, v2
	ds_store_b32 v2, v45
.LBB198_161:
	s_or_b32 exec_lo, exec_lo, s15
	s_delay_alu instid0(SALU_CYCLE_1)
	s_mov_b32 s1, exec_lo
	s_waitcnt lgkmcnt(0)
	s_waitcnt_vscnt null, 0x0
	s_barrier
	buffer_gl0_inv
	v_cmpx_lt_u32_e64 v0, v9
	s_cbranch_execz .LBB198_164
; %bb.162:
	v_dual_mov_b32 v3, 0 :: v_dual_lshlrev_b32 v4, 2, v0
	v_mov_b32_e32 v2, v0
	s_mov_b32 s2, 0
	.p2align	6
.LBB198_163:                            ; =>This Inner Loop Header: Depth=1
	ds_load_b32 v6, v4
	v_lshlrev_b64 v[14:15], 2, v[2:3]
	v_add_nc_u32_e32 v2, 0x100, v2
	v_add_nc_u32_e32 v4, 0x400, v4
	s_delay_alu instid0(VALU_DEP_2) | instskip(NEXT) | instid1(VALU_DEP_4)
	v_cmp_ge_u32_e32 vcc_lo, v2, v9
	v_add_co_u32 v14, s0, v12, v14
	s_delay_alu instid0(VALU_DEP_1)
	v_add_co_ci_u32_e64 v15, s0, v13, v15, s0
	s_or_b32 s2, vcc_lo, s2
	s_waitcnt lgkmcnt(0)
	global_store_b32 v[14:15], v6, off
	s_and_not1_b32 exec_lo, exec_lo, s2
	s_cbranch_execnz .LBB198_163
.LBB198_164:
	s_or_b32 exec_lo, exec_lo, s1
	v_cmp_eq_u32_e32 vcc_lo, 0xff, v0
	s_and_b32 s0, vcc_lo, s17
	s_delay_alu instid0(SALU_CYCLE_1)
	s_and_saveexec_b32 s1, s0
	s_cbranch_execz .LBB198_149
.LBB198_165:
	v_add_co_u32 v0, s0, v1, v5
	s_delay_alu instid0(VALU_DEP_1) | instskip(SKIP_1) | instid1(VALU_DEP_3)
	v_add_co_ci_u32_e64 v4, null, 0, 0, s0
	v_mov_b32_e32 v2, 0
	v_add_co_u32 v3, vcc_lo, v0, v7
	s_delay_alu instid0(VALU_DEP_3)
	v_add_co_ci_u32_e32 v4, vcc_lo, v4, v8, vcc_lo
	s_cmpk_lg_i32 s26, 0xf00
	global_store_b64 v2, v[3:4], s[30:31]
	s_cbranch_scc1 .LBB198_149
; %bb.166:
	v_lshlrev_b64 v[0:1], 2, v[1:2]
	s_delay_alu instid0(VALU_DEP_1) | instskip(NEXT) | instid1(VALU_DEP_2)
	v_add_co_u32 v0, vcc_lo, v10, v0
	v_add_co_ci_u32_e32 v1, vcc_lo, v11, v1, vcc_lo
	global_store_b32 v[0:1], v37, off offset:-4
	s_nop 0
	s_sendmsg sendmsg(MSG_DEALLOC_VGPRS)
	s_endpgm
.LBB198_167:
	s_or_b32 exec_lo, exec_lo, s4
	v_mov_b32_e32 v43, s1
	s_and_saveexec_b32 s1, s40
	s_cbranch_execnz .LBB198_88
	s_branch .LBB198_89
.LBB198_168:
	s_and_saveexec_b32 s19, s13
	s_cbranch_execnz .LBB198_236
; %bb.169:
	s_or_b32 exec_lo, exec_lo, s19
	s_and_saveexec_b32 s19, s12
	s_cbranch_execnz .LBB198_237
.LBB198_170:
	s_or_b32 exec_lo, exec_lo, s19
	s_and_saveexec_b32 s19, s10
	s_cbranch_execnz .LBB198_238
.LBB198_171:
	s_or_b32 exec_lo, exec_lo, s19
	s_and_saveexec_b32 s19, s9
	s_cbranch_execnz .LBB198_239
.LBB198_172:
	s_or_b32 exec_lo, exec_lo, s19
	s_and_saveexec_b32 s19, s15
	s_cbranch_execnz .LBB198_240
.LBB198_173:
	s_or_b32 exec_lo, exec_lo, s19
	s_and_saveexec_b32 s19, s14
	s_cbranch_execnz .LBB198_241
.LBB198_174:
	s_or_b32 exec_lo, exec_lo, s19
	s_and_saveexec_b32 s19, s11
	s_cbranch_execnz .LBB198_242
.LBB198_175:
	s_or_b32 exec_lo, exec_lo, s19
	s_and_saveexec_b32 s19, s8
	s_cbranch_execnz .LBB198_243
.LBB198_176:
	s_or_b32 exec_lo, exec_lo, s19
	s_and_saveexec_b32 s19, s7
	s_cbranch_execnz .LBB198_244
.LBB198_177:
	s_or_b32 exec_lo, exec_lo, s19
	s_and_saveexec_b32 s19, s6
	s_cbranch_execnz .LBB198_245
.LBB198_178:
	s_or_b32 exec_lo, exec_lo, s19
	s_and_saveexec_b32 s19, s5
	s_cbranch_execnz .LBB198_246
.LBB198_179:
	s_or_b32 exec_lo, exec_lo, s19
	s_and_saveexec_b32 s19, s4
	s_cbranch_execnz .LBB198_247
.LBB198_180:
	s_or_b32 exec_lo, exec_lo, s19
	s_and_saveexec_b32 s19, s3
	s_cbranch_execnz .LBB198_248
.LBB198_181:
	s_or_b32 exec_lo, exec_lo, s19
	s_and_saveexec_b32 s19, s1
	s_cbranch_execz .LBB198_183
.LBB198_182:
	v_sub_nc_u32_e32 v73, v25, v5
	v_mov_b32_e32 v74, 0
	s_delay_alu instid0(VALU_DEP_1) | instskip(NEXT) | instid1(VALU_DEP_1)
	v_lshlrev_b64 v[73:74], 2, v[73:74]
	v_add_co_u32 v73, vcc_lo, v70, v73
	s_delay_alu instid0(VALU_DEP_2)
	v_add_co_ci_u32_e32 v74, vcc_lo, v71, v74, vcc_lo
	global_store_b32 v[73:74], v10, off
.LBB198_183:
	s_or_b32 exec_lo, exec_lo, s19
	s_delay_alu instid0(SALU_CYCLE_1)
	s_and_b32 s19, s0, exec_lo
	s_and_not1_saveexec_b32 s16, s16
	s_cbranch_execz .LBB198_133
.LBB198_184:
	v_sub_nc_u32_e32 v73, v4, v5
	v_mov_b32_e32 v74, 0
	s_or_b32 s19, s19, exec_lo
	s_delay_alu instid0(VALU_DEP_1) | instskip(SKIP_1) | instid1(VALU_DEP_1)
	v_lshlrev_b64 v[75:76], 2, v[73:74]
	v_sub_nc_u32_e32 v73, v35, v5
	v_lshlrev_b64 v[77:78], 2, v[73:74]
	v_sub_nc_u32_e32 v73, v65, v5
	s_delay_alu instid0(VALU_DEP_4) | instskip(SKIP_1) | instid1(VALU_DEP_3)
	v_add_co_u32 v75, vcc_lo, v70, v75
	v_add_co_ci_u32_e32 v76, vcc_lo, v71, v76, vcc_lo
	v_lshlrev_b64 v[79:80], 2, v[73:74]
	v_sub_nc_u32_e32 v73, v36, v5
	v_add_co_u32 v77, vcc_lo, v70, v77
	v_add_co_ci_u32_e32 v78, vcc_lo, v71, v78, vcc_lo
	global_store_b32 v[75:76], v21, off
	v_lshlrev_b64 v[75:76], 2, v[73:74]
	v_sub_nc_u32_e32 v73, v34, v5
	global_store_b32 v[77:78], v22, off
	v_add_co_u32 v77, vcc_lo, v70, v79
	v_add_co_ci_u32_e32 v78, vcc_lo, v71, v80, vcc_lo
	v_lshlrev_b64 v[79:80], 2, v[73:74]
	v_sub_nc_u32_e32 v73, v33, v5
	v_add_co_u32 v75, vcc_lo, v70, v75
	v_add_co_ci_u32_e32 v76, vcc_lo, v71, v76, vcc_lo
	s_delay_alu instid0(VALU_DEP_3) | instskip(SKIP_3) | instid1(VALU_DEP_3)
	v_lshlrev_b64 v[81:82], 2, v[73:74]
	v_sub_nc_u32_e32 v73, v32, v5
	v_add_co_u32 v79, vcc_lo, v70, v79
	v_add_co_ci_u32_e32 v80, vcc_lo, v71, v80, vcc_lo
	v_lshlrev_b64 v[83:84], 2, v[73:74]
	v_sub_nc_u32_e32 v73, v31, v5
	v_add_co_u32 v81, vcc_lo, v70, v81
	v_add_co_ci_u32_e32 v82, vcc_lo, v71, v82, vcc_lo
	s_clause 0x3
	global_store_b32 v[77:78], v19, off
	global_store_b32 v[75:76], v20, off
	;; [unrolled: 1-line block ×4, first 2 shown]
	v_lshlrev_b64 v[75:76], 2, v[73:74]
	v_sub_nc_u32_e32 v73, v30, v5
	v_add_co_u32 v77, vcc_lo, v70, v83
	v_add_co_ci_u32_e32 v78, vcc_lo, v71, v84, vcc_lo
	s_delay_alu instid0(VALU_DEP_3) | instskip(SKIP_3) | instid1(VALU_DEP_3)
	v_lshlrev_b64 v[79:80], 2, v[73:74]
	v_sub_nc_u32_e32 v73, v29, v5
	v_add_co_u32 v75, vcc_lo, v70, v75
	v_add_co_ci_u32_e32 v76, vcc_lo, v71, v76, vcc_lo
	v_lshlrev_b64 v[81:82], 2, v[73:74]
	v_sub_nc_u32_e32 v73, v28, v5
	v_add_co_u32 v79, vcc_lo, v70, v79
	v_add_co_ci_u32_e32 v80, vcc_lo, v71, v80, vcc_lo
	s_delay_alu instid0(VALU_DEP_3)
	v_lshlrev_b64 v[83:84], 2, v[73:74]
	v_sub_nc_u32_e32 v73, v27, v5
	v_add_co_u32 v81, vcc_lo, v70, v81
	v_add_co_ci_u32_e32 v82, vcc_lo, v71, v82, vcc_lo
	s_clause 0x3
	global_store_b32 v[77:78], v15, off
	global_store_b32 v[75:76], v16, off
	;; [unrolled: 1-line block ×4, first 2 shown]
	v_lshlrev_b64 v[75:76], 2, v[73:74]
	v_sub_nc_u32_e32 v73, v26, v5
	v_add_co_u32 v77, vcc_lo, v70, v83
	v_add_co_ci_u32_e32 v78, vcc_lo, v71, v84, vcc_lo
	s_delay_alu instid0(VALU_DEP_3) | instskip(SKIP_3) | instid1(VALU_DEP_3)
	v_lshlrev_b64 v[79:80], 2, v[73:74]
	v_sub_nc_u32_e32 v73, v25, v5
	v_add_co_u32 v75, vcc_lo, v70, v75
	v_add_co_ci_u32_e32 v76, vcc_lo, v71, v76, vcc_lo
	v_lshlrev_b64 v[73:74], 2, v[73:74]
	v_add_co_u32 v79, vcc_lo, v70, v79
	v_add_co_ci_u32_e32 v80, vcc_lo, v71, v80, vcc_lo
	s_clause 0x2
	global_store_b32 v[77:78], v11, off
	global_store_b32 v[75:76], v12, off
	;; [unrolled: 1-line block ×3, first 2 shown]
	v_add_co_u32 v73, vcc_lo, v70, v73
	v_add_co_ci_u32_e32 v74, vcc_lo, v71, v74, vcc_lo
	global_store_b32 v[73:74], v10, off
	s_or_b32 exec_lo, exec_lo, s16
	s_delay_alu instid0(SALU_CYCLE_1)
	s_and_b32 exec_lo, exec_lo, s19
	s_cbranch_execnz .LBB198_134
	s_branch .LBB198_135
.LBB198_185:
	s_and_saveexec_b32 s19, s13
	s_cbranch_execnz .LBB198_249
; %bb.186:
	s_or_b32 exec_lo, exec_lo, s19
	s_and_saveexec_b32 s13, s12
	s_cbranch_execnz .LBB198_250
.LBB198_187:
	s_or_b32 exec_lo, exec_lo, s13
	s_and_saveexec_b32 s12, s10
	s_cbranch_execnz .LBB198_251
.LBB198_188:
	s_or_b32 exec_lo, exec_lo, s12
	s_and_saveexec_b32 s10, s9
	s_cbranch_execnz .LBB198_252
.LBB198_189:
	s_or_b32 exec_lo, exec_lo, s10
	s_and_saveexec_b32 s9, s15
	s_cbranch_execnz .LBB198_253
.LBB198_190:
	s_or_b32 exec_lo, exec_lo, s9
	s_and_saveexec_b32 s9, s14
	s_cbranch_execnz .LBB198_254
.LBB198_191:
	s_or_b32 exec_lo, exec_lo, s9
	s_and_saveexec_b32 s9, s11
	s_cbranch_execnz .LBB198_255
.LBB198_192:
	s_or_b32 exec_lo, exec_lo, s9
	s_and_saveexec_b32 s9, s8
	s_cbranch_execnz .LBB198_256
.LBB198_193:
	s_or_b32 exec_lo, exec_lo, s9
	s_and_saveexec_b32 s8, s7
	s_cbranch_execnz .LBB198_257
.LBB198_194:
	s_or_b32 exec_lo, exec_lo, s8
	s_and_saveexec_b32 s7, s6
	s_cbranch_execnz .LBB198_258
.LBB198_195:
	s_or_b32 exec_lo, exec_lo, s7
	s_and_saveexec_b32 s6, s5
	s_cbranch_execnz .LBB198_259
.LBB198_196:
	s_or_b32 exec_lo, exec_lo, s6
	s_and_saveexec_b32 s5, s4
	s_cbranch_execnz .LBB198_260
.LBB198_197:
	s_or_b32 exec_lo, exec_lo, s5
	s_and_saveexec_b32 s4, s3
	s_cbranch_execnz .LBB198_261
.LBB198_198:
	s_or_b32 exec_lo, exec_lo, s4
	s_and_saveexec_b32 s3, s1
	s_cbranch_execz .LBB198_200
.LBB198_199:
	v_sub_nc_u32_e32 v9, v25, v5
	s_delay_alu instid0(VALU_DEP_1)
	v_lshlrev_b32_e32 v9, 2, v9
	ds_store_b32 v9, v10
.LBB198_200:
	s_or_b32 exec_lo, exec_lo, s3
	s_delay_alu instid0(SALU_CYCLE_1)
	s_and_b32 s19, s0, exec_lo
                                        ; implicit-def: $vgpr21
                                        ; implicit-def: $vgpr19
                                        ; implicit-def: $vgpr17
                                        ; implicit-def: $vgpr15
                                        ; implicit-def: $vgpr13
                                        ; implicit-def: $vgpr11
                                        ; implicit-def: $vgpr9
	s_and_not1_saveexec_b32 s0, s18
	s_cbranch_execz .LBB198_140
.LBB198_201:
	v_sub_nc_u32_e32 v72, v4, v5
	v_sub_nc_u32_e32 v75, v36, v5
	;; [unrolled: 1-line block ×4, first 2 shown]
	s_or_b32 s19, s19, exec_lo
	v_lshlrev_b32_e32 v72, 2, v72
	v_lshlrev_b32_e32 v75, 2, v75
	;; [unrolled: 1-line block ×4, first 2 shown]
	ds_store_b32 v72, v21
	ds_store_b32 v73, v22
	;; [unrolled: 1-line block ×3, first 2 shown]
	v_sub_nc_u32_e32 v19, v34, v5
	ds_store_b32 v75, v20
	v_sub_nc_u32_e32 v20, v33, v5
	v_sub_nc_u32_e32 v21, v32, v5
	;; [unrolled: 1-line block ×3, first 2 shown]
	v_lshlrev_b32_e32 v19, 2, v19
	v_sub_nc_u32_e32 v72, v30, v5
	v_lshlrev_b32_e32 v20, 2, v20
	v_lshlrev_b32_e32 v21, 2, v21
	;; [unrolled: 1-line block ×3, first 2 shown]
	ds_store_b32 v19, v17
	v_lshlrev_b32_e32 v17, 2, v72
	ds_store_b32 v20, v18
	ds_store_b32 v21, v15
	;; [unrolled: 1-line block ×3, first 2 shown]
	v_sub_nc_u32_e32 v15, v29, v5
	v_sub_nc_u32_e32 v18, v25, v5
	;; [unrolled: 1-line block ×3, first 2 shown]
	ds_store_b32 v17, v13
	v_sub_nc_u32_e32 v13, v28, v5
	v_lshlrev_b32_e32 v15, 2, v15
	v_sub_nc_u32_e32 v17, v26, v5
	v_lshlrev_b32_e32 v16, 2, v16
	s_delay_alu instid0(VALU_DEP_4)
	v_lshlrev_b32_e32 v13, 2, v13
	ds_store_b32 v15, v14
	v_lshlrev_b32_e32 v14, 2, v18
	v_lshlrev_b32_e32 v17, 2, v17
	ds_store_b32 v13, v11
	ds_store_b32 v16, v12
	;; [unrolled: 1-line block ×4, first 2 shown]
	s_or_b32 exec_lo, exec_lo, s0
	s_delay_alu instid0(SALU_CYCLE_1)
	s_and_b32 exec_lo, exec_lo, s19
	s_cbranch_execnz .LBB198_141
	s_branch .LBB198_142
.LBB198_202:
	s_and_saveexec_b32 s18, s14
	s_cbranch_execnz .LBB198_262
; %bb.203:
	s_or_b32 exec_lo, exec_lo, s18
	s_and_saveexec_b32 s18, s13
	s_cbranch_execnz .LBB198_263
.LBB198_204:
	s_or_b32 exec_lo, exec_lo, s18
	s_and_saveexec_b32 s18, s12
	s_cbranch_execnz .LBB198_264
.LBB198_205:
	s_or_b32 exec_lo, exec_lo, s18
	s_and_saveexec_b32 s18, s11
	s_cbranch_execnz .LBB198_265
.LBB198_206:
	s_or_b32 exec_lo, exec_lo, s18
	s_and_saveexec_b32 s18, s10
	s_cbranch_execnz .LBB198_266
.LBB198_207:
	s_or_b32 exec_lo, exec_lo, s18
	s_and_saveexec_b32 s18, s9
	s_cbranch_execnz .LBB198_267
.LBB198_208:
	s_or_b32 exec_lo, exec_lo, s18
	s_and_saveexec_b32 s18, s8
	s_cbranch_execnz .LBB198_268
.LBB198_209:
	s_or_b32 exec_lo, exec_lo, s18
	s_and_saveexec_b32 s18, s7
	s_cbranch_execnz .LBB198_269
.LBB198_210:
	s_or_b32 exec_lo, exec_lo, s18
	s_and_saveexec_b32 s18, s6
	s_cbranch_execnz .LBB198_270
.LBB198_211:
	s_or_b32 exec_lo, exec_lo, s18
	s_and_saveexec_b32 s18, s5
	s_cbranch_execnz .LBB198_271
.LBB198_212:
	s_or_b32 exec_lo, exec_lo, s18
	s_and_saveexec_b32 s18, s4
	s_cbranch_execnz .LBB198_272
.LBB198_213:
	s_or_b32 exec_lo, exec_lo, s18
	s_and_saveexec_b32 s18, s3
	s_cbranch_execnz .LBB198_273
.LBB198_214:
	s_or_b32 exec_lo, exec_lo, s18
	s_and_saveexec_b32 s18, s2
	s_cbranch_execnz .LBB198_274
.LBB198_215:
	s_or_b32 exec_lo, exec_lo, s18
	s_and_saveexec_b32 s18, s1
	s_cbranch_execz .LBB198_217
.LBB198_216:
	v_sub_nc_u32_e32 v14, v25, v2
	v_mov_b32_e32 v15, 0
	s_delay_alu instid0(VALU_DEP_1) | instskip(NEXT) | instid1(VALU_DEP_1)
	v_lshlrev_b64 v[14:15], 2, v[14:15]
	v_add_co_u32 v14, vcc_lo, v12, v14
	s_delay_alu instid0(VALU_DEP_2)
	v_add_co_ci_u32_e32 v15, vcc_lo, v13, v15, vcc_lo
	global_store_b32 v[14:15], v38, off
.LBB198_217:
	s_or_b32 exec_lo, exec_lo, s18
	s_delay_alu instid0(SALU_CYCLE_1)
	s_and_b32 s18, s0, exec_lo
	s_and_not1_saveexec_b32 s15, s15
	s_cbranch_execz .LBB198_153
.LBB198_218:
	v_sub_nc_u32_e32 v14, v4, v2
	v_mov_b32_e32 v15, 0
	s_or_b32 s18, s18, exec_lo
	s_delay_alu instid0(VALU_DEP_1) | instskip(SKIP_1) | instid1(VALU_DEP_1)
	v_lshlrev_b64 v[16:17], 2, v[14:15]
	v_sub_nc_u32_e32 v14, v35, v2
	v_lshlrev_b64 v[18:19], 2, v[14:15]
	v_sub_nc_u32_e32 v14, v65, v2
	s_delay_alu instid0(VALU_DEP_4) | instskip(SKIP_1) | instid1(VALU_DEP_3)
	v_add_co_u32 v16, vcc_lo, v12, v16
	v_add_co_ci_u32_e32 v17, vcc_lo, v13, v17, vcc_lo
	v_lshlrev_b64 v[20:21], 2, v[14:15]
	v_sub_nc_u32_e32 v14, v36, v2
	v_add_co_u32 v18, vcc_lo, v12, v18
	v_add_co_ci_u32_e32 v19, vcc_lo, v13, v19, vcc_lo
	global_store_b32 v[16:17], v69, off
	v_lshlrev_b64 v[16:17], 2, v[14:15]
	v_sub_nc_u32_e32 v14, v34, v2
	global_store_b32 v[18:19], v68, off
	v_add_co_u32 v18, vcc_lo, v12, v20
	v_add_co_ci_u32_e32 v19, vcc_lo, v13, v21, vcc_lo
	v_lshlrev_b64 v[20:21], 2, v[14:15]
	v_sub_nc_u32_e32 v14, v33, v2
	v_add_co_u32 v16, vcc_lo, v12, v16
	v_add_co_ci_u32_e32 v17, vcc_lo, v13, v17, vcc_lo
	s_delay_alu instid0(VALU_DEP_3) | instskip(SKIP_3) | instid1(VALU_DEP_3)
	v_lshlrev_b64 v[22:23], 2, v[14:15]
	v_sub_nc_u32_e32 v14, v32, v2
	v_add_co_u32 v20, vcc_lo, v12, v20
	v_add_co_ci_u32_e32 v21, vcc_lo, v13, v21, vcc_lo
	v_lshlrev_b64 v[43:44], 2, v[14:15]
	v_sub_nc_u32_e32 v14, v31, v2
	v_add_co_u32 v22, vcc_lo, v12, v22
	v_add_co_ci_u32_e32 v23, vcc_lo, v13, v23, vcc_lo
	s_clause 0x3
	global_store_b32 v[18:19], v67, off
	global_store_b32 v[16:17], v66, off
	;; [unrolled: 1-line block ×4, first 2 shown]
	v_lshlrev_b64 v[16:17], 2, v[14:15]
	v_sub_nc_u32_e32 v14, v30, v2
	v_add_co_u32 v18, vcc_lo, v12, v43
	v_add_co_ci_u32_e32 v19, vcc_lo, v13, v44, vcc_lo
	s_delay_alu instid0(VALU_DEP_3) | instskip(SKIP_3) | instid1(VALU_DEP_3)
	v_lshlrev_b64 v[20:21], 2, v[14:15]
	v_sub_nc_u32_e32 v14, v29, v2
	v_add_co_u32 v16, vcc_lo, v12, v16
	v_add_co_ci_u32_e32 v17, vcc_lo, v13, v17, vcc_lo
	v_lshlrev_b64 v[22:23], 2, v[14:15]
	v_sub_nc_u32_e32 v14, v28, v2
	v_add_co_u32 v20, vcc_lo, v12, v20
	v_add_co_ci_u32_e32 v21, vcc_lo, v13, v21, vcc_lo
	s_delay_alu instid0(VALU_DEP_3)
	v_lshlrev_b64 v[43:44], 2, v[14:15]
	v_sub_nc_u32_e32 v14, v27, v2
	v_add_co_u32 v22, vcc_lo, v12, v22
	v_add_co_ci_u32_e32 v23, vcc_lo, v13, v23, vcc_lo
	s_clause 0x3
	global_store_b32 v[18:19], v51, off
	global_store_b32 v[16:17], v49, off
	;; [unrolled: 1-line block ×4, first 2 shown]
	v_lshlrev_b64 v[16:17], 2, v[14:15]
	v_sub_nc_u32_e32 v14, v26, v2
	v_add_co_u32 v18, vcc_lo, v12, v43
	v_add_co_ci_u32_e32 v19, vcc_lo, v13, v44, vcc_lo
	s_delay_alu instid0(VALU_DEP_3) | instskip(SKIP_3) | instid1(VALU_DEP_3)
	v_lshlrev_b64 v[20:21], 2, v[14:15]
	v_sub_nc_u32_e32 v14, v25, v2
	v_add_co_u32 v16, vcc_lo, v12, v16
	v_add_co_ci_u32_e32 v17, vcc_lo, v13, v17, vcc_lo
	v_lshlrev_b64 v[14:15], 2, v[14:15]
	v_add_co_u32 v20, vcc_lo, v12, v20
	v_add_co_ci_u32_e32 v21, vcc_lo, v13, v21, vcc_lo
	s_clause 0x2
	global_store_b32 v[18:19], v41, off
	global_store_b32 v[16:17], v39, off
	;; [unrolled: 1-line block ×3, first 2 shown]
	v_add_co_u32 v14, vcc_lo, v12, v14
	v_add_co_ci_u32_e32 v15, vcc_lo, v13, v15, vcc_lo
	global_store_b32 v[14:15], v38, off
	s_or_b32 exec_lo, exec_lo, s15
	s_delay_alu instid0(SALU_CYCLE_1)
	s_and_b32 exec_lo, exec_lo, s18
	s_cbranch_execnz .LBB198_154
	s_branch .LBB198_155
.LBB198_219:
	s_and_saveexec_b32 s18, s14
	s_cbranch_execnz .LBB198_275
; %bb.220:
	s_or_b32 exec_lo, exec_lo, s18
	s_and_saveexec_b32 s14, s13
	s_cbranch_execnz .LBB198_276
.LBB198_221:
	s_or_b32 exec_lo, exec_lo, s14
	s_and_saveexec_b32 s13, s12
	s_cbranch_execnz .LBB198_277
.LBB198_222:
	s_or_b32 exec_lo, exec_lo, s13
	s_and_saveexec_b32 s12, s11
	s_cbranch_execnz .LBB198_278
.LBB198_223:
	s_or_b32 exec_lo, exec_lo, s12
	s_and_saveexec_b32 s11, s10
	s_cbranch_execnz .LBB198_279
.LBB198_224:
	s_or_b32 exec_lo, exec_lo, s11
	s_and_saveexec_b32 s10, s9
	s_cbranch_execnz .LBB198_280
.LBB198_225:
	s_or_b32 exec_lo, exec_lo, s10
	s_and_saveexec_b32 s9, s8
	s_cbranch_execnz .LBB198_281
.LBB198_226:
	s_or_b32 exec_lo, exec_lo, s9
	s_and_saveexec_b32 s8, s7
	s_cbranch_execnz .LBB198_282
.LBB198_227:
	s_or_b32 exec_lo, exec_lo, s8
	s_and_saveexec_b32 s7, s6
	s_cbranch_execnz .LBB198_283
.LBB198_228:
	s_or_b32 exec_lo, exec_lo, s7
	s_and_saveexec_b32 s6, s5
	s_cbranch_execnz .LBB198_284
.LBB198_229:
	s_or_b32 exec_lo, exec_lo, s6
	s_and_saveexec_b32 s5, s4
	s_cbranch_execnz .LBB198_285
.LBB198_230:
	s_or_b32 exec_lo, exec_lo, s5
	s_and_saveexec_b32 s4, s3
	s_cbranch_execnz .LBB198_286
.LBB198_231:
	s_or_b32 exec_lo, exec_lo, s4
	s_and_saveexec_b32 s3, s2
	s_cbranch_execnz .LBB198_287
.LBB198_232:
	s_or_b32 exec_lo, exec_lo, s3
	s_and_saveexec_b32 s2, s1
	s_cbranch_execz .LBB198_234
.LBB198_233:
	v_sub_nc_u32_e32 v3, v25, v2
	s_delay_alu instid0(VALU_DEP_1)
	v_lshlrev_b32_e32 v3, 2, v3
	ds_store_b32 v3, v38
.LBB198_234:
	s_or_b32 exec_lo, exec_lo, s2
	s_delay_alu instid0(SALU_CYCLE_1)
	s_and_b32 s18, s0, exec_lo
                                        ; implicit-def: $vgpr38
                                        ; implicit-def: $vgpr40
                                        ; implicit-def: $vgpr39
                                        ; implicit-def: $vgpr41
                                        ; implicit-def: $vgpr42
                                        ; implicit-def: $vgpr47
                                        ; implicit-def: $vgpr49
                                        ; implicit-def: $vgpr51
                                        ; implicit-def: $vgpr53
                                        ; implicit-def: $vgpr55
                                        ; implicit-def: $vgpr66
                                        ; implicit-def: $vgpr67
                                        ; implicit-def: $vgpr68
                                        ; implicit-def: $vgpr69
                                        ; implicit-def: $vgpr35
                                        ; implicit-def: $vgpr65
                                        ; implicit-def: $vgpr36
                                        ; implicit-def: $vgpr34
                                        ; implicit-def: $vgpr33
                                        ; implicit-def: $vgpr32
                                        ; implicit-def: $vgpr31
                                        ; implicit-def: $vgpr30
                                        ; implicit-def: $vgpr29
                                        ; implicit-def: $vgpr28
                                        ; implicit-def: $vgpr27
                                        ; implicit-def: $vgpr26
                                        ; implicit-def: $vgpr25
	s_and_not1_saveexec_b32 s0, s16
	s_cbranch_execz .LBB198_159
.LBB198_235:
	v_sub_nc_u32_e32 v3, v4, v2
	v_sub_nc_u32_e32 v4, v35, v2
	;; [unrolled: 1-line block ×5, first 2 shown]
	v_lshlrev_b32_e32 v3, 2, v3
	v_lshlrev_b32_e32 v4, 2, v4
	;; [unrolled: 1-line block ×4, first 2 shown]
	s_or_b32 s18, s18, exec_lo
	ds_store_b32 v3, v69
	ds_store_b32 v4, v68
	;; [unrolled: 1-line block ×3, first 2 shown]
	v_sub_nc_u32_e32 v3, v34, v2
	v_sub_nc_u32_e32 v4, v33, v2
	;; [unrolled: 1-line block ×3, first 2 shown]
	ds_store_b32 v15, v66
	v_sub_nc_u32_e32 v15, v31, v2
	v_lshlrev_b32_e32 v3, 2, v3
	v_lshlrev_b32_e32 v4, 2, v4
	;; [unrolled: 1-line block ×3, first 2 shown]
	s_delay_alu instid0(VALU_DEP_4)
	v_lshlrev_b32_e32 v15, 2, v15
	ds_store_b32 v3, v55
	v_lshlrev_b32_e32 v3, 2, v16
	ds_store_b32 v4, v53
	ds_store_b32 v14, v51
	;; [unrolled: 1-line block ×3, first 2 shown]
	v_sub_nc_u32_e32 v4, v29, v2
	v_sub_nc_u32_e32 v16, v25, v2
	;; [unrolled: 1-line block ×3, first 2 shown]
	ds_store_b32 v3, v47
	v_sub_nc_u32_e32 v3, v28, v2
	v_lshlrev_b32_e32 v4, 2, v4
	v_sub_nc_u32_e32 v15, v26, v2
	v_lshlrev_b32_e32 v14, 2, v14
	s_delay_alu instid0(VALU_DEP_4)
	v_lshlrev_b32_e32 v3, 2, v3
	ds_store_b32 v4, v42
	v_lshlrev_b32_e32 v4, 2, v16
	v_lshlrev_b32_e32 v15, 2, v15
	ds_store_b32 v3, v41
	ds_store_b32 v14, v39
	;; [unrolled: 1-line block ×4, first 2 shown]
	s_or_b32 exec_lo, exec_lo, s0
	s_delay_alu instid0(SALU_CYCLE_1)
	s_and_b32 exec_lo, exec_lo, s18
	s_cbranch_execnz .LBB198_160
	s_branch .LBB198_161
.LBB198_236:
	v_sub_nc_u32_e32 v73, v4, v5
	v_mov_b32_e32 v74, 0
	s_delay_alu instid0(VALU_DEP_1) | instskip(NEXT) | instid1(VALU_DEP_1)
	v_lshlrev_b64 v[73:74], 2, v[73:74]
	v_add_co_u32 v73, vcc_lo, v70, v73
	s_delay_alu instid0(VALU_DEP_2)
	v_add_co_ci_u32_e32 v74, vcc_lo, v71, v74, vcc_lo
	global_store_b32 v[73:74], v21, off
	s_or_b32 exec_lo, exec_lo, s19
	s_and_saveexec_b32 s19, s12
	s_cbranch_execz .LBB198_170
.LBB198_237:
	v_sub_nc_u32_e32 v73, v35, v5
	v_mov_b32_e32 v74, 0
	s_delay_alu instid0(VALU_DEP_1) | instskip(NEXT) | instid1(VALU_DEP_1)
	v_lshlrev_b64 v[73:74], 2, v[73:74]
	v_add_co_u32 v73, vcc_lo, v70, v73
	s_delay_alu instid0(VALU_DEP_2)
	v_add_co_ci_u32_e32 v74, vcc_lo, v71, v74, vcc_lo
	global_store_b32 v[73:74], v22, off
	s_or_b32 exec_lo, exec_lo, s19
	s_and_saveexec_b32 s19, s10
	s_cbranch_execz .LBB198_171
.LBB198_238:
	v_sub_nc_u32_e32 v73, v65, v5
	v_mov_b32_e32 v74, 0
	s_delay_alu instid0(VALU_DEP_1) | instskip(NEXT) | instid1(VALU_DEP_1)
	v_lshlrev_b64 v[73:74], 2, v[73:74]
	v_add_co_u32 v73, vcc_lo, v70, v73
	s_delay_alu instid0(VALU_DEP_2)
	v_add_co_ci_u32_e32 v74, vcc_lo, v71, v74, vcc_lo
	global_store_b32 v[73:74], v19, off
	s_or_b32 exec_lo, exec_lo, s19
	s_and_saveexec_b32 s19, s9
	s_cbranch_execz .LBB198_172
.LBB198_239:
	v_sub_nc_u32_e32 v73, v36, v5
	v_mov_b32_e32 v74, 0
	s_delay_alu instid0(VALU_DEP_1) | instskip(NEXT) | instid1(VALU_DEP_1)
	v_lshlrev_b64 v[73:74], 2, v[73:74]
	v_add_co_u32 v73, vcc_lo, v70, v73
	s_delay_alu instid0(VALU_DEP_2)
	v_add_co_ci_u32_e32 v74, vcc_lo, v71, v74, vcc_lo
	global_store_b32 v[73:74], v20, off
	s_or_b32 exec_lo, exec_lo, s19
	s_and_saveexec_b32 s19, s15
	s_cbranch_execz .LBB198_173
.LBB198_240:
	v_sub_nc_u32_e32 v73, v34, v5
	v_mov_b32_e32 v74, 0
	s_delay_alu instid0(VALU_DEP_1) | instskip(NEXT) | instid1(VALU_DEP_1)
	v_lshlrev_b64 v[73:74], 2, v[73:74]
	v_add_co_u32 v73, vcc_lo, v70, v73
	s_delay_alu instid0(VALU_DEP_2)
	v_add_co_ci_u32_e32 v74, vcc_lo, v71, v74, vcc_lo
	global_store_b32 v[73:74], v17, off
	s_or_b32 exec_lo, exec_lo, s19
	s_and_saveexec_b32 s19, s14
	s_cbranch_execz .LBB198_174
.LBB198_241:
	v_sub_nc_u32_e32 v73, v33, v5
	v_mov_b32_e32 v74, 0
	s_delay_alu instid0(VALU_DEP_1) | instskip(NEXT) | instid1(VALU_DEP_1)
	v_lshlrev_b64 v[73:74], 2, v[73:74]
	v_add_co_u32 v73, vcc_lo, v70, v73
	s_delay_alu instid0(VALU_DEP_2)
	v_add_co_ci_u32_e32 v74, vcc_lo, v71, v74, vcc_lo
	global_store_b32 v[73:74], v18, off
	s_or_b32 exec_lo, exec_lo, s19
	s_and_saveexec_b32 s19, s11
	s_cbranch_execz .LBB198_175
.LBB198_242:
	v_sub_nc_u32_e32 v73, v32, v5
	v_mov_b32_e32 v74, 0
	s_delay_alu instid0(VALU_DEP_1) | instskip(NEXT) | instid1(VALU_DEP_1)
	v_lshlrev_b64 v[73:74], 2, v[73:74]
	v_add_co_u32 v73, vcc_lo, v70, v73
	s_delay_alu instid0(VALU_DEP_2)
	v_add_co_ci_u32_e32 v74, vcc_lo, v71, v74, vcc_lo
	global_store_b32 v[73:74], v15, off
	s_or_b32 exec_lo, exec_lo, s19
	s_and_saveexec_b32 s19, s8
	s_cbranch_execz .LBB198_176
.LBB198_243:
	v_sub_nc_u32_e32 v73, v31, v5
	v_mov_b32_e32 v74, 0
	s_delay_alu instid0(VALU_DEP_1) | instskip(NEXT) | instid1(VALU_DEP_1)
	v_lshlrev_b64 v[73:74], 2, v[73:74]
	v_add_co_u32 v73, vcc_lo, v70, v73
	s_delay_alu instid0(VALU_DEP_2)
	v_add_co_ci_u32_e32 v74, vcc_lo, v71, v74, vcc_lo
	global_store_b32 v[73:74], v16, off
	s_or_b32 exec_lo, exec_lo, s19
	s_and_saveexec_b32 s19, s7
	s_cbranch_execz .LBB198_177
.LBB198_244:
	v_sub_nc_u32_e32 v73, v30, v5
	v_mov_b32_e32 v74, 0
	s_delay_alu instid0(VALU_DEP_1) | instskip(NEXT) | instid1(VALU_DEP_1)
	v_lshlrev_b64 v[73:74], 2, v[73:74]
	v_add_co_u32 v73, vcc_lo, v70, v73
	s_delay_alu instid0(VALU_DEP_2)
	v_add_co_ci_u32_e32 v74, vcc_lo, v71, v74, vcc_lo
	global_store_b32 v[73:74], v13, off
	s_or_b32 exec_lo, exec_lo, s19
	s_and_saveexec_b32 s19, s6
	s_cbranch_execz .LBB198_178
.LBB198_245:
	v_sub_nc_u32_e32 v73, v29, v5
	v_mov_b32_e32 v74, 0
	s_delay_alu instid0(VALU_DEP_1) | instskip(NEXT) | instid1(VALU_DEP_1)
	v_lshlrev_b64 v[73:74], 2, v[73:74]
	v_add_co_u32 v73, vcc_lo, v70, v73
	s_delay_alu instid0(VALU_DEP_2)
	v_add_co_ci_u32_e32 v74, vcc_lo, v71, v74, vcc_lo
	global_store_b32 v[73:74], v14, off
	s_or_b32 exec_lo, exec_lo, s19
	s_and_saveexec_b32 s19, s5
	s_cbranch_execz .LBB198_179
.LBB198_246:
	v_sub_nc_u32_e32 v73, v28, v5
	v_mov_b32_e32 v74, 0
	s_delay_alu instid0(VALU_DEP_1) | instskip(NEXT) | instid1(VALU_DEP_1)
	v_lshlrev_b64 v[73:74], 2, v[73:74]
	v_add_co_u32 v73, vcc_lo, v70, v73
	s_delay_alu instid0(VALU_DEP_2)
	v_add_co_ci_u32_e32 v74, vcc_lo, v71, v74, vcc_lo
	global_store_b32 v[73:74], v11, off
	s_or_b32 exec_lo, exec_lo, s19
	s_and_saveexec_b32 s19, s4
	s_cbranch_execz .LBB198_180
.LBB198_247:
	v_sub_nc_u32_e32 v73, v27, v5
	v_mov_b32_e32 v74, 0
	s_delay_alu instid0(VALU_DEP_1) | instskip(NEXT) | instid1(VALU_DEP_1)
	v_lshlrev_b64 v[73:74], 2, v[73:74]
	v_add_co_u32 v73, vcc_lo, v70, v73
	s_delay_alu instid0(VALU_DEP_2)
	v_add_co_ci_u32_e32 v74, vcc_lo, v71, v74, vcc_lo
	global_store_b32 v[73:74], v12, off
	s_or_b32 exec_lo, exec_lo, s19
	s_and_saveexec_b32 s19, s3
	s_cbranch_execz .LBB198_181
.LBB198_248:
	v_sub_nc_u32_e32 v73, v26, v5
	v_mov_b32_e32 v74, 0
	s_delay_alu instid0(VALU_DEP_1) | instskip(NEXT) | instid1(VALU_DEP_1)
	v_lshlrev_b64 v[73:74], 2, v[73:74]
	v_add_co_u32 v73, vcc_lo, v70, v73
	s_delay_alu instid0(VALU_DEP_2)
	v_add_co_ci_u32_e32 v74, vcc_lo, v71, v74, vcc_lo
	global_store_b32 v[73:74], v9, off
	s_or_b32 exec_lo, exec_lo, s19
	s_and_saveexec_b32 s19, s1
	s_cbranch_execnz .LBB198_182
	s_branch .LBB198_183
.LBB198_249:
	v_sub_nc_u32_e32 v72, v4, v5
	s_delay_alu instid0(VALU_DEP_1)
	v_lshlrev_b32_e32 v72, 2, v72
	ds_store_b32 v72, v21
	s_or_b32 exec_lo, exec_lo, s19
	s_and_saveexec_b32 s13, s12
	s_cbranch_execz .LBB198_187
.LBB198_250:
	v_sub_nc_u32_e32 v21, v35, v5
	s_delay_alu instid0(VALU_DEP_1)
	v_lshlrev_b32_e32 v21, 2, v21
	ds_store_b32 v21, v22
	s_or_b32 exec_lo, exec_lo, s13
	s_and_saveexec_b32 s12, s10
	s_cbranch_execz .LBB198_188
.LBB198_251:
	v_sub_nc_u32_e32 v21, v65, v5
	s_delay_alu instid0(VALU_DEP_1)
	v_lshlrev_b32_e32 v21, 2, v21
	ds_store_b32 v21, v19
	s_or_b32 exec_lo, exec_lo, s12
	s_and_saveexec_b32 s10, s9
	s_cbranch_execz .LBB198_189
.LBB198_252:
	v_sub_nc_u32_e32 v19, v36, v5
	s_delay_alu instid0(VALU_DEP_1)
	v_lshlrev_b32_e32 v19, 2, v19
	ds_store_b32 v19, v20
	s_or_b32 exec_lo, exec_lo, s10
	s_and_saveexec_b32 s9, s15
	s_cbranch_execz .LBB198_190
.LBB198_253:
	v_sub_nc_u32_e32 v19, v34, v5
	s_delay_alu instid0(VALU_DEP_1)
	v_lshlrev_b32_e32 v19, 2, v19
	ds_store_b32 v19, v17
	s_or_b32 exec_lo, exec_lo, s9
	s_and_saveexec_b32 s9, s14
	s_cbranch_execz .LBB198_191
.LBB198_254:
	v_sub_nc_u32_e32 v17, v33, v5
	s_delay_alu instid0(VALU_DEP_1)
	v_lshlrev_b32_e32 v17, 2, v17
	ds_store_b32 v17, v18
	s_or_b32 exec_lo, exec_lo, s9
	s_and_saveexec_b32 s9, s11
	s_cbranch_execz .LBB198_192
.LBB198_255:
	v_sub_nc_u32_e32 v17, v32, v5
	s_delay_alu instid0(VALU_DEP_1)
	v_lshlrev_b32_e32 v17, 2, v17
	ds_store_b32 v17, v15
	s_or_b32 exec_lo, exec_lo, s9
	s_and_saveexec_b32 s9, s8
	s_cbranch_execz .LBB198_193
.LBB198_256:
	v_sub_nc_u32_e32 v15, v31, v5
	s_delay_alu instid0(VALU_DEP_1)
	v_lshlrev_b32_e32 v15, 2, v15
	ds_store_b32 v15, v16
	s_or_b32 exec_lo, exec_lo, s9
	s_and_saveexec_b32 s8, s7
	s_cbranch_execz .LBB198_194
.LBB198_257:
	v_sub_nc_u32_e32 v15, v30, v5
	s_delay_alu instid0(VALU_DEP_1)
	v_lshlrev_b32_e32 v15, 2, v15
	ds_store_b32 v15, v13
	s_or_b32 exec_lo, exec_lo, s8
	s_and_saveexec_b32 s7, s6
	s_cbranch_execz .LBB198_195
.LBB198_258:
	v_sub_nc_u32_e32 v13, v29, v5
	s_delay_alu instid0(VALU_DEP_1)
	v_lshlrev_b32_e32 v13, 2, v13
	ds_store_b32 v13, v14
	s_or_b32 exec_lo, exec_lo, s7
	s_and_saveexec_b32 s6, s5
	s_cbranch_execz .LBB198_196
.LBB198_259:
	v_sub_nc_u32_e32 v13, v28, v5
	s_delay_alu instid0(VALU_DEP_1)
	v_lshlrev_b32_e32 v13, 2, v13
	ds_store_b32 v13, v11
	s_or_b32 exec_lo, exec_lo, s6
	s_and_saveexec_b32 s5, s4
	s_cbranch_execz .LBB198_197
.LBB198_260:
	v_sub_nc_u32_e32 v11, v27, v5
	s_delay_alu instid0(VALU_DEP_1)
	v_lshlrev_b32_e32 v11, 2, v11
	ds_store_b32 v11, v12
	s_or_b32 exec_lo, exec_lo, s5
	s_and_saveexec_b32 s4, s3
	s_cbranch_execz .LBB198_198
.LBB198_261:
	v_sub_nc_u32_e32 v11, v26, v5
	s_delay_alu instid0(VALU_DEP_1)
	v_lshlrev_b32_e32 v11, 2, v11
	ds_store_b32 v11, v9
	s_or_b32 exec_lo, exec_lo, s4
	s_and_saveexec_b32 s3, s1
	s_cbranch_execnz .LBB198_199
	s_branch .LBB198_200
.LBB198_262:
	v_sub_nc_u32_e32 v14, v4, v2
	v_mov_b32_e32 v15, 0
	s_delay_alu instid0(VALU_DEP_1) | instskip(NEXT) | instid1(VALU_DEP_1)
	v_lshlrev_b64 v[14:15], 2, v[14:15]
	v_add_co_u32 v14, vcc_lo, v12, v14
	s_delay_alu instid0(VALU_DEP_2)
	v_add_co_ci_u32_e32 v15, vcc_lo, v13, v15, vcc_lo
	global_store_b32 v[14:15], v69, off
	s_or_b32 exec_lo, exec_lo, s18
	s_and_saveexec_b32 s18, s13
	s_cbranch_execz .LBB198_204
.LBB198_263:
	v_sub_nc_u32_e32 v14, v35, v2
	v_mov_b32_e32 v15, 0
	s_delay_alu instid0(VALU_DEP_1) | instskip(NEXT) | instid1(VALU_DEP_1)
	v_lshlrev_b64 v[14:15], 2, v[14:15]
	v_add_co_u32 v14, vcc_lo, v12, v14
	s_delay_alu instid0(VALU_DEP_2)
	v_add_co_ci_u32_e32 v15, vcc_lo, v13, v15, vcc_lo
	global_store_b32 v[14:15], v68, off
	s_or_b32 exec_lo, exec_lo, s18
	s_and_saveexec_b32 s18, s12
	s_cbranch_execz .LBB198_205
.LBB198_264:
	v_sub_nc_u32_e32 v14, v65, v2
	v_mov_b32_e32 v15, 0
	s_delay_alu instid0(VALU_DEP_1) | instskip(NEXT) | instid1(VALU_DEP_1)
	v_lshlrev_b64 v[14:15], 2, v[14:15]
	v_add_co_u32 v14, vcc_lo, v12, v14
	s_delay_alu instid0(VALU_DEP_2)
	v_add_co_ci_u32_e32 v15, vcc_lo, v13, v15, vcc_lo
	global_store_b32 v[14:15], v67, off
	s_or_b32 exec_lo, exec_lo, s18
	s_and_saveexec_b32 s18, s11
	s_cbranch_execz .LBB198_206
.LBB198_265:
	v_sub_nc_u32_e32 v14, v36, v2
	v_mov_b32_e32 v15, 0
	s_delay_alu instid0(VALU_DEP_1) | instskip(NEXT) | instid1(VALU_DEP_1)
	v_lshlrev_b64 v[14:15], 2, v[14:15]
	v_add_co_u32 v14, vcc_lo, v12, v14
	s_delay_alu instid0(VALU_DEP_2)
	v_add_co_ci_u32_e32 v15, vcc_lo, v13, v15, vcc_lo
	global_store_b32 v[14:15], v66, off
	s_or_b32 exec_lo, exec_lo, s18
	s_and_saveexec_b32 s18, s10
	s_cbranch_execz .LBB198_207
.LBB198_266:
	v_sub_nc_u32_e32 v14, v34, v2
	v_mov_b32_e32 v15, 0
	s_delay_alu instid0(VALU_DEP_1) | instskip(NEXT) | instid1(VALU_DEP_1)
	v_lshlrev_b64 v[14:15], 2, v[14:15]
	v_add_co_u32 v14, vcc_lo, v12, v14
	s_delay_alu instid0(VALU_DEP_2)
	v_add_co_ci_u32_e32 v15, vcc_lo, v13, v15, vcc_lo
	global_store_b32 v[14:15], v55, off
	s_or_b32 exec_lo, exec_lo, s18
	s_and_saveexec_b32 s18, s9
	s_cbranch_execz .LBB198_208
.LBB198_267:
	v_sub_nc_u32_e32 v14, v33, v2
	v_mov_b32_e32 v15, 0
	s_delay_alu instid0(VALU_DEP_1) | instskip(NEXT) | instid1(VALU_DEP_1)
	v_lshlrev_b64 v[14:15], 2, v[14:15]
	v_add_co_u32 v14, vcc_lo, v12, v14
	s_delay_alu instid0(VALU_DEP_2)
	v_add_co_ci_u32_e32 v15, vcc_lo, v13, v15, vcc_lo
	global_store_b32 v[14:15], v53, off
	s_or_b32 exec_lo, exec_lo, s18
	s_and_saveexec_b32 s18, s8
	s_cbranch_execz .LBB198_209
.LBB198_268:
	v_sub_nc_u32_e32 v14, v32, v2
	v_mov_b32_e32 v15, 0
	s_delay_alu instid0(VALU_DEP_1) | instskip(NEXT) | instid1(VALU_DEP_1)
	v_lshlrev_b64 v[14:15], 2, v[14:15]
	v_add_co_u32 v14, vcc_lo, v12, v14
	s_delay_alu instid0(VALU_DEP_2)
	v_add_co_ci_u32_e32 v15, vcc_lo, v13, v15, vcc_lo
	global_store_b32 v[14:15], v51, off
	s_or_b32 exec_lo, exec_lo, s18
	s_and_saveexec_b32 s18, s7
	s_cbranch_execz .LBB198_210
.LBB198_269:
	v_sub_nc_u32_e32 v14, v31, v2
	v_mov_b32_e32 v15, 0
	s_delay_alu instid0(VALU_DEP_1) | instskip(NEXT) | instid1(VALU_DEP_1)
	v_lshlrev_b64 v[14:15], 2, v[14:15]
	v_add_co_u32 v14, vcc_lo, v12, v14
	s_delay_alu instid0(VALU_DEP_2)
	v_add_co_ci_u32_e32 v15, vcc_lo, v13, v15, vcc_lo
	global_store_b32 v[14:15], v49, off
	s_or_b32 exec_lo, exec_lo, s18
	s_and_saveexec_b32 s18, s6
	s_cbranch_execz .LBB198_211
.LBB198_270:
	v_sub_nc_u32_e32 v14, v30, v2
	v_mov_b32_e32 v15, 0
	s_delay_alu instid0(VALU_DEP_1) | instskip(NEXT) | instid1(VALU_DEP_1)
	v_lshlrev_b64 v[14:15], 2, v[14:15]
	v_add_co_u32 v14, vcc_lo, v12, v14
	s_delay_alu instid0(VALU_DEP_2)
	v_add_co_ci_u32_e32 v15, vcc_lo, v13, v15, vcc_lo
	global_store_b32 v[14:15], v47, off
	s_or_b32 exec_lo, exec_lo, s18
	s_and_saveexec_b32 s18, s5
	s_cbranch_execz .LBB198_212
.LBB198_271:
	v_sub_nc_u32_e32 v14, v29, v2
	v_mov_b32_e32 v15, 0
	s_delay_alu instid0(VALU_DEP_1) | instskip(NEXT) | instid1(VALU_DEP_1)
	v_lshlrev_b64 v[14:15], 2, v[14:15]
	v_add_co_u32 v14, vcc_lo, v12, v14
	s_delay_alu instid0(VALU_DEP_2)
	v_add_co_ci_u32_e32 v15, vcc_lo, v13, v15, vcc_lo
	global_store_b32 v[14:15], v42, off
	s_or_b32 exec_lo, exec_lo, s18
	s_and_saveexec_b32 s18, s4
	s_cbranch_execz .LBB198_213
.LBB198_272:
	v_sub_nc_u32_e32 v14, v28, v2
	v_mov_b32_e32 v15, 0
	s_delay_alu instid0(VALU_DEP_1) | instskip(NEXT) | instid1(VALU_DEP_1)
	v_lshlrev_b64 v[14:15], 2, v[14:15]
	v_add_co_u32 v14, vcc_lo, v12, v14
	s_delay_alu instid0(VALU_DEP_2)
	v_add_co_ci_u32_e32 v15, vcc_lo, v13, v15, vcc_lo
	global_store_b32 v[14:15], v41, off
	s_or_b32 exec_lo, exec_lo, s18
	s_and_saveexec_b32 s18, s3
	s_cbranch_execz .LBB198_214
.LBB198_273:
	v_sub_nc_u32_e32 v14, v27, v2
	v_mov_b32_e32 v15, 0
	s_delay_alu instid0(VALU_DEP_1) | instskip(NEXT) | instid1(VALU_DEP_1)
	v_lshlrev_b64 v[14:15], 2, v[14:15]
	v_add_co_u32 v14, vcc_lo, v12, v14
	s_delay_alu instid0(VALU_DEP_2)
	v_add_co_ci_u32_e32 v15, vcc_lo, v13, v15, vcc_lo
	global_store_b32 v[14:15], v39, off
	s_or_b32 exec_lo, exec_lo, s18
	s_and_saveexec_b32 s18, s2
	s_cbranch_execz .LBB198_215
.LBB198_274:
	v_sub_nc_u32_e32 v14, v26, v2
	v_mov_b32_e32 v15, 0
	s_delay_alu instid0(VALU_DEP_1) | instskip(NEXT) | instid1(VALU_DEP_1)
	v_lshlrev_b64 v[14:15], 2, v[14:15]
	v_add_co_u32 v14, vcc_lo, v12, v14
	s_delay_alu instid0(VALU_DEP_2)
	v_add_co_ci_u32_e32 v15, vcc_lo, v13, v15, vcc_lo
	global_store_b32 v[14:15], v40, off
	s_or_b32 exec_lo, exec_lo, s18
	s_and_saveexec_b32 s18, s1
	s_cbranch_execnz .LBB198_216
	s_branch .LBB198_217
.LBB198_275:
	v_sub_nc_u32_e32 v3, v4, v2
	s_delay_alu instid0(VALU_DEP_1)
	v_lshlrev_b32_e32 v3, 2, v3
	ds_store_b32 v3, v69
	s_or_b32 exec_lo, exec_lo, s18
	s_and_saveexec_b32 s14, s13
	s_cbranch_execz .LBB198_221
.LBB198_276:
	v_sub_nc_u32_e32 v3, v35, v2
	s_delay_alu instid0(VALU_DEP_1)
	v_lshlrev_b32_e32 v3, 2, v3
	ds_store_b32 v3, v68
	s_or_b32 exec_lo, exec_lo, s14
	s_and_saveexec_b32 s13, s12
	s_cbranch_execz .LBB198_222
.LBB198_277:
	v_sub_nc_u32_e32 v3, v65, v2
	s_delay_alu instid0(VALU_DEP_1)
	v_lshlrev_b32_e32 v3, 2, v3
	ds_store_b32 v3, v67
	s_or_b32 exec_lo, exec_lo, s13
	s_and_saveexec_b32 s12, s11
	s_cbranch_execz .LBB198_223
.LBB198_278:
	v_sub_nc_u32_e32 v3, v36, v2
	s_delay_alu instid0(VALU_DEP_1)
	v_lshlrev_b32_e32 v3, 2, v3
	ds_store_b32 v3, v66
	s_or_b32 exec_lo, exec_lo, s12
	s_and_saveexec_b32 s11, s10
	s_cbranch_execz .LBB198_224
.LBB198_279:
	v_sub_nc_u32_e32 v3, v34, v2
	s_delay_alu instid0(VALU_DEP_1)
	v_lshlrev_b32_e32 v3, 2, v3
	ds_store_b32 v3, v55
	s_or_b32 exec_lo, exec_lo, s11
	s_and_saveexec_b32 s10, s9
	s_cbranch_execz .LBB198_225
.LBB198_280:
	v_sub_nc_u32_e32 v3, v33, v2
	s_delay_alu instid0(VALU_DEP_1)
	v_lshlrev_b32_e32 v3, 2, v3
	ds_store_b32 v3, v53
	s_or_b32 exec_lo, exec_lo, s10
	s_and_saveexec_b32 s9, s8
	s_cbranch_execz .LBB198_226
.LBB198_281:
	v_sub_nc_u32_e32 v3, v32, v2
	s_delay_alu instid0(VALU_DEP_1)
	v_lshlrev_b32_e32 v3, 2, v3
	ds_store_b32 v3, v51
	s_or_b32 exec_lo, exec_lo, s9
	s_and_saveexec_b32 s8, s7
	s_cbranch_execz .LBB198_227
.LBB198_282:
	v_sub_nc_u32_e32 v3, v31, v2
	s_delay_alu instid0(VALU_DEP_1)
	v_lshlrev_b32_e32 v3, 2, v3
	ds_store_b32 v3, v49
	s_or_b32 exec_lo, exec_lo, s8
	s_and_saveexec_b32 s7, s6
	s_cbranch_execz .LBB198_228
.LBB198_283:
	v_sub_nc_u32_e32 v3, v30, v2
	s_delay_alu instid0(VALU_DEP_1)
	v_lshlrev_b32_e32 v3, 2, v3
	ds_store_b32 v3, v47
	s_or_b32 exec_lo, exec_lo, s7
	s_and_saveexec_b32 s6, s5
	s_cbranch_execz .LBB198_229
.LBB198_284:
	v_sub_nc_u32_e32 v3, v29, v2
	s_delay_alu instid0(VALU_DEP_1)
	v_lshlrev_b32_e32 v3, 2, v3
	ds_store_b32 v3, v42
	s_or_b32 exec_lo, exec_lo, s6
	s_and_saveexec_b32 s5, s4
	s_cbranch_execz .LBB198_230
.LBB198_285:
	v_sub_nc_u32_e32 v3, v28, v2
	s_delay_alu instid0(VALU_DEP_1)
	v_lshlrev_b32_e32 v3, 2, v3
	ds_store_b32 v3, v41
	s_or_b32 exec_lo, exec_lo, s5
	s_and_saveexec_b32 s4, s3
	s_cbranch_execz .LBB198_231
.LBB198_286:
	v_sub_nc_u32_e32 v3, v27, v2
	s_delay_alu instid0(VALU_DEP_1)
	v_lshlrev_b32_e32 v3, 2, v3
	ds_store_b32 v3, v39
	s_or_b32 exec_lo, exec_lo, s4
	s_and_saveexec_b32 s3, s2
	s_cbranch_execz .LBB198_232
.LBB198_287:
	v_sub_nc_u32_e32 v3, v26, v2
	s_delay_alu instid0(VALU_DEP_1)
	v_lshlrev_b32_e32 v3, 2, v3
	ds_store_b32 v3, v40
	s_or_b32 exec_lo, exec_lo, s3
	s_and_saveexec_b32 s2, s1
	s_cbranch_execnz .LBB198_233
	s_branch .LBB198_234
	.section	.rodata,"a",@progbits
	.p2align	6, 0x0
	.amdhsa_kernel _ZN7rocprim17ROCPRIM_400000_NS6detail17trampoline_kernelINS0_14default_configENS1_29reduce_by_key_config_selectorIffN6thrust23THRUST_200600_302600_NS4plusIfEEEEZZNS1_33reduce_by_key_impl_wrapped_configILNS1_25lookback_scan_determinismE0ES3_S9_NS6_6detail15normal_iteratorINS6_10device_ptrIfEEEESG_SG_SG_PmS8_NS6_8equal_toIfEEEE10hipError_tPvRmT2_T3_mT4_T5_T6_T7_T8_P12ihipStream_tbENKUlT_T0_E_clISt17integral_constantIbLb0EES10_IbLb1EEEEDaSW_SX_EUlSW_E_NS1_11comp_targetILNS1_3genE9ELNS1_11target_archE1100ELNS1_3gpuE3ELNS1_3repE0EEENS1_30default_config_static_selectorELNS0_4arch9wavefront6targetE0EEEvT1_
		.amdhsa_group_segment_fixed_size 15360
		.amdhsa_private_segment_fixed_size 0
		.amdhsa_kernarg_size 120
		.amdhsa_user_sgpr_count 15
		.amdhsa_user_sgpr_dispatch_ptr 0
		.amdhsa_user_sgpr_queue_ptr 0
		.amdhsa_user_sgpr_kernarg_segment_ptr 1
		.amdhsa_user_sgpr_dispatch_id 0
		.amdhsa_user_sgpr_private_segment_size 0
		.amdhsa_wavefront_size32 1
		.amdhsa_uses_dynamic_stack 0
		.amdhsa_enable_private_segment 0
		.amdhsa_system_sgpr_workgroup_id_x 1
		.amdhsa_system_sgpr_workgroup_id_y 0
		.amdhsa_system_sgpr_workgroup_id_z 0
		.amdhsa_system_sgpr_workgroup_info 0
		.amdhsa_system_vgpr_workitem_id 0
		.amdhsa_next_free_vgpr 85
		.amdhsa_next_free_sgpr 44
		.amdhsa_reserve_vcc 1
		.amdhsa_float_round_mode_32 0
		.amdhsa_float_round_mode_16_64 0
		.amdhsa_float_denorm_mode_32 3
		.amdhsa_float_denorm_mode_16_64 3
		.amdhsa_dx10_clamp 1
		.amdhsa_ieee_mode 1
		.amdhsa_fp16_overflow 0
		.amdhsa_workgroup_processor_mode 1
		.amdhsa_memory_ordered 1
		.amdhsa_forward_progress 0
		.amdhsa_shared_vgpr_count 0
		.amdhsa_exception_fp_ieee_invalid_op 0
		.amdhsa_exception_fp_denorm_src 0
		.amdhsa_exception_fp_ieee_div_zero 0
		.amdhsa_exception_fp_ieee_overflow 0
		.amdhsa_exception_fp_ieee_underflow 0
		.amdhsa_exception_fp_ieee_inexact 0
		.amdhsa_exception_int_div_zero 0
	.end_amdhsa_kernel
	.section	.text._ZN7rocprim17ROCPRIM_400000_NS6detail17trampoline_kernelINS0_14default_configENS1_29reduce_by_key_config_selectorIffN6thrust23THRUST_200600_302600_NS4plusIfEEEEZZNS1_33reduce_by_key_impl_wrapped_configILNS1_25lookback_scan_determinismE0ES3_S9_NS6_6detail15normal_iteratorINS6_10device_ptrIfEEEESG_SG_SG_PmS8_NS6_8equal_toIfEEEE10hipError_tPvRmT2_T3_mT4_T5_T6_T7_T8_P12ihipStream_tbENKUlT_T0_E_clISt17integral_constantIbLb0EES10_IbLb1EEEEDaSW_SX_EUlSW_E_NS1_11comp_targetILNS1_3genE9ELNS1_11target_archE1100ELNS1_3gpuE3ELNS1_3repE0EEENS1_30default_config_static_selectorELNS0_4arch9wavefront6targetE0EEEvT1_,"axG",@progbits,_ZN7rocprim17ROCPRIM_400000_NS6detail17trampoline_kernelINS0_14default_configENS1_29reduce_by_key_config_selectorIffN6thrust23THRUST_200600_302600_NS4plusIfEEEEZZNS1_33reduce_by_key_impl_wrapped_configILNS1_25lookback_scan_determinismE0ES3_S9_NS6_6detail15normal_iteratorINS6_10device_ptrIfEEEESG_SG_SG_PmS8_NS6_8equal_toIfEEEE10hipError_tPvRmT2_T3_mT4_T5_T6_T7_T8_P12ihipStream_tbENKUlT_T0_E_clISt17integral_constantIbLb0EES10_IbLb1EEEEDaSW_SX_EUlSW_E_NS1_11comp_targetILNS1_3genE9ELNS1_11target_archE1100ELNS1_3gpuE3ELNS1_3repE0EEENS1_30default_config_static_selectorELNS0_4arch9wavefront6targetE0EEEvT1_,comdat
.Lfunc_end198:
	.size	_ZN7rocprim17ROCPRIM_400000_NS6detail17trampoline_kernelINS0_14default_configENS1_29reduce_by_key_config_selectorIffN6thrust23THRUST_200600_302600_NS4plusIfEEEEZZNS1_33reduce_by_key_impl_wrapped_configILNS1_25lookback_scan_determinismE0ES3_S9_NS6_6detail15normal_iteratorINS6_10device_ptrIfEEEESG_SG_SG_PmS8_NS6_8equal_toIfEEEE10hipError_tPvRmT2_T3_mT4_T5_T6_T7_T8_P12ihipStream_tbENKUlT_T0_E_clISt17integral_constantIbLb0EES10_IbLb1EEEEDaSW_SX_EUlSW_E_NS1_11comp_targetILNS1_3genE9ELNS1_11target_archE1100ELNS1_3gpuE3ELNS1_3repE0EEENS1_30default_config_static_selectorELNS0_4arch9wavefront6targetE0EEEvT1_, .Lfunc_end198-_ZN7rocprim17ROCPRIM_400000_NS6detail17trampoline_kernelINS0_14default_configENS1_29reduce_by_key_config_selectorIffN6thrust23THRUST_200600_302600_NS4plusIfEEEEZZNS1_33reduce_by_key_impl_wrapped_configILNS1_25lookback_scan_determinismE0ES3_S9_NS6_6detail15normal_iteratorINS6_10device_ptrIfEEEESG_SG_SG_PmS8_NS6_8equal_toIfEEEE10hipError_tPvRmT2_T3_mT4_T5_T6_T7_T8_P12ihipStream_tbENKUlT_T0_E_clISt17integral_constantIbLb0EES10_IbLb1EEEEDaSW_SX_EUlSW_E_NS1_11comp_targetILNS1_3genE9ELNS1_11target_archE1100ELNS1_3gpuE3ELNS1_3repE0EEENS1_30default_config_static_selectorELNS0_4arch9wavefront6targetE0EEEvT1_
                                        ; -- End function
	.section	.AMDGPU.csdata,"",@progbits
; Kernel info:
; codeLenInByte = 17416
; NumSgprs: 46
; NumVgprs: 85
; ScratchSize: 0
; MemoryBound: 0
; FloatMode: 240
; IeeeMode: 1
; LDSByteSize: 15360 bytes/workgroup (compile time only)
; SGPRBlocks: 5
; VGPRBlocks: 10
; NumSGPRsForWavesPerEU: 46
; NumVGPRsForWavesPerEU: 85
; Occupancy: 16
; WaveLimiterHint : 1
; COMPUTE_PGM_RSRC2:SCRATCH_EN: 0
; COMPUTE_PGM_RSRC2:USER_SGPR: 15
; COMPUTE_PGM_RSRC2:TRAP_HANDLER: 0
; COMPUTE_PGM_RSRC2:TGID_X_EN: 1
; COMPUTE_PGM_RSRC2:TGID_Y_EN: 0
; COMPUTE_PGM_RSRC2:TGID_Z_EN: 0
; COMPUTE_PGM_RSRC2:TIDIG_COMP_CNT: 0
	.section	.text._ZN7rocprim17ROCPRIM_400000_NS6detail17trampoline_kernelINS0_14default_configENS1_29reduce_by_key_config_selectorIffN6thrust23THRUST_200600_302600_NS4plusIfEEEEZZNS1_33reduce_by_key_impl_wrapped_configILNS1_25lookback_scan_determinismE0ES3_S9_NS6_6detail15normal_iteratorINS6_10device_ptrIfEEEESG_SG_SG_PmS8_NS6_8equal_toIfEEEE10hipError_tPvRmT2_T3_mT4_T5_T6_T7_T8_P12ihipStream_tbENKUlT_T0_E_clISt17integral_constantIbLb0EES10_IbLb1EEEEDaSW_SX_EUlSW_E_NS1_11comp_targetILNS1_3genE8ELNS1_11target_archE1030ELNS1_3gpuE2ELNS1_3repE0EEENS1_30default_config_static_selectorELNS0_4arch9wavefront6targetE0EEEvT1_,"axG",@progbits,_ZN7rocprim17ROCPRIM_400000_NS6detail17trampoline_kernelINS0_14default_configENS1_29reduce_by_key_config_selectorIffN6thrust23THRUST_200600_302600_NS4plusIfEEEEZZNS1_33reduce_by_key_impl_wrapped_configILNS1_25lookback_scan_determinismE0ES3_S9_NS6_6detail15normal_iteratorINS6_10device_ptrIfEEEESG_SG_SG_PmS8_NS6_8equal_toIfEEEE10hipError_tPvRmT2_T3_mT4_T5_T6_T7_T8_P12ihipStream_tbENKUlT_T0_E_clISt17integral_constantIbLb0EES10_IbLb1EEEEDaSW_SX_EUlSW_E_NS1_11comp_targetILNS1_3genE8ELNS1_11target_archE1030ELNS1_3gpuE2ELNS1_3repE0EEENS1_30default_config_static_selectorELNS0_4arch9wavefront6targetE0EEEvT1_,comdat
	.protected	_ZN7rocprim17ROCPRIM_400000_NS6detail17trampoline_kernelINS0_14default_configENS1_29reduce_by_key_config_selectorIffN6thrust23THRUST_200600_302600_NS4plusIfEEEEZZNS1_33reduce_by_key_impl_wrapped_configILNS1_25lookback_scan_determinismE0ES3_S9_NS6_6detail15normal_iteratorINS6_10device_ptrIfEEEESG_SG_SG_PmS8_NS6_8equal_toIfEEEE10hipError_tPvRmT2_T3_mT4_T5_T6_T7_T8_P12ihipStream_tbENKUlT_T0_E_clISt17integral_constantIbLb0EES10_IbLb1EEEEDaSW_SX_EUlSW_E_NS1_11comp_targetILNS1_3genE8ELNS1_11target_archE1030ELNS1_3gpuE2ELNS1_3repE0EEENS1_30default_config_static_selectorELNS0_4arch9wavefront6targetE0EEEvT1_ ; -- Begin function _ZN7rocprim17ROCPRIM_400000_NS6detail17trampoline_kernelINS0_14default_configENS1_29reduce_by_key_config_selectorIffN6thrust23THRUST_200600_302600_NS4plusIfEEEEZZNS1_33reduce_by_key_impl_wrapped_configILNS1_25lookback_scan_determinismE0ES3_S9_NS6_6detail15normal_iteratorINS6_10device_ptrIfEEEESG_SG_SG_PmS8_NS6_8equal_toIfEEEE10hipError_tPvRmT2_T3_mT4_T5_T6_T7_T8_P12ihipStream_tbENKUlT_T0_E_clISt17integral_constantIbLb0EES10_IbLb1EEEEDaSW_SX_EUlSW_E_NS1_11comp_targetILNS1_3genE8ELNS1_11target_archE1030ELNS1_3gpuE2ELNS1_3repE0EEENS1_30default_config_static_selectorELNS0_4arch9wavefront6targetE0EEEvT1_
	.globl	_ZN7rocprim17ROCPRIM_400000_NS6detail17trampoline_kernelINS0_14default_configENS1_29reduce_by_key_config_selectorIffN6thrust23THRUST_200600_302600_NS4plusIfEEEEZZNS1_33reduce_by_key_impl_wrapped_configILNS1_25lookback_scan_determinismE0ES3_S9_NS6_6detail15normal_iteratorINS6_10device_ptrIfEEEESG_SG_SG_PmS8_NS6_8equal_toIfEEEE10hipError_tPvRmT2_T3_mT4_T5_T6_T7_T8_P12ihipStream_tbENKUlT_T0_E_clISt17integral_constantIbLb0EES10_IbLb1EEEEDaSW_SX_EUlSW_E_NS1_11comp_targetILNS1_3genE8ELNS1_11target_archE1030ELNS1_3gpuE2ELNS1_3repE0EEENS1_30default_config_static_selectorELNS0_4arch9wavefront6targetE0EEEvT1_
	.p2align	8
	.type	_ZN7rocprim17ROCPRIM_400000_NS6detail17trampoline_kernelINS0_14default_configENS1_29reduce_by_key_config_selectorIffN6thrust23THRUST_200600_302600_NS4plusIfEEEEZZNS1_33reduce_by_key_impl_wrapped_configILNS1_25lookback_scan_determinismE0ES3_S9_NS6_6detail15normal_iteratorINS6_10device_ptrIfEEEESG_SG_SG_PmS8_NS6_8equal_toIfEEEE10hipError_tPvRmT2_T3_mT4_T5_T6_T7_T8_P12ihipStream_tbENKUlT_T0_E_clISt17integral_constantIbLb0EES10_IbLb1EEEEDaSW_SX_EUlSW_E_NS1_11comp_targetILNS1_3genE8ELNS1_11target_archE1030ELNS1_3gpuE2ELNS1_3repE0EEENS1_30default_config_static_selectorELNS0_4arch9wavefront6targetE0EEEvT1_,@function
_ZN7rocprim17ROCPRIM_400000_NS6detail17trampoline_kernelINS0_14default_configENS1_29reduce_by_key_config_selectorIffN6thrust23THRUST_200600_302600_NS4plusIfEEEEZZNS1_33reduce_by_key_impl_wrapped_configILNS1_25lookback_scan_determinismE0ES3_S9_NS6_6detail15normal_iteratorINS6_10device_ptrIfEEEESG_SG_SG_PmS8_NS6_8equal_toIfEEEE10hipError_tPvRmT2_T3_mT4_T5_T6_T7_T8_P12ihipStream_tbENKUlT_T0_E_clISt17integral_constantIbLb0EES10_IbLb1EEEEDaSW_SX_EUlSW_E_NS1_11comp_targetILNS1_3genE8ELNS1_11target_archE1030ELNS1_3gpuE2ELNS1_3repE0EEENS1_30default_config_static_selectorELNS0_4arch9wavefront6targetE0EEEvT1_: ; @_ZN7rocprim17ROCPRIM_400000_NS6detail17trampoline_kernelINS0_14default_configENS1_29reduce_by_key_config_selectorIffN6thrust23THRUST_200600_302600_NS4plusIfEEEEZZNS1_33reduce_by_key_impl_wrapped_configILNS1_25lookback_scan_determinismE0ES3_S9_NS6_6detail15normal_iteratorINS6_10device_ptrIfEEEESG_SG_SG_PmS8_NS6_8equal_toIfEEEE10hipError_tPvRmT2_T3_mT4_T5_T6_T7_T8_P12ihipStream_tbENKUlT_T0_E_clISt17integral_constantIbLb0EES10_IbLb1EEEEDaSW_SX_EUlSW_E_NS1_11comp_targetILNS1_3genE8ELNS1_11target_archE1030ELNS1_3gpuE2ELNS1_3repE0EEENS1_30default_config_static_selectorELNS0_4arch9wavefront6targetE0EEEvT1_
; %bb.0:
	.section	.rodata,"a",@progbits
	.p2align	6, 0x0
	.amdhsa_kernel _ZN7rocprim17ROCPRIM_400000_NS6detail17trampoline_kernelINS0_14default_configENS1_29reduce_by_key_config_selectorIffN6thrust23THRUST_200600_302600_NS4plusIfEEEEZZNS1_33reduce_by_key_impl_wrapped_configILNS1_25lookback_scan_determinismE0ES3_S9_NS6_6detail15normal_iteratorINS6_10device_ptrIfEEEESG_SG_SG_PmS8_NS6_8equal_toIfEEEE10hipError_tPvRmT2_T3_mT4_T5_T6_T7_T8_P12ihipStream_tbENKUlT_T0_E_clISt17integral_constantIbLb0EES10_IbLb1EEEEDaSW_SX_EUlSW_E_NS1_11comp_targetILNS1_3genE8ELNS1_11target_archE1030ELNS1_3gpuE2ELNS1_3repE0EEENS1_30default_config_static_selectorELNS0_4arch9wavefront6targetE0EEEvT1_
		.amdhsa_group_segment_fixed_size 0
		.amdhsa_private_segment_fixed_size 0
		.amdhsa_kernarg_size 120
		.amdhsa_user_sgpr_count 15
		.amdhsa_user_sgpr_dispatch_ptr 0
		.amdhsa_user_sgpr_queue_ptr 0
		.amdhsa_user_sgpr_kernarg_segment_ptr 1
		.amdhsa_user_sgpr_dispatch_id 0
		.amdhsa_user_sgpr_private_segment_size 0
		.amdhsa_wavefront_size32 1
		.amdhsa_uses_dynamic_stack 0
		.amdhsa_enable_private_segment 0
		.amdhsa_system_sgpr_workgroup_id_x 1
		.amdhsa_system_sgpr_workgroup_id_y 0
		.amdhsa_system_sgpr_workgroup_id_z 0
		.amdhsa_system_sgpr_workgroup_info 0
		.amdhsa_system_vgpr_workitem_id 0
		.amdhsa_next_free_vgpr 1
		.amdhsa_next_free_sgpr 1
		.amdhsa_reserve_vcc 0
		.amdhsa_float_round_mode_32 0
		.amdhsa_float_round_mode_16_64 0
		.amdhsa_float_denorm_mode_32 3
		.amdhsa_float_denorm_mode_16_64 3
		.amdhsa_dx10_clamp 1
		.amdhsa_ieee_mode 1
		.amdhsa_fp16_overflow 0
		.amdhsa_workgroup_processor_mode 1
		.amdhsa_memory_ordered 1
		.amdhsa_forward_progress 0
		.amdhsa_shared_vgpr_count 0
		.amdhsa_exception_fp_ieee_invalid_op 0
		.amdhsa_exception_fp_denorm_src 0
		.amdhsa_exception_fp_ieee_div_zero 0
		.amdhsa_exception_fp_ieee_overflow 0
		.amdhsa_exception_fp_ieee_underflow 0
		.amdhsa_exception_fp_ieee_inexact 0
		.amdhsa_exception_int_div_zero 0
	.end_amdhsa_kernel
	.section	.text._ZN7rocprim17ROCPRIM_400000_NS6detail17trampoline_kernelINS0_14default_configENS1_29reduce_by_key_config_selectorIffN6thrust23THRUST_200600_302600_NS4plusIfEEEEZZNS1_33reduce_by_key_impl_wrapped_configILNS1_25lookback_scan_determinismE0ES3_S9_NS6_6detail15normal_iteratorINS6_10device_ptrIfEEEESG_SG_SG_PmS8_NS6_8equal_toIfEEEE10hipError_tPvRmT2_T3_mT4_T5_T6_T7_T8_P12ihipStream_tbENKUlT_T0_E_clISt17integral_constantIbLb0EES10_IbLb1EEEEDaSW_SX_EUlSW_E_NS1_11comp_targetILNS1_3genE8ELNS1_11target_archE1030ELNS1_3gpuE2ELNS1_3repE0EEENS1_30default_config_static_selectorELNS0_4arch9wavefront6targetE0EEEvT1_,"axG",@progbits,_ZN7rocprim17ROCPRIM_400000_NS6detail17trampoline_kernelINS0_14default_configENS1_29reduce_by_key_config_selectorIffN6thrust23THRUST_200600_302600_NS4plusIfEEEEZZNS1_33reduce_by_key_impl_wrapped_configILNS1_25lookback_scan_determinismE0ES3_S9_NS6_6detail15normal_iteratorINS6_10device_ptrIfEEEESG_SG_SG_PmS8_NS6_8equal_toIfEEEE10hipError_tPvRmT2_T3_mT4_T5_T6_T7_T8_P12ihipStream_tbENKUlT_T0_E_clISt17integral_constantIbLb0EES10_IbLb1EEEEDaSW_SX_EUlSW_E_NS1_11comp_targetILNS1_3genE8ELNS1_11target_archE1030ELNS1_3gpuE2ELNS1_3repE0EEENS1_30default_config_static_selectorELNS0_4arch9wavefront6targetE0EEEvT1_,comdat
.Lfunc_end199:
	.size	_ZN7rocprim17ROCPRIM_400000_NS6detail17trampoline_kernelINS0_14default_configENS1_29reduce_by_key_config_selectorIffN6thrust23THRUST_200600_302600_NS4plusIfEEEEZZNS1_33reduce_by_key_impl_wrapped_configILNS1_25lookback_scan_determinismE0ES3_S9_NS6_6detail15normal_iteratorINS6_10device_ptrIfEEEESG_SG_SG_PmS8_NS6_8equal_toIfEEEE10hipError_tPvRmT2_T3_mT4_T5_T6_T7_T8_P12ihipStream_tbENKUlT_T0_E_clISt17integral_constantIbLb0EES10_IbLb1EEEEDaSW_SX_EUlSW_E_NS1_11comp_targetILNS1_3genE8ELNS1_11target_archE1030ELNS1_3gpuE2ELNS1_3repE0EEENS1_30default_config_static_selectorELNS0_4arch9wavefront6targetE0EEEvT1_, .Lfunc_end199-_ZN7rocprim17ROCPRIM_400000_NS6detail17trampoline_kernelINS0_14default_configENS1_29reduce_by_key_config_selectorIffN6thrust23THRUST_200600_302600_NS4plusIfEEEEZZNS1_33reduce_by_key_impl_wrapped_configILNS1_25lookback_scan_determinismE0ES3_S9_NS6_6detail15normal_iteratorINS6_10device_ptrIfEEEESG_SG_SG_PmS8_NS6_8equal_toIfEEEE10hipError_tPvRmT2_T3_mT4_T5_T6_T7_T8_P12ihipStream_tbENKUlT_T0_E_clISt17integral_constantIbLb0EES10_IbLb1EEEEDaSW_SX_EUlSW_E_NS1_11comp_targetILNS1_3genE8ELNS1_11target_archE1030ELNS1_3gpuE2ELNS1_3repE0EEENS1_30default_config_static_selectorELNS0_4arch9wavefront6targetE0EEEvT1_
                                        ; -- End function
	.section	.AMDGPU.csdata,"",@progbits
; Kernel info:
; codeLenInByte = 0
; NumSgprs: 0
; NumVgprs: 0
; ScratchSize: 0
; MemoryBound: 0
; FloatMode: 240
; IeeeMode: 1
; LDSByteSize: 0 bytes/workgroup (compile time only)
; SGPRBlocks: 0
; VGPRBlocks: 0
; NumSGPRsForWavesPerEU: 1
; NumVGPRsForWavesPerEU: 1
; Occupancy: 16
; WaveLimiterHint : 0
; COMPUTE_PGM_RSRC2:SCRATCH_EN: 0
; COMPUTE_PGM_RSRC2:USER_SGPR: 15
; COMPUTE_PGM_RSRC2:TRAP_HANDLER: 0
; COMPUTE_PGM_RSRC2:TGID_X_EN: 1
; COMPUTE_PGM_RSRC2:TGID_Y_EN: 0
; COMPUTE_PGM_RSRC2:TGID_Z_EN: 0
; COMPUTE_PGM_RSRC2:TIDIG_COMP_CNT: 0
	.section	.text._ZN7rocprim17ROCPRIM_400000_NS6detail17trampoline_kernelINS0_14default_configENS1_29reduce_by_key_config_selectorIffN6thrust23THRUST_200600_302600_NS4plusIfEEEEZZNS1_33reduce_by_key_impl_wrapped_configILNS1_25lookback_scan_determinismE0ES3_S9_NS6_6detail15normal_iteratorINS6_10device_ptrIfEEEESG_SG_SG_PmS8_22is_equal_div_10_reduceIfEEE10hipError_tPvRmT2_T3_mT4_T5_T6_T7_T8_P12ihipStream_tbENKUlT_T0_E_clISt17integral_constantIbLb0EES11_EEDaSW_SX_EUlSW_E_NS1_11comp_targetILNS1_3genE0ELNS1_11target_archE4294967295ELNS1_3gpuE0ELNS1_3repE0EEENS1_30default_config_static_selectorELNS0_4arch9wavefront6targetE0EEEvT1_,"axG",@progbits,_ZN7rocprim17ROCPRIM_400000_NS6detail17trampoline_kernelINS0_14default_configENS1_29reduce_by_key_config_selectorIffN6thrust23THRUST_200600_302600_NS4plusIfEEEEZZNS1_33reduce_by_key_impl_wrapped_configILNS1_25lookback_scan_determinismE0ES3_S9_NS6_6detail15normal_iteratorINS6_10device_ptrIfEEEESG_SG_SG_PmS8_22is_equal_div_10_reduceIfEEE10hipError_tPvRmT2_T3_mT4_T5_T6_T7_T8_P12ihipStream_tbENKUlT_T0_E_clISt17integral_constantIbLb0EES11_EEDaSW_SX_EUlSW_E_NS1_11comp_targetILNS1_3genE0ELNS1_11target_archE4294967295ELNS1_3gpuE0ELNS1_3repE0EEENS1_30default_config_static_selectorELNS0_4arch9wavefront6targetE0EEEvT1_,comdat
	.protected	_ZN7rocprim17ROCPRIM_400000_NS6detail17trampoline_kernelINS0_14default_configENS1_29reduce_by_key_config_selectorIffN6thrust23THRUST_200600_302600_NS4plusIfEEEEZZNS1_33reduce_by_key_impl_wrapped_configILNS1_25lookback_scan_determinismE0ES3_S9_NS6_6detail15normal_iteratorINS6_10device_ptrIfEEEESG_SG_SG_PmS8_22is_equal_div_10_reduceIfEEE10hipError_tPvRmT2_T3_mT4_T5_T6_T7_T8_P12ihipStream_tbENKUlT_T0_E_clISt17integral_constantIbLb0EES11_EEDaSW_SX_EUlSW_E_NS1_11comp_targetILNS1_3genE0ELNS1_11target_archE4294967295ELNS1_3gpuE0ELNS1_3repE0EEENS1_30default_config_static_selectorELNS0_4arch9wavefront6targetE0EEEvT1_ ; -- Begin function _ZN7rocprim17ROCPRIM_400000_NS6detail17trampoline_kernelINS0_14default_configENS1_29reduce_by_key_config_selectorIffN6thrust23THRUST_200600_302600_NS4plusIfEEEEZZNS1_33reduce_by_key_impl_wrapped_configILNS1_25lookback_scan_determinismE0ES3_S9_NS6_6detail15normal_iteratorINS6_10device_ptrIfEEEESG_SG_SG_PmS8_22is_equal_div_10_reduceIfEEE10hipError_tPvRmT2_T3_mT4_T5_T6_T7_T8_P12ihipStream_tbENKUlT_T0_E_clISt17integral_constantIbLb0EES11_EEDaSW_SX_EUlSW_E_NS1_11comp_targetILNS1_3genE0ELNS1_11target_archE4294967295ELNS1_3gpuE0ELNS1_3repE0EEENS1_30default_config_static_selectorELNS0_4arch9wavefront6targetE0EEEvT1_
	.globl	_ZN7rocprim17ROCPRIM_400000_NS6detail17trampoline_kernelINS0_14default_configENS1_29reduce_by_key_config_selectorIffN6thrust23THRUST_200600_302600_NS4plusIfEEEEZZNS1_33reduce_by_key_impl_wrapped_configILNS1_25lookback_scan_determinismE0ES3_S9_NS6_6detail15normal_iteratorINS6_10device_ptrIfEEEESG_SG_SG_PmS8_22is_equal_div_10_reduceIfEEE10hipError_tPvRmT2_T3_mT4_T5_T6_T7_T8_P12ihipStream_tbENKUlT_T0_E_clISt17integral_constantIbLb0EES11_EEDaSW_SX_EUlSW_E_NS1_11comp_targetILNS1_3genE0ELNS1_11target_archE4294967295ELNS1_3gpuE0ELNS1_3repE0EEENS1_30default_config_static_selectorELNS0_4arch9wavefront6targetE0EEEvT1_
	.p2align	8
	.type	_ZN7rocprim17ROCPRIM_400000_NS6detail17trampoline_kernelINS0_14default_configENS1_29reduce_by_key_config_selectorIffN6thrust23THRUST_200600_302600_NS4plusIfEEEEZZNS1_33reduce_by_key_impl_wrapped_configILNS1_25lookback_scan_determinismE0ES3_S9_NS6_6detail15normal_iteratorINS6_10device_ptrIfEEEESG_SG_SG_PmS8_22is_equal_div_10_reduceIfEEE10hipError_tPvRmT2_T3_mT4_T5_T6_T7_T8_P12ihipStream_tbENKUlT_T0_E_clISt17integral_constantIbLb0EES11_EEDaSW_SX_EUlSW_E_NS1_11comp_targetILNS1_3genE0ELNS1_11target_archE4294967295ELNS1_3gpuE0ELNS1_3repE0EEENS1_30default_config_static_selectorELNS0_4arch9wavefront6targetE0EEEvT1_,@function
_ZN7rocprim17ROCPRIM_400000_NS6detail17trampoline_kernelINS0_14default_configENS1_29reduce_by_key_config_selectorIffN6thrust23THRUST_200600_302600_NS4plusIfEEEEZZNS1_33reduce_by_key_impl_wrapped_configILNS1_25lookback_scan_determinismE0ES3_S9_NS6_6detail15normal_iteratorINS6_10device_ptrIfEEEESG_SG_SG_PmS8_22is_equal_div_10_reduceIfEEE10hipError_tPvRmT2_T3_mT4_T5_T6_T7_T8_P12ihipStream_tbENKUlT_T0_E_clISt17integral_constantIbLb0EES11_EEDaSW_SX_EUlSW_E_NS1_11comp_targetILNS1_3genE0ELNS1_11target_archE4294967295ELNS1_3gpuE0ELNS1_3repE0EEENS1_30default_config_static_selectorELNS0_4arch9wavefront6targetE0EEEvT1_: ; @_ZN7rocprim17ROCPRIM_400000_NS6detail17trampoline_kernelINS0_14default_configENS1_29reduce_by_key_config_selectorIffN6thrust23THRUST_200600_302600_NS4plusIfEEEEZZNS1_33reduce_by_key_impl_wrapped_configILNS1_25lookback_scan_determinismE0ES3_S9_NS6_6detail15normal_iteratorINS6_10device_ptrIfEEEESG_SG_SG_PmS8_22is_equal_div_10_reduceIfEEE10hipError_tPvRmT2_T3_mT4_T5_T6_T7_T8_P12ihipStream_tbENKUlT_T0_E_clISt17integral_constantIbLb0EES11_EEDaSW_SX_EUlSW_E_NS1_11comp_targetILNS1_3genE0ELNS1_11target_archE4294967295ELNS1_3gpuE0ELNS1_3repE0EEENS1_30default_config_static_selectorELNS0_4arch9wavefront6targetE0EEEvT1_
; %bb.0:
	.section	.rodata,"a",@progbits
	.p2align	6, 0x0
	.amdhsa_kernel _ZN7rocprim17ROCPRIM_400000_NS6detail17trampoline_kernelINS0_14default_configENS1_29reduce_by_key_config_selectorIffN6thrust23THRUST_200600_302600_NS4plusIfEEEEZZNS1_33reduce_by_key_impl_wrapped_configILNS1_25lookback_scan_determinismE0ES3_S9_NS6_6detail15normal_iteratorINS6_10device_ptrIfEEEESG_SG_SG_PmS8_22is_equal_div_10_reduceIfEEE10hipError_tPvRmT2_T3_mT4_T5_T6_T7_T8_P12ihipStream_tbENKUlT_T0_E_clISt17integral_constantIbLb0EES11_EEDaSW_SX_EUlSW_E_NS1_11comp_targetILNS1_3genE0ELNS1_11target_archE4294967295ELNS1_3gpuE0ELNS1_3repE0EEENS1_30default_config_static_selectorELNS0_4arch9wavefront6targetE0EEEvT1_
		.amdhsa_group_segment_fixed_size 0
		.amdhsa_private_segment_fixed_size 0
		.amdhsa_kernarg_size 120
		.amdhsa_user_sgpr_count 15
		.amdhsa_user_sgpr_dispatch_ptr 0
		.amdhsa_user_sgpr_queue_ptr 0
		.amdhsa_user_sgpr_kernarg_segment_ptr 1
		.amdhsa_user_sgpr_dispatch_id 0
		.amdhsa_user_sgpr_private_segment_size 0
		.amdhsa_wavefront_size32 1
		.amdhsa_uses_dynamic_stack 0
		.amdhsa_enable_private_segment 0
		.amdhsa_system_sgpr_workgroup_id_x 1
		.amdhsa_system_sgpr_workgroup_id_y 0
		.amdhsa_system_sgpr_workgroup_id_z 0
		.amdhsa_system_sgpr_workgroup_info 0
		.amdhsa_system_vgpr_workitem_id 0
		.amdhsa_next_free_vgpr 1
		.amdhsa_next_free_sgpr 1
		.amdhsa_reserve_vcc 0
		.amdhsa_float_round_mode_32 0
		.amdhsa_float_round_mode_16_64 0
		.amdhsa_float_denorm_mode_32 3
		.amdhsa_float_denorm_mode_16_64 3
		.amdhsa_dx10_clamp 1
		.amdhsa_ieee_mode 1
		.amdhsa_fp16_overflow 0
		.amdhsa_workgroup_processor_mode 1
		.amdhsa_memory_ordered 1
		.amdhsa_forward_progress 0
		.amdhsa_shared_vgpr_count 0
		.amdhsa_exception_fp_ieee_invalid_op 0
		.amdhsa_exception_fp_denorm_src 0
		.amdhsa_exception_fp_ieee_div_zero 0
		.amdhsa_exception_fp_ieee_overflow 0
		.amdhsa_exception_fp_ieee_underflow 0
		.amdhsa_exception_fp_ieee_inexact 0
		.amdhsa_exception_int_div_zero 0
	.end_amdhsa_kernel
	.section	.text._ZN7rocprim17ROCPRIM_400000_NS6detail17trampoline_kernelINS0_14default_configENS1_29reduce_by_key_config_selectorIffN6thrust23THRUST_200600_302600_NS4plusIfEEEEZZNS1_33reduce_by_key_impl_wrapped_configILNS1_25lookback_scan_determinismE0ES3_S9_NS6_6detail15normal_iteratorINS6_10device_ptrIfEEEESG_SG_SG_PmS8_22is_equal_div_10_reduceIfEEE10hipError_tPvRmT2_T3_mT4_T5_T6_T7_T8_P12ihipStream_tbENKUlT_T0_E_clISt17integral_constantIbLb0EES11_EEDaSW_SX_EUlSW_E_NS1_11comp_targetILNS1_3genE0ELNS1_11target_archE4294967295ELNS1_3gpuE0ELNS1_3repE0EEENS1_30default_config_static_selectorELNS0_4arch9wavefront6targetE0EEEvT1_,"axG",@progbits,_ZN7rocprim17ROCPRIM_400000_NS6detail17trampoline_kernelINS0_14default_configENS1_29reduce_by_key_config_selectorIffN6thrust23THRUST_200600_302600_NS4plusIfEEEEZZNS1_33reduce_by_key_impl_wrapped_configILNS1_25lookback_scan_determinismE0ES3_S9_NS6_6detail15normal_iteratorINS6_10device_ptrIfEEEESG_SG_SG_PmS8_22is_equal_div_10_reduceIfEEE10hipError_tPvRmT2_T3_mT4_T5_T6_T7_T8_P12ihipStream_tbENKUlT_T0_E_clISt17integral_constantIbLb0EES11_EEDaSW_SX_EUlSW_E_NS1_11comp_targetILNS1_3genE0ELNS1_11target_archE4294967295ELNS1_3gpuE0ELNS1_3repE0EEENS1_30default_config_static_selectorELNS0_4arch9wavefront6targetE0EEEvT1_,comdat
.Lfunc_end200:
	.size	_ZN7rocprim17ROCPRIM_400000_NS6detail17trampoline_kernelINS0_14default_configENS1_29reduce_by_key_config_selectorIffN6thrust23THRUST_200600_302600_NS4plusIfEEEEZZNS1_33reduce_by_key_impl_wrapped_configILNS1_25lookback_scan_determinismE0ES3_S9_NS6_6detail15normal_iteratorINS6_10device_ptrIfEEEESG_SG_SG_PmS8_22is_equal_div_10_reduceIfEEE10hipError_tPvRmT2_T3_mT4_T5_T6_T7_T8_P12ihipStream_tbENKUlT_T0_E_clISt17integral_constantIbLb0EES11_EEDaSW_SX_EUlSW_E_NS1_11comp_targetILNS1_3genE0ELNS1_11target_archE4294967295ELNS1_3gpuE0ELNS1_3repE0EEENS1_30default_config_static_selectorELNS0_4arch9wavefront6targetE0EEEvT1_, .Lfunc_end200-_ZN7rocprim17ROCPRIM_400000_NS6detail17trampoline_kernelINS0_14default_configENS1_29reduce_by_key_config_selectorIffN6thrust23THRUST_200600_302600_NS4plusIfEEEEZZNS1_33reduce_by_key_impl_wrapped_configILNS1_25lookback_scan_determinismE0ES3_S9_NS6_6detail15normal_iteratorINS6_10device_ptrIfEEEESG_SG_SG_PmS8_22is_equal_div_10_reduceIfEEE10hipError_tPvRmT2_T3_mT4_T5_T6_T7_T8_P12ihipStream_tbENKUlT_T0_E_clISt17integral_constantIbLb0EES11_EEDaSW_SX_EUlSW_E_NS1_11comp_targetILNS1_3genE0ELNS1_11target_archE4294967295ELNS1_3gpuE0ELNS1_3repE0EEENS1_30default_config_static_selectorELNS0_4arch9wavefront6targetE0EEEvT1_
                                        ; -- End function
	.section	.AMDGPU.csdata,"",@progbits
; Kernel info:
; codeLenInByte = 0
; NumSgprs: 0
; NumVgprs: 0
; ScratchSize: 0
; MemoryBound: 0
; FloatMode: 240
; IeeeMode: 1
; LDSByteSize: 0 bytes/workgroup (compile time only)
; SGPRBlocks: 0
; VGPRBlocks: 0
; NumSGPRsForWavesPerEU: 1
; NumVGPRsForWavesPerEU: 1
; Occupancy: 16
; WaveLimiterHint : 0
; COMPUTE_PGM_RSRC2:SCRATCH_EN: 0
; COMPUTE_PGM_RSRC2:USER_SGPR: 15
; COMPUTE_PGM_RSRC2:TRAP_HANDLER: 0
; COMPUTE_PGM_RSRC2:TGID_X_EN: 1
; COMPUTE_PGM_RSRC2:TGID_Y_EN: 0
; COMPUTE_PGM_RSRC2:TGID_Z_EN: 0
; COMPUTE_PGM_RSRC2:TIDIG_COMP_CNT: 0
	.section	.text._ZN7rocprim17ROCPRIM_400000_NS6detail17trampoline_kernelINS0_14default_configENS1_29reduce_by_key_config_selectorIffN6thrust23THRUST_200600_302600_NS4plusIfEEEEZZNS1_33reduce_by_key_impl_wrapped_configILNS1_25lookback_scan_determinismE0ES3_S9_NS6_6detail15normal_iteratorINS6_10device_ptrIfEEEESG_SG_SG_PmS8_22is_equal_div_10_reduceIfEEE10hipError_tPvRmT2_T3_mT4_T5_T6_T7_T8_P12ihipStream_tbENKUlT_T0_E_clISt17integral_constantIbLb0EES11_EEDaSW_SX_EUlSW_E_NS1_11comp_targetILNS1_3genE5ELNS1_11target_archE942ELNS1_3gpuE9ELNS1_3repE0EEENS1_30default_config_static_selectorELNS0_4arch9wavefront6targetE0EEEvT1_,"axG",@progbits,_ZN7rocprim17ROCPRIM_400000_NS6detail17trampoline_kernelINS0_14default_configENS1_29reduce_by_key_config_selectorIffN6thrust23THRUST_200600_302600_NS4plusIfEEEEZZNS1_33reduce_by_key_impl_wrapped_configILNS1_25lookback_scan_determinismE0ES3_S9_NS6_6detail15normal_iteratorINS6_10device_ptrIfEEEESG_SG_SG_PmS8_22is_equal_div_10_reduceIfEEE10hipError_tPvRmT2_T3_mT4_T5_T6_T7_T8_P12ihipStream_tbENKUlT_T0_E_clISt17integral_constantIbLb0EES11_EEDaSW_SX_EUlSW_E_NS1_11comp_targetILNS1_3genE5ELNS1_11target_archE942ELNS1_3gpuE9ELNS1_3repE0EEENS1_30default_config_static_selectorELNS0_4arch9wavefront6targetE0EEEvT1_,comdat
	.protected	_ZN7rocprim17ROCPRIM_400000_NS6detail17trampoline_kernelINS0_14default_configENS1_29reduce_by_key_config_selectorIffN6thrust23THRUST_200600_302600_NS4plusIfEEEEZZNS1_33reduce_by_key_impl_wrapped_configILNS1_25lookback_scan_determinismE0ES3_S9_NS6_6detail15normal_iteratorINS6_10device_ptrIfEEEESG_SG_SG_PmS8_22is_equal_div_10_reduceIfEEE10hipError_tPvRmT2_T3_mT4_T5_T6_T7_T8_P12ihipStream_tbENKUlT_T0_E_clISt17integral_constantIbLb0EES11_EEDaSW_SX_EUlSW_E_NS1_11comp_targetILNS1_3genE5ELNS1_11target_archE942ELNS1_3gpuE9ELNS1_3repE0EEENS1_30default_config_static_selectorELNS0_4arch9wavefront6targetE0EEEvT1_ ; -- Begin function _ZN7rocprim17ROCPRIM_400000_NS6detail17trampoline_kernelINS0_14default_configENS1_29reduce_by_key_config_selectorIffN6thrust23THRUST_200600_302600_NS4plusIfEEEEZZNS1_33reduce_by_key_impl_wrapped_configILNS1_25lookback_scan_determinismE0ES3_S9_NS6_6detail15normal_iteratorINS6_10device_ptrIfEEEESG_SG_SG_PmS8_22is_equal_div_10_reduceIfEEE10hipError_tPvRmT2_T3_mT4_T5_T6_T7_T8_P12ihipStream_tbENKUlT_T0_E_clISt17integral_constantIbLb0EES11_EEDaSW_SX_EUlSW_E_NS1_11comp_targetILNS1_3genE5ELNS1_11target_archE942ELNS1_3gpuE9ELNS1_3repE0EEENS1_30default_config_static_selectorELNS0_4arch9wavefront6targetE0EEEvT1_
	.globl	_ZN7rocprim17ROCPRIM_400000_NS6detail17trampoline_kernelINS0_14default_configENS1_29reduce_by_key_config_selectorIffN6thrust23THRUST_200600_302600_NS4plusIfEEEEZZNS1_33reduce_by_key_impl_wrapped_configILNS1_25lookback_scan_determinismE0ES3_S9_NS6_6detail15normal_iteratorINS6_10device_ptrIfEEEESG_SG_SG_PmS8_22is_equal_div_10_reduceIfEEE10hipError_tPvRmT2_T3_mT4_T5_T6_T7_T8_P12ihipStream_tbENKUlT_T0_E_clISt17integral_constantIbLb0EES11_EEDaSW_SX_EUlSW_E_NS1_11comp_targetILNS1_3genE5ELNS1_11target_archE942ELNS1_3gpuE9ELNS1_3repE0EEENS1_30default_config_static_selectorELNS0_4arch9wavefront6targetE0EEEvT1_
	.p2align	8
	.type	_ZN7rocprim17ROCPRIM_400000_NS6detail17trampoline_kernelINS0_14default_configENS1_29reduce_by_key_config_selectorIffN6thrust23THRUST_200600_302600_NS4plusIfEEEEZZNS1_33reduce_by_key_impl_wrapped_configILNS1_25lookback_scan_determinismE0ES3_S9_NS6_6detail15normal_iteratorINS6_10device_ptrIfEEEESG_SG_SG_PmS8_22is_equal_div_10_reduceIfEEE10hipError_tPvRmT2_T3_mT4_T5_T6_T7_T8_P12ihipStream_tbENKUlT_T0_E_clISt17integral_constantIbLb0EES11_EEDaSW_SX_EUlSW_E_NS1_11comp_targetILNS1_3genE5ELNS1_11target_archE942ELNS1_3gpuE9ELNS1_3repE0EEENS1_30default_config_static_selectorELNS0_4arch9wavefront6targetE0EEEvT1_,@function
_ZN7rocprim17ROCPRIM_400000_NS6detail17trampoline_kernelINS0_14default_configENS1_29reduce_by_key_config_selectorIffN6thrust23THRUST_200600_302600_NS4plusIfEEEEZZNS1_33reduce_by_key_impl_wrapped_configILNS1_25lookback_scan_determinismE0ES3_S9_NS6_6detail15normal_iteratorINS6_10device_ptrIfEEEESG_SG_SG_PmS8_22is_equal_div_10_reduceIfEEE10hipError_tPvRmT2_T3_mT4_T5_T6_T7_T8_P12ihipStream_tbENKUlT_T0_E_clISt17integral_constantIbLb0EES11_EEDaSW_SX_EUlSW_E_NS1_11comp_targetILNS1_3genE5ELNS1_11target_archE942ELNS1_3gpuE9ELNS1_3repE0EEENS1_30default_config_static_selectorELNS0_4arch9wavefront6targetE0EEEvT1_: ; @_ZN7rocprim17ROCPRIM_400000_NS6detail17trampoline_kernelINS0_14default_configENS1_29reduce_by_key_config_selectorIffN6thrust23THRUST_200600_302600_NS4plusIfEEEEZZNS1_33reduce_by_key_impl_wrapped_configILNS1_25lookback_scan_determinismE0ES3_S9_NS6_6detail15normal_iteratorINS6_10device_ptrIfEEEESG_SG_SG_PmS8_22is_equal_div_10_reduceIfEEE10hipError_tPvRmT2_T3_mT4_T5_T6_T7_T8_P12ihipStream_tbENKUlT_T0_E_clISt17integral_constantIbLb0EES11_EEDaSW_SX_EUlSW_E_NS1_11comp_targetILNS1_3genE5ELNS1_11target_archE942ELNS1_3gpuE9ELNS1_3repE0EEENS1_30default_config_static_selectorELNS0_4arch9wavefront6targetE0EEEvT1_
; %bb.0:
	.section	.rodata,"a",@progbits
	.p2align	6, 0x0
	.amdhsa_kernel _ZN7rocprim17ROCPRIM_400000_NS6detail17trampoline_kernelINS0_14default_configENS1_29reduce_by_key_config_selectorIffN6thrust23THRUST_200600_302600_NS4plusIfEEEEZZNS1_33reduce_by_key_impl_wrapped_configILNS1_25lookback_scan_determinismE0ES3_S9_NS6_6detail15normal_iteratorINS6_10device_ptrIfEEEESG_SG_SG_PmS8_22is_equal_div_10_reduceIfEEE10hipError_tPvRmT2_T3_mT4_T5_T6_T7_T8_P12ihipStream_tbENKUlT_T0_E_clISt17integral_constantIbLb0EES11_EEDaSW_SX_EUlSW_E_NS1_11comp_targetILNS1_3genE5ELNS1_11target_archE942ELNS1_3gpuE9ELNS1_3repE0EEENS1_30default_config_static_selectorELNS0_4arch9wavefront6targetE0EEEvT1_
		.amdhsa_group_segment_fixed_size 0
		.amdhsa_private_segment_fixed_size 0
		.amdhsa_kernarg_size 120
		.amdhsa_user_sgpr_count 15
		.amdhsa_user_sgpr_dispatch_ptr 0
		.amdhsa_user_sgpr_queue_ptr 0
		.amdhsa_user_sgpr_kernarg_segment_ptr 1
		.amdhsa_user_sgpr_dispatch_id 0
		.amdhsa_user_sgpr_private_segment_size 0
		.amdhsa_wavefront_size32 1
		.amdhsa_uses_dynamic_stack 0
		.amdhsa_enable_private_segment 0
		.amdhsa_system_sgpr_workgroup_id_x 1
		.amdhsa_system_sgpr_workgroup_id_y 0
		.amdhsa_system_sgpr_workgroup_id_z 0
		.amdhsa_system_sgpr_workgroup_info 0
		.amdhsa_system_vgpr_workitem_id 0
		.amdhsa_next_free_vgpr 1
		.amdhsa_next_free_sgpr 1
		.amdhsa_reserve_vcc 0
		.amdhsa_float_round_mode_32 0
		.amdhsa_float_round_mode_16_64 0
		.amdhsa_float_denorm_mode_32 3
		.amdhsa_float_denorm_mode_16_64 3
		.amdhsa_dx10_clamp 1
		.amdhsa_ieee_mode 1
		.amdhsa_fp16_overflow 0
		.amdhsa_workgroup_processor_mode 1
		.amdhsa_memory_ordered 1
		.amdhsa_forward_progress 0
		.amdhsa_shared_vgpr_count 0
		.amdhsa_exception_fp_ieee_invalid_op 0
		.amdhsa_exception_fp_denorm_src 0
		.amdhsa_exception_fp_ieee_div_zero 0
		.amdhsa_exception_fp_ieee_overflow 0
		.amdhsa_exception_fp_ieee_underflow 0
		.amdhsa_exception_fp_ieee_inexact 0
		.amdhsa_exception_int_div_zero 0
	.end_amdhsa_kernel
	.section	.text._ZN7rocprim17ROCPRIM_400000_NS6detail17trampoline_kernelINS0_14default_configENS1_29reduce_by_key_config_selectorIffN6thrust23THRUST_200600_302600_NS4plusIfEEEEZZNS1_33reduce_by_key_impl_wrapped_configILNS1_25lookback_scan_determinismE0ES3_S9_NS6_6detail15normal_iteratorINS6_10device_ptrIfEEEESG_SG_SG_PmS8_22is_equal_div_10_reduceIfEEE10hipError_tPvRmT2_T3_mT4_T5_T6_T7_T8_P12ihipStream_tbENKUlT_T0_E_clISt17integral_constantIbLb0EES11_EEDaSW_SX_EUlSW_E_NS1_11comp_targetILNS1_3genE5ELNS1_11target_archE942ELNS1_3gpuE9ELNS1_3repE0EEENS1_30default_config_static_selectorELNS0_4arch9wavefront6targetE0EEEvT1_,"axG",@progbits,_ZN7rocprim17ROCPRIM_400000_NS6detail17trampoline_kernelINS0_14default_configENS1_29reduce_by_key_config_selectorIffN6thrust23THRUST_200600_302600_NS4plusIfEEEEZZNS1_33reduce_by_key_impl_wrapped_configILNS1_25lookback_scan_determinismE0ES3_S9_NS6_6detail15normal_iteratorINS6_10device_ptrIfEEEESG_SG_SG_PmS8_22is_equal_div_10_reduceIfEEE10hipError_tPvRmT2_T3_mT4_T5_T6_T7_T8_P12ihipStream_tbENKUlT_T0_E_clISt17integral_constantIbLb0EES11_EEDaSW_SX_EUlSW_E_NS1_11comp_targetILNS1_3genE5ELNS1_11target_archE942ELNS1_3gpuE9ELNS1_3repE0EEENS1_30default_config_static_selectorELNS0_4arch9wavefront6targetE0EEEvT1_,comdat
.Lfunc_end201:
	.size	_ZN7rocprim17ROCPRIM_400000_NS6detail17trampoline_kernelINS0_14default_configENS1_29reduce_by_key_config_selectorIffN6thrust23THRUST_200600_302600_NS4plusIfEEEEZZNS1_33reduce_by_key_impl_wrapped_configILNS1_25lookback_scan_determinismE0ES3_S9_NS6_6detail15normal_iteratorINS6_10device_ptrIfEEEESG_SG_SG_PmS8_22is_equal_div_10_reduceIfEEE10hipError_tPvRmT2_T3_mT4_T5_T6_T7_T8_P12ihipStream_tbENKUlT_T0_E_clISt17integral_constantIbLb0EES11_EEDaSW_SX_EUlSW_E_NS1_11comp_targetILNS1_3genE5ELNS1_11target_archE942ELNS1_3gpuE9ELNS1_3repE0EEENS1_30default_config_static_selectorELNS0_4arch9wavefront6targetE0EEEvT1_, .Lfunc_end201-_ZN7rocprim17ROCPRIM_400000_NS6detail17trampoline_kernelINS0_14default_configENS1_29reduce_by_key_config_selectorIffN6thrust23THRUST_200600_302600_NS4plusIfEEEEZZNS1_33reduce_by_key_impl_wrapped_configILNS1_25lookback_scan_determinismE0ES3_S9_NS6_6detail15normal_iteratorINS6_10device_ptrIfEEEESG_SG_SG_PmS8_22is_equal_div_10_reduceIfEEE10hipError_tPvRmT2_T3_mT4_T5_T6_T7_T8_P12ihipStream_tbENKUlT_T0_E_clISt17integral_constantIbLb0EES11_EEDaSW_SX_EUlSW_E_NS1_11comp_targetILNS1_3genE5ELNS1_11target_archE942ELNS1_3gpuE9ELNS1_3repE0EEENS1_30default_config_static_selectorELNS0_4arch9wavefront6targetE0EEEvT1_
                                        ; -- End function
	.section	.AMDGPU.csdata,"",@progbits
; Kernel info:
; codeLenInByte = 0
; NumSgprs: 0
; NumVgprs: 0
; ScratchSize: 0
; MemoryBound: 0
; FloatMode: 240
; IeeeMode: 1
; LDSByteSize: 0 bytes/workgroup (compile time only)
; SGPRBlocks: 0
; VGPRBlocks: 0
; NumSGPRsForWavesPerEU: 1
; NumVGPRsForWavesPerEU: 1
; Occupancy: 16
; WaveLimiterHint : 0
; COMPUTE_PGM_RSRC2:SCRATCH_EN: 0
; COMPUTE_PGM_RSRC2:USER_SGPR: 15
; COMPUTE_PGM_RSRC2:TRAP_HANDLER: 0
; COMPUTE_PGM_RSRC2:TGID_X_EN: 1
; COMPUTE_PGM_RSRC2:TGID_Y_EN: 0
; COMPUTE_PGM_RSRC2:TGID_Z_EN: 0
; COMPUTE_PGM_RSRC2:TIDIG_COMP_CNT: 0
	.section	.text._ZN7rocprim17ROCPRIM_400000_NS6detail17trampoline_kernelINS0_14default_configENS1_29reduce_by_key_config_selectorIffN6thrust23THRUST_200600_302600_NS4plusIfEEEEZZNS1_33reduce_by_key_impl_wrapped_configILNS1_25lookback_scan_determinismE0ES3_S9_NS6_6detail15normal_iteratorINS6_10device_ptrIfEEEESG_SG_SG_PmS8_22is_equal_div_10_reduceIfEEE10hipError_tPvRmT2_T3_mT4_T5_T6_T7_T8_P12ihipStream_tbENKUlT_T0_E_clISt17integral_constantIbLb0EES11_EEDaSW_SX_EUlSW_E_NS1_11comp_targetILNS1_3genE4ELNS1_11target_archE910ELNS1_3gpuE8ELNS1_3repE0EEENS1_30default_config_static_selectorELNS0_4arch9wavefront6targetE0EEEvT1_,"axG",@progbits,_ZN7rocprim17ROCPRIM_400000_NS6detail17trampoline_kernelINS0_14default_configENS1_29reduce_by_key_config_selectorIffN6thrust23THRUST_200600_302600_NS4plusIfEEEEZZNS1_33reduce_by_key_impl_wrapped_configILNS1_25lookback_scan_determinismE0ES3_S9_NS6_6detail15normal_iteratorINS6_10device_ptrIfEEEESG_SG_SG_PmS8_22is_equal_div_10_reduceIfEEE10hipError_tPvRmT2_T3_mT4_T5_T6_T7_T8_P12ihipStream_tbENKUlT_T0_E_clISt17integral_constantIbLb0EES11_EEDaSW_SX_EUlSW_E_NS1_11comp_targetILNS1_3genE4ELNS1_11target_archE910ELNS1_3gpuE8ELNS1_3repE0EEENS1_30default_config_static_selectorELNS0_4arch9wavefront6targetE0EEEvT1_,comdat
	.protected	_ZN7rocprim17ROCPRIM_400000_NS6detail17trampoline_kernelINS0_14default_configENS1_29reduce_by_key_config_selectorIffN6thrust23THRUST_200600_302600_NS4plusIfEEEEZZNS1_33reduce_by_key_impl_wrapped_configILNS1_25lookback_scan_determinismE0ES3_S9_NS6_6detail15normal_iteratorINS6_10device_ptrIfEEEESG_SG_SG_PmS8_22is_equal_div_10_reduceIfEEE10hipError_tPvRmT2_T3_mT4_T5_T6_T7_T8_P12ihipStream_tbENKUlT_T0_E_clISt17integral_constantIbLb0EES11_EEDaSW_SX_EUlSW_E_NS1_11comp_targetILNS1_3genE4ELNS1_11target_archE910ELNS1_3gpuE8ELNS1_3repE0EEENS1_30default_config_static_selectorELNS0_4arch9wavefront6targetE0EEEvT1_ ; -- Begin function _ZN7rocprim17ROCPRIM_400000_NS6detail17trampoline_kernelINS0_14default_configENS1_29reduce_by_key_config_selectorIffN6thrust23THRUST_200600_302600_NS4plusIfEEEEZZNS1_33reduce_by_key_impl_wrapped_configILNS1_25lookback_scan_determinismE0ES3_S9_NS6_6detail15normal_iteratorINS6_10device_ptrIfEEEESG_SG_SG_PmS8_22is_equal_div_10_reduceIfEEE10hipError_tPvRmT2_T3_mT4_T5_T6_T7_T8_P12ihipStream_tbENKUlT_T0_E_clISt17integral_constantIbLb0EES11_EEDaSW_SX_EUlSW_E_NS1_11comp_targetILNS1_3genE4ELNS1_11target_archE910ELNS1_3gpuE8ELNS1_3repE0EEENS1_30default_config_static_selectorELNS0_4arch9wavefront6targetE0EEEvT1_
	.globl	_ZN7rocprim17ROCPRIM_400000_NS6detail17trampoline_kernelINS0_14default_configENS1_29reduce_by_key_config_selectorIffN6thrust23THRUST_200600_302600_NS4plusIfEEEEZZNS1_33reduce_by_key_impl_wrapped_configILNS1_25lookback_scan_determinismE0ES3_S9_NS6_6detail15normal_iteratorINS6_10device_ptrIfEEEESG_SG_SG_PmS8_22is_equal_div_10_reduceIfEEE10hipError_tPvRmT2_T3_mT4_T5_T6_T7_T8_P12ihipStream_tbENKUlT_T0_E_clISt17integral_constantIbLb0EES11_EEDaSW_SX_EUlSW_E_NS1_11comp_targetILNS1_3genE4ELNS1_11target_archE910ELNS1_3gpuE8ELNS1_3repE0EEENS1_30default_config_static_selectorELNS0_4arch9wavefront6targetE0EEEvT1_
	.p2align	8
	.type	_ZN7rocprim17ROCPRIM_400000_NS6detail17trampoline_kernelINS0_14default_configENS1_29reduce_by_key_config_selectorIffN6thrust23THRUST_200600_302600_NS4plusIfEEEEZZNS1_33reduce_by_key_impl_wrapped_configILNS1_25lookback_scan_determinismE0ES3_S9_NS6_6detail15normal_iteratorINS6_10device_ptrIfEEEESG_SG_SG_PmS8_22is_equal_div_10_reduceIfEEE10hipError_tPvRmT2_T3_mT4_T5_T6_T7_T8_P12ihipStream_tbENKUlT_T0_E_clISt17integral_constantIbLb0EES11_EEDaSW_SX_EUlSW_E_NS1_11comp_targetILNS1_3genE4ELNS1_11target_archE910ELNS1_3gpuE8ELNS1_3repE0EEENS1_30default_config_static_selectorELNS0_4arch9wavefront6targetE0EEEvT1_,@function
_ZN7rocprim17ROCPRIM_400000_NS6detail17trampoline_kernelINS0_14default_configENS1_29reduce_by_key_config_selectorIffN6thrust23THRUST_200600_302600_NS4plusIfEEEEZZNS1_33reduce_by_key_impl_wrapped_configILNS1_25lookback_scan_determinismE0ES3_S9_NS6_6detail15normal_iteratorINS6_10device_ptrIfEEEESG_SG_SG_PmS8_22is_equal_div_10_reduceIfEEE10hipError_tPvRmT2_T3_mT4_T5_T6_T7_T8_P12ihipStream_tbENKUlT_T0_E_clISt17integral_constantIbLb0EES11_EEDaSW_SX_EUlSW_E_NS1_11comp_targetILNS1_3genE4ELNS1_11target_archE910ELNS1_3gpuE8ELNS1_3repE0EEENS1_30default_config_static_selectorELNS0_4arch9wavefront6targetE0EEEvT1_: ; @_ZN7rocprim17ROCPRIM_400000_NS6detail17trampoline_kernelINS0_14default_configENS1_29reduce_by_key_config_selectorIffN6thrust23THRUST_200600_302600_NS4plusIfEEEEZZNS1_33reduce_by_key_impl_wrapped_configILNS1_25lookback_scan_determinismE0ES3_S9_NS6_6detail15normal_iteratorINS6_10device_ptrIfEEEESG_SG_SG_PmS8_22is_equal_div_10_reduceIfEEE10hipError_tPvRmT2_T3_mT4_T5_T6_T7_T8_P12ihipStream_tbENKUlT_T0_E_clISt17integral_constantIbLb0EES11_EEDaSW_SX_EUlSW_E_NS1_11comp_targetILNS1_3genE4ELNS1_11target_archE910ELNS1_3gpuE8ELNS1_3repE0EEENS1_30default_config_static_selectorELNS0_4arch9wavefront6targetE0EEEvT1_
; %bb.0:
	.section	.rodata,"a",@progbits
	.p2align	6, 0x0
	.amdhsa_kernel _ZN7rocprim17ROCPRIM_400000_NS6detail17trampoline_kernelINS0_14default_configENS1_29reduce_by_key_config_selectorIffN6thrust23THRUST_200600_302600_NS4plusIfEEEEZZNS1_33reduce_by_key_impl_wrapped_configILNS1_25lookback_scan_determinismE0ES3_S9_NS6_6detail15normal_iteratorINS6_10device_ptrIfEEEESG_SG_SG_PmS8_22is_equal_div_10_reduceIfEEE10hipError_tPvRmT2_T3_mT4_T5_T6_T7_T8_P12ihipStream_tbENKUlT_T0_E_clISt17integral_constantIbLb0EES11_EEDaSW_SX_EUlSW_E_NS1_11comp_targetILNS1_3genE4ELNS1_11target_archE910ELNS1_3gpuE8ELNS1_3repE0EEENS1_30default_config_static_selectorELNS0_4arch9wavefront6targetE0EEEvT1_
		.amdhsa_group_segment_fixed_size 0
		.amdhsa_private_segment_fixed_size 0
		.amdhsa_kernarg_size 120
		.amdhsa_user_sgpr_count 15
		.amdhsa_user_sgpr_dispatch_ptr 0
		.amdhsa_user_sgpr_queue_ptr 0
		.amdhsa_user_sgpr_kernarg_segment_ptr 1
		.amdhsa_user_sgpr_dispatch_id 0
		.amdhsa_user_sgpr_private_segment_size 0
		.amdhsa_wavefront_size32 1
		.amdhsa_uses_dynamic_stack 0
		.amdhsa_enable_private_segment 0
		.amdhsa_system_sgpr_workgroup_id_x 1
		.amdhsa_system_sgpr_workgroup_id_y 0
		.amdhsa_system_sgpr_workgroup_id_z 0
		.amdhsa_system_sgpr_workgroup_info 0
		.amdhsa_system_vgpr_workitem_id 0
		.amdhsa_next_free_vgpr 1
		.amdhsa_next_free_sgpr 1
		.amdhsa_reserve_vcc 0
		.amdhsa_float_round_mode_32 0
		.amdhsa_float_round_mode_16_64 0
		.amdhsa_float_denorm_mode_32 3
		.amdhsa_float_denorm_mode_16_64 3
		.amdhsa_dx10_clamp 1
		.amdhsa_ieee_mode 1
		.amdhsa_fp16_overflow 0
		.amdhsa_workgroup_processor_mode 1
		.amdhsa_memory_ordered 1
		.amdhsa_forward_progress 0
		.amdhsa_shared_vgpr_count 0
		.amdhsa_exception_fp_ieee_invalid_op 0
		.amdhsa_exception_fp_denorm_src 0
		.amdhsa_exception_fp_ieee_div_zero 0
		.amdhsa_exception_fp_ieee_overflow 0
		.amdhsa_exception_fp_ieee_underflow 0
		.amdhsa_exception_fp_ieee_inexact 0
		.amdhsa_exception_int_div_zero 0
	.end_amdhsa_kernel
	.section	.text._ZN7rocprim17ROCPRIM_400000_NS6detail17trampoline_kernelINS0_14default_configENS1_29reduce_by_key_config_selectorIffN6thrust23THRUST_200600_302600_NS4plusIfEEEEZZNS1_33reduce_by_key_impl_wrapped_configILNS1_25lookback_scan_determinismE0ES3_S9_NS6_6detail15normal_iteratorINS6_10device_ptrIfEEEESG_SG_SG_PmS8_22is_equal_div_10_reduceIfEEE10hipError_tPvRmT2_T3_mT4_T5_T6_T7_T8_P12ihipStream_tbENKUlT_T0_E_clISt17integral_constantIbLb0EES11_EEDaSW_SX_EUlSW_E_NS1_11comp_targetILNS1_3genE4ELNS1_11target_archE910ELNS1_3gpuE8ELNS1_3repE0EEENS1_30default_config_static_selectorELNS0_4arch9wavefront6targetE0EEEvT1_,"axG",@progbits,_ZN7rocprim17ROCPRIM_400000_NS6detail17trampoline_kernelINS0_14default_configENS1_29reduce_by_key_config_selectorIffN6thrust23THRUST_200600_302600_NS4plusIfEEEEZZNS1_33reduce_by_key_impl_wrapped_configILNS1_25lookback_scan_determinismE0ES3_S9_NS6_6detail15normal_iteratorINS6_10device_ptrIfEEEESG_SG_SG_PmS8_22is_equal_div_10_reduceIfEEE10hipError_tPvRmT2_T3_mT4_T5_T6_T7_T8_P12ihipStream_tbENKUlT_T0_E_clISt17integral_constantIbLb0EES11_EEDaSW_SX_EUlSW_E_NS1_11comp_targetILNS1_3genE4ELNS1_11target_archE910ELNS1_3gpuE8ELNS1_3repE0EEENS1_30default_config_static_selectorELNS0_4arch9wavefront6targetE0EEEvT1_,comdat
.Lfunc_end202:
	.size	_ZN7rocprim17ROCPRIM_400000_NS6detail17trampoline_kernelINS0_14default_configENS1_29reduce_by_key_config_selectorIffN6thrust23THRUST_200600_302600_NS4plusIfEEEEZZNS1_33reduce_by_key_impl_wrapped_configILNS1_25lookback_scan_determinismE0ES3_S9_NS6_6detail15normal_iteratorINS6_10device_ptrIfEEEESG_SG_SG_PmS8_22is_equal_div_10_reduceIfEEE10hipError_tPvRmT2_T3_mT4_T5_T6_T7_T8_P12ihipStream_tbENKUlT_T0_E_clISt17integral_constantIbLb0EES11_EEDaSW_SX_EUlSW_E_NS1_11comp_targetILNS1_3genE4ELNS1_11target_archE910ELNS1_3gpuE8ELNS1_3repE0EEENS1_30default_config_static_selectorELNS0_4arch9wavefront6targetE0EEEvT1_, .Lfunc_end202-_ZN7rocprim17ROCPRIM_400000_NS6detail17trampoline_kernelINS0_14default_configENS1_29reduce_by_key_config_selectorIffN6thrust23THRUST_200600_302600_NS4plusIfEEEEZZNS1_33reduce_by_key_impl_wrapped_configILNS1_25lookback_scan_determinismE0ES3_S9_NS6_6detail15normal_iteratorINS6_10device_ptrIfEEEESG_SG_SG_PmS8_22is_equal_div_10_reduceIfEEE10hipError_tPvRmT2_T3_mT4_T5_T6_T7_T8_P12ihipStream_tbENKUlT_T0_E_clISt17integral_constantIbLb0EES11_EEDaSW_SX_EUlSW_E_NS1_11comp_targetILNS1_3genE4ELNS1_11target_archE910ELNS1_3gpuE8ELNS1_3repE0EEENS1_30default_config_static_selectorELNS0_4arch9wavefront6targetE0EEEvT1_
                                        ; -- End function
	.section	.AMDGPU.csdata,"",@progbits
; Kernel info:
; codeLenInByte = 0
; NumSgprs: 0
; NumVgprs: 0
; ScratchSize: 0
; MemoryBound: 0
; FloatMode: 240
; IeeeMode: 1
; LDSByteSize: 0 bytes/workgroup (compile time only)
; SGPRBlocks: 0
; VGPRBlocks: 0
; NumSGPRsForWavesPerEU: 1
; NumVGPRsForWavesPerEU: 1
; Occupancy: 16
; WaveLimiterHint : 0
; COMPUTE_PGM_RSRC2:SCRATCH_EN: 0
; COMPUTE_PGM_RSRC2:USER_SGPR: 15
; COMPUTE_PGM_RSRC2:TRAP_HANDLER: 0
; COMPUTE_PGM_RSRC2:TGID_X_EN: 1
; COMPUTE_PGM_RSRC2:TGID_Y_EN: 0
; COMPUTE_PGM_RSRC2:TGID_Z_EN: 0
; COMPUTE_PGM_RSRC2:TIDIG_COMP_CNT: 0
	.section	.text._ZN7rocprim17ROCPRIM_400000_NS6detail17trampoline_kernelINS0_14default_configENS1_29reduce_by_key_config_selectorIffN6thrust23THRUST_200600_302600_NS4plusIfEEEEZZNS1_33reduce_by_key_impl_wrapped_configILNS1_25lookback_scan_determinismE0ES3_S9_NS6_6detail15normal_iteratorINS6_10device_ptrIfEEEESG_SG_SG_PmS8_22is_equal_div_10_reduceIfEEE10hipError_tPvRmT2_T3_mT4_T5_T6_T7_T8_P12ihipStream_tbENKUlT_T0_E_clISt17integral_constantIbLb0EES11_EEDaSW_SX_EUlSW_E_NS1_11comp_targetILNS1_3genE3ELNS1_11target_archE908ELNS1_3gpuE7ELNS1_3repE0EEENS1_30default_config_static_selectorELNS0_4arch9wavefront6targetE0EEEvT1_,"axG",@progbits,_ZN7rocprim17ROCPRIM_400000_NS6detail17trampoline_kernelINS0_14default_configENS1_29reduce_by_key_config_selectorIffN6thrust23THRUST_200600_302600_NS4plusIfEEEEZZNS1_33reduce_by_key_impl_wrapped_configILNS1_25lookback_scan_determinismE0ES3_S9_NS6_6detail15normal_iteratorINS6_10device_ptrIfEEEESG_SG_SG_PmS8_22is_equal_div_10_reduceIfEEE10hipError_tPvRmT2_T3_mT4_T5_T6_T7_T8_P12ihipStream_tbENKUlT_T0_E_clISt17integral_constantIbLb0EES11_EEDaSW_SX_EUlSW_E_NS1_11comp_targetILNS1_3genE3ELNS1_11target_archE908ELNS1_3gpuE7ELNS1_3repE0EEENS1_30default_config_static_selectorELNS0_4arch9wavefront6targetE0EEEvT1_,comdat
	.protected	_ZN7rocprim17ROCPRIM_400000_NS6detail17trampoline_kernelINS0_14default_configENS1_29reduce_by_key_config_selectorIffN6thrust23THRUST_200600_302600_NS4plusIfEEEEZZNS1_33reduce_by_key_impl_wrapped_configILNS1_25lookback_scan_determinismE0ES3_S9_NS6_6detail15normal_iteratorINS6_10device_ptrIfEEEESG_SG_SG_PmS8_22is_equal_div_10_reduceIfEEE10hipError_tPvRmT2_T3_mT4_T5_T6_T7_T8_P12ihipStream_tbENKUlT_T0_E_clISt17integral_constantIbLb0EES11_EEDaSW_SX_EUlSW_E_NS1_11comp_targetILNS1_3genE3ELNS1_11target_archE908ELNS1_3gpuE7ELNS1_3repE0EEENS1_30default_config_static_selectorELNS0_4arch9wavefront6targetE0EEEvT1_ ; -- Begin function _ZN7rocprim17ROCPRIM_400000_NS6detail17trampoline_kernelINS0_14default_configENS1_29reduce_by_key_config_selectorIffN6thrust23THRUST_200600_302600_NS4plusIfEEEEZZNS1_33reduce_by_key_impl_wrapped_configILNS1_25lookback_scan_determinismE0ES3_S9_NS6_6detail15normal_iteratorINS6_10device_ptrIfEEEESG_SG_SG_PmS8_22is_equal_div_10_reduceIfEEE10hipError_tPvRmT2_T3_mT4_T5_T6_T7_T8_P12ihipStream_tbENKUlT_T0_E_clISt17integral_constantIbLb0EES11_EEDaSW_SX_EUlSW_E_NS1_11comp_targetILNS1_3genE3ELNS1_11target_archE908ELNS1_3gpuE7ELNS1_3repE0EEENS1_30default_config_static_selectorELNS0_4arch9wavefront6targetE0EEEvT1_
	.globl	_ZN7rocprim17ROCPRIM_400000_NS6detail17trampoline_kernelINS0_14default_configENS1_29reduce_by_key_config_selectorIffN6thrust23THRUST_200600_302600_NS4plusIfEEEEZZNS1_33reduce_by_key_impl_wrapped_configILNS1_25lookback_scan_determinismE0ES3_S9_NS6_6detail15normal_iteratorINS6_10device_ptrIfEEEESG_SG_SG_PmS8_22is_equal_div_10_reduceIfEEE10hipError_tPvRmT2_T3_mT4_T5_T6_T7_T8_P12ihipStream_tbENKUlT_T0_E_clISt17integral_constantIbLb0EES11_EEDaSW_SX_EUlSW_E_NS1_11comp_targetILNS1_3genE3ELNS1_11target_archE908ELNS1_3gpuE7ELNS1_3repE0EEENS1_30default_config_static_selectorELNS0_4arch9wavefront6targetE0EEEvT1_
	.p2align	8
	.type	_ZN7rocprim17ROCPRIM_400000_NS6detail17trampoline_kernelINS0_14default_configENS1_29reduce_by_key_config_selectorIffN6thrust23THRUST_200600_302600_NS4plusIfEEEEZZNS1_33reduce_by_key_impl_wrapped_configILNS1_25lookback_scan_determinismE0ES3_S9_NS6_6detail15normal_iteratorINS6_10device_ptrIfEEEESG_SG_SG_PmS8_22is_equal_div_10_reduceIfEEE10hipError_tPvRmT2_T3_mT4_T5_T6_T7_T8_P12ihipStream_tbENKUlT_T0_E_clISt17integral_constantIbLb0EES11_EEDaSW_SX_EUlSW_E_NS1_11comp_targetILNS1_3genE3ELNS1_11target_archE908ELNS1_3gpuE7ELNS1_3repE0EEENS1_30default_config_static_selectorELNS0_4arch9wavefront6targetE0EEEvT1_,@function
_ZN7rocprim17ROCPRIM_400000_NS6detail17trampoline_kernelINS0_14default_configENS1_29reduce_by_key_config_selectorIffN6thrust23THRUST_200600_302600_NS4plusIfEEEEZZNS1_33reduce_by_key_impl_wrapped_configILNS1_25lookback_scan_determinismE0ES3_S9_NS6_6detail15normal_iteratorINS6_10device_ptrIfEEEESG_SG_SG_PmS8_22is_equal_div_10_reduceIfEEE10hipError_tPvRmT2_T3_mT4_T5_T6_T7_T8_P12ihipStream_tbENKUlT_T0_E_clISt17integral_constantIbLb0EES11_EEDaSW_SX_EUlSW_E_NS1_11comp_targetILNS1_3genE3ELNS1_11target_archE908ELNS1_3gpuE7ELNS1_3repE0EEENS1_30default_config_static_selectorELNS0_4arch9wavefront6targetE0EEEvT1_: ; @_ZN7rocprim17ROCPRIM_400000_NS6detail17trampoline_kernelINS0_14default_configENS1_29reduce_by_key_config_selectorIffN6thrust23THRUST_200600_302600_NS4plusIfEEEEZZNS1_33reduce_by_key_impl_wrapped_configILNS1_25lookback_scan_determinismE0ES3_S9_NS6_6detail15normal_iteratorINS6_10device_ptrIfEEEESG_SG_SG_PmS8_22is_equal_div_10_reduceIfEEE10hipError_tPvRmT2_T3_mT4_T5_T6_T7_T8_P12ihipStream_tbENKUlT_T0_E_clISt17integral_constantIbLb0EES11_EEDaSW_SX_EUlSW_E_NS1_11comp_targetILNS1_3genE3ELNS1_11target_archE908ELNS1_3gpuE7ELNS1_3repE0EEENS1_30default_config_static_selectorELNS0_4arch9wavefront6targetE0EEEvT1_
; %bb.0:
	.section	.rodata,"a",@progbits
	.p2align	6, 0x0
	.amdhsa_kernel _ZN7rocprim17ROCPRIM_400000_NS6detail17trampoline_kernelINS0_14default_configENS1_29reduce_by_key_config_selectorIffN6thrust23THRUST_200600_302600_NS4plusIfEEEEZZNS1_33reduce_by_key_impl_wrapped_configILNS1_25lookback_scan_determinismE0ES3_S9_NS6_6detail15normal_iteratorINS6_10device_ptrIfEEEESG_SG_SG_PmS8_22is_equal_div_10_reduceIfEEE10hipError_tPvRmT2_T3_mT4_T5_T6_T7_T8_P12ihipStream_tbENKUlT_T0_E_clISt17integral_constantIbLb0EES11_EEDaSW_SX_EUlSW_E_NS1_11comp_targetILNS1_3genE3ELNS1_11target_archE908ELNS1_3gpuE7ELNS1_3repE0EEENS1_30default_config_static_selectorELNS0_4arch9wavefront6targetE0EEEvT1_
		.amdhsa_group_segment_fixed_size 0
		.amdhsa_private_segment_fixed_size 0
		.amdhsa_kernarg_size 120
		.amdhsa_user_sgpr_count 15
		.amdhsa_user_sgpr_dispatch_ptr 0
		.amdhsa_user_sgpr_queue_ptr 0
		.amdhsa_user_sgpr_kernarg_segment_ptr 1
		.amdhsa_user_sgpr_dispatch_id 0
		.amdhsa_user_sgpr_private_segment_size 0
		.amdhsa_wavefront_size32 1
		.amdhsa_uses_dynamic_stack 0
		.amdhsa_enable_private_segment 0
		.amdhsa_system_sgpr_workgroup_id_x 1
		.amdhsa_system_sgpr_workgroup_id_y 0
		.amdhsa_system_sgpr_workgroup_id_z 0
		.amdhsa_system_sgpr_workgroup_info 0
		.amdhsa_system_vgpr_workitem_id 0
		.amdhsa_next_free_vgpr 1
		.amdhsa_next_free_sgpr 1
		.amdhsa_reserve_vcc 0
		.amdhsa_float_round_mode_32 0
		.amdhsa_float_round_mode_16_64 0
		.amdhsa_float_denorm_mode_32 3
		.amdhsa_float_denorm_mode_16_64 3
		.amdhsa_dx10_clamp 1
		.amdhsa_ieee_mode 1
		.amdhsa_fp16_overflow 0
		.amdhsa_workgroup_processor_mode 1
		.amdhsa_memory_ordered 1
		.amdhsa_forward_progress 0
		.amdhsa_shared_vgpr_count 0
		.amdhsa_exception_fp_ieee_invalid_op 0
		.amdhsa_exception_fp_denorm_src 0
		.amdhsa_exception_fp_ieee_div_zero 0
		.amdhsa_exception_fp_ieee_overflow 0
		.amdhsa_exception_fp_ieee_underflow 0
		.amdhsa_exception_fp_ieee_inexact 0
		.amdhsa_exception_int_div_zero 0
	.end_amdhsa_kernel
	.section	.text._ZN7rocprim17ROCPRIM_400000_NS6detail17trampoline_kernelINS0_14default_configENS1_29reduce_by_key_config_selectorIffN6thrust23THRUST_200600_302600_NS4plusIfEEEEZZNS1_33reduce_by_key_impl_wrapped_configILNS1_25lookback_scan_determinismE0ES3_S9_NS6_6detail15normal_iteratorINS6_10device_ptrIfEEEESG_SG_SG_PmS8_22is_equal_div_10_reduceIfEEE10hipError_tPvRmT2_T3_mT4_T5_T6_T7_T8_P12ihipStream_tbENKUlT_T0_E_clISt17integral_constantIbLb0EES11_EEDaSW_SX_EUlSW_E_NS1_11comp_targetILNS1_3genE3ELNS1_11target_archE908ELNS1_3gpuE7ELNS1_3repE0EEENS1_30default_config_static_selectorELNS0_4arch9wavefront6targetE0EEEvT1_,"axG",@progbits,_ZN7rocprim17ROCPRIM_400000_NS6detail17trampoline_kernelINS0_14default_configENS1_29reduce_by_key_config_selectorIffN6thrust23THRUST_200600_302600_NS4plusIfEEEEZZNS1_33reduce_by_key_impl_wrapped_configILNS1_25lookback_scan_determinismE0ES3_S9_NS6_6detail15normal_iteratorINS6_10device_ptrIfEEEESG_SG_SG_PmS8_22is_equal_div_10_reduceIfEEE10hipError_tPvRmT2_T3_mT4_T5_T6_T7_T8_P12ihipStream_tbENKUlT_T0_E_clISt17integral_constantIbLb0EES11_EEDaSW_SX_EUlSW_E_NS1_11comp_targetILNS1_3genE3ELNS1_11target_archE908ELNS1_3gpuE7ELNS1_3repE0EEENS1_30default_config_static_selectorELNS0_4arch9wavefront6targetE0EEEvT1_,comdat
.Lfunc_end203:
	.size	_ZN7rocprim17ROCPRIM_400000_NS6detail17trampoline_kernelINS0_14default_configENS1_29reduce_by_key_config_selectorIffN6thrust23THRUST_200600_302600_NS4plusIfEEEEZZNS1_33reduce_by_key_impl_wrapped_configILNS1_25lookback_scan_determinismE0ES3_S9_NS6_6detail15normal_iteratorINS6_10device_ptrIfEEEESG_SG_SG_PmS8_22is_equal_div_10_reduceIfEEE10hipError_tPvRmT2_T3_mT4_T5_T6_T7_T8_P12ihipStream_tbENKUlT_T0_E_clISt17integral_constantIbLb0EES11_EEDaSW_SX_EUlSW_E_NS1_11comp_targetILNS1_3genE3ELNS1_11target_archE908ELNS1_3gpuE7ELNS1_3repE0EEENS1_30default_config_static_selectorELNS0_4arch9wavefront6targetE0EEEvT1_, .Lfunc_end203-_ZN7rocprim17ROCPRIM_400000_NS6detail17trampoline_kernelINS0_14default_configENS1_29reduce_by_key_config_selectorIffN6thrust23THRUST_200600_302600_NS4plusIfEEEEZZNS1_33reduce_by_key_impl_wrapped_configILNS1_25lookback_scan_determinismE0ES3_S9_NS6_6detail15normal_iteratorINS6_10device_ptrIfEEEESG_SG_SG_PmS8_22is_equal_div_10_reduceIfEEE10hipError_tPvRmT2_T3_mT4_T5_T6_T7_T8_P12ihipStream_tbENKUlT_T0_E_clISt17integral_constantIbLb0EES11_EEDaSW_SX_EUlSW_E_NS1_11comp_targetILNS1_3genE3ELNS1_11target_archE908ELNS1_3gpuE7ELNS1_3repE0EEENS1_30default_config_static_selectorELNS0_4arch9wavefront6targetE0EEEvT1_
                                        ; -- End function
	.section	.AMDGPU.csdata,"",@progbits
; Kernel info:
; codeLenInByte = 0
; NumSgprs: 0
; NumVgprs: 0
; ScratchSize: 0
; MemoryBound: 0
; FloatMode: 240
; IeeeMode: 1
; LDSByteSize: 0 bytes/workgroup (compile time only)
; SGPRBlocks: 0
; VGPRBlocks: 0
; NumSGPRsForWavesPerEU: 1
; NumVGPRsForWavesPerEU: 1
; Occupancy: 16
; WaveLimiterHint : 0
; COMPUTE_PGM_RSRC2:SCRATCH_EN: 0
; COMPUTE_PGM_RSRC2:USER_SGPR: 15
; COMPUTE_PGM_RSRC2:TRAP_HANDLER: 0
; COMPUTE_PGM_RSRC2:TGID_X_EN: 1
; COMPUTE_PGM_RSRC2:TGID_Y_EN: 0
; COMPUTE_PGM_RSRC2:TGID_Z_EN: 0
; COMPUTE_PGM_RSRC2:TIDIG_COMP_CNT: 0
	.section	.text._ZN7rocprim17ROCPRIM_400000_NS6detail17trampoline_kernelINS0_14default_configENS1_29reduce_by_key_config_selectorIffN6thrust23THRUST_200600_302600_NS4plusIfEEEEZZNS1_33reduce_by_key_impl_wrapped_configILNS1_25lookback_scan_determinismE0ES3_S9_NS6_6detail15normal_iteratorINS6_10device_ptrIfEEEESG_SG_SG_PmS8_22is_equal_div_10_reduceIfEEE10hipError_tPvRmT2_T3_mT4_T5_T6_T7_T8_P12ihipStream_tbENKUlT_T0_E_clISt17integral_constantIbLb0EES11_EEDaSW_SX_EUlSW_E_NS1_11comp_targetILNS1_3genE2ELNS1_11target_archE906ELNS1_3gpuE6ELNS1_3repE0EEENS1_30default_config_static_selectorELNS0_4arch9wavefront6targetE0EEEvT1_,"axG",@progbits,_ZN7rocprim17ROCPRIM_400000_NS6detail17trampoline_kernelINS0_14default_configENS1_29reduce_by_key_config_selectorIffN6thrust23THRUST_200600_302600_NS4plusIfEEEEZZNS1_33reduce_by_key_impl_wrapped_configILNS1_25lookback_scan_determinismE0ES3_S9_NS6_6detail15normal_iteratorINS6_10device_ptrIfEEEESG_SG_SG_PmS8_22is_equal_div_10_reduceIfEEE10hipError_tPvRmT2_T3_mT4_T5_T6_T7_T8_P12ihipStream_tbENKUlT_T0_E_clISt17integral_constantIbLb0EES11_EEDaSW_SX_EUlSW_E_NS1_11comp_targetILNS1_3genE2ELNS1_11target_archE906ELNS1_3gpuE6ELNS1_3repE0EEENS1_30default_config_static_selectorELNS0_4arch9wavefront6targetE0EEEvT1_,comdat
	.protected	_ZN7rocprim17ROCPRIM_400000_NS6detail17trampoline_kernelINS0_14default_configENS1_29reduce_by_key_config_selectorIffN6thrust23THRUST_200600_302600_NS4plusIfEEEEZZNS1_33reduce_by_key_impl_wrapped_configILNS1_25lookback_scan_determinismE0ES3_S9_NS6_6detail15normal_iteratorINS6_10device_ptrIfEEEESG_SG_SG_PmS8_22is_equal_div_10_reduceIfEEE10hipError_tPvRmT2_T3_mT4_T5_T6_T7_T8_P12ihipStream_tbENKUlT_T0_E_clISt17integral_constantIbLb0EES11_EEDaSW_SX_EUlSW_E_NS1_11comp_targetILNS1_3genE2ELNS1_11target_archE906ELNS1_3gpuE6ELNS1_3repE0EEENS1_30default_config_static_selectorELNS0_4arch9wavefront6targetE0EEEvT1_ ; -- Begin function _ZN7rocprim17ROCPRIM_400000_NS6detail17trampoline_kernelINS0_14default_configENS1_29reduce_by_key_config_selectorIffN6thrust23THRUST_200600_302600_NS4plusIfEEEEZZNS1_33reduce_by_key_impl_wrapped_configILNS1_25lookback_scan_determinismE0ES3_S9_NS6_6detail15normal_iteratorINS6_10device_ptrIfEEEESG_SG_SG_PmS8_22is_equal_div_10_reduceIfEEE10hipError_tPvRmT2_T3_mT4_T5_T6_T7_T8_P12ihipStream_tbENKUlT_T0_E_clISt17integral_constantIbLb0EES11_EEDaSW_SX_EUlSW_E_NS1_11comp_targetILNS1_3genE2ELNS1_11target_archE906ELNS1_3gpuE6ELNS1_3repE0EEENS1_30default_config_static_selectorELNS0_4arch9wavefront6targetE0EEEvT1_
	.globl	_ZN7rocprim17ROCPRIM_400000_NS6detail17trampoline_kernelINS0_14default_configENS1_29reduce_by_key_config_selectorIffN6thrust23THRUST_200600_302600_NS4plusIfEEEEZZNS1_33reduce_by_key_impl_wrapped_configILNS1_25lookback_scan_determinismE0ES3_S9_NS6_6detail15normal_iteratorINS6_10device_ptrIfEEEESG_SG_SG_PmS8_22is_equal_div_10_reduceIfEEE10hipError_tPvRmT2_T3_mT4_T5_T6_T7_T8_P12ihipStream_tbENKUlT_T0_E_clISt17integral_constantIbLb0EES11_EEDaSW_SX_EUlSW_E_NS1_11comp_targetILNS1_3genE2ELNS1_11target_archE906ELNS1_3gpuE6ELNS1_3repE0EEENS1_30default_config_static_selectorELNS0_4arch9wavefront6targetE0EEEvT1_
	.p2align	8
	.type	_ZN7rocprim17ROCPRIM_400000_NS6detail17trampoline_kernelINS0_14default_configENS1_29reduce_by_key_config_selectorIffN6thrust23THRUST_200600_302600_NS4plusIfEEEEZZNS1_33reduce_by_key_impl_wrapped_configILNS1_25lookback_scan_determinismE0ES3_S9_NS6_6detail15normal_iteratorINS6_10device_ptrIfEEEESG_SG_SG_PmS8_22is_equal_div_10_reduceIfEEE10hipError_tPvRmT2_T3_mT4_T5_T6_T7_T8_P12ihipStream_tbENKUlT_T0_E_clISt17integral_constantIbLb0EES11_EEDaSW_SX_EUlSW_E_NS1_11comp_targetILNS1_3genE2ELNS1_11target_archE906ELNS1_3gpuE6ELNS1_3repE0EEENS1_30default_config_static_selectorELNS0_4arch9wavefront6targetE0EEEvT1_,@function
_ZN7rocprim17ROCPRIM_400000_NS6detail17trampoline_kernelINS0_14default_configENS1_29reduce_by_key_config_selectorIffN6thrust23THRUST_200600_302600_NS4plusIfEEEEZZNS1_33reduce_by_key_impl_wrapped_configILNS1_25lookback_scan_determinismE0ES3_S9_NS6_6detail15normal_iteratorINS6_10device_ptrIfEEEESG_SG_SG_PmS8_22is_equal_div_10_reduceIfEEE10hipError_tPvRmT2_T3_mT4_T5_T6_T7_T8_P12ihipStream_tbENKUlT_T0_E_clISt17integral_constantIbLb0EES11_EEDaSW_SX_EUlSW_E_NS1_11comp_targetILNS1_3genE2ELNS1_11target_archE906ELNS1_3gpuE6ELNS1_3repE0EEENS1_30default_config_static_selectorELNS0_4arch9wavefront6targetE0EEEvT1_: ; @_ZN7rocprim17ROCPRIM_400000_NS6detail17trampoline_kernelINS0_14default_configENS1_29reduce_by_key_config_selectorIffN6thrust23THRUST_200600_302600_NS4plusIfEEEEZZNS1_33reduce_by_key_impl_wrapped_configILNS1_25lookback_scan_determinismE0ES3_S9_NS6_6detail15normal_iteratorINS6_10device_ptrIfEEEESG_SG_SG_PmS8_22is_equal_div_10_reduceIfEEE10hipError_tPvRmT2_T3_mT4_T5_T6_T7_T8_P12ihipStream_tbENKUlT_T0_E_clISt17integral_constantIbLb0EES11_EEDaSW_SX_EUlSW_E_NS1_11comp_targetILNS1_3genE2ELNS1_11target_archE906ELNS1_3gpuE6ELNS1_3repE0EEENS1_30default_config_static_selectorELNS0_4arch9wavefront6targetE0EEEvT1_
; %bb.0:
	.section	.rodata,"a",@progbits
	.p2align	6, 0x0
	.amdhsa_kernel _ZN7rocprim17ROCPRIM_400000_NS6detail17trampoline_kernelINS0_14default_configENS1_29reduce_by_key_config_selectorIffN6thrust23THRUST_200600_302600_NS4plusIfEEEEZZNS1_33reduce_by_key_impl_wrapped_configILNS1_25lookback_scan_determinismE0ES3_S9_NS6_6detail15normal_iteratorINS6_10device_ptrIfEEEESG_SG_SG_PmS8_22is_equal_div_10_reduceIfEEE10hipError_tPvRmT2_T3_mT4_T5_T6_T7_T8_P12ihipStream_tbENKUlT_T0_E_clISt17integral_constantIbLb0EES11_EEDaSW_SX_EUlSW_E_NS1_11comp_targetILNS1_3genE2ELNS1_11target_archE906ELNS1_3gpuE6ELNS1_3repE0EEENS1_30default_config_static_selectorELNS0_4arch9wavefront6targetE0EEEvT1_
		.amdhsa_group_segment_fixed_size 0
		.amdhsa_private_segment_fixed_size 0
		.amdhsa_kernarg_size 120
		.amdhsa_user_sgpr_count 15
		.amdhsa_user_sgpr_dispatch_ptr 0
		.amdhsa_user_sgpr_queue_ptr 0
		.amdhsa_user_sgpr_kernarg_segment_ptr 1
		.amdhsa_user_sgpr_dispatch_id 0
		.amdhsa_user_sgpr_private_segment_size 0
		.amdhsa_wavefront_size32 1
		.amdhsa_uses_dynamic_stack 0
		.amdhsa_enable_private_segment 0
		.amdhsa_system_sgpr_workgroup_id_x 1
		.amdhsa_system_sgpr_workgroup_id_y 0
		.amdhsa_system_sgpr_workgroup_id_z 0
		.amdhsa_system_sgpr_workgroup_info 0
		.amdhsa_system_vgpr_workitem_id 0
		.amdhsa_next_free_vgpr 1
		.amdhsa_next_free_sgpr 1
		.amdhsa_reserve_vcc 0
		.amdhsa_float_round_mode_32 0
		.amdhsa_float_round_mode_16_64 0
		.amdhsa_float_denorm_mode_32 3
		.amdhsa_float_denorm_mode_16_64 3
		.amdhsa_dx10_clamp 1
		.amdhsa_ieee_mode 1
		.amdhsa_fp16_overflow 0
		.amdhsa_workgroup_processor_mode 1
		.amdhsa_memory_ordered 1
		.amdhsa_forward_progress 0
		.amdhsa_shared_vgpr_count 0
		.amdhsa_exception_fp_ieee_invalid_op 0
		.amdhsa_exception_fp_denorm_src 0
		.amdhsa_exception_fp_ieee_div_zero 0
		.amdhsa_exception_fp_ieee_overflow 0
		.amdhsa_exception_fp_ieee_underflow 0
		.amdhsa_exception_fp_ieee_inexact 0
		.amdhsa_exception_int_div_zero 0
	.end_amdhsa_kernel
	.section	.text._ZN7rocprim17ROCPRIM_400000_NS6detail17trampoline_kernelINS0_14default_configENS1_29reduce_by_key_config_selectorIffN6thrust23THRUST_200600_302600_NS4plusIfEEEEZZNS1_33reduce_by_key_impl_wrapped_configILNS1_25lookback_scan_determinismE0ES3_S9_NS6_6detail15normal_iteratorINS6_10device_ptrIfEEEESG_SG_SG_PmS8_22is_equal_div_10_reduceIfEEE10hipError_tPvRmT2_T3_mT4_T5_T6_T7_T8_P12ihipStream_tbENKUlT_T0_E_clISt17integral_constantIbLb0EES11_EEDaSW_SX_EUlSW_E_NS1_11comp_targetILNS1_3genE2ELNS1_11target_archE906ELNS1_3gpuE6ELNS1_3repE0EEENS1_30default_config_static_selectorELNS0_4arch9wavefront6targetE0EEEvT1_,"axG",@progbits,_ZN7rocprim17ROCPRIM_400000_NS6detail17trampoline_kernelINS0_14default_configENS1_29reduce_by_key_config_selectorIffN6thrust23THRUST_200600_302600_NS4plusIfEEEEZZNS1_33reduce_by_key_impl_wrapped_configILNS1_25lookback_scan_determinismE0ES3_S9_NS6_6detail15normal_iteratorINS6_10device_ptrIfEEEESG_SG_SG_PmS8_22is_equal_div_10_reduceIfEEE10hipError_tPvRmT2_T3_mT4_T5_T6_T7_T8_P12ihipStream_tbENKUlT_T0_E_clISt17integral_constantIbLb0EES11_EEDaSW_SX_EUlSW_E_NS1_11comp_targetILNS1_3genE2ELNS1_11target_archE906ELNS1_3gpuE6ELNS1_3repE0EEENS1_30default_config_static_selectorELNS0_4arch9wavefront6targetE0EEEvT1_,comdat
.Lfunc_end204:
	.size	_ZN7rocprim17ROCPRIM_400000_NS6detail17trampoline_kernelINS0_14default_configENS1_29reduce_by_key_config_selectorIffN6thrust23THRUST_200600_302600_NS4plusIfEEEEZZNS1_33reduce_by_key_impl_wrapped_configILNS1_25lookback_scan_determinismE0ES3_S9_NS6_6detail15normal_iteratorINS6_10device_ptrIfEEEESG_SG_SG_PmS8_22is_equal_div_10_reduceIfEEE10hipError_tPvRmT2_T3_mT4_T5_T6_T7_T8_P12ihipStream_tbENKUlT_T0_E_clISt17integral_constantIbLb0EES11_EEDaSW_SX_EUlSW_E_NS1_11comp_targetILNS1_3genE2ELNS1_11target_archE906ELNS1_3gpuE6ELNS1_3repE0EEENS1_30default_config_static_selectorELNS0_4arch9wavefront6targetE0EEEvT1_, .Lfunc_end204-_ZN7rocprim17ROCPRIM_400000_NS6detail17trampoline_kernelINS0_14default_configENS1_29reduce_by_key_config_selectorIffN6thrust23THRUST_200600_302600_NS4plusIfEEEEZZNS1_33reduce_by_key_impl_wrapped_configILNS1_25lookback_scan_determinismE0ES3_S9_NS6_6detail15normal_iteratorINS6_10device_ptrIfEEEESG_SG_SG_PmS8_22is_equal_div_10_reduceIfEEE10hipError_tPvRmT2_T3_mT4_T5_T6_T7_T8_P12ihipStream_tbENKUlT_T0_E_clISt17integral_constantIbLb0EES11_EEDaSW_SX_EUlSW_E_NS1_11comp_targetILNS1_3genE2ELNS1_11target_archE906ELNS1_3gpuE6ELNS1_3repE0EEENS1_30default_config_static_selectorELNS0_4arch9wavefront6targetE0EEEvT1_
                                        ; -- End function
	.section	.AMDGPU.csdata,"",@progbits
; Kernel info:
; codeLenInByte = 0
; NumSgprs: 0
; NumVgprs: 0
; ScratchSize: 0
; MemoryBound: 0
; FloatMode: 240
; IeeeMode: 1
; LDSByteSize: 0 bytes/workgroup (compile time only)
; SGPRBlocks: 0
; VGPRBlocks: 0
; NumSGPRsForWavesPerEU: 1
; NumVGPRsForWavesPerEU: 1
; Occupancy: 16
; WaveLimiterHint : 0
; COMPUTE_PGM_RSRC2:SCRATCH_EN: 0
; COMPUTE_PGM_RSRC2:USER_SGPR: 15
; COMPUTE_PGM_RSRC2:TRAP_HANDLER: 0
; COMPUTE_PGM_RSRC2:TGID_X_EN: 1
; COMPUTE_PGM_RSRC2:TGID_Y_EN: 0
; COMPUTE_PGM_RSRC2:TGID_Z_EN: 0
; COMPUTE_PGM_RSRC2:TIDIG_COMP_CNT: 0
	.section	.text._ZN7rocprim17ROCPRIM_400000_NS6detail17trampoline_kernelINS0_14default_configENS1_29reduce_by_key_config_selectorIffN6thrust23THRUST_200600_302600_NS4plusIfEEEEZZNS1_33reduce_by_key_impl_wrapped_configILNS1_25lookback_scan_determinismE0ES3_S9_NS6_6detail15normal_iteratorINS6_10device_ptrIfEEEESG_SG_SG_PmS8_22is_equal_div_10_reduceIfEEE10hipError_tPvRmT2_T3_mT4_T5_T6_T7_T8_P12ihipStream_tbENKUlT_T0_E_clISt17integral_constantIbLb0EES11_EEDaSW_SX_EUlSW_E_NS1_11comp_targetILNS1_3genE10ELNS1_11target_archE1201ELNS1_3gpuE5ELNS1_3repE0EEENS1_30default_config_static_selectorELNS0_4arch9wavefront6targetE0EEEvT1_,"axG",@progbits,_ZN7rocprim17ROCPRIM_400000_NS6detail17trampoline_kernelINS0_14default_configENS1_29reduce_by_key_config_selectorIffN6thrust23THRUST_200600_302600_NS4plusIfEEEEZZNS1_33reduce_by_key_impl_wrapped_configILNS1_25lookback_scan_determinismE0ES3_S9_NS6_6detail15normal_iteratorINS6_10device_ptrIfEEEESG_SG_SG_PmS8_22is_equal_div_10_reduceIfEEE10hipError_tPvRmT2_T3_mT4_T5_T6_T7_T8_P12ihipStream_tbENKUlT_T0_E_clISt17integral_constantIbLb0EES11_EEDaSW_SX_EUlSW_E_NS1_11comp_targetILNS1_3genE10ELNS1_11target_archE1201ELNS1_3gpuE5ELNS1_3repE0EEENS1_30default_config_static_selectorELNS0_4arch9wavefront6targetE0EEEvT1_,comdat
	.protected	_ZN7rocprim17ROCPRIM_400000_NS6detail17trampoline_kernelINS0_14default_configENS1_29reduce_by_key_config_selectorIffN6thrust23THRUST_200600_302600_NS4plusIfEEEEZZNS1_33reduce_by_key_impl_wrapped_configILNS1_25lookback_scan_determinismE0ES3_S9_NS6_6detail15normal_iteratorINS6_10device_ptrIfEEEESG_SG_SG_PmS8_22is_equal_div_10_reduceIfEEE10hipError_tPvRmT2_T3_mT4_T5_T6_T7_T8_P12ihipStream_tbENKUlT_T0_E_clISt17integral_constantIbLb0EES11_EEDaSW_SX_EUlSW_E_NS1_11comp_targetILNS1_3genE10ELNS1_11target_archE1201ELNS1_3gpuE5ELNS1_3repE0EEENS1_30default_config_static_selectorELNS0_4arch9wavefront6targetE0EEEvT1_ ; -- Begin function _ZN7rocprim17ROCPRIM_400000_NS6detail17trampoline_kernelINS0_14default_configENS1_29reduce_by_key_config_selectorIffN6thrust23THRUST_200600_302600_NS4plusIfEEEEZZNS1_33reduce_by_key_impl_wrapped_configILNS1_25lookback_scan_determinismE0ES3_S9_NS6_6detail15normal_iteratorINS6_10device_ptrIfEEEESG_SG_SG_PmS8_22is_equal_div_10_reduceIfEEE10hipError_tPvRmT2_T3_mT4_T5_T6_T7_T8_P12ihipStream_tbENKUlT_T0_E_clISt17integral_constantIbLb0EES11_EEDaSW_SX_EUlSW_E_NS1_11comp_targetILNS1_3genE10ELNS1_11target_archE1201ELNS1_3gpuE5ELNS1_3repE0EEENS1_30default_config_static_selectorELNS0_4arch9wavefront6targetE0EEEvT1_
	.globl	_ZN7rocprim17ROCPRIM_400000_NS6detail17trampoline_kernelINS0_14default_configENS1_29reduce_by_key_config_selectorIffN6thrust23THRUST_200600_302600_NS4plusIfEEEEZZNS1_33reduce_by_key_impl_wrapped_configILNS1_25lookback_scan_determinismE0ES3_S9_NS6_6detail15normal_iteratorINS6_10device_ptrIfEEEESG_SG_SG_PmS8_22is_equal_div_10_reduceIfEEE10hipError_tPvRmT2_T3_mT4_T5_T6_T7_T8_P12ihipStream_tbENKUlT_T0_E_clISt17integral_constantIbLb0EES11_EEDaSW_SX_EUlSW_E_NS1_11comp_targetILNS1_3genE10ELNS1_11target_archE1201ELNS1_3gpuE5ELNS1_3repE0EEENS1_30default_config_static_selectorELNS0_4arch9wavefront6targetE0EEEvT1_
	.p2align	8
	.type	_ZN7rocprim17ROCPRIM_400000_NS6detail17trampoline_kernelINS0_14default_configENS1_29reduce_by_key_config_selectorIffN6thrust23THRUST_200600_302600_NS4plusIfEEEEZZNS1_33reduce_by_key_impl_wrapped_configILNS1_25lookback_scan_determinismE0ES3_S9_NS6_6detail15normal_iteratorINS6_10device_ptrIfEEEESG_SG_SG_PmS8_22is_equal_div_10_reduceIfEEE10hipError_tPvRmT2_T3_mT4_T5_T6_T7_T8_P12ihipStream_tbENKUlT_T0_E_clISt17integral_constantIbLb0EES11_EEDaSW_SX_EUlSW_E_NS1_11comp_targetILNS1_3genE10ELNS1_11target_archE1201ELNS1_3gpuE5ELNS1_3repE0EEENS1_30default_config_static_selectorELNS0_4arch9wavefront6targetE0EEEvT1_,@function
_ZN7rocprim17ROCPRIM_400000_NS6detail17trampoline_kernelINS0_14default_configENS1_29reduce_by_key_config_selectorIffN6thrust23THRUST_200600_302600_NS4plusIfEEEEZZNS1_33reduce_by_key_impl_wrapped_configILNS1_25lookback_scan_determinismE0ES3_S9_NS6_6detail15normal_iteratorINS6_10device_ptrIfEEEESG_SG_SG_PmS8_22is_equal_div_10_reduceIfEEE10hipError_tPvRmT2_T3_mT4_T5_T6_T7_T8_P12ihipStream_tbENKUlT_T0_E_clISt17integral_constantIbLb0EES11_EEDaSW_SX_EUlSW_E_NS1_11comp_targetILNS1_3genE10ELNS1_11target_archE1201ELNS1_3gpuE5ELNS1_3repE0EEENS1_30default_config_static_selectorELNS0_4arch9wavefront6targetE0EEEvT1_: ; @_ZN7rocprim17ROCPRIM_400000_NS6detail17trampoline_kernelINS0_14default_configENS1_29reduce_by_key_config_selectorIffN6thrust23THRUST_200600_302600_NS4plusIfEEEEZZNS1_33reduce_by_key_impl_wrapped_configILNS1_25lookback_scan_determinismE0ES3_S9_NS6_6detail15normal_iteratorINS6_10device_ptrIfEEEESG_SG_SG_PmS8_22is_equal_div_10_reduceIfEEE10hipError_tPvRmT2_T3_mT4_T5_T6_T7_T8_P12ihipStream_tbENKUlT_T0_E_clISt17integral_constantIbLb0EES11_EEDaSW_SX_EUlSW_E_NS1_11comp_targetILNS1_3genE10ELNS1_11target_archE1201ELNS1_3gpuE5ELNS1_3repE0EEENS1_30default_config_static_selectorELNS0_4arch9wavefront6targetE0EEEvT1_
; %bb.0:
	.section	.rodata,"a",@progbits
	.p2align	6, 0x0
	.amdhsa_kernel _ZN7rocprim17ROCPRIM_400000_NS6detail17trampoline_kernelINS0_14default_configENS1_29reduce_by_key_config_selectorIffN6thrust23THRUST_200600_302600_NS4plusIfEEEEZZNS1_33reduce_by_key_impl_wrapped_configILNS1_25lookback_scan_determinismE0ES3_S9_NS6_6detail15normal_iteratorINS6_10device_ptrIfEEEESG_SG_SG_PmS8_22is_equal_div_10_reduceIfEEE10hipError_tPvRmT2_T3_mT4_T5_T6_T7_T8_P12ihipStream_tbENKUlT_T0_E_clISt17integral_constantIbLb0EES11_EEDaSW_SX_EUlSW_E_NS1_11comp_targetILNS1_3genE10ELNS1_11target_archE1201ELNS1_3gpuE5ELNS1_3repE0EEENS1_30default_config_static_selectorELNS0_4arch9wavefront6targetE0EEEvT1_
		.amdhsa_group_segment_fixed_size 0
		.amdhsa_private_segment_fixed_size 0
		.amdhsa_kernarg_size 120
		.amdhsa_user_sgpr_count 15
		.amdhsa_user_sgpr_dispatch_ptr 0
		.amdhsa_user_sgpr_queue_ptr 0
		.amdhsa_user_sgpr_kernarg_segment_ptr 1
		.amdhsa_user_sgpr_dispatch_id 0
		.amdhsa_user_sgpr_private_segment_size 0
		.amdhsa_wavefront_size32 1
		.amdhsa_uses_dynamic_stack 0
		.amdhsa_enable_private_segment 0
		.amdhsa_system_sgpr_workgroup_id_x 1
		.amdhsa_system_sgpr_workgroup_id_y 0
		.amdhsa_system_sgpr_workgroup_id_z 0
		.amdhsa_system_sgpr_workgroup_info 0
		.amdhsa_system_vgpr_workitem_id 0
		.amdhsa_next_free_vgpr 1
		.amdhsa_next_free_sgpr 1
		.amdhsa_reserve_vcc 0
		.amdhsa_float_round_mode_32 0
		.amdhsa_float_round_mode_16_64 0
		.amdhsa_float_denorm_mode_32 3
		.amdhsa_float_denorm_mode_16_64 3
		.amdhsa_dx10_clamp 1
		.amdhsa_ieee_mode 1
		.amdhsa_fp16_overflow 0
		.amdhsa_workgroup_processor_mode 1
		.amdhsa_memory_ordered 1
		.amdhsa_forward_progress 0
		.amdhsa_shared_vgpr_count 0
		.amdhsa_exception_fp_ieee_invalid_op 0
		.amdhsa_exception_fp_denorm_src 0
		.amdhsa_exception_fp_ieee_div_zero 0
		.amdhsa_exception_fp_ieee_overflow 0
		.amdhsa_exception_fp_ieee_underflow 0
		.amdhsa_exception_fp_ieee_inexact 0
		.amdhsa_exception_int_div_zero 0
	.end_amdhsa_kernel
	.section	.text._ZN7rocprim17ROCPRIM_400000_NS6detail17trampoline_kernelINS0_14default_configENS1_29reduce_by_key_config_selectorIffN6thrust23THRUST_200600_302600_NS4plusIfEEEEZZNS1_33reduce_by_key_impl_wrapped_configILNS1_25lookback_scan_determinismE0ES3_S9_NS6_6detail15normal_iteratorINS6_10device_ptrIfEEEESG_SG_SG_PmS8_22is_equal_div_10_reduceIfEEE10hipError_tPvRmT2_T3_mT4_T5_T6_T7_T8_P12ihipStream_tbENKUlT_T0_E_clISt17integral_constantIbLb0EES11_EEDaSW_SX_EUlSW_E_NS1_11comp_targetILNS1_3genE10ELNS1_11target_archE1201ELNS1_3gpuE5ELNS1_3repE0EEENS1_30default_config_static_selectorELNS0_4arch9wavefront6targetE0EEEvT1_,"axG",@progbits,_ZN7rocprim17ROCPRIM_400000_NS6detail17trampoline_kernelINS0_14default_configENS1_29reduce_by_key_config_selectorIffN6thrust23THRUST_200600_302600_NS4plusIfEEEEZZNS1_33reduce_by_key_impl_wrapped_configILNS1_25lookback_scan_determinismE0ES3_S9_NS6_6detail15normal_iteratorINS6_10device_ptrIfEEEESG_SG_SG_PmS8_22is_equal_div_10_reduceIfEEE10hipError_tPvRmT2_T3_mT4_T5_T6_T7_T8_P12ihipStream_tbENKUlT_T0_E_clISt17integral_constantIbLb0EES11_EEDaSW_SX_EUlSW_E_NS1_11comp_targetILNS1_3genE10ELNS1_11target_archE1201ELNS1_3gpuE5ELNS1_3repE0EEENS1_30default_config_static_selectorELNS0_4arch9wavefront6targetE0EEEvT1_,comdat
.Lfunc_end205:
	.size	_ZN7rocprim17ROCPRIM_400000_NS6detail17trampoline_kernelINS0_14default_configENS1_29reduce_by_key_config_selectorIffN6thrust23THRUST_200600_302600_NS4plusIfEEEEZZNS1_33reduce_by_key_impl_wrapped_configILNS1_25lookback_scan_determinismE0ES3_S9_NS6_6detail15normal_iteratorINS6_10device_ptrIfEEEESG_SG_SG_PmS8_22is_equal_div_10_reduceIfEEE10hipError_tPvRmT2_T3_mT4_T5_T6_T7_T8_P12ihipStream_tbENKUlT_T0_E_clISt17integral_constantIbLb0EES11_EEDaSW_SX_EUlSW_E_NS1_11comp_targetILNS1_3genE10ELNS1_11target_archE1201ELNS1_3gpuE5ELNS1_3repE0EEENS1_30default_config_static_selectorELNS0_4arch9wavefront6targetE0EEEvT1_, .Lfunc_end205-_ZN7rocprim17ROCPRIM_400000_NS6detail17trampoline_kernelINS0_14default_configENS1_29reduce_by_key_config_selectorIffN6thrust23THRUST_200600_302600_NS4plusIfEEEEZZNS1_33reduce_by_key_impl_wrapped_configILNS1_25lookback_scan_determinismE0ES3_S9_NS6_6detail15normal_iteratorINS6_10device_ptrIfEEEESG_SG_SG_PmS8_22is_equal_div_10_reduceIfEEE10hipError_tPvRmT2_T3_mT4_T5_T6_T7_T8_P12ihipStream_tbENKUlT_T0_E_clISt17integral_constantIbLb0EES11_EEDaSW_SX_EUlSW_E_NS1_11comp_targetILNS1_3genE10ELNS1_11target_archE1201ELNS1_3gpuE5ELNS1_3repE0EEENS1_30default_config_static_selectorELNS0_4arch9wavefront6targetE0EEEvT1_
                                        ; -- End function
	.section	.AMDGPU.csdata,"",@progbits
; Kernel info:
; codeLenInByte = 0
; NumSgprs: 0
; NumVgprs: 0
; ScratchSize: 0
; MemoryBound: 0
; FloatMode: 240
; IeeeMode: 1
; LDSByteSize: 0 bytes/workgroup (compile time only)
; SGPRBlocks: 0
; VGPRBlocks: 0
; NumSGPRsForWavesPerEU: 1
; NumVGPRsForWavesPerEU: 1
; Occupancy: 16
; WaveLimiterHint : 0
; COMPUTE_PGM_RSRC2:SCRATCH_EN: 0
; COMPUTE_PGM_RSRC2:USER_SGPR: 15
; COMPUTE_PGM_RSRC2:TRAP_HANDLER: 0
; COMPUTE_PGM_RSRC2:TGID_X_EN: 1
; COMPUTE_PGM_RSRC2:TGID_Y_EN: 0
; COMPUTE_PGM_RSRC2:TGID_Z_EN: 0
; COMPUTE_PGM_RSRC2:TIDIG_COMP_CNT: 0
	.section	.text._ZN7rocprim17ROCPRIM_400000_NS6detail17trampoline_kernelINS0_14default_configENS1_29reduce_by_key_config_selectorIffN6thrust23THRUST_200600_302600_NS4plusIfEEEEZZNS1_33reduce_by_key_impl_wrapped_configILNS1_25lookback_scan_determinismE0ES3_S9_NS6_6detail15normal_iteratorINS6_10device_ptrIfEEEESG_SG_SG_PmS8_22is_equal_div_10_reduceIfEEE10hipError_tPvRmT2_T3_mT4_T5_T6_T7_T8_P12ihipStream_tbENKUlT_T0_E_clISt17integral_constantIbLb0EES11_EEDaSW_SX_EUlSW_E_NS1_11comp_targetILNS1_3genE10ELNS1_11target_archE1200ELNS1_3gpuE4ELNS1_3repE0EEENS1_30default_config_static_selectorELNS0_4arch9wavefront6targetE0EEEvT1_,"axG",@progbits,_ZN7rocprim17ROCPRIM_400000_NS6detail17trampoline_kernelINS0_14default_configENS1_29reduce_by_key_config_selectorIffN6thrust23THRUST_200600_302600_NS4plusIfEEEEZZNS1_33reduce_by_key_impl_wrapped_configILNS1_25lookback_scan_determinismE0ES3_S9_NS6_6detail15normal_iteratorINS6_10device_ptrIfEEEESG_SG_SG_PmS8_22is_equal_div_10_reduceIfEEE10hipError_tPvRmT2_T3_mT4_T5_T6_T7_T8_P12ihipStream_tbENKUlT_T0_E_clISt17integral_constantIbLb0EES11_EEDaSW_SX_EUlSW_E_NS1_11comp_targetILNS1_3genE10ELNS1_11target_archE1200ELNS1_3gpuE4ELNS1_3repE0EEENS1_30default_config_static_selectorELNS0_4arch9wavefront6targetE0EEEvT1_,comdat
	.protected	_ZN7rocprim17ROCPRIM_400000_NS6detail17trampoline_kernelINS0_14default_configENS1_29reduce_by_key_config_selectorIffN6thrust23THRUST_200600_302600_NS4plusIfEEEEZZNS1_33reduce_by_key_impl_wrapped_configILNS1_25lookback_scan_determinismE0ES3_S9_NS6_6detail15normal_iteratorINS6_10device_ptrIfEEEESG_SG_SG_PmS8_22is_equal_div_10_reduceIfEEE10hipError_tPvRmT2_T3_mT4_T5_T6_T7_T8_P12ihipStream_tbENKUlT_T0_E_clISt17integral_constantIbLb0EES11_EEDaSW_SX_EUlSW_E_NS1_11comp_targetILNS1_3genE10ELNS1_11target_archE1200ELNS1_3gpuE4ELNS1_3repE0EEENS1_30default_config_static_selectorELNS0_4arch9wavefront6targetE0EEEvT1_ ; -- Begin function _ZN7rocprim17ROCPRIM_400000_NS6detail17trampoline_kernelINS0_14default_configENS1_29reduce_by_key_config_selectorIffN6thrust23THRUST_200600_302600_NS4plusIfEEEEZZNS1_33reduce_by_key_impl_wrapped_configILNS1_25lookback_scan_determinismE0ES3_S9_NS6_6detail15normal_iteratorINS6_10device_ptrIfEEEESG_SG_SG_PmS8_22is_equal_div_10_reduceIfEEE10hipError_tPvRmT2_T3_mT4_T5_T6_T7_T8_P12ihipStream_tbENKUlT_T0_E_clISt17integral_constantIbLb0EES11_EEDaSW_SX_EUlSW_E_NS1_11comp_targetILNS1_3genE10ELNS1_11target_archE1200ELNS1_3gpuE4ELNS1_3repE0EEENS1_30default_config_static_selectorELNS0_4arch9wavefront6targetE0EEEvT1_
	.globl	_ZN7rocprim17ROCPRIM_400000_NS6detail17trampoline_kernelINS0_14default_configENS1_29reduce_by_key_config_selectorIffN6thrust23THRUST_200600_302600_NS4plusIfEEEEZZNS1_33reduce_by_key_impl_wrapped_configILNS1_25lookback_scan_determinismE0ES3_S9_NS6_6detail15normal_iteratorINS6_10device_ptrIfEEEESG_SG_SG_PmS8_22is_equal_div_10_reduceIfEEE10hipError_tPvRmT2_T3_mT4_T5_T6_T7_T8_P12ihipStream_tbENKUlT_T0_E_clISt17integral_constantIbLb0EES11_EEDaSW_SX_EUlSW_E_NS1_11comp_targetILNS1_3genE10ELNS1_11target_archE1200ELNS1_3gpuE4ELNS1_3repE0EEENS1_30default_config_static_selectorELNS0_4arch9wavefront6targetE0EEEvT1_
	.p2align	8
	.type	_ZN7rocprim17ROCPRIM_400000_NS6detail17trampoline_kernelINS0_14default_configENS1_29reduce_by_key_config_selectorIffN6thrust23THRUST_200600_302600_NS4plusIfEEEEZZNS1_33reduce_by_key_impl_wrapped_configILNS1_25lookback_scan_determinismE0ES3_S9_NS6_6detail15normal_iteratorINS6_10device_ptrIfEEEESG_SG_SG_PmS8_22is_equal_div_10_reduceIfEEE10hipError_tPvRmT2_T3_mT4_T5_T6_T7_T8_P12ihipStream_tbENKUlT_T0_E_clISt17integral_constantIbLb0EES11_EEDaSW_SX_EUlSW_E_NS1_11comp_targetILNS1_3genE10ELNS1_11target_archE1200ELNS1_3gpuE4ELNS1_3repE0EEENS1_30default_config_static_selectorELNS0_4arch9wavefront6targetE0EEEvT1_,@function
_ZN7rocprim17ROCPRIM_400000_NS6detail17trampoline_kernelINS0_14default_configENS1_29reduce_by_key_config_selectorIffN6thrust23THRUST_200600_302600_NS4plusIfEEEEZZNS1_33reduce_by_key_impl_wrapped_configILNS1_25lookback_scan_determinismE0ES3_S9_NS6_6detail15normal_iteratorINS6_10device_ptrIfEEEESG_SG_SG_PmS8_22is_equal_div_10_reduceIfEEE10hipError_tPvRmT2_T3_mT4_T5_T6_T7_T8_P12ihipStream_tbENKUlT_T0_E_clISt17integral_constantIbLb0EES11_EEDaSW_SX_EUlSW_E_NS1_11comp_targetILNS1_3genE10ELNS1_11target_archE1200ELNS1_3gpuE4ELNS1_3repE0EEENS1_30default_config_static_selectorELNS0_4arch9wavefront6targetE0EEEvT1_: ; @_ZN7rocprim17ROCPRIM_400000_NS6detail17trampoline_kernelINS0_14default_configENS1_29reduce_by_key_config_selectorIffN6thrust23THRUST_200600_302600_NS4plusIfEEEEZZNS1_33reduce_by_key_impl_wrapped_configILNS1_25lookback_scan_determinismE0ES3_S9_NS6_6detail15normal_iteratorINS6_10device_ptrIfEEEESG_SG_SG_PmS8_22is_equal_div_10_reduceIfEEE10hipError_tPvRmT2_T3_mT4_T5_T6_T7_T8_P12ihipStream_tbENKUlT_T0_E_clISt17integral_constantIbLb0EES11_EEDaSW_SX_EUlSW_E_NS1_11comp_targetILNS1_3genE10ELNS1_11target_archE1200ELNS1_3gpuE4ELNS1_3repE0EEENS1_30default_config_static_selectorELNS0_4arch9wavefront6targetE0EEEvT1_
; %bb.0:
	.section	.rodata,"a",@progbits
	.p2align	6, 0x0
	.amdhsa_kernel _ZN7rocprim17ROCPRIM_400000_NS6detail17trampoline_kernelINS0_14default_configENS1_29reduce_by_key_config_selectorIffN6thrust23THRUST_200600_302600_NS4plusIfEEEEZZNS1_33reduce_by_key_impl_wrapped_configILNS1_25lookback_scan_determinismE0ES3_S9_NS6_6detail15normal_iteratorINS6_10device_ptrIfEEEESG_SG_SG_PmS8_22is_equal_div_10_reduceIfEEE10hipError_tPvRmT2_T3_mT4_T5_T6_T7_T8_P12ihipStream_tbENKUlT_T0_E_clISt17integral_constantIbLb0EES11_EEDaSW_SX_EUlSW_E_NS1_11comp_targetILNS1_3genE10ELNS1_11target_archE1200ELNS1_3gpuE4ELNS1_3repE0EEENS1_30default_config_static_selectorELNS0_4arch9wavefront6targetE0EEEvT1_
		.amdhsa_group_segment_fixed_size 0
		.amdhsa_private_segment_fixed_size 0
		.amdhsa_kernarg_size 120
		.amdhsa_user_sgpr_count 15
		.amdhsa_user_sgpr_dispatch_ptr 0
		.amdhsa_user_sgpr_queue_ptr 0
		.amdhsa_user_sgpr_kernarg_segment_ptr 1
		.amdhsa_user_sgpr_dispatch_id 0
		.amdhsa_user_sgpr_private_segment_size 0
		.amdhsa_wavefront_size32 1
		.amdhsa_uses_dynamic_stack 0
		.amdhsa_enable_private_segment 0
		.amdhsa_system_sgpr_workgroup_id_x 1
		.amdhsa_system_sgpr_workgroup_id_y 0
		.amdhsa_system_sgpr_workgroup_id_z 0
		.amdhsa_system_sgpr_workgroup_info 0
		.amdhsa_system_vgpr_workitem_id 0
		.amdhsa_next_free_vgpr 1
		.amdhsa_next_free_sgpr 1
		.amdhsa_reserve_vcc 0
		.amdhsa_float_round_mode_32 0
		.amdhsa_float_round_mode_16_64 0
		.amdhsa_float_denorm_mode_32 3
		.amdhsa_float_denorm_mode_16_64 3
		.amdhsa_dx10_clamp 1
		.amdhsa_ieee_mode 1
		.amdhsa_fp16_overflow 0
		.amdhsa_workgroup_processor_mode 1
		.amdhsa_memory_ordered 1
		.amdhsa_forward_progress 0
		.amdhsa_shared_vgpr_count 0
		.amdhsa_exception_fp_ieee_invalid_op 0
		.amdhsa_exception_fp_denorm_src 0
		.amdhsa_exception_fp_ieee_div_zero 0
		.amdhsa_exception_fp_ieee_overflow 0
		.amdhsa_exception_fp_ieee_underflow 0
		.amdhsa_exception_fp_ieee_inexact 0
		.amdhsa_exception_int_div_zero 0
	.end_amdhsa_kernel
	.section	.text._ZN7rocprim17ROCPRIM_400000_NS6detail17trampoline_kernelINS0_14default_configENS1_29reduce_by_key_config_selectorIffN6thrust23THRUST_200600_302600_NS4plusIfEEEEZZNS1_33reduce_by_key_impl_wrapped_configILNS1_25lookback_scan_determinismE0ES3_S9_NS6_6detail15normal_iteratorINS6_10device_ptrIfEEEESG_SG_SG_PmS8_22is_equal_div_10_reduceIfEEE10hipError_tPvRmT2_T3_mT4_T5_T6_T7_T8_P12ihipStream_tbENKUlT_T0_E_clISt17integral_constantIbLb0EES11_EEDaSW_SX_EUlSW_E_NS1_11comp_targetILNS1_3genE10ELNS1_11target_archE1200ELNS1_3gpuE4ELNS1_3repE0EEENS1_30default_config_static_selectorELNS0_4arch9wavefront6targetE0EEEvT1_,"axG",@progbits,_ZN7rocprim17ROCPRIM_400000_NS6detail17trampoline_kernelINS0_14default_configENS1_29reduce_by_key_config_selectorIffN6thrust23THRUST_200600_302600_NS4plusIfEEEEZZNS1_33reduce_by_key_impl_wrapped_configILNS1_25lookback_scan_determinismE0ES3_S9_NS6_6detail15normal_iteratorINS6_10device_ptrIfEEEESG_SG_SG_PmS8_22is_equal_div_10_reduceIfEEE10hipError_tPvRmT2_T3_mT4_T5_T6_T7_T8_P12ihipStream_tbENKUlT_T0_E_clISt17integral_constantIbLb0EES11_EEDaSW_SX_EUlSW_E_NS1_11comp_targetILNS1_3genE10ELNS1_11target_archE1200ELNS1_3gpuE4ELNS1_3repE0EEENS1_30default_config_static_selectorELNS0_4arch9wavefront6targetE0EEEvT1_,comdat
.Lfunc_end206:
	.size	_ZN7rocprim17ROCPRIM_400000_NS6detail17trampoline_kernelINS0_14default_configENS1_29reduce_by_key_config_selectorIffN6thrust23THRUST_200600_302600_NS4plusIfEEEEZZNS1_33reduce_by_key_impl_wrapped_configILNS1_25lookback_scan_determinismE0ES3_S9_NS6_6detail15normal_iteratorINS6_10device_ptrIfEEEESG_SG_SG_PmS8_22is_equal_div_10_reduceIfEEE10hipError_tPvRmT2_T3_mT4_T5_T6_T7_T8_P12ihipStream_tbENKUlT_T0_E_clISt17integral_constantIbLb0EES11_EEDaSW_SX_EUlSW_E_NS1_11comp_targetILNS1_3genE10ELNS1_11target_archE1200ELNS1_3gpuE4ELNS1_3repE0EEENS1_30default_config_static_selectorELNS0_4arch9wavefront6targetE0EEEvT1_, .Lfunc_end206-_ZN7rocprim17ROCPRIM_400000_NS6detail17trampoline_kernelINS0_14default_configENS1_29reduce_by_key_config_selectorIffN6thrust23THRUST_200600_302600_NS4plusIfEEEEZZNS1_33reduce_by_key_impl_wrapped_configILNS1_25lookback_scan_determinismE0ES3_S9_NS6_6detail15normal_iteratorINS6_10device_ptrIfEEEESG_SG_SG_PmS8_22is_equal_div_10_reduceIfEEE10hipError_tPvRmT2_T3_mT4_T5_T6_T7_T8_P12ihipStream_tbENKUlT_T0_E_clISt17integral_constantIbLb0EES11_EEDaSW_SX_EUlSW_E_NS1_11comp_targetILNS1_3genE10ELNS1_11target_archE1200ELNS1_3gpuE4ELNS1_3repE0EEENS1_30default_config_static_selectorELNS0_4arch9wavefront6targetE0EEEvT1_
                                        ; -- End function
	.section	.AMDGPU.csdata,"",@progbits
; Kernel info:
; codeLenInByte = 0
; NumSgprs: 0
; NumVgprs: 0
; ScratchSize: 0
; MemoryBound: 0
; FloatMode: 240
; IeeeMode: 1
; LDSByteSize: 0 bytes/workgroup (compile time only)
; SGPRBlocks: 0
; VGPRBlocks: 0
; NumSGPRsForWavesPerEU: 1
; NumVGPRsForWavesPerEU: 1
; Occupancy: 16
; WaveLimiterHint : 0
; COMPUTE_PGM_RSRC2:SCRATCH_EN: 0
; COMPUTE_PGM_RSRC2:USER_SGPR: 15
; COMPUTE_PGM_RSRC2:TRAP_HANDLER: 0
; COMPUTE_PGM_RSRC2:TGID_X_EN: 1
; COMPUTE_PGM_RSRC2:TGID_Y_EN: 0
; COMPUTE_PGM_RSRC2:TGID_Z_EN: 0
; COMPUTE_PGM_RSRC2:TIDIG_COMP_CNT: 0
	.section	.text._ZN7rocprim17ROCPRIM_400000_NS6detail17trampoline_kernelINS0_14default_configENS1_29reduce_by_key_config_selectorIffN6thrust23THRUST_200600_302600_NS4plusIfEEEEZZNS1_33reduce_by_key_impl_wrapped_configILNS1_25lookback_scan_determinismE0ES3_S9_NS6_6detail15normal_iteratorINS6_10device_ptrIfEEEESG_SG_SG_PmS8_22is_equal_div_10_reduceIfEEE10hipError_tPvRmT2_T3_mT4_T5_T6_T7_T8_P12ihipStream_tbENKUlT_T0_E_clISt17integral_constantIbLb0EES11_EEDaSW_SX_EUlSW_E_NS1_11comp_targetILNS1_3genE9ELNS1_11target_archE1100ELNS1_3gpuE3ELNS1_3repE0EEENS1_30default_config_static_selectorELNS0_4arch9wavefront6targetE0EEEvT1_,"axG",@progbits,_ZN7rocprim17ROCPRIM_400000_NS6detail17trampoline_kernelINS0_14default_configENS1_29reduce_by_key_config_selectorIffN6thrust23THRUST_200600_302600_NS4plusIfEEEEZZNS1_33reduce_by_key_impl_wrapped_configILNS1_25lookback_scan_determinismE0ES3_S9_NS6_6detail15normal_iteratorINS6_10device_ptrIfEEEESG_SG_SG_PmS8_22is_equal_div_10_reduceIfEEE10hipError_tPvRmT2_T3_mT4_T5_T6_T7_T8_P12ihipStream_tbENKUlT_T0_E_clISt17integral_constantIbLb0EES11_EEDaSW_SX_EUlSW_E_NS1_11comp_targetILNS1_3genE9ELNS1_11target_archE1100ELNS1_3gpuE3ELNS1_3repE0EEENS1_30default_config_static_selectorELNS0_4arch9wavefront6targetE0EEEvT1_,comdat
	.protected	_ZN7rocprim17ROCPRIM_400000_NS6detail17trampoline_kernelINS0_14default_configENS1_29reduce_by_key_config_selectorIffN6thrust23THRUST_200600_302600_NS4plusIfEEEEZZNS1_33reduce_by_key_impl_wrapped_configILNS1_25lookback_scan_determinismE0ES3_S9_NS6_6detail15normal_iteratorINS6_10device_ptrIfEEEESG_SG_SG_PmS8_22is_equal_div_10_reduceIfEEE10hipError_tPvRmT2_T3_mT4_T5_T6_T7_T8_P12ihipStream_tbENKUlT_T0_E_clISt17integral_constantIbLb0EES11_EEDaSW_SX_EUlSW_E_NS1_11comp_targetILNS1_3genE9ELNS1_11target_archE1100ELNS1_3gpuE3ELNS1_3repE0EEENS1_30default_config_static_selectorELNS0_4arch9wavefront6targetE0EEEvT1_ ; -- Begin function _ZN7rocprim17ROCPRIM_400000_NS6detail17trampoline_kernelINS0_14default_configENS1_29reduce_by_key_config_selectorIffN6thrust23THRUST_200600_302600_NS4plusIfEEEEZZNS1_33reduce_by_key_impl_wrapped_configILNS1_25lookback_scan_determinismE0ES3_S9_NS6_6detail15normal_iteratorINS6_10device_ptrIfEEEESG_SG_SG_PmS8_22is_equal_div_10_reduceIfEEE10hipError_tPvRmT2_T3_mT4_T5_T6_T7_T8_P12ihipStream_tbENKUlT_T0_E_clISt17integral_constantIbLb0EES11_EEDaSW_SX_EUlSW_E_NS1_11comp_targetILNS1_3genE9ELNS1_11target_archE1100ELNS1_3gpuE3ELNS1_3repE0EEENS1_30default_config_static_selectorELNS0_4arch9wavefront6targetE0EEEvT1_
	.globl	_ZN7rocprim17ROCPRIM_400000_NS6detail17trampoline_kernelINS0_14default_configENS1_29reduce_by_key_config_selectorIffN6thrust23THRUST_200600_302600_NS4plusIfEEEEZZNS1_33reduce_by_key_impl_wrapped_configILNS1_25lookback_scan_determinismE0ES3_S9_NS6_6detail15normal_iteratorINS6_10device_ptrIfEEEESG_SG_SG_PmS8_22is_equal_div_10_reduceIfEEE10hipError_tPvRmT2_T3_mT4_T5_T6_T7_T8_P12ihipStream_tbENKUlT_T0_E_clISt17integral_constantIbLb0EES11_EEDaSW_SX_EUlSW_E_NS1_11comp_targetILNS1_3genE9ELNS1_11target_archE1100ELNS1_3gpuE3ELNS1_3repE0EEENS1_30default_config_static_selectorELNS0_4arch9wavefront6targetE0EEEvT1_
	.p2align	8
	.type	_ZN7rocprim17ROCPRIM_400000_NS6detail17trampoline_kernelINS0_14default_configENS1_29reduce_by_key_config_selectorIffN6thrust23THRUST_200600_302600_NS4plusIfEEEEZZNS1_33reduce_by_key_impl_wrapped_configILNS1_25lookback_scan_determinismE0ES3_S9_NS6_6detail15normal_iteratorINS6_10device_ptrIfEEEESG_SG_SG_PmS8_22is_equal_div_10_reduceIfEEE10hipError_tPvRmT2_T3_mT4_T5_T6_T7_T8_P12ihipStream_tbENKUlT_T0_E_clISt17integral_constantIbLb0EES11_EEDaSW_SX_EUlSW_E_NS1_11comp_targetILNS1_3genE9ELNS1_11target_archE1100ELNS1_3gpuE3ELNS1_3repE0EEENS1_30default_config_static_selectorELNS0_4arch9wavefront6targetE0EEEvT1_,@function
_ZN7rocprim17ROCPRIM_400000_NS6detail17trampoline_kernelINS0_14default_configENS1_29reduce_by_key_config_selectorIffN6thrust23THRUST_200600_302600_NS4plusIfEEEEZZNS1_33reduce_by_key_impl_wrapped_configILNS1_25lookback_scan_determinismE0ES3_S9_NS6_6detail15normal_iteratorINS6_10device_ptrIfEEEESG_SG_SG_PmS8_22is_equal_div_10_reduceIfEEE10hipError_tPvRmT2_T3_mT4_T5_T6_T7_T8_P12ihipStream_tbENKUlT_T0_E_clISt17integral_constantIbLb0EES11_EEDaSW_SX_EUlSW_E_NS1_11comp_targetILNS1_3genE9ELNS1_11target_archE1100ELNS1_3gpuE3ELNS1_3repE0EEENS1_30default_config_static_selectorELNS0_4arch9wavefront6targetE0EEEvT1_: ; @_ZN7rocprim17ROCPRIM_400000_NS6detail17trampoline_kernelINS0_14default_configENS1_29reduce_by_key_config_selectorIffN6thrust23THRUST_200600_302600_NS4plusIfEEEEZZNS1_33reduce_by_key_impl_wrapped_configILNS1_25lookback_scan_determinismE0ES3_S9_NS6_6detail15normal_iteratorINS6_10device_ptrIfEEEESG_SG_SG_PmS8_22is_equal_div_10_reduceIfEEE10hipError_tPvRmT2_T3_mT4_T5_T6_T7_T8_P12ihipStream_tbENKUlT_T0_E_clISt17integral_constantIbLb0EES11_EEDaSW_SX_EUlSW_E_NS1_11comp_targetILNS1_3genE9ELNS1_11target_archE1100ELNS1_3gpuE3ELNS1_3repE0EEENS1_30default_config_static_selectorELNS0_4arch9wavefront6targetE0EEEvT1_
; %bb.0:
	s_clause 0x4
	s_load_b256 s[16:23], s[0:1], 0x0
	s_load_b256 s[24:31], s[0:1], 0x38
	s_load_b128 s[36:39], s[0:1], 0x20
	s_load_b64 s[34:35], s[0:1], 0x68
	s_load_b128 s[40:43], s[0:1], 0x58
	s_mov_b32 s3, 0
	s_mul_i32 s2, s15, 0xf00
	s_waitcnt lgkmcnt(0)
	s_lshl_b64 s[0:1], s[18:19], 2
	s_mul_i32 s4, s28, s27
	s_add_u32 s8, s16, s0
	s_mul_hi_u32 s5, s28, s26
	s_addc_u32 s9, s17, s1
	s_add_u32 s10, s20, s0
	s_mul_i32 s6, s29, s26
	s_addc_u32 s11, s21, s1
	s_add_i32 s4, s5, s4
	s_lshl_b64 s[0:1], s[2:3], 2
	s_add_i32 s4, s4, s6
	s_add_u32 s14, s8, s0
	s_addc_u32 s21, s9, s1
	s_mul_i32 s7, s28, s26
	s_add_u32 s20, s10, s0
	s_addc_u32 s29, s11, s1
	s_add_u32 s16, s7, s15
	s_addc_u32 s17, s4, 0
	s_add_u32 s0, s30, -1
	s_addc_u32 s1, s31, -1
	s_mul_i32 s19, s0, 0xfffff100
	s_cmp_eq_u64 s[16:17], s[0:1]
	s_cselect_b32 s18, -1, 0
	s_cmp_lg_u64 s[16:17], s[0:1]
	s_cselect_b32 s28, -1, 0
	s_and_b32 vcc_lo, exec_lo, s18
	s_cbranch_vccnz .LBB207_2
; %bb.1:
	v_lshlrev_b32_e32 v8, 2, v0
	s_delay_alu instid0(VALU_DEP_1) | instskip(NEXT) | instid1(VALU_DEP_1)
	v_add_co_u32 v1, s0, s14, v8
	v_add_co_ci_u32_e64 v2, null, s21, 0, s0
	s_delay_alu instid0(VALU_DEP_2) | instskip(NEXT) | instid1(VALU_DEP_2)
	v_add_co_u32 v3, vcc_lo, 0x1000, v1
	v_add_co_ci_u32_e32 v4, vcc_lo, 0, v2, vcc_lo
	s_clause 0x7
	flat_load_b32 v9, v[1:2]
	flat_load_b32 v10, v[1:2] offset:1024
	flat_load_b32 v11, v[1:2] offset:2048
	;; [unrolled: 1-line block ×3, first 2 shown]
	flat_load_b32 v13, v[3:4]
	flat_load_b32 v14, v[3:4] offset:1024
	flat_load_b32 v15, v[3:4] offset:2048
	;; [unrolled: 1-line block ×3, first 2 shown]
	v_add_co_u32 v3, vcc_lo, 0x2000, v1
	v_add_co_ci_u32_e32 v4, vcc_lo, 0, v2, vcc_lo
	v_add_co_u32 v1, vcc_lo, 0x3000, v1
	v_add_co_ci_u32_e32 v2, vcc_lo, 0, v2, vcc_lo
	s_clause 0x6
	flat_load_b32 v17, v[3:4]
	flat_load_b32 v18, v[3:4] offset:1024
	flat_load_b32 v19, v[3:4] offset:2048
	;; [unrolled: 1-line block ×3, first 2 shown]
	flat_load_b32 v21, v[1:2]
	flat_load_b32 v22, v[1:2] offset:1024
	flat_load_b32 v25, v[1:2] offset:2048
	v_add_co_u32 v2, s0, s20, v8
	s_delay_alu instid0(VALU_DEP_1) | instskip(SKIP_1) | instid1(VALU_DEP_3)
	v_add_co_ci_u32_e64 v3, null, s29, 0, s0
	v_mad_u32_u24 v1, v0, 56, v8
	v_add_co_u32 v4, vcc_lo, 0x1000, v2
	s_delay_alu instid0(VALU_DEP_3)
	v_add_co_ci_u32_e32 v5, vcc_lo, 0, v3, vcc_lo
	v_add_co_u32 v6, vcc_lo, 0x2000, v2
	v_add_co_ci_u32_e32 v7, vcc_lo, 0, v3, vcc_lo
	v_add_co_u32 v23, vcc_lo, 0x3000, v2
	v_add_co_ci_u32_e32 v24, vcc_lo, 0, v3, vcc_lo
	s_waitcnt vmcnt(13) lgkmcnt(13)
	ds_store_2addr_stride64_b32 v8, v9, v10 offset1:4
	s_waitcnt vmcnt(11) lgkmcnt(12)
	ds_store_2addr_stride64_b32 v8, v11, v12 offset0:8 offset1:12
	s_waitcnt vmcnt(9) lgkmcnt(11)
	ds_store_2addr_stride64_b32 v8, v13, v14 offset0:16 offset1:20
	;; [unrolled: 2-line block ×6, first 2 shown]
	s_waitcnt vmcnt(0) lgkmcnt(7)
	ds_store_b32 v8, v25 offset:14336
	s_waitcnt lgkmcnt(0)
	s_barrier
	buffer_gl0_inv
	ds_load_2addr_b32 v[21:22], v1 offset1:1
	ds_load_2addr_b32 v[19:20], v1 offset0:2 offset1:3
	ds_load_2addr_b32 v[17:18], v1 offset0:4 offset1:5
	;; [unrolled: 1-line block ×6, first 2 shown]
	ds_load_b32 v57, v1 offset:56
	s_waitcnt lgkmcnt(0)
	s_barrier
	buffer_gl0_inv
	s_clause 0xe
	flat_load_b32 v25, v[2:3]
	flat_load_b32 v26, v[2:3] offset:1024
	flat_load_b32 v27, v[2:3] offset:2048
	flat_load_b32 v2, v[2:3] offset:3072
	flat_load_b32 v3, v[4:5]
	flat_load_b32 v28, v[4:5] offset:1024
	flat_load_b32 v29, v[4:5] offset:2048
	flat_load_b32 v4, v[4:5] offset:3072
	;; [unrolled: 4-line block ×3, first 2 shown]
	flat_load_b32 v7, v[23:24]
	flat_load_b32 v32, v[23:24] offset:1024
	flat_load_b32 v23, v[23:24] offset:2048
	s_waitcnt vmcnt(13) lgkmcnt(13)
	ds_store_2addr_stride64_b32 v8, v25, v26 offset1:4
	s_waitcnt vmcnt(11) lgkmcnt(12)
	ds_store_2addr_stride64_b32 v8, v27, v2 offset0:8 offset1:12
	s_waitcnt vmcnt(9) lgkmcnt(11)
	ds_store_2addr_stride64_b32 v8, v3, v28 offset0:16 offset1:20
	;; [unrolled: 2-line block ×6, first 2 shown]
	s_waitcnt vmcnt(0) lgkmcnt(7)
	ds_store_b32 v8, v23 offset:14336
	s_waitcnt lgkmcnt(0)
	s_barrier
	s_and_not1_b32 vcc_lo, exec_lo, s3
	s_add_i32 s19, s19, s40
	s_cbranch_vccz .LBB207_3
	s_branch .LBB207_50
.LBB207_2:
                                        ; implicit-def: $vgpr1
                                        ; implicit-def: $vgpr21
                                        ; implicit-def: $vgpr19
                                        ; implicit-def: $vgpr17
                                        ; implicit-def: $vgpr15
                                        ; implicit-def: $vgpr13
                                        ; implicit-def: $vgpr11
                                        ; implicit-def: $vgpr9
                                        ; implicit-def: $vgpr57
	s_add_i32 s19, s19, s40
.LBB207_3:
	s_delay_alu instid0(SALU_CYCLE_1)
	v_cmp_gt_u32_e32 vcc_lo, s19, v0
                                        ; implicit-def: $vgpr1
	s_and_saveexec_b32 s0, vcc_lo
	s_cbranch_execz .LBB207_5
; %bb.4:
	v_lshlrev_b32_e32 v1, 2, v0
	s_delay_alu instid0(VALU_DEP_1) | instskip(NEXT) | instid1(VALU_DEP_1)
	v_add_co_u32 v1, s1, s14, v1
	v_add_co_ci_u32_e64 v2, null, s21, 0, s1
	flat_load_b32 v1, v[1:2]
.LBB207_5:
	s_or_b32 exec_lo, exec_lo, s0
	v_or_b32_e32 v2, 0x100, v0
                                        ; implicit-def: $vgpr9
	s_delay_alu instid0(VALU_DEP_1) | instskip(NEXT) | instid1(VALU_DEP_1)
	v_cmp_gt_u32_e64 s0, s19, v2
	s_and_saveexec_b32 s1, s0
	s_cbranch_execz .LBB207_7
; %bb.6:
	v_lshlrev_b32_e32 v2, 2, v0
	s_delay_alu instid0(VALU_DEP_1) | instskip(NEXT) | instid1(VALU_DEP_1)
	v_add_co_u32 v2, s2, s14, v2
	v_add_co_ci_u32_e64 v3, null, s21, 0, s2
	flat_load_b32 v9, v[2:3] offset:1024
.LBB207_7:
	s_or_b32 exec_lo, exec_lo, s1
	v_or_b32_e32 v2, 0x200, v0
                                        ; implicit-def: $vgpr10
	s_delay_alu instid0(VALU_DEP_1) | instskip(NEXT) | instid1(VALU_DEP_1)
	v_cmp_gt_u32_e64 s1, s19, v2
	s_and_saveexec_b32 s2, s1
	s_cbranch_execz .LBB207_9
; %bb.8:
	v_lshlrev_b32_e32 v2, 2, v0
	s_delay_alu instid0(VALU_DEP_1) | instskip(NEXT) | instid1(VALU_DEP_1)
	v_add_co_u32 v2, s3, s14, v2
	v_add_co_ci_u32_e64 v3, null, s21, 0, s3
	flat_load_b32 v10, v[2:3] offset:2048
.LBB207_9:
	s_or_b32 exec_lo, exec_lo, s2
	v_or_b32_e32 v2, 0x300, v0
                                        ; implicit-def: $vgpr11
	s_delay_alu instid0(VALU_DEP_1) | instskip(NEXT) | instid1(VALU_DEP_1)
	v_cmp_gt_u32_e64 s2, s19, v2
	s_and_saveexec_b32 s3, s2
	s_cbranch_execz .LBB207_11
; %bb.10:
	v_lshlrev_b32_e32 v2, 2, v0
	s_delay_alu instid0(VALU_DEP_1) | instskip(NEXT) | instid1(VALU_DEP_1)
	v_add_co_u32 v2, s4, s14, v2
	v_add_co_ci_u32_e64 v3, null, s21, 0, s4
	flat_load_b32 v11, v[2:3] offset:3072
.LBB207_11:
	s_or_b32 exec_lo, exec_lo, s3
	v_or_b32_e32 v2, 0x400, v0
                                        ; implicit-def: $vgpr12
	s_delay_alu instid0(VALU_DEP_1) | instskip(SKIP_1) | instid1(VALU_DEP_2)
	v_cmp_gt_u32_e64 s3, s19, v2
	v_lshlrev_b32_e32 v2, 2, v2
	s_and_saveexec_b32 s4, s3
	s_cbranch_execz .LBB207_13
; %bb.12:
	s_delay_alu instid0(VALU_DEP_1) | instskip(NEXT) | instid1(VALU_DEP_1)
	v_add_co_u32 v3, s5, s14, v2
	v_add_co_ci_u32_e64 v4, null, s21, 0, s5
	flat_load_b32 v12, v[3:4]
.LBB207_13:
	s_or_b32 exec_lo, exec_lo, s4
	v_or_b32_e32 v3, 0x500, v0
                                        ; implicit-def: $vgpr13
	s_delay_alu instid0(VALU_DEP_1) | instskip(SKIP_1) | instid1(VALU_DEP_2)
	v_cmp_gt_u32_e64 s4, s19, v3
	v_lshlrev_b32_e32 v3, 2, v3
	s_and_saveexec_b32 s5, s4
	s_cbranch_execz .LBB207_15
; %bb.14:
	s_delay_alu instid0(VALU_DEP_1) | instskip(NEXT) | instid1(VALU_DEP_1)
	v_add_co_u32 v4, s6, s14, v3
	v_add_co_ci_u32_e64 v5, null, s21, 0, s6
	flat_load_b32 v13, v[4:5]
.LBB207_15:
	s_or_b32 exec_lo, exec_lo, s5
	v_or_b32_e32 v4, 0x600, v0
                                        ; implicit-def: $vgpr14
	s_delay_alu instid0(VALU_DEP_1) | instskip(SKIP_1) | instid1(VALU_DEP_2)
	v_cmp_gt_u32_e64 s5, s19, v4
	v_lshlrev_b32_e32 v4, 2, v4
	s_and_saveexec_b32 s6, s5
	s_cbranch_execz .LBB207_17
; %bb.16:
	s_delay_alu instid0(VALU_DEP_1) | instskip(NEXT) | instid1(VALU_DEP_1)
	v_add_co_u32 v5, s7, s14, v4
	v_add_co_ci_u32_e64 v6, null, s21, 0, s7
	flat_load_b32 v14, v[5:6]
.LBB207_17:
	s_or_b32 exec_lo, exec_lo, s6
	v_or_b32_e32 v5, 0x700, v0
                                        ; implicit-def: $vgpr15
	s_delay_alu instid0(VALU_DEP_1) | instskip(SKIP_1) | instid1(VALU_DEP_2)
	v_cmp_gt_u32_e64 s6, s19, v5
	v_lshlrev_b32_e32 v5, 2, v5
	s_and_saveexec_b32 s7, s6
	s_cbranch_execz .LBB207_19
; %bb.18:
	s_delay_alu instid0(VALU_DEP_1) | instskip(NEXT) | instid1(VALU_DEP_1)
	v_add_co_u32 v6, s8, s14, v5
	v_add_co_ci_u32_e64 v7, null, s21, 0, s8
	flat_load_b32 v15, v[6:7]
.LBB207_19:
	s_or_b32 exec_lo, exec_lo, s7
	v_or_b32_e32 v6, 0x800, v0
                                        ; implicit-def: $vgpr16
	s_delay_alu instid0(VALU_DEP_1) | instskip(SKIP_1) | instid1(VALU_DEP_2)
	v_cmp_gt_u32_e64 s7, s19, v6
	v_lshlrev_b32_e32 v6, 2, v6
	s_and_saveexec_b32 s8, s7
	s_cbranch_execz .LBB207_21
; %bb.20:
	s_delay_alu instid0(VALU_DEP_1) | instskip(NEXT) | instid1(VALU_DEP_1)
	v_add_co_u32 v7, s9, s14, v6
	v_add_co_ci_u32_e64 v8, null, s21, 0, s9
	flat_load_b32 v16, v[7:8]
.LBB207_21:
	s_or_b32 exec_lo, exec_lo, s8
	v_or_b32_e32 v7, 0x900, v0
                                        ; implicit-def: $vgpr17
	s_delay_alu instid0(VALU_DEP_1) | instskip(SKIP_1) | instid1(VALU_DEP_2)
	v_cmp_gt_u32_e64 s8, s19, v7
	v_lshlrev_b32_e32 v7, 2, v7
	s_and_saveexec_b32 s9, s8
	s_cbranch_execz .LBB207_23
; %bb.22:
	s_delay_alu instid0(VALU_DEP_1) | instskip(NEXT) | instid1(VALU_DEP_1)
	v_add_co_u32 v17, s10, s14, v7
	v_add_co_ci_u32_e64 v18, null, s21, 0, s10
	flat_load_b32 v17, v[17:18]
.LBB207_23:
	s_or_b32 exec_lo, exec_lo, s9
	v_or_b32_e32 v8, 0xa00, v0
                                        ; implicit-def: $vgpr18
	s_delay_alu instid0(VALU_DEP_1) | instskip(SKIP_1) | instid1(VALU_DEP_2)
	v_cmp_gt_u32_e64 s9, s19, v8
	v_lshlrev_b32_e32 v23, 2, v8
	s_and_saveexec_b32 s10, s9
	s_cbranch_execz .LBB207_25
; %bb.24:
	s_delay_alu instid0(VALU_DEP_1) | instskip(NEXT) | instid1(VALU_DEP_1)
	v_add_co_u32 v18, s11, s14, v23
	v_add_co_ci_u32_e64 v19, null, s21, 0, s11
	flat_load_b32 v18, v[18:19]
.LBB207_25:
	s_or_b32 exec_lo, exec_lo, s10
	v_or_b32_e32 v8, 0xb00, v0
                                        ; implicit-def: $vgpr19
	s_delay_alu instid0(VALU_DEP_1) | instskip(SKIP_1) | instid1(VALU_DEP_2)
	v_cmp_gt_u32_e64 s10, s19, v8
	v_lshlrev_b32_e32 v24, 2, v8
	s_and_saveexec_b32 s11, s10
	s_cbranch_execz .LBB207_27
; %bb.26:
	s_delay_alu instid0(VALU_DEP_1) | instskip(NEXT) | instid1(VALU_DEP_1)
	v_add_co_u32 v19, s12, s14, v24
	v_add_co_ci_u32_e64 v20, null, s21, 0, s12
	flat_load_b32 v19, v[19:20]
.LBB207_27:
	s_or_b32 exec_lo, exec_lo, s11
	v_or_b32_e32 v8, 0xc00, v0
                                        ; implicit-def: $vgpr20
	s_delay_alu instid0(VALU_DEP_1) | instskip(SKIP_1) | instid1(VALU_DEP_2)
	v_cmp_gt_u32_e64 s11, s19, v8
	v_lshlrev_b32_e32 v25, 2, v8
	s_and_saveexec_b32 s12, s11
	s_cbranch_execz .LBB207_29
; %bb.28:
	s_delay_alu instid0(VALU_DEP_1) | instskip(NEXT) | instid1(VALU_DEP_1)
	v_add_co_u32 v20, s13, s14, v25
	v_add_co_ci_u32_e64 v21, null, s21, 0, s13
	flat_load_b32 v20, v[20:21]
.LBB207_29:
	s_or_b32 exec_lo, exec_lo, s12
	v_or_b32_e32 v8, 0xd00, v0
                                        ; implicit-def: $vgpr21
	s_delay_alu instid0(VALU_DEP_1) | instskip(SKIP_1) | instid1(VALU_DEP_2)
	v_cmp_gt_u32_e64 s12, s19, v8
	v_lshlrev_b32_e32 v26, 2, v8
	s_and_saveexec_b32 s13, s12
	s_cbranch_execz .LBB207_31
; %bb.30:
	s_delay_alu instid0(VALU_DEP_1) | instskip(NEXT) | instid1(VALU_DEP_1)
	v_add_co_u32 v21, s30, s14, v26
	v_add_co_ci_u32_e64 v22, null, s21, 0, s30
	flat_load_b32 v21, v[21:22]
.LBB207_31:
	s_or_b32 exec_lo, exec_lo, s13
	v_or_b32_e32 v8, 0xe00, v0
                                        ; implicit-def: $vgpr22
	s_delay_alu instid0(VALU_DEP_1) | instskip(SKIP_1) | instid1(VALU_DEP_2)
	v_cmp_gt_u32_e64 s13, s19, v8
	v_lshlrev_b32_e32 v27, 2, v8
	s_and_saveexec_b32 s30, s13
	s_cbranch_execz .LBB207_33
; %bb.32:
	s_delay_alu instid0(VALU_DEP_1) | instskip(NEXT) | instid1(VALU_DEP_1)
	v_add_co_u32 v28, s31, s14, v27
	v_add_co_ci_u32_e64 v29, null, s21, 0, s31
	flat_load_b32 v22, v[28:29]
.LBB207_33:
	s_or_b32 exec_lo, exec_lo, s30
	v_lshlrev_b32_e32 v8, 2, v0
                                        ; implicit-def: $vgpr28
	s_waitcnt vmcnt(0) lgkmcnt(0)
	ds_store_2addr_stride64_b32 v8, v1, v9 offset1:4
	ds_store_2addr_stride64_b32 v8, v10, v11 offset0:8 offset1:12
	ds_store_2addr_stride64_b32 v8, v12, v13 offset0:16 offset1:20
	;; [unrolled: 1-line block ×6, first 2 shown]
	v_mad_u32_u24 v1, v0, 56, v8
	ds_store_b32 v8, v22 offset:14336
	s_waitcnt lgkmcnt(0)
	s_barrier
	buffer_gl0_inv
	ds_load_2addr_b32 v[21:22], v1 offset1:1
	ds_load_2addr_b32 v[19:20], v1 offset0:2 offset1:3
	ds_load_2addr_b32 v[17:18], v1 offset0:4 offset1:5
	;; [unrolled: 1-line block ×6, first 2 shown]
	ds_load_b32 v57, v1 offset:56
	s_waitcnt lgkmcnt(0)
	s_barrier
	buffer_gl0_inv
	s_and_saveexec_b32 s30, vcc_lo
	s_cbranch_execnz .LBB207_57
; %bb.34:
	s_or_b32 exec_lo, exec_lo, s30
                                        ; implicit-def: $vgpr29
	s_and_saveexec_b32 s30, s0
	s_cbranch_execnz .LBB207_58
.LBB207_35:
	s_or_b32 exec_lo, exec_lo, s30
                                        ; implicit-def: $vgpr30
	s_and_saveexec_b32 s0, s1
	s_cbranch_execnz .LBB207_59
.LBB207_36:
	s_or_b32 exec_lo, exec_lo, s0
                                        ; implicit-def: $vgpr31
	s_and_saveexec_b32 s0, s2
	s_cbranch_execnz .LBB207_60
.LBB207_37:
	s_or_b32 exec_lo, exec_lo, s0
                                        ; implicit-def: $vgpr32
	s_and_saveexec_b32 s0, s3
	s_cbranch_execnz .LBB207_61
.LBB207_38:
	s_or_b32 exec_lo, exec_lo, s0
                                        ; implicit-def: $vgpr2
	s_and_saveexec_b32 s0, s4
	s_cbranch_execnz .LBB207_62
.LBB207_39:
	s_or_b32 exec_lo, exec_lo, s0
                                        ; implicit-def: $vgpr3
	s_and_saveexec_b32 s0, s5
	s_cbranch_execnz .LBB207_63
.LBB207_40:
	s_or_b32 exec_lo, exec_lo, s0
                                        ; implicit-def: $vgpr4
	s_and_saveexec_b32 s0, s6
	s_cbranch_execnz .LBB207_64
.LBB207_41:
	s_or_b32 exec_lo, exec_lo, s0
                                        ; implicit-def: $vgpr5
	s_and_saveexec_b32 s0, s7
	s_cbranch_execnz .LBB207_65
.LBB207_42:
	s_or_b32 exec_lo, exec_lo, s0
                                        ; implicit-def: $vgpr6
	s_and_saveexec_b32 s0, s8
	s_cbranch_execnz .LBB207_66
.LBB207_43:
	s_or_b32 exec_lo, exec_lo, s0
                                        ; implicit-def: $vgpr7
	s_and_saveexec_b32 s0, s9
	s_cbranch_execnz .LBB207_67
.LBB207_44:
	s_or_b32 exec_lo, exec_lo, s0
                                        ; implicit-def: $vgpr23
	s_and_saveexec_b32 s0, s10
	s_cbranch_execnz .LBB207_68
.LBB207_45:
	s_or_b32 exec_lo, exec_lo, s0
                                        ; implicit-def: $vgpr24
	s_and_saveexec_b32 s0, s11
	s_cbranch_execnz .LBB207_69
.LBB207_46:
	s_or_b32 exec_lo, exec_lo, s0
                                        ; implicit-def: $vgpr25
	s_and_saveexec_b32 s0, s12
	s_cbranch_execnz .LBB207_70
.LBB207_47:
	s_or_b32 exec_lo, exec_lo, s0
                                        ; implicit-def: $vgpr26
	s_and_saveexec_b32 s0, s13
	s_cbranch_execz .LBB207_49
.LBB207_48:
	v_add_co_u32 v26, s1, s20, v27
	s_delay_alu instid0(VALU_DEP_1)
	v_add_co_ci_u32_e64 v27, null, s29, 0, s1
	flat_load_b32 v26, v[26:27]
.LBB207_49:
	s_or_b32 exec_lo, exec_lo, s0
	s_waitcnt vmcnt(0) lgkmcnt(0)
	ds_store_2addr_stride64_b32 v8, v28, v29 offset1:4
	ds_store_2addr_stride64_b32 v8, v30, v31 offset0:8 offset1:12
	ds_store_2addr_stride64_b32 v8, v32, v2 offset0:16 offset1:20
	;; [unrolled: 1-line block ×6, first 2 shown]
	ds_store_b32 v8, v26 offset:14336
	s_waitcnt lgkmcnt(0)
	s_barrier
.LBB207_50:
	buffer_gl0_inv
	ds_load_2addr_b32 v[47:48], v1 offset1:1
	ds_load_2addr_b32 v[45:46], v1 offset0:2 offset1:3
	ds_load_2addr_b32 v[43:44], v1 offset0:4 offset1:5
	ds_load_2addr_b32 v[41:42], v1 offset0:6 offset1:7
	ds_load_2addr_b32 v[39:40], v1 offset0:8 offset1:9
	ds_load_2addr_b32 v[37:38], v1 offset0:10 offset1:11
	ds_load_2addr_b32 v[35:36], v1 offset0:12 offset1:13
	ds_load_b32 v60, v1 offset:56
	s_cmp_eq_u64 s[16:17], 0
	s_waitcnt lgkmcnt(0)
	s_cselect_b32 s20, -1, 0
	s_cmp_lg_u64 s[16:17], 0
	s_barrier
	s_cselect_b32 s29, -1, 0
	s_and_b32 vcc_lo, exec_lo, s28
	buffer_gl0_inv
	s_cbranch_vccz .LBB207_56
; %bb.51:
	s_and_b32 vcc_lo, exec_lo, s29
	s_cbranch_vccz .LBB207_71
; %bb.52:
	v_add_co_u32 v1, s0, -4, s14
	s_delay_alu instid0(VALU_DEP_1)
	v_add_co_ci_u32_e64 v2, null, -1, s21, s0
	v_cvt_i32_f32_e32 v4, v57
	v_cvt_i32_f32_e32 v5, v9
	;; [unrolled: 1-line block ×3, first 2 shown]
	flat_load_b32 v1, v[1:2]
	v_cvt_i32_f32_e32 v2, v10
	v_mul_hi_i32 v4, 0x66666667, v4
	v_mul_hi_i32 v5, 0x66666667, v5
	;; [unrolled: 1-line block ×3, first 2 shown]
	v_cvt_i32_f32_e32 v23, v11
	v_mul_hi_i32 v3, 0x66666667, v2
	v_cvt_i32_f32_e32 v25, v18
	v_lshlrev_b32_e32 v2, 2, v0
	s_mov_b32 s28, -1
	s_mov_b32 s30, 0
	v_lshrrev_b32_e32 v8, 31, v5
	v_ashrrev_i32_e32 v5, 2, v5
	v_lshrrev_b32_e32 v24, 31, v7
	v_lshrrev_b32_e32 v6, 31, v3
	v_ashrrev_i32_e32 v3, 2, v3
	v_ashrrev_i32_e32 v7, 2, v7
	v_add_nc_u32_e32 v5, v5, v8
	v_cvt_i32_f32_e32 v8, v14
	v_mul_hi_i32 v25, 0x66666667, v25
	v_add_nc_u32_e32 v3, v3, v6
	v_lshrrev_b32_e32 v6, 31, v4
	v_ashrrev_i32_e32 v4, 2, v4
	v_add_nc_u32_e32 v7, v7, v24
	s_mov_b32 s31, exec_lo
	v_cmp_ne_u32_e64 s0, v5, v3
	ds_store_b32 v2, v57
	v_add_nc_u32_e32 v4, v4, v6
	v_mul_hi_i32 v6, 0x66666667, v23
	v_cmp_ne_u32_e64 s1, v7, v5
	v_cvt_i32_f32_e32 v5, v16
	v_cvt_i32_f32_e32 v23, v15
	v_cmp_ne_u32_e32 vcc_lo, v3, v4
	v_cvt_i32_f32_e32 v3, v13
	v_mul_hi_i32 v4, 0x66666667, v8
	v_mul_hi_i32 v5, 0x66666667, v5
	v_lshrrev_b32_e32 v8, 31, v6
	v_ashrrev_i32_e32 v6, 2, v6
	v_mul_hi_i32 v3, 0x66666667, v3
	s_waitcnt vmcnt(0) lgkmcnt(0)
	s_barrier
	buffer_gl0_inv
	v_add_nc_u32_e32 v6, v6, v8
	v_mul_hi_i32 v8, 0x66666667, v23
	v_lshrrev_b32_e32 v24, 31, v4
	v_ashrrev_i32_e32 v4, 2, v4
	v_lshrrev_b32_e32 v23, 31, v3
	v_ashrrev_i32_e32 v3, 2, v3
	v_cmp_ne_u32_e64 s3, v6, v7
	v_ashrrev_i32_e32 v7, 2, v25
	v_add_nc_u32_e32 v4, v4, v24
	v_lshrrev_b32_e32 v24, 31, v5
	v_ashrrev_i32_e32 v5, 2, v5
	v_add_nc_u32_e32 v3, v3, v23
	v_lshrrev_b32_e32 v23, 31, v8
	v_ashrrev_i32_e32 v8, 2, v8
	v_cmp_ne_u32_e64 s4, v4, v6
	v_add_nc_u32_e32 v5, v5, v24
	v_cmp_ne_u32_e64 s5, v3, v4
	v_lshrrev_b32_e32 v6, 31, v25
	v_add_nc_u32_e32 v4, v8, v23
	v_cvt_i32_f32_e32 v8, v19
	v_cmp_ne_u32_e64 s2, v5, v3
	v_cvt_i32_f32_e32 v3, v17
	v_add_nc_u32_e32 v6, v7, v6
	v_cmp_ne_u32_e64 s6, v4, v5
	v_cvt_i32_f32_e32 v5, v20
	v_cvt_i32_f32_e32 v7, v22
	;; [unrolled: 1-line block ×3, first 2 shown]
	v_mul_hi_i32 v3, 0x66666667, v3
	v_mul_hi_i32 v8, 0x66666667, v8
	;; [unrolled: 1-line block ×3, first 2 shown]
	v_cmp_ne_u32_e64 s7, v6, v4
	v_mul_hi_i32 v4, 0x66666667, v7
	v_mul_hi_i32 v23, 0x66666667, v23
	v_lshrrev_b32_e32 v7, 31, v3
	v_ashrrev_i32_e32 v3, 2, v3
	v_lshrrev_b32_e32 v24, 31, v5
	v_ashrrev_i32_e32 v5, 2, v5
	;; [unrolled: 2-line block ×5, first 2 shown]
	v_add_nc_u32_e32 v7, v3, v7
	v_add_nc_u32_e32 v5, v5, v24
	;; [unrolled: 1-line block ×5, first 2 shown]
	v_cmp_ne_u32_e64 s12, v7, v6
	v_cmp_ne_u32_e64 s8, v5, v7
	;; [unrolled: 1-line block ×5, first 2 shown]
	v_cmpx_ne_u32_e32 0, v0
	s_cbranch_execz .LBB207_54
; %bb.53:
	v_add_nc_u32_e32 v1, -4, v2
	ds_load_b32 v1, v1
.LBB207_54:
	s_or_b32 exec_lo, exec_lo, s31
	s_waitcnt lgkmcnt(0)
	v_cvt_i32_f32_e32 v1, v1
	v_cndmask_b32_e64 v58, 0, 1, vcc_lo
	v_cndmask_b32_e64 v2, 0, 1, s0
	v_cndmask_b32_e64 v59, 0, 1, s1
	;; [unrolled: 1-line block ×3, first 2 shown]
	v_mul_hi_i32 v1, 0x66666667, v1
	v_cndmask_b32_e64 v23, 0, 1, s4
	v_cndmask_b32_e64 v26, 0, 1, s5
	;; [unrolled: 1-line block ×7, first 2 shown]
	v_lshrrev_b32_e32 v4, 31, v1
	v_ashrrev_i32_e32 v1, 2, v1
	v_cndmask_b32_e64 v34, 0, 1, s9
	v_cndmask_b32_e64 v33, 0, 1, s10
	;; [unrolled: 1-line block ×3, first 2 shown]
	s_delay_alu instid0(VALU_DEP_4) | instskip(NEXT) | instid1(VALU_DEP_1)
	v_add_nc_u32_e32 v1, v1, v4
	v_cmp_ne_u32_e64 s2, v1, v3
	s_and_b32 vcc_lo, exec_lo, s30
	s_cbranch_vccnz .LBB207_72
.LBB207_55:
                                        ; implicit-def: $sgpr0
	s_branch .LBB207_75
.LBB207_56:
	s_mov_b32 s28, 0
                                        ; implicit-def: $sgpr2
                                        ; implicit-def: $vgpr58
                                        ; implicit-def: $vgpr2
                                        ; implicit-def: $vgpr59
                                        ; implicit-def: $vgpr24
                                        ; implicit-def: $vgpr23
                                        ; implicit-def: $vgpr26
                                        ; implicit-def: $vgpr25
                                        ; implicit-def: $vgpr30
                                        ; implicit-def: $vgpr29
                                        ; implicit-def: $vgpr32
                                        ; implicit-def: $vgpr31
                                        ; implicit-def: $vgpr34
                                        ; implicit-def: $vgpr33
                                        ; implicit-def: $vgpr50
                                        ; implicit-def: $vgpr28
                                        ; implicit-def: $sgpr0
	s_cbranch_execnz .LBB207_76
	s_branch .LBB207_111
.LBB207_57:
	v_add_co_u32 v28, s31, s20, v8
	s_delay_alu instid0(VALU_DEP_1)
	v_add_co_ci_u32_e64 v29, null, s29, 0, s31
	flat_load_b32 v28, v[28:29]
	s_or_b32 exec_lo, exec_lo, s30
                                        ; implicit-def: $vgpr29
	s_and_saveexec_b32 s30, s0
	s_cbranch_execz .LBB207_35
.LBB207_58:
	v_add_co_u32 v29, s0, s20, v8
	s_delay_alu instid0(VALU_DEP_1)
	v_add_co_ci_u32_e64 v30, null, s29, 0, s0
	flat_load_b32 v29, v[29:30] offset:1024
	s_or_b32 exec_lo, exec_lo, s30
                                        ; implicit-def: $vgpr30
	s_and_saveexec_b32 s0, s1
	s_cbranch_execz .LBB207_36
.LBB207_59:
	v_add_co_u32 v30, s1, s20, v8
	s_delay_alu instid0(VALU_DEP_1)
	v_add_co_ci_u32_e64 v31, null, s29, 0, s1
	flat_load_b32 v30, v[30:31] offset:2048
	s_or_b32 exec_lo, exec_lo, s0
                                        ; implicit-def: $vgpr31
	s_and_saveexec_b32 s0, s2
	s_cbranch_execz .LBB207_37
.LBB207_60:
	v_add_co_u32 v31, s1, s20, v8
	s_delay_alu instid0(VALU_DEP_1)
	v_add_co_ci_u32_e64 v32, null, s29, 0, s1
	flat_load_b32 v31, v[31:32] offset:3072
	s_or_b32 exec_lo, exec_lo, s0
                                        ; implicit-def: $vgpr32
	s_and_saveexec_b32 s0, s3
	s_cbranch_execz .LBB207_38
.LBB207_61:
	v_add_co_u32 v32, s1, s20, v2
	s_delay_alu instid0(VALU_DEP_1)
	v_add_co_ci_u32_e64 v33, null, s29, 0, s1
	flat_load_b32 v32, v[32:33]
	s_or_b32 exec_lo, exec_lo, s0
                                        ; implicit-def: $vgpr2
	s_and_saveexec_b32 s0, s4
	s_cbranch_execz .LBB207_39
.LBB207_62:
	v_add_co_u32 v2, s1, s20, v3
	s_delay_alu instid0(VALU_DEP_1)
	v_add_co_ci_u32_e64 v3, null, s29, 0, s1
	flat_load_b32 v2, v[2:3]
	s_or_b32 exec_lo, exec_lo, s0
                                        ; implicit-def: $vgpr3
	s_and_saveexec_b32 s0, s5
	s_cbranch_execz .LBB207_40
.LBB207_63:
	v_add_co_u32 v3, s1, s20, v4
	s_delay_alu instid0(VALU_DEP_1)
	v_add_co_ci_u32_e64 v4, null, s29, 0, s1
	flat_load_b32 v3, v[3:4]
	s_or_b32 exec_lo, exec_lo, s0
                                        ; implicit-def: $vgpr4
	s_and_saveexec_b32 s0, s6
	s_cbranch_execz .LBB207_41
.LBB207_64:
	v_add_co_u32 v4, s1, s20, v5
	s_delay_alu instid0(VALU_DEP_1)
	v_add_co_ci_u32_e64 v5, null, s29, 0, s1
	flat_load_b32 v4, v[4:5]
	s_or_b32 exec_lo, exec_lo, s0
                                        ; implicit-def: $vgpr5
	s_and_saveexec_b32 s0, s7
	s_cbranch_execz .LBB207_42
.LBB207_65:
	v_add_co_u32 v5, s1, s20, v6
	s_delay_alu instid0(VALU_DEP_1)
	v_add_co_ci_u32_e64 v6, null, s29, 0, s1
	flat_load_b32 v5, v[5:6]
	s_or_b32 exec_lo, exec_lo, s0
                                        ; implicit-def: $vgpr6
	s_and_saveexec_b32 s0, s8
	s_cbranch_execz .LBB207_43
.LBB207_66:
	v_add_co_u32 v6, s1, s20, v7
	s_delay_alu instid0(VALU_DEP_1)
	v_add_co_ci_u32_e64 v7, null, s29, 0, s1
	flat_load_b32 v6, v[6:7]
	s_or_b32 exec_lo, exec_lo, s0
                                        ; implicit-def: $vgpr7
	s_and_saveexec_b32 s0, s9
	s_cbranch_execz .LBB207_44
.LBB207_67:
	v_add_co_u32 v33, s1, s20, v23
	s_delay_alu instid0(VALU_DEP_1)
	v_add_co_ci_u32_e64 v34, null, s29, 0, s1
	flat_load_b32 v7, v[33:34]
	s_or_b32 exec_lo, exec_lo, s0
                                        ; implicit-def: $vgpr23
	s_and_saveexec_b32 s0, s10
	s_cbranch_execz .LBB207_45
.LBB207_68:
	v_add_co_u32 v23, s1, s20, v24
	s_delay_alu instid0(VALU_DEP_1)
	v_add_co_ci_u32_e64 v24, null, s29, 0, s1
	flat_load_b32 v23, v[23:24]
	s_or_b32 exec_lo, exec_lo, s0
                                        ; implicit-def: $vgpr24
	s_and_saveexec_b32 s0, s11
	s_cbranch_execz .LBB207_46
.LBB207_69:
	v_add_co_u32 v24, s1, s20, v25
	s_delay_alu instid0(VALU_DEP_1)
	v_add_co_ci_u32_e64 v25, null, s29, 0, s1
	flat_load_b32 v24, v[24:25]
	s_or_b32 exec_lo, exec_lo, s0
                                        ; implicit-def: $vgpr25
	s_and_saveexec_b32 s0, s12
	s_cbranch_execz .LBB207_47
.LBB207_70:
	v_add_co_u32 v25, s1, s20, v26
	s_delay_alu instid0(VALU_DEP_1)
	v_add_co_ci_u32_e64 v26, null, s29, 0, s1
	flat_load_b32 v25, v[25:26]
	s_or_b32 exec_lo, exec_lo, s0
                                        ; implicit-def: $vgpr26
	s_and_saveexec_b32 s0, s13
	s_cbranch_execnz .LBB207_48
	s_branch .LBB207_49
.LBB207_71:
	s_mov_b32 s28, 0
                                        ; implicit-def: $sgpr2
                                        ; implicit-def: $vgpr58
                                        ; implicit-def: $vgpr2
                                        ; implicit-def: $vgpr59
                                        ; implicit-def: $vgpr24
                                        ; implicit-def: $vgpr23
                                        ; implicit-def: $vgpr26
                                        ; implicit-def: $vgpr25
                                        ; implicit-def: $vgpr30
                                        ; implicit-def: $vgpr29
                                        ; implicit-def: $vgpr32
                                        ; implicit-def: $vgpr31
                                        ; implicit-def: $vgpr34
                                        ; implicit-def: $vgpr33
                                        ; implicit-def: $vgpr50
	s_cbranch_execz .LBB207_55
.LBB207_72:
	v_cvt_i32_f32_e32 v1, v10
	v_cvt_i32_f32_e32 v2, v57
	;; [unrolled: 1-line block ×5, first 2 shown]
	v_mul_hi_i32 v1, 0x66666667, v1
	v_mul_hi_i32 v2, 0x66666667, v2
	;; [unrolled: 1-line block ×5, first 2 shown]
	s_mov_b32 s0, exec_lo
                                        ; implicit-def: $sgpr2
	v_lshrrev_b32_e32 v6, 31, v1
	v_ashrrev_i32_e32 v1, 2, v1
	v_lshrrev_b32_e32 v7, 31, v2
	v_ashrrev_i32_e32 v2, 2, v2
	;; [unrolled: 2-line block ×3, first 2 shown]
	v_add_nc_u32_e32 v6, v1, v6
	v_lshrrev_b32_e32 v23, 31, v4
	v_add_nc_u32_e32 v2, v2, v7
	v_cvt_i32_f32_e32 v7, v14
	v_add_nc_u32_e32 v3, v3, v8
	v_ashrrev_i32_e32 v4, 2, v4
	v_lshrrev_b32_e32 v8, 31, v5
	v_cmp_ne_u32_e32 vcc_lo, v6, v2
	v_mul_hi_i32 v7, 0x66666667, v7
	v_ashrrev_i32_e32 v5, 2, v5
	v_add_nc_u32_e32 v4, v4, v23
	v_cvt_i32_f32_e32 v23, v16
	v_cndmask_b32_e64 v58, 0, 1, vcc_lo
	v_cmp_ne_u32_e32 vcc_lo, v3, v6
	v_cvt_i32_f32_e32 v6, v13
	v_add_nc_u32_e32 v5, v5, v8
	v_lshrrev_b32_e32 v8, 31, v7
	v_ashrrev_i32_e32 v7, 2, v7
	v_cndmask_b32_e64 v2, 0, 1, vcc_lo
	v_mul_hi_i32 v6, 0x66666667, v6
	v_cmp_ne_u32_e32 vcc_lo, v4, v3
	v_mul_hi_i32 v23, 0x66666667, v23
	v_cvt_i32_f32_e32 v3, v15
	v_lshlrev_b32_e32 v1, 2, v0
	v_cndmask_b32_e64 v59, 0, 1, vcc_lo
	v_cmp_ne_u32_e32 vcc_lo, v5, v4
	v_add_nc_u32_e32 v4, v7, v8
	v_lshrrev_b32_e32 v7, 31, v6
	v_ashrrev_i32_e32 v6, 2, v6
	v_mul_hi_i32 v3, 0x66666667, v3
	v_cndmask_b32_e64 v24, 0, 1, vcc_lo
	v_cmp_ne_u32_e32 vcc_lo, v4, v5
	v_cvt_i32_f32_e32 v5, v18
	v_add_nc_u32_e32 v6, v6, v7
	v_cvt_i32_f32_e32 v7, v17
	v_lshrrev_b32_e32 v8, 31, v23
	v_ashrrev_i32_e32 v25, 2, v23
	v_mul_hi_i32 v5, 0x66666667, v5
	v_cndmask_b32_e64 v23, 0, 1, vcc_lo
	v_mul_hi_i32 v7, 0x66666667, v7
	v_lshrrev_b32_e32 v27, 31, v3
	v_add_nc_u32_e32 v8, v25, v8
	v_ashrrev_i32_e32 v3, 2, v3
	v_cmp_ne_u32_e32 vcc_lo, v6, v4
	ds_store_b32 v1, v57
	v_lshrrev_b32_e32 v4, 31, v5
	v_ashrrev_i32_e32 v5, 2, v5
	v_add_nc_u32_e32 v3, v3, v27
	v_cndmask_b32_e64 v26, 0, 1, vcc_lo
	v_cmp_ne_u32_e32 vcc_lo, v8, v6
	v_lshrrev_b32_e32 v6, 31, v7
	v_ashrrev_i32_e32 v7, 2, v7
	v_cvt_i32_f32_e32 v27, v20
	v_add_nc_u32_e32 v4, v5, v4
	v_cndmask_b32_e64 v25, 0, 1, vcc_lo
	v_cmp_ne_u32_e32 vcc_lo, v3, v8
	v_cvt_i32_f32_e32 v8, v19
	v_add_nc_u32_e32 v5, v7, v6
	v_mul_hi_i32 v6, 0x66666667, v27
	v_cvt_i32_f32_e32 v7, v22
	v_cndmask_b32_e64 v30, 0, 1, vcc_lo
	v_mul_hi_i32 v8, 0x66666667, v8
	v_cvt_i32_f32_e32 v27, v21
	v_cmp_ne_u32_e32 vcc_lo, v4, v3
	v_mul_hi_i32 v3, 0x66666667, v7
	s_waitcnt lgkmcnt(0)
	v_lshrrev_b32_e32 v7, 31, v6
	v_ashrrev_i32_e32 v6, 2, v6
	v_cndmask_b32_e64 v29, 0, 1, vcc_lo
	v_cmp_ne_u32_e32 vcc_lo, v5, v4
	v_mul_hi_i32 v4, 0x66666667, v27
	v_lshrrev_b32_e32 v27, 31, v8
	v_ashrrev_i32_e32 v8, 2, v8
	v_add_nc_u32_e32 v6, v6, v7
	v_cndmask_b32_e64 v32, 0, 1, vcc_lo
	v_lshrrev_b32_e32 v28, 31, v3
	v_ashrrev_i32_e32 v3, 2, v3
	v_add_nc_u32_e32 v8, v8, v27
	v_cmp_ne_u32_e32 vcc_lo, v6, v5
	v_lshrrev_b32_e32 v7, 31, v4
	v_ashrrev_i32_e32 v4, 2, v4
	v_add_nc_u32_e32 v27, v3, v28
	s_barrier
	v_cndmask_b32_e64 v31, 0, 1, vcc_lo
	v_cmp_ne_u32_e32 vcc_lo, v8, v6
	v_add_nc_u32_e32 v3, v4, v7
	buffer_gl0_inv
	v_cndmask_b32_e64 v34, 0, 1, vcc_lo
	v_cmp_ne_u32_e32 vcc_lo, v27, v8
	v_cndmask_b32_e64 v33, 0, 1, vcc_lo
	v_cmp_ne_u32_e32 vcc_lo, v3, v27
	v_cndmask_b32_e64 v50, 0, 1, vcc_lo
	v_cmpx_ne_u32_e32 0, v0
	s_xor_b32 s0, exec_lo, s0
	s_cbranch_execz .LBB207_74
; %bb.73:
	v_add_nc_u32_e32 v1, -4, v1
	s_or_b32 s28, s28, exec_lo
	ds_load_b32 v1, v1
	s_waitcnt lgkmcnt(0)
	v_cvt_i32_f32_e32 v1, v1
	s_delay_alu instid0(VALU_DEP_1) | instskip(NEXT) | instid1(VALU_DEP_1)
	v_mul_hi_i32 v1, 0x66666667, v1
	v_lshrrev_b32_e32 v4, 31, v1
	v_ashrrev_i32_e32 v1, 2, v1
	s_delay_alu instid0(VALU_DEP_1) | instskip(NEXT) | instid1(VALU_DEP_1)
	v_add_nc_u32_e32 v1, v1, v4
	v_cmp_ne_u32_e32 vcc_lo, v1, v3
	s_and_b32 s2, vcc_lo, exec_lo
.LBB207_74:
	s_or_b32 exec_lo, exec_lo, s0
	s_mov_b32 s0, 1
.LBB207_75:
	v_mov_b32_e32 v28, v2
	s_branch .LBB207_111
.LBB207_76:
	s_mul_hi_u32 s0, s16, 0xfffff100
	s_mul_i32 s1, s17, 0xfffff100
	s_sub_i32 s0, s0, s16
	s_mul_i32 s2, s16, 0xfffff100
	v_mul_u32_u24_e32 v3, 15, v0
	v_mad_u32_u24 v27, v0, 15, 14
	s_add_i32 s1, s0, s1
	s_add_u32 s0, s2, s40
	s_addc_u32 s1, s1, s41
	s_and_b32 vcc_lo, exec_lo, s29
	s_cbranch_vccz .LBB207_191
; %bb.77:
	v_add_co_u32 v1, s2, -4, s14
	s_delay_alu instid0(VALU_DEP_1)
	v_add_co_ci_u32_e64 v2, null, -1, s21, s2
	v_lshlrev_b32_e32 v4, 2, v0
	v_mov_b32_e32 v58, 0
	s_mov_b32 s2, exec_lo
	flat_load_b32 v5, v[1:2]
	v_mov_b32_e32 v2, 0
	ds_store_b32 v4, v57
	v_mov_b32_e32 v28, v2
	s_delay_alu instid0(VALU_DEP_1)
	v_cmpx_gt_u64_e64 s[0:1], v[27:28]
	s_cbranch_execz .LBB207_79
; %bb.78:
	v_cvt_i32_f32_e32 v1, v10
	v_cvt_i32_f32_e32 v6, v57
	s_delay_alu instid0(VALU_DEP_2) | instskip(NEXT) | instid1(VALU_DEP_2)
	v_mul_hi_i32 v1, 0x66666667, v1
	v_mul_hi_i32 v6, 0x66666667, v6
	s_delay_alu instid0(VALU_DEP_2) | instskip(SKIP_1) | instid1(VALU_DEP_3)
	v_lshrrev_b32_e32 v7, 31, v1
	v_ashrrev_i32_e32 v1, 2, v1
	v_lshrrev_b32_e32 v8, 31, v6
	v_ashrrev_i32_e32 v6, 2, v6
	s_delay_alu instid0(VALU_DEP_3) | instskip(NEXT) | instid1(VALU_DEP_2)
	v_add_nc_u32_e32 v1, v1, v7
	v_add_nc_u32_e32 v6, v6, v8
	s_delay_alu instid0(VALU_DEP_1)
	v_cmp_ne_u32_e32 vcc_lo, v1, v6
	v_cndmask_b32_e64 v58, 0, 1, vcc_lo
.LBB207_79:
	s_or_b32 exec_lo, exec_lo, s2
	v_add_nc_u32_e32 v1, 13, v3
	s_mov_b32 s2, exec_lo
	s_delay_alu instid0(VALU_DEP_1)
	v_cmpx_gt_u64_e64 s[0:1], v[1:2]
	s_cbranch_execz .LBB207_81
; %bb.80:
	v_cvt_i32_f32_e32 v1, v9
	v_cvt_i32_f32_e32 v2, v10
	s_delay_alu instid0(VALU_DEP_2) | instskip(NEXT) | instid1(VALU_DEP_2)
	v_mul_hi_i32 v1, 0x66666667, v1
	v_mul_hi_i32 v2, 0x66666667, v2
	s_delay_alu instid0(VALU_DEP_2) | instskip(SKIP_1) | instid1(VALU_DEP_3)
	v_lshrrev_b32_e32 v6, 31, v1
	v_ashrrev_i32_e32 v1, 2, v1
	v_lshrrev_b32_e32 v7, 31, v2
	v_ashrrev_i32_e32 v2, 2, v2
	s_delay_alu instid0(VALU_DEP_3) | instskip(NEXT) | instid1(VALU_DEP_2)
	v_add_nc_u32_e32 v1, v1, v6
	v_add_nc_u32_e32 v2, v2, v7
	s_delay_alu instid0(VALU_DEP_1)
	v_cmp_ne_u32_e32 vcc_lo, v1, v2
	v_cndmask_b32_e64 v2, 0, 1, vcc_lo
.LBB207_81:
	s_or_b32 exec_lo, exec_lo, s2
	v_dual_mov_b32 v24, 0 :: v_dual_add_nc_u32 v23, 12, v3
	v_mov_b32_e32 v59, 0
	s_mov_b32 s2, exec_lo
	s_delay_alu instid0(VALU_DEP_2)
	v_cmpx_gt_u64_e64 s[0:1], v[23:24]
	s_cbranch_execz .LBB207_83
; %bb.82:
	v_cvt_i32_f32_e32 v1, v12
	v_cvt_i32_f32_e32 v6, v9
	s_delay_alu instid0(VALU_DEP_2) | instskip(NEXT) | instid1(VALU_DEP_2)
	v_mul_hi_i32 v1, 0x66666667, v1
	v_mul_hi_i32 v6, 0x66666667, v6
	s_delay_alu instid0(VALU_DEP_2) | instskip(SKIP_1) | instid1(VALU_DEP_3)
	v_lshrrev_b32_e32 v7, 31, v1
	v_ashrrev_i32_e32 v1, 2, v1
	v_lshrrev_b32_e32 v8, 31, v6
	v_ashrrev_i32_e32 v6, 2, v6
	s_delay_alu instid0(VALU_DEP_3) | instskip(NEXT) | instid1(VALU_DEP_2)
	v_add_nc_u32_e32 v1, v1, v7
	v_add_nc_u32_e32 v6, v6, v8
	s_delay_alu instid0(VALU_DEP_1)
	v_cmp_ne_u32_e32 vcc_lo, v1, v6
	v_cndmask_b32_e64 v59, 0, 1, vcc_lo
.LBB207_83:
	s_or_b32 exec_lo, exec_lo, s2
	v_add_nc_u32_e32 v23, 11, v3
	s_mov_b32 s2, exec_lo
	s_delay_alu instid0(VALU_DEP_1)
	v_cmpx_gt_u64_e64 s[0:1], v[23:24]
	s_cbranch_execz .LBB207_85
; %bb.84:
	v_cvt_i32_f32_e32 v1, v11
	v_cvt_i32_f32_e32 v6, v12
	s_delay_alu instid0(VALU_DEP_2) | instskip(NEXT) | instid1(VALU_DEP_2)
	v_mul_hi_i32 v1, 0x66666667, v1
	v_mul_hi_i32 v6, 0x66666667, v6
	s_delay_alu instid0(VALU_DEP_2) | instskip(SKIP_1) | instid1(VALU_DEP_3)
	v_lshrrev_b32_e32 v7, 31, v1
	v_ashrrev_i32_e32 v1, 2, v1
	v_lshrrev_b32_e32 v8, 31, v6
	v_ashrrev_i32_e32 v6, 2, v6
	s_delay_alu instid0(VALU_DEP_3) | instskip(NEXT) | instid1(VALU_DEP_2)
	v_add_nc_u32_e32 v1, v1, v7
	v_add_nc_u32_e32 v6, v6, v8
	s_delay_alu instid0(VALU_DEP_1)
	v_cmp_ne_u32_e32 vcc_lo, v1, v6
	v_cndmask_b32_e64 v24, 0, 1, vcc_lo
.LBB207_85:
	s_or_b32 exec_lo, exec_lo, s2
	v_dual_mov_b32 v26, 0 :: v_dual_add_nc_u32 v25, 10, v3
	v_mov_b32_e32 v23, 0
	s_mov_b32 s2, exec_lo
	s_delay_alu instid0(VALU_DEP_2)
	;; [unrolled: 49-line block ×6, first 2 shown]
	v_cmpx_gt_u64_e64 s[0:1], v[49:50]
	s_cbranch_execz .LBB207_103
; %bb.102:
	v_cvt_i32_f32_e32 v1, v22
	v_cvt_i32_f32_e32 v6, v19
	s_delay_alu instid0(VALU_DEP_2) | instskip(NEXT) | instid1(VALU_DEP_2)
	v_mul_hi_i32 v1, 0x66666667, v1
	v_mul_hi_i32 v6, 0x66666667, v6
	s_delay_alu instid0(VALU_DEP_2) | instskip(SKIP_1) | instid1(VALU_DEP_3)
	v_lshrrev_b32_e32 v7, 31, v1
	v_ashrrev_i32_e32 v1, 2, v1
	v_lshrrev_b32_e32 v8, 31, v6
	v_ashrrev_i32_e32 v6, 2, v6
	s_delay_alu instid0(VALU_DEP_3) | instskip(NEXT) | instid1(VALU_DEP_2)
	v_add_nc_u32_e32 v1, v1, v7
	v_add_nc_u32_e32 v6, v6, v8
	s_delay_alu instid0(VALU_DEP_1)
	v_cmp_ne_u32_e32 vcc_lo, v1, v6
	v_cndmask_b32_e64 v33, 0, 1, vcc_lo
.LBB207_103:
	s_or_b32 exec_lo, exec_lo, s2
	v_add_nc_u32_e32 v49, 1, v3
	s_mov_b32 s2, exec_lo
	s_delay_alu instid0(VALU_DEP_1)
	v_cmpx_gt_u64_e64 s[0:1], v[49:50]
	s_cbranch_execz .LBB207_105
; %bb.104:
	v_cvt_i32_f32_e32 v1, v21
	v_cvt_i32_f32_e32 v6, v22
	s_delay_alu instid0(VALU_DEP_2) | instskip(NEXT) | instid1(VALU_DEP_2)
	v_mul_hi_i32 v1, 0x66666667, v1
	v_mul_hi_i32 v6, 0x66666667, v6
	s_delay_alu instid0(VALU_DEP_2) | instskip(SKIP_1) | instid1(VALU_DEP_3)
	v_lshrrev_b32_e32 v7, 31, v1
	v_ashrrev_i32_e32 v1, 2, v1
	v_lshrrev_b32_e32 v8, 31, v6
	v_ashrrev_i32_e32 v6, 2, v6
	s_delay_alu instid0(VALU_DEP_3) | instskip(NEXT) | instid1(VALU_DEP_2)
	v_add_nc_u32_e32 v1, v1, v7
	v_add_nc_u32_e32 v6, v6, v8
	s_delay_alu instid0(VALU_DEP_1)
	v_cmp_ne_u32_e32 vcc_lo, v1, v6
	v_cndmask_b32_e64 v50, 0, 1, vcc_lo
.LBB207_105:
	s_or_b32 exec_lo, exec_lo, s2
	s_mov_b32 s2, 0
	s_mov_b32 s3, exec_lo
	s_waitcnt vmcnt(0) lgkmcnt(0)
	s_barrier
	buffer_gl0_inv
	v_cmpx_ne_u32_e32 0, v0
	s_cbranch_execz .LBB207_107
; %bb.106:
	v_add_nc_u32_e32 v1, -4, v4
	ds_load_b32 v5, v1
.LBB207_107:
	s_or_b32 exec_lo, exec_lo, s3
	v_mov_b32_e32 v4, 0
	s_mov_b32 s3, exec_lo
	s_delay_alu instid0(VALU_DEP_1)
	v_cmpx_gt_u64_e64 s[0:1], v[3:4]
	s_cbranch_execz .LBB207_109
; %bb.108:
	s_waitcnt lgkmcnt(0)
	v_cvt_i32_f32_e32 v1, v5
	v_cvt_i32_f32_e32 v4, v21
	s_delay_alu instid0(VALU_DEP_2) | instskip(NEXT) | instid1(VALU_DEP_2)
	v_mul_hi_i32 v1, 0x66666667, v1
	v_mul_hi_i32 v4, 0x66666667, v4
	s_delay_alu instid0(VALU_DEP_2) | instskip(SKIP_1) | instid1(VALU_DEP_3)
	v_lshrrev_b32_e32 v5, 31, v1
	v_ashrrev_i32_e32 v1, 2, v1
	v_lshrrev_b32_e32 v6, 31, v4
	v_ashrrev_i32_e32 v4, 2, v4
	s_delay_alu instid0(VALU_DEP_3) | instskip(NEXT) | instid1(VALU_DEP_2)
	v_add_nc_u32_e32 v1, v1, v5
	v_add_nc_u32_e32 v4, v4, v6
	s_delay_alu instid0(VALU_DEP_1)
	v_cmp_ne_u32_e32 vcc_lo, v1, v4
	s_and_b32 s2, vcc_lo, exec_lo
.LBB207_109:
	s_or_b32 exec_lo, exec_lo, s3
	s_mov_b32 s28, -1
.LBB207_110:
                                        ; implicit-def: $vgpr28
                                        ; implicit-def: $sgpr0
.LBB207_111:
	v_mov_b32_e32 v27, s0
	s_and_saveexec_b32 s0, s28
.LBB207_112:
	v_cndmask_b32_e64 v27, 0, 1, s2
	v_mov_b32_e32 v28, v2
.LBB207_113:
	s_or_b32 exec_lo, exec_lo, s0
	s_delay_alu instid0(VALU_DEP_1)
	v_add3_u32 v1, v50, v27, v33
	v_add_f32_e32 v74, v47, v48
	v_cmp_eq_u32_e64 s12, 0, v50
	v_cmp_eq_u32_e64 s11, 0, v33
	;; [unrolled: 1-line block ×3, first 2 shown]
	v_add3_u32 v73, v1, v34, v31
	v_cmp_eq_u32_e64 s10, 0, v31
	v_cmp_eq_u32_e64 s8, 0, v32
	;; [unrolled: 1-line block ×10, first 2 shown]
	v_cmp_eq_u32_e32 vcc_lo, 0, v58
	v_mbcnt_lo_u32_b32 v70, -1, 0
	v_lshrrev_b32_e32 v71, 5, v0
	v_or_b32_e32 v72, 31, v0
	s_cmp_eq_u64 s[26:27], 0
	s_cselect_b32 s16, -1, 0
	s_cmp_lg_u32 s15, 0
	s_cbranch_scc0 .LBB207_139
; %bb.114:
	v_add3_u32 v2, v73, v32, v29
	v_cndmask_b32_e64 v1, v48, v74, s12
	s_mov_b32 s14, exec_lo
	v_and_b32_e32 v4, 15, v70
	v_and_b32_e32 v6, 16, v70
	v_add3_u32 v2, v2, v30, v25
	v_add_f32_e32 v1, v45, v1
	s_delay_alu instid0(VALU_DEP_2) | instskip(NEXT) | instid1(VALU_DEP_2)
	v_add3_u32 v2, v2, v26, v23
	v_cndmask_b32_e64 v1, v45, v1, s11
	s_delay_alu instid0(VALU_DEP_2) | instskip(NEXT) | instid1(VALU_DEP_1)
	v_add3_u32 v2, v2, v24, v59
	v_add3_u32 v2, v2, v28, v58
	s_delay_alu instid0(VALU_DEP_3) | instskip(SKIP_1) | instid1(VALU_DEP_2)
	v_add_f32_e32 v1, v46, v1
	s_waitcnt lgkmcnt(0)
	v_mov_b32_dpp v5, v2 row_shr:1 row_mask:0xf bank_mask:0xf
	s_delay_alu instid0(VALU_DEP_2) | instskip(NEXT) | instid1(VALU_DEP_1)
	v_cndmask_b32_e64 v1, v46, v1, s9
	v_add_f32_e32 v1, v43, v1
	s_delay_alu instid0(VALU_DEP_1) | instskip(NEXT) | instid1(VALU_DEP_1)
	v_cndmask_b32_e64 v1, v43, v1, s10
	v_add_f32_e32 v1, v44, v1
	s_delay_alu instid0(VALU_DEP_1) | instskip(NEXT) | instid1(VALU_DEP_1)
	;; [unrolled: 3-line block ×10, first 2 shown]
	v_cndmask_b32_e64 v1, v36, v1, s0
	v_add_f32_e32 v1, v60, v1
	s_delay_alu instid0(VALU_DEP_1) | instskip(SKIP_1) | instid1(VALU_DEP_2)
	v_cndmask_b32_e32 v1, v60, v1, vcc_lo
	v_cmp_eq_u32_e32 vcc_lo, 0, v2
	v_mov_b32_dpp v3, v1 row_shr:1 row_mask:0xf bank_mask:0xf
	s_delay_alu instid0(VALU_DEP_1) | instskip(NEXT) | instid1(VALU_DEP_1)
	v_add_f32_e32 v3, v1, v3
	v_cndmask_b32_e32 v3, v1, v3, vcc_lo
	v_cmp_eq_u32_e32 vcc_lo, 0, v4
	v_cndmask_b32_e64 v5, v5, 0, vcc_lo
	s_delay_alu instid0(VALU_DEP_1) | instskip(NEXT) | instid1(VALU_DEP_1)
	v_dual_cndmask_b32 v1, v3, v1 :: v_dual_add_nc_u32 v2, v5, v2
	v_mov_b32_dpp v3, v1 row_shr:2 row_mask:0xf bank_mask:0xf
	s_delay_alu instid0(VALU_DEP_2) | instskip(NEXT) | instid1(VALU_DEP_2)
	v_cmp_eq_u32_e32 vcc_lo, 0, v2
	v_add_f32_e32 v3, v1, v3
	v_mov_b32_dpp v5, v2 row_shr:2 row_mask:0xf bank_mask:0xf
	s_delay_alu instid0(VALU_DEP_2) | instskip(SKIP_1) | instid1(VALU_DEP_2)
	v_cndmask_b32_e32 v3, v1, v3, vcc_lo
	v_cmp_lt_u32_e32 vcc_lo, 1, v4
	v_cndmask_b32_e32 v1, v1, v3, vcc_lo
	s_delay_alu instid0(VALU_DEP_4) | instskip(NEXT) | instid1(VALU_DEP_2)
	v_cndmask_b32_e32 v3, 0, v5, vcc_lo
	v_mov_b32_dpp v5, v1 row_shr:4 row_mask:0xf bank_mask:0xf
	s_delay_alu instid0(VALU_DEP_1) | instskip(NEXT) | instid1(VALU_DEP_1)
	v_dual_add_f32 v3, v1, v5 :: v_dual_add_nc_u32 v2, v2, v3
	v_cmp_eq_u32_e32 vcc_lo, 0, v2
	v_mov_b32_dpp v5, v2 row_shr:4 row_mask:0xf bank_mask:0xf
	s_delay_alu instid0(VALU_DEP_3) | instskip(SKIP_1) | instid1(VALU_DEP_2)
	v_cndmask_b32_e32 v3, v1, v3, vcc_lo
	v_cmp_lt_u32_e32 vcc_lo, 3, v4
	v_cndmask_b32_e32 v1, v1, v3, vcc_lo
	s_delay_alu instid0(VALU_DEP_4) | instskip(NEXT) | instid1(VALU_DEP_2)
	v_cndmask_b32_e32 v3, 0, v5, vcc_lo
	v_mov_b32_dpp v5, v1 row_shr:8 row_mask:0xf bank_mask:0xf
	s_delay_alu instid0(VALU_DEP_1) | instskip(NEXT) | instid1(VALU_DEP_1)
	v_dual_add_f32 v2, v1, v5 :: v_dual_add_nc_u32 v3, v3, v2
	v_cmp_eq_u32_e32 vcc_lo, 0, v3
	v_mov_b32_dpp v5, v3 row_shr:8 row_mask:0xf bank_mask:0xf
	s_delay_alu instid0(VALU_DEP_3) | instskip(SKIP_1) | instid1(VALU_DEP_2)
	v_cndmask_b32_e32 v2, v1, v2, vcc_lo
	v_cmp_lt_u32_e32 vcc_lo, 7, v4
	v_dual_cndmask_b32 v2, v1, v2 :: v_dual_cndmask_b32 v1, 0, v5
	v_bfe_i32 v5, v70, 4, 1
	s_delay_alu instid0(VALU_DEP_2)
	v_add_nc_u32_e32 v1, v1, v3
	ds_swizzle_b32 v3, v2 offset:swizzle(BROADCAST,32,15)
	ds_swizzle_b32 v4, v1 offset:swizzle(BROADCAST,32,15)
	v_cmp_eq_u32_e32 vcc_lo, 0, v1
	s_waitcnt lgkmcnt(1)
	v_add_f32_e32 v3, v2, v3
	s_waitcnt lgkmcnt(0)
	v_and_b32_e32 v7, v5, v4
	s_delay_alu instid0(VALU_DEP_2) | instskip(SKIP_2) | instid1(VALU_DEP_4)
	v_cndmask_b32_e32 v5, v2, v3, vcc_lo
	v_cmp_eq_u32_e32 vcc_lo, 0, v6
	v_lshlrev_b32_e32 v4, 3, v71
	v_add_nc_u32_e32 v1, v7, v1
	s_delay_alu instid0(VALU_DEP_4)
	v_cndmask_b32_e32 v3, v5, v2, vcc_lo
	v_cmpx_eq_u32_e64 v72, v0
	s_cbranch_execz .LBB207_116
; %bb.115:
	v_cndmask_b32_e32 v2, v5, v2, vcc_lo
	ds_store_b64 v4, v[1:2] offset:2064
.LBB207_116:
	s_or_b32 exec_lo, exec_lo, s14
	s_delay_alu instid0(SALU_CYCLE_1)
	s_mov_b32 s14, exec_lo
	s_waitcnt lgkmcnt(0)
	s_barrier
	buffer_gl0_inv
	v_cmpx_gt_u32_e32 8, v0
	s_cbranch_execz .LBB207_118
; %bb.117:
	v_lshlrev_b32_e32 v2, 3, v0
	ds_load_b64 v[5:6], v2 offset:2064
	s_waitcnt lgkmcnt(0)
	v_mov_b32_dpp v7, v6 row_shr:1 row_mask:0xf bank_mask:0xf
	v_cmp_eq_u32_e32 vcc_lo, 0, v5
	v_mov_b32_dpp v49, v5 row_shr:1 row_mask:0xf bank_mask:0xf
	s_delay_alu instid0(VALU_DEP_3) | instskip(NEXT) | instid1(VALU_DEP_1)
	v_dual_add_f32 v7, v6, v7 :: v_dual_and_b32 v8, 7, v70
	v_cndmask_b32_e32 v7, v6, v7, vcc_lo
	s_delay_alu instid0(VALU_DEP_2) | instskip(NEXT) | instid1(VALU_DEP_4)
	v_cmp_eq_u32_e32 vcc_lo, 0, v8
	v_cndmask_b32_e64 v49, v49, 0, vcc_lo
	s_delay_alu instid0(VALU_DEP_1) | instskip(NEXT) | instid1(VALU_DEP_1)
	v_dual_cndmask_b32 v6, v7, v6 :: v_dual_add_nc_u32 v5, v49, v5
	v_mov_b32_dpp v7, v6 row_shr:2 row_mask:0xf bank_mask:0xf
	s_delay_alu instid0(VALU_DEP_2) | instskip(NEXT) | instid1(VALU_DEP_2)
	v_cmp_eq_u32_e32 vcc_lo, 0, v5
	v_add_f32_e32 v7, v6, v7
	v_mov_b32_dpp v49, v5 row_shr:2 row_mask:0xf bank_mask:0xf
	s_delay_alu instid0(VALU_DEP_2) | instskip(SKIP_1) | instid1(VALU_DEP_2)
	v_cndmask_b32_e32 v7, v6, v7, vcc_lo
	v_cmp_lt_u32_e32 vcc_lo, 1, v8
	v_dual_cndmask_b32 v6, v6, v7 :: v_dual_cndmask_b32 v7, 0, v49
	v_cmp_lt_u32_e32 vcc_lo, 3, v8
	s_delay_alu instid0(VALU_DEP_2) | instskip(NEXT) | instid1(VALU_DEP_1)
	v_mov_b32_dpp v49, v6 row_shr:4 row_mask:0xf bank_mask:0xf
	v_add_f32_e32 v8, v6, v49
	s_delay_alu instid0(VALU_DEP_4) | instskip(NEXT) | instid1(VALU_DEP_1)
	v_add_nc_u32_e32 v5, v7, v5
	v_mov_b32_dpp v7, v5 row_shr:4 row_mask:0xf bank_mask:0xf
	v_cmp_eq_u32_e64 s13, 0, v5
	s_delay_alu instid0(VALU_DEP_2) | instskip(NEXT) | instid1(VALU_DEP_2)
	v_cndmask_b32_e32 v7, 0, v7, vcc_lo
	s_and_b32 vcc_lo, vcc_lo, s13
	s_delay_alu instid0(VALU_DEP_1)
	v_dual_cndmask_b32 v6, v6, v8 :: v_dual_add_nc_u32 v5, v7, v5
	ds_store_b64 v2, v[5:6] offset:2064
.LBB207_118:
	s_or_b32 exec_lo, exec_lo, s14
	v_cmp_gt_u32_e32 vcc_lo, 32, v0
	v_dual_mov_b32 v51, 0 :: v_dual_mov_b32 v52, 0
	s_mov_b32 s14, exec_lo
	s_waitcnt lgkmcnt(0)
	s_barrier
	buffer_gl0_inv
	v_cmpx_lt_u32_e32 31, v0
	s_cbranch_execz .LBB207_120
; %bb.119:
	ds_load_b64 v[51:52], v4 offset:2056
	v_cmp_eq_u32_e64 s13, 0, v1
	s_waitcnt lgkmcnt(0)
	v_add_nc_u32_e32 v4, v51, v1
	s_delay_alu instid0(VALU_DEP_1) | instskip(NEXT) | instid1(VALU_DEP_1)
	v_dual_add_f32 v2, v3, v52 :: v_dual_mov_b32 v1, v4
	v_cndmask_b32_e64 v3, v3, v2, s13
.LBB207_120:
	s_or_b32 exec_lo, exec_lo, s14
	v_add_nc_u32_e32 v2, -1, v70
	s_delay_alu instid0(VALU_DEP_1) | instskip(NEXT) | instid1(VALU_DEP_1)
	v_cmp_gt_i32_e64 s13, 0, v2
	v_cndmask_b32_e64 v2, v2, v70, s13
	v_cmp_eq_u32_e64 s13, 0, v70
	s_delay_alu instid0(VALU_DEP_2)
	v_lshlrev_b32_e32 v2, 2, v2
	ds_bpermute_b32 v49, v2, v1
	ds_bpermute_b32 v61, v2, v3
	s_and_saveexec_b32 s17, vcc_lo
	s_cbranch_execz .LBB207_138
; %bb.121:
	v_mov_b32_e32 v4, 0
	ds_load_b64 v[1:2], v4 offset:2120
	s_waitcnt lgkmcnt(0)
	v_readfirstlane_b32 s21, v2
	s_and_saveexec_b32 s14, s13
	s_cbranch_execz .LBB207_123
; %bb.122:
	s_add_i32 s26, s15, 32
	s_mov_b32 s27, 0
	v_mov_b32_e32 v3, 1
	s_lshl_b64 s[28:29], s[26:27], 4
	s_mov_b32 s30, s27
	s_add_u32 s28, s24, s28
	s_addc_u32 s29, s25, s29
	s_and_b32 s31, s21, 0xff000000
	s_and_b32 s41, s21, 0xff0000
	s_mov_b32 s40, s27
	v_dual_mov_b32 v5, s28 :: v_dual_mov_b32 v6, s29
	s_or_b64 s[30:31], s[40:41], s[30:31]
	s_and_b32 s41, s21, 0xff00
	s_delay_alu instid0(SALU_CYCLE_1) | instskip(SKIP_1) | instid1(SALU_CYCLE_1)
	s_or_b64 s[30:31], s[30:31], s[40:41]
	s_and_b32 s41, s21, 0xff
	s_or_b64 s[26:27], s[30:31], s[40:41]
	s_delay_alu instid0(SALU_CYCLE_1)
	v_mov_b32_e32 v2, s27
	;;#ASMSTART
	global_store_dwordx4 v[5:6], v[1:4] off	
s_waitcnt vmcnt(0)
	;;#ASMEND
.LBB207_123:
	s_or_b32 exec_lo, exec_lo, s14
	v_xad_u32 v53, v70, -1, s15
	s_mov_b32 s26, 0
	s_mov_b32 s14, exec_lo
	s_delay_alu instid0(VALU_DEP_1) | instskip(NEXT) | instid1(VALU_DEP_1)
	v_add_nc_u32_e32 v3, 32, v53
	v_lshlrev_b64 v[2:3], 4, v[3:4]
	s_delay_alu instid0(VALU_DEP_1) | instskip(NEXT) | instid1(VALU_DEP_2)
	v_add_co_u32 v2, vcc_lo, s24, v2
	v_add_co_ci_u32_e32 v3, vcc_lo, s25, v3, vcc_lo
	;;#ASMSTART
	global_load_dwordx4 v[5:8], v[2:3] off glc	
s_waitcnt vmcnt(0)
	;;#ASMEND
	v_perm_b32 v4, v6, v7, 0x70605
	v_perm_b32 v8, v6, v7, 0x1000706
	;; [unrolled: 1-line block ×3, first 2 shown]
	v_and_b32_e32 v62, 0xff, v7
	s_delay_alu instid0(VALU_DEP_4) | instskip(NEXT) | instid1(VALU_DEP_4)
	v_lshlrev_b32_e32 v4, 8, v4
	v_lshlrev_b32_e32 v8, 16, v8
	s_delay_alu instid0(VALU_DEP_4) | instskip(SKIP_1) | instid1(VALU_DEP_4)
	v_lshlrev_b32_e32 v55, 24, v54
	v_alignbit_b32 v54, v6, v5, 16
	v_perm_b32 v4, v4, v6, 0xc0c0500
	s_delay_alu instid0(VALU_DEP_4) | instskip(SKIP_2) | instid1(VALU_DEP_3)
	v_and_b32_e32 v56, 0xff0000, v8
	v_alignbit_b32 v8, v6, v5, 8
	v_alignbit_b32 v6, v6, v5, 24
	v_or3_b32 v4, v4, v56, v55
	v_cmpx_eq_u16_e32 0, v62
	s_cbranch_execz .LBB207_126
.LBB207_124:                            ; =>This Inner Loop Header: Depth=1
	;;#ASMSTART
	global_load_dwordx4 v[5:8], v[2:3] off glc	
s_waitcnt vmcnt(0)
	;;#ASMEND
	v_and_b32_e32 v4, 0xff, v7
	s_delay_alu instid0(VALU_DEP_1) | instskip(SKIP_1) | instid1(SALU_CYCLE_1)
	v_cmp_ne_u16_e32 vcc_lo, 0, v4
	s_or_b32 s26, vcc_lo, s26
	s_and_not1_b32 exec_lo, exec_lo, s26
	s_cbranch_execnz .LBB207_124
; %bb.125:
	s_or_b32 exec_lo, exec_lo, s26
	v_perm_b32 v2, v6, v7, 0x70605
	v_perm_b32 v3, v6, v7, 0x1000706
	v_perm_b32 v4, v6, v7, 0x2010007
	v_alignbit_b32 v8, v6, v5, 8
	v_alignbit_b32 v54, v6, v5, 16
	v_lshlrev_b32_e32 v2, 8, v2
	v_lshlrev_b32_e32 v3, 16, v3
	;; [unrolled: 1-line block ×3, first 2 shown]
	s_delay_alu instid0(VALU_DEP_3) | instskip(NEXT) | instid1(VALU_DEP_3)
	v_perm_b32 v2, v2, v6, 0xc0c0500
	v_and_b32_e32 v3, 0xff0000, v3
	v_alignbit_b32 v6, v6, v5, 24
	s_delay_alu instid0(VALU_DEP_2)
	v_or3_b32 v4, v2, v3, v4
.LBB207_126:
	s_or_b32 exec_lo, exec_lo, s14
	v_cmp_ne_u32_e32 vcc_lo, 31, v70
	v_lshlrev_b32_e32 v8, 8, v8
	v_cmp_gt_u32_e64 s14, 30, v70
	v_and_b32_e32 v5, 0xff, v5
	v_lshlrev_b32_e64 v62, v70, -1
	v_add_co_ci_u32_e32 v2, vcc_lo, 0, v70, vcc_lo
	v_and_b32_e32 v8, 0xff00, v8
	v_add_nc_u32_e32 v64, 2, v70
	v_add_nc_u32_e32 v66, 4, v70
	s_delay_alu instid0(VALU_DEP_4)
	v_lshlrev_b32_e32 v2, 2, v2
	v_add_nc_u32_e32 v68, 8, v70
	v_add_nc_u32_e32 v75, 16, v70
	ds_bpermute_b32 v3, v2, v4
	s_waitcnt lgkmcnt(0)
	v_dual_add_f32 v3, v4, v3 :: v_dual_lshlrev_b32 v54, 16, v54
	s_delay_alu instid0(VALU_DEP_1) | instskip(SKIP_1) | instid1(VALU_DEP_2)
	v_perm_b32 v6, v6, v54, 0x4020c0c
	v_cndmask_b32_e64 v54, 0, 1, s14
	v_or3_b32 v5, v6, v8, v5
	s_delay_alu instid0(VALU_DEP_2) | instskip(NEXT) | instid1(VALU_DEP_1)
	v_lshlrev_b32_e32 v6, 1, v54
	v_add_lshl_u32 v63, v6, v70, 2
	ds_bpermute_b32 v6, v2, v5
	v_and_b32_e32 v55, 0xff, v7
	s_delay_alu instid0(VALU_DEP_1) | instskip(SKIP_2) | instid1(VALU_DEP_2)
	v_cmp_eq_u16_e32 vcc_lo, 2, v55
	v_and_or_b32 v55, vcc_lo, v62, 0x80000000
	v_cmp_eq_u32_e32 vcc_lo, 0, v5
	v_ctz_i32_b32_e32 v8, v55
	v_cndmask_b32_e32 v3, v4, v3, vcc_lo
	s_delay_alu instid0(VALU_DEP_2) | instskip(SKIP_1) | instid1(VALU_DEP_2)
	v_cmp_lt_u32_e32 vcc_lo, v70, v8
	s_waitcnt lgkmcnt(0)
	v_dual_cndmask_b32 v6, 0, v6 :: v_dual_cndmask_b32 v3, v4, v3
	v_cmp_gt_u32_e32 vcc_lo, 28, v70
	ds_bpermute_b32 v4, v63, v3
	v_cndmask_b32_e64 v54, 0, 1, vcc_lo
	s_waitcnt lgkmcnt(0)
	v_dual_add_f32 v4, v3, v4 :: v_dual_add_nc_u32 v5, v6, v5
	s_delay_alu instid0(VALU_DEP_2) | instskip(NEXT) | instid1(VALU_DEP_2)
	v_lshlrev_b32_e32 v6, 2, v54
	v_cmp_eq_u32_e32 vcc_lo, 0, v5
	s_delay_alu instid0(VALU_DEP_2) | instskip(NEXT) | instid1(VALU_DEP_4)
	v_add_lshl_u32 v65, v6, v70, 2
	v_cndmask_b32_e32 v4, v3, v4, vcc_lo
	ds_bpermute_b32 v54, v63, v5
	v_cmp_gt_u32_e32 vcc_lo, v64, v8
	v_cndmask_b32_e32 v3, v4, v3, vcc_lo
	ds_bpermute_b32 v4, v65, v3
	s_waitcnt lgkmcnt(1)
	v_cndmask_b32_e64 v6, v54, 0, vcc_lo
	v_cmp_gt_u32_e32 vcc_lo, 24, v70
	s_delay_alu instid0(VALU_DEP_2)
	v_add_nc_u32_e32 v5, v5, v6
	v_cndmask_b32_e64 v6, 0, 1, vcc_lo
	s_waitcnt lgkmcnt(0)
	v_add_f32_e32 v4, v3, v4
	ds_bpermute_b32 v54, v65, v5
	v_cmp_eq_u32_e32 vcc_lo, 0, v5
	v_lshlrev_b32_e32 v6, 3, v6
	v_cndmask_b32_e32 v4, v3, v4, vcc_lo
	v_cmp_gt_u32_e32 vcc_lo, v66, v8
	s_delay_alu instid0(VALU_DEP_3) | instskip(SKIP_2) | instid1(VALU_DEP_1)
	v_add_lshl_u32 v67, v6, v70, 2
	s_waitcnt lgkmcnt(0)
	v_cndmask_b32_e64 v6, v54, 0, vcc_lo
	v_add_nc_u32_e32 v5, v5, v6
	v_cndmask_b32_e32 v3, v4, v3, vcc_lo
	v_cmp_gt_u32_e32 vcc_lo, 16, v70
	ds_bpermute_b32 v6, v67, v5
	ds_bpermute_b32 v4, v67, v3
	v_cndmask_b32_e64 v54, 0, 1, vcc_lo
	v_cmp_eq_u32_e32 vcc_lo, 0, v5
	s_delay_alu instid0(VALU_DEP_2) | instskip(NEXT) | instid1(VALU_DEP_1)
	v_lshlrev_b32_e32 v54, 4, v54
	v_add_lshl_u32 v69, v54, v70, 2
	s_waitcnt lgkmcnt(0)
	v_add_f32_e32 v4, v3, v4
	s_delay_alu instid0(VALU_DEP_1) | instskip(SKIP_1) | instid1(VALU_DEP_2)
	v_cndmask_b32_e32 v4, v3, v4, vcc_lo
	v_cmp_gt_u32_e32 vcc_lo, v68, v8
	v_cndmask_b32_e32 v3, v4, v3, vcc_lo
	v_cndmask_b32_e64 v6, v6, 0, vcc_lo
	ds_bpermute_b32 v4, v69, v3
	v_add_nc_u32_e32 v5, v5, v6
	ds_bpermute_b32 v54, v69, v5
	v_cmp_eq_u32_e32 vcc_lo, 0, v5
	s_waitcnt lgkmcnt(1)
	v_add_f32_e32 v4, v3, v4
	s_delay_alu instid0(VALU_DEP_1) | instskip(SKIP_1) | instid1(VALU_DEP_2)
	v_cndmask_b32_e32 v4, v3, v4, vcc_lo
	v_cmp_gt_u32_e32 vcc_lo, v75, v8
	v_cndmask_b32_e32 v6, v4, v3, vcc_lo
	s_waitcnt lgkmcnt(0)
	v_cndmask_b32_e64 v3, v54, 0, vcc_lo
	s_delay_alu instid0(VALU_DEP_1)
	v_dual_mov_b32 v54, 0 :: v_dual_add_nc_u32 v5, v3, v5
	s_branch .LBB207_128
.LBB207_127:                            ;   in Loop: Header=BB207_128 Depth=1
	s_or_b32 exec_lo, exec_lo, s14
	ds_bpermute_b32 v55, v2, v6
	v_lshlrev_b32_e32 v56, 16, v77
	v_lshlrev_b32_e32 v8, 8, v8
	v_and_b32_e32 v5, 0xff, v5
	v_subrev_nc_u32_e32 v53, 32, v53
	s_delay_alu instid0(VALU_DEP_4) | instskip(NEXT) | instid1(VALU_DEP_4)
	v_perm_b32 v56, v76, v56, 0x4020c0c
	v_and_b32_e32 v8, 0xff00, v8
	s_delay_alu instid0(VALU_DEP_1) | instskip(SKIP_4) | instid1(VALU_DEP_1)
	v_or3_b32 v5, v56, v8, v5
	ds_bpermute_b32 v56, v2, v5
	s_waitcnt lgkmcnt(1)
	v_add_f32_e32 v8, v6, v55
	v_and_b32_e32 v77, 0xff, v7
	v_cmp_eq_u16_e32 vcc_lo, 2, v77
	v_and_or_b32 v76, vcc_lo, v62, 0x80000000
	v_cmp_eq_u32_e32 vcc_lo, 0, v5
	s_delay_alu instid0(VALU_DEP_2) | instskip(SKIP_1) | instid1(VALU_DEP_2)
	v_ctz_i32_b32_e32 v55, v76
	v_cndmask_b32_e32 v8, v6, v8, vcc_lo
	v_cmp_lt_u32_e32 vcc_lo, v70, v55
	s_waitcnt lgkmcnt(0)
	v_cndmask_b32_e32 v56, 0, v56, vcc_lo
	s_delay_alu instid0(VALU_DEP_1)
	v_dual_cndmask_b32 v6, v6, v8 :: v_dual_add_nc_u32 v5, v56, v5
	ds_bpermute_b32 v8, v63, v6
	ds_bpermute_b32 v56, v63, v5
	v_cmp_eq_u32_e32 vcc_lo, 0, v5
	s_waitcnt lgkmcnt(1)
	v_add_f32_e32 v8, v6, v8
	s_delay_alu instid0(VALU_DEP_1) | instskip(SKIP_3) | instid1(VALU_DEP_1)
	v_cndmask_b32_e32 v8, v6, v8, vcc_lo
	v_cmp_gt_u32_e32 vcc_lo, v64, v55
	s_waitcnt lgkmcnt(0)
	v_cndmask_b32_e64 v56, v56, 0, vcc_lo
	v_dual_cndmask_b32 v6, v8, v6 :: v_dual_add_nc_u32 v5, v5, v56
	ds_bpermute_b32 v8, v65, v6
	ds_bpermute_b32 v56, v65, v5
	v_cmp_eq_u32_e32 vcc_lo, 0, v5
	s_waitcnt lgkmcnt(1)
	v_add_f32_e32 v8, v6, v8
	s_delay_alu instid0(VALU_DEP_1) | instskip(SKIP_3) | instid1(VALU_DEP_1)
	v_cndmask_b32_e32 v8, v6, v8, vcc_lo
	v_cmp_gt_u32_e32 vcc_lo, v66, v55
	s_waitcnt lgkmcnt(0)
	v_cndmask_b32_e64 v56, v56, 0, vcc_lo
	;; [unrolled: 11-line block ×3, first 2 shown]
	v_dual_cndmask_b32 v6, v8, v6 :: v_dual_add_nc_u32 v5, v5, v56
	ds_bpermute_b32 v8, v69, v6
	ds_bpermute_b32 v56, v69, v5
	v_cmp_eq_u32_e32 vcc_lo, 0, v5
	s_waitcnt lgkmcnt(1)
	v_add_f32_e32 v8, v6, v8
	s_delay_alu instid0(VALU_DEP_1) | instskip(SKIP_1) | instid1(VALU_DEP_2)
	v_cndmask_b32_e32 v8, v6, v8, vcc_lo
	v_cmp_gt_u32_e32 vcc_lo, v75, v55
	v_cndmask_b32_e32 v6, v8, v6, vcc_lo
	s_waitcnt lgkmcnt(0)
	v_cndmask_b32_e64 v8, v56, 0, vcc_lo
	v_cmp_eq_u32_e32 vcc_lo, 0, v3
	s_delay_alu instid0(VALU_DEP_3) | instskip(NEXT) | instid1(VALU_DEP_3)
	v_add_f32_e32 v6, v4, v6
	v_add3_u32 v5, v5, v3, v8
	s_delay_alu instid0(VALU_DEP_2)
	v_cndmask_b32_e32 v6, v4, v6, vcc_lo
.LBB207_128:                            ; =>This Loop Header: Depth=1
                                        ;     Child Loop BB207_131 Depth 2
	s_delay_alu instid0(VALU_DEP_1) | instskip(NEXT) | instid1(VALU_DEP_1)
	v_dual_mov_b32 v4, v6 :: v_dual_and_b32 v3, 0xff, v7
	v_cmp_ne_u16_e32 vcc_lo, 2, v3
	v_cndmask_b32_e64 v3, 0, 1, vcc_lo
	;;#ASMSTART
	;;#ASMEND
	s_delay_alu instid0(VALU_DEP_1)
	v_cmp_ne_u32_e32 vcc_lo, 0, v3
	v_mov_b32_e32 v3, v5
	s_cmp_lg_u32 vcc_lo, exec_lo
	s_cbranch_scc1 .LBB207_133
; %bb.129:                              ;   in Loop: Header=BB207_128 Depth=1
	v_lshlrev_b64 v[5:6], 4, v[53:54]
	s_mov_b32 s14, exec_lo
	s_delay_alu instid0(VALU_DEP_1) | instskip(NEXT) | instid1(VALU_DEP_2)
	v_add_co_u32 v55, vcc_lo, s24, v5
	v_add_co_ci_u32_e32 v56, vcc_lo, s25, v6, vcc_lo
	;;#ASMSTART
	global_load_dwordx4 v[5:8], v[55:56] off glc	
s_waitcnt vmcnt(0)
	;;#ASMEND
	v_perm_b32 v8, v6, v7, 0x70605
	v_perm_b32 v76, v6, v7, 0x1000706
	;; [unrolled: 1-line block ×3, first 2 shown]
	v_and_b32_e32 v81, 0xff, v7
	s_delay_alu instid0(VALU_DEP_4) | instskip(NEXT) | instid1(VALU_DEP_4)
	v_lshlrev_b32_e32 v8, 8, v8
	v_lshlrev_b32_e32 v76, 16, v76
	s_delay_alu instid0(VALU_DEP_4) | instskip(SKIP_1) | instid1(VALU_DEP_4)
	v_lshlrev_b32_e32 v78, 24, v77
	v_alignbit_b32 v77, v6, v5, 16
	v_perm_b32 v79, v8, v6, 0xc0c0500
	s_delay_alu instid0(VALU_DEP_4) | instskip(SKIP_2) | instid1(VALU_DEP_3)
	v_and_b32_e32 v80, 0xff0000, v76
	v_alignbit_b32 v8, v6, v5, 8
	v_alignbit_b32 v76, v6, v5, 24
	v_or3_b32 v6, v79, v80, v78
	v_cmpx_eq_u16_e32 0, v81
	s_cbranch_execz .LBB207_127
; %bb.130:                              ;   in Loop: Header=BB207_128 Depth=1
	s_mov_b32 s26, 0
.LBB207_131:                            ;   Parent Loop BB207_128 Depth=1
                                        ; =>  This Inner Loop Header: Depth=2
	;;#ASMSTART
	global_load_dwordx4 v[5:8], v[55:56] off glc	
s_waitcnt vmcnt(0)
	;;#ASMEND
	v_and_b32_e32 v8, 0xff, v7
	s_delay_alu instid0(VALU_DEP_1) | instskip(SKIP_1) | instid1(SALU_CYCLE_1)
	v_cmp_ne_u16_e32 vcc_lo, 0, v8
	s_or_b32 s26, vcc_lo, s26
	s_and_not1_b32 exec_lo, exec_lo, s26
	s_cbranch_execnz .LBB207_131
; %bb.132:                              ;   in Loop: Header=BB207_128 Depth=1
	s_or_b32 exec_lo, exec_lo, s26
	v_perm_b32 v8, v6, v7, 0x70605
	v_perm_b32 v55, v6, v7, 0x1000706
	;; [unrolled: 1-line block ×3, first 2 shown]
	v_alignbit_b32 v77, v6, v5, 16
	v_alignbit_b32 v76, v6, v5, 24
	v_lshlrev_b32_e32 v8, 8, v8
	v_lshlrev_b32_e32 v55, 16, v55
	;; [unrolled: 1-line block ×3, first 2 shown]
	s_delay_alu instid0(VALU_DEP_3) | instskip(NEXT) | instid1(VALU_DEP_3)
	v_perm_b32 v78, v8, v6, 0xc0c0500
	v_and_b32_e32 v55, 0xff0000, v55
	v_alignbit_b32 v8, v6, v5, 8
	s_delay_alu instid0(VALU_DEP_2)
	v_or3_b32 v6, v78, v55, v56
	s_branch .LBB207_127
.LBB207_133:                            ;   in Loop: Header=BB207_128 Depth=1
                                        ; implicit-def: $vgpr6
                                        ; implicit-def: $vgpr5
                                        ; implicit-def: $vgpr7
	s_cbranch_execz .LBB207_128
; %bb.134:
	s_and_saveexec_b32 s14, s13
	s_cbranch_execz .LBB207_136
; %bb.135:
	v_dual_add_f32 v2, s21, v4 :: v_dual_add_nc_u32 v5, v3, v1
	v_cmp_eq_u32_e32 vcc_lo, 0, v1
	s_mov_b32 s27, 0
	s_add_i32 s26, s15, 32
	v_mov_b32_e32 v8, 0
	s_lshl_b64 s[26:27], s[26:27], 4
	v_cndmask_b32_e32 v2, s21, v2, vcc_lo
	s_add_u32 s26, s24, s26
	s_addc_u32 s27, s25, s27
	s_delay_alu instid0(VALU_DEP_1) | instskip(SKIP_1) | instid1(VALU_DEP_1)
	v_and_b32_e32 v6, 0xff000000, v2
	v_and_b32_e32 v7, 0xff0000, v2
	v_or_b32_e32 v6, v7, v6
	v_mov_b32_e32 v7, 2
	v_and_b32_e32 v53, 0xff00, v2
	v_and_b32_e32 v2, 0xff, v2
	s_delay_alu instid0(VALU_DEP_1)
	v_or3_b32 v6, v6, v53, v2
	v_mov_b32_e32 v2, s21
	v_dual_mov_b32 v54, s27 :: v_dual_mov_b32 v53, s26
	;;#ASMSTART
	global_store_dwordx4 v[53:54], v[5:8] off	
s_waitcnt vmcnt(0)
	;;#ASMEND
	ds_store_b128 v8, v[1:4] offset:2048
.LBB207_136:
	s_or_b32 exec_lo, exec_lo, s14
	v_cmp_eq_u32_e32 vcc_lo, 0, v0
	s_and_b32 exec_lo, exec_lo, vcc_lo
	s_cbranch_execz .LBB207_138
; %bb.137:
	v_mov_b32_e32 v1, 0
	ds_store_b64 v1, v[3:4] offset:2120
.LBB207_138:
	s_or_b32 exec_lo, exec_lo, s17
	s_waitcnt lgkmcnt(1)
	v_cndmask_b32_e64 v7, v49, v51, s13
	s_waitcnt lgkmcnt(0)
	v_cndmask_b32_e64 v2, v61, v52, s13
	s_barrier
	buffer_gl0_inv
	v_cmp_eq_u32_e32 vcc_lo, 0, v7
	v_mov_b32_e32 v1, 0
	v_cmp_eq_u32_e64 s13, 0, v27
	ds_load_b64 v[5:6], v1 offset:2120
	s_waitcnt lgkmcnt(0)
	s_barrier
	buffer_gl0_inv
	v_add_f32_e32 v3, v2, v6
	s_delay_alu instid0(VALU_DEP_1) | instskip(SKIP_1) | instid1(VALU_DEP_2)
	v_cndmask_b32_e32 v2, v2, v3, vcc_lo
	v_cmp_eq_u32_e32 vcc_lo, 0, v0
	v_cndmask_b32_e32 v69, v2, v6, vcc_lo
	s_delay_alu instid0(VALU_DEP_1) | instskip(NEXT) | instid1(VALU_DEP_1)
	v_add_f32_e32 v2, v47, v69
	v_cndmask_b32_e64 v68, v47, v2, s13
	s_delay_alu instid0(VALU_DEP_1) | instskip(NEXT) | instid1(VALU_DEP_1)
	v_add_f32_e32 v2, v48, v68
	v_cndmask_b32_e64 v67, v48, v2, s12
	;; [unrolled: 3-line block ×11, first 2 shown]
	ds_load_b128 v[1:4], v1 offset:2048
	v_add_f32_e32 v6, v38, v52
	s_delay_alu instid0(VALU_DEP_1) | instskip(SKIP_2) | instid1(VALU_DEP_2)
	v_cndmask_b32_e64 v53, v38, v6, s2
	s_waitcnt lgkmcnt(0)
	v_add_f32_e32 v4, v4, v2
	v_add_f32_e32 v6, v35, v53
	s_delay_alu instid0(VALU_DEP_1) | instskip(SKIP_2) | instid1(VALU_DEP_2)
	v_cndmask_b32_e64 v51, v35, v6, s1
	v_cndmask_b32_e64 v6, v7, 0, vcc_lo
	v_cmp_eq_u32_e32 vcc_lo, 0, v1
	v_dual_add_f32 v7, v36, v51 :: v_dual_add_nc_u32 v6, v5, v6
	v_cndmask_b32_e32 v49, v2, v4, vcc_lo
	v_mov_b32_e32 v5, v3
	s_delay_alu instid0(VALU_DEP_3) | instskip(NEXT) | instid1(VALU_DEP_4)
	v_cndmask_b32_e64 v56, v36, v7, s0
	v_mov_b32_e32 v4, v6
	s_branch .LBB207_151
.LBB207_139:
                                        ; implicit-def: $vgpr1
                                        ; implicit-def: $vgpr49
                                        ; implicit-def: $vgpr5
                                        ; implicit-def: $vgpr56
                                        ; implicit-def: $vgpr51
                                        ; implicit-def: $vgpr53
                                        ; implicit-def: $vgpr52
                                        ; implicit-def: $vgpr54
                                        ; implicit-def: $vgpr55
                                        ; implicit-def: $vgpr61
                                        ; implicit-def: $vgpr62
                                        ; implicit-def: $vgpr63
                                        ; implicit-def: $vgpr64
                                        ; implicit-def: $vgpr65
                                        ; implicit-def: $vgpr66
                                        ; implicit-def: $vgpr67
                                        ; implicit-def: $vgpr68
                                        ; implicit-def: $vgpr69
	s_cbranch_execz .LBB207_151
; %bb.140:
	s_and_b32 s0, s16, exec_lo
	s_waitcnt lgkmcnt(0)
	v_mov_b32_e32 v5, v47
	s_cselect_b32 s1, 0, s35
	s_cselect_b32 s0, 0, s34
	s_delay_alu instid0(SALU_CYCLE_1)
	s_cmp_eq_u64 s[0:1], 0
	s_cbranch_scc1 .LBB207_142
; %bb.141:
	v_mov_b32_e32 v1, 0
	global_load_b32 v5, v1, s[0:1]
.LBB207_142:
	v_cmp_eq_u32_e64 s0, 0, v50
	v_cmp_eq_u32_e64 s1, 0, v33
	v_add3_u32 v2, v73, v32, v29
	v_cmp_eq_u32_e64 s2, 0, v34
	v_cmp_eq_u32_e64 s3, 0, v31
	v_cndmask_b32_e64 v1, v48, v74, s0
	v_cmp_eq_u32_e64 s4, 0, v32
	v_add3_u32 v2, v2, v30, v25
	v_cmp_eq_u32_e64 s5, 0, v29
	v_cmp_eq_u32_e64 s6, 0, v30
	v_dual_add_f32 v1, v45, v1 :: v_dual_and_b32 v4, 15, v70
	s_delay_alu instid0(VALU_DEP_4) | instskip(SKIP_2) | instid1(VALU_DEP_4)
	v_add3_u32 v2, v2, v26, v23
	v_cmp_eq_u32_e64 s7, 0, v25
	v_cmp_eq_u32_e64 s9, 0, v26
	v_cndmask_b32_e64 v1, v45, v1, s1
	v_cmp_eq_u32_e64 s11, 0, v23
	v_add3_u32 v2, v2, v24, v59
	v_cmp_eq_u32_e64 s8, 0, v24
	v_cmp_eq_u32_e64 s10, 0, v59
	v_add_f32_e32 v1, v46, v1
	v_cmp_eq_u32_e32 vcc_lo, 0, v28
	v_add3_u32 v2, v2, v28, v58
	v_cmp_eq_u32_e64 s12, 0, v58
	v_and_b32_e32 v7, 16, v70
	v_cndmask_b32_e64 v1, v46, v1, s2
	s_delay_alu instid0(VALU_DEP_4) | instskip(NEXT) | instid1(VALU_DEP_3)
	v_mov_b32_dpp v6, v2 row_shr:1 row_mask:0xf bank_mask:0xf
	v_cmp_eq_u32_e64 s13, 0, v7
	s_delay_alu instid0(VALU_DEP_3) | instskip(NEXT) | instid1(VALU_DEP_1)
	v_add_f32_e32 v1, v43, v1
	v_cndmask_b32_e64 v1, v43, v1, s3
	s_delay_alu instid0(VALU_DEP_1) | instskip(NEXT) | instid1(VALU_DEP_1)
	v_add_f32_e32 v1, v44, v1
	v_cndmask_b32_e64 v1, v44, v1, s4
	s_delay_alu instid0(VALU_DEP_1) | instskip(NEXT) | instid1(VALU_DEP_1)
	;; [unrolled: 3-line block ×9, first 2 shown]
	v_add_f32_e32 v1, v36, v1
	v_cndmask_b32_e32 v1, v36, v1, vcc_lo
	s_delay_alu instid0(VALU_DEP_1) | instskip(NEXT) | instid1(VALU_DEP_1)
	v_add_f32_e32 v1, v60, v1
	v_cndmask_b32_e64 v1, v60, v1, s12
	v_cmp_eq_u32_e64 s12, 0, v2
	s_delay_alu instid0(VALU_DEP_2) | instskip(NEXT) | instid1(VALU_DEP_1)
	v_mov_b32_dpp v3, v1 row_shr:1 row_mask:0xf bank_mask:0xf
	v_add_f32_e32 v3, v1, v3
	s_delay_alu instid0(VALU_DEP_1) | instskip(SKIP_1) | instid1(VALU_DEP_1)
	v_cndmask_b32_e64 v3, v1, v3, s12
	v_cmp_eq_u32_e64 s12, 0, v4
	v_cndmask_b32_e64 v6, v6, 0, s12
	s_delay_alu instid0(VALU_DEP_3) | instskip(NEXT) | instid1(VALU_DEP_2)
	v_cndmask_b32_e64 v1, v3, v1, s12
	v_add_nc_u32_e32 v2, v6, v2
	s_delay_alu instid0(VALU_DEP_2) | instskip(NEXT) | instid1(VALU_DEP_2)
	v_mov_b32_dpp v3, v1 row_shr:2 row_mask:0xf bank_mask:0xf
	v_cmp_eq_u32_e64 s12, 0, v2
	s_delay_alu instid0(VALU_DEP_2) | instskip(SKIP_1) | instid1(VALU_DEP_2)
	v_add_f32_e32 v3, v1, v3
	v_mov_b32_dpp v6, v2 row_shr:2 row_mask:0xf bank_mask:0xf
	v_cndmask_b32_e64 v3, v1, v3, s12
	v_cmp_lt_u32_e64 s12, 1, v4
	s_delay_alu instid0(VALU_DEP_1) | instskip(NEXT) | instid1(VALU_DEP_4)
	v_cndmask_b32_e64 v1, v1, v3, s12
	v_cndmask_b32_e64 v3, 0, v6, s12
	s_delay_alu instid0(VALU_DEP_2) | instskip(NEXT) | instid1(VALU_DEP_1)
	v_mov_b32_dpp v6, v1 row_shr:4 row_mask:0xf bank_mask:0xf
	v_dual_add_f32 v3, v1, v6 :: v_dual_add_nc_u32 v2, v2, v3
	s_delay_alu instid0(VALU_DEP_1) | instskip(SKIP_1) | instid1(VALU_DEP_2)
	v_cmp_eq_u32_e64 s12, 0, v2
	v_mov_b32_dpp v6, v2 row_shr:4 row_mask:0xf bank_mask:0xf
	v_cndmask_b32_e64 v3, v1, v3, s12
	v_cmp_lt_u32_e64 s12, 3, v4
	s_delay_alu instid0(VALU_DEP_1) | instskip(NEXT) | instid1(VALU_DEP_4)
	v_cndmask_b32_e64 v1, v1, v3, s12
	v_cndmask_b32_e64 v3, 0, v6, s12
	s_delay_alu instid0(VALU_DEP_2) | instskip(NEXT) | instid1(VALU_DEP_2)
	v_mov_b32_dpp v6, v1 row_shr:8 row_mask:0xf bank_mask:0xf
	v_add_nc_u32_e32 v2, v3, v2
	s_delay_alu instid0(VALU_DEP_2) | instskip(NEXT) | instid1(VALU_DEP_2)
	v_add_f32_e32 v3, v1, v6
	v_cmp_eq_u32_e64 s12, 0, v2
	v_mov_b32_dpp v6, v2 row_shr:8 row_mask:0xf bank_mask:0xf
	s_delay_alu instid0(VALU_DEP_2) | instskip(SKIP_1) | instid1(VALU_DEP_1)
	v_cndmask_b32_e64 v3, v1, v3, s12
	v_cmp_lt_u32_e64 s12, 7, v4
	v_cndmask_b32_e64 v3, v1, v3, s12
	s_delay_alu instid0(VALU_DEP_4) | instskip(SKIP_1) | instid1(VALU_DEP_2)
	v_cndmask_b32_e64 v1, 0, v6, s12
	v_bfe_i32 v6, v70, 4, 1
	v_add_nc_u32_e32 v1, v1, v2
	ds_swizzle_b32 v2, v3 offset:swizzle(BROADCAST,32,15)
	ds_swizzle_b32 v4, v1 offset:swizzle(BROADCAST,32,15)
	v_cmp_eq_u32_e64 s12, 0, v1
	s_waitcnt lgkmcnt(1)
	v_add_f32_e32 v2, v3, v2
	s_waitcnt lgkmcnt(0)
	v_and_b32_e32 v4, v6, v4
	s_delay_alu instid0(VALU_DEP_2) | instskip(NEXT) | instid1(VALU_DEP_2)
	v_cndmask_b32_e64 v2, v3, v2, s12
	v_add_nc_u32_e32 v1, v4, v1
	s_delay_alu instid0(VALU_DEP_2)
	v_cndmask_b32_e64 v2, v2, v3, s13
	v_lshlrev_b32_e32 v4, 3, v71
	s_mov_b32 s13, exec_lo
	v_cmpx_eq_u32_e64 v72, v0
	s_cbranch_execz .LBB207_144
; %bb.143:
	ds_store_b64 v4, v[1:2] offset:2064
.LBB207_144:
	s_or_b32 exec_lo, exec_lo, s13
	s_delay_alu instid0(SALU_CYCLE_1)
	s_mov_b32 s14, exec_lo
	s_waitcnt vmcnt(0) lgkmcnt(0)
	s_barrier
	buffer_gl0_inv
	v_cmpx_gt_u32_e32 8, v0
	s_cbranch_execz .LBB207_146
; %bb.145:
	v_lshlrev_b32_e32 v3, 3, v0
	v_and_b32_e32 v49, 7, v70
	ds_load_b64 v[6:7], v3 offset:2064
	s_waitcnt lgkmcnt(0)
	v_mov_b32_dpp v8, v7 row_shr:1 row_mask:0xf bank_mask:0xf
	v_cmp_eq_u32_e64 s12, 0, v6
	v_mov_b32_dpp v51, v6 row_shr:1 row_mask:0xf bank_mask:0xf
	s_delay_alu instid0(VALU_DEP_3) | instskip(NEXT) | instid1(VALU_DEP_1)
	v_add_f32_e32 v8, v7, v8
	v_cndmask_b32_e64 v8, v7, v8, s12
	v_cmp_eq_u32_e64 s12, 0, v49
	s_delay_alu instid0(VALU_DEP_1) | instskip(NEXT) | instid1(VALU_DEP_3)
	v_cndmask_b32_e64 v51, v51, 0, s12
	v_cndmask_b32_e64 v7, v8, v7, s12
	s_delay_alu instid0(VALU_DEP_2) | instskip(NEXT) | instid1(VALU_DEP_2)
	v_add_nc_u32_e32 v6, v51, v6
	v_mov_b32_dpp v8, v7 row_shr:2 row_mask:0xf bank_mask:0xf
	s_delay_alu instid0(VALU_DEP_2) | instskip(NEXT) | instid1(VALU_DEP_2)
	v_cmp_eq_u32_e64 s12, 0, v6
	v_add_f32_e32 v8, v7, v8
	v_mov_b32_dpp v51, v6 row_shr:2 row_mask:0xf bank_mask:0xf
	s_delay_alu instid0(VALU_DEP_2) | instskip(SKIP_1) | instid1(VALU_DEP_1)
	v_cndmask_b32_e64 v8, v7, v8, s12
	v_cmp_lt_u32_e64 s12, 1, v49
	v_cndmask_b32_e64 v7, v7, v8, s12
	s_delay_alu instid0(VALU_DEP_4) | instskip(SKIP_1) | instid1(VALU_DEP_3)
	v_cndmask_b32_e64 v8, 0, v51, s12
	v_cmp_lt_u32_e64 s12, 3, v49
	v_mov_b32_dpp v51, v7 row_shr:4 row_mask:0xf bank_mask:0xf
	s_delay_alu instid0(VALU_DEP_1) | instskip(NEXT) | instid1(VALU_DEP_1)
	v_dual_add_f32 v49, v7, v51 :: v_dual_add_nc_u32 v6, v8, v6
	v_mov_b32_dpp v8, v6 row_shr:4 row_mask:0xf bank_mask:0xf
	v_cmp_eq_u32_e64 s13, 0, v6
	s_delay_alu instid0(VALU_DEP_2) | instskip(NEXT) | instid1(VALU_DEP_2)
	v_cndmask_b32_e64 v8, 0, v8, s12
	s_and_b32 s12, s12, s13
	s_delay_alu instid0(SALU_CYCLE_1) | instskip(NEXT) | instid1(VALU_DEP_2)
	v_cndmask_b32_e64 v7, v7, v49, s12
	v_add_nc_u32_e32 v6, v8, v6
	ds_store_b64 v3, v[6:7] offset:2064
.LBB207_146:
	s_or_b32 exec_lo, exec_lo, s14
	v_dual_mov_b32 v6, 0 :: v_dual_mov_b32 v3, 0
	v_mov_b32_e32 v7, v5
	s_mov_b32 s13, exec_lo
	s_waitcnt lgkmcnt(0)
	s_barrier
	buffer_gl0_inv
	v_cmpx_lt_u32_e32 31, v0
	s_cbranch_execz .LBB207_148
; %bb.147:
	ds_load_b64 v[3:4], v4 offset:2056
	s_waitcnt lgkmcnt(0)
	v_add_f32_e32 v7, v5, v4
	v_cmp_eq_u32_e64 s12, 0, v3
	s_delay_alu instid0(VALU_DEP_1)
	v_cndmask_b32_e64 v7, v4, v7, s12
.LBB207_148:
	s_or_b32 exec_lo, exec_lo, s13
	v_add_nc_u32_e32 v4, -1, v70
	s_delay_alu instid0(VALU_DEP_2) | instskip(SKIP_1) | instid1(VALU_DEP_3)
	v_dual_add_f32 v8, v2, v7 :: v_dual_add_nc_u32 v49, v3, v1
	v_cmp_eq_u32_e64 s13, 0, v27
	v_cmp_gt_i32_e64 s12, 0, v4
	s_delay_alu instid0(VALU_DEP_1) | instskip(SKIP_1) | instid1(VALU_DEP_2)
	v_cndmask_b32_e64 v4, v4, v70, s12
	v_cmp_eq_u32_e64 s12, 0, v1
	v_lshlrev_b32_e32 v4, 2, v4
	s_delay_alu instid0(VALU_DEP_2)
	v_cndmask_b32_e64 v1, v2, v8, s12
	v_cmp_eq_u32_e64 s12, 0, v70
	ds_bpermute_b32 v2, v4, v49
	ds_bpermute_b32 v1, v4, v1
	s_waitcnt lgkmcnt(1)
	v_cndmask_b32_e64 v4, v2, v3, s12
	s_waitcnt lgkmcnt(0)
	v_cndmask_b32_e64 v69, v1, v7, s12
	v_cmp_eq_u32_e64 s12, 0, v0
	s_delay_alu instid0(VALU_DEP_1) | instskip(NEXT) | instid1(VALU_DEP_1)
	v_cndmask_b32_e64 v1, v69, v5, s12
	v_add_f32_e32 v1, v47, v1
	s_delay_alu instid0(VALU_DEP_1) | instskip(NEXT) | instid1(VALU_DEP_1)
	v_cndmask_b32_e64 v68, v47, v1, s13
	v_add_f32_e32 v1, v48, v68
	;; [unrolled: 3-line block ×11, first 2 shown]
	s_delay_alu instid0(VALU_DEP_1) | instskip(SKIP_2) | instid1(VALU_DEP_1)
	v_cndmask_b32_e64 v52, v37, v1, s11
	ds_load_b64 v[1:2], v6 offset:2120
	v_add_f32_e32 v3, v38, v52
	v_cndmask_b32_e64 v53, v38, v3, s8
	s_delay_alu instid0(VALU_DEP_1) | instskip(NEXT) | instid1(VALU_DEP_1)
	v_add_f32_e32 v3, v35, v53
	v_cndmask_b32_e64 v51, v35, v3, s10
	s_waitcnt lgkmcnt(0)
	v_add_f32_e32 v3, v5, v2
	v_cmp_eq_u32_e64 s0, 0, v1
	s_delay_alu instid0(VALU_DEP_3) | instskip(NEXT) | instid1(VALU_DEP_2)
	v_add_f32_e32 v6, v36, v51
	v_cndmask_b32_e64 v49, v2, v3, s0
	s_and_saveexec_b32 s0, s12
	s_cbranch_execz .LBB207_150
; %bb.149:
	s_delay_alu instid0(VALU_DEP_1)
	v_and_b32_e32 v2, 0xff000000, v49
	v_dual_mov_b32 v4, 0 :: v_dual_and_b32 v3, 0xff0000, v49
	s_add_u32 s2, s24, 0x200
	v_and_b32_e32 v7, 0xff00, v49
	s_addc_u32 s3, s25, 0
	v_and_b32_e32 v8, 0xff, v49
	v_or_b32_e32 v2, v3, v2
	v_mov_b32_e32 v3, 2
	v_mov_b32_e32 v69, v5
	s_delay_alu instid0(VALU_DEP_3)
	v_or3_b32 v2, v2, v7, v8
	v_dual_mov_b32 v8, s3 :: v_dual_mov_b32 v7, s2
	;;#ASMSTART
	global_store_dwordx4 v[7:8], v[1:4] off	
s_waitcnt vmcnt(0)
	;;#ASMEND
.LBB207_150:
	s_or_b32 exec_lo, exec_lo, s0
	v_dual_cndmask_b32 v56, v36, v6 :: v_dual_mov_b32 v5, 0
.LBB207_151:
	v_mov_b32_e32 v7, 0
	s_and_b32 s0, s16, exec_lo
	v_mov_b32_e32 v8, 0
	s_cselect_b32 s1, 0, s43
	s_cselect_b32 s0, 0, s42
	s_waitcnt lgkmcnt(0)
	s_cmp_eq_u64 s[0:1], 0
	s_barrier
	buffer_gl0_inv
	s_cbranch_scc1 .LBB207_153
; %bb.152:
	v_mov_b32_e32 v2, 0
	global_load_b64 v[7:8], v2, s[0:1]
.LBB207_153:
	v_cmp_eq_u32_e32 vcc_lo, 0, v27
	v_add_nc_u32_e32 v47, v4, v27
	v_cmp_ne_u32_e64 s12, 0, v27
	v_cmp_ne_u32_e64 s11, 0, v50
	;; [unrolled: 1-line block ×3, first 2 shown]
	v_cndmask_b32_e64 v2, 1, 2, vcc_lo
	v_cmp_eq_u32_e32 vcc_lo, 0, v50
	v_cmp_ne_u32_e64 s8, 0, v34
	v_cmp_ne_u32_e64 s14, 0, v31
	;; [unrolled: 1-line block ×4, first 2 shown]
	v_cndmask_b32_e64 v3, 1, 2, vcc_lo
	v_cmp_eq_u32_e32 vcc_lo, 0, v33
	v_cmp_ne_u32_e64 s7, 0, v30
	v_cmp_ne_u32_e64 s6, 0, v25
	;; [unrolled: 1-line block ×3, first 2 shown]
	v_and_b32_e32 v2, v3, v2
	v_cndmask_b32_e64 v6, 1, 2, vcc_lo
	v_cmp_eq_u32_e32 vcc_lo, 0, v34
	v_cmp_ne_u32_e64 s4, 0, v23
	v_cmp_ne_u32_e64 s3, 0, v24
	;; [unrolled: 1-line block ×3, first 2 shown]
	v_and_b32_e32 v6, v2, v6
	v_cndmask_b32_e64 v35, 1, 2, vcc_lo
	v_cmp_eq_u32_e32 vcc_lo, 0, v31
	s_waitcnt vmcnt(0)
	v_lshlrev_b64 v[2:3], 2, v[7:8]
	v_cmp_ne_u32_e64 s1, 0, v28
	v_cmp_ne_u32_e64 s0, 0, v58
	v_dual_mov_b32 v6, 0 :: v_dual_and_b32 v35, v6, v35
	v_cndmask_b32_e64 v36, 1, 2, vcc_lo
	v_cmp_eq_u32_e32 vcc_lo, 0, v32
	v_add_nc_u32_e32 v60, v47, v50
	s_mov_b32 s16, -1
	s_delay_alu instid0(VALU_DEP_3) | instskip(SKIP_3) | instid1(VALU_DEP_3)
	v_and_b32_e32 v35, v35, v36
	v_cndmask_b32_e64 v37, 1, 2, vcc_lo
	v_cmp_eq_u32_e32 vcc_lo, 0, v29
	v_add_nc_u32_e32 v48, v60, v33
	v_and_b32_e32 v35, v35, v37
	v_cndmask_b32_e64 v36, 1, 2, vcc_lo
	v_cmp_eq_u32_e32 vcc_lo, 0, v30
	s_delay_alu instid0(VALU_DEP_4) | instskip(NEXT) | instid1(VALU_DEP_3)
	v_add_nc_u32_e32 v46, v48, v34
	v_and_b32_e32 v35, v35, v36
	v_cndmask_b32_e64 v37, 1, 2, vcc_lo
	v_cmp_eq_u32_e32 vcc_lo, 0, v25
	s_delay_alu instid0(VALU_DEP_4) | instskip(NEXT) | instid1(VALU_DEP_3)
	;; [unrolled: 5-line block ×4, first 2 shown]
	v_add_nc_u32_e32 v43, v44, v29
	v_and_b32_e32 v37, v35, v37
	v_cndmask_b32_e64 v38, 1, 2, vcc_lo
	v_cmp_eq_u32_e32 vcc_lo, 0, v24
	s_delay_alu instid0(VALU_DEP_4) | instskip(SKIP_1) | instid1(VALU_DEP_4)
	v_add_nc_u32_e32 v42, v43, v30
	v_lshlrev_b64 v[35:36], 2, v[5:6]
	v_and_b32_e32 v6, v37, v38
	v_cndmask_b32_e64 v70, 1, 2, vcc_lo
	v_cmp_eq_u32_e32 vcc_lo, 0, v59
	v_add_nc_u32_e32 v41, v42, v25
	s_delay_alu instid0(VALU_DEP_3) | instskip(SKIP_4) | instid1(VALU_DEP_3)
	v_and_b32_e32 v74, v6, v70
	v_cndmask_b32_e64 v72, 1, 2, vcc_lo
	v_add_co_u32 v71, vcc_lo, s22, v2
	v_add_co_ci_u32_e32 v73, vcc_lo, s23, v3, vcc_lo
	v_add_nc_u32_e32 v40, v41, v26
	v_add_co_u32 v70, vcc_lo, v71, v35
	s_delay_alu instid0(VALU_DEP_3) | instskip(SKIP_1) | instid1(VALU_DEP_4)
	v_add_co_ci_u32_e32 v71, vcc_lo, v73, v36, vcc_lo
	v_cmp_eq_u32_e32 vcc_lo, 0, v28
	v_add_nc_u32_e32 v39, v40, v23
	v_and_b32_e32 v72, v74, v72
	v_cndmask_b32_e64 v73, 1, 2, vcc_lo
	v_cmp_eq_u32_e32 vcc_lo, 0, v58
	s_delay_alu instid0(VALU_DEP_4) | instskip(NEXT) | instid1(VALU_DEP_3)
	v_add_nc_u32_e32 v38, v39, v24
	v_and_b32_e32 v72, v72, v73
	v_cndmask_b32_e64 v73, 1, 2, vcc_lo
	s_delay_alu instid0(VALU_DEP_3) | instskip(SKIP_1) | instid1(VALU_DEP_3)
	v_add_nc_u32_e32 v37, v38, v59
	v_cmp_gt_u32_e32 vcc_lo, 0x100, v1
	v_and_b32_e32 v72, v72, v73
	s_delay_alu instid0(VALU_DEP_3) | instskip(NEXT) | instid1(VALU_DEP_2)
	v_add_nc_u32_e32 v6, v37, v28
	v_cmp_gt_i16_e64 s15, 2, v72
	s_cbranch_vccz .LBB207_160
; %bb.154:
	s_delay_alu instid0(VALU_DEP_1)
	s_and_saveexec_b32 s16, s15
	s_cbranch_execz .LBB207_159
; %bb.155:
	s_mov_b32 s17, 0
	s_mov_b32 s15, exec_lo
	v_cmpx_ne_u16_e32 1, v72
	s_xor_b32 s15, exec_lo, s15
	s_cbranch_execnz .LBB207_225
; %bb.156:
	s_and_not1_saveexec_b32 s15, s15
	s_cbranch_execnz .LBB207_241
.LBB207_157:
	s_or_b32 exec_lo, exec_lo, s15
	s_delay_alu instid0(SALU_CYCLE_1)
	s_and_b32 exec_lo, exec_lo, s17
	s_cbranch_execz .LBB207_159
.LBB207_158:
	v_sub_nc_u32_e32 v73, v6, v5
	v_mov_b32_e32 v74, 0
	s_delay_alu instid0(VALU_DEP_1) | instskip(NEXT) | instid1(VALU_DEP_1)
	v_lshlrev_b64 v[73:74], 2, v[73:74]
	v_add_co_u32 v73, vcc_lo, v70, v73
	s_delay_alu instid0(VALU_DEP_2)
	v_add_co_ci_u32_e32 v74, vcc_lo, v71, v74, vcc_lo
	global_store_b32 v[73:74], v57, off
.LBB207_159:
	s_or_b32 exec_lo, exec_lo, s16
	s_mov_b32 s16, 0
.LBB207_160:
	s_delay_alu instid0(SALU_CYCLE_1)
	s_and_b32 vcc_lo, exec_lo, s16
	s_cbranch_vccz .LBB207_170
; %bb.161:
	s_mov_b32 s15, exec_lo
	v_cmpx_gt_i16_e32 2, v72
	s_cbranch_execz .LBB207_166
; %bb.162:
	s_mov_b32 s17, 0
	s_mov_b32 s16, exec_lo
	v_cmpx_ne_u16_e32 1, v72
	s_xor_b32 s16, exec_lo, s16
	s_cbranch_execnz .LBB207_242
; %bb.163:
	s_and_not1_saveexec_b32 s0, s16
	s_cbranch_execnz .LBB207_258
.LBB207_164:
	s_or_b32 exec_lo, exec_lo, s0
	s_delay_alu instid0(SALU_CYCLE_1)
	s_and_b32 exec_lo, exec_lo, s17
	s_cbranch_execz .LBB207_166
.LBB207_165:
	v_sub_nc_u32_e32 v9, v6, v5
	s_delay_alu instid0(VALU_DEP_1)
	v_lshlrev_b32_e32 v9, 2, v9
	ds_store_b32 v9, v57
.LBB207_166:
	s_or_b32 exec_lo, exec_lo, s15
	s_delay_alu instid0(SALU_CYCLE_1)
	s_mov_b32 s1, exec_lo
	s_waitcnt lgkmcnt(0)
	s_waitcnt_vscnt null, 0x0
	s_barrier
	buffer_gl0_inv
	v_cmpx_lt_u32_e64 v0, v1
	s_cbranch_execz .LBB207_169
; %bb.167:
	v_dual_mov_b32 v10, 0 :: v_dual_lshlrev_b32 v11, 2, v0
	v_mov_b32_e32 v9, v0
	s_mov_b32 s2, 0
	.p2align	6
.LBB207_168:                            ; =>This Inner Loop Header: Depth=1
	ds_load_b32 v14, v11
	v_lshlrev_b64 v[12:13], 2, v[9:10]
	v_add_nc_u32_e32 v9, 0x100, v9
	v_add_nc_u32_e32 v11, 0x400, v11
	s_delay_alu instid0(VALU_DEP_2) | instskip(NEXT) | instid1(VALU_DEP_4)
	v_cmp_ge_u32_e32 vcc_lo, v9, v1
	v_add_co_u32 v12, s0, v70, v12
	s_delay_alu instid0(VALU_DEP_1)
	v_add_co_ci_u32_e64 v13, s0, v71, v13, s0
	s_or_b32 s2, vcc_lo, s2
	s_waitcnt lgkmcnt(0)
	global_store_b32 v[12:13], v14, off
	s_and_not1_b32 exec_lo, exec_lo, s2
	s_cbranch_execnz .LBB207_168
.LBB207_169:
	s_or_b32 exec_lo, exec_lo, s1
.LBB207_170:
	s_cmpk_lg_i32 s19, 0xf00
	v_cmp_eq_u32_e32 vcc_lo, 0, v0
	s_cselect_b32 s0, -1, 0
	v_cndmask_b32_e64 v14, 0, 1, s20
	s_and_b32 s0, s18, s0
	v_mad_i32_i24 v11, v0, -15, s19
	v_cndmask_b32_e64 v10, 0, 1, s0
	s_mul_hi_u32 s0, s19, 0x88888889
	s_and_b32 s1, vcc_lo, s20
	s_lshr_b32 s0, s0, 3
	v_sub_nc_u32_e32 v9, v1, v14
	v_cndmask_b32_e64 v12, v27, 0, s1
	v_cmp_eq_u32_e32 vcc_lo, s0, v0
	v_cmp_ne_u32_e64 s0, 0, v11
	s_mov_b32 s16, -1
	s_waitcnt_vscnt null, 0x0
	s_barrier
	s_and_b32 vcc_lo, s18, vcc_lo
	v_add_nc_u32_e32 v9, v9, v10
	v_cndmask_b32_e64 v10, 1, v12, s0
	v_cmp_ne_u32_e64 s0, 1, v11
	buffer_gl0_inv
	v_cndmask_b32_e32 v18, v12, v10, vcc_lo
	v_cndmask_b32_e64 v13, 1, v50, s0
	v_cmp_ne_u32_e64 s0, 14, v11
	s_delay_alu instid0(VALU_DEP_3) | instskip(NEXT) | instid1(VALU_DEP_2)
	v_cmp_ne_u32_e64 s14, 0, v18
	v_cndmask_b32_e64 v15, 1, v58, s0
	v_cmp_ne_u32_e64 s0, 2, v11
	s_delay_alu instid0(VALU_DEP_2) | instskip(NEXT) | instid1(VALU_DEP_2)
	v_cndmask_b32_e32 v15, v58, v15, vcc_lo
	v_cndmask_b32_e64 v16, 1, v33, s0
	v_cmp_ne_u32_e64 s0, 3, v11
	s_delay_alu instid0(VALU_DEP_2) | instskip(NEXT) | instid1(VALU_DEP_2)
	v_dual_cndmask_b32 v19, v50, v13 :: v_dual_cndmask_b32 v16, v33, v16
	v_cndmask_b32_e64 v17, 1, v34, s0
	v_cmp_ne_u32_e64 s0, 4, v11
	s_delay_alu instid0(VALU_DEP_3) | instskip(NEXT) | instid1(VALU_DEP_4)
	v_cmp_ne_u32_e64 s13, 0, v19
	v_cmp_ne_u32_e64 s12, 0, v16
	s_delay_alu instid0(VALU_DEP_3) | instskip(SKIP_1) | instid1(VALU_DEP_1)
	v_cndmask_b32_e64 v10, 1, v31, s0
	v_cmp_ne_u32_e64 s0, 5, v11
	v_cndmask_b32_e64 v12, 1, v32, s0
	v_cmp_eq_u32_e64 s0, 0, v18
	s_delay_alu instid0(VALU_DEP_2) | instskip(NEXT) | instid1(VALU_DEP_2)
	v_cndmask_b32_e32 v32, v32, v12, vcc_lo
	v_cndmask_b32_e64 v13, 1, 2, s0
	v_cmp_eq_u32_e64 s0, 0, v19
	s_delay_alu instid0(VALU_DEP_3) | instskip(NEXT) | instid1(VALU_DEP_2)
	v_cmp_ne_u32_e64 s9, 0, v32
	v_cndmask_b32_e64 v20, 1, 2, s0
	v_cmp_ne_u32_e64 s0, 6, v11
	s_delay_alu instid0(VALU_DEP_2) | instskip(NEXT) | instid1(VALU_DEP_2)
	v_and_b32_e32 v13, v20, v13
	v_cndmask_b32_e64 v21, 1, v29, s0
	v_cmp_eq_u32_e64 s0, 0, v16
	s_delay_alu instid0(VALU_DEP_2) | instskip(NEXT) | instid1(VALU_DEP_2)
	v_cndmask_b32_e32 v21, v29, v21, vcc_lo
	v_cndmask_b32_e64 v20, 1, 2, s0
	v_cmp_ne_u32_e64 s0, 7, v11
	s_delay_alu instid0(VALU_DEP_1) | instskip(SKIP_1) | instid1(VALU_DEP_2)
	v_cndmask_b32_e64 v22, 1, v30, s0
	v_cmp_ne_u32_e64 s0, 8, v11
	v_dual_cndmask_b32 v22, v30, v22 :: v_dual_and_b32 v13, v13, v20
	v_cndmask_b32_e32 v17, v34, v17, vcc_lo
	s_delay_alu instid0(VALU_DEP_3) | instskip(NEXT) | instid1(VALU_DEP_3)
	v_cndmask_b32_e64 v27, 1, v25, s0
	v_cmp_ne_u32_e64 s7, 0, v22
	s_delay_alu instid0(VALU_DEP_3) | instskip(NEXT) | instid1(VALU_DEP_3)
	v_cmp_eq_u32_e64 s0, 0, v17
	v_cndmask_b32_e32 v25, v25, v27, vcc_lo
	s_delay_alu instid0(VALU_DEP_2) | instskip(SKIP_1) | instid1(VALU_DEP_3)
	v_cndmask_b32_e64 v20, 1, 2, s0
	v_cmp_ne_u32_e64 s0, 9, v11
	v_cmp_ne_u32_e64 s6, 0, v25
	s_delay_alu instid0(VALU_DEP_3) | instskip(NEXT) | instid1(VALU_DEP_3)
	v_dual_cndmask_b32 v31, v31, v10 :: v_dual_and_b32 v12, v13, v20
	v_cndmask_b32_e64 v10, 1, v26, s0
	v_cmp_ne_u32_e64 s11, 0, v17
	s_delay_alu instid0(VALU_DEP_3) | instskip(NEXT) | instid1(VALU_DEP_1)
	v_cmp_eq_u32_e64 s0, 0, v31
	v_cndmask_b32_e64 v13, 1, 2, s0
	v_cmp_ne_u32_e64 s0, 10, v11
	s_delay_alu instid0(VALU_DEP_2) | instskip(NEXT) | instid1(VALU_DEP_2)
	v_and_b32_e32 v12, v12, v13
	v_cndmask_b32_e64 v20, 1, v23, s0
	v_cmp_ne_u32_e64 s0, 12, v11
	v_cmp_ne_u32_e64 s10, 0, v31
	s_delay_alu instid0(VALU_DEP_3) | instskip(NEXT) | instid1(VALU_DEP_3)
	v_cndmask_b32_e32 v20, v23, v20, vcc_lo
	v_cndmask_b32_e64 v33, 1, v59, s0
	v_cmp_eq_u32_e64 s0, 0, v32
	v_cndmask_b32_e32 v23, v26, v10, vcc_lo
	s_delay_alu instid0(VALU_DEP_2) | instskip(SKIP_1) | instid1(VALU_DEP_3)
	v_cndmask_b32_e64 v13, 1, 2, s0
	v_cmp_ne_u32_e64 s0, 13, v11
	v_cmp_ne_u32_e64 s5, 0, v23
	s_delay_alu instid0(VALU_DEP_3) | instskip(NEXT) | instid1(VALU_DEP_3)
	v_and_b32_e32 v12, v12, v13
	v_cndmask_b32_e64 v29, 1, v28, s0
	v_cmp_eq_u32_e64 s0, 0, v21
	s_delay_alu instid0(VALU_DEP_2) | instskip(NEXT) | instid1(VALU_DEP_2)
	v_cndmask_b32_e32 v28, v28, v29, vcc_lo
	v_cndmask_b32_e64 v13, 1, 2, s0
	v_cmp_ne_u32_e64 s0, 11, v11
	s_delay_alu instid0(VALU_DEP_3) | instskip(NEXT) | instid1(VALU_DEP_3)
	v_cmp_ne_u32_e64 s1, 0, v28
	v_and_b32_e32 v12, v12, v13
	s_delay_alu instid0(VALU_DEP_3) | instskip(SKIP_1) | instid1(VALU_DEP_2)
	v_cndmask_b32_e64 v11, 1, v24, s0
	v_cmp_eq_u32_e64 s0, 0, v22
	v_cndmask_b32_e32 v24, v24, v11, vcc_lo
	s_delay_alu instid0(VALU_DEP_2) | instskip(SKIP_2) | instid1(VALU_DEP_4)
	v_cndmask_b32_e64 v13, 1, 2, s0
	v_cmp_ne_u32_e64 s8, 0, v21
	v_cmp_ne_u32_e64 s0, 0, v15
	v_cmp_ne_u32_e64 s3, 0, v24
	s_delay_alu instid0(VALU_DEP_4)
	v_and_b32_e32 v10, v12, v13
	v_cndmask_b32_e32 v29, v59, v33, vcc_lo
	v_cmp_eq_u32_e32 vcc_lo, 0, v25
	v_cndmask_b32_e64 v11, 1, 2, vcc_lo
	v_add_co_u32 v2, vcc_lo, s36, v2
	v_add_co_ci_u32_e32 v3, vcc_lo, s37, v3, vcc_lo
	s_delay_alu instid0(VALU_DEP_3)
	v_and_b32_e32 v12, v10, v11
	v_cmp_eq_u32_e32 vcc_lo, 0, v23
	v_cmp_ne_u32_e64 s2, 0, v29
	v_cndmask_b32_e64 v13, 1, 2, vcc_lo
	v_add_co_u32 v10, vcc_lo, v2, v35
	v_add_co_ci_u32_e32 v11, vcc_lo, v3, v36, vcc_lo
	v_lshlrev_b32_e32 v2, 2, v14
	s_delay_alu instid0(VALU_DEP_4)
	v_and_b32_e32 v3, v12, v13
	v_cmp_eq_u32_e32 vcc_lo, 0, v20
	v_cmp_ne_u32_e64 s4, 0, v20
	v_cndmask_b32_e64 v12, 1, 2, vcc_lo
	v_add_co_u32 v2, vcc_lo, v2, v10
	v_add_co_ci_u32_e32 v13, vcc_lo, 0, v11, vcc_lo
	v_cmp_eq_u32_e32 vcc_lo, 0, v24
	s_delay_alu instid0(VALU_DEP_4)
	v_and_b32_e32 v3, v3, v12
	v_cndmask_b32_e64 v26, 1, 2, vcc_lo
	v_add_co_u32 v12, vcc_lo, v2, -4
	v_add_co_ci_u32_e32 v13, vcc_lo, -1, v13, vcc_lo
	v_cmp_eq_u32_e32 vcc_lo, 0, v29
	v_add_nc_u32_e32 v2, v5, v14
	v_and_b32_e32 v3, v3, v26
	v_cndmask_b32_e64 v14, 1, 2, vcc_lo
	v_cmp_eq_u32_e32 vcc_lo, 0, v28
	s_delay_alu instid0(VALU_DEP_2) | instskip(SKIP_2) | instid1(VALU_DEP_2)
	v_and_b32_e32 v3, v3, v14
	v_cndmask_b32_e64 v14, 1, 2, vcc_lo
	v_cmp_eq_u32_e32 vcc_lo, 0, v15
	v_and_b32_e32 v3, v3, v14
	v_cndmask_b32_e64 v14, 1, 2, vcc_lo
	v_cmp_gt_u32_e32 vcc_lo, 0x100, v9
	s_delay_alu instid0(VALU_DEP_2) | instskip(NEXT) | instid1(VALU_DEP_1)
	v_and_b32_e32 v3, v3, v14
	v_cmp_gt_i16_e64 s15, 2, v3
	s_cbranch_vccnz .LBB207_174
; %bb.171:
	s_and_b32 vcc_lo, exec_lo, s16
	s_cbranch_vccnz .LBB207_180
.LBB207_172:
	v_cmp_eq_u32_e32 vcc_lo, 0xff, v0
	s_and_b32 s0, vcc_lo, s18
	s_delay_alu instid0(SALU_CYCLE_1)
	s_and_saveexec_b32 s1, s0
	s_cbranch_execnz .LBB207_189
.LBB207_173:
	s_nop 0
	s_sendmsg sendmsg(MSG_DEALLOC_VGPRS)
	s_endpgm
.LBB207_174:
	s_delay_alu instid0(VALU_DEP_1)
	s_and_saveexec_b32 s16, s15
	s_cbranch_execz .LBB207_179
; %bb.175:
	s_mov_b32 s17, 0
	s_mov_b32 s15, exec_lo
	v_cmpx_ne_u16_e32 1, v3
	s_xor_b32 s15, exec_lo, s15
	s_cbranch_execnz .LBB207_259
; %bb.176:
	s_and_not1_saveexec_b32 s15, s15
	s_cbranch_execnz .LBB207_275
.LBB207_177:
	s_or_b32 exec_lo, exec_lo, s15
	s_delay_alu instid0(SALU_CYCLE_1)
	s_and_b32 exec_lo, exec_lo, s17
	s_cbranch_execz .LBB207_179
.LBB207_178:
	v_sub_nc_u32_e32 v14, v6, v2
	v_mov_b32_e32 v15, 0
	s_delay_alu instid0(VALU_DEP_1) | instskip(NEXT) | instid1(VALU_DEP_1)
	v_lshlrev_b64 v[14:15], 2, v[14:15]
	v_add_co_u32 v14, vcc_lo, v12, v14
	s_delay_alu instid0(VALU_DEP_2)
	v_add_co_ci_u32_e32 v15, vcc_lo, v13, v15, vcc_lo
	global_store_b32 v[14:15], v56, off
.LBB207_179:
	s_or_b32 exec_lo, exec_lo, s16
	s_branch .LBB207_172
.LBB207_180:
	s_mov_b32 s15, exec_lo
	v_cmpx_gt_i16_e32 2, v3
	s_cbranch_execz .LBB207_185
; %bb.181:
	s_mov_b32 s17, 0
	s_mov_b32 s16, exec_lo
	v_cmpx_ne_u16_e32 1, v3
	s_xor_b32 s16, exec_lo, s16
	s_cbranch_execnz .LBB207_276
; %bb.182:
	s_and_not1_saveexec_b32 s0, s16
	s_cbranch_execnz .LBB207_292
.LBB207_183:
	s_or_b32 exec_lo, exec_lo, s0
	s_delay_alu instid0(SALU_CYCLE_1)
	s_and_b32 exec_lo, exec_lo, s17
	s_cbranch_execz .LBB207_185
.LBB207_184:
	v_sub_nc_u32_e32 v2, v6, v2
	s_delay_alu instid0(VALU_DEP_1)
	v_lshlrev_b32_e32 v2, 2, v2
	ds_store_b32 v2, v56
.LBB207_185:
	s_or_b32 exec_lo, exec_lo, s15
	s_delay_alu instid0(SALU_CYCLE_1)
	s_mov_b32 s1, exec_lo
	s_waitcnt lgkmcnt(0)
	s_waitcnt_vscnt null, 0x0
	s_barrier
	buffer_gl0_inv
	v_cmpx_lt_u32_e64 v0, v9
	s_cbranch_execz .LBB207_188
; %bb.186:
	v_dual_mov_b32 v3, 0 :: v_dual_lshlrev_b32 v4, 2, v0
	v_mov_b32_e32 v2, v0
	s_mov_b32 s2, 0
	.p2align	6
.LBB207_187:                            ; =>This Inner Loop Header: Depth=1
	ds_load_b32 v6, v4
	v_lshlrev_b64 v[14:15], 2, v[2:3]
	v_add_nc_u32_e32 v2, 0x100, v2
	v_add_nc_u32_e32 v4, 0x400, v4
	s_delay_alu instid0(VALU_DEP_2) | instskip(NEXT) | instid1(VALU_DEP_4)
	v_cmp_ge_u32_e32 vcc_lo, v2, v9
	v_add_co_u32 v14, s0, v12, v14
	s_delay_alu instid0(VALU_DEP_1)
	v_add_co_ci_u32_e64 v15, s0, v13, v15, s0
	s_or_b32 s2, vcc_lo, s2
	s_waitcnt lgkmcnt(0)
	global_store_b32 v[14:15], v6, off
	s_and_not1_b32 exec_lo, exec_lo, s2
	s_cbranch_execnz .LBB207_187
.LBB207_188:
	s_or_b32 exec_lo, exec_lo, s1
	v_cmp_eq_u32_e32 vcc_lo, 0xff, v0
	s_and_b32 s0, vcc_lo, s18
	s_delay_alu instid0(SALU_CYCLE_1)
	s_and_saveexec_b32 s1, s0
	s_cbranch_execz .LBB207_173
.LBB207_189:
	v_add_co_u32 v0, s0, v1, v5
	s_delay_alu instid0(VALU_DEP_1) | instskip(SKIP_1) | instid1(VALU_DEP_3)
	v_add_co_ci_u32_e64 v4, null, 0, 0, s0
	v_mov_b32_e32 v2, 0
	v_add_co_u32 v3, vcc_lo, v0, v7
	s_delay_alu instid0(VALU_DEP_3)
	v_add_co_ci_u32_e32 v4, vcc_lo, v4, v8, vcc_lo
	s_cmpk_lg_i32 s19, 0xf00
	global_store_b64 v2, v[3:4], s[38:39]
	s_cbranch_scc1 .LBB207_173
; %bb.190:
	v_lshlrev_b64 v[0:1], 2, v[1:2]
	s_delay_alu instid0(VALU_DEP_1) | instskip(NEXT) | instid1(VALU_DEP_2)
	v_add_co_u32 v0, vcc_lo, v10, v0
	v_add_co_ci_u32_e32 v1, vcc_lo, v11, v1, vcc_lo
	global_store_b32 v[0:1], v49, off offset:-4
	s_nop 0
	s_sendmsg sendmsg(MSG_DEALLOC_VGPRS)
	s_endpgm
.LBB207_191:
                                        ; implicit-def: $sgpr2
                                        ; implicit-def: $vgpr58
                                        ; implicit-def: $vgpr2
                                        ; implicit-def: $vgpr59
                                        ; implicit-def: $vgpr24
                                        ; implicit-def: $vgpr23
                                        ; implicit-def: $vgpr26
                                        ; implicit-def: $vgpr25
                                        ; implicit-def: $vgpr30
                                        ; implicit-def: $vgpr29
                                        ; implicit-def: $vgpr32
                                        ; implicit-def: $vgpr31
                                        ; implicit-def: $vgpr34
                                        ; implicit-def: $vgpr33
                                        ; implicit-def: $vgpr50
	s_cbranch_execz .LBB207_110
; %bb.192:
	v_dual_mov_b32 v28, 0 :: v_dual_lshlrev_b32 v1, 2, v0
	v_mov_b32_e32 v58, 0
	s_mov_b32 s2, exec_lo
	ds_store_b32 v1, v57
	v_cmpx_gt_u64_e64 s[0:1], v[27:28]
	s_cbranch_execz .LBB207_194
; %bb.193:
	v_cvt_i32_f32_e32 v2, v10
	v_cvt_i32_f32_e32 v4, v57
	s_delay_alu instid0(VALU_DEP_2) | instskip(NEXT) | instid1(VALU_DEP_2)
	v_mul_hi_i32 v2, 0x66666667, v2
	v_mul_hi_i32 v4, 0x66666667, v4
	s_waitcnt lgkmcnt(1)
	s_delay_alu instid0(VALU_DEP_2) | instskip(SKIP_1) | instid1(VALU_DEP_3)
	v_lshrrev_b32_e32 v5, 31, v2
	v_ashrrev_i32_e32 v2, 2, v2
	v_lshrrev_b32_e32 v6, 31, v4
	v_ashrrev_i32_e32 v4, 2, v4
	s_delay_alu instid0(VALU_DEP_3) | instskip(NEXT) | instid1(VALU_DEP_2)
	v_add_nc_u32_e32 v2, v2, v5
	v_add_nc_u32_e32 v4, v4, v6
	s_delay_alu instid0(VALU_DEP_1)
	v_cmp_ne_u32_e32 vcc_lo, v2, v4
	v_cndmask_b32_e64 v58, 0, 1, vcc_lo
.LBB207_194:
	s_or_b32 exec_lo, exec_lo, s2
	v_add_nc_u32_e32 v27, 13, v3
	s_mov_b32 s2, exec_lo
	s_delay_alu instid0(VALU_DEP_1)
	v_cmpx_gt_u64_e64 s[0:1], v[27:28]
	s_cbranch_execz .LBB207_196
; %bb.195:
	v_cvt_i32_f32_e32 v2, v9
	v_cvt_i32_f32_e32 v4, v10
	s_delay_alu instid0(VALU_DEP_2) | instskip(NEXT) | instid1(VALU_DEP_2)
	v_mul_hi_i32 v2, 0x66666667, v2
	v_mul_hi_i32 v4, 0x66666667, v4
	s_waitcnt lgkmcnt(1)
	s_delay_alu instid0(VALU_DEP_2) | instskip(SKIP_1) | instid1(VALU_DEP_3)
	v_lshrrev_b32_e32 v5, 31, v2
	v_ashrrev_i32_e32 v2, 2, v2
	v_lshrrev_b32_e32 v6, 31, v4
	v_ashrrev_i32_e32 v4, 2, v4
	s_delay_alu instid0(VALU_DEP_3) | instskip(NEXT) | instid1(VALU_DEP_2)
	v_add_nc_u32_e32 v2, v2, v5
	v_add_nc_u32_e32 v4, v4, v6
	s_delay_alu instid0(VALU_DEP_1)
	v_cmp_ne_u32_e32 vcc_lo, v2, v4
	v_cndmask_b32_e64 v28, 0, 1, vcc_lo
.LBB207_196:
	s_or_b32 exec_lo, exec_lo, s2
	v_dual_mov_b32 v24, 0 :: v_dual_add_nc_u32 v23, 12, v3
	v_mov_b32_e32 v59, 0
	s_mov_b32 s2, exec_lo
	s_delay_alu instid0(VALU_DEP_2)
	v_cmpx_gt_u64_e64 s[0:1], v[23:24]
	s_cbranch_execz .LBB207_198
; %bb.197:
	v_cvt_i32_f32_e32 v2, v12
	v_cvt_i32_f32_e32 v4, v9
	s_delay_alu instid0(VALU_DEP_2) | instskip(NEXT) | instid1(VALU_DEP_2)
	v_mul_hi_i32 v2, 0x66666667, v2
	v_mul_hi_i32 v4, 0x66666667, v4
	s_waitcnt lgkmcnt(1)
	s_delay_alu instid0(VALU_DEP_2) | instskip(SKIP_1) | instid1(VALU_DEP_3)
	v_lshrrev_b32_e32 v5, 31, v2
	v_ashrrev_i32_e32 v2, 2, v2
	v_lshrrev_b32_e32 v6, 31, v4
	v_ashrrev_i32_e32 v4, 2, v4
	s_delay_alu instid0(VALU_DEP_3) | instskip(NEXT) | instid1(VALU_DEP_2)
	v_add_nc_u32_e32 v2, v2, v5
	v_add_nc_u32_e32 v4, v4, v6
	s_delay_alu instid0(VALU_DEP_1)
	v_cmp_ne_u32_e32 vcc_lo, v2, v4
	v_cndmask_b32_e64 v59, 0, 1, vcc_lo
.LBB207_198:
	s_or_b32 exec_lo, exec_lo, s2
	v_add_nc_u32_e32 v23, 11, v3
	s_mov_b32 s2, exec_lo
	s_delay_alu instid0(VALU_DEP_1)
	v_cmpx_gt_u64_e64 s[0:1], v[23:24]
	s_cbranch_execz .LBB207_200
; %bb.199:
	v_cvt_i32_f32_e32 v2, v11
	v_cvt_i32_f32_e32 v4, v12
	s_delay_alu instid0(VALU_DEP_2) | instskip(NEXT) | instid1(VALU_DEP_2)
	v_mul_hi_i32 v2, 0x66666667, v2
	v_mul_hi_i32 v4, 0x66666667, v4
	s_waitcnt lgkmcnt(1)
	s_delay_alu instid0(VALU_DEP_2) | instskip(SKIP_1) | instid1(VALU_DEP_3)
	v_lshrrev_b32_e32 v5, 31, v2
	v_ashrrev_i32_e32 v2, 2, v2
	v_lshrrev_b32_e32 v6, 31, v4
	v_ashrrev_i32_e32 v4, 2, v4
	s_delay_alu instid0(VALU_DEP_3) | instskip(NEXT) | instid1(VALU_DEP_2)
	v_add_nc_u32_e32 v2, v2, v5
	v_add_nc_u32_e32 v4, v4, v6
	s_delay_alu instid0(VALU_DEP_1)
	v_cmp_ne_u32_e32 vcc_lo, v2, v4
	v_cndmask_b32_e64 v24, 0, 1, vcc_lo
.LBB207_200:
	s_or_b32 exec_lo, exec_lo, s2
	v_dual_mov_b32 v26, 0 :: v_dual_add_nc_u32 v25, 10, v3
	v_mov_b32_e32 v23, 0
	s_mov_b32 s2, exec_lo
	s_delay_alu instid0(VALU_DEP_2)
	;; [unrolled: 51-line block ×6, first 2 shown]
	v_cmpx_gt_u64_e64 s[0:1], v[49:50]
	s_cbranch_execz .LBB207_218
; %bb.217:
	v_cvt_i32_f32_e32 v2, v22
	v_cvt_i32_f32_e32 v4, v19
	s_delay_alu instid0(VALU_DEP_2) | instskip(NEXT) | instid1(VALU_DEP_2)
	v_mul_hi_i32 v2, 0x66666667, v2
	v_mul_hi_i32 v4, 0x66666667, v4
	s_waitcnt lgkmcnt(1)
	s_delay_alu instid0(VALU_DEP_2) | instskip(SKIP_1) | instid1(VALU_DEP_3)
	v_lshrrev_b32_e32 v5, 31, v2
	v_ashrrev_i32_e32 v2, 2, v2
	v_lshrrev_b32_e32 v6, 31, v4
	v_ashrrev_i32_e32 v4, 2, v4
	s_delay_alu instid0(VALU_DEP_3) | instskip(NEXT) | instid1(VALU_DEP_2)
	v_add_nc_u32_e32 v2, v2, v5
	v_add_nc_u32_e32 v4, v4, v6
	s_delay_alu instid0(VALU_DEP_1)
	v_cmp_ne_u32_e32 vcc_lo, v2, v4
	v_cndmask_b32_e64 v33, 0, 1, vcc_lo
.LBB207_218:
	s_or_b32 exec_lo, exec_lo, s2
	v_add_nc_u32_e32 v49, 1, v3
	s_mov_b32 s2, exec_lo
	s_delay_alu instid0(VALU_DEP_1)
	v_cmpx_gt_u64_e64 s[0:1], v[49:50]
	s_cbranch_execz .LBB207_220
; %bb.219:
	v_cvt_i32_f32_e32 v2, v21
	v_cvt_i32_f32_e32 v4, v22
	s_delay_alu instid0(VALU_DEP_2) | instskip(NEXT) | instid1(VALU_DEP_2)
	v_mul_hi_i32 v2, 0x66666667, v2
	v_mul_hi_i32 v4, 0x66666667, v4
	s_waitcnt lgkmcnt(1)
	s_delay_alu instid0(VALU_DEP_2) | instskip(SKIP_1) | instid1(VALU_DEP_3)
	v_lshrrev_b32_e32 v5, 31, v2
	v_ashrrev_i32_e32 v2, 2, v2
	v_lshrrev_b32_e32 v6, 31, v4
	v_ashrrev_i32_e32 v4, 2, v4
	s_delay_alu instid0(VALU_DEP_3) | instskip(NEXT) | instid1(VALU_DEP_2)
	v_add_nc_u32_e32 v2, v2, v5
	v_add_nc_u32_e32 v4, v4, v6
	s_delay_alu instid0(VALU_DEP_1)
	v_cmp_ne_u32_e32 vcc_lo, v2, v4
	v_cndmask_b32_e64 v50, 0, 1, vcc_lo
.LBB207_220:
	s_or_b32 exec_lo, exec_lo, s2
	s_mov_b32 s4, 0
	s_mov_b32 s3, exec_lo
	s_waitcnt lgkmcnt(0)
	s_barrier
	buffer_gl0_inv
                                        ; implicit-def: $sgpr2
	v_cmpx_ne_u32_e32 0, v0
	s_cbranch_execz .LBB207_224
; %bb.221:
	v_mov_b32_e32 v4, 0
	s_delay_alu instid0(VALU_DEP_1)
	v_cmp_gt_u64_e32 vcc_lo, s[0:1], v[3:4]
	s_and_saveexec_b32 s0, vcc_lo
	s_cbranch_execz .LBB207_223
; %bb.222:
	v_add_nc_u32_e32 v1, -4, v1
	v_cvt_i32_f32_e32 v2, v21
	ds_load_b32 v1, v1
	v_mul_hi_i32 v2, 0x66666667, v2
	s_delay_alu instid0(VALU_DEP_1) | instskip(SKIP_1) | instid1(VALU_DEP_1)
	v_lshrrev_b32_e32 v3, 31, v2
	v_ashrrev_i32_e32 v2, 2, v2
	v_add_nc_u32_e32 v2, v2, v3
	s_waitcnt lgkmcnt(0)
	v_cvt_i32_f32_e32 v1, v1
	s_delay_alu instid0(VALU_DEP_1) | instskip(NEXT) | instid1(VALU_DEP_1)
	v_mul_hi_i32 v1, 0x66666667, v1
	v_lshrrev_b32_e32 v4, 31, v1
	v_ashrrev_i32_e32 v1, 2, v1
	s_delay_alu instid0(VALU_DEP_1) | instskip(NEXT) | instid1(VALU_DEP_1)
	v_add_nc_u32_e32 v1, v1, v4
	v_cmp_ne_u32_e32 vcc_lo, v1, v2
	s_and_b32 s4, vcc_lo, exec_lo
.LBB207_223:
	s_or_b32 exec_lo, exec_lo, s0
	s_delay_alu instid0(SALU_CYCLE_1)
	s_and_b32 s2, s4, exec_lo
	s_or_b32 s28, s28, exec_lo
.LBB207_224:
	s_or_b32 exec_lo, exec_lo, s3
	v_mov_b32_e32 v2, v28
	s_mov_b32 s0, 1
	s_delay_alu instid0(SALU_CYCLE_1)
	v_mov_b32_e32 v27, s0
	s_and_saveexec_b32 s0, s28
	s_cbranch_execnz .LBB207_112
	s_branch .LBB207_113
.LBB207_225:
	s_and_saveexec_b32 s17, s12
	s_cbranch_execnz .LBB207_293
; %bb.226:
	s_or_b32 exec_lo, exec_lo, s17
	s_and_saveexec_b32 s17, s11
	s_cbranch_execnz .LBB207_294
.LBB207_227:
	s_or_b32 exec_lo, exec_lo, s17
	s_and_saveexec_b32 s17, s9
	s_cbranch_execnz .LBB207_295
.LBB207_228:
	s_or_b32 exec_lo, exec_lo, s17
	s_and_saveexec_b32 s17, s8
	s_cbranch_execnz .LBB207_296
.LBB207_229:
	s_or_b32 exec_lo, exec_lo, s17
	s_and_saveexec_b32 s17, s14
	s_cbranch_execnz .LBB207_297
.LBB207_230:
	s_or_b32 exec_lo, exec_lo, s17
	s_and_saveexec_b32 s17, s13
	s_cbranch_execnz .LBB207_298
.LBB207_231:
	s_or_b32 exec_lo, exec_lo, s17
	s_and_saveexec_b32 s17, s10
	s_cbranch_execnz .LBB207_299
.LBB207_232:
	s_or_b32 exec_lo, exec_lo, s17
	s_and_saveexec_b32 s17, s7
	s_cbranch_execnz .LBB207_300
.LBB207_233:
	s_or_b32 exec_lo, exec_lo, s17
	s_and_saveexec_b32 s17, s6
	s_cbranch_execnz .LBB207_301
.LBB207_234:
	s_or_b32 exec_lo, exec_lo, s17
	s_and_saveexec_b32 s17, s5
	s_cbranch_execnz .LBB207_302
.LBB207_235:
	s_or_b32 exec_lo, exec_lo, s17
	s_and_saveexec_b32 s17, s4
	s_cbranch_execnz .LBB207_303
.LBB207_236:
	s_or_b32 exec_lo, exec_lo, s17
	s_and_saveexec_b32 s17, s3
	s_cbranch_execnz .LBB207_304
.LBB207_237:
	s_or_b32 exec_lo, exec_lo, s17
	s_and_saveexec_b32 s17, s2
	s_cbranch_execnz .LBB207_305
.LBB207_238:
	s_or_b32 exec_lo, exec_lo, s17
	s_and_saveexec_b32 s17, s1
	s_cbranch_execz .LBB207_240
.LBB207_239:
	v_sub_nc_u32_e32 v73, v37, v5
	v_mov_b32_e32 v74, 0
	s_delay_alu instid0(VALU_DEP_1) | instskip(NEXT) | instid1(VALU_DEP_1)
	v_lshlrev_b64 v[73:74], 2, v[73:74]
	v_add_co_u32 v73, vcc_lo, v70, v73
	s_delay_alu instid0(VALU_DEP_2)
	v_add_co_ci_u32_e32 v74, vcc_lo, v71, v74, vcc_lo
	global_store_b32 v[73:74], v10, off
.LBB207_240:
	s_or_b32 exec_lo, exec_lo, s17
	s_delay_alu instid0(SALU_CYCLE_1)
	s_and_b32 s17, s0, exec_lo
	s_and_not1_saveexec_b32 s15, s15
	s_cbranch_execz .LBB207_157
.LBB207_241:
	v_sub_nc_u32_e32 v73, v4, v5
	v_mov_b32_e32 v74, 0
	s_or_b32 s17, s17, exec_lo
	s_delay_alu instid0(VALU_DEP_1) | instskip(SKIP_1) | instid1(VALU_DEP_1)
	v_lshlrev_b64 v[75:76], 2, v[73:74]
	v_sub_nc_u32_e32 v73, v47, v5
	v_lshlrev_b64 v[77:78], 2, v[73:74]
	v_sub_nc_u32_e32 v73, v60, v5
	s_delay_alu instid0(VALU_DEP_4) | instskip(SKIP_1) | instid1(VALU_DEP_3)
	v_add_co_u32 v75, vcc_lo, v70, v75
	v_add_co_ci_u32_e32 v76, vcc_lo, v71, v76, vcc_lo
	v_lshlrev_b64 v[79:80], 2, v[73:74]
	v_sub_nc_u32_e32 v73, v48, v5
	v_add_co_u32 v77, vcc_lo, v70, v77
	v_add_co_ci_u32_e32 v78, vcc_lo, v71, v78, vcc_lo
	global_store_b32 v[75:76], v21, off
	v_lshlrev_b64 v[75:76], 2, v[73:74]
	v_sub_nc_u32_e32 v73, v46, v5
	global_store_b32 v[77:78], v22, off
	v_add_co_u32 v77, vcc_lo, v70, v79
	v_add_co_ci_u32_e32 v78, vcc_lo, v71, v80, vcc_lo
	v_lshlrev_b64 v[79:80], 2, v[73:74]
	v_sub_nc_u32_e32 v73, v45, v5
	v_add_co_u32 v75, vcc_lo, v70, v75
	v_add_co_ci_u32_e32 v76, vcc_lo, v71, v76, vcc_lo
	s_delay_alu instid0(VALU_DEP_3) | instskip(SKIP_3) | instid1(VALU_DEP_3)
	v_lshlrev_b64 v[81:82], 2, v[73:74]
	v_sub_nc_u32_e32 v73, v44, v5
	v_add_co_u32 v79, vcc_lo, v70, v79
	v_add_co_ci_u32_e32 v80, vcc_lo, v71, v80, vcc_lo
	v_lshlrev_b64 v[83:84], 2, v[73:74]
	v_sub_nc_u32_e32 v73, v43, v5
	v_add_co_u32 v81, vcc_lo, v70, v81
	v_add_co_ci_u32_e32 v82, vcc_lo, v71, v82, vcc_lo
	s_clause 0x3
	global_store_b32 v[77:78], v19, off
	global_store_b32 v[75:76], v20, off
	;; [unrolled: 1-line block ×4, first 2 shown]
	v_lshlrev_b64 v[75:76], 2, v[73:74]
	v_sub_nc_u32_e32 v73, v42, v5
	v_add_co_u32 v77, vcc_lo, v70, v83
	v_add_co_ci_u32_e32 v78, vcc_lo, v71, v84, vcc_lo
	s_delay_alu instid0(VALU_DEP_3) | instskip(SKIP_3) | instid1(VALU_DEP_3)
	v_lshlrev_b64 v[79:80], 2, v[73:74]
	v_sub_nc_u32_e32 v73, v41, v5
	v_add_co_u32 v75, vcc_lo, v70, v75
	v_add_co_ci_u32_e32 v76, vcc_lo, v71, v76, vcc_lo
	v_lshlrev_b64 v[81:82], 2, v[73:74]
	v_sub_nc_u32_e32 v73, v40, v5
	v_add_co_u32 v79, vcc_lo, v70, v79
	v_add_co_ci_u32_e32 v80, vcc_lo, v71, v80, vcc_lo
	s_delay_alu instid0(VALU_DEP_3)
	v_lshlrev_b64 v[83:84], 2, v[73:74]
	v_sub_nc_u32_e32 v73, v39, v5
	v_add_co_u32 v81, vcc_lo, v70, v81
	v_add_co_ci_u32_e32 v82, vcc_lo, v71, v82, vcc_lo
	s_clause 0x3
	global_store_b32 v[77:78], v15, off
	global_store_b32 v[75:76], v16, off
	;; [unrolled: 1-line block ×4, first 2 shown]
	v_lshlrev_b64 v[75:76], 2, v[73:74]
	v_sub_nc_u32_e32 v73, v38, v5
	v_add_co_u32 v77, vcc_lo, v70, v83
	v_add_co_ci_u32_e32 v78, vcc_lo, v71, v84, vcc_lo
	s_delay_alu instid0(VALU_DEP_3) | instskip(SKIP_3) | instid1(VALU_DEP_3)
	v_lshlrev_b64 v[79:80], 2, v[73:74]
	v_sub_nc_u32_e32 v73, v37, v5
	v_add_co_u32 v75, vcc_lo, v70, v75
	v_add_co_ci_u32_e32 v76, vcc_lo, v71, v76, vcc_lo
	v_lshlrev_b64 v[73:74], 2, v[73:74]
	v_add_co_u32 v79, vcc_lo, v70, v79
	v_add_co_ci_u32_e32 v80, vcc_lo, v71, v80, vcc_lo
	s_clause 0x2
	global_store_b32 v[77:78], v11, off
	global_store_b32 v[75:76], v12, off
	global_store_b32 v[79:80], v9, off
	v_add_co_u32 v73, vcc_lo, v70, v73
	v_add_co_ci_u32_e32 v74, vcc_lo, v71, v74, vcc_lo
	global_store_b32 v[73:74], v10, off
	s_or_b32 exec_lo, exec_lo, s15
	s_delay_alu instid0(SALU_CYCLE_1)
	s_and_b32 exec_lo, exec_lo, s17
	s_cbranch_execnz .LBB207_158
	s_branch .LBB207_159
.LBB207_242:
	s_and_saveexec_b32 s17, s12
	s_cbranch_execnz .LBB207_306
; %bb.243:
	s_or_b32 exec_lo, exec_lo, s17
	s_and_saveexec_b32 s12, s11
	s_cbranch_execnz .LBB207_307
.LBB207_244:
	s_or_b32 exec_lo, exec_lo, s12
	s_and_saveexec_b32 s11, s9
	s_cbranch_execnz .LBB207_308
.LBB207_245:
	s_or_b32 exec_lo, exec_lo, s11
	s_and_saveexec_b32 s9, s8
	s_cbranch_execnz .LBB207_309
.LBB207_246:
	s_or_b32 exec_lo, exec_lo, s9
	s_and_saveexec_b32 s8, s14
	s_cbranch_execnz .LBB207_310
.LBB207_247:
	s_or_b32 exec_lo, exec_lo, s8
	s_and_saveexec_b32 s8, s13
	s_cbranch_execnz .LBB207_311
.LBB207_248:
	s_or_b32 exec_lo, exec_lo, s8
	s_and_saveexec_b32 s8, s10
	s_cbranch_execnz .LBB207_312
.LBB207_249:
	s_or_b32 exec_lo, exec_lo, s8
	s_and_saveexec_b32 s8, s7
	s_cbranch_execnz .LBB207_313
.LBB207_250:
	s_or_b32 exec_lo, exec_lo, s8
	s_and_saveexec_b32 s7, s6
	s_cbranch_execnz .LBB207_314
.LBB207_251:
	s_or_b32 exec_lo, exec_lo, s7
	s_and_saveexec_b32 s6, s5
	s_cbranch_execnz .LBB207_315
.LBB207_252:
	s_or_b32 exec_lo, exec_lo, s6
	s_and_saveexec_b32 s5, s4
	s_cbranch_execnz .LBB207_316
.LBB207_253:
	s_or_b32 exec_lo, exec_lo, s5
	s_and_saveexec_b32 s4, s3
	s_cbranch_execnz .LBB207_317
.LBB207_254:
	s_or_b32 exec_lo, exec_lo, s4
	s_and_saveexec_b32 s3, s2
	s_cbranch_execnz .LBB207_318
.LBB207_255:
	s_or_b32 exec_lo, exec_lo, s3
	s_and_saveexec_b32 s2, s1
	s_cbranch_execz .LBB207_257
.LBB207_256:
	v_sub_nc_u32_e32 v9, v37, v5
	s_delay_alu instid0(VALU_DEP_1)
	v_lshlrev_b32_e32 v9, 2, v9
	ds_store_b32 v9, v10
.LBB207_257:
	s_or_b32 exec_lo, exec_lo, s2
	s_delay_alu instid0(SALU_CYCLE_1)
	s_and_b32 s17, s0, exec_lo
                                        ; implicit-def: $vgpr21
                                        ; implicit-def: $vgpr19
                                        ; implicit-def: $vgpr17
                                        ; implicit-def: $vgpr15
                                        ; implicit-def: $vgpr13
                                        ; implicit-def: $vgpr11
                                        ; implicit-def: $vgpr9
	s_and_not1_saveexec_b32 s0, s16
	s_cbranch_execz .LBB207_164
.LBB207_258:
	v_sub_nc_u32_e32 v72, v4, v5
	v_sub_nc_u32_e32 v75, v48, v5
	;; [unrolled: 1-line block ×4, first 2 shown]
	s_or_b32 s17, s17, exec_lo
	v_lshlrev_b32_e32 v72, 2, v72
	v_lshlrev_b32_e32 v75, 2, v75
	v_lshlrev_b32_e32 v73, 2, v73
	v_lshlrev_b32_e32 v74, 2, v74
	ds_store_b32 v72, v21
	ds_store_b32 v73, v22
	;; [unrolled: 1-line block ×3, first 2 shown]
	v_sub_nc_u32_e32 v19, v46, v5
	ds_store_b32 v75, v20
	v_sub_nc_u32_e32 v20, v45, v5
	v_sub_nc_u32_e32 v21, v44, v5
	;; [unrolled: 1-line block ×3, first 2 shown]
	v_lshlrev_b32_e32 v19, 2, v19
	v_sub_nc_u32_e32 v72, v42, v5
	v_lshlrev_b32_e32 v20, 2, v20
	v_lshlrev_b32_e32 v21, 2, v21
	;; [unrolled: 1-line block ×3, first 2 shown]
	ds_store_b32 v19, v17
	v_lshlrev_b32_e32 v17, 2, v72
	ds_store_b32 v20, v18
	ds_store_b32 v21, v15
	;; [unrolled: 1-line block ×3, first 2 shown]
	v_sub_nc_u32_e32 v15, v41, v5
	v_sub_nc_u32_e32 v18, v37, v5
	;; [unrolled: 1-line block ×3, first 2 shown]
	ds_store_b32 v17, v13
	v_sub_nc_u32_e32 v13, v40, v5
	v_lshlrev_b32_e32 v15, 2, v15
	v_sub_nc_u32_e32 v17, v38, v5
	v_lshlrev_b32_e32 v16, 2, v16
	s_delay_alu instid0(VALU_DEP_4)
	v_lshlrev_b32_e32 v13, 2, v13
	ds_store_b32 v15, v14
	v_lshlrev_b32_e32 v14, 2, v18
	v_lshlrev_b32_e32 v17, 2, v17
	ds_store_b32 v13, v11
	ds_store_b32 v16, v12
	ds_store_b32 v17, v9
	ds_store_b32 v14, v10
	s_or_b32 exec_lo, exec_lo, s0
	s_delay_alu instid0(SALU_CYCLE_1)
	s_and_b32 exec_lo, exec_lo, s17
	s_cbranch_execnz .LBB207_165
	s_branch .LBB207_166
.LBB207_259:
	s_and_saveexec_b32 s17, s14
	s_cbranch_execnz .LBB207_319
; %bb.260:
	s_or_b32 exec_lo, exec_lo, s17
	s_and_saveexec_b32 s17, s13
	s_cbranch_execnz .LBB207_320
.LBB207_261:
	s_or_b32 exec_lo, exec_lo, s17
	s_and_saveexec_b32 s17, s12
	s_cbranch_execnz .LBB207_321
.LBB207_262:
	s_or_b32 exec_lo, exec_lo, s17
	s_and_saveexec_b32 s17, s11
	s_cbranch_execnz .LBB207_322
.LBB207_263:
	s_or_b32 exec_lo, exec_lo, s17
	s_and_saveexec_b32 s17, s10
	s_cbranch_execnz .LBB207_323
.LBB207_264:
	s_or_b32 exec_lo, exec_lo, s17
	s_and_saveexec_b32 s17, s9
	s_cbranch_execnz .LBB207_324
.LBB207_265:
	s_or_b32 exec_lo, exec_lo, s17
	s_and_saveexec_b32 s17, s8
	s_cbranch_execnz .LBB207_325
.LBB207_266:
	s_or_b32 exec_lo, exec_lo, s17
	s_and_saveexec_b32 s17, s7
	s_cbranch_execnz .LBB207_326
.LBB207_267:
	s_or_b32 exec_lo, exec_lo, s17
	s_and_saveexec_b32 s17, s6
	s_cbranch_execnz .LBB207_327
.LBB207_268:
	s_or_b32 exec_lo, exec_lo, s17
	s_and_saveexec_b32 s17, s5
	s_cbranch_execnz .LBB207_328
.LBB207_269:
	s_or_b32 exec_lo, exec_lo, s17
	s_and_saveexec_b32 s17, s4
	s_cbranch_execnz .LBB207_329
.LBB207_270:
	s_or_b32 exec_lo, exec_lo, s17
	s_and_saveexec_b32 s17, s3
	s_cbranch_execnz .LBB207_330
.LBB207_271:
	s_or_b32 exec_lo, exec_lo, s17
	s_and_saveexec_b32 s17, s2
	s_cbranch_execnz .LBB207_331
.LBB207_272:
	s_or_b32 exec_lo, exec_lo, s17
	s_and_saveexec_b32 s17, s1
	s_cbranch_execz .LBB207_274
.LBB207_273:
	v_sub_nc_u32_e32 v14, v37, v2
	v_mov_b32_e32 v15, 0
	s_delay_alu instid0(VALU_DEP_1) | instskip(NEXT) | instid1(VALU_DEP_1)
	v_lshlrev_b64 v[14:15], 2, v[14:15]
	v_add_co_u32 v14, vcc_lo, v12, v14
	s_delay_alu instid0(VALU_DEP_2)
	v_add_co_ci_u32_e32 v15, vcc_lo, v13, v15, vcc_lo
	global_store_b32 v[14:15], v51, off
.LBB207_274:
	s_or_b32 exec_lo, exec_lo, s17
	s_delay_alu instid0(SALU_CYCLE_1)
	s_and_b32 s17, s0, exec_lo
	s_and_not1_saveexec_b32 s15, s15
	s_cbranch_execz .LBB207_177
.LBB207_275:
	v_sub_nc_u32_e32 v14, v4, v2
	v_mov_b32_e32 v15, 0
	s_or_b32 s17, s17, exec_lo
	s_delay_alu instid0(VALU_DEP_1) | instskip(SKIP_1) | instid1(VALU_DEP_1)
	v_lshlrev_b64 v[16:17], 2, v[14:15]
	v_sub_nc_u32_e32 v14, v47, v2
	v_lshlrev_b64 v[18:19], 2, v[14:15]
	v_sub_nc_u32_e32 v14, v60, v2
	s_delay_alu instid0(VALU_DEP_4) | instskip(SKIP_1) | instid1(VALU_DEP_3)
	v_add_co_u32 v16, vcc_lo, v12, v16
	v_add_co_ci_u32_e32 v17, vcc_lo, v13, v17, vcc_lo
	v_lshlrev_b64 v[20:21], 2, v[14:15]
	v_sub_nc_u32_e32 v14, v48, v2
	v_add_co_u32 v18, vcc_lo, v12, v18
	v_add_co_ci_u32_e32 v19, vcc_lo, v13, v19, vcc_lo
	global_store_b32 v[16:17], v69, off
	v_lshlrev_b64 v[16:17], 2, v[14:15]
	v_sub_nc_u32_e32 v14, v46, v2
	global_store_b32 v[18:19], v68, off
	v_add_co_u32 v18, vcc_lo, v12, v20
	v_add_co_ci_u32_e32 v19, vcc_lo, v13, v21, vcc_lo
	v_lshlrev_b64 v[20:21], 2, v[14:15]
	v_sub_nc_u32_e32 v14, v45, v2
	v_add_co_u32 v16, vcc_lo, v12, v16
	v_add_co_ci_u32_e32 v17, vcc_lo, v13, v17, vcc_lo
	s_delay_alu instid0(VALU_DEP_3) | instskip(SKIP_3) | instid1(VALU_DEP_3)
	v_lshlrev_b64 v[22:23], 2, v[14:15]
	v_sub_nc_u32_e32 v14, v44, v2
	v_add_co_u32 v20, vcc_lo, v12, v20
	v_add_co_ci_u32_e32 v21, vcc_lo, v13, v21, vcc_lo
	v_lshlrev_b64 v[24:25], 2, v[14:15]
	v_sub_nc_u32_e32 v14, v43, v2
	v_add_co_u32 v22, vcc_lo, v12, v22
	v_add_co_ci_u32_e32 v23, vcc_lo, v13, v23, vcc_lo
	s_clause 0x3
	global_store_b32 v[18:19], v67, off
	global_store_b32 v[16:17], v66, off
	;; [unrolled: 1-line block ×4, first 2 shown]
	v_lshlrev_b64 v[16:17], 2, v[14:15]
	v_sub_nc_u32_e32 v14, v42, v2
	v_add_co_u32 v18, vcc_lo, v12, v24
	v_add_co_ci_u32_e32 v19, vcc_lo, v13, v25, vcc_lo
	s_delay_alu instid0(VALU_DEP_3) | instskip(SKIP_3) | instid1(VALU_DEP_3)
	v_lshlrev_b64 v[20:21], 2, v[14:15]
	v_sub_nc_u32_e32 v14, v41, v2
	v_add_co_u32 v16, vcc_lo, v12, v16
	v_add_co_ci_u32_e32 v17, vcc_lo, v13, v17, vcc_lo
	v_lshlrev_b64 v[22:23], 2, v[14:15]
	v_sub_nc_u32_e32 v14, v40, v2
	v_add_co_u32 v20, vcc_lo, v12, v20
	v_add_co_ci_u32_e32 v21, vcc_lo, v13, v21, vcc_lo
	s_delay_alu instid0(VALU_DEP_3)
	v_lshlrev_b64 v[24:25], 2, v[14:15]
	v_sub_nc_u32_e32 v14, v39, v2
	v_add_co_u32 v22, vcc_lo, v12, v22
	v_add_co_ci_u32_e32 v23, vcc_lo, v13, v23, vcc_lo
	s_clause 0x3
	global_store_b32 v[18:19], v63, off
	global_store_b32 v[16:17], v62, off
	;; [unrolled: 1-line block ×4, first 2 shown]
	v_lshlrev_b64 v[16:17], 2, v[14:15]
	v_sub_nc_u32_e32 v14, v38, v2
	v_add_co_u32 v18, vcc_lo, v12, v24
	v_add_co_ci_u32_e32 v19, vcc_lo, v13, v25, vcc_lo
	s_delay_alu instid0(VALU_DEP_3) | instskip(SKIP_3) | instid1(VALU_DEP_3)
	v_lshlrev_b64 v[20:21], 2, v[14:15]
	v_sub_nc_u32_e32 v14, v37, v2
	v_add_co_u32 v16, vcc_lo, v12, v16
	v_add_co_ci_u32_e32 v17, vcc_lo, v13, v17, vcc_lo
	v_lshlrev_b64 v[14:15], 2, v[14:15]
	v_add_co_u32 v20, vcc_lo, v12, v20
	v_add_co_ci_u32_e32 v21, vcc_lo, v13, v21, vcc_lo
	s_clause 0x2
	global_store_b32 v[18:19], v54, off
	global_store_b32 v[16:17], v52, off
	;; [unrolled: 1-line block ×3, first 2 shown]
	v_add_co_u32 v14, vcc_lo, v12, v14
	v_add_co_ci_u32_e32 v15, vcc_lo, v13, v15, vcc_lo
	global_store_b32 v[14:15], v51, off
	s_or_b32 exec_lo, exec_lo, s15
	s_delay_alu instid0(SALU_CYCLE_1)
	s_and_b32 exec_lo, exec_lo, s17
	s_cbranch_execnz .LBB207_178
	s_branch .LBB207_179
.LBB207_276:
	s_and_saveexec_b32 s17, s14
	s_cbranch_execnz .LBB207_332
; %bb.277:
	s_or_b32 exec_lo, exec_lo, s17
	s_and_saveexec_b32 s14, s13
	s_cbranch_execnz .LBB207_333
.LBB207_278:
	s_or_b32 exec_lo, exec_lo, s14
	s_and_saveexec_b32 s13, s12
	s_cbranch_execnz .LBB207_334
.LBB207_279:
	s_or_b32 exec_lo, exec_lo, s13
	s_and_saveexec_b32 s12, s11
	s_cbranch_execnz .LBB207_335
.LBB207_280:
	s_or_b32 exec_lo, exec_lo, s12
	s_and_saveexec_b32 s11, s10
	s_cbranch_execnz .LBB207_336
.LBB207_281:
	s_or_b32 exec_lo, exec_lo, s11
	s_and_saveexec_b32 s10, s9
	s_cbranch_execnz .LBB207_337
.LBB207_282:
	s_or_b32 exec_lo, exec_lo, s10
	s_and_saveexec_b32 s9, s8
	s_cbranch_execnz .LBB207_338
.LBB207_283:
	s_or_b32 exec_lo, exec_lo, s9
	s_and_saveexec_b32 s8, s7
	s_cbranch_execnz .LBB207_339
.LBB207_284:
	s_or_b32 exec_lo, exec_lo, s8
	s_and_saveexec_b32 s7, s6
	s_cbranch_execnz .LBB207_340
.LBB207_285:
	s_or_b32 exec_lo, exec_lo, s7
	s_and_saveexec_b32 s6, s5
	s_cbranch_execnz .LBB207_341
.LBB207_286:
	s_or_b32 exec_lo, exec_lo, s6
	s_and_saveexec_b32 s5, s4
	s_cbranch_execnz .LBB207_342
.LBB207_287:
	s_or_b32 exec_lo, exec_lo, s5
	s_and_saveexec_b32 s4, s3
	s_cbranch_execnz .LBB207_343
.LBB207_288:
	s_or_b32 exec_lo, exec_lo, s4
	s_and_saveexec_b32 s3, s2
	s_cbranch_execnz .LBB207_344
.LBB207_289:
	s_or_b32 exec_lo, exec_lo, s3
	s_and_saveexec_b32 s2, s1
	s_cbranch_execz .LBB207_291
.LBB207_290:
	v_sub_nc_u32_e32 v3, v37, v2
	s_delay_alu instid0(VALU_DEP_1)
	v_lshlrev_b32_e32 v3, 2, v3
	ds_store_b32 v3, v51
.LBB207_291:
	s_or_b32 exec_lo, exec_lo, s2
	s_delay_alu instid0(SALU_CYCLE_1)
	s_and_b32 s17, s0, exec_lo
                                        ; implicit-def: $vgpr51
                                        ; implicit-def: $vgpr53
                                        ; implicit-def: $vgpr52
                                        ; implicit-def: $vgpr54
                                        ; implicit-def: $vgpr55
                                        ; implicit-def: $vgpr61
                                        ; implicit-def: $vgpr62
                                        ; implicit-def: $vgpr63
                                        ; implicit-def: $vgpr64
                                        ; implicit-def: $vgpr65
                                        ; implicit-def: $vgpr66
                                        ; implicit-def: $vgpr67
                                        ; implicit-def: $vgpr68
                                        ; implicit-def: $vgpr69
                                        ; implicit-def: $vgpr47
                                        ; implicit-def: $vgpr60
                                        ; implicit-def: $vgpr48
                                        ; implicit-def: $vgpr46
                                        ; implicit-def: $vgpr45
                                        ; implicit-def: $vgpr44
                                        ; implicit-def: $vgpr43
                                        ; implicit-def: $vgpr42
                                        ; implicit-def: $vgpr41
                                        ; implicit-def: $vgpr40
                                        ; implicit-def: $vgpr39
                                        ; implicit-def: $vgpr38
                                        ; implicit-def: $vgpr37
	s_and_not1_saveexec_b32 s0, s16
	s_cbranch_execz .LBB207_183
.LBB207_292:
	v_sub_nc_u32_e32 v3, v4, v2
	v_sub_nc_u32_e32 v4, v47, v2
	;; [unrolled: 1-line block ×5, first 2 shown]
	v_lshlrev_b32_e32 v3, 2, v3
	v_lshlrev_b32_e32 v4, 2, v4
	;; [unrolled: 1-line block ×4, first 2 shown]
	s_or_b32 s17, s17, exec_lo
	ds_store_b32 v3, v69
	ds_store_b32 v4, v68
	;; [unrolled: 1-line block ×3, first 2 shown]
	v_sub_nc_u32_e32 v3, v46, v2
	v_sub_nc_u32_e32 v4, v45, v2
	;; [unrolled: 1-line block ×3, first 2 shown]
	ds_store_b32 v15, v66
	v_sub_nc_u32_e32 v15, v43, v2
	v_lshlrev_b32_e32 v3, 2, v3
	v_lshlrev_b32_e32 v4, 2, v4
	;; [unrolled: 1-line block ×3, first 2 shown]
	s_delay_alu instid0(VALU_DEP_4)
	v_lshlrev_b32_e32 v15, 2, v15
	ds_store_b32 v3, v65
	v_lshlrev_b32_e32 v3, 2, v16
	ds_store_b32 v4, v64
	ds_store_b32 v14, v63
	;; [unrolled: 1-line block ×3, first 2 shown]
	v_sub_nc_u32_e32 v4, v41, v2
	v_sub_nc_u32_e32 v16, v37, v2
	v_sub_nc_u32_e32 v14, v39, v2
	ds_store_b32 v3, v61
	v_sub_nc_u32_e32 v3, v40, v2
	v_lshlrev_b32_e32 v4, 2, v4
	v_sub_nc_u32_e32 v15, v38, v2
	v_lshlrev_b32_e32 v14, 2, v14
	s_delay_alu instid0(VALU_DEP_4)
	v_lshlrev_b32_e32 v3, 2, v3
	ds_store_b32 v4, v55
	v_lshlrev_b32_e32 v4, 2, v16
	v_lshlrev_b32_e32 v15, 2, v15
	ds_store_b32 v3, v54
	ds_store_b32 v14, v52
	;; [unrolled: 1-line block ×4, first 2 shown]
	s_or_b32 exec_lo, exec_lo, s0
	s_delay_alu instid0(SALU_CYCLE_1)
	s_and_b32 exec_lo, exec_lo, s17
	s_cbranch_execnz .LBB207_184
	s_branch .LBB207_185
.LBB207_293:
	v_sub_nc_u32_e32 v73, v4, v5
	v_mov_b32_e32 v74, 0
	s_delay_alu instid0(VALU_DEP_1) | instskip(NEXT) | instid1(VALU_DEP_1)
	v_lshlrev_b64 v[73:74], 2, v[73:74]
	v_add_co_u32 v73, vcc_lo, v70, v73
	s_delay_alu instid0(VALU_DEP_2)
	v_add_co_ci_u32_e32 v74, vcc_lo, v71, v74, vcc_lo
	global_store_b32 v[73:74], v21, off
	s_or_b32 exec_lo, exec_lo, s17
	s_and_saveexec_b32 s17, s11
	s_cbranch_execz .LBB207_227
.LBB207_294:
	v_sub_nc_u32_e32 v73, v47, v5
	v_mov_b32_e32 v74, 0
	s_delay_alu instid0(VALU_DEP_1) | instskip(NEXT) | instid1(VALU_DEP_1)
	v_lshlrev_b64 v[73:74], 2, v[73:74]
	v_add_co_u32 v73, vcc_lo, v70, v73
	s_delay_alu instid0(VALU_DEP_2)
	v_add_co_ci_u32_e32 v74, vcc_lo, v71, v74, vcc_lo
	global_store_b32 v[73:74], v22, off
	s_or_b32 exec_lo, exec_lo, s17
	s_and_saveexec_b32 s17, s9
	s_cbranch_execz .LBB207_228
.LBB207_295:
	v_sub_nc_u32_e32 v73, v60, v5
	v_mov_b32_e32 v74, 0
	s_delay_alu instid0(VALU_DEP_1) | instskip(NEXT) | instid1(VALU_DEP_1)
	v_lshlrev_b64 v[73:74], 2, v[73:74]
	v_add_co_u32 v73, vcc_lo, v70, v73
	s_delay_alu instid0(VALU_DEP_2)
	v_add_co_ci_u32_e32 v74, vcc_lo, v71, v74, vcc_lo
	global_store_b32 v[73:74], v19, off
	s_or_b32 exec_lo, exec_lo, s17
	s_and_saveexec_b32 s17, s8
	s_cbranch_execz .LBB207_229
.LBB207_296:
	v_sub_nc_u32_e32 v73, v48, v5
	v_mov_b32_e32 v74, 0
	s_delay_alu instid0(VALU_DEP_1) | instskip(NEXT) | instid1(VALU_DEP_1)
	v_lshlrev_b64 v[73:74], 2, v[73:74]
	v_add_co_u32 v73, vcc_lo, v70, v73
	s_delay_alu instid0(VALU_DEP_2)
	v_add_co_ci_u32_e32 v74, vcc_lo, v71, v74, vcc_lo
	global_store_b32 v[73:74], v20, off
	s_or_b32 exec_lo, exec_lo, s17
	s_and_saveexec_b32 s17, s14
	s_cbranch_execz .LBB207_230
.LBB207_297:
	v_sub_nc_u32_e32 v73, v46, v5
	v_mov_b32_e32 v74, 0
	s_delay_alu instid0(VALU_DEP_1) | instskip(NEXT) | instid1(VALU_DEP_1)
	v_lshlrev_b64 v[73:74], 2, v[73:74]
	v_add_co_u32 v73, vcc_lo, v70, v73
	s_delay_alu instid0(VALU_DEP_2)
	v_add_co_ci_u32_e32 v74, vcc_lo, v71, v74, vcc_lo
	global_store_b32 v[73:74], v17, off
	s_or_b32 exec_lo, exec_lo, s17
	s_and_saveexec_b32 s17, s13
	s_cbranch_execz .LBB207_231
.LBB207_298:
	v_sub_nc_u32_e32 v73, v45, v5
	v_mov_b32_e32 v74, 0
	s_delay_alu instid0(VALU_DEP_1) | instskip(NEXT) | instid1(VALU_DEP_1)
	v_lshlrev_b64 v[73:74], 2, v[73:74]
	v_add_co_u32 v73, vcc_lo, v70, v73
	s_delay_alu instid0(VALU_DEP_2)
	v_add_co_ci_u32_e32 v74, vcc_lo, v71, v74, vcc_lo
	global_store_b32 v[73:74], v18, off
	s_or_b32 exec_lo, exec_lo, s17
	s_and_saveexec_b32 s17, s10
	s_cbranch_execz .LBB207_232
.LBB207_299:
	v_sub_nc_u32_e32 v73, v44, v5
	v_mov_b32_e32 v74, 0
	s_delay_alu instid0(VALU_DEP_1) | instskip(NEXT) | instid1(VALU_DEP_1)
	v_lshlrev_b64 v[73:74], 2, v[73:74]
	v_add_co_u32 v73, vcc_lo, v70, v73
	s_delay_alu instid0(VALU_DEP_2)
	v_add_co_ci_u32_e32 v74, vcc_lo, v71, v74, vcc_lo
	global_store_b32 v[73:74], v15, off
	s_or_b32 exec_lo, exec_lo, s17
	s_and_saveexec_b32 s17, s7
	s_cbranch_execz .LBB207_233
.LBB207_300:
	v_sub_nc_u32_e32 v73, v43, v5
	v_mov_b32_e32 v74, 0
	s_delay_alu instid0(VALU_DEP_1) | instskip(NEXT) | instid1(VALU_DEP_1)
	v_lshlrev_b64 v[73:74], 2, v[73:74]
	v_add_co_u32 v73, vcc_lo, v70, v73
	s_delay_alu instid0(VALU_DEP_2)
	v_add_co_ci_u32_e32 v74, vcc_lo, v71, v74, vcc_lo
	global_store_b32 v[73:74], v16, off
	s_or_b32 exec_lo, exec_lo, s17
	s_and_saveexec_b32 s17, s6
	s_cbranch_execz .LBB207_234
.LBB207_301:
	v_sub_nc_u32_e32 v73, v42, v5
	v_mov_b32_e32 v74, 0
	s_delay_alu instid0(VALU_DEP_1) | instskip(NEXT) | instid1(VALU_DEP_1)
	v_lshlrev_b64 v[73:74], 2, v[73:74]
	v_add_co_u32 v73, vcc_lo, v70, v73
	s_delay_alu instid0(VALU_DEP_2)
	v_add_co_ci_u32_e32 v74, vcc_lo, v71, v74, vcc_lo
	global_store_b32 v[73:74], v13, off
	s_or_b32 exec_lo, exec_lo, s17
	s_and_saveexec_b32 s17, s5
	s_cbranch_execz .LBB207_235
.LBB207_302:
	v_sub_nc_u32_e32 v73, v41, v5
	v_mov_b32_e32 v74, 0
	s_delay_alu instid0(VALU_DEP_1) | instskip(NEXT) | instid1(VALU_DEP_1)
	v_lshlrev_b64 v[73:74], 2, v[73:74]
	v_add_co_u32 v73, vcc_lo, v70, v73
	s_delay_alu instid0(VALU_DEP_2)
	v_add_co_ci_u32_e32 v74, vcc_lo, v71, v74, vcc_lo
	global_store_b32 v[73:74], v14, off
	s_or_b32 exec_lo, exec_lo, s17
	s_and_saveexec_b32 s17, s4
	s_cbranch_execz .LBB207_236
.LBB207_303:
	v_sub_nc_u32_e32 v73, v40, v5
	v_mov_b32_e32 v74, 0
	s_delay_alu instid0(VALU_DEP_1) | instskip(NEXT) | instid1(VALU_DEP_1)
	v_lshlrev_b64 v[73:74], 2, v[73:74]
	v_add_co_u32 v73, vcc_lo, v70, v73
	s_delay_alu instid0(VALU_DEP_2)
	v_add_co_ci_u32_e32 v74, vcc_lo, v71, v74, vcc_lo
	global_store_b32 v[73:74], v11, off
	s_or_b32 exec_lo, exec_lo, s17
	s_and_saveexec_b32 s17, s3
	s_cbranch_execz .LBB207_237
.LBB207_304:
	v_sub_nc_u32_e32 v73, v39, v5
	v_mov_b32_e32 v74, 0
	s_delay_alu instid0(VALU_DEP_1) | instskip(NEXT) | instid1(VALU_DEP_1)
	v_lshlrev_b64 v[73:74], 2, v[73:74]
	v_add_co_u32 v73, vcc_lo, v70, v73
	s_delay_alu instid0(VALU_DEP_2)
	v_add_co_ci_u32_e32 v74, vcc_lo, v71, v74, vcc_lo
	global_store_b32 v[73:74], v12, off
	s_or_b32 exec_lo, exec_lo, s17
	s_and_saveexec_b32 s17, s2
	s_cbranch_execz .LBB207_238
.LBB207_305:
	v_sub_nc_u32_e32 v73, v38, v5
	v_mov_b32_e32 v74, 0
	s_delay_alu instid0(VALU_DEP_1) | instskip(NEXT) | instid1(VALU_DEP_1)
	v_lshlrev_b64 v[73:74], 2, v[73:74]
	v_add_co_u32 v73, vcc_lo, v70, v73
	s_delay_alu instid0(VALU_DEP_2)
	v_add_co_ci_u32_e32 v74, vcc_lo, v71, v74, vcc_lo
	global_store_b32 v[73:74], v9, off
	s_or_b32 exec_lo, exec_lo, s17
	s_and_saveexec_b32 s17, s1
	s_cbranch_execnz .LBB207_239
	s_branch .LBB207_240
.LBB207_306:
	v_sub_nc_u32_e32 v72, v4, v5
	s_delay_alu instid0(VALU_DEP_1)
	v_lshlrev_b32_e32 v72, 2, v72
	ds_store_b32 v72, v21
	s_or_b32 exec_lo, exec_lo, s17
	s_and_saveexec_b32 s12, s11
	s_cbranch_execz .LBB207_244
.LBB207_307:
	v_sub_nc_u32_e32 v21, v47, v5
	s_delay_alu instid0(VALU_DEP_1)
	v_lshlrev_b32_e32 v21, 2, v21
	ds_store_b32 v21, v22
	s_or_b32 exec_lo, exec_lo, s12
	s_and_saveexec_b32 s11, s9
	s_cbranch_execz .LBB207_245
.LBB207_308:
	v_sub_nc_u32_e32 v21, v60, v5
	s_delay_alu instid0(VALU_DEP_1)
	v_lshlrev_b32_e32 v21, 2, v21
	ds_store_b32 v21, v19
	s_or_b32 exec_lo, exec_lo, s11
	s_and_saveexec_b32 s9, s8
	s_cbranch_execz .LBB207_246
.LBB207_309:
	v_sub_nc_u32_e32 v19, v48, v5
	s_delay_alu instid0(VALU_DEP_1)
	v_lshlrev_b32_e32 v19, 2, v19
	ds_store_b32 v19, v20
	s_or_b32 exec_lo, exec_lo, s9
	s_and_saveexec_b32 s8, s14
	s_cbranch_execz .LBB207_247
.LBB207_310:
	v_sub_nc_u32_e32 v19, v46, v5
	s_delay_alu instid0(VALU_DEP_1)
	v_lshlrev_b32_e32 v19, 2, v19
	ds_store_b32 v19, v17
	s_or_b32 exec_lo, exec_lo, s8
	s_and_saveexec_b32 s8, s13
	s_cbranch_execz .LBB207_248
.LBB207_311:
	v_sub_nc_u32_e32 v17, v45, v5
	s_delay_alu instid0(VALU_DEP_1)
	v_lshlrev_b32_e32 v17, 2, v17
	ds_store_b32 v17, v18
	s_or_b32 exec_lo, exec_lo, s8
	s_and_saveexec_b32 s8, s10
	s_cbranch_execz .LBB207_249
.LBB207_312:
	v_sub_nc_u32_e32 v17, v44, v5
	s_delay_alu instid0(VALU_DEP_1)
	v_lshlrev_b32_e32 v17, 2, v17
	ds_store_b32 v17, v15
	s_or_b32 exec_lo, exec_lo, s8
	s_and_saveexec_b32 s8, s7
	s_cbranch_execz .LBB207_250
.LBB207_313:
	v_sub_nc_u32_e32 v15, v43, v5
	s_delay_alu instid0(VALU_DEP_1)
	v_lshlrev_b32_e32 v15, 2, v15
	ds_store_b32 v15, v16
	s_or_b32 exec_lo, exec_lo, s8
	s_and_saveexec_b32 s7, s6
	s_cbranch_execz .LBB207_251
.LBB207_314:
	v_sub_nc_u32_e32 v15, v42, v5
	s_delay_alu instid0(VALU_DEP_1)
	v_lshlrev_b32_e32 v15, 2, v15
	ds_store_b32 v15, v13
	s_or_b32 exec_lo, exec_lo, s7
	s_and_saveexec_b32 s6, s5
	s_cbranch_execz .LBB207_252
.LBB207_315:
	v_sub_nc_u32_e32 v13, v41, v5
	s_delay_alu instid0(VALU_DEP_1)
	v_lshlrev_b32_e32 v13, 2, v13
	ds_store_b32 v13, v14
	s_or_b32 exec_lo, exec_lo, s6
	s_and_saveexec_b32 s5, s4
	s_cbranch_execz .LBB207_253
.LBB207_316:
	v_sub_nc_u32_e32 v13, v40, v5
	s_delay_alu instid0(VALU_DEP_1)
	v_lshlrev_b32_e32 v13, 2, v13
	ds_store_b32 v13, v11
	s_or_b32 exec_lo, exec_lo, s5
	s_and_saveexec_b32 s4, s3
	s_cbranch_execz .LBB207_254
.LBB207_317:
	v_sub_nc_u32_e32 v11, v39, v5
	s_delay_alu instid0(VALU_DEP_1)
	v_lshlrev_b32_e32 v11, 2, v11
	ds_store_b32 v11, v12
	s_or_b32 exec_lo, exec_lo, s4
	s_and_saveexec_b32 s3, s2
	s_cbranch_execz .LBB207_255
.LBB207_318:
	v_sub_nc_u32_e32 v11, v38, v5
	s_delay_alu instid0(VALU_DEP_1)
	v_lshlrev_b32_e32 v11, 2, v11
	ds_store_b32 v11, v9
	s_or_b32 exec_lo, exec_lo, s3
	s_and_saveexec_b32 s2, s1
	s_cbranch_execnz .LBB207_256
	s_branch .LBB207_257
.LBB207_319:
	v_sub_nc_u32_e32 v14, v4, v2
	v_mov_b32_e32 v15, 0
	s_delay_alu instid0(VALU_DEP_1) | instskip(NEXT) | instid1(VALU_DEP_1)
	v_lshlrev_b64 v[14:15], 2, v[14:15]
	v_add_co_u32 v14, vcc_lo, v12, v14
	s_delay_alu instid0(VALU_DEP_2)
	v_add_co_ci_u32_e32 v15, vcc_lo, v13, v15, vcc_lo
	global_store_b32 v[14:15], v69, off
	s_or_b32 exec_lo, exec_lo, s17
	s_and_saveexec_b32 s17, s13
	s_cbranch_execz .LBB207_261
.LBB207_320:
	v_sub_nc_u32_e32 v14, v47, v2
	v_mov_b32_e32 v15, 0
	s_delay_alu instid0(VALU_DEP_1) | instskip(NEXT) | instid1(VALU_DEP_1)
	v_lshlrev_b64 v[14:15], 2, v[14:15]
	v_add_co_u32 v14, vcc_lo, v12, v14
	s_delay_alu instid0(VALU_DEP_2)
	v_add_co_ci_u32_e32 v15, vcc_lo, v13, v15, vcc_lo
	global_store_b32 v[14:15], v68, off
	s_or_b32 exec_lo, exec_lo, s17
	s_and_saveexec_b32 s17, s12
	s_cbranch_execz .LBB207_262
.LBB207_321:
	v_sub_nc_u32_e32 v14, v60, v2
	v_mov_b32_e32 v15, 0
	s_delay_alu instid0(VALU_DEP_1) | instskip(NEXT) | instid1(VALU_DEP_1)
	v_lshlrev_b64 v[14:15], 2, v[14:15]
	v_add_co_u32 v14, vcc_lo, v12, v14
	s_delay_alu instid0(VALU_DEP_2)
	v_add_co_ci_u32_e32 v15, vcc_lo, v13, v15, vcc_lo
	global_store_b32 v[14:15], v67, off
	s_or_b32 exec_lo, exec_lo, s17
	s_and_saveexec_b32 s17, s11
	s_cbranch_execz .LBB207_263
.LBB207_322:
	v_sub_nc_u32_e32 v14, v48, v2
	v_mov_b32_e32 v15, 0
	s_delay_alu instid0(VALU_DEP_1) | instskip(NEXT) | instid1(VALU_DEP_1)
	v_lshlrev_b64 v[14:15], 2, v[14:15]
	v_add_co_u32 v14, vcc_lo, v12, v14
	s_delay_alu instid0(VALU_DEP_2)
	v_add_co_ci_u32_e32 v15, vcc_lo, v13, v15, vcc_lo
	global_store_b32 v[14:15], v66, off
	s_or_b32 exec_lo, exec_lo, s17
	s_and_saveexec_b32 s17, s10
	s_cbranch_execz .LBB207_264
.LBB207_323:
	v_sub_nc_u32_e32 v14, v46, v2
	v_mov_b32_e32 v15, 0
	s_delay_alu instid0(VALU_DEP_1) | instskip(NEXT) | instid1(VALU_DEP_1)
	v_lshlrev_b64 v[14:15], 2, v[14:15]
	v_add_co_u32 v14, vcc_lo, v12, v14
	s_delay_alu instid0(VALU_DEP_2)
	v_add_co_ci_u32_e32 v15, vcc_lo, v13, v15, vcc_lo
	global_store_b32 v[14:15], v65, off
	s_or_b32 exec_lo, exec_lo, s17
	s_and_saveexec_b32 s17, s9
	s_cbranch_execz .LBB207_265
.LBB207_324:
	v_sub_nc_u32_e32 v14, v45, v2
	v_mov_b32_e32 v15, 0
	s_delay_alu instid0(VALU_DEP_1) | instskip(NEXT) | instid1(VALU_DEP_1)
	v_lshlrev_b64 v[14:15], 2, v[14:15]
	v_add_co_u32 v14, vcc_lo, v12, v14
	s_delay_alu instid0(VALU_DEP_2)
	v_add_co_ci_u32_e32 v15, vcc_lo, v13, v15, vcc_lo
	global_store_b32 v[14:15], v64, off
	s_or_b32 exec_lo, exec_lo, s17
	s_and_saveexec_b32 s17, s8
	s_cbranch_execz .LBB207_266
.LBB207_325:
	v_sub_nc_u32_e32 v14, v44, v2
	v_mov_b32_e32 v15, 0
	s_delay_alu instid0(VALU_DEP_1) | instskip(NEXT) | instid1(VALU_DEP_1)
	v_lshlrev_b64 v[14:15], 2, v[14:15]
	v_add_co_u32 v14, vcc_lo, v12, v14
	s_delay_alu instid0(VALU_DEP_2)
	v_add_co_ci_u32_e32 v15, vcc_lo, v13, v15, vcc_lo
	global_store_b32 v[14:15], v63, off
	s_or_b32 exec_lo, exec_lo, s17
	s_and_saveexec_b32 s17, s7
	s_cbranch_execz .LBB207_267
.LBB207_326:
	v_sub_nc_u32_e32 v14, v43, v2
	v_mov_b32_e32 v15, 0
	s_delay_alu instid0(VALU_DEP_1) | instskip(NEXT) | instid1(VALU_DEP_1)
	v_lshlrev_b64 v[14:15], 2, v[14:15]
	v_add_co_u32 v14, vcc_lo, v12, v14
	s_delay_alu instid0(VALU_DEP_2)
	v_add_co_ci_u32_e32 v15, vcc_lo, v13, v15, vcc_lo
	global_store_b32 v[14:15], v62, off
	s_or_b32 exec_lo, exec_lo, s17
	s_and_saveexec_b32 s17, s6
	s_cbranch_execz .LBB207_268
.LBB207_327:
	v_sub_nc_u32_e32 v14, v42, v2
	v_mov_b32_e32 v15, 0
	s_delay_alu instid0(VALU_DEP_1) | instskip(NEXT) | instid1(VALU_DEP_1)
	v_lshlrev_b64 v[14:15], 2, v[14:15]
	v_add_co_u32 v14, vcc_lo, v12, v14
	s_delay_alu instid0(VALU_DEP_2)
	v_add_co_ci_u32_e32 v15, vcc_lo, v13, v15, vcc_lo
	global_store_b32 v[14:15], v61, off
	s_or_b32 exec_lo, exec_lo, s17
	s_and_saveexec_b32 s17, s5
	s_cbranch_execz .LBB207_269
.LBB207_328:
	v_sub_nc_u32_e32 v14, v41, v2
	v_mov_b32_e32 v15, 0
	s_delay_alu instid0(VALU_DEP_1) | instskip(NEXT) | instid1(VALU_DEP_1)
	v_lshlrev_b64 v[14:15], 2, v[14:15]
	v_add_co_u32 v14, vcc_lo, v12, v14
	s_delay_alu instid0(VALU_DEP_2)
	v_add_co_ci_u32_e32 v15, vcc_lo, v13, v15, vcc_lo
	global_store_b32 v[14:15], v55, off
	s_or_b32 exec_lo, exec_lo, s17
	s_and_saveexec_b32 s17, s4
	s_cbranch_execz .LBB207_270
.LBB207_329:
	v_sub_nc_u32_e32 v14, v40, v2
	v_mov_b32_e32 v15, 0
	s_delay_alu instid0(VALU_DEP_1) | instskip(NEXT) | instid1(VALU_DEP_1)
	v_lshlrev_b64 v[14:15], 2, v[14:15]
	v_add_co_u32 v14, vcc_lo, v12, v14
	s_delay_alu instid0(VALU_DEP_2)
	v_add_co_ci_u32_e32 v15, vcc_lo, v13, v15, vcc_lo
	global_store_b32 v[14:15], v54, off
	s_or_b32 exec_lo, exec_lo, s17
	s_and_saveexec_b32 s17, s3
	s_cbranch_execz .LBB207_271
.LBB207_330:
	v_sub_nc_u32_e32 v14, v39, v2
	v_mov_b32_e32 v15, 0
	s_delay_alu instid0(VALU_DEP_1) | instskip(NEXT) | instid1(VALU_DEP_1)
	v_lshlrev_b64 v[14:15], 2, v[14:15]
	v_add_co_u32 v14, vcc_lo, v12, v14
	s_delay_alu instid0(VALU_DEP_2)
	v_add_co_ci_u32_e32 v15, vcc_lo, v13, v15, vcc_lo
	global_store_b32 v[14:15], v52, off
	s_or_b32 exec_lo, exec_lo, s17
	s_and_saveexec_b32 s17, s2
	s_cbranch_execz .LBB207_272
.LBB207_331:
	v_sub_nc_u32_e32 v14, v38, v2
	v_mov_b32_e32 v15, 0
	s_delay_alu instid0(VALU_DEP_1) | instskip(NEXT) | instid1(VALU_DEP_1)
	v_lshlrev_b64 v[14:15], 2, v[14:15]
	v_add_co_u32 v14, vcc_lo, v12, v14
	s_delay_alu instid0(VALU_DEP_2)
	v_add_co_ci_u32_e32 v15, vcc_lo, v13, v15, vcc_lo
	global_store_b32 v[14:15], v53, off
	s_or_b32 exec_lo, exec_lo, s17
	s_and_saveexec_b32 s17, s1
	s_cbranch_execnz .LBB207_273
	s_branch .LBB207_274
.LBB207_332:
	v_sub_nc_u32_e32 v3, v4, v2
	s_delay_alu instid0(VALU_DEP_1)
	v_lshlrev_b32_e32 v3, 2, v3
	ds_store_b32 v3, v69
	s_or_b32 exec_lo, exec_lo, s17
	s_and_saveexec_b32 s14, s13
	s_cbranch_execz .LBB207_278
.LBB207_333:
	v_sub_nc_u32_e32 v3, v47, v2
	s_delay_alu instid0(VALU_DEP_1)
	v_lshlrev_b32_e32 v3, 2, v3
	ds_store_b32 v3, v68
	s_or_b32 exec_lo, exec_lo, s14
	s_and_saveexec_b32 s13, s12
	s_cbranch_execz .LBB207_279
.LBB207_334:
	v_sub_nc_u32_e32 v3, v60, v2
	s_delay_alu instid0(VALU_DEP_1)
	v_lshlrev_b32_e32 v3, 2, v3
	ds_store_b32 v3, v67
	s_or_b32 exec_lo, exec_lo, s13
	s_and_saveexec_b32 s12, s11
	s_cbranch_execz .LBB207_280
.LBB207_335:
	v_sub_nc_u32_e32 v3, v48, v2
	s_delay_alu instid0(VALU_DEP_1)
	v_lshlrev_b32_e32 v3, 2, v3
	ds_store_b32 v3, v66
	s_or_b32 exec_lo, exec_lo, s12
	s_and_saveexec_b32 s11, s10
	s_cbranch_execz .LBB207_281
.LBB207_336:
	v_sub_nc_u32_e32 v3, v46, v2
	s_delay_alu instid0(VALU_DEP_1)
	v_lshlrev_b32_e32 v3, 2, v3
	ds_store_b32 v3, v65
	s_or_b32 exec_lo, exec_lo, s11
	s_and_saveexec_b32 s10, s9
	s_cbranch_execz .LBB207_282
.LBB207_337:
	v_sub_nc_u32_e32 v3, v45, v2
	s_delay_alu instid0(VALU_DEP_1)
	v_lshlrev_b32_e32 v3, 2, v3
	ds_store_b32 v3, v64
	s_or_b32 exec_lo, exec_lo, s10
	s_and_saveexec_b32 s9, s8
	s_cbranch_execz .LBB207_283
.LBB207_338:
	v_sub_nc_u32_e32 v3, v44, v2
	s_delay_alu instid0(VALU_DEP_1)
	v_lshlrev_b32_e32 v3, 2, v3
	ds_store_b32 v3, v63
	s_or_b32 exec_lo, exec_lo, s9
	s_and_saveexec_b32 s8, s7
	s_cbranch_execz .LBB207_284
.LBB207_339:
	v_sub_nc_u32_e32 v3, v43, v2
	s_delay_alu instid0(VALU_DEP_1)
	v_lshlrev_b32_e32 v3, 2, v3
	ds_store_b32 v3, v62
	s_or_b32 exec_lo, exec_lo, s8
	s_and_saveexec_b32 s7, s6
	s_cbranch_execz .LBB207_285
.LBB207_340:
	v_sub_nc_u32_e32 v3, v42, v2
	s_delay_alu instid0(VALU_DEP_1)
	v_lshlrev_b32_e32 v3, 2, v3
	ds_store_b32 v3, v61
	s_or_b32 exec_lo, exec_lo, s7
	s_and_saveexec_b32 s6, s5
	s_cbranch_execz .LBB207_286
.LBB207_341:
	v_sub_nc_u32_e32 v3, v41, v2
	s_delay_alu instid0(VALU_DEP_1)
	v_lshlrev_b32_e32 v3, 2, v3
	ds_store_b32 v3, v55
	s_or_b32 exec_lo, exec_lo, s6
	s_and_saveexec_b32 s5, s4
	s_cbranch_execz .LBB207_287
.LBB207_342:
	v_sub_nc_u32_e32 v3, v40, v2
	s_delay_alu instid0(VALU_DEP_1)
	v_lshlrev_b32_e32 v3, 2, v3
	ds_store_b32 v3, v54
	s_or_b32 exec_lo, exec_lo, s5
	s_and_saveexec_b32 s4, s3
	s_cbranch_execz .LBB207_288
.LBB207_343:
	v_sub_nc_u32_e32 v3, v39, v2
	s_delay_alu instid0(VALU_DEP_1)
	v_lshlrev_b32_e32 v3, 2, v3
	ds_store_b32 v3, v52
	s_or_b32 exec_lo, exec_lo, s4
	s_and_saveexec_b32 s3, s2
	s_cbranch_execz .LBB207_289
.LBB207_344:
	v_sub_nc_u32_e32 v3, v38, v2
	s_delay_alu instid0(VALU_DEP_1)
	v_lshlrev_b32_e32 v3, 2, v3
	ds_store_b32 v3, v53
	s_or_b32 exec_lo, exec_lo, s3
	s_and_saveexec_b32 s2, s1
	s_cbranch_execnz .LBB207_290
	s_branch .LBB207_291
	.section	.rodata,"a",@progbits
	.p2align	6, 0x0
	.amdhsa_kernel _ZN7rocprim17ROCPRIM_400000_NS6detail17trampoline_kernelINS0_14default_configENS1_29reduce_by_key_config_selectorIffN6thrust23THRUST_200600_302600_NS4plusIfEEEEZZNS1_33reduce_by_key_impl_wrapped_configILNS1_25lookback_scan_determinismE0ES3_S9_NS6_6detail15normal_iteratorINS6_10device_ptrIfEEEESG_SG_SG_PmS8_22is_equal_div_10_reduceIfEEE10hipError_tPvRmT2_T3_mT4_T5_T6_T7_T8_P12ihipStream_tbENKUlT_T0_E_clISt17integral_constantIbLb0EES11_EEDaSW_SX_EUlSW_E_NS1_11comp_targetILNS1_3genE9ELNS1_11target_archE1100ELNS1_3gpuE3ELNS1_3repE0EEENS1_30default_config_static_selectorELNS0_4arch9wavefront6targetE0EEEvT1_
		.amdhsa_group_segment_fixed_size 15360
		.amdhsa_private_segment_fixed_size 0
		.amdhsa_kernarg_size 120
		.amdhsa_user_sgpr_count 15
		.amdhsa_user_sgpr_dispatch_ptr 0
		.amdhsa_user_sgpr_queue_ptr 0
		.amdhsa_user_sgpr_kernarg_segment_ptr 1
		.amdhsa_user_sgpr_dispatch_id 0
		.amdhsa_user_sgpr_private_segment_size 0
		.amdhsa_wavefront_size32 1
		.amdhsa_uses_dynamic_stack 0
		.amdhsa_enable_private_segment 0
		.amdhsa_system_sgpr_workgroup_id_x 1
		.amdhsa_system_sgpr_workgroup_id_y 0
		.amdhsa_system_sgpr_workgroup_id_z 0
		.amdhsa_system_sgpr_workgroup_info 0
		.amdhsa_system_vgpr_workitem_id 0
		.amdhsa_next_free_vgpr 85
		.amdhsa_next_free_sgpr 44
		.amdhsa_reserve_vcc 1
		.amdhsa_float_round_mode_32 0
		.amdhsa_float_round_mode_16_64 0
		.amdhsa_float_denorm_mode_32 3
		.amdhsa_float_denorm_mode_16_64 3
		.amdhsa_dx10_clamp 1
		.amdhsa_ieee_mode 1
		.amdhsa_fp16_overflow 0
		.amdhsa_workgroup_processor_mode 1
		.amdhsa_memory_ordered 1
		.amdhsa_forward_progress 0
		.amdhsa_shared_vgpr_count 0
		.amdhsa_exception_fp_ieee_invalid_op 0
		.amdhsa_exception_fp_denorm_src 0
		.amdhsa_exception_fp_ieee_div_zero 0
		.amdhsa_exception_fp_ieee_overflow 0
		.amdhsa_exception_fp_ieee_underflow 0
		.amdhsa_exception_fp_ieee_inexact 0
		.amdhsa_exception_int_div_zero 0
	.end_amdhsa_kernel
	.section	.text._ZN7rocprim17ROCPRIM_400000_NS6detail17trampoline_kernelINS0_14default_configENS1_29reduce_by_key_config_selectorIffN6thrust23THRUST_200600_302600_NS4plusIfEEEEZZNS1_33reduce_by_key_impl_wrapped_configILNS1_25lookback_scan_determinismE0ES3_S9_NS6_6detail15normal_iteratorINS6_10device_ptrIfEEEESG_SG_SG_PmS8_22is_equal_div_10_reduceIfEEE10hipError_tPvRmT2_T3_mT4_T5_T6_T7_T8_P12ihipStream_tbENKUlT_T0_E_clISt17integral_constantIbLb0EES11_EEDaSW_SX_EUlSW_E_NS1_11comp_targetILNS1_3genE9ELNS1_11target_archE1100ELNS1_3gpuE3ELNS1_3repE0EEENS1_30default_config_static_selectorELNS0_4arch9wavefront6targetE0EEEvT1_,"axG",@progbits,_ZN7rocprim17ROCPRIM_400000_NS6detail17trampoline_kernelINS0_14default_configENS1_29reduce_by_key_config_selectorIffN6thrust23THRUST_200600_302600_NS4plusIfEEEEZZNS1_33reduce_by_key_impl_wrapped_configILNS1_25lookback_scan_determinismE0ES3_S9_NS6_6detail15normal_iteratorINS6_10device_ptrIfEEEESG_SG_SG_PmS8_22is_equal_div_10_reduceIfEEE10hipError_tPvRmT2_T3_mT4_T5_T6_T7_T8_P12ihipStream_tbENKUlT_T0_E_clISt17integral_constantIbLb0EES11_EEDaSW_SX_EUlSW_E_NS1_11comp_targetILNS1_3genE9ELNS1_11target_archE1100ELNS1_3gpuE3ELNS1_3repE0EEENS1_30default_config_static_selectorELNS0_4arch9wavefront6targetE0EEEvT1_,comdat
.Lfunc_end207:
	.size	_ZN7rocprim17ROCPRIM_400000_NS6detail17trampoline_kernelINS0_14default_configENS1_29reduce_by_key_config_selectorIffN6thrust23THRUST_200600_302600_NS4plusIfEEEEZZNS1_33reduce_by_key_impl_wrapped_configILNS1_25lookback_scan_determinismE0ES3_S9_NS6_6detail15normal_iteratorINS6_10device_ptrIfEEEESG_SG_SG_PmS8_22is_equal_div_10_reduceIfEEE10hipError_tPvRmT2_T3_mT4_T5_T6_T7_T8_P12ihipStream_tbENKUlT_T0_E_clISt17integral_constantIbLb0EES11_EEDaSW_SX_EUlSW_E_NS1_11comp_targetILNS1_3genE9ELNS1_11target_archE1100ELNS1_3gpuE3ELNS1_3repE0EEENS1_30default_config_static_selectorELNS0_4arch9wavefront6targetE0EEEvT1_, .Lfunc_end207-_ZN7rocprim17ROCPRIM_400000_NS6detail17trampoline_kernelINS0_14default_configENS1_29reduce_by_key_config_selectorIffN6thrust23THRUST_200600_302600_NS4plusIfEEEEZZNS1_33reduce_by_key_impl_wrapped_configILNS1_25lookback_scan_determinismE0ES3_S9_NS6_6detail15normal_iteratorINS6_10device_ptrIfEEEESG_SG_SG_PmS8_22is_equal_div_10_reduceIfEEE10hipError_tPvRmT2_T3_mT4_T5_T6_T7_T8_P12ihipStream_tbENKUlT_T0_E_clISt17integral_constantIbLb0EES11_EEDaSW_SX_EUlSW_E_NS1_11comp_targetILNS1_3genE9ELNS1_11target_archE1100ELNS1_3gpuE3ELNS1_3repE0EEENS1_30default_config_static_selectorELNS0_4arch9wavefront6targetE0EEEvT1_
                                        ; -- End function
	.section	.AMDGPU.csdata,"",@progbits
; Kernel info:
; codeLenInByte = 20816
; NumSgprs: 46
; NumVgprs: 85
; ScratchSize: 0
; MemoryBound: 0
; FloatMode: 240
; IeeeMode: 1
; LDSByteSize: 15360 bytes/workgroup (compile time only)
; SGPRBlocks: 5
; VGPRBlocks: 10
; NumSGPRsForWavesPerEU: 46
; NumVGPRsForWavesPerEU: 85
; Occupancy: 16
; WaveLimiterHint : 1
; COMPUTE_PGM_RSRC2:SCRATCH_EN: 0
; COMPUTE_PGM_RSRC2:USER_SGPR: 15
; COMPUTE_PGM_RSRC2:TRAP_HANDLER: 0
; COMPUTE_PGM_RSRC2:TGID_X_EN: 1
; COMPUTE_PGM_RSRC2:TGID_Y_EN: 0
; COMPUTE_PGM_RSRC2:TGID_Z_EN: 0
; COMPUTE_PGM_RSRC2:TIDIG_COMP_CNT: 0
	.section	.text._ZN7rocprim17ROCPRIM_400000_NS6detail17trampoline_kernelINS0_14default_configENS1_29reduce_by_key_config_selectorIffN6thrust23THRUST_200600_302600_NS4plusIfEEEEZZNS1_33reduce_by_key_impl_wrapped_configILNS1_25lookback_scan_determinismE0ES3_S9_NS6_6detail15normal_iteratorINS6_10device_ptrIfEEEESG_SG_SG_PmS8_22is_equal_div_10_reduceIfEEE10hipError_tPvRmT2_T3_mT4_T5_T6_T7_T8_P12ihipStream_tbENKUlT_T0_E_clISt17integral_constantIbLb0EES11_EEDaSW_SX_EUlSW_E_NS1_11comp_targetILNS1_3genE8ELNS1_11target_archE1030ELNS1_3gpuE2ELNS1_3repE0EEENS1_30default_config_static_selectorELNS0_4arch9wavefront6targetE0EEEvT1_,"axG",@progbits,_ZN7rocprim17ROCPRIM_400000_NS6detail17trampoline_kernelINS0_14default_configENS1_29reduce_by_key_config_selectorIffN6thrust23THRUST_200600_302600_NS4plusIfEEEEZZNS1_33reduce_by_key_impl_wrapped_configILNS1_25lookback_scan_determinismE0ES3_S9_NS6_6detail15normal_iteratorINS6_10device_ptrIfEEEESG_SG_SG_PmS8_22is_equal_div_10_reduceIfEEE10hipError_tPvRmT2_T3_mT4_T5_T6_T7_T8_P12ihipStream_tbENKUlT_T0_E_clISt17integral_constantIbLb0EES11_EEDaSW_SX_EUlSW_E_NS1_11comp_targetILNS1_3genE8ELNS1_11target_archE1030ELNS1_3gpuE2ELNS1_3repE0EEENS1_30default_config_static_selectorELNS0_4arch9wavefront6targetE0EEEvT1_,comdat
	.protected	_ZN7rocprim17ROCPRIM_400000_NS6detail17trampoline_kernelINS0_14default_configENS1_29reduce_by_key_config_selectorIffN6thrust23THRUST_200600_302600_NS4plusIfEEEEZZNS1_33reduce_by_key_impl_wrapped_configILNS1_25lookback_scan_determinismE0ES3_S9_NS6_6detail15normal_iteratorINS6_10device_ptrIfEEEESG_SG_SG_PmS8_22is_equal_div_10_reduceIfEEE10hipError_tPvRmT2_T3_mT4_T5_T6_T7_T8_P12ihipStream_tbENKUlT_T0_E_clISt17integral_constantIbLb0EES11_EEDaSW_SX_EUlSW_E_NS1_11comp_targetILNS1_3genE8ELNS1_11target_archE1030ELNS1_3gpuE2ELNS1_3repE0EEENS1_30default_config_static_selectorELNS0_4arch9wavefront6targetE0EEEvT1_ ; -- Begin function _ZN7rocprim17ROCPRIM_400000_NS6detail17trampoline_kernelINS0_14default_configENS1_29reduce_by_key_config_selectorIffN6thrust23THRUST_200600_302600_NS4plusIfEEEEZZNS1_33reduce_by_key_impl_wrapped_configILNS1_25lookback_scan_determinismE0ES3_S9_NS6_6detail15normal_iteratorINS6_10device_ptrIfEEEESG_SG_SG_PmS8_22is_equal_div_10_reduceIfEEE10hipError_tPvRmT2_T3_mT4_T5_T6_T7_T8_P12ihipStream_tbENKUlT_T0_E_clISt17integral_constantIbLb0EES11_EEDaSW_SX_EUlSW_E_NS1_11comp_targetILNS1_3genE8ELNS1_11target_archE1030ELNS1_3gpuE2ELNS1_3repE0EEENS1_30default_config_static_selectorELNS0_4arch9wavefront6targetE0EEEvT1_
	.globl	_ZN7rocprim17ROCPRIM_400000_NS6detail17trampoline_kernelINS0_14default_configENS1_29reduce_by_key_config_selectorIffN6thrust23THRUST_200600_302600_NS4plusIfEEEEZZNS1_33reduce_by_key_impl_wrapped_configILNS1_25lookback_scan_determinismE0ES3_S9_NS6_6detail15normal_iteratorINS6_10device_ptrIfEEEESG_SG_SG_PmS8_22is_equal_div_10_reduceIfEEE10hipError_tPvRmT2_T3_mT4_T5_T6_T7_T8_P12ihipStream_tbENKUlT_T0_E_clISt17integral_constantIbLb0EES11_EEDaSW_SX_EUlSW_E_NS1_11comp_targetILNS1_3genE8ELNS1_11target_archE1030ELNS1_3gpuE2ELNS1_3repE0EEENS1_30default_config_static_selectorELNS0_4arch9wavefront6targetE0EEEvT1_
	.p2align	8
	.type	_ZN7rocprim17ROCPRIM_400000_NS6detail17trampoline_kernelINS0_14default_configENS1_29reduce_by_key_config_selectorIffN6thrust23THRUST_200600_302600_NS4plusIfEEEEZZNS1_33reduce_by_key_impl_wrapped_configILNS1_25lookback_scan_determinismE0ES3_S9_NS6_6detail15normal_iteratorINS6_10device_ptrIfEEEESG_SG_SG_PmS8_22is_equal_div_10_reduceIfEEE10hipError_tPvRmT2_T3_mT4_T5_T6_T7_T8_P12ihipStream_tbENKUlT_T0_E_clISt17integral_constantIbLb0EES11_EEDaSW_SX_EUlSW_E_NS1_11comp_targetILNS1_3genE8ELNS1_11target_archE1030ELNS1_3gpuE2ELNS1_3repE0EEENS1_30default_config_static_selectorELNS0_4arch9wavefront6targetE0EEEvT1_,@function
_ZN7rocprim17ROCPRIM_400000_NS6detail17trampoline_kernelINS0_14default_configENS1_29reduce_by_key_config_selectorIffN6thrust23THRUST_200600_302600_NS4plusIfEEEEZZNS1_33reduce_by_key_impl_wrapped_configILNS1_25lookback_scan_determinismE0ES3_S9_NS6_6detail15normal_iteratorINS6_10device_ptrIfEEEESG_SG_SG_PmS8_22is_equal_div_10_reduceIfEEE10hipError_tPvRmT2_T3_mT4_T5_T6_T7_T8_P12ihipStream_tbENKUlT_T0_E_clISt17integral_constantIbLb0EES11_EEDaSW_SX_EUlSW_E_NS1_11comp_targetILNS1_3genE8ELNS1_11target_archE1030ELNS1_3gpuE2ELNS1_3repE0EEENS1_30default_config_static_selectorELNS0_4arch9wavefront6targetE0EEEvT1_: ; @_ZN7rocprim17ROCPRIM_400000_NS6detail17trampoline_kernelINS0_14default_configENS1_29reduce_by_key_config_selectorIffN6thrust23THRUST_200600_302600_NS4plusIfEEEEZZNS1_33reduce_by_key_impl_wrapped_configILNS1_25lookback_scan_determinismE0ES3_S9_NS6_6detail15normal_iteratorINS6_10device_ptrIfEEEESG_SG_SG_PmS8_22is_equal_div_10_reduceIfEEE10hipError_tPvRmT2_T3_mT4_T5_T6_T7_T8_P12ihipStream_tbENKUlT_T0_E_clISt17integral_constantIbLb0EES11_EEDaSW_SX_EUlSW_E_NS1_11comp_targetILNS1_3genE8ELNS1_11target_archE1030ELNS1_3gpuE2ELNS1_3repE0EEENS1_30default_config_static_selectorELNS0_4arch9wavefront6targetE0EEEvT1_
; %bb.0:
	.section	.rodata,"a",@progbits
	.p2align	6, 0x0
	.amdhsa_kernel _ZN7rocprim17ROCPRIM_400000_NS6detail17trampoline_kernelINS0_14default_configENS1_29reduce_by_key_config_selectorIffN6thrust23THRUST_200600_302600_NS4plusIfEEEEZZNS1_33reduce_by_key_impl_wrapped_configILNS1_25lookback_scan_determinismE0ES3_S9_NS6_6detail15normal_iteratorINS6_10device_ptrIfEEEESG_SG_SG_PmS8_22is_equal_div_10_reduceIfEEE10hipError_tPvRmT2_T3_mT4_T5_T6_T7_T8_P12ihipStream_tbENKUlT_T0_E_clISt17integral_constantIbLb0EES11_EEDaSW_SX_EUlSW_E_NS1_11comp_targetILNS1_3genE8ELNS1_11target_archE1030ELNS1_3gpuE2ELNS1_3repE0EEENS1_30default_config_static_selectorELNS0_4arch9wavefront6targetE0EEEvT1_
		.amdhsa_group_segment_fixed_size 0
		.amdhsa_private_segment_fixed_size 0
		.amdhsa_kernarg_size 120
		.amdhsa_user_sgpr_count 15
		.amdhsa_user_sgpr_dispatch_ptr 0
		.amdhsa_user_sgpr_queue_ptr 0
		.amdhsa_user_sgpr_kernarg_segment_ptr 1
		.amdhsa_user_sgpr_dispatch_id 0
		.amdhsa_user_sgpr_private_segment_size 0
		.amdhsa_wavefront_size32 1
		.amdhsa_uses_dynamic_stack 0
		.amdhsa_enable_private_segment 0
		.amdhsa_system_sgpr_workgroup_id_x 1
		.amdhsa_system_sgpr_workgroup_id_y 0
		.amdhsa_system_sgpr_workgroup_id_z 0
		.amdhsa_system_sgpr_workgroup_info 0
		.amdhsa_system_vgpr_workitem_id 0
		.amdhsa_next_free_vgpr 1
		.amdhsa_next_free_sgpr 1
		.amdhsa_reserve_vcc 0
		.amdhsa_float_round_mode_32 0
		.amdhsa_float_round_mode_16_64 0
		.amdhsa_float_denorm_mode_32 3
		.amdhsa_float_denorm_mode_16_64 3
		.amdhsa_dx10_clamp 1
		.amdhsa_ieee_mode 1
		.amdhsa_fp16_overflow 0
		.amdhsa_workgroup_processor_mode 1
		.amdhsa_memory_ordered 1
		.amdhsa_forward_progress 0
		.amdhsa_shared_vgpr_count 0
		.amdhsa_exception_fp_ieee_invalid_op 0
		.amdhsa_exception_fp_denorm_src 0
		.amdhsa_exception_fp_ieee_div_zero 0
		.amdhsa_exception_fp_ieee_overflow 0
		.amdhsa_exception_fp_ieee_underflow 0
		.amdhsa_exception_fp_ieee_inexact 0
		.amdhsa_exception_int_div_zero 0
	.end_amdhsa_kernel
	.section	.text._ZN7rocprim17ROCPRIM_400000_NS6detail17trampoline_kernelINS0_14default_configENS1_29reduce_by_key_config_selectorIffN6thrust23THRUST_200600_302600_NS4plusIfEEEEZZNS1_33reduce_by_key_impl_wrapped_configILNS1_25lookback_scan_determinismE0ES3_S9_NS6_6detail15normal_iteratorINS6_10device_ptrIfEEEESG_SG_SG_PmS8_22is_equal_div_10_reduceIfEEE10hipError_tPvRmT2_T3_mT4_T5_T6_T7_T8_P12ihipStream_tbENKUlT_T0_E_clISt17integral_constantIbLb0EES11_EEDaSW_SX_EUlSW_E_NS1_11comp_targetILNS1_3genE8ELNS1_11target_archE1030ELNS1_3gpuE2ELNS1_3repE0EEENS1_30default_config_static_selectorELNS0_4arch9wavefront6targetE0EEEvT1_,"axG",@progbits,_ZN7rocprim17ROCPRIM_400000_NS6detail17trampoline_kernelINS0_14default_configENS1_29reduce_by_key_config_selectorIffN6thrust23THRUST_200600_302600_NS4plusIfEEEEZZNS1_33reduce_by_key_impl_wrapped_configILNS1_25lookback_scan_determinismE0ES3_S9_NS6_6detail15normal_iteratorINS6_10device_ptrIfEEEESG_SG_SG_PmS8_22is_equal_div_10_reduceIfEEE10hipError_tPvRmT2_T3_mT4_T5_T6_T7_T8_P12ihipStream_tbENKUlT_T0_E_clISt17integral_constantIbLb0EES11_EEDaSW_SX_EUlSW_E_NS1_11comp_targetILNS1_3genE8ELNS1_11target_archE1030ELNS1_3gpuE2ELNS1_3repE0EEENS1_30default_config_static_selectorELNS0_4arch9wavefront6targetE0EEEvT1_,comdat
.Lfunc_end208:
	.size	_ZN7rocprim17ROCPRIM_400000_NS6detail17trampoline_kernelINS0_14default_configENS1_29reduce_by_key_config_selectorIffN6thrust23THRUST_200600_302600_NS4plusIfEEEEZZNS1_33reduce_by_key_impl_wrapped_configILNS1_25lookback_scan_determinismE0ES3_S9_NS6_6detail15normal_iteratorINS6_10device_ptrIfEEEESG_SG_SG_PmS8_22is_equal_div_10_reduceIfEEE10hipError_tPvRmT2_T3_mT4_T5_T6_T7_T8_P12ihipStream_tbENKUlT_T0_E_clISt17integral_constantIbLb0EES11_EEDaSW_SX_EUlSW_E_NS1_11comp_targetILNS1_3genE8ELNS1_11target_archE1030ELNS1_3gpuE2ELNS1_3repE0EEENS1_30default_config_static_selectorELNS0_4arch9wavefront6targetE0EEEvT1_, .Lfunc_end208-_ZN7rocprim17ROCPRIM_400000_NS6detail17trampoline_kernelINS0_14default_configENS1_29reduce_by_key_config_selectorIffN6thrust23THRUST_200600_302600_NS4plusIfEEEEZZNS1_33reduce_by_key_impl_wrapped_configILNS1_25lookback_scan_determinismE0ES3_S9_NS6_6detail15normal_iteratorINS6_10device_ptrIfEEEESG_SG_SG_PmS8_22is_equal_div_10_reduceIfEEE10hipError_tPvRmT2_T3_mT4_T5_T6_T7_T8_P12ihipStream_tbENKUlT_T0_E_clISt17integral_constantIbLb0EES11_EEDaSW_SX_EUlSW_E_NS1_11comp_targetILNS1_3genE8ELNS1_11target_archE1030ELNS1_3gpuE2ELNS1_3repE0EEENS1_30default_config_static_selectorELNS0_4arch9wavefront6targetE0EEEvT1_
                                        ; -- End function
	.section	.AMDGPU.csdata,"",@progbits
; Kernel info:
; codeLenInByte = 0
; NumSgprs: 0
; NumVgprs: 0
; ScratchSize: 0
; MemoryBound: 0
; FloatMode: 240
; IeeeMode: 1
; LDSByteSize: 0 bytes/workgroup (compile time only)
; SGPRBlocks: 0
; VGPRBlocks: 0
; NumSGPRsForWavesPerEU: 1
; NumVGPRsForWavesPerEU: 1
; Occupancy: 16
; WaveLimiterHint : 0
; COMPUTE_PGM_RSRC2:SCRATCH_EN: 0
; COMPUTE_PGM_RSRC2:USER_SGPR: 15
; COMPUTE_PGM_RSRC2:TRAP_HANDLER: 0
; COMPUTE_PGM_RSRC2:TGID_X_EN: 1
; COMPUTE_PGM_RSRC2:TGID_Y_EN: 0
; COMPUTE_PGM_RSRC2:TGID_Z_EN: 0
; COMPUTE_PGM_RSRC2:TIDIG_COMP_CNT: 0
	.section	.text._ZN7rocprim17ROCPRIM_400000_NS6detail17trampoline_kernelINS0_14default_configENS1_29reduce_by_key_config_selectorIffN6thrust23THRUST_200600_302600_NS4plusIfEEEEZZNS1_33reduce_by_key_impl_wrapped_configILNS1_25lookback_scan_determinismE0ES3_S9_NS6_6detail15normal_iteratorINS6_10device_ptrIfEEEESG_SG_SG_PmS8_22is_equal_div_10_reduceIfEEE10hipError_tPvRmT2_T3_mT4_T5_T6_T7_T8_P12ihipStream_tbENKUlT_T0_E_clISt17integral_constantIbLb1EES11_EEDaSW_SX_EUlSW_E_NS1_11comp_targetILNS1_3genE0ELNS1_11target_archE4294967295ELNS1_3gpuE0ELNS1_3repE0EEENS1_30default_config_static_selectorELNS0_4arch9wavefront6targetE0EEEvT1_,"axG",@progbits,_ZN7rocprim17ROCPRIM_400000_NS6detail17trampoline_kernelINS0_14default_configENS1_29reduce_by_key_config_selectorIffN6thrust23THRUST_200600_302600_NS4plusIfEEEEZZNS1_33reduce_by_key_impl_wrapped_configILNS1_25lookback_scan_determinismE0ES3_S9_NS6_6detail15normal_iteratorINS6_10device_ptrIfEEEESG_SG_SG_PmS8_22is_equal_div_10_reduceIfEEE10hipError_tPvRmT2_T3_mT4_T5_T6_T7_T8_P12ihipStream_tbENKUlT_T0_E_clISt17integral_constantIbLb1EES11_EEDaSW_SX_EUlSW_E_NS1_11comp_targetILNS1_3genE0ELNS1_11target_archE4294967295ELNS1_3gpuE0ELNS1_3repE0EEENS1_30default_config_static_selectorELNS0_4arch9wavefront6targetE0EEEvT1_,comdat
	.protected	_ZN7rocprim17ROCPRIM_400000_NS6detail17trampoline_kernelINS0_14default_configENS1_29reduce_by_key_config_selectorIffN6thrust23THRUST_200600_302600_NS4plusIfEEEEZZNS1_33reduce_by_key_impl_wrapped_configILNS1_25lookback_scan_determinismE0ES3_S9_NS6_6detail15normal_iteratorINS6_10device_ptrIfEEEESG_SG_SG_PmS8_22is_equal_div_10_reduceIfEEE10hipError_tPvRmT2_T3_mT4_T5_T6_T7_T8_P12ihipStream_tbENKUlT_T0_E_clISt17integral_constantIbLb1EES11_EEDaSW_SX_EUlSW_E_NS1_11comp_targetILNS1_3genE0ELNS1_11target_archE4294967295ELNS1_3gpuE0ELNS1_3repE0EEENS1_30default_config_static_selectorELNS0_4arch9wavefront6targetE0EEEvT1_ ; -- Begin function _ZN7rocprim17ROCPRIM_400000_NS6detail17trampoline_kernelINS0_14default_configENS1_29reduce_by_key_config_selectorIffN6thrust23THRUST_200600_302600_NS4plusIfEEEEZZNS1_33reduce_by_key_impl_wrapped_configILNS1_25lookback_scan_determinismE0ES3_S9_NS6_6detail15normal_iteratorINS6_10device_ptrIfEEEESG_SG_SG_PmS8_22is_equal_div_10_reduceIfEEE10hipError_tPvRmT2_T3_mT4_T5_T6_T7_T8_P12ihipStream_tbENKUlT_T0_E_clISt17integral_constantIbLb1EES11_EEDaSW_SX_EUlSW_E_NS1_11comp_targetILNS1_3genE0ELNS1_11target_archE4294967295ELNS1_3gpuE0ELNS1_3repE0EEENS1_30default_config_static_selectorELNS0_4arch9wavefront6targetE0EEEvT1_
	.globl	_ZN7rocprim17ROCPRIM_400000_NS6detail17trampoline_kernelINS0_14default_configENS1_29reduce_by_key_config_selectorIffN6thrust23THRUST_200600_302600_NS4plusIfEEEEZZNS1_33reduce_by_key_impl_wrapped_configILNS1_25lookback_scan_determinismE0ES3_S9_NS6_6detail15normal_iteratorINS6_10device_ptrIfEEEESG_SG_SG_PmS8_22is_equal_div_10_reduceIfEEE10hipError_tPvRmT2_T3_mT4_T5_T6_T7_T8_P12ihipStream_tbENKUlT_T0_E_clISt17integral_constantIbLb1EES11_EEDaSW_SX_EUlSW_E_NS1_11comp_targetILNS1_3genE0ELNS1_11target_archE4294967295ELNS1_3gpuE0ELNS1_3repE0EEENS1_30default_config_static_selectorELNS0_4arch9wavefront6targetE0EEEvT1_
	.p2align	8
	.type	_ZN7rocprim17ROCPRIM_400000_NS6detail17trampoline_kernelINS0_14default_configENS1_29reduce_by_key_config_selectorIffN6thrust23THRUST_200600_302600_NS4plusIfEEEEZZNS1_33reduce_by_key_impl_wrapped_configILNS1_25lookback_scan_determinismE0ES3_S9_NS6_6detail15normal_iteratorINS6_10device_ptrIfEEEESG_SG_SG_PmS8_22is_equal_div_10_reduceIfEEE10hipError_tPvRmT2_T3_mT4_T5_T6_T7_T8_P12ihipStream_tbENKUlT_T0_E_clISt17integral_constantIbLb1EES11_EEDaSW_SX_EUlSW_E_NS1_11comp_targetILNS1_3genE0ELNS1_11target_archE4294967295ELNS1_3gpuE0ELNS1_3repE0EEENS1_30default_config_static_selectorELNS0_4arch9wavefront6targetE0EEEvT1_,@function
_ZN7rocprim17ROCPRIM_400000_NS6detail17trampoline_kernelINS0_14default_configENS1_29reduce_by_key_config_selectorIffN6thrust23THRUST_200600_302600_NS4plusIfEEEEZZNS1_33reduce_by_key_impl_wrapped_configILNS1_25lookback_scan_determinismE0ES3_S9_NS6_6detail15normal_iteratorINS6_10device_ptrIfEEEESG_SG_SG_PmS8_22is_equal_div_10_reduceIfEEE10hipError_tPvRmT2_T3_mT4_T5_T6_T7_T8_P12ihipStream_tbENKUlT_T0_E_clISt17integral_constantIbLb1EES11_EEDaSW_SX_EUlSW_E_NS1_11comp_targetILNS1_3genE0ELNS1_11target_archE4294967295ELNS1_3gpuE0ELNS1_3repE0EEENS1_30default_config_static_selectorELNS0_4arch9wavefront6targetE0EEEvT1_: ; @_ZN7rocprim17ROCPRIM_400000_NS6detail17trampoline_kernelINS0_14default_configENS1_29reduce_by_key_config_selectorIffN6thrust23THRUST_200600_302600_NS4plusIfEEEEZZNS1_33reduce_by_key_impl_wrapped_configILNS1_25lookback_scan_determinismE0ES3_S9_NS6_6detail15normal_iteratorINS6_10device_ptrIfEEEESG_SG_SG_PmS8_22is_equal_div_10_reduceIfEEE10hipError_tPvRmT2_T3_mT4_T5_T6_T7_T8_P12ihipStream_tbENKUlT_T0_E_clISt17integral_constantIbLb1EES11_EEDaSW_SX_EUlSW_E_NS1_11comp_targetILNS1_3genE0ELNS1_11target_archE4294967295ELNS1_3gpuE0ELNS1_3repE0EEENS1_30default_config_static_selectorELNS0_4arch9wavefront6targetE0EEEvT1_
; %bb.0:
	.section	.rodata,"a",@progbits
	.p2align	6, 0x0
	.amdhsa_kernel _ZN7rocprim17ROCPRIM_400000_NS6detail17trampoline_kernelINS0_14default_configENS1_29reduce_by_key_config_selectorIffN6thrust23THRUST_200600_302600_NS4plusIfEEEEZZNS1_33reduce_by_key_impl_wrapped_configILNS1_25lookback_scan_determinismE0ES3_S9_NS6_6detail15normal_iteratorINS6_10device_ptrIfEEEESG_SG_SG_PmS8_22is_equal_div_10_reduceIfEEE10hipError_tPvRmT2_T3_mT4_T5_T6_T7_T8_P12ihipStream_tbENKUlT_T0_E_clISt17integral_constantIbLb1EES11_EEDaSW_SX_EUlSW_E_NS1_11comp_targetILNS1_3genE0ELNS1_11target_archE4294967295ELNS1_3gpuE0ELNS1_3repE0EEENS1_30default_config_static_selectorELNS0_4arch9wavefront6targetE0EEEvT1_
		.amdhsa_group_segment_fixed_size 0
		.amdhsa_private_segment_fixed_size 0
		.amdhsa_kernarg_size 120
		.amdhsa_user_sgpr_count 15
		.amdhsa_user_sgpr_dispatch_ptr 0
		.amdhsa_user_sgpr_queue_ptr 0
		.amdhsa_user_sgpr_kernarg_segment_ptr 1
		.amdhsa_user_sgpr_dispatch_id 0
		.amdhsa_user_sgpr_private_segment_size 0
		.amdhsa_wavefront_size32 1
		.amdhsa_uses_dynamic_stack 0
		.amdhsa_enable_private_segment 0
		.amdhsa_system_sgpr_workgroup_id_x 1
		.amdhsa_system_sgpr_workgroup_id_y 0
		.amdhsa_system_sgpr_workgroup_id_z 0
		.amdhsa_system_sgpr_workgroup_info 0
		.amdhsa_system_vgpr_workitem_id 0
		.amdhsa_next_free_vgpr 1
		.amdhsa_next_free_sgpr 1
		.amdhsa_reserve_vcc 0
		.amdhsa_float_round_mode_32 0
		.amdhsa_float_round_mode_16_64 0
		.amdhsa_float_denorm_mode_32 3
		.amdhsa_float_denorm_mode_16_64 3
		.amdhsa_dx10_clamp 1
		.amdhsa_ieee_mode 1
		.amdhsa_fp16_overflow 0
		.amdhsa_workgroup_processor_mode 1
		.amdhsa_memory_ordered 1
		.amdhsa_forward_progress 0
		.amdhsa_shared_vgpr_count 0
		.amdhsa_exception_fp_ieee_invalid_op 0
		.amdhsa_exception_fp_denorm_src 0
		.amdhsa_exception_fp_ieee_div_zero 0
		.amdhsa_exception_fp_ieee_overflow 0
		.amdhsa_exception_fp_ieee_underflow 0
		.amdhsa_exception_fp_ieee_inexact 0
		.amdhsa_exception_int_div_zero 0
	.end_amdhsa_kernel
	.section	.text._ZN7rocprim17ROCPRIM_400000_NS6detail17trampoline_kernelINS0_14default_configENS1_29reduce_by_key_config_selectorIffN6thrust23THRUST_200600_302600_NS4plusIfEEEEZZNS1_33reduce_by_key_impl_wrapped_configILNS1_25lookback_scan_determinismE0ES3_S9_NS6_6detail15normal_iteratorINS6_10device_ptrIfEEEESG_SG_SG_PmS8_22is_equal_div_10_reduceIfEEE10hipError_tPvRmT2_T3_mT4_T5_T6_T7_T8_P12ihipStream_tbENKUlT_T0_E_clISt17integral_constantIbLb1EES11_EEDaSW_SX_EUlSW_E_NS1_11comp_targetILNS1_3genE0ELNS1_11target_archE4294967295ELNS1_3gpuE0ELNS1_3repE0EEENS1_30default_config_static_selectorELNS0_4arch9wavefront6targetE0EEEvT1_,"axG",@progbits,_ZN7rocprim17ROCPRIM_400000_NS6detail17trampoline_kernelINS0_14default_configENS1_29reduce_by_key_config_selectorIffN6thrust23THRUST_200600_302600_NS4plusIfEEEEZZNS1_33reduce_by_key_impl_wrapped_configILNS1_25lookback_scan_determinismE0ES3_S9_NS6_6detail15normal_iteratorINS6_10device_ptrIfEEEESG_SG_SG_PmS8_22is_equal_div_10_reduceIfEEE10hipError_tPvRmT2_T3_mT4_T5_T6_T7_T8_P12ihipStream_tbENKUlT_T0_E_clISt17integral_constantIbLb1EES11_EEDaSW_SX_EUlSW_E_NS1_11comp_targetILNS1_3genE0ELNS1_11target_archE4294967295ELNS1_3gpuE0ELNS1_3repE0EEENS1_30default_config_static_selectorELNS0_4arch9wavefront6targetE0EEEvT1_,comdat
.Lfunc_end209:
	.size	_ZN7rocprim17ROCPRIM_400000_NS6detail17trampoline_kernelINS0_14default_configENS1_29reduce_by_key_config_selectorIffN6thrust23THRUST_200600_302600_NS4plusIfEEEEZZNS1_33reduce_by_key_impl_wrapped_configILNS1_25lookback_scan_determinismE0ES3_S9_NS6_6detail15normal_iteratorINS6_10device_ptrIfEEEESG_SG_SG_PmS8_22is_equal_div_10_reduceIfEEE10hipError_tPvRmT2_T3_mT4_T5_T6_T7_T8_P12ihipStream_tbENKUlT_T0_E_clISt17integral_constantIbLb1EES11_EEDaSW_SX_EUlSW_E_NS1_11comp_targetILNS1_3genE0ELNS1_11target_archE4294967295ELNS1_3gpuE0ELNS1_3repE0EEENS1_30default_config_static_selectorELNS0_4arch9wavefront6targetE0EEEvT1_, .Lfunc_end209-_ZN7rocprim17ROCPRIM_400000_NS6detail17trampoline_kernelINS0_14default_configENS1_29reduce_by_key_config_selectorIffN6thrust23THRUST_200600_302600_NS4plusIfEEEEZZNS1_33reduce_by_key_impl_wrapped_configILNS1_25lookback_scan_determinismE0ES3_S9_NS6_6detail15normal_iteratorINS6_10device_ptrIfEEEESG_SG_SG_PmS8_22is_equal_div_10_reduceIfEEE10hipError_tPvRmT2_T3_mT4_T5_T6_T7_T8_P12ihipStream_tbENKUlT_T0_E_clISt17integral_constantIbLb1EES11_EEDaSW_SX_EUlSW_E_NS1_11comp_targetILNS1_3genE0ELNS1_11target_archE4294967295ELNS1_3gpuE0ELNS1_3repE0EEENS1_30default_config_static_selectorELNS0_4arch9wavefront6targetE0EEEvT1_
                                        ; -- End function
	.section	.AMDGPU.csdata,"",@progbits
; Kernel info:
; codeLenInByte = 0
; NumSgprs: 0
; NumVgprs: 0
; ScratchSize: 0
; MemoryBound: 0
; FloatMode: 240
; IeeeMode: 1
; LDSByteSize: 0 bytes/workgroup (compile time only)
; SGPRBlocks: 0
; VGPRBlocks: 0
; NumSGPRsForWavesPerEU: 1
; NumVGPRsForWavesPerEU: 1
; Occupancy: 16
; WaveLimiterHint : 0
; COMPUTE_PGM_RSRC2:SCRATCH_EN: 0
; COMPUTE_PGM_RSRC2:USER_SGPR: 15
; COMPUTE_PGM_RSRC2:TRAP_HANDLER: 0
; COMPUTE_PGM_RSRC2:TGID_X_EN: 1
; COMPUTE_PGM_RSRC2:TGID_Y_EN: 0
; COMPUTE_PGM_RSRC2:TGID_Z_EN: 0
; COMPUTE_PGM_RSRC2:TIDIG_COMP_CNT: 0
	.section	.text._ZN7rocprim17ROCPRIM_400000_NS6detail17trampoline_kernelINS0_14default_configENS1_29reduce_by_key_config_selectorIffN6thrust23THRUST_200600_302600_NS4plusIfEEEEZZNS1_33reduce_by_key_impl_wrapped_configILNS1_25lookback_scan_determinismE0ES3_S9_NS6_6detail15normal_iteratorINS6_10device_ptrIfEEEESG_SG_SG_PmS8_22is_equal_div_10_reduceIfEEE10hipError_tPvRmT2_T3_mT4_T5_T6_T7_T8_P12ihipStream_tbENKUlT_T0_E_clISt17integral_constantIbLb1EES11_EEDaSW_SX_EUlSW_E_NS1_11comp_targetILNS1_3genE5ELNS1_11target_archE942ELNS1_3gpuE9ELNS1_3repE0EEENS1_30default_config_static_selectorELNS0_4arch9wavefront6targetE0EEEvT1_,"axG",@progbits,_ZN7rocprim17ROCPRIM_400000_NS6detail17trampoline_kernelINS0_14default_configENS1_29reduce_by_key_config_selectorIffN6thrust23THRUST_200600_302600_NS4plusIfEEEEZZNS1_33reduce_by_key_impl_wrapped_configILNS1_25lookback_scan_determinismE0ES3_S9_NS6_6detail15normal_iteratorINS6_10device_ptrIfEEEESG_SG_SG_PmS8_22is_equal_div_10_reduceIfEEE10hipError_tPvRmT2_T3_mT4_T5_T6_T7_T8_P12ihipStream_tbENKUlT_T0_E_clISt17integral_constantIbLb1EES11_EEDaSW_SX_EUlSW_E_NS1_11comp_targetILNS1_3genE5ELNS1_11target_archE942ELNS1_3gpuE9ELNS1_3repE0EEENS1_30default_config_static_selectorELNS0_4arch9wavefront6targetE0EEEvT1_,comdat
	.protected	_ZN7rocprim17ROCPRIM_400000_NS6detail17trampoline_kernelINS0_14default_configENS1_29reduce_by_key_config_selectorIffN6thrust23THRUST_200600_302600_NS4plusIfEEEEZZNS1_33reduce_by_key_impl_wrapped_configILNS1_25lookback_scan_determinismE0ES3_S9_NS6_6detail15normal_iteratorINS6_10device_ptrIfEEEESG_SG_SG_PmS8_22is_equal_div_10_reduceIfEEE10hipError_tPvRmT2_T3_mT4_T5_T6_T7_T8_P12ihipStream_tbENKUlT_T0_E_clISt17integral_constantIbLb1EES11_EEDaSW_SX_EUlSW_E_NS1_11comp_targetILNS1_3genE5ELNS1_11target_archE942ELNS1_3gpuE9ELNS1_3repE0EEENS1_30default_config_static_selectorELNS0_4arch9wavefront6targetE0EEEvT1_ ; -- Begin function _ZN7rocprim17ROCPRIM_400000_NS6detail17trampoline_kernelINS0_14default_configENS1_29reduce_by_key_config_selectorIffN6thrust23THRUST_200600_302600_NS4plusIfEEEEZZNS1_33reduce_by_key_impl_wrapped_configILNS1_25lookback_scan_determinismE0ES3_S9_NS6_6detail15normal_iteratorINS6_10device_ptrIfEEEESG_SG_SG_PmS8_22is_equal_div_10_reduceIfEEE10hipError_tPvRmT2_T3_mT4_T5_T6_T7_T8_P12ihipStream_tbENKUlT_T0_E_clISt17integral_constantIbLb1EES11_EEDaSW_SX_EUlSW_E_NS1_11comp_targetILNS1_3genE5ELNS1_11target_archE942ELNS1_3gpuE9ELNS1_3repE0EEENS1_30default_config_static_selectorELNS0_4arch9wavefront6targetE0EEEvT1_
	.globl	_ZN7rocprim17ROCPRIM_400000_NS6detail17trampoline_kernelINS0_14default_configENS1_29reduce_by_key_config_selectorIffN6thrust23THRUST_200600_302600_NS4plusIfEEEEZZNS1_33reduce_by_key_impl_wrapped_configILNS1_25lookback_scan_determinismE0ES3_S9_NS6_6detail15normal_iteratorINS6_10device_ptrIfEEEESG_SG_SG_PmS8_22is_equal_div_10_reduceIfEEE10hipError_tPvRmT2_T3_mT4_T5_T6_T7_T8_P12ihipStream_tbENKUlT_T0_E_clISt17integral_constantIbLb1EES11_EEDaSW_SX_EUlSW_E_NS1_11comp_targetILNS1_3genE5ELNS1_11target_archE942ELNS1_3gpuE9ELNS1_3repE0EEENS1_30default_config_static_selectorELNS0_4arch9wavefront6targetE0EEEvT1_
	.p2align	8
	.type	_ZN7rocprim17ROCPRIM_400000_NS6detail17trampoline_kernelINS0_14default_configENS1_29reduce_by_key_config_selectorIffN6thrust23THRUST_200600_302600_NS4plusIfEEEEZZNS1_33reduce_by_key_impl_wrapped_configILNS1_25lookback_scan_determinismE0ES3_S9_NS6_6detail15normal_iteratorINS6_10device_ptrIfEEEESG_SG_SG_PmS8_22is_equal_div_10_reduceIfEEE10hipError_tPvRmT2_T3_mT4_T5_T6_T7_T8_P12ihipStream_tbENKUlT_T0_E_clISt17integral_constantIbLb1EES11_EEDaSW_SX_EUlSW_E_NS1_11comp_targetILNS1_3genE5ELNS1_11target_archE942ELNS1_3gpuE9ELNS1_3repE0EEENS1_30default_config_static_selectorELNS0_4arch9wavefront6targetE0EEEvT1_,@function
_ZN7rocprim17ROCPRIM_400000_NS6detail17trampoline_kernelINS0_14default_configENS1_29reduce_by_key_config_selectorIffN6thrust23THRUST_200600_302600_NS4plusIfEEEEZZNS1_33reduce_by_key_impl_wrapped_configILNS1_25lookback_scan_determinismE0ES3_S9_NS6_6detail15normal_iteratorINS6_10device_ptrIfEEEESG_SG_SG_PmS8_22is_equal_div_10_reduceIfEEE10hipError_tPvRmT2_T3_mT4_T5_T6_T7_T8_P12ihipStream_tbENKUlT_T0_E_clISt17integral_constantIbLb1EES11_EEDaSW_SX_EUlSW_E_NS1_11comp_targetILNS1_3genE5ELNS1_11target_archE942ELNS1_3gpuE9ELNS1_3repE0EEENS1_30default_config_static_selectorELNS0_4arch9wavefront6targetE0EEEvT1_: ; @_ZN7rocprim17ROCPRIM_400000_NS6detail17trampoline_kernelINS0_14default_configENS1_29reduce_by_key_config_selectorIffN6thrust23THRUST_200600_302600_NS4plusIfEEEEZZNS1_33reduce_by_key_impl_wrapped_configILNS1_25lookback_scan_determinismE0ES3_S9_NS6_6detail15normal_iteratorINS6_10device_ptrIfEEEESG_SG_SG_PmS8_22is_equal_div_10_reduceIfEEE10hipError_tPvRmT2_T3_mT4_T5_T6_T7_T8_P12ihipStream_tbENKUlT_T0_E_clISt17integral_constantIbLb1EES11_EEDaSW_SX_EUlSW_E_NS1_11comp_targetILNS1_3genE5ELNS1_11target_archE942ELNS1_3gpuE9ELNS1_3repE0EEENS1_30default_config_static_selectorELNS0_4arch9wavefront6targetE0EEEvT1_
; %bb.0:
	.section	.rodata,"a",@progbits
	.p2align	6, 0x0
	.amdhsa_kernel _ZN7rocprim17ROCPRIM_400000_NS6detail17trampoline_kernelINS0_14default_configENS1_29reduce_by_key_config_selectorIffN6thrust23THRUST_200600_302600_NS4plusIfEEEEZZNS1_33reduce_by_key_impl_wrapped_configILNS1_25lookback_scan_determinismE0ES3_S9_NS6_6detail15normal_iteratorINS6_10device_ptrIfEEEESG_SG_SG_PmS8_22is_equal_div_10_reduceIfEEE10hipError_tPvRmT2_T3_mT4_T5_T6_T7_T8_P12ihipStream_tbENKUlT_T0_E_clISt17integral_constantIbLb1EES11_EEDaSW_SX_EUlSW_E_NS1_11comp_targetILNS1_3genE5ELNS1_11target_archE942ELNS1_3gpuE9ELNS1_3repE0EEENS1_30default_config_static_selectorELNS0_4arch9wavefront6targetE0EEEvT1_
		.amdhsa_group_segment_fixed_size 0
		.amdhsa_private_segment_fixed_size 0
		.amdhsa_kernarg_size 120
		.amdhsa_user_sgpr_count 15
		.amdhsa_user_sgpr_dispatch_ptr 0
		.amdhsa_user_sgpr_queue_ptr 0
		.amdhsa_user_sgpr_kernarg_segment_ptr 1
		.amdhsa_user_sgpr_dispatch_id 0
		.amdhsa_user_sgpr_private_segment_size 0
		.amdhsa_wavefront_size32 1
		.amdhsa_uses_dynamic_stack 0
		.amdhsa_enable_private_segment 0
		.amdhsa_system_sgpr_workgroup_id_x 1
		.amdhsa_system_sgpr_workgroup_id_y 0
		.amdhsa_system_sgpr_workgroup_id_z 0
		.amdhsa_system_sgpr_workgroup_info 0
		.amdhsa_system_vgpr_workitem_id 0
		.amdhsa_next_free_vgpr 1
		.amdhsa_next_free_sgpr 1
		.amdhsa_reserve_vcc 0
		.amdhsa_float_round_mode_32 0
		.amdhsa_float_round_mode_16_64 0
		.amdhsa_float_denorm_mode_32 3
		.amdhsa_float_denorm_mode_16_64 3
		.amdhsa_dx10_clamp 1
		.amdhsa_ieee_mode 1
		.amdhsa_fp16_overflow 0
		.amdhsa_workgroup_processor_mode 1
		.amdhsa_memory_ordered 1
		.amdhsa_forward_progress 0
		.amdhsa_shared_vgpr_count 0
		.amdhsa_exception_fp_ieee_invalid_op 0
		.amdhsa_exception_fp_denorm_src 0
		.amdhsa_exception_fp_ieee_div_zero 0
		.amdhsa_exception_fp_ieee_overflow 0
		.amdhsa_exception_fp_ieee_underflow 0
		.amdhsa_exception_fp_ieee_inexact 0
		.amdhsa_exception_int_div_zero 0
	.end_amdhsa_kernel
	.section	.text._ZN7rocprim17ROCPRIM_400000_NS6detail17trampoline_kernelINS0_14default_configENS1_29reduce_by_key_config_selectorIffN6thrust23THRUST_200600_302600_NS4plusIfEEEEZZNS1_33reduce_by_key_impl_wrapped_configILNS1_25lookback_scan_determinismE0ES3_S9_NS6_6detail15normal_iteratorINS6_10device_ptrIfEEEESG_SG_SG_PmS8_22is_equal_div_10_reduceIfEEE10hipError_tPvRmT2_T3_mT4_T5_T6_T7_T8_P12ihipStream_tbENKUlT_T0_E_clISt17integral_constantIbLb1EES11_EEDaSW_SX_EUlSW_E_NS1_11comp_targetILNS1_3genE5ELNS1_11target_archE942ELNS1_3gpuE9ELNS1_3repE0EEENS1_30default_config_static_selectorELNS0_4arch9wavefront6targetE0EEEvT1_,"axG",@progbits,_ZN7rocprim17ROCPRIM_400000_NS6detail17trampoline_kernelINS0_14default_configENS1_29reduce_by_key_config_selectorIffN6thrust23THRUST_200600_302600_NS4plusIfEEEEZZNS1_33reduce_by_key_impl_wrapped_configILNS1_25lookback_scan_determinismE0ES3_S9_NS6_6detail15normal_iteratorINS6_10device_ptrIfEEEESG_SG_SG_PmS8_22is_equal_div_10_reduceIfEEE10hipError_tPvRmT2_T3_mT4_T5_T6_T7_T8_P12ihipStream_tbENKUlT_T0_E_clISt17integral_constantIbLb1EES11_EEDaSW_SX_EUlSW_E_NS1_11comp_targetILNS1_3genE5ELNS1_11target_archE942ELNS1_3gpuE9ELNS1_3repE0EEENS1_30default_config_static_selectorELNS0_4arch9wavefront6targetE0EEEvT1_,comdat
.Lfunc_end210:
	.size	_ZN7rocprim17ROCPRIM_400000_NS6detail17trampoline_kernelINS0_14default_configENS1_29reduce_by_key_config_selectorIffN6thrust23THRUST_200600_302600_NS4plusIfEEEEZZNS1_33reduce_by_key_impl_wrapped_configILNS1_25lookback_scan_determinismE0ES3_S9_NS6_6detail15normal_iteratorINS6_10device_ptrIfEEEESG_SG_SG_PmS8_22is_equal_div_10_reduceIfEEE10hipError_tPvRmT2_T3_mT4_T5_T6_T7_T8_P12ihipStream_tbENKUlT_T0_E_clISt17integral_constantIbLb1EES11_EEDaSW_SX_EUlSW_E_NS1_11comp_targetILNS1_3genE5ELNS1_11target_archE942ELNS1_3gpuE9ELNS1_3repE0EEENS1_30default_config_static_selectorELNS0_4arch9wavefront6targetE0EEEvT1_, .Lfunc_end210-_ZN7rocprim17ROCPRIM_400000_NS6detail17trampoline_kernelINS0_14default_configENS1_29reduce_by_key_config_selectorIffN6thrust23THRUST_200600_302600_NS4plusIfEEEEZZNS1_33reduce_by_key_impl_wrapped_configILNS1_25lookback_scan_determinismE0ES3_S9_NS6_6detail15normal_iteratorINS6_10device_ptrIfEEEESG_SG_SG_PmS8_22is_equal_div_10_reduceIfEEE10hipError_tPvRmT2_T3_mT4_T5_T6_T7_T8_P12ihipStream_tbENKUlT_T0_E_clISt17integral_constantIbLb1EES11_EEDaSW_SX_EUlSW_E_NS1_11comp_targetILNS1_3genE5ELNS1_11target_archE942ELNS1_3gpuE9ELNS1_3repE0EEENS1_30default_config_static_selectorELNS0_4arch9wavefront6targetE0EEEvT1_
                                        ; -- End function
	.section	.AMDGPU.csdata,"",@progbits
; Kernel info:
; codeLenInByte = 0
; NumSgprs: 0
; NumVgprs: 0
; ScratchSize: 0
; MemoryBound: 0
; FloatMode: 240
; IeeeMode: 1
; LDSByteSize: 0 bytes/workgroup (compile time only)
; SGPRBlocks: 0
; VGPRBlocks: 0
; NumSGPRsForWavesPerEU: 1
; NumVGPRsForWavesPerEU: 1
; Occupancy: 16
; WaveLimiterHint : 0
; COMPUTE_PGM_RSRC2:SCRATCH_EN: 0
; COMPUTE_PGM_RSRC2:USER_SGPR: 15
; COMPUTE_PGM_RSRC2:TRAP_HANDLER: 0
; COMPUTE_PGM_RSRC2:TGID_X_EN: 1
; COMPUTE_PGM_RSRC2:TGID_Y_EN: 0
; COMPUTE_PGM_RSRC2:TGID_Z_EN: 0
; COMPUTE_PGM_RSRC2:TIDIG_COMP_CNT: 0
	.section	.text._ZN7rocprim17ROCPRIM_400000_NS6detail17trampoline_kernelINS0_14default_configENS1_29reduce_by_key_config_selectorIffN6thrust23THRUST_200600_302600_NS4plusIfEEEEZZNS1_33reduce_by_key_impl_wrapped_configILNS1_25lookback_scan_determinismE0ES3_S9_NS6_6detail15normal_iteratorINS6_10device_ptrIfEEEESG_SG_SG_PmS8_22is_equal_div_10_reduceIfEEE10hipError_tPvRmT2_T3_mT4_T5_T6_T7_T8_P12ihipStream_tbENKUlT_T0_E_clISt17integral_constantIbLb1EES11_EEDaSW_SX_EUlSW_E_NS1_11comp_targetILNS1_3genE4ELNS1_11target_archE910ELNS1_3gpuE8ELNS1_3repE0EEENS1_30default_config_static_selectorELNS0_4arch9wavefront6targetE0EEEvT1_,"axG",@progbits,_ZN7rocprim17ROCPRIM_400000_NS6detail17trampoline_kernelINS0_14default_configENS1_29reduce_by_key_config_selectorIffN6thrust23THRUST_200600_302600_NS4plusIfEEEEZZNS1_33reduce_by_key_impl_wrapped_configILNS1_25lookback_scan_determinismE0ES3_S9_NS6_6detail15normal_iteratorINS6_10device_ptrIfEEEESG_SG_SG_PmS8_22is_equal_div_10_reduceIfEEE10hipError_tPvRmT2_T3_mT4_T5_T6_T7_T8_P12ihipStream_tbENKUlT_T0_E_clISt17integral_constantIbLb1EES11_EEDaSW_SX_EUlSW_E_NS1_11comp_targetILNS1_3genE4ELNS1_11target_archE910ELNS1_3gpuE8ELNS1_3repE0EEENS1_30default_config_static_selectorELNS0_4arch9wavefront6targetE0EEEvT1_,comdat
	.protected	_ZN7rocprim17ROCPRIM_400000_NS6detail17trampoline_kernelINS0_14default_configENS1_29reduce_by_key_config_selectorIffN6thrust23THRUST_200600_302600_NS4plusIfEEEEZZNS1_33reduce_by_key_impl_wrapped_configILNS1_25lookback_scan_determinismE0ES3_S9_NS6_6detail15normal_iteratorINS6_10device_ptrIfEEEESG_SG_SG_PmS8_22is_equal_div_10_reduceIfEEE10hipError_tPvRmT2_T3_mT4_T5_T6_T7_T8_P12ihipStream_tbENKUlT_T0_E_clISt17integral_constantIbLb1EES11_EEDaSW_SX_EUlSW_E_NS1_11comp_targetILNS1_3genE4ELNS1_11target_archE910ELNS1_3gpuE8ELNS1_3repE0EEENS1_30default_config_static_selectorELNS0_4arch9wavefront6targetE0EEEvT1_ ; -- Begin function _ZN7rocprim17ROCPRIM_400000_NS6detail17trampoline_kernelINS0_14default_configENS1_29reduce_by_key_config_selectorIffN6thrust23THRUST_200600_302600_NS4plusIfEEEEZZNS1_33reduce_by_key_impl_wrapped_configILNS1_25lookback_scan_determinismE0ES3_S9_NS6_6detail15normal_iteratorINS6_10device_ptrIfEEEESG_SG_SG_PmS8_22is_equal_div_10_reduceIfEEE10hipError_tPvRmT2_T3_mT4_T5_T6_T7_T8_P12ihipStream_tbENKUlT_T0_E_clISt17integral_constantIbLb1EES11_EEDaSW_SX_EUlSW_E_NS1_11comp_targetILNS1_3genE4ELNS1_11target_archE910ELNS1_3gpuE8ELNS1_3repE0EEENS1_30default_config_static_selectorELNS0_4arch9wavefront6targetE0EEEvT1_
	.globl	_ZN7rocprim17ROCPRIM_400000_NS6detail17trampoline_kernelINS0_14default_configENS1_29reduce_by_key_config_selectorIffN6thrust23THRUST_200600_302600_NS4plusIfEEEEZZNS1_33reduce_by_key_impl_wrapped_configILNS1_25lookback_scan_determinismE0ES3_S9_NS6_6detail15normal_iteratorINS6_10device_ptrIfEEEESG_SG_SG_PmS8_22is_equal_div_10_reduceIfEEE10hipError_tPvRmT2_T3_mT4_T5_T6_T7_T8_P12ihipStream_tbENKUlT_T0_E_clISt17integral_constantIbLb1EES11_EEDaSW_SX_EUlSW_E_NS1_11comp_targetILNS1_3genE4ELNS1_11target_archE910ELNS1_3gpuE8ELNS1_3repE0EEENS1_30default_config_static_selectorELNS0_4arch9wavefront6targetE0EEEvT1_
	.p2align	8
	.type	_ZN7rocprim17ROCPRIM_400000_NS6detail17trampoline_kernelINS0_14default_configENS1_29reduce_by_key_config_selectorIffN6thrust23THRUST_200600_302600_NS4plusIfEEEEZZNS1_33reduce_by_key_impl_wrapped_configILNS1_25lookback_scan_determinismE0ES3_S9_NS6_6detail15normal_iteratorINS6_10device_ptrIfEEEESG_SG_SG_PmS8_22is_equal_div_10_reduceIfEEE10hipError_tPvRmT2_T3_mT4_T5_T6_T7_T8_P12ihipStream_tbENKUlT_T0_E_clISt17integral_constantIbLb1EES11_EEDaSW_SX_EUlSW_E_NS1_11comp_targetILNS1_3genE4ELNS1_11target_archE910ELNS1_3gpuE8ELNS1_3repE0EEENS1_30default_config_static_selectorELNS0_4arch9wavefront6targetE0EEEvT1_,@function
_ZN7rocprim17ROCPRIM_400000_NS6detail17trampoline_kernelINS0_14default_configENS1_29reduce_by_key_config_selectorIffN6thrust23THRUST_200600_302600_NS4plusIfEEEEZZNS1_33reduce_by_key_impl_wrapped_configILNS1_25lookback_scan_determinismE0ES3_S9_NS6_6detail15normal_iteratorINS6_10device_ptrIfEEEESG_SG_SG_PmS8_22is_equal_div_10_reduceIfEEE10hipError_tPvRmT2_T3_mT4_T5_T6_T7_T8_P12ihipStream_tbENKUlT_T0_E_clISt17integral_constantIbLb1EES11_EEDaSW_SX_EUlSW_E_NS1_11comp_targetILNS1_3genE4ELNS1_11target_archE910ELNS1_3gpuE8ELNS1_3repE0EEENS1_30default_config_static_selectorELNS0_4arch9wavefront6targetE0EEEvT1_: ; @_ZN7rocprim17ROCPRIM_400000_NS6detail17trampoline_kernelINS0_14default_configENS1_29reduce_by_key_config_selectorIffN6thrust23THRUST_200600_302600_NS4plusIfEEEEZZNS1_33reduce_by_key_impl_wrapped_configILNS1_25lookback_scan_determinismE0ES3_S9_NS6_6detail15normal_iteratorINS6_10device_ptrIfEEEESG_SG_SG_PmS8_22is_equal_div_10_reduceIfEEE10hipError_tPvRmT2_T3_mT4_T5_T6_T7_T8_P12ihipStream_tbENKUlT_T0_E_clISt17integral_constantIbLb1EES11_EEDaSW_SX_EUlSW_E_NS1_11comp_targetILNS1_3genE4ELNS1_11target_archE910ELNS1_3gpuE8ELNS1_3repE0EEENS1_30default_config_static_selectorELNS0_4arch9wavefront6targetE0EEEvT1_
; %bb.0:
	.section	.rodata,"a",@progbits
	.p2align	6, 0x0
	.amdhsa_kernel _ZN7rocprim17ROCPRIM_400000_NS6detail17trampoline_kernelINS0_14default_configENS1_29reduce_by_key_config_selectorIffN6thrust23THRUST_200600_302600_NS4plusIfEEEEZZNS1_33reduce_by_key_impl_wrapped_configILNS1_25lookback_scan_determinismE0ES3_S9_NS6_6detail15normal_iteratorINS6_10device_ptrIfEEEESG_SG_SG_PmS8_22is_equal_div_10_reduceIfEEE10hipError_tPvRmT2_T3_mT4_T5_T6_T7_T8_P12ihipStream_tbENKUlT_T0_E_clISt17integral_constantIbLb1EES11_EEDaSW_SX_EUlSW_E_NS1_11comp_targetILNS1_3genE4ELNS1_11target_archE910ELNS1_3gpuE8ELNS1_3repE0EEENS1_30default_config_static_selectorELNS0_4arch9wavefront6targetE0EEEvT1_
		.amdhsa_group_segment_fixed_size 0
		.amdhsa_private_segment_fixed_size 0
		.amdhsa_kernarg_size 120
		.amdhsa_user_sgpr_count 15
		.amdhsa_user_sgpr_dispatch_ptr 0
		.amdhsa_user_sgpr_queue_ptr 0
		.amdhsa_user_sgpr_kernarg_segment_ptr 1
		.amdhsa_user_sgpr_dispatch_id 0
		.amdhsa_user_sgpr_private_segment_size 0
		.amdhsa_wavefront_size32 1
		.amdhsa_uses_dynamic_stack 0
		.amdhsa_enable_private_segment 0
		.amdhsa_system_sgpr_workgroup_id_x 1
		.amdhsa_system_sgpr_workgroup_id_y 0
		.amdhsa_system_sgpr_workgroup_id_z 0
		.amdhsa_system_sgpr_workgroup_info 0
		.amdhsa_system_vgpr_workitem_id 0
		.amdhsa_next_free_vgpr 1
		.amdhsa_next_free_sgpr 1
		.amdhsa_reserve_vcc 0
		.amdhsa_float_round_mode_32 0
		.amdhsa_float_round_mode_16_64 0
		.amdhsa_float_denorm_mode_32 3
		.amdhsa_float_denorm_mode_16_64 3
		.amdhsa_dx10_clamp 1
		.amdhsa_ieee_mode 1
		.amdhsa_fp16_overflow 0
		.amdhsa_workgroup_processor_mode 1
		.amdhsa_memory_ordered 1
		.amdhsa_forward_progress 0
		.amdhsa_shared_vgpr_count 0
		.amdhsa_exception_fp_ieee_invalid_op 0
		.amdhsa_exception_fp_denorm_src 0
		.amdhsa_exception_fp_ieee_div_zero 0
		.amdhsa_exception_fp_ieee_overflow 0
		.amdhsa_exception_fp_ieee_underflow 0
		.amdhsa_exception_fp_ieee_inexact 0
		.amdhsa_exception_int_div_zero 0
	.end_amdhsa_kernel
	.section	.text._ZN7rocprim17ROCPRIM_400000_NS6detail17trampoline_kernelINS0_14default_configENS1_29reduce_by_key_config_selectorIffN6thrust23THRUST_200600_302600_NS4plusIfEEEEZZNS1_33reduce_by_key_impl_wrapped_configILNS1_25lookback_scan_determinismE0ES3_S9_NS6_6detail15normal_iteratorINS6_10device_ptrIfEEEESG_SG_SG_PmS8_22is_equal_div_10_reduceIfEEE10hipError_tPvRmT2_T3_mT4_T5_T6_T7_T8_P12ihipStream_tbENKUlT_T0_E_clISt17integral_constantIbLb1EES11_EEDaSW_SX_EUlSW_E_NS1_11comp_targetILNS1_3genE4ELNS1_11target_archE910ELNS1_3gpuE8ELNS1_3repE0EEENS1_30default_config_static_selectorELNS0_4arch9wavefront6targetE0EEEvT1_,"axG",@progbits,_ZN7rocprim17ROCPRIM_400000_NS6detail17trampoline_kernelINS0_14default_configENS1_29reduce_by_key_config_selectorIffN6thrust23THRUST_200600_302600_NS4plusIfEEEEZZNS1_33reduce_by_key_impl_wrapped_configILNS1_25lookback_scan_determinismE0ES3_S9_NS6_6detail15normal_iteratorINS6_10device_ptrIfEEEESG_SG_SG_PmS8_22is_equal_div_10_reduceIfEEE10hipError_tPvRmT2_T3_mT4_T5_T6_T7_T8_P12ihipStream_tbENKUlT_T0_E_clISt17integral_constantIbLb1EES11_EEDaSW_SX_EUlSW_E_NS1_11comp_targetILNS1_3genE4ELNS1_11target_archE910ELNS1_3gpuE8ELNS1_3repE0EEENS1_30default_config_static_selectorELNS0_4arch9wavefront6targetE0EEEvT1_,comdat
.Lfunc_end211:
	.size	_ZN7rocprim17ROCPRIM_400000_NS6detail17trampoline_kernelINS0_14default_configENS1_29reduce_by_key_config_selectorIffN6thrust23THRUST_200600_302600_NS4plusIfEEEEZZNS1_33reduce_by_key_impl_wrapped_configILNS1_25lookback_scan_determinismE0ES3_S9_NS6_6detail15normal_iteratorINS6_10device_ptrIfEEEESG_SG_SG_PmS8_22is_equal_div_10_reduceIfEEE10hipError_tPvRmT2_T3_mT4_T5_T6_T7_T8_P12ihipStream_tbENKUlT_T0_E_clISt17integral_constantIbLb1EES11_EEDaSW_SX_EUlSW_E_NS1_11comp_targetILNS1_3genE4ELNS1_11target_archE910ELNS1_3gpuE8ELNS1_3repE0EEENS1_30default_config_static_selectorELNS0_4arch9wavefront6targetE0EEEvT1_, .Lfunc_end211-_ZN7rocprim17ROCPRIM_400000_NS6detail17trampoline_kernelINS0_14default_configENS1_29reduce_by_key_config_selectorIffN6thrust23THRUST_200600_302600_NS4plusIfEEEEZZNS1_33reduce_by_key_impl_wrapped_configILNS1_25lookback_scan_determinismE0ES3_S9_NS6_6detail15normal_iteratorINS6_10device_ptrIfEEEESG_SG_SG_PmS8_22is_equal_div_10_reduceIfEEE10hipError_tPvRmT2_T3_mT4_T5_T6_T7_T8_P12ihipStream_tbENKUlT_T0_E_clISt17integral_constantIbLb1EES11_EEDaSW_SX_EUlSW_E_NS1_11comp_targetILNS1_3genE4ELNS1_11target_archE910ELNS1_3gpuE8ELNS1_3repE0EEENS1_30default_config_static_selectorELNS0_4arch9wavefront6targetE0EEEvT1_
                                        ; -- End function
	.section	.AMDGPU.csdata,"",@progbits
; Kernel info:
; codeLenInByte = 0
; NumSgprs: 0
; NumVgprs: 0
; ScratchSize: 0
; MemoryBound: 0
; FloatMode: 240
; IeeeMode: 1
; LDSByteSize: 0 bytes/workgroup (compile time only)
; SGPRBlocks: 0
; VGPRBlocks: 0
; NumSGPRsForWavesPerEU: 1
; NumVGPRsForWavesPerEU: 1
; Occupancy: 16
; WaveLimiterHint : 0
; COMPUTE_PGM_RSRC2:SCRATCH_EN: 0
; COMPUTE_PGM_RSRC2:USER_SGPR: 15
; COMPUTE_PGM_RSRC2:TRAP_HANDLER: 0
; COMPUTE_PGM_RSRC2:TGID_X_EN: 1
; COMPUTE_PGM_RSRC2:TGID_Y_EN: 0
; COMPUTE_PGM_RSRC2:TGID_Z_EN: 0
; COMPUTE_PGM_RSRC2:TIDIG_COMP_CNT: 0
	.section	.text._ZN7rocprim17ROCPRIM_400000_NS6detail17trampoline_kernelINS0_14default_configENS1_29reduce_by_key_config_selectorIffN6thrust23THRUST_200600_302600_NS4plusIfEEEEZZNS1_33reduce_by_key_impl_wrapped_configILNS1_25lookback_scan_determinismE0ES3_S9_NS6_6detail15normal_iteratorINS6_10device_ptrIfEEEESG_SG_SG_PmS8_22is_equal_div_10_reduceIfEEE10hipError_tPvRmT2_T3_mT4_T5_T6_T7_T8_P12ihipStream_tbENKUlT_T0_E_clISt17integral_constantIbLb1EES11_EEDaSW_SX_EUlSW_E_NS1_11comp_targetILNS1_3genE3ELNS1_11target_archE908ELNS1_3gpuE7ELNS1_3repE0EEENS1_30default_config_static_selectorELNS0_4arch9wavefront6targetE0EEEvT1_,"axG",@progbits,_ZN7rocprim17ROCPRIM_400000_NS6detail17trampoline_kernelINS0_14default_configENS1_29reduce_by_key_config_selectorIffN6thrust23THRUST_200600_302600_NS4plusIfEEEEZZNS1_33reduce_by_key_impl_wrapped_configILNS1_25lookback_scan_determinismE0ES3_S9_NS6_6detail15normal_iteratorINS6_10device_ptrIfEEEESG_SG_SG_PmS8_22is_equal_div_10_reduceIfEEE10hipError_tPvRmT2_T3_mT4_T5_T6_T7_T8_P12ihipStream_tbENKUlT_T0_E_clISt17integral_constantIbLb1EES11_EEDaSW_SX_EUlSW_E_NS1_11comp_targetILNS1_3genE3ELNS1_11target_archE908ELNS1_3gpuE7ELNS1_3repE0EEENS1_30default_config_static_selectorELNS0_4arch9wavefront6targetE0EEEvT1_,comdat
	.protected	_ZN7rocprim17ROCPRIM_400000_NS6detail17trampoline_kernelINS0_14default_configENS1_29reduce_by_key_config_selectorIffN6thrust23THRUST_200600_302600_NS4plusIfEEEEZZNS1_33reduce_by_key_impl_wrapped_configILNS1_25lookback_scan_determinismE0ES3_S9_NS6_6detail15normal_iteratorINS6_10device_ptrIfEEEESG_SG_SG_PmS8_22is_equal_div_10_reduceIfEEE10hipError_tPvRmT2_T3_mT4_T5_T6_T7_T8_P12ihipStream_tbENKUlT_T0_E_clISt17integral_constantIbLb1EES11_EEDaSW_SX_EUlSW_E_NS1_11comp_targetILNS1_3genE3ELNS1_11target_archE908ELNS1_3gpuE7ELNS1_3repE0EEENS1_30default_config_static_selectorELNS0_4arch9wavefront6targetE0EEEvT1_ ; -- Begin function _ZN7rocprim17ROCPRIM_400000_NS6detail17trampoline_kernelINS0_14default_configENS1_29reduce_by_key_config_selectorIffN6thrust23THRUST_200600_302600_NS4plusIfEEEEZZNS1_33reduce_by_key_impl_wrapped_configILNS1_25lookback_scan_determinismE0ES3_S9_NS6_6detail15normal_iteratorINS6_10device_ptrIfEEEESG_SG_SG_PmS8_22is_equal_div_10_reduceIfEEE10hipError_tPvRmT2_T3_mT4_T5_T6_T7_T8_P12ihipStream_tbENKUlT_T0_E_clISt17integral_constantIbLb1EES11_EEDaSW_SX_EUlSW_E_NS1_11comp_targetILNS1_3genE3ELNS1_11target_archE908ELNS1_3gpuE7ELNS1_3repE0EEENS1_30default_config_static_selectorELNS0_4arch9wavefront6targetE0EEEvT1_
	.globl	_ZN7rocprim17ROCPRIM_400000_NS6detail17trampoline_kernelINS0_14default_configENS1_29reduce_by_key_config_selectorIffN6thrust23THRUST_200600_302600_NS4plusIfEEEEZZNS1_33reduce_by_key_impl_wrapped_configILNS1_25lookback_scan_determinismE0ES3_S9_NS6_6detail15normal_iteratorINS6_10device_ptrIfEEEESG_SG_SG_PmS8_22is_equal_div_10_reduceIfEEE10hipError_tPvRmT2_T3_mT4_T5_T6_T7_T8_P12ihipStream_tbENKUlT_T0_E_clISt17integral_constantIbLb1EES11_EEDaSW_SX_EUlSW_E_NS1_11comp_targetILNS1_3genE3ELNS1_11target_archE908ELNS1_3gpuE7ELNS1_3repE0EEENS1_30default_config_static_selectorELNS0_4arch9wavefront6targetE0EEEvT1_
	.p2align	8
	.type	_ZN7rocprim17ROCPRIM_400000_NS6detail17trampoline_kernelINS0_14default_configENS1_29reduce_by_key_config_selectorIffN6thrust23THRUST_200600_302600_NS4plusIfEEEEZZNS1_33reduce_by_key_impl_wrapped_configILNS1_25lookback_scan_determinismE0ES3_S9_NS6_6detail15normal_iteratorINS6_10device_ptrIfEEEESG_SG_SG_PmS8_22is_equal_div_10_reduceIfEEE10hipError_tPvRmT2_T3_mT4_T5_T6_T7_T8_P12ihipStream_tbENKUlT_T0_E_clISt17integral_constantIbLb1EES11_EEDaSW_SX_EUlSW_E_NS1_11comp_targetILNS1_3genE3ELNS1_11target_archE908ELNS1_3gpuE7ELNS1_3repE0EEENS1_30default_config_static_selectorELNS0_4arch9wavefront6targetE0EEEvT1_,@function
_ZN7rocprim17ROCPRIM_400000_NS6detail17trampoline_kernelINS0_14default_configENS1_29reduce_by_key_config_selectorIffN6thrust23THRUST_200600_302600_NS4plusIfEEEEZZNS1_33reduce_by_key_impl_wrapped_configILNS1_25lookback_scan_determinismE0ES3_S9_NS6_6detail15normal_iteratorINS6_10device_ptrIfEEEESG_SG_SG_PmS8_22is_equal_div_10_reduceIfEEE10hipError_tPvRmT2_T3_mT4_T5_T6_T7_T8_P12ihipStream_tbENKUlT_T0_E_clISt17integral_constantIbLb1EES11_EEDaSW_SX_EUlSW_E_NS1_11comp_targetILNS1_3genE3ELNS1_11target_archE908ELNS1_3gpuE7ELNS1_3repE0EEENS1_30default_config_static_selectorELNS0_4arch9wavefront6targetE0EEEvT1_: ; @_ZN7rocprim17ROCPRIM_400000_NS6detail17trampoline_kernelINS0_14default_configENS1_29reduce_by_key_config_selectorIffN6thrust23THRUST_200600_302600_NS4plusIfEEEEZZNS1_33reduce_by_key_impl_wrapped_configILNS1_25lookback_scan_determinismE0ES3_S9_NS6_6detail15normal_iteratorINS6_10device_ptrIfEEEESG_SG_SG_PmS8_22is_equal_div_10_reduceIfEEE10hipError_tPvRmT2_T3_mT4_T5_T6_T7_T8_P12ihipStream_tbENKUlT_T0_E_clISt17integral_constantIbLb1EES11_EEDaSW_SX_EUlSW_E_NS1_11comp_targetILNS1_3genE3ELNS1_11target_archE908ELNS1_3gpuE7ELNS1_3repE0EEENS1_30default_config_static_selectorELNS0_4arch9wavefront6targetE0EEEvT1_
; %bb.0:
	.section	.rodata,"a",@progbits
	.p2align	6, 0x0
	.amdhsa_kernel _ZN7rocprim17ROCPRIM_400000_NS6detail17trampoline_kernelINS0_14default_configENS1_29reduce_by_key_config_selectorIffN6thrust23THRUST_200600_302600_NS4plusIfEEEEZZNS1_33reduce_by_key_impl_wrapped_configILNS1_25lookback_scan_determinismE0ES3_S9_NS6_6detail15normal_iteratorINS6_10device_ptrIfEEEESG_SG_SG_PmS8_22is_equal_div_10_reduceIfEEE10hipError_tPvRmT2_T3_mT4_T5_T6_T7_T8_P12ihipStream_tbENKUlT_T0_E_clISt17integral_constantIbLb1EES11_EEDaSW_SX_EUlSW_E_NS1_11comp_targetILNS1_3genE3ELNS1_11target_archE908ELNS1_3gpuE7ELNS1_3repE0EEENS1_30default_config_static_selectorELNS0_4arch9wavefront6targetE0EEEvT1_
		.amdhsa_group_segment_fixed_size 0
		.amdhsa_private_segment_fixed_size 0
		.amdhsa_kernarg_size 120
		.amdhsa_user_sgpr_count 15
		.amdhsa_user_sgpr_dispatch_ptr 0
		.amdhsa_user_sgpr_queue_ptr 0
		.amdhsa_user_sgpr_kernarg_segment_ptr 1
		.amdhsa_user_sgpr_dispatch_id 0
		.amdhsa_user_sgpr_private_segment_size 0
		.amdhsa_wavefront_size32 1
		.amdhsa_uses_dynamic_stack 0
		.amdhsa_enable_private_segment 0
		.amdhsa_system_sgpr_workgroup_id_x 1
		.amdhsa_system_sgpr_workgroup_id_y 0
		.amdhsa_system_sgpr_workgroup_id_z 0
		.amdhsa_system_sgpr_workgroup_info 0
		.amdhsa_system_vgpr_workitem_id 0
		.amdhsa_next_free_vgpr 1
		.amdhsa_next_free_sgpr 1
		.amdhsa_reserve_vcc 0
		.amdhsa_float_round_mode_32 0
		.amdhsa_float_round_mode_16_64 0
		.amdhsa_float_denorm_mode_32 3
		.amdhsa_float_denorm_mode_16_64 3
		.amdhsa_dx10_clamp 1
		.amdhsa_ieee_mode 1
		.amdhsa_fp16_overflow 0
		.amdhsa_workgroup_processor_mode 1
		.amdhsa_memory_ordered 1
		.amdhsa_forward_progress 0
		.amdhsa_shared_vgpr_count 0
		.amdhsa_exception_fp_ieee_invalid_op 0
		.amdhsa_exception_fp_denorm_src 0
		.amdhsa_exception_fp_ieee_div_zero 0
		.amdhsa_exception_fp_ieee_overflow 0
		.amdhsa_exception_fp_ieee_underflow 0
		.amdhsa_exception_fp_ieee_inexact 0
		.amdhsa_exception_int_div_zero 0
	.end_amdhsa_kernel
	.section	.text._ZN7rocprim17ROCPRIM_400000_NS6detail17trampoline_kernelINS0_14default_configENS1_29reduce_by_key_config_selectorIffN6thrust23THRUST_200600_302600_NS4plusIfEEEEZZNS1_33reduce_by_key_impl_wrapped_configILNS1_25lookback_scan_determinismE0ES3_S9_NS6_6detail15normal_iteratorINS6_10device_ptrIfEEEESG_SG_SG_PmS8_22is_equal_div_10_reduceIfEEE10hipError_tPvRmT2_T3_mT4_T5_T6_T7_T8_P12ihipStream_tbENKUlT_T0_E_clISt17integral_constantIbLb1EES11_EEDaSW_SX_EUlSW_E_NS1_11comp_targetILNS1_3genE3ELNS1_11target_archE908ELNS1_3gpuE7ELNS1_3repE0EEENS1_30default_config_static_selectorELNS0_4arch9wavefront6targetE0EEEvT1_,"axG",@progbits,_ZN7rocprim17ROCPRIM_400000_NS6detail17trampoline_kernelINS0_14default_configENS1_29reduce_by_key_config_selectorIffN6thrust23THRUST_200600_302600_NS4plusIfEEEEZZNS1_33reduce_by_key_impl_wrapped_configILNS1_25lookback_scan_determinismE0ES3_S9_NS6_6detail15normal_iteratorINS6_10device_ptrIfEEEESG_SG_SG_PmS8_22is_equal_div_10_reduceIfEEE10hipError_tPvRmT2_T3_mT4_T5_T6_T7_T8_P12ihipStream_tbENKUlT_T0_E_clISt17integral_constantIbLb1EES11_EEDaSW_SX_EUlSW_E_NS1_11comp_targetILNS1_3genE3ELNS1_11target_archE908ELNS1_3gpuE7ELNS1_3repE0EEENS1_30default_config_static_selectorELNS0_4arch9wavefront6targetE0EEEvT1_,comdat
.Lfunc_end212:
	.size	_ZN7rocprim17ROCPRIM_400000_NS6detail17trampoline_kernelINS0_14default_configENS1_29reduce_by_key_config_selectorIffN6thrust23THRUST_200600_302600_NS4plusIfEEEEZZNS1_33reduce_by_key_impl_wrapped_configILNS1_25lookback_scan_determinismE0ES3_S9_NS6_6detail15normal_iteratorINS6_10device_ptrIfEEEESG_SG_SG_PmS8_22is_equal_div_10_reduceIfEEE10hipError_tPvRmT2_T3_mT4_T5_T6_T7_T8_P12ihipStream_tbENKUlT_T0_E_clISt17integral_constantIbLb1EES11_EEDaSW_SX_EUlSW_E_NS1_11comp_targetILNS1_3genE3ELNS1_11target_archE908ELNS1_3gpuE7ELNS1_3repE0EEENS1_30default_config_static_selectorELNS0_4arch9wavefront6targetE0EEEvT1_, .Lfunc_end212-_ZN7rocprim17ROCPRIM_400000_NS6detail17trampoline_kernelINS0_14default_configENS1_29reduce_by_key_config_selectorIffN6thrust23THRUST_200600_302600_NS4plusIfEEEEZZNS1_33reduce_by_key_impl_wrapped_configILNS1_25lookback_scan_determinismE0ES3_S9_NS6_6detail15normal_iteratorINS6_10device_ptrIfEEEESG_SG_SG_PmS8_22is_equal_div_10_reduceIfEEE10hipError_tPvRmT2_T3_mT4_T5_T6_T7_T8_P12ihipStream_tbENKUlT_T0_E_clISt17integral_constantIbLb1EES11_EEDaSW_SX_EUlSW_E_NS1_11comp_targetILNS1_3genE3ELNS1_11target_archE908ELNS1_3gpuE7ELNS1_3repE0EEENS1_30default_config_static_selectorELNS0_4arch9wavefront6targetE0EEEvT1_
                                        ; -- End function
	.section	.AMDGPU.csdata,"",@progbits
; Kernel info:
; codeLenInByte = 0
; NumSgprs: 0
; NumVgprs: 0
; ScratchSize: 0
; MemoryBound: 0
; FloatMode: 240
; IeeeMode: 1
; LDSByteSize: 0 bytes/workgroup (compile time only)
; SGPRBlocks: 0
; VGPRBlocks: 0
; NumSGPRsForWavesPerEU: 1
; NumVGPRsForWavesPerEU: 1
; Occupancy: 16
; WaveLimiterHint : 0
; COMPUTE_PGM_RSRC2:SCRATCH_EN: 0
; COMPUTE_PGM_RSRC2:USER_SGPR: 15
; COMPUTE_PGM_RSRC2:TRAP_HANDLER: 0
; COMPUTE_PGM_RSRC2:TGID_X_EN: 1
; COMPUTE_PGM_RSRC2:TGID_Y_EN: 0
; COMPUTE_PGM_RSRC2:TGID_Z_EN: 0
; COMPUTE_PGM_RSRC2:TIDIG_COMP_CNT: 0
	.section	.text._ZN7rocprim17ROCPRIM_400000_NS6detail17trampoline_kernelINS0_14default_configENS1_29reduce_by_key_config_selectorIffN6thrust23THRUST_200600_302600_NS4plusIfEEEEZZNS1_33reduce_by_key_impl_wrapped_configILNS1_25lookback_scan_determinismE0ES3_S9_NS6_6detail15normal_iteratorINS6_10device_ptrIfEEEESG_SG_SG_PmS8_22is_equal_div_10_reduceIfEEE10hipError_tPvRmT2_T3_mT4_T5_T6_T7_T8_P12ihipStream_tbENKUlT_T0_E_clISt17integral_constantIbLb1EES11_EEDaSW_SX_EUlSW_E_NS1_11comp_targetILNS1_3genE2ELNS1_11target_archE906ELNS1_3gpuE6ELNS1_3repE0EEENS1_30default_config_static_selectorELNS0_4arch9wavefront6targetE0EEEvT1_,"axG",@progbits,_ZN7rocprim17ROCPRIM_400000_NS6detail17trampoline_kernelINS0_14default_configENS1_29reduce_by_key_config_selectorIffN6thrust23THRUST_200600_302600_NS4plusIfEEEEZZNS1_33reduce_by_key_impl_wrapped_configILNS1_25lookback_scan_determinismE0ES3_S9_NS6_6detail15normal_iteratorINS6_10device_ptrIfEEEESG_SG_SG_PmS8_22is_equal_div_10_reduceIfEEE10hipError_tPvRmT2_T3_mT4_T5_T6_T7_T8_P12ihipStream_tbENKUlT_T0_E_clISt17integral_constantIbLb1EES11_EEDaSW_SX_EUlSW_E_NS1_11comp_targetILNS1_3genE2ELNS1_11target_archE906ELNS1_3gpuE6ELNS1_3repE0EEENS1_30default_config_static_selectorELNS0_4arch9wavefront6targetE0EEEvT1_,comdat
	.protected	_ZN7rocprim17ROCPRIM_400000_NS6detail17trampoline_kernelINS0_14default_configENS1_29reduce_by_key_config_selectorIffN6thrust23THRUST_200600_302600_NS4plusIfEEEEZZNS1_33reduce_by_key_impl_wrapped_configILNS1_25lookback_scan_determinismE0ES3_S9_NS6_6detail15normal_iteratorINS6_10device_ptrIfEEEESG_SG_SG_PmS8_22is_equal_div_10_reduceIfEEE10hipError_tPvRmT2_T3_mT4_T5_T6_T7_T8_P12ihipStream_tbENKUlT_T0_E_clISt17integral_constantIbLb1EES11_EEDaSW_SX_EUlSW_E_NS1_11comp_targetILNS1_3genE2ELNS1_11target_archE906ELNS1_3gpuE6ELNS1_3repE0EEENS1_30default_config_static_selectorELNS0_4arch9wavefront6targetE0EEEvT1_ ; -- Begin function _ZN7rocprim17ROCPRIM_400000_NS6detail17trampoline_kernelINS0_14default_configENS1_29reduce_by_key_config_selectorIffN6thrust23THRUST_200600_302600_NS4plusIfEEEEZZNS1_33reduce_by_key_impl_wrapped_configILNS1_25lookback_scan_determinismE0ES3_S9_NS6_6detail15normal_iteratorINS6_10device_ptrIfEEEESG_SG_SG_PmS8_22is_equal_div_10_reduceIfEEE10hipError_tPvRmT2_T3_mT4_T5_T6_T7_T8_P12ihipStream_tbENKUlT_T0_E_clISt17integral_constantIbLb1EES11_EEDaSW_SX_EUlSW_E_NS1_11comp_targetILNS1_3genE2ELNS1_11target_archE906ELNS1_3gpuE6ELNS1_3repE0EEENS1_30default_config_static_selectorELNS0_4arch9wavefront6targetE0EEEvT1_
	.globl	_ZN7rocprim17ROCPRIM_400000_NS6detail17trampoline_kernelINS0_14default_configENS1_29reduce_by_key_config_selectorIffN6thrust23THRUST_200600_302600_NS4plusIfEEEEZZNS1_33reduce_by_key_impl_wrapped_configILNS1_25lookback_scan_determinismE0ES3_S9_NS6_6detail15normal_iteratorINS6_10device_ptrIfEEEESG_SG_SG_PmS8_22is_equal_div_10_reduceIfEEE10hipError_tPvRmT2_T3_mT4_T5_T6_T7_T8_P12ihipStream_tbENKUlT_T0_E_clISt17integral_constantIbLb1EES11_EEDaSW_SX_EUlSW_E_NS1_11comp_targetILNS1_3genE2ELNS1_11target_archE906ELNS1_3gpuE6ELNS1_3repE0EEENS1_30default_config_static_selectorELNS0_4arch9wavefront6targetE0EEEvT1_
	.p2align	8
	.type	_ZN7rocprim17ROCPRIM_400000_NS6detail17trampoline_kernelINS0_14default_configENS1_29reduce_by_key_config_selectorIffN6thrust23THRUST_200600_302600_NS4plusIfEEEEZZNS1_33reduce_by_key_impl_wrapped_configILNS1_25lookback_scan_determinismE0ES3_S9_NS6_6detail15normal_iteratorINS6_10device_ptrIfEEEESG_SG_SG_PmS8_22is_equal_div_10_reduceIfEEE10hipError_tPvRmT2_T3_mT4_T5_T6_T7_T8_P12ihipStream_tbENKUlT_T0_E_clISt17integral_constantIbLb1EES11_EEDaSW_SX_EUlSW_E_NS1_11comp_targetILNS1_3genE2ELNS1_11target_archE906ELNS1_3gpuE6ELNS1_3repE0EEENS1_30default_config_static_selectorELNS0_4arch9wavefront6targetE0EEEvT1_,@function
_ZN7rocprim17ROCPRIM_400000_NS6detail17trampoline_kernelINS0_14default_configENS1_29reduce_by_key_config_selectorIffN6thrust23THRUST_200600_302600_NS4plusIfEEEEZZNS1_33reduce_by_key_impl_wrapped_configILNS1_25lookback_scan_determinismE0ES3_S9_NS6_6detail15normal_iteratorINS6_10device_ptrIfEEEESG_SG_SG_PmS8_22is_equal_div_10_reduceIfEEE10hipError_tPvRmT2_T3_mT4_T5_T6_T7_T8_P12ihipStream_tbENKUlT_T0_E_clISt17integral_constantIbLb1EES11_EEDaSW_SX_EUlSW_E_NS1_11comp_targetILNS1_3genE2ELNS1_11target_archE906ELNS1_3gpuE6ELNS1_3repE0EEENS1_30default_config_static_selectorELNS0_4arch9wavefront6targetE0EEEvT1_: ; @_ZN7rocprim17ROCPRIM_400000_NS6detail17trampoline_kernelINS0_14default_configENS1_29reduce_by_key_config_selectorIffN6thrust23THRUST_200600_302600_NS4plusIfEEEEZZNS1_33reduce_by_key_impl_wrapped_configILNS1_25lookback_scan_determinismE0ES3_S9_NS6_6detail15normal_iteratorINS6_10device_ptrIfEEEESG_SG_SG_PmS8_22is_equal_div_10_reduceIfEEE10hipError_tPvRmT2_T3_mT4_T5_T6_T7_T8_P12ihipStream_tbENKUlT_T0_E_clISt17integral_constantIbLb1EES11_EEDaSW_SX_EUlSW_E_NS1_11comp_targetILNS1_3genE2ELNS1_11target_archE906ELNS1_3gpuE6ELNS1_3repE0EEENS1_30default_config_static_selectorELNS0_4arch9wavefront6targetE0EEEvT1_
; %bb.0:
	.section	.rodata,"a",@progbits
	.p2align	6, 0x0
	.amdhsa_kernel _ZN7rocprim17ROCPRIM_400000_NS6detail17trampoline_kernelINS0_14default_configENS1_29reduce_by_key_config_selectorIffN6thrust23THRUST_200600_302600_NS4plusIfEEEEZZNS1_33reduce_by_key_impl_wrapped_configILNS1_25lookback_scan_determinismE0ES3_S9_NS6_6detail15normal_iteratorINS6_10device_ptrIfEEEESG_SG_SG_PmS8_22is_equal_div_10_reduceIfEEE10hipError_tPvRmT2_T3_mT4_T5_T6_T7_T8_P12ihipStream_tbENKUlT_T0_E_clISt17integral_constantIbLb1EES11_EEDaSW_SX_EUlSW_E_NS1_11comp_targetILNS1_3genE2ELNS1_11target_archE906ELNS1_3gpuE6ELNS1_3repE0EEENS1_30default_config_static_selectorELNS0_4arch9wavefront6targetE0EEEvT1_
		.amdhsa_group_segment_fixed_size 0
		.amdhsa_private_segment_fixed_size 0
		.amdhsa_kernarg_size 120
		.amdhsa_user_sgpr_count 15
		.amdhsa_user_sgpr_dispatch_ptr 0
		.amdhsa_user_sgpr_queue_ptr 0
		.amdhsa_user_sgpr_kernarg_segment_ptr 1
		.amdhsa_user_sgpr_dispatch_id 0
		.amdhsa_user_sgpr_private_segment_size 0
		.amdhsa_wavefront_size32 1
		.amdhsa_uses_dynamic_stack 0
		.amdhsa_enable_private_segment 0
		.amdhsa_system_sgpr_workgroup_id_x 1
		.amdhsa_system_sgpr_workgroup_id_y 0
		.amdhsa_system_sgpr_workgroup_id_z 0
		.amdhsa_system_sgpr_workgroup_info 0
		.amdhsa_system_vgpr_workitem_id 0
		.amdhsa_next_free_vgpr 1
		.amdhsa_next_free_sgpr 1
		.amdhsa_reserve_vcc 0
		.amdhsa_float_round_mode_32 0
		.amdhsa_float_round_mode_16_64 0
		.amdhsa_float_denorm_mode_32 3
		.amdhsa_float_denorm_mode_16_64 3
		.amdhsa_dx10_clamp 1
		.amdhsa_ieee_mode 1
		.amdhsa_fp16_overflow 0
		.amdhsa_workgroup_processor_mode 1
		.amdhsa_memory_ordered 1
		.amdhsa_forward_progress 0
		.amdhsa_shared_vgpr_count 0
		.amdhsa_exception_fp_ieee_invalid_op 0
		.amdhsa_exception_fp_denorm_src 0
		.amdhsa_exception_fp_ieee_div_zero 0
		.amdhsa_exception_fp_ieee_overflow 0
		.amdhsa_exception_fp_ieee_underflow 0
		.amdhsa_exception_fp_ieee_inexact 0
		.amdhsa_exception_int_div_zero 0
	.end_amdhsa_kernel
	.section	.text._ZN7rocprim17ROCPRIM_400000_NS6detail17trampoline_kernelINS0_14default_configENS1_29reduce_by_key_config_selectorIffN6thrust23THRUST_200600_302600_NS4plusIfEEEEZZNS1_33reduce_by_key_impl_wrapped_configILNS1_25lookback_scan_determinismE0ES3_S9_NS6_6detail15normal_iteratorINS6_10device_ptrIfEEEESG_SG_SG_PmS8_22is_equal_div_10_reduceIfEEE10hipError_tPvRmT2_T3_mT4_T5_T6_T7_T8_P12ihipStream_tbENKUlT_T0_E_clISt17integral_constantIbLb1EES11_EEDaSW_SX_EUlSW_E_NS1_11comp_targetILNS1_3genE2ELNS1_11target_archE906ELNS1_3gpuE6ELNS1_3repE0EEENS1_30default_config_static_selectorELNS0_4arch9wavefront6targetE0EEEvT1_,"axG",@progbits,_ZN7rocprim17ROCPRIM_400000_NS6detail17trampoline_kernelINS0_14default_configENS1_29reduce_by_key_config_selectorIffN6thrust23THRUST_200600_302600_NS4plusIfEEEEZZNS1_33reduce_by_key_impl_wrapped_configILNS1_25lookback_scan_determinismE0ES3_S9_NS6_6detail15normal_iteratorINS6_10device_ptrIfEEEESG_SG_SG_PmS8_22is_equal_div_10_reduceIfEEE10hipError_tPvRmT2_T3_mT4_T5_T6_T7_T8_P12ihipStream_tbENKUlT_T0_E_clISt17integral_constantIbLb1EES11_EEDaSW_SX_EUlSW_E_NS1_11comp_targetILNS1_3genE2ELNS1_11target_archE906ELNS1_3gpuE6ELNS1_3repE0EEENS1_30default_config_static_selectorELNS0_4arch9wavefront6targetE0EEEvT1_,comdat
.Lfunc_end213:
	.size	_ZN7rocprim17ROCPRIM_400000_NS6detail17trampoline_kernelINS0_14default_configENS1_29reduce_by_key_config_selectorIffN6thrust23THRUST_200600_302600_NS4plusIfEEEEZZNS1_33reduce_by_key_impl_wrapped_configILNS1_25lookback_scan_determinismE0ES3_S9_NS6_6detail15normal_iteratorINS6_10device_ptrIfEEEESG_SG_SG_PmS8_22is_equal_div_10_reduceIfEEE10hipError_tPvRmT2_T3_mT4_T5_T6_T7_T8_P12ihipStream_tbENKUlT_T0_E_clISt17integral_constantIbLb1EES11_EEDaSW_SX_EUlSW_E_NS1_11comp_targetILNS1_3genE2ELNS1_11target_archE906ELNS1_3gpuE6ELNS1_3repE0EEENS1_30default_config_static_selectorELNS0_4arch9wavefront6targetE0EEEvT1_, .Lfunc_end213-_ZN7rocprim17ROCPRIM_400000_NS6detail17trampoline_kernelINS0_14default_configENS1_29reduce_by_key_config_selectorIffN6thrust23THRUST_200600_302600_NS4plusIfEEEEZZNS1_33reduce_by_key_impl_wrapped_configILNS1_25lookback_scan_determinismE0ES3_S9_NS6_6detail15normal_iteratorINS6_10device_ptrIfEEEESG_SG_SG_PmS8_22is_equal_div_10_reduceIfEEE10hipError_tPvRmT2_T3_mT4_T5_T6_T7_T8_P12ihipStream_tbENKUlT_T0_E_clISt17integral_constantIbLb1EES11_EEDaSW_SX_EUlSW_E_NS1_11comp_targetILNS1_3genE2ELNS1_11target_archE906ELNS1_3gpuE6ELNS1_3repE0EEENS1_30default_config_static_selectorELNS0_4arch9wavefront6targetE0EEEvT1_
                                        ; -- End function
	.section	.AMDGPU.csdata,"",@progbits
; Kernel info:
; codeLenInByte = 0
; NumSgprs: 0
; NumVgprs: 0
; ScratchSize: 0
; MemoryBound: 0
; FloatMode: 240
; IeeeMode: 1
; LDSByteSize: 0 bytes/workgroup (compile time only)
; SGPRBlocks: 0
; VGPRBlocks: 0
; NumSGPRsForWavesPerEU: 1
; NumVGPRsForWavesPerEU: 1
; Occupancy: 16
; WaveLimiterHint : 0
; COMPUTE_PGM_RSRC2:SCRATCH_EN: 0
; COMPUTE_PGM_RSRC2:USER_SGPR: 15
; COMPUTE_PGM_RSRC2:TRAP_HANDLER: 0
; COMPUTE_PGM_RSRC2:TGID_X_EN: 1
; COMPUTE_PGM_RSRC2:TGID_Y_EN: 0
; COMPUTE_PGM_RSRC2:TGID_Z_EN: 0
; COMPUTE_PGM_RSRC2:TIDIG_COMP_CNT: 0
	.section	.text._ZN7rocprim17ROCPRIM_400000_NS6detail17trampoline_kernelINS0_14default_configENS1_29reduce_by_key_config_selectorIffN6thrust23THRUST_200600_302600_NS4plusIfEEEEZZNS1_33reduce_by_key_impl_wrapped_configILNS1_25lookback_scan_determinismE0ES3_S9_NS6_6detail15normal_iteratorINS6_10device_ptrIfEEEESG_SG_SG_PmS8_22is_equal_div_10_reduceIfEEE10hipError_tPvRmT2_T3_mT4_T5_T6_T7_T8_P12ihipStream_tbENKUlT_T0_E_clISt17integral_constantIbLb1EES11_EEDaSW_SX_EUlSW_E_NS1_11comp_targetILNS1_3genE10ELNS1_11target_archE1201ELNS1_3gpuE5ELNS1_3repE0EEENS1_30default_config_static_selectorELNS0_4arch9wavefront6targetE0EEEvT1_,"axG",@progbits,_ZN7rocprim17ROCPRIM_400000_NS6detail17trampoline_kernelINS0_14default_configENS1_29reduce_by_key_config_selectorIffN6thrust23THRUST_200600_302600_NS4plusIfEEEEZZNS1_33reduce_by_key_impl_wrapped_configILNS1_25lookback_scan_determinismE0ES3_S9_NS6_6detail15normal_iteratorINS6_10device_ptrIfEEEESG_SG_SG_PmS8_22is_equal_div_10_reduceIfEEE10hipError_tPvRmT2_T3_mT4_T5_T6_T7_T8_P12ihipStream_tbENKUlT_T0_E_clISt17integral_constantIbLb1EES11_EEDaSW_SX_EUlSW_E_NS1_11comp_targetILNS1_3genE10ELNS1_11target_archE1201ELNS1_3gpuE5ELNS1_3repE0EEENS1_30default_config_static_selectorELNS0_4arch9wavefront6targetE0EEEvT1_,comdat
	.protected	_ZN7rocprim17ROCPRIM_400000_NS6detail17trampoline_kernelINS0_14default_configENS1_29reduce_by_key_config_selectorIffN6thrust23THRUST_200600_302600_NS4plusIfEEEEZZNS1_33reduce_by_key_impl_wrapped_configILNS1_25lookback_scan_determinismE0ES3_S9_NS6_6detail15normal_iteratorINS6_10device_ptrIfEEEESG_SG_SG_PmS8_22is_equal_div_10_reduceIfEEE10hipError_tPvRmT2_T3_mT4_T5_T6_T7_T8_P12ihipStream_tbENKUlT_T0_E_clISt17integral_constantIbLb1EES11_EEDaSW_SX_EUlSW_E_NS1_11comp_targetILNS1_3genE10ELNS1_11target_archE1201ELNS1_3gpuE5ELNS1_3repE0EEENS1_30default_config_static_selectorELNS0_4arch9wavefront6targetE0EEEvT1_ ; -- Begin function _ZN7rocprim17ROCPRIM_400000_NS6detail17trampoline_kernelINS0_14default_configENS1_29reduce_by_key_config_selectorIffN6thrust23THRUST_200600_302600_NS4plusIfEEEEZZNS1_33reduce_by_key_impl_wrapped_configILNS1_25lookback_scan_determinismE0ES3_S9_NS6_6detail15normal_iteratorINS6_10device_ptrIfEEEESG_SG_SG_PmS8_22is_equal_div_10_reduceIfEEE10hipError_tPvRmT2_T3_mT4_T5_T6_T7_T8_P12ihipStream_tbENKUlT_T0_E_clISt17integral_constantIbLb1EES11_EEDaSW_SX_EUlSW_E_NS1_11comp_targetILNS1_3genE10ELNS1_11target_archE1201ELNS1_3gpuE5ELNS1_3repE0EEENS1_30default_config_static_selectorELNS0_4arch9wavefront6targetE0EEEvT1_
	.globl	_ZN7rocprim17ROCPRIM_400000_NS6detail17trampoline_kernelINS0_14default_configENS1_29reduce_by_key_config_selectorIffN6thrust23THRUST_200600_302600_NS4plusIfEEEEZZNS1_33reduce_by_key_impl_wrapped_configILNS1_25lookback_scan_determinismE0ES3_S9_NS6_6detail15normal_iteratorINS6_10device_ptrIfEEEESG_SG_SG_PmS8_22is_equal_div_10_reduceIfEEE10hipError_tPvRmT2_T3_mT4_T5_T6_T7_T8_P12ihipStream_tbENKUlT_T0_E_clISt17integral_constantIbLb1EES11_EEDaSW_SX_EUlSW_E_NS1_11comp_targetILNS1_3genE10ELNS1_11target_archE1201ELNS1_3gpuE5ELNS1_3repE0EEENS1_30default_config_static_selectorELNS0_4arch9wavefront6targetE0EEEvT1_
	.p2align	8
	.type	_ZN7rocprim17ROCPRIM_400000_NS6detail17trampoline_kernelINS0_14default_configENS1_29reduce_by_key_config_selectorIffN6thrust23THRUST_200600_302600_NS4plusIfEEEEZZNS1_33reduce_by_key_impl_wrapped_configILNS1_25lookback_scan_determinismE0ES3_S9_NS6_6detail15normal_iteratorINS6_10device_ptrIfEEEESG_SG_SG_PmS8_22is_equal_div_10_reduceIfEEE10hipError_tPvRmT2_T3_mT4_T5_T6_T7_T8_P12ihipStream_tbENKUlT_T0_E_clISt17integral_constantIbLb1EES11_EEDaSW_SX_EUlSW_E_NS1_11comp_targetILNS1_3genE10ELNS1_11target_archE1201ELNS1_3gpuE5ELNS1_3repE0EEENS1_30default_config_static_selectorELNS0_4arch9wavefront6targetE0EEEvT1_,@function
_ZN7rocprim17ROCPRIM_400000_NS6detail17trampoline_kernelINS0_14default_configENS1_29reduce_by_key_config_selectorIffN6thrust23THRUST_200600_302600_NS4plusIfEEEEZZNS1_33reduce_by_key_impl_wrapped_configILNS1_25lookback_scan_determinismE0ES3_S9_NS6_6detail15normal_iteratorINS6_10device_ptrIfEEEESG_SG_SG_PmS8_22is_equal_div_10_reduceIfEEE10hipError_tPvRmT2_T3_mT4_T5_T6_T7_T8_P12ihipStream_tbENKUlT_T0_E_clISt17integral_constantIbLb1EES11_EEDaSW_SX_EUlSW_E_NS1_11comp_targetILNS1_3genE10ELNS1_11target_archE1201ELNS1_3gpuE5ELNS1_3repE0EEENS1_30default_config_static_selectorELNS0_4arch9wavefront6targetE0EEEvT1_: ; @_ZN7rocprim17ROCPRIM_400000_NS6detail17trampoline_kernelINS0_14default_configENS1_29reduce_by_key_config_selectorIffN6thrust23THRUST_200600_302600_NS4plusIfEEEEZZNS1_33reduce_by_key_impl_wrapped_configILNS1_25lookback_scan_determinismE0ES3_S9_NS6_6detail15normal_iteratorINS6_10device_ptrIfEEEESG_SG_SG_PmS8_22is_equal_div_10_reduceIfEEE10hipError_tPvRmT2_T3_mT4_T5_T6_T7_T8_P12ihipStream_tbENKUlT_T0_E_clISt17integral_constantIbLb1EES11_EEDaSW_SX_EUlSW_E_NS1_11comp_targetILNS1_3genE10ELNS1_11target_archE1201ELNS1_3gpuE5ELNS1_3repE0EEENS1_30default_config_static_selectorELNS0_4arch9wavefront6targetE0EEEvT1_
; %bb.0:
	.section	.rodata,"a",@progbits
	.p2align	6, 0x0
	.amdhsa_kernel _ZN7rocprim17ROCPRIM_400000_NS6detail17trampoline_kernelINS0_14default_configENS1_29reduce_by_key_config_selectorIffN6thrust23THRUST_200600_302600_NS4plusIfEEEEZZNS1_33reduce_by_key_impl_wrapped_configILNS1_25lookback_scan_determinismE0ES3_S9_NS6_6detail15normal_iteratorINS6_10device_ptrIfEEEESG_SG_SG_PmS8_22is_equal_div_10_reduceIfEEE10hipError_tPvRmT2_T3_mT4_T5_T6_T7_T8_P12ihipStream_tbENKUlT_T0_E_clISt17integral_constantIbLb1EES11_EEDaSW_SX_EUlSW_E_NS1_11comp_targetILNS1_3genE10ELNS1_11target_archE1201ELNS1_3gpuE5ELNS1_3repE0EEENS1_30default_config_static_selectorELNS0_4arch9wavefront6targetE0EEEvT1_
		.amdhsa_group_segment_fixed_size 0
		.amdhsa_private_segment_fixed_size 0
		.amdhsa_kernarg_size 120
		.amdhsa_user_sgpr_count 15
		.amdhsa_user_sgpr_dispatch_ptr 0
		.amdhsa_user_sgpr_queue_ptr 0
		.amdhsa_user_sgpr_kernarg_segment_ptr 1
		.amdhsa_user_sgpr_dispatch_id 0
		.amdhsa_user_sgpr_private_segment_size 0
		.amdhsa_wavefront_size32 1
		.amdhsa_uses_dynamic_stack 0
		.amdhsa_enable_private_segment 0
		.amdhsa_system_sgpr_workgroup_id_x 1
		.amdhsa_system_sgpr_workgroup_id_y 0
		.amdhsa_system_sgpr_workgroup_id_z 0
		.amdhsa_system_sgpr_workgroup_info 0
		.amdhsa_system_vgpr_workitem_id 0
		.amdhsa_next_free_vgpr 1
		.amdhsa_next_free_sgpr 1
		.amdhsa_reserve_vcc 0
		.amdhsa_float_round_mode_32 0
		.amdhsa_float_round_mode_16_64 0
		.amdhsa_float_denorm_mode_32 3
		.amdhsa_float_denorm_mode_16_64 3
		.amdhsa_dx10_clamp 1
		.amdhsa_ieee_mode 1
		.amdhsa_fp16_overflow 0
		.amdhsa_workgroup_processor_mode 1
		.amdhsa_memory_ordered 1
		.amdhsa_forward_progress 0
		.amdhsa_shared_vgpr_count 0
		.amdhsa_exception_fp_ieee_invalid_op 0
		.amdhsa_exception_fp_denorm_src 0
		.amdhsa_exception_fp_ieee_div_zero 0
		.amdhsa_exception_fp_ieee_overflow 0
		.amdhsa_exception_fp_ieee_underflow 0
		.amdhsa_exception_fp_ieee_inexact 0
		.amdhsa_exception_int_div_zero 0
	.end_amdhsa_kernel
	.section	.text._ZN7rocprim17ROCPRIM_400000_NS6detail17trampoline_kernelINS0_14default_configENS1_29reduce_by_key_config_selectorIffN6thrust23THRUST_200600_302600_NS4plusIfEEEEZZNS1_33reduce_by_key_impl_wrapped_configILNS1_25lookback_scan_determinismE0ES3_S9_NS6_6detail15normal_iteratorINS6_10device_ptrIfEEEESG_SG_SG_PmS8_22is_equal_div_10_reduceIfEEE10hipError_tPvRmT2_T3_mT4_T5_T6_T7_T8_P12ihipStream_tbENKUlT_T0_E_clISt17integral_constantIbLb1EES11_EEDaSW_SX_EUlSW_E_NS1_11comp_targetILNS1_3genE10ELNS1_11target_archE1201ELNS1_3gpuE5ELNS1_3repE0EEENS1_30default_config_static_selectorELNS0_4arch9wavefront6targetE0EEEvT1_,"axG",@progbits,_ZN7rocprim17ROCPRIM_400000_NS6detail17trampoline_kernelINS0_14default_configENS1_29reduce_by_key_config_selectorIffN6thrust23THRUST_200600_302600_NS4plusIfEEEEZZNS1_33reduce_by_key_impl_wrapped_configILNS1_25lookback_scan_determinismE0ES3_S9_NS6_6detail15normal_iteratorINS6_10device_ptrIfEEEESG_SG_SG_PmS8_22is_equal_div_10_reduceIfEEE10hipError_tPvRmT2_T3_mT4_T5_T6_T7_T8_P12ihipStream_tbENKUlT_T0_E_clISt17integral_constantIbLb1EES11_EEDaSW_SX_EUlSW_E_NS1_11comp_targetILNS1_3genE10ELNS1_11target_archE1201ELNS1_3gpuE5ELNS1_3repE0EEENS1_30default_config_static_selectorELNS0_4arch9wavefront6targetE0EEEvT1_,comdat
.Lfunc_end214:
	.size	_ZN7rocprim17ROCPRIM_400000_NS6detail17trampoline_kernelINS0_14default_configENS1_29reduce_by_key_config_selectorIffN6thrust23THRUST_200600_302600_NS4plusIfEEEEZZNS1_33reduce_by_key_impl_wrapped_configILNS1_25lookback_scan_determinismE0ES3_S9_NS6_6detail15normal_iteratorINS6_10device_ptrIfEEEESG_SG_SG_PmS8_22is_equal_div_10_reduceIfEEE10hipError_tPvRmT2_T3_mT4_T5_T6_T7_T8_P12ihipStream_tbENKUlT_T0_E_clISt17integral_constantIbLb1EES11_EEDaSW_SX_EUlSW_E_NS1_11comp_targetILNS1_3genE10ELNS1_11target_archE1201ELNS1_3gpuE5ELNS1_3repE0EEENS1_30default_config_static_selectorELNS0_4arch9wavefront6targetE0EEEvT1_, .Lfunc_end214-_ZN7rocprim17ROCPRIM_400000_NS6detail17trampoline_kernelINS0_14default_configENS1_29reduce_by_key_config_selectorIffN6thrust23THRUST_200600_302600_NS4plusIfEEEEZZNS1_33reduce_by_key_impl_wrapped_configILNS1_25lookback_scan_determinismE0ES3_S9_NS6_6detail15normal_iteratorINS6_10device_ptrIfEEEESG_SG_SG_PmS8_22is_equal_div_10_reduceIfEEE10hipError_tPvRmT2_T3_mT4_T5_T6_T7_T8_P12ihipStream_tbENKUlT_T0_E_clISt17integral_constantIbLb1EES11_EEDaSW_SX_EUlSW_E_NS1_11comp_targetILNS1_3genE10ELNS1_11target_archE1201ELNS1_3gpuE5ELNS1_3repE0EEENS1_30default_config_static_selectorELNS0_4arch9wavefront6targetE0EEEvT1_
                                        ; -- End function
	.section	.AMDGPU.csdata,"",@progbits
; Kernel info:
; codeLenInByte = 0
; NumSgprs: 0
; NumVgprs: 0
; ScratchSize: 0
; MemoryBound: 0
; FloatMode: 240
; IeeeMode: 1
; LDSByteSize: 0 bytes/workgroup (compile time only)
; SGPRBlocks: 0
; VGPRBlocks: 0
; NumSGPRsForWavesPerEU: 1
; NumVGPRsForWavesPerEU: 1
; Occupancy: 16
; WaveLimiterHint : 0
; COMPUTE_PGM_RSRC2:SCRATCH_EN: 0
; COMPUTE_PGM_RSRC2:USER_SGPR: 15
; COMPUTE_PGM_RSRC2:TRAP_HANDLER: 0
; COMPUTE_PGM_RSRC2:TGID_X_EN: 1
; COMPUTE_PGM_RSRC2:TGID_Y_EN: 0
; COMPUTE_PGM_RSRC2:TGID_Z_EN: 0
; COMPUTE_PGM_RSRC2:TIDIG_COMP_CNT: 0
	.section	.text._ZN7rocprim17ROCPRIM_400000_NS6detail17trampoline_kernelINS0_14default_configENS1_29reduce_by_key_config_selectorIffN6thrust23THRUST_200600_302600_NS4plusIfEEEEZZNS1_33reduce_by_key_impl_wrapped_configILNS1_25lookback_scan_determinismE0ES3_S9_NS6_6detail15normal_iteratorINS6_10device_ptrIfEEEESG_SG_SG_PmS8_22is_equal_div_10_reduceIfEEE10hipError_tPvRmT2_T3_mT4_T5_T6_T7_T8_P12ihipStream_tbENKUlT_T0_E_clISt17integral_constantIbLb1EES11_EEDaSW_SX_EUlSW_E_NS1_11comp_targetILNS1_3genE10ELNS1_11target_archE1200ELNS1_3gpuE4ELNS1_3repE0EEENS1_30default_config_static_selectorELNS0_4arch9wavefront6targetE0EEEvT1_,"axG",@progbits,_ZN7rocprim17ROCPRIM_400000_NS6detail17trampoline_kernelINS0_14default_configENS1_29reduce_by_key_config_selectorIffN6thrust23THRUST_200600_302600_NS4plusIfEEEEZZNS1_33reduce_by_key_impl_wrapped_configILNS1_25lookback_scan_determinismE0ES3_S9_NS6_6detail15normal_iteratorINS6_10device_ptrIfEEEESG_SG_SG_PmS8_22is_equal_div_10_reduceIfEEE10hipError_tPvRmT2_T3_mT4_T5_T6_T7_T8_P12ihipStream_tbENKUlT_T0_E_clISt17integral_constantIbLb1EES11_EEDaSW_SX_EUlSW_E_NS1_11comp_targetILNS1_3genE10ELNS1_11target_archE1200ELNS1_3gpuE4ELNS1_3repE0EEENS1_30default_config_static_selectorELNS0_4arch9wavefront6targetE0EEEvT1_,comdat
	.protected	_ZN7rocprim17ROCPRIM_400000_NS6detail17trampoline_kernelINS0_14default_configENS1_29reduce_by_key_config_selectorIffN6thrust23THRUST_200600_302600_NS4plusIfEEEEZZNS1_33reduce_by_key_impl_wrapped_configILNS1_25lookback_scan_determinismE0ES3_S9_NS6_6detail15normal_iteratorINS6_10device_ptrIfEEEESG_SG_SG_PmS8_22is_equal_div_10_reduceIfEEE10hipError_tPvRmT2_T3_mT4_T5_T6_T7_T8_P12ihipStream_tbENKUlT_T0_E_clISt17integral_constantIbLb1EES11_EEDaSW_SX_EUlSW_E_NS1_11comp_targetILNS1_3genE10ELNS1_11target_archE1200ELNS1_3gpuE4ELNS1_3repE0EEENS1_30default_config_static_selectorELNS0_4arch9wavefront6targetE0EEEvT1_ ; -- Begin function _ZN7rocprim17ROCPRIM_400000_NS6detail17trampoline_kernelINS0_14default_configENS1_29reduce_by_key_config_selectorIffN6thrust23THRUST_200600_302600_NS4plusIfEEEEZZNS1_33reduce_by_key_impl_wrapped_configILNS1_25lookback_scan_determinismE0ES3_S9_NS6_6detail15normal_iteratorINS6_10device_ptrIfEEEESG_SG_SG_PmS8_22is_equal_div_10_reduceIfEEE10hipError_tPvRmT2_T3_mT4_T5_T6_T7_T8_P12ihipStream_tbENKUlT_T0_E_clISt17integral_constantIbLb1EES11_EEDaSW_SX_EUlSW_E_NS1_11comp_targetILNS1_3genE10ELNS1_11target_archE1200ELNS1_3gpuE4ELNS1_3repE0EEENS1_30default_config_static_selectorELNS0_4arch9wavefront6targetE0EEEvT1_
	.globl	_ZN7rocprim17ROCPRIM_400000_NS6detail17trampoline_kernelINS0_14default_configENS1_29reduce_by_key_config_selectorIffN6thrust23THRUST_200600_302600_NS4plusIfEEEEZZNS1_33reduce_by_key_impl_wrapped_configILNS1_25lookback_scan_determinismE0ES3_S9_NS6_6detail15normal_iteratorINS6_10device_ptrIfEEEESG_SG_SG_PmS8_22is_equal_div_10_reduceIfEEE10hipError_tPvRmT2_T3_mT4_T5_T6_T7_T8_P12ihipStream_tbENKUlT_T0_E_clISt17integral_constantIbLb1EES11_EEDaSW_SX_EUlSW_E_NS1_11comp_targetILNS1_3genE10ELNS1_11target_archE1200ELNS1_3gpuE4ELNS1_3repE0EEENS1_30default_config_static_selectorELNS0_4arch9wavefront6targetE0EEEvT1_
	.p2align	8
	.type	_ZN7rocprim17ROCPRIM_400000_NS6detail17trampoline_kernelINS0_14default_configENS1_29reduce_by_key_config_selectorIffN6thrust23THRUST_200600_302600_NS4plusIfEEEEZZNS1_33reduce_by_key_impl_wrapped_configILNS1_25lookback_scan_determinismE0ES3_S9_NS6_6detail15normal_iteratorINS6_10device_ptrIfEEEESG_SG_SG_PmS8_22is_equal_div_10_reduceIfEEE10hipError_tPvRmT2_T3_mT4_T5_T6_T7_T8_P12ihipStream_tbENKUlT_T0_E_clISt17integral_constantIbLb1EES11_EEDaSW_SX_EUlSW_E_NS1_11comp_targetILNS1_3genE10ELNS1_11target_archE1200ELNS1_3gpuE4ELNS1_3repE0EEENS1_30default_config_static_selectorELNS0_4arch9wavefront6targetE0EEEvT1_,@function
_ZN7rocprim17ROCPRIM_400000_NS6detail17trampoline_kernelINS0_14default_configENS1_29reduce_by_key_config_selectorIffN6thrust23THRUST_200600_302600_NS4plusIfEEEEZZNS1_33reduce_by_key_impl_wrapped_configILNS1_25lookback_scan_determinismE0ES3_S9_NS6_6detail15normal_iteratorINS6_10device_ptrIfEEEESG_SG_SG_PmS8_22is_equal_div_10_reduceIfEEE10hipError_tPvRmT2_T3_mT4_T5_T6_T7_T8_P12ihipStream_tbENKUlT_T0_E_clISt17integral_constantIbLb1EES11_EEDaSW_SX_EUlSW_E_NS1_11comp_targetILNS1_3genE10ELNS1_11target_archE1200ELNS1_3gpuE4ELNS1_3repE0EEENS1_30default_config_static_selectorELNS0_4arch9wavefront6targetE0EEEvT1_: ; @_ZN7rocprim17ROCPRIM_400000_NS6detail17trampoline_kernelINS0_14default_configENS1_29reduce_by_key_config_selectorIffN6thrust23THRUST_200600_302600_NS4plusIfEEEEZZNS1_33reduce_by_key_impl_wrapped_configILNS1_25lookback_scan_determinismE0ES3_S9_NS6_6detail15normal_iteratorINS6_10device_ptrIfEEEESG_SG_SG_PmS8_22is_equal_div_10_reduceIfEEE10hipError_tPvRmT2_T3_mT4_T5_T6_T7_T8_P12ihipStream_tbENKUlT_T0_E_clISt17integral_constantIbLb1EES11_EEDaSW_SX_EUlSW_E_NS1_11comp_targetILNS1_3genE10ELNS1_11target_archE1200ELNS1_3gpuE4ELNS1_3repE0EEENS1_30default_config_static_selectorELNS0_4arch9wavefront6targetE0EEEvT1_
; %bb.0:
	.section	.rodata,"a",@progbits
	.p2align	6, 0x0
	.amdhsa_kernel _ZN7rocprim17ROCPRIM_400000_NS6detail17trampoline_kernelINS0_14default_configENS1_29reduce_by_key_config_selectorIffN6thrust23THRUST_200600_302600_NS4plusIfEEEEZZNS1_33reduce_by_key_impl_wrapped_configILNS1_25lookback_scan_determinismE0ES3_S9_NS6_6detail15normal_iteratorINS6_10device_ptrIfEEEESG_SG_SG_PmS8_22is_equal_div_10_reduceIfEEE10hipError_tPvRmT2_T3_mT4_T5_T6_T7_T8_P12ihipStream_tbENKUlT_T0_E_clISt17integral_constantIbLb1EES11_EEDaSW_SX_EUlSW_E_NS1_11comp_targetILNS1_3genE10ELNS1_11target_archE1200ELNS1_3gpuE4ELNS1_3repE0EEENS1_30default_config_static_selectorELNS0_4arch9wavefront6targetE0EEEvT1_
		.amdhsa_group_segment_fixed_size 0
		.amdhsa_private_segment_fixed_size 0
		.amdhsa_kernarg_size 120
		.amdhsa_user_sgpr_count 15
		.amdhsa_user_sgpr_dispatch_ptr 0
		.amdhsa_user_sgpr_queue_ptr 0
		.amdhsa_user_sgpr_kernarg_segment_ptr 1
		.amdhsa_user_sgpr_dispatch_id 0
		.amdhsa_user_sgpr_private_segment_size 0
		.amdhsa_wavefront_size32 1
		.amdhsa_uses_dynamic_stack 0
		.amdhsa_enable_private_segment 0
		.amdhsa_system_sgpr_workgroup_id_x 1
		.amdhsa_system_sgpr_workgroup_id_y 0
		.amdhsa_system_sgpr_workgroup_id_z 0
		.amdhsa_system_sgpr_workgroup_info 0
		.amdhsa_system_vgpr_workitem_id 0
		.amdhsa_next_free_vgpr 1
		.amdhsa_next_free_sgpr 1
		.amdhsa_reserve_vcc 0
		.amdhsa_float_round_mode_32 0
		.amdhsa_float_round_mode_16_64 0
		.amdhsa_float_denorm_mode_32 3
		.amdhsa_float_denorm_mode_16_64 3
		.amdhsa_dx10_clamp 1
		.amdhsa_ieee_mode 1
		.amdhsa_fp16_overflow 0
		.amdhsa_workgroup_processor_mode 1
		.amdhsa_memory_ordered 1
		.amdhsa_forward_progress 0
		.amdhsa_shared_vgpr_count 0
		.amdhsa_exception_fp_ieee_invalid_op 0
		.amdhsa_exception_fp_denorm_src 0
		.amdhsa_exception_fp_ieee_div_zero 0
		.amdhsa_exception_fp_ieee_overflow 0
		.amdhsa_exception_fp_ieee_underflow 0
		.amdhsa_exception_fp_ieee_inexact 0
		.amdhsa_exception_int_div_zero 0
	.end_amdhsa_kernel
	.section	.text._ZN7rocprim17ROCPRIM_400000_NS6detail17trampoline_kernelINS0_14default_configENS1_29reduce_by_key_config_selectorIffN6thrust23THRUST_200600_302600_NS4plusIfEEEEZZNS1_33reduce_by_key_impl_wrapped_configILNS1_25lookback_scan_determinismE0ES3_S9_NS6_6detail15normal_iteratorINS6_10device_ptrIfEEEESG_SG_SG_PmS8_22is_equal_div_10_reduceIfEEE10hipError_tPvRmT2_T3_mT4_T5_T6_T7_T8_P12ihipStream_tbENKUlT_T0_E_clISt17integral_constantIbLb1EES11_EEDaSW_SX_EUlSW_E_NS1_11comp_targetILNS1_3genE10ELNS1_11target_archE1200ELNS1_3gpuE4ELNS1_3repE0EEENS1_30default_config_static_selectorELNS0_4arch9wavefront6targetE0EEEvT1_,"axG",@progbits,_ZN7rocprim17ROCPRIM_400000_NS6detail17trampoline_kernelINS0_14default_configENS1_29reduce_by_key_config_selectorIffN6thrust23THRUST_200600_302600_NS4plusIfEEEEZZNS1_33reduce_by_key_impl_wrapped_configILNS1_25lookback_scan_determinismE0ES3_S9_NS6_6detail15normal_iteratorINS6_10device_ptrIfEEEESG_SG_SG_PmS8_22is_equal_div_10_reduceIfEEE10hipError_tPvRmT2_T3_mT4_T5_T6_T7_T8_P12ihipStream_tbENKUlT_T0_E_clISt17integral_constantIbLb1EES11_EEDaSW_SX_EUlSW_E_NS1_11comp_targetILNS1_3genE10ELNS1_11target_archE1200ELNS1_3gpuE4ELNS1_3repE0EEENS1_30default_config_static_selectorELNS0_4arch9wavefront6targetE0EEEvT1_,comdat
.Lfunc_end215:
	.size	_ZN7rocprim17ROCPRIM_400000_NS6detail17trampoline_kernelINS0_14default_configENS1_29reduce_by_key_config_selectorIffN6thrust23THRUST_200600_302600_NS4plusIfEEEEZZNS1_33reduce_by_key_impl_wrapped_configILNS1_25lookback_scan_determinismE0ES3_S9_NS6_6detail15normal_iteratorINS6_10device_ptrIfEEEESG_SG_SG_PmS8_22is_equal_div_10_reduceIfEEE10hipError_tPvRmT2_T3_mT4_T5_T6_T7_T8_P12ihipStream_tbENKUlT_T0_E_clISt17integral_constantIbLb1EES11_EEDaSW_SX_EUlSW_E_NS1_11comp_targetILNS1_3genE10ELNS1_11target_archE1200ELNS1_3gpuE4ELNS1_3repE0EEENS1_30default_config_static_selectorELNS0_4arch9wavefront6targetE0EEEvT1_, .Lfunc_end215-_ZN7rocprim17ROCPRIM_400000_NS6detail17trampoline_kernelINS0_14default_configENS1_29reduce_by_key_config_selectorIffN6thrust23THRUST_200600_302600_NS4plusIfEEEEZZNS1_33reduce_by_key_impl_wrapped_configILNS1_25lookback_scan_determinismE0ES3_S9_NS6_6detail15normal_iteratorINS6_10device_ptrIfEEEESG_SG_SG_PmS8_22is_equal_div_10_reduceIfEEE10hipError_tPvRmT2_T3_mT4_T5_T6_T7_T8_P12ihipStream_tbENKUlT_T0_E_clISt17integral_constantIbLb1EES11_EEDaSW_SX_EUlSW_E_NS1_11comp_targetILNS1_3genE10ELNS1_11target_archE1200ELNS1_3gpuE4ELNS1_3repE0EEENS1_30default_config_static_selectorELNS0_4arch9wavefront6targetE0EEEvT1_
                                        ; -- End function
	.section	.AMDGPU.csdata,"",@progbits
; Kernel info:
; codeLenInByte = 0
; NumSgprs: 0
; NumVgprs: 0
; ScratchSize: 0
; MemoryBound: 0
; FloatMode: 240
; IeeeMode: 1
; LDSByteSize: 0 bytes/workgroup (compile time only)
; SGPRBlocks: 0
; VGPRBlocks: 0
; NumSGPRsForWavesPerEU: 1
; NumVGPRsForWavesPerEU: 1
; Occupancy: 16
; WaveLimiterHint : 0
; COMPUTE_PGM_RSRC2:SCRATCH_EN: 0
; COMPUTE_PGM_RSRC2:USER_SGPR: 15
; COMPUTE_PGM_RSRC2:TRAP_HANDLER: 0
; COMPUTE_PGM_RSRC2:TGID_X_EN: 1
; COMPUTE_PGM_RSRC2:TGID_Y_EN: 0
; COMPUTE_PGM_RSRC2:TGID_Z_EN: 0
; COMPUTE_PGM_RSRC2:TIDIG_COMP_CNT: 0
	.section	.text._ZN7rocprim17ROCPRIM_400000_NS6detail17trampoline_kernelINS0_14default_configENS1_29reduce_by_key_config_selectorIffN6thrust23THRUST_200600_302600_NS4plusIfEEEEZZNS1_33reduce_by_key_impl_wrapped_configILNS1_25lookback_scan_determinismE0ES3_S9_NS6_6detail15normal_iteratorINS6_10device_ptrIfEEEESG_SG_SG_PmS8_22is_equal_div_10_reduceIfEEE10hipError_tPvRmT2_T3_mT4_T5_T6_T7_T8_P12ihipStream_tbENKUlT_T0_E_clISt17integral_constantIbLb1EES11_EEDaSW_SX_EUlSW_E_NS1_11comp_targetILNS1_3genE9ELNS1_11target_archE1100ELNS1_3gpuE3ELNS1_3repE0EEENS1_30default_config_static_selectorELNS0_4arch9wavefront6targetE0EEEvT1_,"axG",@progbits,_ZN7rocprim17ROCPRIM_400000_NS6detail17trampoline_kernelINS0_14default_configENS1_29reduce_by_key_config_selectorIffN6thrust23THRUST_200600_302600_NS4plusIfEEEEZZNS1_33reduce_by_key_impl_wrapped_configILNS1_25lookback_scan_determinismE0ES3_S9_NS6_6detail15normal_iteratorINS6_10device_ptrIfEEEESG_SG_SG_PmS8_22is_equal_div_10_reduceIfEEE10hipError_tPvRmT2_T3_mT4_T5_T6_T7_T8_P12ihipStream_tbENKUlT_T0_E_clISt17integral_constantIbLb1EES11_EEDaSW_SX_EUlSW_E_NS1_11comp_targetILNS1_3genE9ELNS1_11target_archE1100ELNS1_3gpuE3ELNS1_3repE0EEENS1_30default_config_static_selectorELNS0_4arch9wavefront6targetE0EEEvT1_,comdat
	.protected	_ZN7rocprim17ROCPRIM_400000_NS6detail17trampoline_kernelINS0_14default_configENS1_29reduce_by_key_config_selectorIffN6thrust23THRUST_200600_302600_NS4plusIfEEEEZZNS1_33reduce_by_key_impl_wrapped_configILNS1_25lookback_scan_determinismE0ES3_S9_NS6_6detail15normal_iteratorINS6_10device_ptrIfEEEESG_SG_SG_PmS8_22is_equal_div_10_reduceIfEEE10hipError_tPvRmT2_T3_mT4_T5_T6_T7_T8_P12ihipStream_tbENKUlT_T0_E_clISt17integral_constantIbLb1EES11_EEDaSW_SX_EUlSW_E_NS1_11comp_targetILNS1_3genE9ELNS1_11target_archE1100ELNS1_3gpuE3ELNS1_3repE0EEENS1_30default_config_static_selectorELNS0_4arch9wavefront6targetE0EEEvT1_ ; -- Begin function _ZN7rocprim17ROCPRIM_400000_NS6detail17trampoline_kernelINS0_14default_configENS1_29reduce_by_key_config_selectorIffN6thrust23THRUST_200600_302600_NS4plusIfEEEEZZNS1_33reduce_by_key_impl_wrapped_configILNS1_25lookback_scan_determinismE0ES3_S9_NS6_6detail15normal_iteratorINS6_10device_ptrIfEEEESG_SG_SG_PmS8_22is_equal_div_10_reduceIfEEE10hipError_tPvRmT2_T3_mT4_T5_T6_T7_T8_P12ihipStream_tbENKUlT_T0_E_clISt17integral_constantIbLb1EES11_EEDaSW_SX_EUlSW_E_NS1_11comp_targetILNS1_3genE9ELNS1_11target_archE1100ELNS1_3gpuE3ELNS1_3repE0EEENS1_30default_config_static_selectorELNS0_4arch9wavefront6targetE0EEEvT1_
	.globl	_ZN7rocprim17ROCPRIM_400000_NS6detail17trampoline_kernelINS0_14default_configENS1_29reduce_by_key_config_selectorIffN6thrust23THRUST_200600_302600_NS4plusIfEEEEZZNS1_33reduce_by_key_impl_wrapped_configILNS1_25lookback_scan_determinismE0ES3_S9_NS6_6detail15normal_iteratorINS6_10device_ptrIfEEEESG_SG_SG_PmS8_22is_equal_div_10_reduceIfEEE10hipError_tPvRmT2_T3_mT4_T5_T6_T7_T8_P12ihipStream_tbENKUlT_T0_E_clISt17integral_constantIbLb1EES11_EEDaSW_SX_EUlSW_E_NS1_11comp_targetILNS1_3genE9ELNS1_11target_archE1100ELNS1_3gpuE3ELNS1_3repE0EEENS1_30default_config_static_selectorELNS0_4arch9wavefront6targetE0EEEvT1_
	.p2align	8
	.type	_ZN7rocprim17ROCPRIM_400000_NS6detail17trampoline_kernelINS0_14default_configENS1_29reduce_by_key_config_selectorIffN6thrust23THRUST_200600_302600_NS4plusIfEEEEZZNS1_33reduce_by_key_impl_wrapped_configILNS1_25lookback_scan_determinismE0ES3_S9_NS6_6detail15normal_iteratorINS6_10device_ptrIfEEEESG_SG_SG_PmS8_22is_equal_div_10_reduceIfEEE10hipError_tPvRmT2_T3_mT4_T5_T6_T7_T8_P12ihipStream_tbENKUlT_T0_E_clISt17integral_constantIbLb1EES11_EEDaSW_SX_EUlSW_E_NS1_11comp_targetILNS1_3genE9ELNS1_11target_archE1100ELNS1_3gpuE3ELNS1_3repE0EEENS1_30default_config_static_selectorELNS0_4arch9wavefront6targetE0EEEvT1_,@function
_ZN7rocprim17ROCPRIM_400000_NS6detail17trampoline_kernelINS0_14default_configENS1_29reduce_by_key_config_selectorIffN6thrust23THRUST_200600_302600_NS4plusIfEEEEZZNS1_33reduce_by_key_impl_wrapped_configILNS1_25lookback_scan_determinismE0ES3_S9_NS6_6detail15normal_iteratorINS6_10device_ptrIfEEEESG_SG_SG_PmS8_22is_equal_div_10_reduceIfEEE10hipError_tPvRmT2_T3_mT4_T5_T6_T7_T8_P12ihipStream_tbENKUlT_T0_E_clISt17integral_constantIbLb1EES11_EEDaSW_SX_EUlSW_E_NS1_11comp_targetILNS1_3genE9ELNS1_11target_archE1100ELNS1_3gpuE3ELNS1_3repE0EEENS1_30default_config_static_selectorELNS0_4arch9wavefront6targetE0EEEvT1_: ; @_ZN7rocprim17ROCPRIM_400000_NS6detail17trampoline_kernelINS0_14default_configENS1_29reduce_by_key_config_selectorIffN6thrust23THRUST_200600_302600_NS4plusIfEEEEZZNS1_33reduce_by_key_impl_wrapped_configILNS1_25lookback_scan_determinismE0ES3_S9_NS6_6detail15normal_iteratorINS6_10device_ptrIfEEEESG_SG_SG_PmS8_22is_equal_div_10_reduceIfEEE10hipError_tPvRmT2_T3_mT4_T5_T6_T7_T8_P12ihipStream_tbENKUlT_T0_E_clISt17integral_constantIbLb1EES11_EEDaSW_SX_EUlSW_E_NS1_11comp_targetILNS1_3genE9ELNS1_11target_archE1100ELNS1_3gpuE3ELNS1_3repE0EEENS1_30default_config_static_selectorELNS0_4arch9wavefront6targetE0EEEvT1_
; %bb.0:
	s_clause 0x4
	s_load_b256 s[12:19], s[0:1], 0x0
	s_load_b128 s[28:31], s[0:1], 0x20
	s_load_b256 s[20:27], s[0:1], 0x38
	s_load_b64 s[34:35], s[0:1], 0x68
	s_load_b128 s[36:39], s[0:1], 0x58
	v_cmp_ne_u32_e64 s3, 0, v0
	v_cmp_eq_u32_e64 s2, 0, v0
	s_delay_alu instid0(VALU_DEP_1)
	s_and_saveexec_b32 s4, s2
	s_cbranch_execz .LBB216_4
; %bb.1:
	s_mov_b32 s6, exec_lo
	s_mov_b32 s5, exec_lo
	v_mbcnt_lo_u32_b32 v1, s6, 0
                                        ; implicit-def: $vgpr2
	s_delay_alu instid0(VALU_DEP_1)
	v_cmpx_eq_u32_e32 0, v1
	s_cbranch_execz .LBB216_3
; %bb.2:
	s_load_b64 s[0:1], s[0:1], 0x70
	s_bcnt1_i32_b32 s6, s6
	s_delay_alu instid0(SALU_CYCLE_1)
	v_dual_mov_b32 v2, 0 :: v_dual_mov_b32 v3, s6
	s_waitcnt lgkmcnt(0)
	global_atomic_add_u32 v2, v2, v3, s[0:1] glc
.LBB216_3:
	s_or_b32 exec_lo, exec_lo, s5
	s_waitcnt vmcnt(0)
	v_readfirstlane_b32 s0, v2
	s_delay_alu instid0(VALU_DEP_1)
	v_dual_mov_b32 v2, 0 :: v_dual_add_nc_u32 v1, s0, v1
	ds_store_b32 v2, v1
.LBB216_4:
	s_or_b32 exec_lo, exec_lo, s4
	v_mov_b32_e32 v2, 0
	s_waitcnt lgkmcnt(0)
	s_barrier
	buffer_gl0_inv
	s_lshl_b64 s[4:5], s[14:15], 2
	ds_load_b32 v1, v2
	s_add_u32 s9, s12, s4
	s_mul_i32 s1, s24, s23
	s_mul_hi_u32 s6, s24, s22
	s_addc_u32 s10, s13, s5
	s_add_u32 s11, s16, s4
	s_mul_i32 s7, s25, s22
	s_addc_u32 s12, s17, s5
	s_add_i32 s1, s6, s1
	s_mul_i32 s8, s24, s22
	s_add_i32 s1, s1, s7
	s_mov_b32 s0, 0
	s_waitcnt lgkmcnt(0)
	s_barrier
	buffer_gl0_inv
	v_readfirstlane_b32 s33, v1
	v_mul_lo_u32 v1, 0xf00, v1
	s_delay_alu instid0(VALU_DEP_2) | instskip(SKIP_3) | instid1(VALU_DEP_1)
	s_add_u32 s24, s8, s33
	s_addc_u32 s25, s1, 0
	s_add_u32 s4, s26, -1
	s_addc_u32 s5, s27, -1
	v_lshlrev_b64 v[3:4], 2, v[1:2]
	s_cmp_eq_u64 s[24:25], s[4:5]
	s_mul_i32 s26, s4, 0xfffff100
	s_cselect_b32 s17, -1, 0
	s_cmp_lg_u64 s[24:25], s[4:5]
	s_delay_alu instid0(VALU_DEP_1)
	v_add_co_u32 v1, vcc_lo, s9, v3
	v_add_co_ci_u32_e32 v2, vcc_lo, s10, v4, vcc_lo
	v_add_co_u32 v3, vcc_lo, s11, v3
	v_add_co_ci_u32_e32 v4, vcc_lo, s12, v4, vcc_lo
	s_cselect_b32 s40, -1, 0
	s_and_b32 vcc_lo, exec_lo, s17
	s_cbranch_vccnz .LBB216_6
; %bb.5:
	v_lshlrev_b32_e32 v29, 2, v0
	s_delay_alu instid0(VALU_DEP_1) | instskip(SKIP_1) | instid1(VALU_DEP_2)
	v_add_co_u32 v5, vcc_lo, v1, v29
	v_add_co_ci_u32_e32 v6, vcc_lo, 0, v2, vcc_lo
	v_add_co_u32 v7, vcc_lo, 0x1000, v5
	s_delay_alu instid0(VALU_DEP_2)
	v_add_co_ci_u32_e32 v8, vcc_lo, 0, v6, vcc_lo
	s_clause 0x7
	flat_load_b32 v9, v[5:6]
	flat_load_b32 v10, v[5:6] offset:1024
	flat_load_b32 v11, v[5:6] offset:2048
	;; [unrolled: 1-line block ×3, first 2 shown]
	flat_load_b32 v13, v[7:8]
	flat_load_b32 v14, v[7:8] offset:1024
	flat_load_b32 v15, v[7:8] offset:2048
	;; [unrolled: 1-line block ×3, first 2 shown]
	v_add_co_u32 v7, vcc_lo, 0x2000, v5
	v_add_co_ci_u32_e32 v8, vcc_lo, 0, v6, vcc_lo
	v_add_co_u32 v5, vcc_lo, 0x3000, v5
	v_add_co_ci_u32_e32 v6, vcc_lo, 0, v6, vcc_lo
	s_clause 0x6
	flat_load_b32 v17, v[7:8]
	flat_load_b32 v18, v[7:8] offset:1024
	flat_load_b32 v19, v[7:8] offset:2048
	;; [unrolled: 1-line block ×3, first 2 shown]
	flat_load_b32 v20, v[5:6]
	flat_load_b32 v21, v[5:6] offset:1024
	flat_load_b32 v22, v[5:6] offset:2048
	v_add_co_u32 v6, vcc_lo, v3, v29
	v_add_co_ci_u32_e32 v7, vcc_lo, 0, v4, vcc_lo
	v_mad_u32_u24 v5, v0, 56, v29
	s_delay_alu instid0(VALU_DEP_3) | instskip(NEXT) | instid1(VALU_DEP_3)
	v_add_co_u32 v23, vcc_lo, 0x1000, v6
	v_add_co_ci_u32_e32 v24, vcc_lo, 0, v7, vcc_lo
	v_add_co_u32 v25, vcc_lo, 0x2000, v6
	v_add_co_ci_u32_e32 v26, vcc_lo, 0, v7, vcc_lo
	;; [unrolled: 2-line block ×3, first 2 shown]
	s_waitcnt vmcnt(13) lgkmcnt(13)
	ds_store_2addr_stride64_b32 v29, v9, v10 offset1:4
	s_waitcnt vmcnt(11) lgkmcnt(12)
	ds_store_2addr_stride64_b32 v29, v11, v12 offset0:8 offset1:12
	s_waitcnt vmcnt(9) lgkmcnt(11)
	ds_store_2addr_stride64_b32 v29, v13, v14 offset0:16 offset1:20
	;; [unrolled: 2-line block ×6, first 2 shown]
	s_waitcnt vmcnt(0) lgkmcnt(7)
	ds_store_b32 v29, v22 offset:14336
	s_waitcnt lgkmcnt(0)
	s_barrier
	buffer_gl0_inv
	ds_load_2addr_b32 v[21:22], v5 offset1:1
	ds_load_2addr_b32 v[19:20], v5 offset0:2 offset1:3
	ds_load_2addr_b32 v[17:18], v5 offset0:4 offset1:5
	;; [unrolled: 1-line block ×6, first 2 shown]
	ds_load_b32 v57, v5 offset:56
	s_waitcnt lgkmcnt(0)
	s_barrier
	buffer_gl0_inv
	s_clause 0xe
	flat_load_b32 v8, v[6:7]
	flat_load_b32 v30, v[6:7] offset:1024
	flat_load_b32 v31, v[6:7] offset:2048
	flat_load_b32 v6, v[6:7] offset:3072
	flat_load_b32 v7, v[23:24]
	flat_load_b32 v32, v[23:24] offset:1024
	flat_load_b32 v33, v[23:24] offset:2048
	flat_load_b32 v23, v[23:24] offset:3072
	;; [unrolled: 4-line block ×3, first 2 shown]
	flat_load_b32 v26, v[27:28]
	flat_load_b32 v36, v[27:28] offset:1024
	flat_load_b32 v27, v[27:28] offset:2048
	s_waitcnt vmcnt(13) lgkmcnt(13)
	ds_store_2addr_stride64_b32 v29, v8, v30 offset1:4
	s_waitcnt vmcnt(11) lgkmcnt(12)
	ds_store_2addr_stride64_b32 v29, v31, v6 offset0:8 offset1:12
	s_waitcnt vmcnt(9) lgkmcnt(11)
	ds_store_2addr_stride64_b32 v29, v7, v32 offset0:16 offset1:20
	;; [unrolled: 2-line block ×6, first 2 shown]
	s_waitcnt vmcnt(0) lgkmcnt(7)
	ds_store_b32 v29, v27 offset:14336
	s_waitcnt lgkmcnt(0)
	s_barrier
	s_and_not1_b32 vcc_lo, exec_lo, s0
	s_add_i32 s26, s26, s36
	s_cbranch_vccz .LBB216_7
	s_branch .LBB216_54
.LBB216_6:
                                        ; implicit-def: $vgpr5
                                        ; implicit-def: $vgpr21
                                        ; implicit-def: $vgpr19
                                        ; implicit-def: $vgpr17
                                        ; implicit-def: $vgpr15
                                        ; implicit-def: $vgpr13
                                        ; implicit-def: $vgpr11
                                        ; implicit-def: $vgpr9
                                        ; implicit-def: $vgpr57
	s_add_i32 s26, s26, s36
.LBB216_7:
	s_delay_alu instid0(SALU_CYCLE_1)
	v_cmp_gt_u32_e32 vcc_lo, s26, v0
                                        ; implicit-def: $vgpr5
	s_and_saveexec_b32 s1, vcc_lo
	s_cbranch_execz .LBB216_9
; %bb.8:
	v_lshlrev_b32_e32 v5, 2, v0
	s_delay_alu instid0(VALU_DEP_1) | instskip(NEXT) | instid1(VALU_DEP_1)
	v_add_co_u32 v5, s0, v1, v5
	v_add_co_ci_u32_e64 v6, s0, 0, v2, s0
	flat_load_b32 v5, v[5:6]
.LBB216_9:
	s_or_b32 exec_lo, exec_lo, s1
	v_or_b32_e32 v6, 0x100, v0
                                        ; implicit-def: $vgpr9
	s_delay_alu instid0(VALU_DEP_1) | instskip(NEXT) | instid1(VALU_DEP_1)
	v_cmp_gt_u32_e64 s0, s26, v6
	s_and_saveexec_b32 s4, s0
	s_cbranch_execz .LBB216_11
; %bb.10:
	v_lshlrev_b32_e32 v6, 2, v0
	s_delay_alu instid0(VALU_DEP_1) | instskip(NEXT) | instid1(VALU_DEP_1)
	v_add_co_u32 v6, s1, v1, v6
	v_add_co_ci_u32_e64 v7, s1, 0, v2, s1
	flat_load_b32 v9, v[6:7] offset:1024
.LBB216_11:
	s_or_b32 exec_lo, exec_lo, s4
	v_or_b32_e32 v6, 0x200, v0
                                        ; implicit-def: $vgpr10
	s_delay_alu instid0(VALU_DEP_1) | instskip(NEXT) | instid1(VALU_DEP_1)
	v_cmp_gt_u32_e64 s1, s26, v6
	s_and_saveexec_b32 s5, s1
	s_cbranch_execz .LBB216_13
; %bb.12:
	v_lshlrev_b32_e32 v6, 2, v0
	s_delay_alu instid0(VALU_DEP_1) | instskip(NEXT) | instid1(VALU_DEP_1)
	v_add_co_u32 v6, s4, v1, v6
	v_add_co_ci_u32_e64 v7, s4, 0, v2, s4
	flat_load_b32 v10, v[6:7] offset:2048
.LBB216_13:
	s_or_b32 exec_lo, exec_lo, s5
	v_or_b32_e32 v6, 0x300, v0
                                        ; implicit-def: $vgpr11
	s_delay_alu instid0(VALU_DEP_1) | instskip(NEXT) | instid1(VALU_DEP_1)
	v_cmp_gt_u32_e64 s4, s26, v6
	s_and_saveexec_b32 s6, s4
	s_cbranch_execz .LBB216_15
; %bb.14:
	v_lshlrev_b32_e32 v6, 2, v0
	s_delay_alu instid0(VALU_DEP_1) | instskip(NEXT) | instid1(VALU_DEP_1)
	v_add_co_u32 v6, s5, v1, v6
	v_add_co_ci_u32_e64 v7, s5, 0, v2, s5
	flat_load_b32 v11, v[6:7] offset:3072
.LBB216_15:
	s_or_b32 exec_lo, exec_lo, s6
	v_or_b32_e32 v6, 0x400, v0
                                        ; implicit-def: $vgpr12
	s_delay_alu instid0(VALU_DEP_1) | instskip(NEXT) | instid1(VALU_DEP_1)
	v_cmp_gt_u32_e64 s5, s26, v6
	s_and_saveexec_b32 s7, s5
	s_cbranch_execz .LBB216_17
; %bb.16:
	v_lshlrev_b32_e32 v7, 2, v6
	s_delay_alu instid0(VALU_DEP_1) | instskip(NEXT) | instid1(VALU_DEP_1)
	v_add_co_u32 v7, s6, v1, v7
	v_add_co_ci_u32_e64 v8, s6, 0, v2, s6
	flat_load_b32 v12, v[7:8]
.LBB216_17:
	s_or_b32 exec_lo, exec_lo, s7
	v_or_b32_e32 v7, 0x500, v0
                                        ; implicit-def: $vgpr13
	s_delay_alu instid0(VALU_DEP_1) | instskip(NEXT) | instid1(VALU_DEP_1)
	v_cmp_gt_u32_e64 s6, s26, v7
	s_and_saveexec_b32 s8, s6
	s_cbranch_execz .LBB216_19
; %bb.18:
	v_lshlrev_b32_e32 v8, 2, v7
	s_delay_alu instid0(VALU_DEP_1) | instskip(NEXT) | instid1(VALU_DEP_1)
	v_add_co_u32 v13, s7, v1, v8
	v_add_co_ci_u32_e64 v14, s7, 0, v2, s7
	flat_load_b32 v13, v[13:14]
.LBB216_19:
	s_or_b32 exec_lo, exec_lo, s8
	v_or_b32_e32 v8, 0x600, v0
                                        ; implicit-def: $vgpr14
	s_delay_alu instid0(VALU_DEP_1) | instskip(NEXT) | instid1(VALU_DEP_1)
	v_cmp_gt_u32_e64 s7, s26, v8
	s_and_saveexec_b32 s9, s7
	s_cbranch_execz .LBB216_21
; %bb.20:
	v_lshlrev_b32_e32 v14, 2, v8
	s_delay_alu instid0(VALU_DEP_1) | instskip(NEXT) | instid1(VALU_DEP_1)
	v_add_co_u32 v14, s8, v1, v14
	v_add_co_ci_u32_e64 v15, s8, 0, v2, s8
	flat_load_b32 v14, v[14:15]
.LBB216_21:
	s_or_b32 exec_lo, exec_lo, s9
	v_or_b32_e32 v23, 0x700, v0
                                        ; implicit-def: $vgpr15
	s_delay_alu instid0(VALU_DEP_1) | instskip(NEXT) | instid1(VALU_DEP_1)
	v_cmp_gt_u32_e64 s8, s26, v23
	s_and_saveexec_b32 s10, s8
	s_cbranch_execz .LBB216_23
; %bb.22:
	v_lshlrev_b32_e32 v15, 2, v23
	s_delay_alu instid0(VALU_DEP_1) | instskip(NEXT) | instid1(VALU_DEP_1)
	v_add_co_u32 v15, s9, v1, v15
	v_add_co_ci_u32_e64 v16, s9, 0, v2, s9
	flat_load_b32 v15, v[15:16]
.LBB216_23:
	s_or_b32 exec_lo, exec_lo, s10
	v_or_b32_e32 v24, 0x800, v0
                                        ; implicit-def: $vgpr16
	s_delay_alu instid0(VALU_DEP_1) | instskip(NEXT) | instid1(VALU_DEP_1)
	v_cmp_gt_u32_e64 s9, s26, v24
	s_and_saveexec_b32 s11, s9
	s_cbranch_execz .LBB216_25
; %bb.24:
	v_lshlrev_b32_e32 v16, 2, v24
	s_delay_alu instid0(VALU_DEP_1) | instskip(NEXT) | instid1(VALU_DEP_1)
	v_add_co_u32 v16, s10, v1, v16
	v_add_co_ci_u32_e64 v17, s10, 0, v2, s10
	flat_load_b32 v16, v[16:17]
.LBB216_25:
	s_or_b32 exec_lo, exec_lo, s11
	v_or_b32_e32 v26, 0x900, v0
                                        ; implicit-def: $vgpr17
	s_delay_alu instid0(VALU_DEP_1) | instskip(NEXT) | instid1(VALU_DEP_1)
	v_cmp_gt_u32_e64 s10, s26, v26
	s_and_saveexec_b32 s12, s10
	s_cbranch_execz .LBB216_27
; %bb.26:
	v_lshlrev_b32_e32 v17, 2, v26
	s_delay_alu instid0(VALU_DEP_1) | instskip(NEXT) | instid1(VALU_DEP_1)
	v_add_co_u32 v17, s11, v1, v17
	v_add_co_ci_u32_e64 v18, s11, 0, v2, s11
	flat_load_b32 v17, v[17:18]
.LBB216_27:
	s_or_b32 exec_lo, exec_lo, s12
	v_or_b32_e32 v27, 0xa00, v0
                                        ; implicit-def: $vgpr18
	s_delay_alu instid0(VALU_DEP_1) | instskip(NEXT) | instid1(VALU_DEP_1)
	v_cmp_gt_u32_e64 s11, s26, v27
	s_and_saveexec_b32 s13, s11
	s_cbranch_execz .LBB216_29
; %bb.28:
	v_lshlrev_b32_e32 v18, 2, v27
	s_delay_alu instid0(VALU_DEP_1) | instskip(NEXT) | instid1(VALU_DEP_1)
	v_add_co_u32 v18, s12, v1, v18
	v_add_co_ci_u32_e64 v19, s12, 0, v2, s12
	flat_load_b32 v18, v[18:19]
.LBB216_29:
	s_or_b32 exec_lo, exec_lo, s13
	v_or_b32_e32 v28, 0xb00, v0
                                        ; implicit-def: $vgpr19
	s_delay_alu instid0(VALU_DEP_1) | instskip(NEXT) | instid1(VALU_DEP_1)
	v_cmp_gt_u32_e64 s12, s26, v28
	s_and_saveexec_b32 s14, s12
	s_cbranch_execz .LBB216_31
; %bb.30:
	v_lshlrev_b32_e32 v19, 2, v28
	s_delay_alu instid0(VALU_DEP_1) | instskip(NEXT) | instid1(VALU_DEP_1)
	v_add_co_u32 v19, s13, v1, v19
	v_add_co_ci_u32_e64 v20, s13, 0, v2, s13
	flat_load_b32 v19, v[19:20]
.LBB216_31:
	s_or_b32 exec_lo, exec_lo, s14
	v_or_b32_e32 v29, 0xc00, v0
                                        ; implicit-def: $vgpr20
	s_delay_alu instid0(VALU_DEP_1) | instskip(NEXT) | instid1(VALU_DEP_1)
	v_cmp_gt_u32_e64 s13, s26, v29
	s_and_saveexec_b32 s15, s13
	s_cbranch_execz .LBB216_33
; %bb.32:
	v_lshlrev_b32_e32 v20, 2, v29
	s_delay_alu instid0(VALU_DEP_1) | instskip(NEXT) | instid1(VALU_DEP_1)
	v_add_co_u32 v20, s14, v1, v20
	v_add_co_ci_u32_e64 v21, s14, 0, v2, s14
	flat_load_b32 v20, v[20:21]
.LBB216_33:
	s_or_b32 exec_lo, exec_lo, s15
	v_or_b32_e32 v30, 0xd00, v0
                                        ; implicit-def: $vgpr21
	s_delay_alu instid0(VALU_DEP_1) | instskip(NEXT) | instid1(VALU_DEP_1)
	v_cmp_gt_u32_e64 s14, s26, v30
	s_and_saveexec_b32 s16, s14
	s_cbranch_execz .LBB216_35
; %bb.34:
	v_lshlrev_b32_e32 v21, 2, v30
	s_delay_alu instid0(VALU_DEP_1) | instskip(NEXT) | instid1(VALU_DEP_1)
	v_add_co_u32 v21, s15, v1, v21
	v_add_co_ci_u32_e64 v22, s15, 0, v2, s15
	flat_load_b32 v21, v[21:22]
.LBB216_35:
	s_or_b32 exec_lo, exec_lo, s16
	v_or_b32_e32 v31, 0xe00, v0
                                        ; implicit-def: $vgpr22
	s_delay_alu instid0(VALU_DEP_1) | instskip(NEXT) | instid1(VALU_DEP_1)
	v_cmp_gt_u32_e64 s15, s26, v31
	s_and_saveexec_b32 s27, s15
	s_cbranch_execz .LBB216_37
; %bb.36:
	v_lshlrev_b32_e32 v22, 2, v31
	s_delay_alu instid0(VALU_DEP_1) | instskip(NEXT) | instid1(VALU_DEP_1)
	v_add_co_u32 v32, s16, v1, v22
	v_add_co_ci_u32_e64 v33, s16, 0, v2, s16
	flat_load_b32 v22, v[32:33]
.LBB216_37:
	s_or_b32 exec_lo, exec_lo, s27
	v_lshlrev_b32_e32 v25, 2, v0
                                        ; implicit-def: $vgpr32
	s_waitcnt vmcnt(0) lgkmcnt(0)
	ds_store_2addr_stride64_b32 v25, v5, v9 offset1:4
	ds_store_2addr_stride64_b32 v25, v10, v11 offset0:8 offset1:12
	ds_store_2addr_stride64_b32 v25, v12, v13 offset0:16 offset1:20
	;; [unrolled: 1-line block ×6, first 2 shown]
	v_mad_u32_u24 v5, v0, 56, v25
	ds_store_b32 v25, v22 offset:14336
	s_waitcnt lgkmcnt(0)
	s_barrier
	buffer_gl0_inv
	ds_load_2addr_b32 v[21:22], v5 offset1:1
	ds_load_2addr_b32 v[19:20], v5 offset0:2 offset1:3
	ds_load_2addr_b32 v[17:18], v5 offset0:4 offset1:5
	ds_load_2addr_b32 v[15:16], v5 offset0:6 offset1:7
	ds_load_2addr_b32 v[13:14], v5 offset0:8 offset1:9
	ds_load_2addr_b32 v[11:12], v5 offset0:10 offset1:11
	ds_load_2addr_b32 v[9:10], v5 offset0:12 offset1:13
	ds_load_b32 v57, v5 offset:56
	s_waitcnt lgkmcnt(0)
	s_barrier
	buffer_gl0_inv
	s_and_saveexec_b32 s16, vcc_lo
	s_cbranch_execnz .LBB216_61
; %bb.38:
	s_or_b32 exec_lo, exec_lo, s16
                                        ; implicit-def: $vgpr33
	s_and_saveexec_b32 s16, s0
	s_cbranch_execnz .LBB216_62
.LBB216_39:
	s_or_b32 exec_lo, exec_lo, s16
                                        ; implicit-def: $vgpr34
	s_and_saveexec_b32 s0, s1
	s_cbranch_execnz .LBB216_63
.LBB216_40:
	s_or_b32 exec_lo, exec_lo, s0
                                        ; implicit-def: $vgpr35
	s_and_saveexec_b32 s0, s4
	s_cbranch_execnz .LBB216_64
.LBB216_41:
	s_or_b32 exec_lo, exec_lo, s0
                                        ; implicit-def: $vgpr36
	s_and_saveexec_b32 s0, s5
	s_cbranch_execnz .LBB216_65
.LBB216_42:
	s_or_b32 exec_lo, exec_lo, s0
                                        ; implicit-def: $vgpr6
	s_and_saveexec_b32 s0, s6
	s_cbranch_execnz .LBB216_66
.LBB216_43:
	s_or_b32 exec_lo, exec_lo, s0
                                        ; implicit-def: $vgpr7
	s_and_saveexec_b32 s0, s7
	s_cbranch_execnz .LBB216_67
.LBB216_44:
	s_or_b32 exec_lo, exec_lo, s0
                                        ; implicit-def: $vgpr8
	s_and_saveexec_b32 s0, s8
	s_cbranch_execnz .LBB216_68
.LBB216_45:
	s_or_b32 exec_lo, exec_lo, s0
                                        ; implicit-def: $vgpr23
	s_and_saveexec_b32 s0, s9
	s_cbranch_execnz .LBB216_69
.LBB216_46:
	s_or_b32 exec_lo, exec_lo, s0
                                        ; implicit-def: $vgpr24
	s_and_saveexec_b32 s0, s10
	s_cbranch_execnz .LBB216_70
.LBB216_47:
	s_or_b32 exec_lo, exec_lo, s0
                                        ; implicit-def: $vgpr26
	s_and_saveexec_b32 s0, s11
	s_cbranch_execnz .LBB216_71
.LBB216_48:
	s_or_b32 exec_lo, exec_lo, s0
                                        ; implicit-def: $vgpr27
	s_and_saveexec_b32 s0, s12
	s_cbranch_execnz .LBB216_72
.LBB216_49:
	s_or_b32 exec_lo, exec_lo, s0
                                        ; implicit-def: $vgpr28
	s_and_saveexec_b32 s0, s13
	s_cbranch_execnz .LBB216_73
.LBB216_50:
	s_or_b32 exec_lo, exec_lo, s0
                                        ; implicit-def: $vgpr29
	s_and_saveexec_b32 s0, s14
	s_cbranch_execnz .LBB216_74
.LBB216_51:
	s_or_b32 exec_lo, exec_lo, s0
                                        ; implicit-def: $vgpr30
	s_and_saveexec_b32 s0, s15
	s_cbranch_execz .LBB216_53
.LBB216_52:
	v_lshlrev_b32_e32 v30, 2, v31
	s_delay_alu instid0(VALU_DEP_1)
	v_add_co_u32 v3, vcc_lo, v3, v30
	v_add_co_ci_u32_e32 v4, vcc_lo, 0, v4, vcc_lo
	flat_load_b32 v30, v[3:4]
.LBB216_53:
	s_or_b32 exec_lo, exec_lo, s0
	s_waitcnt vmcnt(0) lgkmcnt(0)
	ds_store_2addr_stride64_b32 v25, v32, v33 offset1:4
	ds_store_2addr_stride64_b32 v25, v34, v35 offset0:8 offset1:12
	ds_store_2addr_stride64_b32 v25, v36, v6 offset0:16 offset1:20
	;; [unrolled: 1-line block ×6, first 2 shown]
	ds_store_b32 v25, v30 offset:14336
	s_waitcnt lgkmcnt(0)
	s_barrier
.LBB216_54:
	buffer_gl0_inv
	ds_load_2addr_b32 v[47:48], v5 offset1:1
	ds_load_2addr_b32 v[45:46], v5 offset0:2 offset1:3
	ds_load_2addr_b32 v[43:44], v5 offset0:4 offset1:5
	;; [unrolled: 1-line block ×6, first 2 shown]
	ds_load_b32 v59, v5 offset:56
	s_cmp_eq_u64 s[24:25], 0
	s_waitcnt lgkmcnt(0)
	s_cselect_b32 s27, -1, 0
	s_cmp_lg_u64 s[24:25], 0
	s_barrier
	s_cselect_b32 s16, -1, 0
	s_and_b32 vcc_lo, exec_lo, s40
	buffer_gl0_inv
	s_cbranch_vccz .LBB216_60
; %bb.55:
	s_and_b32 vcc_lo, exec_lo, s16
	s_cbranch_vccz .LBB216_75
; %bb.56:
	v_add_co_u32 v3, vcc_lo, -4, v1
	v_add_co_ci_u32_e32 v4, vcc_lo, -1, v2, vcc_lo
	v_cvt_i32_f32_e32 v5, v57
	v_cvt_i32_f32_e32 v6, v9
	;; [unrolled: 1-line block ×3, first 2 shown]
	flat_load_b32 v3, v[3:4]
	v_cvt_i32_f32_e32 v4, v10
	v_mul_hi_i32 v5, 0x66666667, v5
	v_mul_hi_i32 v6, 0x66666667, v6
	;; [unrolled: 1-line block ×3, first 2 shown]
	v_cvt_i32_f32_e32 v25, v11
	v_mul_hi_i32 v4, 0x66666667, v4
	v_cvt_i32_f32_e32 v27, v18
	s_mov_b32 s15, -1
	v_lshrrev_b32_e32 v24, 31, v6
	v_ashrrev_i32_e32 v6, 2, v6
	v_lshrrev_b32_e32 v26, 31, v8
	v_lshrrev_b32_e32 v7, 31, v4
	v_ashrrev_i32_e32 v23, 2, v4
	v_ashrrev_i32_e32 v8, 2, v8
	v_add_nc_u32_e32 v6, v6, v24
	v_cvt_i32_f32_e32 v24, v14
	v_mul_hi_i32 v27, 0x66666667, v27
	v_add_nc_u32_e32 v7, v23, v7
	v_lshrrev_b32_e32 v23, 31, v5
	v_ashrrev_i32_e32 v5, 2, v5
	v_add_nc_u32_e32 v8, v8, v26
	v_lshlrev_b32_e32 v4, 2, v0
	v_cmp_ne_u32_e64 s0, v6, v7
	s_delay_alu instid0(VALU_DEP_4)
	v_add_nc_u32_e32 v5, v5, v23
	v_mul_hi_i32 v23, 0x66666667, v25
	v_cmp_ne_u32_e64 s1, v8, v6
	v_cvt_i32_f32_e32 v6, v16
	v_cvt_i32_f32_e32 v25, v15
	v_cmp_ne_u32_e32 vcc_lo, v7, v5
	v_cvt_i32_f32_e32 v5, v13
	v_mul_hi_i32 v7, 0x66666667, v24
	v_mul_hi_i32 v6, 0x66666667, v6
	v_lshrrev_b32_e32 v24, 31, v23
	v_ashrrev_i32_e32 v23, 2, v23
	v_mul_hi_i32 v5, 0x66666667, v5
	ds_store_b32 v4, v57
	s_waitcnt vmcnt(0) lgkmcnt(0)
	s_barrier
	v_add_nc_u32_e32 v23, v23, v24
	v_mul_hi_i32 v24, 0x66666667, v25
	v_lshrrev_b32_e32 v26, 31, v7
	v_ashrrev_i32_e32 v7, 2, v7
	v_lshrrev_b32_e32 v25, 31, v5
	v_ashrrev_i32_e32 v5, 2, v5
	v_cmp_ne_u32_e64 s5, v23, v8
	v_lshrrev_b32_e32 v8, 31, v27
	v_add_nc_u32_e32 v7, v7, v26
	v_lshrrev_b32_e32 v26, 31, v6
	v_ashrrev_i32_e32 v6, 2, v6
	v_add_nc_u32_e32 v5, v5, v25
	v_lshrrev_b32_e32 v25, 31, v24
	v_ashrrev_i32_e32 v24, 2, v24
	v_cmp_ne_u32_e64 s6, v7, v23
	v_add_nc_u32_e32 v6, v6, v26
	v_cmp_ne_u32_e64 s7, v5, v7
	v_ashrrev_i32_e32 v23, 2, v27
	v_add_nc_u32_e32 v7, v24, v25
	v_cvt_i32_f32_e32 v24, v19
	v_cmp_ne_u32_e64 s4, v6, v5
	v_cvt_i32_f32_e32 v5, v17
	v_add_nc_u32_e32 v8, v23, v8
	v_cmp_ne_u32_e64 s8, v7, v6
	v_cvt_i32_f32_e32 v6, v20
	v_cvt_i32_f32_e32 v23, v22
	;; [unrolled: 1-line block ×3, first 2 shown]
	v_mul_hi_i32 v5, 0x66666667, v5
	v_mul_hi_i32 v24, 0x66666667, v24
	;; [unrolled: 1-line block ×3, first 2 shown]
	v_cmp_ne_u32_e64 s9, v8, v7
	v_mul_hi_i32 v7, 0x66666667, v23
	v_mul_hi_i32 v25, 0x66666667, v25
	buffer_gl0_inv
	v_lshrrev_b32_e32 v23, 31, v5
	v_ashrrev_i32_e32 v5, 2, v5
	v_lshrrev_b32_e32 v26, 31, v6
	v_ashrrev_i32_e32 v6, 2, v6
	;; [unrolled: 2-line block ×5, first 2 shown]
	v_add_nc_u32_e32 v23, v5, v23
	v_add_nc_u32_e32 v6, v6, v26
	;; [unrolled: 1-line block ×5, first 2 shown]
	v_cmp_ne_u32_e64 s14, v23, v8
	v_cmp_ne_u32_e64 s10, v6, v23
	;; [unrolled: 1-line block ×5, first 2 shown]
	s_and_saveexec_b32 s40, s3
	s_cbranch_execz .LBB216_58
; %bb.57:
	v_add_nc_u32_e32 v3, -4, v4
	ds_load_b32 v3, v3
.LBB216_58:
	s_or_b32 exec_lo, exec_lo, s40
	s_waitcnt lgkmcnt(0)
	v_cvt_i32_f32_e32 v3, v3
	v_cndmask_b32_e64 v58, 0, 1, vcc_lo
	v_cndmask_b32_e64 v24, 0, 1, s0
	v_cndmask_b32_e64 v23, 0, 1, s1
	;; [unrolled: 1-line block ×3, first 2 shown]
	v_mul_hi_i32 v3, 0x66666667, v3
	v_cndmask_b32_e64 v25, 0, 1, s6
	v_cndmask_b32_e64 v28, 0, 1, s7
	;; [unrolled: 1-line block ×7, first 2 shown]
	v_lshrrev_b32_e32 v4, 31, v3
	v_ashrrev_i32_e32 v3, 2, v3
	v_cndmask_b32_e64 v36, 0, 1, s11
	v_cndmask_b32_e64 v35, 0, 1, s12
	;; [unrolled: 1-line block ×3, first 2 shown]
	s_delay_alu instid0(VALU_DEP_4) | instskip(NEXT) | instid1(VALU_DEP_1)
	v_add_nc_u32_e32 v3, v3, v4
	v_cmp_ne_u32_e64 s4, v3, v5
.LBB216_59:
                                        ; implicit-def: $sgpr0
	s_branch .LBB216_114
.LBB216_60:
	s_mov_b32 s15, 0
                                        ; implicit-def: $sgpr4
                                        ; implicit-def: $vgpr58
                                        ; implicit-def: $vgpr24
                                        ; implicit-def: $vgpr23
                                        ; implicit-def: $vgpr26
                                        ; implicit-def: $vgpr25
                                        ; implicit-def: $vgpr28
                                        ; implicit-def: $vgpr27
                                        ; implicit-def: $vgpr30
                                        ; implicit-def: $vgpr29
                                        ; implicit-def: $vgpr32
                                        ; implicit-def: $vgpr31
                                        ; implicit-def: $vgpr36
                                        ; implicit-def: $vgpr35
                                        ; implicit-def: $vgpr50
                                        ; implicit-def: $sgpr0
	s_cbranch_execnz .LBB216_79
	s_branch .LBB216_114
.LBB216_61:
	v_add_co_u32 v32, vcc_lo, v3, v25
	v_add_co_ci_u32_e32 v33, vcc_lo, 0, v4, vcc_lo
	flat_load_b32 v32, v[32:33]
	s_or_b32 exec_lo, exec_lo, s16
                                        ; implicit-def: $vgpr33
	s_and_saveexec_b32 s16, s0
	s_cbranch_execz .LBB216_39
.LBB216_62:
	v_add_co_u32 v33, vcc_lo, v3, v25
	v_add_co_ci_u32_e32 v34, vcc_lo, 0, v4, vcc_lo
	flat_load_b32 v33, v[33:34] offset:1024
	s_or_b32 exec_lo, exec_lo, s16
                                        ; implicit-def: $vgpr34
	s_and_saveexec_b32 s0, s1
	s_cbranch_execz .LBB216_40
.LBB216_63:
	v_add_co_u32 v34, vcc_lo, v3, v25
	v_add_co_ci_u32_e32 v35, vcc_lo, 0, v4, vcc_lo
	flat_load_b32 v34, v[34:35] offset:2048
	s_or_b32 exec_lo, exec_lo, s0
                                        ; implicit-def: $vgpr35
	s_and_saveexec_b32 s0, s4
	s_cbranch_execz .LBB216_41
.LBB216_64:
	v_add_co_u32 v35, vcc_lo, v3, v25
	v_add_co_ci_u32_e32 v36, vcc_lo, 0, v4, vcc_lo
	flat_load_b32 v35, v[35:36] offset:3072
	s_or_b32 exec_lo, exec_lo, s0
                                        ; implicit-def: $vgpr36
	s_and_saveexec_b32 s0, s5
	s_cbranch_execz .LBB216_42
.LBB216_65:
	v_lshlrev_b32_e32 v6, 2, v6
	s_delay_alu instid0(VALU_DEP_1)
	v_add_co_u32 v36, vcc_lo, v3, v6
	v_add_co_ci_u32_e32 v37, vcc_lo, 0, v4, vcc_lo
	flat_load_b32 v36, v[36:37]
	s_or_b32 exec_lo, exec_lo, s0
                                        ; implicit-def: $vgpr6
	s_and_saveexec_b32 s0, s6
	s_cbranch_execz .LBB216_43
.LBB216_66:
	v_lshlrev_b32_e32 v6, 2, v7
	s_delay_alu instid0(VALU_DEP_1)
	v_add_co_u32 v6, vcc_lo, v3, v6
	v_add_co_ci_u32_e32 v7, vcc_lo, 0, v4, vcc_lo
	flat_load_b32 v6, v[6:7]
	s_or_b32 exec_lo, exec_lo, s0
                                        ; implicit-def: $vgpr7
	s_and_saveexec_b32 s0, s7
	s_cbranch_execz .LBB216_44
.LBB216_67:
	v_lshlrev_b32_e32 v7, 2, v8
	s_delay_alu instid0(VALU_DEP_1)
	v_add_co_u32 v7, vcc_lo, v3, v7
	v_add_co_ci_u32_e32 v8, vcc_lo, 0, v4, vcc_lo
	flat_load_b32 v7, v[7:8]
	s_or_b32 exec_lo, exec_lo, s0
                                        ; implicit-def: $vgpr8
	s_and_saveexec_b32 s0, s8
	s_cbranch_execz .LBB216_45
.LBB216_68:
	v_lshlrev_b32_e32 v8, 2, v23
	s_delay_alu instid0(VALU_DEP_1)
	v_add_co_u32 v37, vcc_lo, v3, v8
	v_add_co_ci_u32_e32 v38, vcc_lo, 0, v4, vcc_lo
	flat_load_b32 v8, v[37:38]
	s_or_b32 exec_lo, exec_lo, s0
                                        ; implicit-def: $vgpr23
	s_and_saveexec_b32 s0, s9
	s_cbranch_execz .LBB216_46
.LBB216_69:
	v_lshlrev_b32_e32 v23, 2, v24
	s_delay_alu instid0(VALU_DEP_1)
	v_add_co_u32 v23, vcc_lo, v3, v23
	v_add_co_ci_u32_e32 v24, vcc_lo, 0, v4, vcc_lo
	flat_load_b32 v23, v[23:24]
	s_or_b32 exec_lo, exec_lo, s0
                                        ; implicit-def: $vgpr24
	s_and_saveexec_b32 s0, s10
	s_cbranch_execz .LBB216_47
.LBB216_70:
	v_lshlrev_b32_e32 v24, 2, v26
	s_delay_alu instid0(VALU_DEP_1)
	v_add_co_u32 v37, vcc_lo, v3, v24
	v_add_co_ci_u32_e32 v38, vcc_lo, 0, v4, vcc_lo
	flat_load_b32 v24, v[37:38]
	s_or_b32 exec_lo, exec_lo, s0
                                        ; implicit-def: $vgpr26
	s_and_saveexec_b32 s0, s11
	s_cbranch_execz .LBB216_48
.LBB216_71:
	v_lshlrev_b32_e32 v26, 2, v27
	s_delay_alu instid0(VALU_DEP_1)
	v_add_co_u32 v26, vcc_lo, v3, v26
	v_add_co_ci_u32_e32 v27, vcc_lo, 0, v4, vcc_lo
	flat_load_b32 v26, v[26:27]
	s_or_b32 exec_lo, exec_lo, s0
                                        ; implicit-def: $vgpr27
	s_and_saveexec_b32 s0, s12
	s_cbranch_execz .LBB216_49
.LBB216_72:
	v_lshlrev_b32_e32 v27, 2, v28
	s_delay_alu instid0(VALU_DEP_1)
	v_add_co_u32 v27, vcc_lo, v3, v27
	v_add_co_ci_u32_e32 v28, vcc_lo, 0, v4, vcc_lo
	flat_load_b32 v27, v[27:28]
	s_or_b32 exec_lo, exec_lo, s0
                                        ; implicit-def: $vgpr28
	s_and_saveexec_b32 s0, s13
	s_cbranch_execz .LBB216_50
.LBB216_73:
	v_lshlrev_b32_e32 v28, 2, v29
	s_delay_alu instid0(VALU_DEP_1)
	v_add_co_u32 v28, vcc_lo, v3, v28
	v_add_co_ci_u32_e32 v29, vcc_lo, 0, v4, vcc_lo
	flat_load_b32 v28, v[28:29]
	s_or_b32 exec_lo, exec_lo, s0
                                        ; implicit-def: $vgpr29
	s_and_saveexec_b32 s0, s14
	s_cbranch_execz .LBB216_51
.LBB216_74:
	v_lshlrev_b32_e32 v29, 2, v30
	s_delay_alu instid0(VALU_DEP_1)
	v_add_co_u32 v29, vcc_lo, v3, v29
	v_add_co_ci_u32_e32 v30, vcc_lo, 0, v4, vcc_lo
	flat_load_b32 v29, v[29:30]
	s_or_b32 exec_lo, exec_lo, s0
                                        ; implicit-def: $vgpr30
	s_and_saveexec_b32 s0, s15
	s_cbranch_execnz .LBB216_52
	s_branch .LBB216_53
.LBB216_75:
	s_mov_b32 s15, 0
                                        ; implicit-def: $sgpr4
                                        ; implicit-def: $vgpr58
                                        ; implicit-def: $vgpr24
                                        ; implicit-def: $vgpr23
                                        ; implicit-def: $vgpr26
                                        ; implicit-def: $vgpr25
                                        ; implicit-def: $vgpr28
                                        ; implicit-def: $vgpr27
                                        ; implicit-def: $vgpr30
                                        ; implicit-def: $vgpr29
                                        ; implicit-def: $vgpr32
                                        ; implicit-def: $vgpr31
                                        ; implicit-def: $vgpr36
                                        ; implicit-def: $vgpr35
                                        ; implicit-def: $vgpr50
	s_cbranch_execz .LBB216_59
; %bb.76:
	v_cvt_i32_f32_e32 v3, v10
	v_cvt_i32_f32_e32 v4, v57
	;; [unrolled: 1-line block ×5, first 2 shown]
	v_mul_hi_i32 v3, 0x66666667, v3
	v_mul_hi_i32 v4, 0x66666667, v4
	;; [unrolled: 1-line block ×5, first 2 shown]
	v_cvt_i32_f32_e32 v31, v20
	v_cvt_i32_f32_e32 v35, v21
                                        ; implicit-def: $sgpr4
	v_lshrrev_b32_e32 v8, 31, v3
	v_ashrrev_i32_e32 v3, 2, v3
	v_lshrrev_b32_e32 v23, 31, v4
	v_ashrrev_i32_e32 v4, 2, v4
	;; [unrolled: 2-line block ×3, first 2 shown]
	v_add_nc_u32_e32 v8, v3, v8
	v_lshrrev_b32_e32 v25, 31, v6
	v_add_nc_u32_e32 v4, v4, v23
	v_cvt_i32_f32_e32 v23, v14
	v_add_nc_u32_e32 v5, v5, v24
	v_lshlrev_b32_e32 v3, 2, v0
	s_delay_alu instid0(VALU_DEP_4)
	v_cmp_ne_u32_e32 vcc_lo, v8, v4
	v_ashrrev_i32_e32 v4, 2, v6
	v_mul_hi_i32 v23, 0x66666667, v23
	v_lshrrev_b32_e32 v6, 31, v7
	v_ashrrev_i32_e32 v7, 2, v7
	v_cndmask_b32_e64 v58, 0, 1, vcc_lo
	v_cmp_ne_u32_e32 vcc_lo, v5, v8
	v_cvt_i32_f32_e32 v8, v13
	v_add_nc_u32_e32 v4, v4, v25
	v_cvt_i32_f32_e32 v25, v16
	v_add_nc_u32_e32 v6, v7, v6
	v_cndmask_b32_e64 v24, 0, 1, vcc_lo
	v_mul_hi_i32 v8, 0x66666667, v8
	v_lshrrev_b32_e32 v7, 31, v23
	v_ashrrev_i32_e32 v27, 2, v23
	v_cmp_ne_u32_e32 vcc_lo, v4, v5
	v_mul_hi_i32 v25, 0x66666667, v25
	ds_store_b32 v3, v57
	s_waitcnt lgkmcnt(0)
	v_add_nc_u32_e32 v5, v27, v7
	v_cndmask_b32_e64 v23, 0, 1, vcc_lo
	v_cmp_ne_u32_e32 vcc_lo, v6, v4
	v_cvt_i32_f32_e32 v4, v15
	v_lshrrev_b32_e32 v7, 31, v8
	v_ashrrev_i32_e32 v8, 2, v8
	v_lshrrev_b32_e32 v27, 31, v25
	v_cndmask_b32_e64 v26, 0, 1, vcc_lo
	v_mul_hi_i32 v4, 0x66666667, v4
	v_cmp_ne_u32_e32 vcc_lo, v5, v6
	v_cvt_i32_f32_e32 v6, v18
	v_add_nc_u32_e32 v7, v8, v7
	v_cvt_i32_f32_e32 v8, v17
	v_ashrrev_i32_e32 v28, 2, v25
	v_cndmask_b32_e64 v25, 0, 1, vcc_lo
	v_mul_hi_i32 v6, 0x66666667, v6
	v_lshrrev_b32_e32 v30, 31, v4
	v_mul_hi_i32 v8, 0x66666667, v8
	v_add_nc_u32_e32 v29, v28, v27
	v_ashrrev_i32_e32 v4, 2, v4
	v_cmp_ne_u32_e32 vcc_lo, v7, v5
	s_barrier
	buffer_gl0_inv
	v_lshrrev_b32_e32 v5, 31, v6
	v_add_nc_u32_e32 v4, v4, v30
	v_cndmask_b32_e64 v28, 0, 1, vcc_lo
	v_cmp_ne_u32_e32 vcc_lo, v29, v7
	v_ashrrev_i32_e32 v6, 2, v6
	v_lshrrev_b32_e32 v7, 31, v8
	v_ashrrev_i32_e32 v8, 2, v8
	v_cndmask_b32_e64 v27, 0, 1, vcc_lo
	v_cmp_ne_u32_e32 vcc_lo, v4, v29
	v_cvt_i32_f32_e32 v29, v19
	v_add_nc_u32_e32 v5, v6, v5
	v_add_nc_u32_e32 v6, v8, v7
	v_mul_hi_i32 v7, 0x66666667, v31
	v_cvt_i32_f32_e32 v8, v22
	v_mul_hi_i32 v31, 0x66666667, v29
	v_cndmask_b32_e64 v30, 0, 1, vcc_lo
	v_cmp_ne_u32_e32 vcc_lo, v5, v4
	s_delay_alu instid0(VALU_DEP_4)
	v_mul_hi_i32 v4, 0x66666667, v8
	v_lshrrev_b32_e32 v8, 31, v7
	v_ashrrev_i32_e32 v7, 2, v7
	v_cndmask_b32_e64 v29, 0, 1, vcc_lo
	v_cmp_ne_u32_e32 vcc_lo, v6, v5
	v_mul_hi_i32 v5, 0x66666667, v35
	v_lshrrev_b32_e32 v35, 31, v31
	v_ashrrev_i32_e32 v31, 2, v31
	v_add_nc_u32_e32 v7, v7, v8
	v_cndmask_b32_e64 v32, 0, 1, vcc_lo
	v_lshrrev_b32_e32 v36, 31, v4
	v_ashrrev_i32_e32 v4, 2, v4
	v_add_nc_u32_e32 v35, v31, v35
	v_cmp_ne_u32_e32 vcc_lo, v7, v6
	v_lshrrev_b32_e32 v8, 31, v5
	v_ashrrev_i32_e32 v5, 2, v5
	v_add_nc_u32_e32 v49, v4, v36
	v_cndmask_b32_e64 v31, 0, 1, vcc_lo
	v_cmp_ne_u32_e32 vcc_lo, v35, v7
	s_delay_alu instid0(VALU_DEP_4) | instskip(SKIP_3) | instid1(VALU_DEP_4)
	v_add_nc_u32_e32 v4, v5, v8
	v_cndmask_b32_e64 v36, 0, 1, vcc_lo
	v_cmp_ne_u32_e32 vcc_lo, v49, v35
	v_cndmask_b32_e64 v35, 0, 1, vcc_lo
	v_cmp_ne_u32_e32 vcc_lo, v4, v49
	v_cndmask_b32_e64 v50, 0, 1, vcc_lo
	s_and_saveexec_b32 s0, s3
	s_delay_alu instid0(SALU_CYCLE_1)
	s_xor_b32 s0, exec_lo, s0
	s_cbranch_execz .LBB216_78
; %bb.77:
	v_add_nc_u32_e32 v3, -4, v3
	s_or_b32 s15, s15, exec_lo
	ds_load_b32 v3, v3
	s_waitcnt lgkmcnt(0)
	v_cvt_i32_f32_e32 v3, v3
	s_delay_alu instid0(VALU_DEP_1) | instskip(NEXT) | instid1(VALU_DEP_1)
	v_mul_hi_i32 v3, 0x66666667, v3
	v_lshrrev_b32_e32 v5, 31, v3
	v_ashrrev_i32_e32 v3, 2, v3
	s_delay_alu instid0(VALU_DEP_1) | instskip(NEXT) | instid1(VALU_DEP_1)
	v_add_nc_u32_e32 v3, v3, v5
	v_cmp_ne_u32_e32 vcc_lo, v3, v4
	s_and_b32 s4, vcc_lo, exec_lo
.LBB216_78:
	s_or_b32 exec_lo, exec_lo, s0
	s_mov_b32 s0, 1
	s_branch .LBB216_114
.LBB216_79:
	s_mul_hi_u32 s0, s24, 0xfffff100
	s_mul_i32 s1, s25, 0xfffff100
	s_sub_i32 s0, s0, s24
	s_mul_i32 s4, s24, 0xfffff100
	s_add_i32 s1, s0, s1
	s_add_u32 s0, s4, s36
	s_addc_u32 s1, s1, s37
	s_and_b32 vcc_lo, exec_lo, s16
	s_cbranch_vccz .LBB216_199
; %bb.80:
	v_add_co_u32 v1, vcc_lo, -4, v1
	v_add_co_ci_u32_e32 v2, vcc_lo, -1, v2, vcc_lo
	v_mad_u32_u24 v23, v0, 15, 14
	v_mov_b32_e32 v24, 0
	v_mov_b32_e32 v58, 0
	flat_load_b32 v3, v[1:2]
	v_lshlrev_b32_e32 v2, 2, v0
	v_mul_u32_u24_e32 v1, 15, v0
	s_mov_b32 s4, exec_lo
	ds_store_b32 v2, v57
	v_cmpx_gt_u64_e64 s[0:1], v[23:24]
	s_cbranch_execz .LBB216_82
; %bb.81:
	v_cvt_i32_f32_e32 v4, v10
	v_cvt_i32_f32_e32 v5, v57
	s_delay_alu instid0(VALU_DEP_2) | instskip(NEXT) | instid1(VALU_DEP_2)
	v_mul_hi_i32 v4, 0x66666667, v4
	v_mul_hi_i32 v5, 0x66666667, v5
	s_delay_alu instid0(VALU_DEP_2) | instskip(SKIP_1) | instid1(VALU_DEP_3)
	v_lshrrev_b32_e32 v6, 31, v4
	v_ashrrev_i32_e32 v4, 2, v4
	v_lshrrev_b32_e32 v7, 31, v5
	v_ashrrev_i32_e32 v5, 2, v5
	s_delay_alu instid0(VALU_DEP_3) | instskip(NEXT) | instid1(VALU_DEP_2)
	v_add_nc_u32_e32 v4, v4, v6
	v_add_nc_u32_e32 v5, v5, v7
	s_delay_alu instid0(VALU_DEP_1)
	v_cmp_ne_u32_e32 vcc_lo, v4, v5
	v_cndmask_b32_e64 v58, 0, 1, vcc_lo
.LBB216_82:
	s_or_b32 exec_lo, exec_lo, s4
	v_add_nc_u32_e32 v23, 13, v1
	s_mov_b32 s4, exec_lo
	s_delay_alu instid0(VALU_DEP_1)
	v_cmpx_gt_u64_e64 s[0:1], v[23:24]
	s_cbranch_execz .LBB216_84
; %bb.83:
	v_cvt_i32_f32_e32 v4, v9
	v_cvt_i32_f32_e32 v5, v10
	s_delay_alu instid0(VALU_DEP_2) | instskip(NEXT) | instid1(VALU_DEP_2)
	v_mul_hi_i32 v4, 0x66666667, v4
	v_mul_hi_i32 v5, 0x66666667, v5
	s_delay_alu instid0(VALU_DEP_2) | instskip(SKIP_1) | instid1(VALU_DEP_3)
	v_lshrrev_b32_e32 v6, 31, v4
	v_ashrrev_i32_e32 v4, 2, v4
	v_lshrrev_b32_e32 v7, 31, v5
	v_ashrrev_i32_e32 v5, 2, v5
	s_delay_alu instid0(VALU_DEP_3) | instskip(NEXT) | instid1(VALU_DEP_2)
	v_add_nc_u32_e32 v4, v4, v6
	v_add_nc_u32_e32 v5, v5, v7
	s_delay_alu instid0(VALU_DEP_1)
	v_cmp_ne_u32_e32 vcc_lo, v4, v5
	v_cndmask_b32_e64 v24, 0, 1, vcc_lo
.LBB216_84:
	s_or_b32 exec_lo, exec_lo, s4
	v_dual_mov_b32 v26, 0 :: v_dual_add_nc_u32 v25, 12, v1
	v_mov_b32_e32 v23, 0
	s_mov_b32 s4, exec_lo
	s_delay_alu instid0(VALU_DEP_2)
	v_cmpx_gt_u64_e64 s[0:1], v[25:26]
	s_cbranch_execz .LBB216_86
; %bb.85:
	v_cvt_i32_f32_e32 v4, v12
	v_cvt_i32_f32_e32 v5, v9
	s_delay_alu instid0(VALU_DEP_2) | instskip(NEXT) | instid1(VALU_DEP_2)
	v_mul_hi_i32 v4, 0x66666667, v4
	v_mul_hi_i32 v5, 0x66666667, v5
	s_delay_alu instid0(VALU_DEP_2) | instskip(SKIP_1) | instid1(VALU_DEP_3)
	v_lshrrev_b32_e32 v6, 31, v4
	v_ashrrev_i32_e32 v4, 2, v4
	v_lshrrev_b32_e32 v7, 31, v5
	v_ashrrev_i32_e32 v5, 2, v5
	s_delay_alu instid0(VALU_DEP_3) | instskip(NEXT) | instid1(VALU_DEP_2)
	v_add_nc_u32_e32 v4, v4, v6
	v_add_nc_u32_e32 v5, v5, v7
	s_delay_alu instid0(VALU_DEP_1)
	v_cmp_ne_u32_e32 vcc_lo, v4, v5
	v_cndmask_b32_e64 v23, 0, 1, vcc_lo
.LBB216_86:
	s_or_b32 exec_lo, exec_lo, s4
	v_add_nc_u32_e32 v25, 11, v1
	s_mov_b32 s4, exec_lo
	s_delay_alu instid0(VALU_DEP_1)
	v_cmpx_gt_u64_e64 s[0:1], v[25:26]
	s_cbranch_execz .LBB216_88
; %bb.87:
	v_cvt_i32_f32_e32 v4, v11
	v_cvt_i32_f32_e32 v5, v12
	s_delay_alu instid0(VALU_DEP_2) | instskip(NEXT) | instid1(VALU_DEP_2)
	v_mul_hi_i32 v4, 0x66666667, v4
	v_mul_hi_i32 v5, 0x66666667, v5
	s_delay_alu instid0(VALU_DEP_2) | instskip(SKIP_1) | instid1(VALU_DEP_3)
	v_lshrrev_b32_e32 v6, 31, v4
	v_ashrrev_i32_e32 v4, 2, v4
	v_lshrrev_b32_e32 v7, 31, v5
	v_ashrrev_i32_e32 v5, 2, v5
	s_delay_alu instid0(VALU_DEP_3) | instskip(NEXT) | instid1(VALU_DEP_2)
	v_add_nc_u32_e32 v4, v4, v6
	v_add_nc_u32_e32 v5, v5, v7
	s_delay_alu instid0(VALU_DEP_1)
	v_cmp_ne_u32_e32 vcc_lo, v4, v5
	v_cndmask_b32_e64 v26, 0, 1, vcc_lo
.LBB216_88:
	s_or_b32 exec_lo, exec_lo, s4
	v_dual_mov_b32 v28, 0 :: v_dual_add_nc_u32 v27, 10, v1
	v_mov_b32_e32 v25, 0
	s_mov_b32 s4, exec_lo
	s_delay_alu instid0(VALU_DEP_2)
	;; [unrolled: 49-line block ×6, first 2 shown]
	v_cmpx_gt_u64_e64 s[0:1], v[49:50]
	s_cbranch_execz .LBB216_106
; %bb.105:
	v_cvt_i32_f32_e32 v4, v22
	v_cvt_i32_f32_e32 v5, v19
	s_delay_alu instid0(VALU_DEP_2) | instskip(NEXT) | instid1(VALU_DEP_2)
	v_mul_hi_i32 v4, 0x66666667, v4
	v_mul_hi_i32 v5, 0x66666667, v5
	s_delay_alu instid0(VALU_DEP_2) | instskip(SKIP_1) | instid1(VALU_DEP_3)
	v_lshrrev_b32_e32 v6, 31, v4
	v_ashrrev_i32_e32 v4, 2, v4
	v_lshrrev_b32_e32 v7, 31, v5
	v_ashrrev_i32_e32 v5, 2, v5
	s_delay_alu instid0(VALU_DEP_3) | instskip(NEXT) | instid1(VALU_DEP_2)
	v_add_nc_u32_e32 v4, v4, v6
	v_add_nc_u32_e32 v5, v5, v7
	s_delay_alu instid0(VALU_DEP_1)
	v_cmp_ne_u32_e32 vcc_lo, v4, v5
	v_cndmask_b32_e64 v35, 0, 1, vcc_lo
.LBB216_106:
	s_or_b32 exec_lo, exec_lo, s4
	v_add_nc_u32_e32 v49, 1, v1
	s_mov_b32 s4, exec_lo
	s_delay_alu instid0(VALU_DEP_1)
	v_cmpx_gt_u64_e64 s[0:1], v[49:50]
	s_cbranch_execz .LBB216_108
; %bb.107:
	v_cvt_i32_f32_e32 v4, v21
	v_cvt_i32_f32_e32 v5, v22
	s_delay_alu instid0(VALU_DEP_2) | instskip(NEXT) | instid1(VALU_DEP_2)
	v_mul_hi_i32 v4, 0x66666667, v4
	v_mul_hi_i32 v5, 0x66666667, v5
	s_delay_alu instid0(VALU_DEP_2) | instskip(SKIP_1) | instid1(VALU_DEP_3)
	v_lshrrev_b32_e32 v6, 31, v4
	v_ashrrev_i32_e32 v4, 2, v4
	v_lshrrev_b32_e32 v7, 31, v5
	v_ashrrev_i32_e32 v5, 2, v5
	s_delay_alu instid0(VALU_DEP_3) | instskip(NEXT) | instid1(VALU_DEP_2)
	v_add_nc_u32_e32 v4, v4, v6
	v_add_nc_u32_e32 v5, v5, v7
	s_delay_alu instid0(VALU_DEP_1)
	v_cmp_ne_u32_e32 vcc_lo, v4, v5
	v_cndmask_b32_e64 v50, 0, 1, vcc_lo
.LBB216_108:
	s_or_b32 exec_lo, exec_lo, s4
	s_waitcnt vmcnt(0) lgkmcnt(0)
	s_barrier
	buffer_gl0_inv
	s_and_saveexec_b32 s4, s3
	s_cbranch_execz .LBB216_110
; %bb.109:
	v_add_nc_u32_e32 v2, -4, v2
	ds_load_b32 v3, v2
.LBB216_110:
	s_or_b32 exec_lo, exec_lo, s4
	v_mov_b32_e32 v2, 0
	s_mov_b32 s5, 0
	s_mov_b32 s4, 0
	s_mov_b32 s6, exec_lo
	s_delay_alu instid0(VALU_DEP_1)
	v_cmpx_gt_u64_e64 s[0:1], v[1:2]
	s_cbranch_execz .LBB216_112
; %bb.111:
	s_waitcnt lgkmcnt(0)
	v_cvt_i32_f32_e32 v1, v3
	v_cvt_i32_f32_e32 v2, v21
	s_delay_alu instid0(VALU_DEP_2) | instskip(NEXT) | instid1(VALU_DEP_2)
	v_mul_hi_i32 v1, 0x66666667, v1
	v_mul_hi_i32 v2, 0x66666667, v2
	s_delay_alu instid0(VALU_DEP_2) | instskip(SKIP_1) | instid1(VALU_DEP_3)
	v_lshrrev_b32_e32 v3, 31, v1
	v_ashrrev_i32_e32 v1, 2, v1
	v_lshrrev_b32_e32 v4, 31, v2
	v_ashrrev_i32_e32 v2, 2, v2
	s_delay_alu instid0(VALU_DEP_3) | instskip(NEXT) | instid1(VALU_DEP_2)
	v_add_nc_u32_e32 v1, v1, v3
	v_add_nc_u32_e32 v2, v2, v4
	s_delay_alu instid0(VALU_DEP_1)
	v_cmp_ne_u32_e32 vcc_lo, v1, v2
	s_and_b32 s4, vcc_lo, exec_lo
.LBB216_112:
	s_or_b32 exec_lo, exec_lo, s6
	s_mov_b32 s15, -1
	s_and_b32 vcc_lo, exec_lo, s5
	s_cbranch_vccnz .LBB216_200
.LBB216_113:
                                        ; implicit-def: $sgpr0
.LBB216_114:
	v_mov_b32_e32 v49, s0
	s_and_saveexec_b32 s0, s15
.LBB216_115:
	s_delay_alu instid0(VALU_DEP_2)
	v_cndmask_b32_e64 v49, 0, 1, s4
.LBB216_116:
	s_or_b32 exec_lo, exec_lo, s0
	s_delay_alu instid0(VALU_DEP_1)
	v_add3_u32 v1, v50, v49, v35
	v_add_f32_e32 v74, v47, v48
	v_cmp_eq_u32_e64 s13, 0, v50
	v_cmp_eq_u32_e64 s12, 0, v35
	;; [unrolled: 1-line block ×3, first 2 shown]
	v_add3_u32 v73, v1, v36, v31
	v_cmp_eq_u32_e64 s11, 0, v31
	v_cmp_eq_u32_e64 s9, 0, v32
	;; [unrolled: 1-line block ×10, first 2 shown]
	v_cmp_eq_u32_e32 vcc_lo, 0, v58
	v_mbcnt_lo_u32_b32 v70, -1, 0
	v_lshrrev_b32_e32 v71, 5, v0
	v_or_b32_e32 v72, 31, v0
	s_cmp_eq_u64 s[22:23], 0
	s_cselect_b32 s16, -1, 0
	s_cmp_lg_u32 s33, 0
	s_cbranch_scc0 .LBB216_147
; %bb.117:
	v_add3_u32 v2, v73, v32, v29
	v_cndmask_b32_e64 v1, v48, v74, s13
	s_mov_b32 s15, exec_lo
	v_and_b32_e32 v4, 15, v70
	v_and_b32_e32 v6, 16, v70
	v_add3_u32 v2, v2, v30, v27
	v_add_f32_e32 v1, v45, v1
	s_delay_alu instid0(VALU_DEP_2) | instskip(NEXT) | instid1(VALU_DEP_2)
	v_add3_u32 v2, v2, v28, v25
	v_cndmask_b32_e64 v1, v45, v1, s12
	s_delay_alu instid0(VALU_DEP_2) | instskip(NEXT) | instid1(VALU_DEP_1)
	v_add3_u32 v2, v2, v26, v23
	v_add3_u32 v2, v2, v24, v58
	s_delay_alu instid0(VALU_DEP_3) | instskip(NEXT) | instid1(VALU_DEP_2)
	v_add_f32_e32 v1, v46, v1
	v_mov_b32_dpp v5, v2 row_shr:1 row_mask:0xf bank_mask:0xf
	s_delay_alu instid0(VALU_DEP_2) | instskip(NEXT) | instid1(VALU_DEP_1)
	v_cndmask_b32_e64 v1, v46, v1, s10
	v_add_f32_e32 v1, v43, v1
	s_delay_alu instid0(VALU_DEP_1) | instskip(NEXT) | instid1(VALU_DEP_1)
	v_cndmask_b32_e64 v1, v43, v1, s11
	v_add_f32_e32 v1, v44, v1
	s_delay_alu instid0(VALU_DEP_1) | instskip(NEXT) | instid1(VALU_DEP_1)
	;; [unrolled: 3-line block ×10, first 2 shown]
	v_cndmask_b32_e64 v1, v34, v1, s0
	v_add_f32_e32 v1, v59, v1
	s_delay_alu instid0(VALU_DEP_1) | instskip(SKIP_2) | instid1(VALU_DEP_2)
	v_cndmask_b32_e32 v1, v59, v1, vcc_lo
	v_cmp_eq_u32_e32 vcc_lo, 0, v2
	s_waitcnt lgkmcnt(0)
	v_mov_b32_dpp v3, v1 row_shr:1 row_mask:0xf bank_mask:0xf
	s_delay_alu instid0(VALU_DEP_1) | instskip(NEXT) | instid1(VALU_DEP_1)
	v_add_f32_e32 v3, v1, v3
	v_cndmask_b32_e32 v3, v1, v3, vcc_lo
	v_cmp_eq_u32_e32 vcc_lo, 0, v4
	v_cndmask_b32_e64 v5, v5, 0, vcc_lo
	s_delay_alu instid0(VALU_DEP_1) | instskip(NEXT) | instid1(VALU_DEP_1)
	v_dual_cndmask_b32 v1, v3, v1 :: v_dual_add_nc_u32 v2, v5, v2
	v_mov_b32_dpp v3, v1 row_shr:2 row_mask:0xf bank_mask:0xf
	s_delay_alu instid0(VALU_DEP_2) | instskip(NEXT) | instid1(VALU_DEP_2)
	v_cmp_eq_u32_e32 vcc_lo, 0, v2
	v_add_f32_e32 v3, v1, v3
	v_mov_b32_dpp v5, v2 row_shr:2 row_mask:0xf bank_mask:0xf
	s_delay_alu instid0(VALU_DEP_2) | instskip(SKIP_1) | instid1(VALU_DEP_2)
	v_cndmask_b32_e32 v3, v1, v3, vcc_lo
	v_cmp_lt_u32_e32 vcc_lo, 1, v4
	v_cndmask_b32_e32 v1, v1, v3, vcc_lo
	s_delay_alu instid0(VALU_DEP_4) | instskip(NEXT) | instid1(VALU_DEP_2)
	v_cndmask_b32_e32 v3, 0, v5, vcc_lo
	v_mov_b32_dpp v5, v1 row_shr:4 row_mask:0xf bank_mask:0xf
	s_delay_alu instid0(VALU_DEP_1) | instskip(NEXT) | instid1(VALU_DEP_1)
	v_dual_add_f32 v3, v1, v5 :: v_dual_add_nc_u32 v2, v2, v3
	v_cmp_eq_u32_e32 vcc_lo, 0, v2
	v_mov_b32_dpp v5, v2 row_shr:4 row_mask:0xf bank_mask:0xf
	s_delay_alu instid0(VALU_DEP_3) | instskip(SKIP_1) | instid1(VALU_DEP_2)
	v_cndmask_b32_e32 v3, v1, v3, vcc_lo
	v_cmp_lt_u32_e32 vcc_lo, 3, v4
	v_cndmask_b32_e32 v1, v1, v3, vcc_lo
	s_delay_alu instid0(VALU_DEP_4) | instskip(NEXT) | instid1(VALU_DEP_2)
	v_cndmask_b32_e32 v3, 0, v5, vcc_lo
	v_mov_b32_dpp v5, v1 row_shr:8 row_mask:0xf bank_mask:0xf
	s_delay_alu instid0(VALU_DEP_1) | instskip(NEXT) | instid1(VALU_DEP_1)
	v_dual_add_f32 v2, v1, v5 :: v_dual_add_nc_u32 v3, v3, v2
	v_cmp_eq_u32_e32 vcc_lo, 0, v3
	v_mov_b32_dpp v5, v3 row_shr:8 row_mask:0xf bank_mask:0xf
	s_delay_alu instid0(VALU_DEP_3) | instskip(SKIP_1) | instid1(VALU_DEP_2)
	v_cndmask_b32_e32 v2, v1, v2, vcc_lo
	v_cmp_lt_u32_e32 vcc_lo, 7, v4
	v_dual_cndmask_b32 v2, v1, v2 :: v_dual_cndmask_b32 v1, 0, v5
	v_bfe_i32 v5, v70, 4, 1
	s_delay_alu instid0(VALU_DEP_2)
	v_add_nc_u32_e32 v1, v1, v3
	ds_swizzle_b32 v3, v2 offset:swizzle(BROADCAST,32,15)
	ds_swizzle_b32 v4, v1 offset:swizzle(BROADCAST,32,15)
	v_cmp_eq_u32_e32 vcc_lo, 0, v1
	s_waitcnt lgkmcnt(1)
	v_add_f32_e32 v3, v2, v3
	s_waitcnt lgkmcnt(0)
	v_and_b32_e32 v7, v5, v4
	s_delay_alu instid0(VALU_DEP_2) | instskip(SKIP_2) | instid1(VALU_DEP_4)
	v_cndmask_b32_e32 v5, v2, v3, vcc_lo
	v_cmp_eq_u32_e32 vcc_lo, 0, v6
	v_lshlrev_b32_e32 v4, 3, v71
	v_add_nc_u32_e32 v1, v7, v1
	s_delay_alu instid0(VALU_DEP_4)
	v_cndmask_b32_e32 v3, v5, v2, vcc_lo
	v_cmpx_eq_u32_e64 v72, v0
	s_cbranch_execz .LBB216_119
; %bb.118:
	v_cndmask_b32_e32 v2, v5, v2, vcc_lo
	ds_store_b64 v4, v[1:2] offset:2064
.LBB216_119:
	s_or_b32 exec_lo, exec_lo, s15
	s_delay_alu instid0(SALU_CYCLE_1)
	s_mov_b32 s15, exec_lo
	s_waitcnt lgkmcnt(0)
	s_barrier
	buffer_gl0_inv
	v_cmpx_gt_u32_e32 8, v0
	s_cbranch_execz .LBB216_121
; %bb.120:
	v_lshlrev_b32_e32 v2, 3, v0
	ds_load_b64 v[5:6], v2 offset:2064
	s_waitcnt lgkmcnt(0)
	v_mov_b32_dpp v7, v6 row_shr:1 row_mask:0xf bank_mask:0xf
	v_cmp_eq_u32_e32 vcc_lo, 0, v5
	v_mov_b32_dpp v51, v5 row_shr:1 row_mask:0xf bank_mask:0xf
	s_delay_alu instid0(VALU_DEP_3) | instskip(NEXT) | instid1(VALU_DEP_1)
	v_dual_add_f32 v7, v6, v7 :: v_dual_and_b32 v8, 7, v70
	v_cndmask_b32_e32 v7, v6, v7, vcc_lo
	s_delay_alu instid0(VALU_DEP_2) | instskip(NEXT) | instid1(VALU_DEP_4)
	v_cmp_eq_u32_e32 vcc_lo, 0, v8
	v_cndmask_b32_e64 v51, v51, 0, vcc_lo
	s_delay_alu instid0(VALU_DEP_1) | instskip(NEXT) | instid1(VALU_DEP_1)
	v_add_nc_u32_e32 v5, v51, v5
	v_mov_b32_dpp v51, v5 row_shr:2 row_mask:0xf bank_mask:0xf
	v_cndmask_b32_e32 v6, v7, v6, vcc_lo
	v_cmp_eq_u32_e32 vcc_lo, 0, v5
	s_delay_alu instid0(VALU_DEP_2) | instskip(NEXT) | instid1(VALU_DEP_1)
	v_mov_b32_dpp v7, v6 row_shr:2 row_mask:0xf bank_mask:0xf
	v_add_f32_e32 v7, v6, v7
	s_delay_alu instid0(VALU_DEP_1) | instskip(SKIP_1) | instid1(VALU_DEP_2)
	v_cndmask_b32_e32 v7, v6, v7, vcc_lo
	v_cmp_lt_u32_e32 vcc_lo, 1, v8
	v_cndmask_b32_e32 v6, v6, v7, vcc_lo
	v_cndmask_b32_e32 v7, 0, v51, vcc_lo
	v_cmp_lt_u32_e32 vcc_lo, 3, v8
	s_delay_alu instid0(VALU_DEP_3) | instskip(NEXT) | instid1(VALU_DEP_1)
	v_mov_b32_dpp v51, v6 row_shr:4 row_mask:0xf bank_mask:0xf
	v_dual_add_f32 v8, v6, v51 :: v_dual_add_nc_u32 v5, v7, v5
	s_delay_alu instid0(VALU_DEP_1) | instskip(SKIP_1) | instid1(VALU_DEP_2)
	v_mov_b32_dpp v7, v5 row_shr:4 row_mask:0xf bank_mask:0xf
	v_cmp_eq_u32_e64 s14, 0, v5
	v_cndmask_b32_e32 v7, 0, v7, vcc_lo
	s_delay_alu instid0(VALU_DEP_2) | instskip(NEXT) | instid1(VALU_DEP_1)
	s_and_b32 vcc_lo, vcc_lo, s14
	v_dual_cndmask_b32 v6, v6, v8 :: v_dual_add_nc_u32 v5, v7, v5
	ds_store_b64 v2, v[5:6] offset:2064
.LBB216_121:
	s_or_b32 exec_lo, exec_lo, s15
	v_cmp_gt_u32_e32 vcc_lo, 32, v0
	v_dual_mov_b32 v51, 0 :: v_dual_mov_b32 v52, 0
	s_mov_b32 s15, exec_lo
	s_waitcnt lgkmcnt(0)
	s_barrier
	buffer_gl0_inv
	v_cmpx_lt_u32_e32 31, v0
	s_cbranch_execz .LBB216_123
; %bb.122:
	ds_load_b64 v[51:52], v4 offset:2056
	v_cmp_eq_u32_e64 s14, 0, v1
	s_waitcnt lgkmcnt(0)
	v_add_nc_u32_e32 v4, v51, v1
	s_delay_alu instid0(VALU_DEP_1) | instskip(NEXT) | instid1(VALU_DEP_1)
	v_dual_add_f32 v2, v3, v52 :: v_dual_mov_b32 v1, v4
	v_cndmask_b32_e64 v3, v3, v2, s14
.LBB216_123:
	s_or_b32 exec_lo, exec_lo, s15
	v_add_nc_u32_e32 v2, -1, v70
	s_delay_alu instid0(VALU_DEP_1) | instskip(NEXT) | instid1(VALU_DEP_1)
	v_cmp_gt_i32_e64 s14, 0, v2
	v_cndmask_b32_e64 v2, v2, v70, s14
	v_cmp_eq_u32_e64 s14, 0, v70
	s_delay_alu instid0(VALU_DEP_2)
	v_lshlrev_b32_e32 v2, 2, v2
	ds_bpermute_b32 v60, v2, v1
	ds_bpermute_b32 v61, v2, v3
	s_and_saveexec_b32 s22, vcc_lo
	s_cbranch_execz .LBB216_146
; %bb.124:
	v_mov_b32_e32 v4, 0
	ds_load_b64 v[1:2], v4 offset:2120
	s_waitcnt lgkmcnt(0)
	v_readfirstlane_b32 s23, v2
	s_and_saveexec_b32 s15, s14
	s_cbranch_execz .LBB216_126
; %bb.125:
	s_add_i32 s24, s33, 32
	s_mov_b32 s25, 0
	v_mov_b32_e32 v3, 1
	s_lshl_b64 s[36:37], s[24:25], 4
	s_mov_b32 s40, s25
	s_add_u32 s36, s20, s36
	s_addc_u32 s37, s21, s37
	s_and_b32 s41, s23, 0xff000000
	s_and_b32 s43, s23, 0xff0000
	s_mov_b32 s42, s25
	v_dual_mov_b32 v5, s36 :: v_dual_mov_b32 v6, s37
	s_or_b64 s[40:41], s[42:43], s[40:41]
	s_and_b32 s43, s23, 0xff00
	s_delay_alu instid0(SALU_CYCLE_1) | instskip(SKIP_1) | instid1(SALU_CYCLE_1)
	s_or_b64 s[40:41], s[40:41], s[42:43]
	s_and_b32 s43, s23, 0xff
	s_or_b64 s[24:25], s[40:41], s[42:43]
	s_delay_alu instid0(SALU_CYCLE_1)
	v_mov_b32_e32 v2, s25
	;;#ASMSTART
	global_store_dwordx4 v[5:6], v[1:4] off	
s_waitcnt vmcnt(0)
	;;#ASMEND
.LBB216_126:
	s_or_b32 exec_lo, exec_lo, s15
	v_xad_u32 v53, v70, -1, s33
	s_mov_b32 s24, 0
	s_mov_b32 s15, exec_lo
	s_delay_alu instid0(VALU_DEP_1) | instskip(NEXT) | instid1(VALU_DEP_1)
	v_add_nc_u32_e32 v3, 32, v53
	v_lshlrev_b64 v[2:3], 4, v[3:4]
	s_delay_alu instid0(VALU_DEP_1) | instskip(NEXT) | instid1(VALU_DEP_2)
	v_add_co_u32 v2, vcc_lo, s20, v2
	v_add_co_ci_u32_e32 v3, vcc_lo, s21, v3, vcc_lo
	;;#ASMSTART
	global_load_dwordx4 v[5:8], v[2:3] off glc	
s_waitcnt vmcnt(0)
	;;#ASMEND
	v_perm_b32 v4, v6, v7, 0x70605
	v_perm_b32 v8, v6, v7, 0x1000706
	;; [unrolled: 1-line block ×3, first 2 shown]
	v_and_b32_e32 v62, 0xff, v7
	s_delay_alu instid0(VALU_DEP_4) | instskip(NEXT) | instid1(VALU_DEP_4)
	v_lshlrev_b32_e32 v4, 8, v4
	v_lshlrev_b32_e32 v8, 16, v8
	s_delay_alu instid0(VALU_DEP_4) | instskip(SKIP_1) | instid1(VALU_DEP_4)
	v_lshlrev_b32_e32 v55, 24, v54
	v_alignbit_b32 v54, v6, v5, 16
	v_perm_b32 v4, v4, v6, 0xc0c0500
	s_delay_alu instid0(VALU_DEP_4) | instskip(SKIP_2) | instid1(VALU_DEP_3)
	v_and_b32_e32 v56, 0xff0000, v8
	v_alignbit_b32 v8, v6, v5, 8
	v_alignbit_b32 v6, v6, v5, 24
	v_or3_b32 v4, v4, v56, v55
	v_cmpx_eq_u16_e32 0, v62
	s_cbranch_execz .LBB216_132
; %bb.127:
	s_mov_b32 s25, 1
	.p2align	6
.LBB216_128:                            ; =>This Loop Header: Depth=1
                                        ;     Child Loop BB216_129 Depth 2
	s_delay_alu instid0(SALU_CYCLE_1)
	s_max_u32 s36, s25, 1
.LBB216_129:                            ;   Parent Loop BB216_128 Depth=1
                                        ; =>  This Inner Loop Header: Depth=2
	s_delay_alu instid0(SALU_CYCLE_1)
	s_add_i32 s36, s36, -1
	s_sleep 1
	s_cmp_eq_u32 s36, 0
	s_cbranch_scc0 .LBB216_129
; %bb.130:                              ;   in Loop: Header=BB216_128 Depth=1
	;;#ASMSTART
	global_load_dwordx4 v[5:8], v[2:3] off glc	
s_waitcnt vmcnt(0)
	;;#ASMEND
	v_and_b32_e32 v4, 0xff, v7
	s_cmp_lt_u32 s25, 32
	s_cselect_b32 s36, -1, 0
	s_delay_alu instid0(VALU_DEP_1) | instskip(SKIP_3) | instid1(SALU_CYCLE_1)
	v_cmp_ne_u16_e32 vcc_lo, 0, v4
	s_cmp_lg_u32 s36, 0
	s_addc_u32 s25, s25, 0
	s_or_b32 s24, vcc_lo, s24
	s_and_not1_b32 exec_lo, exec_lo, s24
	s_cbranch_execnz .LBB216_128
; %bb.131:
	s_or_b32 exec_lo, exec_lo, s24
	v_perm_b32 v2, v6, v7, 0x70605
	v_perm_b32 v3, v6, v7, 0x1000706
	v_perm_b32 v4, v6, v7, 0x2010007
	v_alignbit_b32 v8, v6, v5, 8
	v_alignbit_b32 v54, v6, v5, 16
	v_lshlrev_b32_e32 v2, 8, v2
	v_lshlrev_b32_e32 v3, 16, v3
	;; [unrolled: 1-line block ×3, first 2 shown]
	s_delay_alu instid0(VALU_DEP_3) | instskip(NEXT) | instid1(VALU_DEP_3)
	v_perm_b32 v2, v2, v6, 0xc0c0500
	v_and_b32_e32 v3, 0xff0000, v3
	v_alignbit_b32 v6, v6, v5, 24
	s_delay_alu instid0(VALU_DEP_2)
	v_or3_b32 v4, v2, v3, v4
.LBB216_132:
	s_or_b32 exec_lo, exec_lo, s15
	v_cmp_ne_u32_e32 vcc_lo, 31, v70
	v_lshlrev_b32_e32 v8, 8, v8
	v_cmp_gt_u32_e64 s15, 30, v70
	v_and_b32_e32 v5, 0xff, v5
	v_lshlrev_b32_e64 v62, v70, -1
	v_add_co_ci_u32_e32 v2, vcc_lo, 0, v70, vcc_lo
	v_and_b32_e32 v8, 0xff00, v8
	v_add_nc_u32_e32 v64, 2, v70
	v_add_nc_u32_e32 v66, 4, v70
	s_delay_alu instid0(VALU_DEP_4)
	v_lshlrev_b32_e32 v2, 2, v2
	v_add_nc_u32_e32 v68, 8, v70
	v_add_nc_u32_e32 v75, 16, v70
	ds_bpermute_b32 v3, v2, v4
	s_waitcnt lgkmcnt(0)
	v_dual_add_f32 v3, v4, v3 :: v_dual_lshlrev_b32 v54, 16, v54
	s_delay_alu instid0(VALU_DEP_1) | instskip(SKIP_1) | instid1(VALU_DEP_2)
	v_perm_b32 v6, v6, v54, 0x4020c0c
	v_cndmask_b32_e64 v54, 0, 1, s15
	v_or3_b32 v5, v6, v8, v5
	s_delay_alu instid0(VALU_DEP_2) | instskip(NEXT) | instid1(VALU_DEP_1)
	v_lshlrev_b32_e32 v6, 1, v54
	v_add_lshl_u32 v63, v6, v70, 2
	ds_bpermute_b32 v6, v2, v5
	v_and_b32_e32 v55, 0xff, v7
	s_delay_alu instid0(VALU_DEP_1) | instskip(SKIP_2) | instid1(VALU_DEP_2)
	v_cmp_eq_u16_e32 vcc_lo, 2, v55
	v_and_or_b32 v55, vcc_lo, v62, 0x80000000
	v_cmp_eq_u32_e32 vcc_lo, 0, v5
	v_ctz_i32_b32_e32 v8, v55
	v_cndmask_b32_e32 v3, v4, v3, vcc_lo
	s_delay_alu instid0(VALU_DEP_2) | instskip(SKIP_1) | instid1(VALU_DEP_2)
	v_cmp_lt_u32_e32 vcc_lo, v70, v8
	s_waitcnt lgkmcnt(0)
	v_dual_cndmask_b32 v6, 0, v6 :: v_dual_cndmask_b32 v3, v4, v3
	v_cmp_gt_u32_e32 vcc_lo, 28, v70
	ds_bpermute_b32 v4, v63, v3
	v_cndmask_b32_e64 v54, 0, 1, vcc_lo
	s_waitcnt lgkmcnt(0)
	v_dual_add_f32 v4, v3, v4 :: v_dual_add_nc_u32 v5, v6, v5
	s_delay_alu instid0(VALU_DEP_2) | instskip(NEXT) | instid1(VALU_DEP_2)
	v_lshlrev_b32_e32 v6, 2, v54
	v_cmp_eq_u32_e32 vcc_lo, 0, v5
	s_delay_alu instid0(VALU_DEP_2) | instskip(NEXT) | instid1(VALU_DEP_4)
	v_add_lshl_u32 v65, v6, v70, 2
	v_cndmask_b32_e32 v4, v3, v4, vcc_lo
	ds_bpermute_b32 v54, v63, v5
	v_cmp_gt_u32_e32 vcc_lo, v64, v8
	v_cndmask_b32_e32 v3, v4, v3, vcc_lo
	ds_bpermute_b32 v4, v65, v3
	s_waitcnt lgkmcnt(1)
	v_cndmask_b32_e64 v6, v54, 0, vcc_lo
	v_cmp_gt_u32_e32 vcc_lo, 24, v70
	s_delay_alu instid0(VALU_DEP_2)
	v_add_nc_u32_e32 v5, v5, v6
	v_cndmask_b32_e64 v6, 0, 1, vcc_lo
	s_waitcnt lgkmcnt(0)
	v_add_f32_e32 v4, v3, v4
	ds_bpermute_b32 v54, v65, v5
	v_cmp_eq_u32_e32 vcc_lo, 0, v5
	v_lshlrev_b32_e32 v6, 3, v6
	v_cndmask_b32_e32 v4, v3, v4, vcc_lo
	v_cmp_gt_u32_e32 vcc_lo, v66, v8
	s_delay_alu instid0(VALU_DEP_3) | instskip(SKIP_2) | instid1(VALU_DEP_1)
	v_add_lshl_u32 v67, v6, v70, 2
	s_waitcnt lgkmcnt(0)
	v_cndmask_b32_e64 v6, v54, 0, vcc_lo
	v_add_nc_u32_e32 v5, v5, v6
	v_cndmask_b32_e32 v3, v4, v3, vcc_lo
	v_cmp_gt_u32_e32 vcc_lo, 16, v70
	ds_bpermute_b32 v6, v67, v5
	ds_bpermute_b32 v4, v67, v3
	v_cndmask_b32_e64 v54, 0, 1, vcc_lo
	v_cmp_eq_u32_e32 vcc_lo, 0, v5
	s_delay_alu instid0(VALU_DEP_2) | instskip(NEXT) | instid1(VALU_DEP_1)
	v_lshlrev_b32_e32 v54, 4, v54
	v_add_lshl_u32 v69, v54, v70, 2
	s_waitcnt lgkmcnt(0)
	v_add_f32_e32 v4, v3, v4
	s_delay_alu instid0(VALU_DEP_1) | instskip(SKIP_1) | instid1(VALU_DEP_2)
	v_cndmask_b32_e32 v4, v3, v4, vcc_lo
	v_cmp_gt_u32_e32 vcc_lo, v68, v8
	v_cndmask_b32_e32 v3, v4, v3, vcc_lo
	v_cndmask_b32_e64 v6, v6, 0, vcc_lo
	ds_bpermute_b32 v4, v69, v3
	v_add_nc_u32_e32 v5, v5, v6
	ds_bpermute_b32 v54, v69, v5
	v_cmp_eq_u32_e32 vcc_lo, 0, v5
	s_waitcnt lgkmcnt(1)
	v_add_f32_e32 v4, v3, v4
	s_delay_alu instid0(VALU_DEP_1) | instskip(SKIP_1) | instid1(VALU_DEP_2)
	v_cndmask_b32_e32 v4, v3, v4, vcc_lo
	v_cmp_gt_u32_e32 vcc_lo, v75, v8
	v_cndmask_b32_e32 v6, v4, v3, vcc_lo
	s_waitcnt lgkmcnt(0)
	v_cndmask_b32_e64 v3, v54, 0, vcc_lo
	s_delay_alu instid0(VALU_DEP_1)
	v_dual_mov_b32 v54, 0 :: v_dual_add_nc_u32 v5, v3, v5
	s_branch .LBB216_134
.LBB216_133:                            ;   in Loop: Header=BB216_134 Depth=1
	s_or_b32 exec_lo, exec_lo, s15
	ds_bpermute_b32 v55, v2, v6
	v_lshlrev_b32_e32 v56, 16, v77
	v_lshlrev_b32_e32 v8, 8, v8
	v_and_b32_e32 v5, 0xff, v5
	v_subrev_nc_u32_e32 v53, 32, v53
	s_delay_alu instid0(VALU_DEP_4) | instskip(NEXT) | instid1(VALU_DEP_4)
	v_perm_b32 v56, v76, v56, 0x4020c0c
	v_and_b32_e32 v8, 0xff00, v8
	s_delay_alu instid0(VALU_DEP_1) | instskip(SKIP_4) | instid1(VALU_DEP_1)
	v_or3_b32 v5, v56, v8, v5
	ds_bpermute_b32 v56, v2, v5
	s_waitcnt lgkmcnt(1)
	v_add_f32_e32 v8, v6, v55
	v_and_b32_e32 v77, 0xff, v7
	v_cmp_eq_u16_e32 vcc_lo, 2, v77
	v_and_or_b32 v76, vcc_lo, v62, 0x80000000
	v_cmp_eq_u32_e32 vcc_lo, 0, v5
	s_delay_alu instid0(VALU_DEP_2) | instskip(SKIP_1) | instid1(VALU_DEP_2)
	v_ctz_i32_b32_e32 v55, v76
	v_cndmask_b32_e32 v8, v6, v8, vcc_lo
	v_cmp_lt_u32_e32 vcc_lo, v70, v55
	s_waitcnt lgkmcnt(0)
	v_cndmask_b32_e32 v56, 0, v56, vcc_lo
	s_delay_alu instid0(VALU_DEP_1)
	v_dual_cndmask_b32 v6, v6, v8 :: v_dual_add_nc_u32 v5, v56, v5
	ds_bpermute_b32 v8, v63, v6
	ds_bpermute_b32 v56, v63, v5
	v_cmp_eq_u32_e32 vcc_lo, 0, v5
	s_waitcnt lgkmcnt(1)
	v_add_f32_e32 v8, v6, v8
	s_delay_alu instid0(VALU_DEP_1) | instskip(SKIP_3) | instid1(VALU_DEP_1)
	v_cndmask_b32_e32 v8, v6, v8, vcc_lo
	v_cmp_gt_u32_e32 vcc_lo, v64, v55
	s_waitcnt lgkmcnt(0)
	v_cndmask_b32_e64 v56, v56, 0, vcc_lo
	v_dual_cndmask_b32 v6, v8, v6 :: v_dual_add_nc_u32 v5, v5, v56
	ds_bpermute_b32 v8, v65, v6
	ds_bpermute_b32 v56, v65, v5
	v_cmp_eq_u32_e32 vcc_lo, 0, v5
	s_waitcnt lgkmcnt(1)
	v_add_f32_e32 v8, v6, v8
	s_delay_alu instid0(VALU_DEP_1) | instskip(SKIP_3) | instid1(VALU_DEP_1)
	v_cndmask_b32_e32 v8, v6, v8, vcc_lo
	v_cmp_gt_u32_e32 vcc_lo, v66, v55
	s_waitcnt lgkmcnt(0)
	v_cndmask_b32_e64 v56, v56, 0, vcc_lo
	;; [unrolled: 11-line block ×3, first 2 shown]
	v_dual_cndmask_b32 v6, v8, v6 :: v_dual_add_nc_u32 v5, v5, v56
	ds_bpermute_b32 v8, v69, v6
	ds_bpermute_b32 v56, v69, v5
	v_cmp_eq_u32_e32 vcc_lo, 0, v5
	s_waitcnt lgkmcnt(1)
	v_add_f32_e32 v8, v6, v8
	s_delay_alu instid0(VALU_DEP_1) | instskip(SKIP_1) | instid1(VALU_DEP_2)
	v_cndmask_b32_e32 v8, v6, v8, vcc_lo
	v_cmp_gt_u32_e32 vcc_lo, v75, v55
	v_cndmask_b32_e32 v6, v8, v6, vcc_lo
	s_waitcnt lgkmcnt(0)
	v_cndmask_b32_e64 v8, v56, 0, vcc_lo
	v_cmp_eq_u32_e32 vcc_lo, 0, v3
	s_delay_alu instid0(VALU_DEP_3) | instskip(NEXT) | instid1(VALU_DEP_3)
	v_add_f32_e32 v6, v4, v6
	v_add3_u32 v5, v5, v3, v8
	s_delay_alu instid0(VALU_DEP_2)
	v_cndmask_b32_e32 v6, v4, v6, vcc_lo
.LBB216_134:                            ; =>This Loop Header: Depth=1
                                        ;     Child Loop BB216_137 Depth 2
                                        ;       Child Loop BB216_138 Depth 3
	s_delay_alu instid0(VALU_DEP_1) | instskip(NEXT) | instid1(VALU_DEP_1)
	v_dual_mov_b32 v4, v6 :: v_dual_and_b32 v3, 0xff, v7
	v_cmp_ne_u16_e32 vcc_lo, 2, v3
	v_cndmask_b32_e64 v3, 0, 1, vcc_lo
	;;#ASMSTART
	;;#ASMEND
	s_delay_alu instid0(VALU_DEP_1)
	v_cmp_ne_u32_e32 vcc_lo, 0, v3
	v_mov_b32_e32 v3, v5
	s_cmp_lg_u32 vcc_lo, exec_lo
	s_cbranch_scc1 .LBB216_141
; %bb.135:                              ;   in Loop: Header=BB216_134 Depth=1
	v_lshlrev_b64 v[5:6], 4, v[53:54]
	s_mov_b32 s15, exec_lo
	s_delay_alu instid0(VALU_DEP_1) | instskip(NEXT) | instid1(VALU_DEP_2)
	v_add_co_u32 v55, vcc_lo, s20, v5
	v_add_co_ci_u32_e32 v56, vcc_lo, s21, v6, vcc_lo
	;;#ASMSTART
	global_load_dwordx4 v[5:8], v[55:56] off glc	
s_waitcnt vmcnt(0)
	;;#ASMEND
	v_perm_b32 v8, v6, v7, 0x70605
	v_perm_b32 v76, v6, v7, 0x1000706
	v_perm_b32 v77, v6, v7, 0x2010007
	v_and_b32_e32 v81, 0xff, v7
	s_delay_alu instid0(VALU_DEP_4) | instskip(NEXT) | instid1(VALU_DEP_4)
	v_lshlrev_b32_e32 v8, 8, v8
	v_lshlrev_b32_e32 v76, 16, v76
	s_delay_alu instid0(VALU_DEP_4) | instskip(SKIP_1) | instid1(VALU_DEP_4)
	v_lshlrev_b32_e32 v78, 24, v77
	v_alignbit_b32 v77, v6, v5, 16
	v_perm_b32 v79, v8, v6, 0xc0c0500
	s_delay_alu instid0(VALU_DEP_4) | instskip(SKIP_2) | instid1(VALU_DEP_3)
	v_and_b32_e32 v80, 0xff0000, v76
	v_alignbit_b32 v8, v6, v5, 8
	v_alignbit_b32 v76, v6, v5, 24
	v_or3_b32 v6, v79, v80, v78
	v_cmpx_eq_u16_e32 0, v81
	s_cbranch_execz .LBB216_133
; %bb.136:                              ;   in Loop: Header=BB216_134 Depth=1
	s_mov_b32 s25, 1
	s_mov_b32 s24, 0
	.p2align	6
.LBB216_137:                            ;   Parent Loop BB216_134 Depth=1
                                        ; =>  This Loop Header: Depth=2
                                        ;       Child Loop BB216_138 Depth 3
	s_max_u32 s36, s25, 1
.LBB216_138:                            ;   Parent Loop BB216_134 Depth=1
                                        ;     Parent Loop BB216_137 Depth=2
                                        ; =>    This Inner Loop Header: Depth=3
	s_delay_alu instid0(SALU_CYCLE_1)
	s_add_i32 s36, s36, -1
	s_sleep 1
	s_cmp_eq_u32 s36, 0
	s_cbranch_scc0 .LBB216_138
; %bb.139:                              ;   in Loop: Header=BB216_137 Depth=2
	;;#ASMSTART
	global_load_dwordx4 v[5:8], v[55:56] off glc	
s_waitcnt vmcnt(0)
	;;#ASMEND
	v_and_b32_e32 v8, 0xff, v7
	s_cmp_lt_u32 s25, 32
	s_cselect_b32 s36, -1, 0
	s_delay_alu instid0(SALU_CYCLE_1) | instskip(NEXT) | instid1(VALU_DEP_1)
	s_cmp_lg_u32 s36, 0
	v_cmp_ne_u16_e32 vcc_lo, 0, v8
	s_addc_u32 s25, s25, 0
	s_or_b32 s24, vcc_lo, s24
	s_delay_alu instid0(SALU_CYCLE_1)
	s_and_not1_b32 exec_lo, exec_lo, s24
	s_cbranch_execnz .LBB216_137
; %bb.140:                              ;   in Loop: Header=BB216_134 Depth=1
	s_or_b32 exec_lo, exec_lo, s24
	v_perm_b32 v8, v6, v7, 0x70605
	v_perm_b32 v55, v6, v7, 0x1000706
	;; [unrolled: 1-line block ×3, first 2 shown]
	v_alignbit_b32 v77, v6, v5, 16
	v_alignbit_b32 v76, v6, v5, 24
	v_lshlrev_b32_e32 v8, 8, v8
	v_lshlrev_b32_e32 v55, 16, v55
	;; [unrolled: 1-line block ×3, first 2 shown]
	s_delay_alu instid0(VALU_DEP_3) | instskip(NEXT) | instid1(VALU_DEP_3)
	v_perm_b32 v78, v8, v6, 0xc0c0500
	v_and_b32_e32 v55, 0xff0000, v55
	v_alignbit_b32 v8, v6, v5, 8
	s_delay_alu instid0(VALU_DEP_2)
	v_or3_b32 v6, v78, v55, v56
	s_branch .LBB216_133
.LBB216_141:                            ;   in Loop: Header=BB216_134 Depth=1
                                        ; implicit-def: $vgpr6
                                        ; implicit-def: $vgpr5
                                        ; implicit-def: $vgpr7
	s_cbranch_execz .LBB216_134
; %bb.142:
	s_and_saveexec_b32 s15, s14
	s_cbranch_execz .LBB216_144
; %bb.143:
	v_dual_add_f32 v2, s23, v4 :: v_dual_add_nc_u32 v5, v3, v1
	v_cmp_eq_u32_e32 vcc_lo, 0, v1
	s_mov_b32 s25, 0
	s_add_i32 s24, s33, 32
	v_mov_b32_e32 v8, 0
	s_lshl_b64 s[24:25], s[24:25], 4
	v_cndmask_b32_e32 v2, s23, v2, vcc_lo
	s_add_u32 s24, s20, s24
	s_addc_u32 s25, s21, s25
	s_delay_alu instid0(VALU_DEP_1) | instskip(SKIP_1) | instid1(VALU_DEP_1)
	v_and_b32_e32 v6, 0xff000000, v2
	v_and_b32_e32 v7, 0xff0000, v2
	v_or_b32_e32 v6, v7, v6
	v_mov_b32_e32 v7, 2
	v_and_b32_e32 v53, 0xff00, v2
	v_and_b32_e32 v2, 0xff, v2
	s_delay_alu instid0(VALU_DEP_1)
	v_or3_b32 v6, v6, v53, v2
	v_mov_b32_e32 v2, s23
	v_dual_mov_b32 v54, s25 :: v_dual_mov_b32 v53, s24
	;;#ASMSTART
	global_store_dwordx4 v[53:54], v[5:8] off	
s_waitcnt vmcnt(0)
	;;#ASMEND
	ds_store_b128 v8, v[1:4] offset:2048
.LBB216_144:
	s_or_b32 exec_lo, exec_lo, s15
	s_delay_alu instid0(SALU_CYCLE_1)
	s_and_b32 exec_lo, exec_lo, s2
	s_cbranch_execz .LBB216_146
; %bb.145:
	v_mov_b32_e32 v1, 0
	ds_store_b64 v1, v[3:4] offset:2120
.LBB216_146:
	s_or_b32 exec_lo, exec_lo, s22
	s_waitcnt lgkmcnt(1)
	v_cndmask_b32_e64 v7, v60, v51, s14
	s_waitcnt lgkmcnt(0)
	v_cndmask_b32_e64 v2, v61, v52, s14
	s_barrier
	buffer_gl0_inv
	v_cmp_eq_u32_e32 vcc_lo, 0, v7
	v_mov_b32_e32 v1, 0
	ds_load_b64 v[5:6], v1 offset:2120
	s_waitcnt lgkmcnt(0)
	s_barrier
	buffer_gl0_inv
	v_add_f32_e32 v3, v2, v6
	s_delay_alu instid0(VALU_DEP_1) | instskip(SKIP_1) | instid1(VALU_DEP_2)
	v_cndmask_b32_e32 v2, v2, v3, vcc_lo
	v_cmp_eq_u32_e32 vcc_lo, 0, v49
	v_cndmask_b32_e64 v69, v2, v6, s2
	s_delay_alu instid0(VALU_DEP_1) | instskip(NEXT) | instid1(VALU_DEP_1)
	v_add_f32_e32 v2, v47, v69
	v_cndmask_b32_e32 v68, v47, v2, vcc_lo
	s_delay_alu instid0(VALU_DEP_1) | instskip(NEXT) | instid1(VALU_DEP_1)
	v_add_f32_e32 v2, v48, v68
	v_cndmask_b32_e64 v67, v48, v2, s13
	s_delay_alu instid0(VALU_DEP_1) | instskip(NEXT) | instid1(VALU_DEP_1)
	v_add_f32_e32 v2, v45, v67
	v_cndmask_b32_e64 v66, v45, v2, s12
	;; [unrolled: 3-line block ×10, first 2 shown]
	ds_load_b128 v[1:4], v1 offset:2048
	v_add_f32_e32 v6, v38, v53
	s_delay_alu instid0(VALU_DEP_1) | instskip(SKIP_3) | instid1(VALU_DEP_2)
	v_cndmask_b32_e64 v54, v38, v6, s3
	s_waitcnt lgkmcnt(0)
	v_add_f32_e32 v4, v4, v2
	v_cmp_eq_u32_e32 vcc_lo, 0, v1
	v_dual_add_f32 v6, v33, v54 :: v_dual_cndmask_b32 v51, v2, v4
	s_delay_alu instid0(VALU_DEP_1) | instskip(SKIP_1) | instid1(VALU_DEP_1)
	v_cndmask_b32_e64 v52, v33, v6, s1
	v_cndmask_b32_e64 v6, v7, 0, s2
	v_dual_add_f32 v7, v34, v52 :: v_dual_add_nc_u32 v6, v5, v6
	v_mov_b32_e32 v5, v3
	s_delay_alu instid0(VALU_DEP_2) | instskip(NEXT) | instid1(VALU_DEP_3)
	v_cndmask_b32_e64 v60, v34, v7, s0
	v_mov_b32_e32 v4, v6
	s_branch .LBB216_159
.LBB216_147:
                                        ; implicit-def: $vgpr1
                                        ; implicit-def: $vgpr51
                                        ; implicit-def: $vgpr5
                                        ; implicit-def: $vgpr60
                                        ; implicit-def: $vgpr52
                                        ; implicit-def: $vgpr54
                                        ; implicit-def: $vgpr53
                                        ; implicit-def: $vgpr55
                                        ; implicit-def: $vgpr56
                                        ; implicit-def: $vgpr61
                                        ; implicit-def: $vgpr62
                                        ; implicit-def: $vgpr63
                                        ; implicit-def: $vgpr64
                                        ; implicit-def: $vgpr65
                                        ; implicit-def: $vgpr66
                                        ; implicit-def: $vgpr67
                                        ; implicit-def: $vgpr68
                                        ; implicit-def: $vgpr69
	s_cbranch_execz .LBB216_159
; %bb.148:
	s_and_b32 s0, s16, exec_lo
	v_mov_b32_e32 v5, v47
	s_cselect_b32 s1, 0, s35
	s_cselect_b32 s0, 0, s34
	s_delay_alu instid0(SALU_CYCLE_1)
	s_cmp_eq_u64 s[0:1], 0
	s_cbranch_scc1 .LBB216_150
; %bb.149:
	v_mov_b32_e32 v1, 0
	global_load_b32 v5, v1, s[0:1]
.LBB216_150:
	v_cmp_eq_u32_e64 s0, 0, v50
	v_cmp_eq_u32_e64 s1, 0, v35
	v_add3_u32 v2, v73, v32, v29
	v_cmp_eq_u32_e64 s3, 0, v36
	v_cmp_eq_u32_e64 s4, 0, v31
	v_cndmask_b32_e64 v1, v48, v74, s0
	v_cmp_eq_u32_e64 s5, 0, v32
	v_add3_u32 v2, v2, v30, v27
	v_cmp_eq_u32_e64 s6, 0, v29
	v_cmp_eq_u32_e64 s7, 0, v30
	v_dual_add_f32 v1, v45, v1 :: v_dual_and_b32 v4, 15, v70
	s_delay_alu instid0(VALU_DEP_4) | instskip(SKIP_2) | instid1(VALU_DEP_4)
	v_add3_u32 v2, v2, v28, v25
	v_cmp_eq_u32_e64 s8, 0, v27
	v_cmp_eq_u32_e64 s10, 0, v28
	v_cndmask_b32_e64 v1, v45, v1, s1
	v_cmp_eq_u32_e64 s12, 0, v25
	v_add3_u32 v2, v2, v26, v23
	v_cmp_eq_u32_e64 s9, 0, v26
	v_cmp_eq_u32_e64 s11, 0, v23
	v_add_f32_e32 v1, v46, v1
	v_cmp_eq_u32_e32 vcc_lo, 0, v24
	v_add3_u32 v2, v2, v24, v58
	v_cmp_eq_u32_e64 s13, 0, v58
	v_and_b32_e32 v7, 16, v70
	v_cndmask_b32_e64 v1, v46, v1, s3
	s_delay_alu instid0(VALU_DEP_4) | instskip(NEXT) | instid1(VALU_DEP_3)
	v_mov_b32_dpp v6, v2 row_shr:1 row_mask:0xf bank_mask:0xf
	v_cmp_eq_u32_e64 s14, 0, v7
	s_delay_alu instid0(VALU_DEP_3) | instskip(NEXT) | instid1(VALU_DEP_1)
	v_add_f32_e32 v1, v43, v1
	v_cndmask_b32_e64 v1, v43, v1, s4
	s_delay_alu instid0(VALU_DEP_1) | instskip(NEXT) | instid1(VALU_DEP_1)
	v_add_f32_e32 v1, v44, v1
	v_cndmask_b32_e64 v1, v44, v1, s5
	s_delay_alu instid0(VALU_DEP_1) | instskip(NEXT) | instid1(VALU_DEP_1)
	;; [unrolled: 3-line block ×9, first 2 shown]
	v_add_f32_e32 v1, v34, v1
	v_cndmask_b32_e32 v1, v34, v1, vcc_lo
	s_delay_alu instid0(VALU_DEP_1) | instskip(NEXT) | instid1(VALU_DEP_1)
	v_add_f32_e32 v1, v59, v1
	v_cndmask_b32_e64 v1, v59, v1, s13
	v_cmp_eq_u32_e64 s13, 0, v2
	s_waitcnt lgkmcnt(0)
	s_delay_alu instid0(VALU_DEP_2) | instskip(NEXT) | instid1(VALU_DEP_1)
	v_mov_b32_dpp v3, v1 row_shr:1 row_mask:0xf bank_mask:0xf
	v_add_f32_e32 v3, v1, v3
	s_delay_alu instid0(VALU_DEP_1) | instskip(SKIP_1) | instid1(VALU_DEP_1)
	v_cndmask_b32_e64 v3, v1, v3, s13
	v_cmp_eq_u32_e64 s13, 0, v4
	v_cndmask_b32_e64 v6, v6, 0, s13
	s_delay_alu instid0(VALU_DEP_3) | instskip(NEXT) | instid1(VALU_DEP_2)
	v_cndmask_b32_e64 v1, v3, v1, s13
	v_add_nc_u32_e32 v2, v6, v2
	s_delay_alu instid0(VALU_DEP_2) | instskip(NEXT) | instid1(VALU_DEP_2)
	v_mov_b32_dpp v3, v1 row_shr:2 row_mask:0xf bank_mask:0xf
	v_cmp_eq_u32_e64 s13, 0, v2
	s_delay_alu instid0(VALU_DEP_2) | instskip(SKIP_1) | instid1(VALU_DEP_2)
	v_add_f32_e32 v3, v1, v3
	v_mov_b32_dpp v6, v2 row_shr:2 row_mask:0xf bank_mask:0xf
	v_cndmask_b32_e64 v3, v1, v3, s13
	v_cmp_lt_u32_e64 s13, 1, v4
	s_delay_alu instid0(VALU_DEP_1) | instskip(NEXT) | instid1(VALU_DEP_4)
	v_cndmask_b32_e64 v1, v1, v3, s13
	v_cndmask_b32_e64 v3, 0, v6, s13
	s_delay_alu instid0(VALU_DEP_2) | instskip(NEXT) | instid1(VALU_DEP_1)
	v_mov_b32_dpp v6, v1 row_shr:4 row_mask:0xf bank_mask:0xf
	v_dual_add_f32 v3, v1, v6 :: v_dual_add_nc_u32 v2, v2, v3
	s_delay_alu instid0(VALU_DEP_1) | instskip(SKIP_1) | instid1(VALU_DEP_2)
	v_cmp_eq_u32_e64 s13, 0, v2
	v_mov_b32_dpp v6, v2 row_shr:4 row_mask:0xf bank_mask:0xf
	v_cndmask_b32_e64 v3, v1, v3, s13
	v_cmp_lt_u32_e64 s13, 3, v4
	s_delay_alu instid0(VALU_DEP_1) | instskip(NEXT) | instid1(VALU_DEP_4)
	v_cndmask_b32_e64 v1, v1, v3, s13
	v_cndmask_b32_e64 v3, 0, v6, s13
	s_delay_alu instid0(VALU_DEP_2) | instskip(NEXT) | instid1(VALU_DEP_2)
	v_mov_b32_dpp v6, v1 row_shr:8 row_mask:0xf bank_mask:0xf
	v_add_nc_u32_e32 v2, v3, v2
	s_delay_alu instid0(VALU_DEP_2) | instskip(NEXT) | instid1(VALU_DEP_2)
	v_add_f32_e32 v3, v1, v6
	v_cmp_eq_u32_e64 s13, 0, v2
	v_mov_b32_dpp v6, v2 row_shr:8 row_mask:0xf bank_mask:0xf
	s_delay_alu instid0(VALU_DEP_2) | instskip(SKIP_1) | instid1(VALU_DEP_1)
	v_cndmask_b32_e64 v3, v1, v3, s13
	v_cmp_lt_u32_e64 s13, 7, v4
	v_cndmask_b32_e64 v3, v1, v3, s13
	s_delay_alu instid0(VALU_DEP_4) | instskip(SKIP_1) | instid1(VALU_DEP_2)
	v_cndmask_b32_e64 v1, 0, v6, s13
	v_bfe_i32 v6, v70, 4, 1
	v_add_nc_u32_e32 v1, v1, v2
	ds_swizzle_b32 v2, v3 offset:swizzle(BROADCAST,32,15)
	ds_swizzle_b32 v4, v1 offset:swizzle(BROADCAST,32,15)
	v_cmp_eq_u32_e64 s13, 0, v1
	s_waitcnt lgkmcnt(1)
	v_add_f32_e32 v2, v3, v2
	s_waitcnt lgkmcnt(0)
	v_and_b32_e32 v4, v6, v4
	s_delay_alu instid0(VALU_DEP_2) | instskip(NEXT) | instid1(VALU_DEP_2)
	v_cndmask_b32_e64 v2, v3, v2, s13
	v_add_nc_u32_e32 v1, v4, v1
	s_delay_alu instid0(VALU_DEP_2)
	v_cndmask_b32_e64 v2, v2, v3, s14
	s_mov_b32 s14, exec_lo
	v_cmpx_eq_u32_e64 v72, v0
	s_cbranch_execz .LBB216_152
; %bb.151:
	v_lshlrev_b32_e32 v3, 3, v71
	ds_store_b64 v3, v[1:2] offset:2064
.LBB216_152:
	s_or_b32 exec_lo, exec_lo, s14
	s_delay_alu instid0(SALU_CYCLE_1)
	s_mov_b32 s15, exec_lo
	s_waitcnt vmcnt(0) lgkmcnt(0)
	s_barrier
	buffer_gl0_inv
	v_cmpx_gt_u32_e32 8, v0
	s_cbranch_execz .LBB216_154
; %bb.153:
	v_lshlrev_b32_e32 v6, 3, v0
	v_and_b32_e32 v8, 7, v70
	ds_load_b64 v[3:4], v6 offset:2064
	s_waitcnt lgkmcnt(0)
	v_mov_b32_dpp v7, v4 row_shr:1 row_mask:0xf bank_mask:0xf
	v_cmp_eq_u32_e64 s13, 0, v3
	v_mov_b32_dpp v51, v3 row_shr:1 row_mask:0xf bank_mask:0xf
	s_delay_alu instid0(VALU_DEP_3) | instskip(NEXT) | instid1(VALU_DEP_1)
	v_add_f32_e32 v7, v4, v7
	v_cndmask_b32_e64 v7, v4, v7, s13
	v_cmp_eq_u32_e64 s13, 0, v8
	s_delay_alu instid0(VALU_DEP_1) | instskip(NEXT) | instid1(VALU_DEP_3)
	v_cndmask_b32_e64 v51, v51, 0, s13
	v_cndmask_b32_e64 v4, v7, v4, s13
	s_delay_alu instid0(VALU_DEP_2) | instskip(NEXT) | instid1(VALU_DEP_2)
	v_add_nc_u32_e32 v3, v51, v3
	v_mov_b32_dpp v7, v4 row_shr:2 row_mask:0xf bank_mask:0xf
	s_delay_alu instid0(VALU_DEP_2) | instskip(NEXT) | instid1(VALU_DEP_2)
	v_cmp_eq_u32_e64 s13, 0, v3
	v_add_f32_e32 v7, v4, v7
	v_mov_b32_dpp v51, v3 row_shr:2 row_mask:0xf bank_mask:0xf
	s_delay_alu instid0(VALU_DEP_2) | instskip(SKIP_1) | instid1(VALU_DEP_1)
	v_cndmask_b32_e64 v7, v4, v7, s13
	v_cmp_lt_u32_e64 s13, 1, v8
	v_cndmask_b32_e64 v4, v4, v7, s13
	s_delay_alu instid0(VALU_DEP_4) | instskip(SKIP_1) | instid1(VALU_DEP_3)
	v_cndmask_b32_e64 v7, 0, v51, s13
	v_cmp_lt_u32_e64 s13, 3, v8
	v_mov_b32_dpp v51, v4 row_shr:4 row_mask:0xf bank_mask:0xf
	s_delay_alu instid0(VALU_DEP_3) | instskip(NEXT) | instid1(VALU_DEP_2)
	v_add_nc_u32_e32 v3, v7, v3
	v_add_f32_e32 v8, v4, v51
	s_delay_alu instid0(VALU_DEP_2) | instskip(SKIP_1) | instid1(VALU_DEP_2)
	v_mov_b32_dpp v7, v3 row_shr:4 row_mask:0xf bank_mask:0xf
	v_cmp_eq_u32_e64 s14, 0, v3
	v_cndmask_b32_e64 v7, 0, v7, s13
	s_delay_alu instid0(VALU_DEP_2) | instskip(NEXT) | instid1(SALU_CYCLE_1)
	s_and_b32 s13, s13, s14
	v_cndmask_b32_e64 v4, v4, v8, s13
	s_delay_alu instid0(VALU_DEP_2)
	v_add_nc_u32_e32 v3, v7, v3
	ds_store_b64 v6, v[3:4] offset:2064
.LBB216_154:
	s_or_b32 exec_lo, exec_lo, s15
	v_dual_mov_b32 v6, 0 :: v_dual_mov_b32 v3, 0
	v_mov_b32_e32 v7, v5
	s_mov_b32 s14, exec_lo
	s_waitcnt lgkmcnt(0)
	s_barrier
	buffer_gl0_inv
	v_cmpx_lt_u32_e32 31, v0
	s_cbranch_execz .LBB216_156
; %bb.155:
	v_lshlrev_b32_e32 v3, 3, v71
	ds_load_b64 v[3:4], v3 offset:2056
	s_waitcnt lgkmcnt(0)
	v_add_f32_e32 v7, v5, v4
	v_cmp_eq_u32_e64 s13, 0, v3
	s_delay_alu instid0(VALU_DEP_1)
	v_cndmask_b32_e64 v7, v4, v7, s13
.LBB216_156:
	s_or_b32 exec_lo, exec_lo, s14
	v_add_nc_u32_e32 v4, -1, v70
	s_delay_alu instid0(VALU_DEP_2) | instskip(NEXT) | instid1(VALU_DEP_2)
	v_dual_add_f32 v8, v2, v7 :: v_dual_add_nc_u32 v51, v3, v1
	v_cmp_gt_i32_e64 s13, 0, v4
	s_delay_alu instid0(VALU_DEP_1) | instskip(SKIP_1) | instid1(VALU_DEP_2)
	v_cndmask_b32_e64 v4, v4, v70, s13
	v_cmp_eq_u32_e64 s13, 0, v1
	v_lshlrev_b32_e32 v4, 2, v4
	s_delay_alu instid0(VALU_DEP_2)
	v_cndmask_b32_e64 v1, v2, v8, s13
	v_cmp_eq_u32_e64 s13, 0, v70
	ds_bpermute_b32 v2, v4, v51
	ds_bpermute_b32 v1, v4, v1
	s_waitcnt lgkmcnt(1)
	v_cndmask_b32_e64 v4, v2, v3, s13
	s_waitcnt lgkmcnt(0)
	v_cndmask_b32_e64 v69, v1, v7, s13
	v_cmp_eq_u32_e64 s13, 0, v49
	s_delay_alu instid0(VALU_DEP_2) | instskip(NEXT) | instid1(VALU_DEP_1)
	v_cndmask_b32_e64 v1, v69, v5, s2
	v_add_f32_e32 v1, v47, v1
	s_delay_alu instid0(VALU_DEP_1) | instskip(NEXT) | instid1(VALU_DEP_1)
	v_cndmask_b32_e64 v68, v47, v1, s13
	v_add_f32_e32 v1, v48, v68
	s_delay_alu instid0(VALU_DEP_1) | instskip(NEXT) | instid1(VALU_DEP_1)
	;; [unrolled: 3-line block ×10, first 2 shown]
	v_cndmask_b32_e64 v55, v40, v1, s10
	v_add_f32_e32 v1, v37, v55
	s_delay_alu instid0(VALU_DEP_1) | instskip(SKIP_2) | instid1(VALU_DEP_1)
	v_cndmask_b32_e64 v53, v37, v1, s12
	ds_load_b64 v[1:2], v6 offset:2120
	v_add_f32_e32 v3, v38, v53
	v_cndmask_b32_e64 v54, v38, v3, s9
	s_delay_alu instid0(VALU_DEP_1) | instskip(NEXT) | instid1(VALU_DEP_1)
	v_add_f32_e32 v3, v33, v54
	v_cndmask_b32_e64 v52, v33, v3, s11
	s_waitcnt lgkmcnt(0)
	v_add_f32_e32 v3, v5, v2
	v_cmp_eq_u32_e64 s0, 0, v1
	s_delay_alu instid0(VALU_DEP_3) | instskip(NEXT) | instid1(VALU_DEP_2)
	v_add_f32_e32 v6, v34, v52
	v_cndmask_b32_e64 v51, v2, v3, s0
	s_and_saveexec_b32 s0, s2
	s_cbranch_execz .LBB216_158
; %bb.157:
	s_delay_alu instid0(VALU_DEP_1)
	v_and_b32_e32 v2, 0xff000000, v51
	v_dual_mov_b32 v4, 0 :: v_dual_and_b32 v3, 0xff0000, v51
	s_add_u32 s4, s20, 0x200
	v_and_b32_e32 v7, 0xff00, v51
	s_addc_u32 s5, s21, 0
	v_and_b32_e32 v8, 0xff, v51
	v_or_b32_e32 v2, v3, v2
	v_mov_b32_e32 v3, 2
	v_mov_b32_e32 v69, v5
	s_delay_alu instid0(VALU_DEP_3)
	v_or3_b32 v2, v2, v7, v8
	v_dual_mov_b32 v8, s5 :: v_dual_mov_b32 v7, s4
	;;#ASMSTART
	global_store_dwordx4 v[7:8], v[1:4] off	
s_waitcnt vmcnt(0)
	;;#ASMEND
.LBB216_158:
	s_or_b32 exec_lo, exec_lo, s0
	v_dual_cndmask_b32 v60, v34, v6 :: v_dual_mov_b32 v5, 0
.LBB216_159:
	v_mov_b32_e32 v7, 0
	s_and_b32 s0, s16, exec_lo
	v_mov_b32_e32 v8, 0
	s_cselect_b32 s1, 0, s39
	s_cselect_b32 s0, 0, s38
	s_waitcnt lgkmcnt(0)
	s_cmp_eq_u64 s[0:1], 0
	s_barrier
	buffer_gl0_inv
	s_cbranch_scc1 .LBB216_161
; %bb.160:
	v_mov_b32_e32 v2, 0
	global_load_b64 v[7:8], v2, s[0:1]
.LBB216_161:
	v_cmp_eq_u32_e32 vcc_lo, 0, v49
	v_add_nc_u32_e32 v47, v4, v49
	v_cmp_ne_u32_e64 s13, 0, v49
	v_cmp_ne_u32_e64 s12, 0, v50
	;; [unrolled: 1-line block ×3, first 2 shown]
	v_cndmask_b32_e64 v2, 1, 2, vcc_lo
	v_cmp_eq_u32_e32 vcc_lo, 0, v50
	v_cmp_ne_u32_e64 s9, 0, v36
	v_cmp_ne_u32_e64 s15, 0, v31
	;; [unrolled: 1-line block ×4, first 2 shown]
	v_cndmask_b32_e64 v3, 1, 2, vcc_lo
	v_cmp_eq_u32_e32 vcc_lo, 0, v35
	v_cmp_ne_u32_e64 s8, 0, v30
	v_cmp_ne_u32_e64 s7, 0, v27
	;; [unrolled: 1-line block ×3, first 2 shown]
	v_and_b32_e32 v2, v3, v2
	v_cndmask_b32_e64 v6, 1, 2, vcc_lo
	v_cmp_eq_u32_e32 vcc_lo, 0, v36
	v_cmp_ne_u32_e64 s5, 0, v25
	v_cmp_ne_u32_e64 s4, 0, v26
	;; [unrolled: 1-line block ×3, first 2 shown]
	v_and_b32_e32 v6, v2, v6
	v_cndmask_b32_e64 v33, 1, 2, vcc_lo
	v_cmp_eq_u32_e32 vcc_lo, 0, v31
	s_waitcnt vmcnt(0)
	v_lshlrev_b64 v[2:3], 2, v[7:8]
	v_cmp_ne_u32_e64 s1, 0, v24
	v_cmp_ne_u32_e64 s0, 0, v58
	v_dual_mov_b32 v6, 0 :: v_dual_and_b32 v33, v6, v33
	v_cndmask_b32_e64 v34, 1, 2, vcc_lo
	v_cmp_eq_u32_e32 vcc_lo, 0, v32
	v_add_nc_u32_e32 v59, v47, v50
	s_delay_alu instid0(VALU_DEP_3) | instskip(SKIP_2) | instid1(VALU_DEP_4)
	v_and_b32_e32 v33, v33, v34
	v_cndmask_b32_e64 v37, 1, 2, vcc_lo
	v_cmp_eq_u32_e32 vcc_lo, 0, v29
	v_add_nc_u32_e32 v48, v59, v35
	s_delay_alu instid0(VALU_DEP_3) | instskip(SKIP_2) | instid1(VALU_DEP_4)
	v_and_b32_e32 v33, v33, v37
	;; [unrolled: 5-line block ×6, first 2 shown]
	v_cndmask_b32_e64 v38, 1, 2, vcc_lo
	v_cmp_eq_u32_e32 vcc_lo, 0, v26
	v_add_nc_u32_e32 v42, v43, v30
	v_lshlrev_b64 v[33:34], 2, v[5:6]
	s_delay_alu instid0(VALU_DEP_4) | instskip(SKIP_3) | instid1(VALU_DEP_3)
	v_and_b32_e32 v6, v37, v38
	v_cndmask_b32_e64 v70, 1, 2, vcc_lo
	v_cmp_eq_u32_e32 vcc_lo, 0, v23
	v_add_nc_u32_e32 v41, v42, v27
	v_and_b32_e32 v74, v6, v70
	v_cndmask_b32_e64 v72, 1, 2, vcc_lo
	v_add_co_u32 v71, vcc_lo, s18, v2
	v_add_co_ci_u32_e32 v73, vcc_lo, s19, v3, vcc_lo
	v_add_nc_u32_e32 v40, v41, v28
	s_delay_alu instid0(VALU_DEP_3) | instskip(NEXT) | instid1(VALU_DEP_3)
	v_add_co_u32 v70, vcc_lo, v71, v33
	v_add_co_ci_u32_e32 v71, vcc_lo, v73, v34, vcc_lo
	v_cmp_eq_u32_e32 vcc_lo, 0, v24
	s_delay_alu instid0(VALU_DEP_4)
	v_add_nc_u32_e32 v39, v40, v25
	v_and_b32_e32 v72, v74, v72
	s_mov_b32 s18, -1
	v_cndmask_b32_e64 v73, 1, 2, vcc_lo
	v_cmp_eq_u32_e32 vcc_lo, 0, v58
	v_add_nc_u32_e32 v38, v39, v26
	s_delay_alu instid0(VALU_DEP_3) | instskip(SKIP_1) | instid1(VALU_DEP_3)
	v_and_b32_e32 v72, v72, v73
	v_cndmask_b32_e64 v73, 1, 2, vcc_lo
	v_add_nc_u32_e32 v37, v38, v23
	v_cmp_gt_u32_e32 vcc_lo, 0x100, v1
	s_delay_alu instid0(VALU_DEP_3) | instskip(NEXT) | instid1(VALU_DEP_3)
	v_and_b32_e32 v72, v72, v73
	v_add_nc_u32_e32 v6, v37, v24
	s_delay_alu instid0(VALU_DEP_2)
	v_cmp_gt_i16_e64 s16, 2, v72
	s_cbranch_vccz .LBB216_168
; %bb.162:
	s_delay_alu instid0(VALU_DEP_1)
	s_and_saveexec_b32 s18, s16
	s_cbranch_execz .LBB216_167
; %bb.163:
	s_mov_b32 s19, 0
	s_mov_b32 s16, exec_lo
	v_cmpx_ne_u16_e32 1, v72
	s_xor_b32 s16, exec_lo, s16
	s_cbranch_execnz .LBB216_233
; %bb.164:
	s_and_not1_saveexec_b32 s16, s16
	s_cbranch_execnz .LBB216_249
.LBB216_165:
	s_or_b32 exec_lo, exec_lo, s16
	s_delay_alu instid0(SALU_CYCLE_1)
	s_and_b32 exec_lo, exec_lo, s19
	s_cbranch_execz .LBB216_167
.LBB216_166:
	v_sub_nc_u32_e32 v73, v6, v5
	v_mov_b32_e32 v74, 0
	s_delay_alu instid0(VALU_DEP_1) | instskip(NEXT) | instid1(VALU_DEP_1)
	v_lshlrev_b64 v[73:74], 2, v[73:74]
	v_add_co_u32 v73, vcc_lo, v70, v73
	s_delay_alu instid0(VALU_DEP_2)
	v_add_co_ci_u32_e32 v74, vcc_lo, v71, v74, vcc_lo
	global_store_b32 v[73:74], v57, off
.LBB216_167:
	s_or_b32 exec_lo, exec_lo, s18
	s_mov_b32 s18, 0
.LBB216_168:
	s_delay_alu instid0(SALU_CYCLE_1)
	s_and_b32 vcc_lo, exec_lo, s18
	s_cbranch_vccz .LBB216_178
; %bb.169:
	s_mov_b32 s16, exec_lo
	v_cmpx_gt_i16_e32 2, v72
	s_cbranch_execz .LBB216_174
; %bb.170:
	s_mov_b32 s19, 0
	s_mov_b32 s18, exec_lo
	v_cmpx_ne_u16_e32 1, v72
	s_xor_b32 s18, exec_lo, s18
	s_cbranch_execnz .LBB216_250
; %bb.171:
	s_and_not1_saveexec_b32 s0, s18
	s_cbranch_execnz .LBB216_266
.LBB216_172:
	s_or_b32 exec_lo, exec_lo, s0
	s_delay_alu instid0(SALU_CYCLE_1)
	s_and_b32 exec_lo, exec_lo, s19
	s_cbranch_execz .LBB216_174
.LBB216_173:
	v_sub_nc_u32_e32 v9, v6, v5
	s_delay_alu instid0(VALU_DEP_1)
	v_lshlrev_b32_e32 v9, 2, v9
	ds_store_b32 v9, v57
.LBB216_174:
	s_or_b32 exec_lo, exec_lo, s16
	s_delay_alu instid0(SALU_CYCLE_1)
	s_mov_b32 s1, exec_lo
	s_waitcnt lgkmcnt(0)
	s_waitcnt_vscnt null, 0x0
	s_barrier
	buffer_gl0_inv
	v_cmpx_lt_u32_e64 v0, v1
	s_cbranch_execz .LBB216_177
; %bb.175:
	v_dual_mov_b32 v10, 0 :: v_dual_lshlrev_b32 v11, 2, v0
	v_mov_b32_e32 v9, v0
	s_mov_b32 s3, 0
	.p2align	6
.LBB216_176:                            ; =>This Inner Loop Header: Depth=1
	ds_load_b32 v14, v11
	v_lshlrev_b64 v[12:13], 2, v[9:10]
	v_add_nc_u32_e32 v9, 0x100, v9
	v_add_nc_u32_e32 v11, 0x400, v11
	s_delay_alu instid0(VALU_DEP_2) | instskip(NEXT) | instid1(VALU_DEP_4)
	v_cmp_ge_u32_e32 vcc_lo, v9, v1
	v_add_co_u32 v12, s0, v70, v12
	s_delay_alu instid0(VALU_DEP_1)
	v_add_co_ci_u32_e64 v13, s0, v71, v13, s0
	s_or_b32 s3, vcc_lo, s3
	s_waitcnt lgkmcnt(0)
	global_store_b32 v[12:13], v14, off
	s_and_not1_b32 exec_lo, exec_lo, s3
	s_cbranch_execnz .LBB216_176
.LBB216_177:
	s_or_b32 exec_lo, exec_lo, s1
.LBB216_178:
	s_cmpk_lg_i32 s26, 0xf00
	v_cndmask_b32_e64 v14, 0, 1, s27
	s_cselect_b32 s0, -1, 0
	v_mad_i32_i24 v11, v0, -15, s26
	s_and_b32 s0, s0, s17
	s_and_b32 s1, s2, s27
	v_cndmask_b32_e64 v10, 0, 1, s0
	s_mul_hi_u32 s0, s26, 0x88888889
	v_sub_nc_u32_e32 v9, v1, v14
	s_lshr_b32 s0, s0, 3
	v_cndmask_b32_e64 v12, v49, 0, s1
	v_cmp_eq_u32_e32 vcc_lo, s0, v0
	v_cmp_ne_u32_e64 s0, 0, v11
	s_mov_b32 s16, -1
	s_waitcnt_vscnt null, 0x0
	s_barrier
	s_and_b32 vcc_lo, vcc_lo, s17
	v_add_nc_u32_e32 v9, v9, v10
	v_cndmask_b32_e64 v10, 1, v12, s0
	v_cmp_ne_u32_e64 s0, 1, v11
	buffer_gl0_inv
	v_cndmask_b32_e32 v18, v12, v10, vcc_lo
	v_cndmask_b32_e64 v13, 1, v50, s0
	v_cmp_ne_u32_e64 s0, 14, v11
	s_delay_alu instid0(VALU_DEP_3) | instskip(NEXT) | instid1(VALU_DEP_2)
	v_cmp_ne_u32_e64 s14, 0, v18
	v_cndmask_b32_e64 v15, 1, v58, s0
	v_cmp_ne_u32_e64 s0, 2, v11
	s_delay_alu instid0(VALU_DEP_2) | instskip(NEXT) | instid1(VALU_DEP_2)
	v_cndmask_b32_e32 v15, v58, v15, vcc_lo
	v_cndmask_b32_e64 v16, 1, v35, s0
	v_cmp_ne_u32_e64 s0, 3, v11
	s_delay_alu instid0(VALU_DEP_2) | instskip(NEXT) | instid1(VALU_DEP_2)
	v_cndmask_b32_e32 v16, v35, v16, vcc_lo
	v_cndmask_b32_e64 v17, 1, v36, s0
	v_cmp_ne_u32_e64 s0, 4, v11
	s_delay_alu instid0(VALU_DEP_3) | instskip(NEXT) | instid1(VALU_DEP_2)
	v_cmp_ne_u32_e64 s12, 0, v16
	v_cndmask_b32_e64 v10, 1, v31, s0
	v_cmp_ne_u32_e64 s0, 5, v11
	s_delay_alu instid0(VALU_DEP_1) | instskip(SKIP_2) | instid1(VALU_DEP_3)
	v_cndmask_b32_e64 v12, 1, v32, s0
	v_cndmask_b32_e32 v19, v50, v13, vcc_lo
	v_cmp_eq_u32_e64 s0, 0, v18
	v_cndmask_b32_e32 v32, v32, v12, vcc_lo
	s_delay_alu instid0(VALU_DEP_3) | instskip(NEXT) | instid1(VALU_DEP_3)
	v_cmp_ne_u32_e64 s13, 0, v19
	v_cndmask_b32_e64 v13, 1, 2, s0
	v_cmp_eq_u32_e64 s0, 0, v19
	s_delay_alu instid0(VALU_DEP_4) | instskip(NEXT) | instid1(VALU_DEP_2)
	v_cmp_ne_u32_e64 s9, 0, v32
	v_cndmask_b32_e64 v20, 1, 2, s0
	v_cmp_ne_u32_e64 s0, 6, v11
	s_delay_alu instid0(VALU_DEP_2) | instskip(NEXT) | instid1(VALU_DEP_2)
	v_and_b32_e32 v13, v20, v13
	v_cndmask_b32_e64 v21, 1, v29, s0
	v_cmp_eq_u32_e64 s0, 0, v16
	s_delay_alu instid0(VALU_DEP_2) | instskip(NEXT) | instid1(VALU_DEP_2)
	v_cndmask_b32_e32 v21, v29, v21, vcc_lo
	v_cndmask_b32_e64 v20, 1, 2, s0
	v_cmp_ne_u32_e64 s0, 7, v11
	s_delay_alu instid0(VALU_DEP_1) | instskip(SKIP_1) | instid1(VALU_DEP_2)
	v_cndmask_b32_e64 v22, 1, v30, s0
	v_cmp_ne_u32_e64 s0, 8, v11
	v_dual_cndmask_b32 v22, v30, v22 :: v_dual_and_b32 v13, v13, v20
	v_cndmask_b32_e32 v17, v36, v17, vcc_lo
	s_delay_alu instid0(VALU_DEP_3) | instskip(NEXT) | instid1(VALU_DEP_3)
	v_cndmask_b32_e64 v35, 1, v27, s0
	v_cmp_ne_u32_e64 s7, 0, v22
	s_delay_alu instid0(VALU_DEP_3) | instskip(NEXT) | instid1(VALU_DEP_3)
	v_cmp_eq_u32_e64 s0, 0, v17
	v_cndmask_b32_e32 v27, v27, v35, vcc_lo
	s_delay_alu instid0(VALU_DEP_2) | instskip(SKIP_1) | instid1(VALU_DEP_3)
	v_cndmask_b32_e64 v20, 1, 2, s0
	v_cmp_ne_u32_e64 s0, 9, v11
	v_cmp_ne_u32_e64 s6, 0, v27
	s_delay_alu instid0(VALU_DEP_3) | instskip(NEXT) | instid1(VALU_DEP_3)
	v_dual_cndmask_b32 v31, v31, v10 :: v_dual_and_b32 v12, v13, v20
	v_cndmask_b32_e64 v10, 1, v28, s0
	v_cmp_ne_u32_e64 s11, 0, v17
	s_delay_alu instid0(VALU_DEP_3) | instskip(NEXT) | instid1(VALU_DEP_1)
	v_cmp_eq_u32_e64 s0, 0, v31
	v_cndmask_b32_e64 v13, 1, 2, s0
	v_cmp_ne_u32_e64 s0, 10, v11
	s_delay_alu instid0(VALU_DEP_2) | instskip(NEXT) | instid1(VALU_DEP_2)
	v_and_b32_e32 v12, v12, v13
	v_cndmask_b32_e64 v20, 1, v25, s0
	v_cmp_ne_u32_e64 s0, 12, v11
	v_cmp_ne_u32_e64 s10, 0, v31
	s_delay_alu instid0(VALU_DEP_3) | instskip(NEXT) | instid1(VALU_DEP_3)
	v_dual_cndmask_b32 v20, v25, v20 :: v_dual_cndmask_b32 v25, v28, v10
	v_cndmask_b32_e64 v36, 1, v23, s0
	v_cmp_eq_u32_e64 s0, 0, v32
	s_delay_alu instid0(VALU_DEP_3) | instskip(NEXT) | instid1(VALU_DEP_4)
	v_cmp_ne_u32_e64 s4, 0, v20
	v_cmp_ne_u32_e64 s5, 0, v25
	s_delay_alu instid0(VALU_DEP_4) | instskip(NEXT) | instid1(VALU_DEP_4)
	v_cndmask_b32_e32 v23, v23, v36, vcc_lo
	v_cndmask_b32_e64 v13, 1, 2, s0
	v_cmp_ne_u32_e64 s0, 13, v11
	s_delay_alu instid0(VALU_DEP_3) | instskip(NEXT) | instid1(VALU_DEP_3)
	v_cmp_ne_u32_e64 s2, 0, v23
	v_and_b32_e32 v12, v12, v13
	s_delay_alu instid0(VALU_DEP_3) | instskip(SKIP_1) | instid1(VALU_DEP_2)
	v_cndmask_b32_e64 v29, 1, v24, s0
	v_cmp_eq_u32_e64 s0, 0, v21
	v_cndmask_b32_e32 v24, v24, v29, vcc_lo
	s_delay_alu instid0(VALU_DEP_2) | instskip(SKIP_1) | instid1(VALU_DEP_3)
	v_cndmask_b32_e64 v13, 1, 2, s0
	v_cmp_ne_u32_e64 s0, 11, v11
	v_cmp_ne_u32_e64 s1, 0, v24
	s_delay_alu instid0(VALU_DEP_3) | instskip(NEXT) | instid1(VALU_DEP_3)
	v_and_b32_e32 v12, v12, v13
	v_cndmask_b32_e64 v11, 1, v26, s0
	v_cmp_eq_u32_e64 s0, 0, v22
	s_delay_alu instid0(VALU_DEP_2) | instskip(SKIP_1) | instid1(VALU_DEP_3)
	v_cndmask_b32_e32 v26, v26, v11, vcc_lo
	v_cmp_eq_u32_e32 vcc_lo, 0, v27
	v_cndmask_b32_e64 v13, 1, 2, s0
	v_cmp_ne_u32_e64 s8, 0, v21
	v_cmp_ne_u32_e64 s0, 0, v15
	;; [unrolled: 1-line block ×3, first 2 shown]
	v_cndmask_b32_e64 v11, 1, 2, vcc_lo
	v_add_co_u32 v2, vcc_lo, s28, v2
	v_add_co_ci_u32_e32 v3, vcc_lo, s29, v3, vcc_lo
	v_and_b32_e32 v10, v12, v13
	v_cmp_eq_u32_e32 vcc_lo, 0, v25
	s_delay_alu instid0(VALU_DEP_2)
	v_and_b32_e32 v12, v10, v11
	v_cndmask_b32_e64 v13, 1, 2, vcc_lo
	v_add_co_u32 v10, vcc_lo, v2, v33
	v_add_co_ci_u32_e32 v11, vcc_lo, v3, v34, vcc_lo
	v_lshlrev_b32_e32 v2, 2, v14
	v_cmp_eq_u32_e32 vcc_lo, 0, v20
	v_and_b32_e32 v3, v12, v13
	v_cndmask_b32_e64 v12, 1, 2, vcc_lo
	s_delay_alu instid0(VALU_DEP_4) | instskip(SKIP_2) | instid1(VALU_DEP_4)
	v_add_co_u32 v2, vcc_lo, v2, v10
	v_add_co_ci_u32_e32 v13, vcc_lo, 0, v11, vcc_lo
	v_cmp_eq_u32_e32 vcc_lo, 0, v26
	v_and_b32_e32 v3, v3, v12
	v_cndmask_b32_e64 v28, 1, 2, vcc_lo
	v_add_co_u32 v12, vcc_lo, v2, -4
	v_add_co_ci_u32_e32 v13, vcc_lo, -1, v13, vcc_lo
	v_cmp_eq_u32_e32 vcc_lo, 0, v23
	v_add_nc_u32_e32 v2, v5, v14
	v_and_b32_e32 v3, v3, v28
	v_cndmask_b32_e64 v14, 1, 2, vcc_lo
	v_cmp_eq_u32_e32 vcc_lo, 0, v24
	s_delay_alu instid0(VALU_DEP_2) | instskip(SKIP_2) | instid1(VALU_DEP_2)
	v_and_b32_e32 v3, v3, v14
	v_cndmask_b32_e64 v14, 1, 2, vcc_lo
	v_cmp_eq_u32_e32 vcc_lo, 0, v15
	v_and_b32_e32 v3, v3, v14
	v_cndmask_b32_e64 v14, 1, 2, vcc_lo
	v_cmp_gt_u32_e32 vcc_lo, 0x100, v9
	s_delay_alu instid0(VALU_DEP_2) | instskip(NEXT) | instid1(VALU_DEP_1)
	v_and_b32_e32 v3, v3, v14
	v_cmp_gt_i16_e64 s15, 2, v3
	s_cbranch_vccnz .LBB216_182
; %bb.179:
	s_and_b32 vcc_lo, exec_lo, s16
	s_cbranch_vccnz .LBB216_188
.LBB216_180:
	v_cmp_eq_u32_e32 vcc_lo, 0xff, v0
	s_and_b32 s0, vcc_lo, s17
	s_delay_alu instid0(SALU_CYCLE_1)
	s_and_saveexec_b32 s1, s0
	s_cbranch_execnz .LBB216_197
.LBB216_181:
	s_nop 0
	s_sendmsg sendmsg(MSG_DEALLOC_VGPRS)
	s_endpgm
.LBB216_182:
	s_delay_alu instid0(VALU_DEP_1)
	s_and_saveexec_b32 s16, s15
	s_cbranch_execz .LBB216_187
; %bb.183:
	s_mov_b32 s18, 0
	s_mov_b32 s15, exec_lo
	v_cmpx_ne_u16_e32 1, v3
	s_xor_b32 s15, exec_lo, s15
	s_cbranch_execnz .LBB216_267
; %bb.184:
	s_and_not1_saveexec_b32 s15, s15
	s_cbranch_execnz .LBB216_283
.LBB216_185:
	s_or_b32 exec_lo, exec_lo, s15
	s_delay_alu instid0(SALU_CYCLE_1)
	s_and_b32 exec_lo, exec_lo, s18
	s_cbranch_execz .LBB216_187
.LBB216_186:
	v_sub_nc_u32_e32 v14, v6, v2
	v_mov_b32_e32 v15, 0
	s_delay_alu instid0(VALU_DEP_1) | instskip(NEXT) | instid1(VALU_DEP_1)
	v_lshlrev_b64 v[14:15], 2, v[14:15]
	v_add_co_u32 v14, vcc_lo, v12, v14
	s_delay_alu instid0(VALU_DEP_2)
	v_add_co_ci_u32_e32 v15, vcc_lo, v13, v15, vcc_lo
	global_store_b32 v[14:15], v60, off
.LBB216_187:
	s_or_b32 exec_lo, exec_lo, s16
	s_branch .LBB216_180
.LBB216_188:
	s_mov_b32 s15, exec_lo
	v_cmpx_gt_i16_e32 2, v3
	s_cbranch_execz .LBB216_193
; %bb.189:
	s_mov_b32 s18, 0
	s_mov_b32 s16, exec_lo
	v_cmpx_ne_u16_e32 1, v3
	s_xor_b32 s16, exec_lo, s16
	s_cbranch_execnz .LBB216_284
; %bb.190:
	s_and_not1_saveexec_b32 s0, s16
	s_cbranch_execnz .LBB216_300
.LBB216_191:
	s_or_b32 exec_lo, exec_lo, s0
	s_delay_alu instid0(SALU_CYCLE_1)
	s_and_b32 exec_lo, exec_lo, s18
	s_cbranch_execz .LBB216_193
.LBB216_192:
	v_sub_nc_u32_e32 v2, v6, v2
	s_delay_alu instid0(VALU_DEP_1)
	v_lshlrev_b32_e32 v2, 2, v2
	ds_store_b32 v2, v60
.LBB216_193:
	s_or_b32 exec_lo, exec_lo, s15
	s_delay_alu instid0(SALU_CYCLE_1)
	s_mov_b32 s1, exec_lo
	s_waitcnt lgkmcnt(0)
	s_waitcnt_vscnt null, 0x0
	s_barrier
	buffer_gl0_inv
	v_cmpx_lt_u32_e64 v0, v9
	s_cbranch_execz .LBB216_196
; %bb.194:
	v_dual_mov_b32 v3, 0 :: v_dual_lshlrev_b32 v4, 2, v0
	v_mov_b32_e32 v2, v0
	s_mov_b32 s2, 0
	.p2align	6
.LBB216_195:                            ; =>This Inner Loop Header: Depth=1
	ds_load_b32 v6, v4
	v_lshlrev_b64 v[14:15], 2, v[2:3]
	v_add_nc_u32_e32 v2, 0x100, v2
	v_add_nc_u32_e32 v4, 0x400, v4
	s_delay_alu instid0(VALU_DEP_2) | instskip(NEXT) | instid1(VALU_DEP_4)
	v_cmp_ge_u32_e32 vcc_lo, v2, v9
	v_add_co_u32 v14, s0, v12, v14
	s_delay_alu instid0(VALU_DEP_1)
	v_add_co_ci_u32_e64 v15, s0, v13, v15, s0
	s_or_b32 s2, vcc_lo, s2
	s_waitcnt lgkmcnt(0)
	global_store_b32 v[14:15], v6, off
	s_and_not1_b32 exec_lo, exec_lo, s2
	s_cbranch_execnz .LBB216_195
.LBB216_196:
	s_or_b32 exec_lo, exec_lo, s1
	v_cmp_eq_u32_e32 vcc_lo, 0xff, v0
	s_and_b32 s0, vcc_lo, s17
	s_delay_alu instid0(SALU_CYCLE_1)
	s_and_saveexec_b32 s1, s0
	s_cbranch_execz .LBB216_181
.LBB216_197:
	v_add_co_u32 v0, s0, v1, v5
	s_delay_alu instid0(VALU_DEP_1) | instskip(SKIP_1) | instid1(VALU_DEP_3)
	v_add_co_ci_u32_e64 v4, null, 0, 0, s0
	v_mov_b32_e32 v2, 0
	v_add_co_u32 v3, vcc_lo, v0, v7
	s_delay_alu instid0(VALU_DEP_3)
	v_add_co_ci_u32_e32 v4, vcc_lo, v4, v8, vcc_lo
	s_cmpk_lg_i32 s26, 0xf00
	global_store_b64 v2, v[3:4], s[30:31]
	s_cbranch_scc1 .LBB216_181
; %bb.198:
	v_lshlrev_b64 v[0:1], 2, v[1:2]
	s_delay_alu instid0(VALU_DEP_1) | instskip(NEXT) | instid1(VALU_DEP_2)
	v_add_co_u32 v0, vcc_lo, v10, v0
	v_add_co_ci_u32_e32 v1, vcc_lo, v11, v1, vcc_lo
	global_store_b32 v[0:1], v51, off offset:-4
	s_nop 0
	s_sendmsg sendmsg(MSG_DEALLOC_VGPRS)
	s_endpgm
.LBB216_199:
                                        ; implicit-def: $sgpr4
                                        ; implicit-def: $vgpr58
                                        ; implicit-def: $vgpr24
                                        ; implicit-def: $vgpr23
                                        ; implicit-def: $vgpr26
                                        ; implicit-def: $vgpr25
                                        ; implicit-def: $vgpr28
                                        ; implicit-def: $vgpr27
                                        ; implicit-def: $vgpr30
                                        ; implicit-def: $vgpr29
                                        ; implicit-def: $vgpr32
                                        ; implicit-def: $vgpr31
                                        ; implicit-def: $vgpr36
                                        ; implicit-def: $vgpr35
                                        ; implicit-def: $vgpr50
	s_cbranch_execz .LBB216_113
.LBB216_200:
	v_mad_u32_u24 v23, v0, 15, 14
	s_waitcnt lgkmcnt(0)
	v_dual_mov_b32 v24, 0 :: v_dual_lshlrev_b32 v3, 2, v0
	v_mul_u32_u24_e32 v1, 15, v0
	v_mov_b32_e32 v58, 0
	s_mov_b32 s4, exec_lo
	ds_store_b32 v3, v57
	v_cmpx_gt_u64_e64 s[0:1], v[23:24]
	s_cbranch_execz .LBB216_202
; %bb.201:
	v_cvt_i32_f32_e32 v2, v10
	v_cvt_i32_f32_e32 v4, v57
	s_delay_alu instid0(VALU_DEP_2) | instskip(NEXT) | instid1(VALU_DEP_2)
	v_mul_hi_i32 v2, 0x66666667, v2
	v_mul_hi_i32 v4, 0x66666667, v4
	s_delay_alu instid0(VALU_DEP_2) | instskip(SKIP_1) | instid1(VALU_DEP_3)
	v_lshrrev_b32_e32 v5, 31, v2
	v_ashrrev_i32_e32 v2, 2, v2
	v_lshrrev_b32_e32 v6, 31, v4
	v_ashrrev_i32_e32 v4, 2, v4
	s_delay_alu instid0(VALU_DEP_3) | instskip(NEXT) | instid1(VALU_DEP_2)
	v_add_nc_u32_e32 v2, v2, v5
	v_add_nc_u32_e32 v4, v4, v6
	s_delay_alu instid0(VALU_DEP_1)
	v_cmp_ne_u32_e32 vcc_lo, v2, v4
	v_cndmask_b32_e64 v58, 0, 1, vcc_lo
.LBB216_202:
	s_or_b32 exec_lo, exec_lo, s4
	v_add_nc_u32_e32 v23, 13, v1
	s_mov_b32 s4, exec_lo
	s_delay_alu instid0(VALU_DEP_1)
	v_cmpx_gt_u64_e64 s[0:1], v[23:24]
	s_cbranch_execz .LBB216_204
; %bb.203:
	v_cvt_i32_f32_e32 v2, v9
	v_cvt_i32_f32_e32 v4, v10
	s_delay_alu instid0(VALU_DEP_2) | instskip(NEXT) | instid1(VALU_DEP_2)
	v_mul_hi_i32 v2, 0x66666667, v2
	v_mul_hi_i32 v4, 0x66666667, v4
	s_delay_alu instid0(VALU_DEP_2) | instskip(SKIP_1) | instid1(VALU_DEP_3)
	v_lshrrev_b32_e32 v5, 31, v2
	v_ashrrev_i32_e32 v2, 2, v2
	v_lshrrev_b32_e32 v6, 31, v4
	v_ashrrev_i32_e32 v4, 2, v4
	s_delay_alu instid0(VALU_DEP_3) | instskip(NEXT) | instid1(VALU_DEP_2)
	v_add_nc_u32_e32 v2, v2, v5
	v_add_nc_u32_e32 v4, v4, v6
	s_delay_alu instid0(VALU_DEP_1)
	v_cmp_ne_u32_e32 vcc_lo, v2, v4
	v_cndmask_b32_e64 v24, 0, 1, vcc_lo
.LBB216_204:
	s_or_b32 exec_lo, exec_lo, s4
	v_dual_mov_b32 v26, 0 :: v_dual_add_nc_u32 v25, 12, v1
	v_mov_b32_e32 v23, 0
	s_mov_b32 s4, exec_lo
	s_delay_alu instid0(VALU_DEP_2)
	v_cmpx_gt_u64_e64 s[0:1], v[25:26]
	s_cbranch_execz .LBB216_206
; %bb.205:
	v_cvt_i32_f32_e32 v2, v12
	v_cvt_i32_f32_e32 v4, v9
	s_delay_alu instid0(VALU_DEP_2) | instskip(NEXT) | instid1(VALU_DEP_2)
	v_mul_hi_i32 v2, 0x66666667, v2
	v_mul_hi_i32 v4, 0x66666667, v4
	s_delay_alu instid0(VALU_DEP_2) | instskip(SKIP_1) | instid1(VALU_DEP_3)
	v_lshrrev_b32_e32 v5, 31, v2
	v_ashrrev_i32_e32 v2, 2, v2
	v_lshrrev_b32_e32 v6, 31, v4
	v_ashrrev_i32_e32 v4, 2, v4
	s_delay_alu instid0(VALU_DEP_3) | instskip(NEXT) | instid1(VALU_DEP_2)
	v_add_nc_u32_e32 v2, v2, v5
	v_add_nc_u32_e32 v4, v4, v6
	s_delay_alu instid0(VALU_DEP_1)
	v_cmp_ne_u32_e32 vcc_lo, v2, v4
	v_cndmask_b32_e64 v23, 0, 1, vcc_lo
.LBB216_206:
	s_or_b32 exec_lo, exec_lo, s4
	v_add_nc_u32_e32 v25, 11, v1
	s_mov_b32 s4, exec_lo
	s_delay_alu instid0(VALU_DEP_1)
	v_cmpx_gt_u64_e64 s[0:1], v[25:26]
	s_cbranch_execz .LBB216_208
; %bb.207:
	v_cvt_i32_f32_e32 v2, v11
	v_cvt_i32_f32_e32 v4, v12
	s_delay_alu instid0(VALU_DEP_2) | instskip(NEXT) | instid1(VALU_DEP_2)
	v_mul_hi_i32 v2, 0x66666667, v2
	v_mul_hi_i32 v4, 0x66666667, v4
	s_delay_alu instid0(VALU_DEP_2) | instskip(SKIP_1) | instid1(VALU_DEP_3)
	v_lshrrev_b32_e32 v5, 31, v2
	v_ashrrev_i32_e32 v2, 2, v2
	v_lshrrev_b32_e32 v6, 31, v4
	v_ashrrev_i32_e32 v4, 2, v4
	s_delay_alu instid0(VALU_DEP_3) | instskip(NEXT) | instid1(VALU_DEP_2)
	v_add_nc_u32_e32 v2, v2, v5
	v_add_nc_u32_e32 v4, v4, v6
	s_delay_alu instid0(VALU_DEP_1)
	v_cmp_ne_u32_e32 vcc_lo, v2, v4
	v_cndmask_b32_e64 v26, 0, 1, vcc_lo
.LBB216_208:
	s_or_b32 exec_lo, exec_lo, s4
	v_dual_mov_b32 v28, 0 :: v_dual_add_nc_u32 v27, 10, v1
	v_mov_b32_e32 v25, 0
	s_mov_b32 s4, exec_lo
	s_delay_alu instid0(VALU_DEP_2)
	;; [unrolled: 49-line block ×6, first 2 shown]
	v_cmpx_gt_u64_e64 s[0:1], v[49:50]
	s_cbranch_execz .LBB216_226
; %bb.225:
	v_cvt_i32_f32_e32 v2, v22
	v_cvt_i32_f32_e32 v4, v19
	s_delay_alu instid0(VALU_DEP_2) | instskip(NEXT) | instid1(VALU_DEP_2)
	v_mul_hi_i32 v2, 0x66666667, v2
	v_mul_hi_i32 v4, 0x66666667, v4
	s_delay_alu instid0(VALU_DEP_2) | instskip(SKIP_1) | instid1(VALU_DEP_3)
	v_lshrrev_b32_e32 v5, 31, v2
	v_ashrrev_i32_e32 v2, 2, v2
	v_lshrrev_b32_e32 v6, 31, v4
	v_ashrrev_i32_e32 v4, 2, v4
	s_delay_alu instid0(VALU_DEP_3) | instskip(NEXT) | instid1(VALU_DEP_2)
	v_add_nc_u32_e32 v2, v2, v5
	v_add_nc_u32_e32 v4, v4, v6
	s_delay_alu instid0(VALU_DEP_1)
	v_cmp_ne_u32_e32 vcc_lo, v2, v4
	v_cndmask_b32_e64 v35, 0, 1, vcc_lo
.LBB216_226:
	s_or_b32 exec_lo, exec_lo, s4
	v_add_nc_u32_e32 v49, 1, v1
	s_mov_b32 s4, exec_lo
	s_delay_alu instid0(VALU_DEP_1)
	v_cmpx_gt_u64_e64 s[0:1], v[49:50]
	s_cbranch_execz .LBB216_228
; %bb.227:
	v_cvt_i32_f32_e32 v2, v21
	v_cvt_i32_f32_e32 v4, v22
	s_delay_alu instid0(VALU_DEP_2) | instskip(NEXT) | instid1(VALU_DEP_2)
	v_mul_hi_i32 v2, 0x66666667, v2
	v_mul_hi_i32 v4, 0x66666667, v4
	s_delay_alu instid0(VALU_DEP_2) | instskip(SKIP_1) | instid1(VALU_DEP_3)
	v_lshrrev_b32_e32 v5, 31, v2
	v_ashrrev_i32_e32 v2, 2, v2
	v_lshrrev_b32_e32 v6, 31, v4
	v_ashrrev_i32_e32 v4, 2, v4
	s_delay_alu instid0(VALU_DEP_3) | instskip(NEXT) | instid1(VALU_DEP_2)
	v_add_nc_u32_e32 v2, v2, v5
	v_add_nc_u32_e32 v4, v4, v6
	s_delay_alu instid0(VALU_DEP_1)
	v_cmp_ne_u32_e32 vcc_lo, v2, v4
	v_cndmask_b32_e64 v50, 0, 1, vcc_lo
.LBB216_228:
	s_or_b32 exec_lo, exec_lo, s4
	s_waitcnt lgkmcnt(0)
	s_barrier
	buffer_gl0_inv
                                        ; implicit-def: $sgpr4
	s_and_saveexec_b32 s5, s3
	s_cbranch_execz .LBB216_232
; %bb.229:
	v_mov_b32_e32 v2, 0
	s_delay_alu instid0(VALU_DEP_1)
	v_cmp_gt_u64_e32 vcc_lo, s[0:1], v[1:2]
	s_mov_b32 s1, 0
	s_and_saveexec_b32 s0, vcc_lo
	s_cbranch_execz .LBB216_231
; %bb.230:
	v_add_nc_u32_e32 v1, -4, v3
	v_cvt_i32_f32_e32 v2, v21
	ds_load_b32 v1, v1
	v_mul_hi_i32 v2, 0x66666667, v2
	s_delay_alu instid0(VALU_DEP_1) | instskip(SKIP_1) | instid1(VALU_DEP_1)
	v_lshrrev_b32_e32 v3, 31, v2
	v_ashrrev_i32_e32 v2, 2, v2
	v_add_nc_u32_e32 v2, v2, v3
	s_waitcnt lgkmcnt(0)
	v_cvt_i32_f32_e32 v1, v1
	s_delay_alu instid0(VALU_DEP_1) | instskip(NEXT) | instid1(VALU_DEP_1)
	v_mul_hi_i32 v1, 0x66666667, v1
	v_lshrrev_b32_e32 v4, 31, v1
	v_ashrrev_i32_e32 v1, 2, v1
	s_delay_alu instid0(VALU_DEP_1) | instskip(NEXT) | instid1(VALU_DEP_1)
	v_add_nc_u32_e32 v1, v1, v4
	v_cmp_ne_u32_e32 vcc_lo, v1, v2
	s_and_b32 s1, vcc_lo, exec_lo
.LBB216_231:
	s_or_b32 exec_lo, exec_lo, s0
	s_delay_alu instid0(SALU_CYCLE_1)
	s_and_b32 s4, s1, exec_lo
	s_or_b32 s15, s15, exec_lo
.LBB216_232:
	s_or_b32 exec_lo, exec_lo, s5
	s_mov_b32 s0, 1
	s_delay_alu instid0(SALU_CYCLE_1)
	v_mov_b32_e32 v49, s0
	s_and_saveexec_b32 s0, s15
	s_cbranch_execnz .LBB216_115
	s_branch .LBB216_116
.LBB216_233:
	s_and_saveexec_b32 s19, s13
	s_cbranch_execnz .LBB216_301
; %bb.234:
	s_or_b32 exec_lo, exec_lo, s19
	s_and_saveexec_b32 s19, s12
	s_cbranch_execnz .LBB216_302
.LBB216_235:
	s_or_b32 exec_lo, exec_lo, s19
	s_and_saveexec_b32 s19, s10
	s_cbranch_execnz .LBB216_303
.LBB216_236:
	s_or_b32 exec_lo, exec_lo, s19
	s_and_saveexec_b32 s19, s9
	s_cbranch_execnz .LBB216_304
.LBB216_237:
	s_or_b32 exec_lo, exec_lo, s19
	s_and_saveexec_b32 s19, s15
	s_cbranch_execnz .LBB216_305
.LBB216_238:
	s_or_b32 exec_lo, exec_lo, s19
	s_and_saveexec_b32 s19, s14
	s_cbranch_execnz .LBB216_306
.LBB216_239:
	s_or_b32 exec_lo, exec_lo, s19
	s_and_saveexec_b32 s19, s11
	s_cbranch_execnz .LBB216_307
.LBB216_240:
	s_or_b32 exec_lo, exec_lo, s19
	s_and_saveexec_b32 s19, s8
	s_cbranch_execnz .LBB216_308
.LBB216_241:
	s_or_b32 exec_lo, exec_lo, s19
	s_and_saveexec_b32 s19, s7
	s_cbranch_execnz .LBB216_309
.LBB216_242:
	s_or_b32 exec_lo, exec_lo, s19
	s_and_saveexec_b32 s19, s6
	s_cbranch_execnz .LBB216_310
.LBB216_243:
	s_or_b32 exec_lo, exec_lo, s19
	s_and_saveexec_b32 s19, s5
	s_cbranch_execnz .LBB216_311
.LBB216_244:
	s_or_b32 exec_lo, exec_lo, s19
	s_and_saveexec_b32 s19, s4
	s_cbranch_execnz .LBB216_312
.LBB216_245:
	s_or_b32 exec_lo, exec_lo, s19
	s_and_saveexec_b32 s19, s3
	s_cbranch_execnz .LBB216_313
.LBB216_246:
	s_or_b32 exec_lo, exec_lo, s19
	s_and_saveexec_b32 s19, s1
	s_cbranch_execz .LBB216_248
.LBB216_247:
	v_sub_nc_u32_e32 v73, v37, v5
	v_mov_b32_e32 v74, 0
	s_delay_alu instid0(VALU_DEP_1) | instskip(NEXT) | instid1(VALU_DEP_1)
	v_lshlrev_b64 v[73:74], 2, v[73:74]
	v_add_co_u32 v73, vcc_lo, v70, v73
	s_delay_alu instid0(VALU_DEP_2)
	v_add_co_ci_u32_e32 v74, vcc_lo, v71, v74, vcc_lo
	global_store_b32 v[73:74], v10, off
.LBB216_248:
	s_or_b32 exec_lo, exec_lo, s19
	s_delay_alu instid0(SALU_CYCLE_1)
	s_and_b32 s19, s0, exec_lo
	s_and_not1_saveexec_b32 s16, s16
	s_cbranch_execz .LBB216_165
.LBB216_249:
	v_sub_nc_u32_e32 v73, v4, v5
	v_mov_b32_e32 v74, 0
	s_or_b32 s19, s19, exec_lo
	s_delay_alu instid0(VALU_DEP_1) | instskip(SKIP_1) | instid1(VALU_DEP_1)
	v_lshlrev_b64 v[75:76], 2, v[73:74]
	v_sub_nc_u32_e32 v73, v47, v5
	v_lshlrev_b64 v[77:78], 2, v[73:74]
	v_sub_nc_u32_e32 v73, v59, v5
	s_delay_alu instid0(VALU_DEP_4) | instskip(SKIP_1) | instid1(VALU_DEP_3)
	v_add_co_u32 v75, vcc_lo, v70, v75
	v_add_co_ci_u32_e32 v76, vcc_lo, v71, v76, vcc_lo
	v_lshlrev_b64 v[79:80], 2, v[73:74]
	v_sub_nc_u32_e32 v73, v48, v5
	v_add_co_u32 v77, vcc_lo, v70, v77
	v_add_co_ci_u32_e32 v78, vcc_lo, v71, v78, vcc_lo
	global_store_b32 v[75:76], v21, off
	v_lshlrev_b64 v[75:76], 2, v[73:74]
	v_sub_nc_u32_e32 v73, v46, v5
	global_store_b32 v[77:78], v22, off
	v_add_co_u32 v77, vcc_lo, v70, v79
	v_add_co_ci_u32_e32 v78, vcc_lo, v71, v80, vcc_lo
	v_lshlrev_b64 v[79:80], 2, v[73:74]
	v_sub_nc_u32_e32 v73, v45, v5
	v_add_co_u32 v75, vcc_lo, v70, v75
	v_add_co_ci_u32_e32 v76, vcc_lo, v71, v76, vcc_lo
	s_delay_alu instid0(VALU_DEP_3) | instskip(SKIP_3) | instid1(VALU_DEP_3)
	v_lshlrev_b64 v[81:82], 2, v[73:74]
	v_sub_nc_u32_e32 v73, v44, v5
	v_add_co_u32 v79, vcc_lo, v70, v79
	v_add_co_ci_u32_e32 v80, vcc_lo, v71, v80, vcc_lo
	v_lshlrev_b64 v[83:84], 2, v[73:74]
	v_sub_nc_u32_e32 v73, v43, v5
	v_add_co_u32 v81, vcc_lo, v70, v81
	v_add_co_ci_u32_e32 v82, vcc_lo, v71, v82, vcc_lo
	s_clause 0x3
	global_store_b32 v[77:78], v19, off
	global_store_b32 v[75:76], v20, off
	;; [unrolled: 1-line block ×4, first 2 shown]
	v_lshlrev_b64 v[75:76], 2, v[73:74]
	v_sub_nc_u32_e32 v73, v42, v5
	v_add_co_u32 v77, vcc_lo, v70, v83
	v_add_co_ci_u32_e32 v78, vcc_lo, v71, v84, vcc_lo
	s_delay_alu instid0(VALU_DEP_3) | instskip(SKIP_3) | instid1(VALU_DEP_3)
	v_lshlrev_b64 v[79:80], 2, v[73:74]
	v_sub_nc_u32_e32 v73, v41, v5
	v_add_co_u32 v75, vcc_lo, v70, v75
	v_add_co_ci_u32_e32 v76, vcc_lo, v71, v76, vcc_lo
	v_lshlrev_b64 v[81:82], 2, v[73:74]
	v_sub_nc_u32_e32 v73, v40, v5
	v_add_co_u32 v79, vcc_lo, v70, v79
	v_add_co_ci_u32_e32 v80, vcc_lo, v71, v80, vcc_lo
	s_delay_alu instid0(VALU_DEP_3)
	v_lshlrev_b64 v[83:84], 2, v[73:74]
	v_sub_nc_u32_e32 v73, v39, v5
	v_add_co_u32 v81, vcc_lo, v70, v81
	v_add_co_ci_u32_e32 v82, vcc_lo, v71, v82, vcc_lo
	s_clause 0x3
	global_store_b32 v[77:78], v15, off
	global_store_b32 v[75:76], v16, off
	;; [unrolled: 1-line block ×4, first 2 shown]
	v_lshlrev_b64 v[75:76], 2, v[73:74]
	v_sub_nc_u32_e32 v73, v38, v5
	v_add_co_u32 v77, vcc_lo, v70, v83
	v_add_co_ci_u32_e32 v78, vcc_lo, v71, v84, vcc_lo
	s_delay_alu instid0(VALU_DEP_3) | instskip(SKIP_3) | instid1(VALU_DEP_3)
	v_lshlrev_b64 v[79:80], 2, v[73:74]
	v_sub_nc_u32_e32 v73, v37, v5
	v_add_co_u32 v75, vcc_lo, v70, v75
	v_add_co_ci_u32_e32 v76, vcc_lo, v71, v76, vcc_lo
	v_lshlrev_b64 v[73:74], 2, v[73:74]
	v_add_co_u32 v79, vcc_lo, v70, v79
	v_add_co_ci_u32_e32 v80, vcc_lo, v71, v80, vcc_lo
	s_clause 0x2
	global_store_b32 v[77:78], v11, off
	global_store_b32 v[75:76], v12, off
	;; [unrolled: 1-line block ×3, first 2 shown]
	v_add_co_u32 v73, vcc_lo, v70, v73
	v_add_co_ci_u32_e32 v74, vcc_lo, v71, v74, vcc_lo
	global_store_b32 v[73:74], v10, off
	s_or_b32 exec_lo, exec_lo, s16
	s_delay_alu instid0(SALU_CYCLE_1)
	s_and_b32 exec_lo, exec_lo, s19
	s_cbranch_execnz .LBB216_166
	s_branch .LBB216_167
.LBB216_250:
	s_and_saveexec_b32 s19, s13
	s_cbranch_execnz .LBB216_314
; %bb.251:
	s_or_b32 exec_lo, exec_lo, s19
	s_and_saveexec_b32 s13, s12
	s_cbranch_execnz .LBB216_315
.LBB216_252:
	s_or_b32 exec_lo, exec_lo, s13
	s_and_saveexec_b32 s12, s10
	s_cbranch_execnz .LBB216_316
.LBB216_253:
	s_or_b32 exec_lo, exec_lo, s12
	s_and_saveexec_b32 s10, s9
	s_cbranch_execnz .LBB216_317
.LBB216_254:
	s_or_b32 exec_lo, exec_lo, s10
	s_and_saveexec_b32 s9, s15
	s_cbranch_execnz .LBB216_318
.LBB216_255:
	s_or_b32 exec_lo, exec_lo, s9
	s_and_saveexec_b32 s9, s14
	s_cbranch_execnz .LBB216_319
.LBB216_256:
	s_or_b32 exec_lo, exec_lo, s9
	s_and_saveexec_b32 s9, s11
	s_cbranch_execnz .LBB216_320
.LBB216_257:
	s_or_b32 exec_lo, exec_lo, s9
	s_and_saveexec_b32 s9, s8
	s_cbranch_execnz .LBB216_321
.LBB216_258:
	s_or_b32 exec_lo, exec_lo, s9
	s_and_saveexec_b32 s8, s7
	s_cbranch_execnz .LBB216_322
.LBB216_259:
	s_or_b32 exec_lo, exec_lo, s8
	s_and_saveexec_b32 s7, s6
	s_cbranch_execnz .LBB216_323
.LBB216_260:
	s_or_b32 exec_lo, exec_lo, s7
	s_and_saveexec_b32 s6, s5
	s_cbranch_execnz .LBB216_324
.LBB216_261:
	s_or_b32 exec_lo, exec_lo, s6
	s_and_saveexec_b32 s5, s4
	s_cbranch_execnz .LBB216_325
.LBB216_262:
	s_or_b32 exec_lo, exec_lo, s5
	s_and_saveexec_b32 s4, s3
	s_cbranch_execnz .LBB216_326
.LBB216_263:
	s_or_b32 exec_lo, exec_lo, s4
	s_and_saveexec_b32 s3, s1
	s_cbranch_execz .LBB216_265
.LBB216_264:
	v_sub_nc_u32_e32 v9, v37, v5
	s_delay_alu instid0(VALU_DEP_1)
	v_lshlrev_b32_e32 v9, 2, v9
	ds_store_b32 v9, v10
.LBB216_265:
	s_or_b32 exec_lo, exec_lo, s3
	s_delay_alu instid0(SALU_CYCLE_1)
	s_and_b32 s19, s0, exec_lo
                                        ; implicit-def: $vgpr21
                                        ; implicit-def: $vgpr19
                                        ; implicit-def: $vgpr17
                                        ; implicit-def: $vgpr15
                                        ; implicit-def: $vgpr13
                                        ; implicit-def: $vgpr11
                                        ; implicit-def: $vgpr9
	s_and_not1_saveexec_b32 s0, s18
	s_cbranch_execz .LBB216_172
.LBB216_266:
	v_sub_nc_u32_e32 v72, v4, v5
	v_sub_nc_u32_e32 v75, v48, v5
	;; [unrolled: 1-line block ×4, first 2 shown]
	s_or_b32 s19, s19, exec_lo
	v_lshlrev_b32_e32 v72, 2, v72
	v_lshlrev_b32_e32 v75, 2, v75
	;; [unrolled: 1-line block ×4, first 2 shown]
	ds_store_b32 v72, v21
	ds_store_b32 v73, v22
	;; [unrolled: 1-line block ×3, first 2 shown]
	v_sub_nc_u32_e32 v19, v46, v5
	ds_store_b32 v75, v20
	v_sub_nc_u32_e32 v20, v45, v5
	v_sub_nc_u32_e32 v21, v44, v5
	;; [unrolled: 1-line block ×3, first 2 shown]
	v_lshlrev_b32_e32 v19, 2, v19
	v_sub_nc_u32_e32 v72, v42, v5
	v_lshlrev_b32_e32 v20, 2, v20
	v_lshlrev_b32_e32 v21, 2, v21
	;; [unrolled: 1-line block ×3, first 2 shown]
	ds_store_b32 v19, v17
	v_lshlrev_b32_e32 v17, 2, v72
	ds_store_b32 v20, v18
	ds_store_b32 v21, v15
	;; [unrolled: 1-line block ×3, first 2 shown]
	v_sub_nc_u32_e32 v15, v41, v5
	v_sub_nc_u32_e32 v18, v37, v5
	;; [unrolled: 1-line block ×3, first 2 shown]
	ds_store_b32 v17, v13
	v_sub_nc_u32_e32 v13, v40, v5
	v_lshlrev_b32_e32 v15, 2, v15
	v_sub_nc_u32_e32 v17, v38, v5
	v_lshlrev_b32_e32 v16, 2, v16
	s_delay_alu instid0(VALU_DEP_4)
	v_lshlrev_b32_e32 v13, 2, v13
	ds_store_b32 v15, v14
	v_lshlrev_b32_e32 v14, 2, v18
	v_lshlrev_b32_e32 v17, 2, v17
	ds_store_b32 v13, v11
	ds_store_b32 v16, v12
	;; [unrolled: 1-line block ×4, first 2 shown]
	s_or_b32 exec_lo, exec_lo, s0
	s_delay_alu instid0(SALU_CYCLE_1)
	s_and_b32 exec_lo, exec_lo, s19
	s_cbranch_execnz .LBB216_173
	s_branch .LBB216_174
.LBB216_267:
	s_and_saveexec_b32 s18, s14
	s_cbranch_execnz .LBB216_327
; %bb.268:
	s_or_b32 exec_lo, exec_lo, s18
	s_and_saveexec_b32 s18, s13
	s_cbranch_execnz .LBB216_328
.LBB216_269:
	s_or_b32 exec_lo, exec_lo, s18
	s_and_saveexec_b32 s18, s12
	s_cbranch_execnz .LBB216_329
.LBB216_270:
	s_or_b32 exec_lo, exec_lo, s18
	s_and_saveexec_b32 s18, s11
	s_cbranch_execnz .LBB216_330
.LBB216_271:
	s_or_b32 exec_lo, exec_lo, s18
	s_and_saveexec_b32 s18, s10
	s_cbranch_execnz .LBB216_331
.LBB216_272:
	s_or_b32 exec_lo, exec_lo, s18
	s_and_saveexec_b32 s18, s9
	s_cbranch_execnz .LBB216_332
.LBB216_273:
	s_or_b32 exec_lo, exec_lo, s18
	s_and_saveexec_b32 s18, s8
	s_cbranch_execnz .LBB216_333
.LBB216_274:
	s_or_b32 exec_lo, exec_lo, s18
	s_and_saveexec_b32 s18, s7
	s_cbranch_execnz .LBB216_334
.LBB216_275:
	s_or_b32 exec_lo, exec_lo, s18
	s_and_saveexec_b32 s18, s6
	s_cbranch_execnz .LBB216_335
.LBB216_276:
	s_or_b32 exec_lo, exec_lo, s18
	s_and_saveexec_b32 s18, s5
	s_cbranch_execnz .LBB216_336
.LBB216_277:
	s_or_b32 exec_lo, exec_lo, s18
	s_and_saveexec_b32 s18, s4
	s_cbranch_execnz .LBB216_337
.LBB216_278:
	s_or_b32 exec_lo, exec_lo, s18
	s_and_saveexec_b32 s18, s3
	s_cbranch_execnz .LBB216_338
.LBB216_279:
	s_or_b32 exec_lo, exec_lo, s18
	s_and_saveexec_b32 s18, s2
	s_cbranch_execnz .LBB216_339
.LBB216_280:
	s_or_b32 exec_lo, exec_lo, s18
	s_and_saveexec_b32 s18, s1
	s_cbranch_execz .LBB216_282
.LBB216_281:
	v_sub_nc_u32_e32 v14, v37, v2
	v_mov_b32_e32 v15, 0
	s_delay_alu instid0(VALU_DEP_1) | instskip(NEXT) | instid1(VALU_DEP_1)
	v_lshlrev_b64 v[14:15], 2, v[14:15]
	v_add_co_u32 v14, vcc_lo, v12, v14
	s_delay_alu instid0(VALU_DEP_2)
	v_add_co_ci_u32_e32 v15, vcc_lo, v13, v15, vcc_lo
	global_store_b32 v[14:15], v52, off
.LBB216_282:
	s_or_b32 exec_lo, exec_lo, s18
	s_delay_alu instid0(SALU_CYCLE_1)
	s_and_b32 s18, s0, exec_lo
	s_and_not1_saveexec_b32 s15, s15
	s_cbranch_execz .LBB216_185
.LBB216_283:
	v_sub_nc_u32_e32 v14, v4, v2
	v_mov_b32_e32 v15, 0
	s_or_b32 s18, s18, exec_lo
	s_delay_alu instid0(VALU_DEP_1) | instskip(SKIP_1) | instid1(VALU_DEP_1)
	v_lshlrev_b64 v[16:17], 2, v[14:15]
	v_sub_nc_u32_e32 v14, v47, v2
	v_lshlrev_b64 v[18:19], 2, v[14:15]
	v_sub_nc_u32_e32 v14, v59, v2
	s_delay_alu instid0(VALU_DEP_4) | instskip(SKIP_1) | instid1(VALU_DEP_3)
	v_add_co_u32 v16, vcc_lo, v12, v16
	v_add_co_ci_u32_e32 v17, vcc_lo, v13, v17, vcc_lo
	v_lshlrev_b64 v[20:21], 2, v[14:15]
	v_sub_nc_u32_e32 v14, v48, v2
	v_add_co_u32 v18, vcc_lo, v12, v18
	v_add_co_ci_u32_e32 v19, vcc_lo, v13, v19, vcc_lo
	global_store_b32 v[16:17], v69, off
	v_lshlrev_b64 v[16:17], 2, v[14:15]
	v_sub_nc_u32_e32 v14, v46, v2
	global_store_b32 v[18:19], v68, off
	v_add_co_u32 v18, vcc_lo, v12, v20
	v_add_co_ci_u32_e32 v19, vcc_lo, v13, v21, vcc_lo
	v_lshlrev_b64 v[20:21], 2, v[14:15]
	v_sub_nc_u32_e32 v14, v45, v2
	v_add_co_u32 v16, vcc_lo, v12, v16
	v_add_co_ci_u32_e32 v17, vcc_lo, v13, v17, vcc_lo
	s_delay_alu instid0(VALU_DEP_3) | instskip(SKIP_3) | instid1(VALU_DEP_3)
	v_lshlrev_b64 v[22:23], 2, v[14:15]
	v_sub_nc_u32_e32 v14, v44, v2
	v_add_co_u32 v20, vcc_lo, v12, v20
	v_add_co_ci_u32_e32 v21, vcc_lo, v13, v21, vcc_lo
	v_lshlrev_b64 v[24:25], 2, v[14:15]
	v_sub_nc_u32_e32 v14, v43, v2
	v_add_co_u32 v22, vcc_lo, v12, v22
	v_add_co_ci_u32_e32 v23, vcc_lo, v13, v23, vcc_lo
	s_clause 0x3
	global_store_b32 v[18:19], v67, off
	global_store_b32 v[16:17], v66, off
	;; [unrolled: 1-line block ×4, first 2 shown]
	v_lshlrev_b64 v[16:17], 2, v[14:15]
	v_sub_nc_u32_e32 v14, v42, v2
	v_add_co_u32 v18, vcc_lo, v12, v24
	v_add_co_ci_u32_e32 v19, vcc_lo, v13, v25, vcc_lo
	s_delay_alu instid0(VALU_DEP_3) | instskip(SKIP_3) | instid1(VALU_DEP_3)
	v_lshlrev_b64 v[20:21], 2, v[14:15]
	v_sub_nc_u32_e32 v14, v41, v2
	v_add_co_u32 v16, vcc_lo, v12, v16
	v_add_co_ci_u32_e32 v17, vcc_lo, v13, v17, vcc_lo
	v_lshlrev_b64 v[22:23], 2, v[14:15]
	v_sub_nc_u32_e32 v14, v40, v2
	v_add_co_u32 v20, vcc_lo, v12, v20
	v_add_co_ci_u32_e32 v21, vcc_lo, v13, v21, vcc_lo
	s_delay_alu instid0(VALU_DEP_3)
	v_lshlrev_b64 v[24:25], 2, v[14:15]
	v_sub_nc_u32_e32 v14, v39, v2
	v_add_co_u32 v22, vcc_lo, v12, v22
	v_add_co_ci_u32_e32 v23, vcc_lo, v13, v23, vcc_lo
	s_clause 0x3
	global_store_b32 v[18:19], v63, off
	global_store_b32 v[16:17], v62, off
	;; [unrolled: 1-line block ×4, first 2 shown]
	v_lshlrev_b64 v[16:17], 2, v[14:15]
	v_sub_nc_u32_e32 v14, v38, v2
	v_add_co_u32 v18, vcc_lo, v12, v24
	v_add_co_ci_u32_e32 v19, vcc_lo, v13, v25, vcc_lo
	s_delay_alu instid0(VALU_DEP_3) | instskip(SKIP_3) | instid1(VALU_DEP_3)
	v_lshlrev_b64 v[20:21], 2, v[14:15]
	v_sub_nc_u32_e32 v14, v37, v2
	v_add_co_u32 v16, vcc_lo, v12, v16
	v_add_co_ci_u32_e32 v17, vcc_lo, v13, v17, vcc_lo
	v_lshlrev_b64 v[14:15], 2, v[14:15]
	v_add_co_u32 v20, vcc_lo, v12, v20
	v_add_co_ci_u32_e32 v21, vcc_lo, v13, v21, vcc_lo
	s_clause 0x2
	global_store_b32 v[18:19], v55, off
	global_store_b32 v[16:17], v53, off
	;; [unrolled: 1-line block ×3, first 2 shown]
	v_add_co_u32 v14, vcc_lo, v12, v14
	v_add_co_ci_u32_e32 v15, vcc_lo, v13, v15, vcc_lo
	global_store_b32 v[14:15], v52, off
	s_or_b32 exec_lo, exec_lo, s15
	s_delay_alu instid0(SALU_CYCLE_1)
	s_and_b32 exec_lo, exec_lo, s18
	s_cbranch_execnz .LBB216_186
	s_branch .LBB216_187
.LBB216_284:
	s_and_saveexec_b32 s18, s14
	s_cbranch_execnz .LBB216_340
; %bb.285:
	s_or_b32 exec_lo, exec_lo, s18
	s_and_saveexec_b32 s14, s13
	s_cbranch_execnz .LBB216_341
.LBB216_286:
	s_or_b32 exec_lo, exec_lo, s14
	s_and_saveexec_b32 s13, s12
	s_cbranch_execnz .LBB216_342
.LBB216_287:
	s_or_b32 exec_lo, exec_lo, s13
	s_and_saveexec_b32 s12, s11
	s_cbranch_execnz .LBB216_343
.LBB216_288:
	s_or_b32 exec_lo, exec_lo, s12
	s_and_saveexec_b32 s11, s10
	s_cbranch_execnz .LBB216_344
.LBB216_289:
	s_or_b32 exec_lo, exec_lo, s11
	s_and_saveexec_b32 s10, s9
	s_cbranch_execnz .LBB216_345
.LBB216_290:
	s_or_b32 exec_lo, exec_lo, s10
	s_and_saveexec_b32 s9, s8
	s_cbranch_execnz .LBB216_346
.LBB216_291:
	s_or_b32 exec_lo, exec_lo, s9
	s_and_saveexec_b32 s8, s7
	s_cbranch_execnz .LBB216_347
.LBB216_292:
	s_or_b32 exec_lo, exec_lo, s8
	s_and_saveexec_b32 s7, s6
	s_cbranch_execnz .LBB216_348
.LBB216_293:
	s_or_b32 exec_lo, exec_lo, s7
	s_and_saveexec_b32 s6, s5
	s_cbranch_execnz .LBB216_349
.LBB216_294:
	s_or_b32 exec_lo, exec_lo, s6
	s_and_saveexec_b32 s5, s4
	s_cbranch_execnz .LBB216_350
.LBB216_295:
	s_or_b32 exec_lo, exec_lo, s5
	s_and_saveexec_b32 s4, s3
	s_cbranch_execnz .LBB216_351
.LBB216_296:
	s_or_b32 exec_lo, exec_lo, s4
	s_and_saveexec_b32 s3, s2
	s_cbranch_execnz .LBB216_352
.LBB216_297:
	s_or_b32 exec_lo, exec_lo, s3
	s_and_saveexec_b32 s2, s1
	s_cbranch_execz .LBB216_299
.LBB216_298:
	v_sub_nc_u32_e32 v3, v37, v2
	s_delay_alu instid0(VALU_DEP_1)
	v_lshlrev_b32_e32 v3, 2, v3
	ds_store_b32 v3, v52
.LBB216_299:
	s_or_b32 exec_lo, exec_lo, s2
	s_delay_alu instid0(SALU_CYCLE_1)
	s_and_b32 s18, s0, exec_lo
                                        ; implicit-def: $vgpr52
                                        ; implicit-def: $vgpr54
                                        ; implicit-def: $vgpr53
                                        ; implicit-def: $vgpr55
                                        ; implicit-def: $vgpr56
                                        ; implicit-def: $vgpr61
                                        ; implicit-def: $vgpr62
                                        ; implicit-def: $vgpr63
                                        ; implicit-def: $vgpr64
                                        ; implicit-def: $vgpr65
                                        ; implicit-def: $vgpr66
                                        ; implicit-def: $vgpr67
                                        ; implicit-def: $vgpr68
                                        ; implicit-def: $vgpr69
                                        ; implicit-def: $vgpr47
                                        ; implicit-def: $vgpr59
                                        ; implicit-def: $vgpr48
                                        ; implicit-def: $vgpr46
                                        ; implicit-def: $vgpr45
                                        ; implicit-def: $vgpr44
                                        ; implicit-def: $vgpr43
                                        ; implicit-def: $vgpr42
                                        ; implicit-def: $vgpr41
                                        ; implicit-def: $vgpr40
                                        ; implicit-def: $vgpr39
                                        ; implicit-def: $vgpr38
                                        ; implicit-def: $vgpr37
	s_and_not1_saveexec_b32 s0, s16
	s_cbranch_execz .LBB216_191
.LBB216_300:
	v_sub_nc_u32_e32 v3, v4, v2
	v_sub_nc_u32_e32 v4, v47, v2
	;; [unrolled: 1-line block ×5, first 2 shown]
	v_lshlrev_b32_e32 v3, 2, v3
	v_lshlrev_b32_e32 v4, 2, v4
	;; [unrolled: 1-line block ×4, first 2 shown]
	s_or_b32 s18, s18, exec_lo
	ds_store_b32 v3, v69
	ds_store_b32 v4, v68
	;; [unrolled: 1-line block ×3, first 2 shown]
	v_sub_nc_u32_e32 v3, v46, v2
	v_sub_nc_u32_e32 v4, v45, v2
	v_sub_nc_u32_e32 v14, v44, v2
	ds_store_b32 v15, v66
	v_sub_nc_u32_e32 v15, v43, v2
	v_lshlrev_b32_e32 v3, 2, v3
	v_lshlrev_b32_e32 v4, 2, v4
	;; [unrolled: 1-line block ×3, first 2 shown]
	s_delay_alu instid0(VALU_DEP_4)
	v_lshlrev_b32_e32 v15, 2, v15
	ds_store_b32 v3, v65
	v_lshlrev_b32_e32 v3, 2, v16
	ds_store_b32 v4, v64
	ds_store_b32 v14, v63
	;; [unrolled: 1-line block ×3, first 2 shown]
	v_sub_nc_u32_e32 v4, v41, v2
	v_sub_nc_u32_e32 v16, v37, v2
	;; [unrolled: 1-line block ×3, first 2 shown]
	ds_store_b32 v3, v61
	v_sub_nc_u32_e32 v3, v40, v2
	v_lshlrev_b32_e32 v4, 2, v4
	v_sub_nc_u32_e32 v15, v38, v2
	v_lshlrev_b32_e32 v14, 2, v14
	s_delay_alu instid0(VALU_DEP_4)
	v_lshlrev_b32_e32 v3, 2, v3
	ds_store_b32 v4, v56
	v_lshlrev_b32_e32 v4, 2, v16
	v_lshlrev_b32_e32 v15, 2, v15
	ds_store_b32 v3, v55
	ds_store_b32 v14, v53
	;; [unrolled: 1-line block ×4, first 2 shown]
	s_or_b32 exec_lo, exec_lo, s0
	s_delay_alu instid0(SALU_CYCLE_1)
	s_and_b32 exec_lo, exec_lo, s18
	s_cbranch_execnz .LBB216_192
	s_branch .LBB216_193
.LBB216_301:
	v_sub_nc_u32_e32 v73, v4, v5
	v_mov_b32_e32 v74, 0
	s_delay_alu instid0(VALU_DEP_1) | instskip(NEXT) | instid1(VALU_DEP_1)
	v_lshlrev_b64 v[73:74], 2, v[73:74]
	v_add_co_u32 v73, vcc_lo, v70, v73
	s_delay_alu instid0(VALU_DEP_2)
	v_add_co_ci_u32_e32 v74, vcc_lo, v71, v74, vcc_lo
	global_store_b32 v[73:74], v21, off
	s_or_b32 exec_lo, exec_lo, s19
	s_and_saveexec_b32 s19, s12
	s_cbranch_execz .LBB216_235
.LBB216_302:
	v_sub_nc_u32_e32 v73, v47, v5
	v_mov_b32_e32 v74, 0
	s_delay_alu instid0(VALU_DEP_1) | instskip(NEXT) | instid1(VALU_DEP_1)
	v_lshlrev_b64 v[73:74], 2, v[73:74]
	v_add_co_u32 v73, vcc_lo, v70, v73
	s_delay_alu instid0(VALU_DEP_2)
	v_add_co_ci_u32_e32 v74, vcc_lo, v71, v74, vcc_lo
	global_store_b32 v[73:74], v22, off
	s_or_b32 exec_lo, exec_lo, s19
	s_and_saveexec_b32 s19, s10
	s_cbranch_execz .LBB216_236
.LBB216_303:
	v_sub_nc_u32_e32 v73, v59, v5
	v_mov_b32_e32 v74, 0
	s_delay_alu instid0(VALU_DEP_1) | instskip(NEXT) | instid1(VALU_DEP_1)
	v_lshlrev_b64 v[73:74], 2, v[73:74]
	v_add_co_u32 v73, vcc_lo, v70, v73
	s_delay_alu instid0(VALU_DEP_2)
	v_add_co_ci_u32_e32 v74, vcc_lo, v71, v74, vcc_lo
	global_store_b32 v[73:74], v19, off
	s_or_b32 exec_lo, exec_lo, s19
	s_and_saveexec_b32 s19, s9
	s_cbranch_execz .LBB216_237
.LBB216_304:
	v_sub_nc_u32_e32 v73, v48, v5
	v_mov_b32_e32 v74, 0
	s_delay_alu instid0(VALU_DEP_1) | instskip(NEXT) | instid1(VALU_DEP_1)
	v_lshlrev_b64 v[73:74], 2, v[73:74]
	v_add_co_u32 v73, vcc_lo, v70, v73
	s_delay_alu instid0(VALU_DEP_2)
	v_add_co_ci_u32_e32 v74, vcc_lo, v71, v74, vcc_lo
	global_store_b32 v[73:74], v20, off
	s_or_b32 exec_lo, exec_lo, s19
	s_and_saveexec_b32 s19, s15
	s_cbranch_execz .LBB216_238
.LBB216_305:
	v_sub_nc_u32_e32 v73, v46, v5
	v_mov_b32_e32 v74, 0
	s_delay_alu instid0(VALU_DEP_1) | instskip(NEXT) | instid1(VALU_DEP_1)
	v_lshlrev_b64 v[73:74], 2, v[73:74]
	v_add_co_u32 v73, vcc_lo, v70, v73
	s_delay_alu instid0(VALU_DEP_2)
	v_add_co_ci_u32_e32 v74, vcc_lo, v71, v74, vcc_lo
	global_store_b32 v[73:74], v17, off
	s_or_b32 exec_lo, exec_lo, s19
	s_and_saveexec_b32 s19, s14
	s_cbranch_execz .LBB216_239
.LBB216_306:
	v_sub_nc_u32_e32 v73, v45, v5
	v_mov_b32_e32 v74, 0
	s_delay_alu instid0(VALU_DEP_1) | instskip(NEXT) | instid1(VALU_DEP_1)
	v_lshlrev_b64 v[73:74], 2, v[73:74]
	v_add_co_u32 v73, vcc_lo, v70, v73
	s_delay_alu instid0(VALU_DEP_2)
	v_add_co_ci_u32_e32 v74, vcc_lo, v71, v74, vcc_lo
	global_store_b32 v[73:74], v18, off
	s_or_b32 exec_lo, exec_lo, s19
	s_and_saveexec_b32 s19, s11
	s_cbranch_execz .LBB216_240
.LBB216_307:
	v_sub_nc_u32_e32 v73, v44, v5
	v_mov_b32_e32 v74, 0
	s_delay_alu instid0(VALU_DEP_1) | instskip(NEXT) | instid1(VALU_DEP_1)
	v_lshlrev_b64 v[73:74], 2, v[73:74]
	v_add_co_u32 v73, vcc_lo, v70, v73
	s_delay_alu instid0(VALU_DEP_2)
	v_add_co_ci_u32_e32 v74, vcc_lo, v71, v74, vcc_lo
	global_store_b32 v[73:74], v15, off
	s_or_b32 exec_lo, exec_lo, s19
	s_and_saveexec_b32 s19, s8
	s_cbranch_execz .LBB216_241
.LBB216_308:
	v_sub_nc_u32_e32 v73, v43, v5
	v_mov_b32_e32 v74, 0
	s_delay_alu instid0(VALU_DEP_1) | instskip(NEXT) | instid1(VALU_DEP_1)
	v_lshlrev_b64 v[73:74], 2, v[73:74]
	v_add_co_u32 v73, vcc_lo, v70, v73
	s_delay_alu instid0(VALU_DEP_2)
	v_add_co_ci_u32_e32 v74, vcc_lo, v71, v74, vcc_lo
	global_store_b32 v[73:74], v16, off
	s_or_b32 exec_lo, exec_lo, s19
	s_and_saveexec_b32 s19, s7
	s_cbranch_execz .LBB216_242
.LBB216_309:
	v_sub_nc_u32_e32 v73, v42, v5
	v_mov_b32_e32 v74, 0
	s_delay_alu instid0(VALU_DEP_1) | instskip(NEXT) | instid1(VALU_DEP_1)
	v_lshlrev_b64 v[73:74], 2, v[73:74]
	v_add_co_u32 v73, vcc_lo, v70, v73
	s_delay_alu instid0(VALU_DEP_2)
	v_add_co_ci_u32_e32 v74, vcc_lo, v71, v74, vcc_lo
	global_store_b32 v[73:74], v13, off
	s_or_b32 exec_lo, exec_lo, s19
	s_and_saveexec_b32 s19, s6
	s_cbranch_execz .LBB216_243
.LBB216_310:
	v_sub_nc_u32_e32 v73, v41, v5
	v_mov_b32_e32 v74, 0
	s_delay_alu instid0(VALU_DEP_1) | instskip(NEXT) | instid1(VALU_DEP_1)
	v_lshlrev_b64 v[73:74], 2, v[73:74]
	v_add_co_u32 v73, vcc_lo, v70, v73
	s_delay_alu instid0(VALU_DEP_2)
	v_add_co_ci_u32_e32 v74, vcc_lo, v71, v74, vcc_lo
	global_store_b32 v[73:74], v14, off
	s_or_b32 exec_lo, exec_lo, s19
	s_and_saveexec_b32 s19, s5
	s_cbranch_execz .LBB216_244
.LBB216_311:
	v_sub_nc_u32_e32 v73, v40, v5
	v_mov_b32_e32 v74, 0
	s_delay_alu instid0(VALU_DEP_1) | instskip(NEXT) | instid1(VALU_DEP_1)
	v_lshlrev_b64 v[73:74], 2, v[73:74]
	v_add_co_u32 v73, vcc_lo, v70, v73
	s_delay_alu instid0(VALU_DEP_2)
	v_add_co_ci_u32_e32 v74, vcc_lo, v71, v74, vcc_lo
	global_store_b32 v[73:74], v11, off
	s_or_b32 exec_lo, exec_lo, s19
	s_and_saveexec_b32 s19, s4
	s_cbranch_execz .LBB216_245
.LBB216_312:
	v_sub_nc_u32_e32 v73, v39, v5
	v_mov_b32_e32 v74, 0
	s_delay_alu instid0(VALU_DEP_1) | instskip(NEXT) | instid1(VALU_DEP_1)
	v_lshlrev_b64 v[73:74], 2, v[73:74]
	v_add_co_u32 v73, vcc_lo, v70, v73
	s_delay_alu instid0(VALU_DEP_2)
	v_add_co_ci_u32_e32 v74, vcc_lo, v71, v74, vcc_lo
	global_store_b32 v[73:74], v12, off
	s_or_b32 exec_lo, exec_lo, s19
	s_and_saveexec_b32 s19, s3
	s_cbranch_execz .LBB216_246
.LBB216_313:
	v_sub_nc_u32_e32 v73, v38, v5
	v_mov_b32_e32 v74, 0
	s_delay_alu instid0(VALU_DEP_1) | instskip(NEXT) | instid1(VALU_DEP_1)
	v_lshlrev_b64 v[73:74], 2, v[73:74]
	v_add_co_u32 v73, vcc_lo, v70, v73
	s_delay_alu instid0(VALU_DEP_2)
	v_add_co_ci_u32_e32 v74, vcc_lo, v71, v74, vcc_lo
	global_store_b32 v[73:74], v9, off
	s_or_b32 exec_lo, exec_lo, s19
	s_and_saveexec_b32 s19, s1
	s_cbranch_execnz .LBB216_247
	s_branch .LBB216_248
.LBB216_314:
	v_sub_nc_u32_e32 v72, v4, v5
	s_delay_alu instid0(VALU_DEP_1)
	v_lshlrev_b32_e32 v72, 2, v72
	ds_store_b32 v72, v21
	s_or_b32 exec_lo, exec_lo, s19
	s_and_saveexec_b32 s13, s12
	s_cbranch_execz .LBB216_252
.LBB216_315:
	v_sub_nc_u32_e32 v21, v47, v5
	s_delay_alu instid0(VALU_DEP_1)
	v_lshlrev_b32_e32 v21, 2, v21
	ds_store_b32 v21, v22
	s_or_b32 exec_lo, exec_lo, s13
	s_and_saveexec_b32 s12, s10
	s_cbranch_execz .LBB216_253
.LBB216_316:
	v_sub_nc_u32_e32 v21, v59, v5
	s_delay_alu instid0(VALU_DEP_1)
	v_lshlrev_b32_e32 v21, 2, v21
	ds_store_b32 v21, v19
	s_or_b32 exec_lo, exec_lo, s12
	s_and_saveexec_b32 s10, s9
	s_cbranch_execz .LBB216_254
.LBB216_317:
	v_sub_nc_u32_e32 v19, v48, v5
	s_delay_alu instid0(VALU_DEP_1)
	v_lshlrev_b32_e32 v19, 2, v19
	ds_store_b32 v19, v20
	s_or_b32 exec_lo, exec_lo, s10
	s_and_saveexec_b32 s9, s15
	s_cbranch_execz .LBB216_255
.LBB216_318:
	v_sub_nc_u32_e32 v19, v46, v5
	s_delay_alu instid0(VALU_DEP_1)
	v_lshlrev_b32_e32 v19, 2, v19
	ds_store_b32 v19, v17
	s_or_b32 exec_lo, exec_lo, s9
	s_and_saveexec_b32 s9, s14
	s_cbranch_execz .LBB216_256
.LBB216_319:
	v_sub_nc_u32_e32 v17, v45, v5
	s_delay_alu instid0(VALU_DEP_1)
	v_lshlrev_b32_e32 v17, 2, v17
	ds_store_b32 v17, v18
	s_or_b32 exec_lo, exec_lo, s9
	s_and_saveexec_b32 s9, s11
	s_cbranch_execz .LBB216_257
.LBB216_320:
	v_sub_nc_u32_e32 v17, v44, v5
	s_delay_alu instid0(VALU_DEP_1)
	v_lshlrev_b32_e32 v17, 2, v17
	ds_store_b32 v17, v15
	s_or_b32 exec_lo, exec_lo, s9
	s_and_saveexec_b32 s9, s8
	s_cbranch_execz .LBB216_258
.LBB216_321:
	v_sub_nc_u32_e32 v15, v43, v5
	s_delay_alu instid0(VALU_DEP_1)
	v_lshlrev_b32_e32 v15, 2, v15
	ds_store_b32 v15, v16
	s_or_b32 exec_lo, exec_lo, s9
	s_and_saveexec_b32 s8, s7
	s_cbranch_execz .LBB216_259
.LBB216_322:
	v_sub_nc_u32_e32 v15, v42, v5
	s_delay_alu instid0(VALU_DEP_1)
	v_lshlrev_b32_e32 v15, 2, v15
	ds_store_b32 v15, v13
	s_or_b32 exec_lo, exec_lo, s8
	s_and_saveexec_b32 s7, s6
	s_cbranch_execz .LBB216_260
.LBB216_323:
	v_sub_nc_u32_e32 v13, v41, v5
	s_delay_alu instid0(VALU_DEP_1)
	v_lshlrev_b32_e32 v13, 2, v13
	ds_store_b32 v13, v14
	s_or_b32 exec_lo, exec_lo, s7
	s_and_saveexec_b32 s6, s5
	s_cbranch_execz .LBB216_261
.LBB216_324:
	v_sub_nc_u32_e32 v13, v40, v5
	s_delay_alu instid0(VALU_DEP_1)
	v_lshlrev_b32_e32 v13, 2, v13
	ds_store_b32 v13, v11
	s_or_b32 exec_lo, exec_lo, s6
	s_and_saveexec_b32 s5, s4
	s_cbranch_execz .LBB216_262
.LBB216_325:
	v_sub_nc_u32_e32 v11, v39, v5
	s_delay_alu instid0(VALU_DEP_1)
	v_lshlrev_b32_e32 v11, 2, v11
	ds_store_b32 v11, v12
	s_or_b32 exec_lo, exec_lo, s5
	s_and_saveexec_b32 s4, s3
	s_cbranch_execz .LBB216_263
.LBB216_326:
	v_sub_nc_u32_e32 v11, v38, v5
	s_delay_alu instid0(VALU_DEP_1)
	v_lshlrev_b32_e32 v11, 2, v11
	ds_store_b32 v11, v9
	s_or_b32 exec_lo, exec_lo, s4
	s_and_saveexec_b32 s3, s1
	s_cbranch_execnz .LBB216_264
	s_branch .LBB216_265
.LBB216_327:
	v_sub_nc_u32_e32 v14, v4, v2
	v_mov_b32_e32 v15, 0
	s_delay_alu instid0(VALU_DEP_1) | instskip(NEXT) | instid1(VALU_DEP_1)
	v_lshlrev_b64 v[14:15], 2, v[14:15]
	v_add_co_u32 v14, vcc_lo, v12, v14
	s_delay_alu instid0(VALU_DEP_2)
	v_add_co_ci_u32_e32 v15, vcc_lo, v13, v15, vcc_lo
	global_store_b32 v[14:15], v69, off
	s_or_b32 exec_lo, exec_lo, s18
	s_and_saveexec_b32 s18, s13
	s_cbranch_execz .LBB216_269
.LBB216_328:
	v_sub_nc_u32_e32 v14, v47, v2
	v_mov_b32_e32 v15, 0
	s_delay_alu instid0(VALU_DEP_1) | instskip(NEXT) | instid1(VALU_DEP_1)
	v_lshlrev_b64 v[14:15], 2, v[14:15]
	v_add_co_u32 v14, vcc_lo, v12, v14
	s_delay_alu instid0(VALU_DEP_2)
	v_add_co_ci_u32_e32 v15, vcc_lo, v13, v15, vcc_lo
	global_store_b32 v[14:15], v68, off
	s_or_b32 exec_lo, exec_lo, s18
	s_and_saveexec_b32 s18, s12
	s_cbranch_execz .LBB216_270
.LBB216_329:
	v_sub_nc_u32_e32 v14, v59, v2
	v_mov_b32_e32 v15, 0
	s_delay_alu instid0(VALU_DEP_1) | instskip(NEXT) | instid1(VALU_DEP_1)
	v_lshlrev_b64 v[14:15], 2, v[14:15]
	v_add_co_u32 v14, vcc_lo, v12, v14
	s_delay_alu instid0(VALU_DEP_2)
	v_add_co_ci_u32_e32 v15, vcc_lo, v13, v15, vcc_lo
	global_store_b32 v[14:15], v67, off
	s_or_b32 exec_lo, exec_lo, s18
	s_and_saveexec_b32 s18, s11
	s_cbranch_execz .LBB216_271
.LBB216_330:
	v_sub_nc_u32_e32 v14, v48, v2
	v_mov_b32_e32 v15, 0
	s_delay_alu instid0(VALU_DEP_1) | instskip(NEXT) | instid1(VALU_DEP_1)
	v_lshlrev_b64 v[14:15], 2, v[14:15]
	v_add_co_u32 v14, vcc_lo, v12, v14
	s_delay_alu instid0(VALU_DEP_2)
	v_add_co_ci_u32_e32 v15, vcc_lo, v13, v15, vcc_lo
	global_store_b32 v[14:15], v66, off
	s_or_b32 exec_lo, exec_lo, s18
	s_and_saveexec_b32 s18, s10
	s_cbranch_execz .LBB216_272
.LBB216_331:
	v_sub_nc_u32_e32 v14, v46, v2
	v_mov_b32_e32 v15, 0
	s_delay_alu instid0(VALU_DEP_1) | instskip(NEXT) | instid1(VALU_DEP_1)
	v_lshlrev_b64 v[14:15], 2, v[14:15]
	v_add_co_u32 v14, vcc_lo, v12, v14
	s_delay_alu instid0(VALU_DEP_2)
	v_add_co_ci_u32_e32 v15, vcc_lo, v13, v15, vcc_lo
	global_store_b32 v[14:15], v65, off
	s_or_b32 exec_lo, exec_lo, s18
	s_and_saveexec_b32 s18, s9
	s_cbranch_execz .LBB216_273
.LBB216_332:
	v_sub_nc_u32_e32 v14, v45, v2
	v_mov_b32_e32 v15, 0
	s_delay_alu instid0(VALU_DEP_1) | instskip(NEXT) | instid1(VALU_DEP_1)
	v_lshlrev_b64 v[14:15], 2, v[14:15]
	v_add_co_u32 v14, vcc_lo, v12, v14
	s_delay_alu instid0(VALU_DEP_2)
	v_add_co_ci_u32_e32 v15, vcc_lo, v13, v15, vcc_lo
	global_store_b32 v[14:15], v64, off
	s_or_b32 exec_lo, exec_lo, s18
	s_and_saveexec_b32 s18, s8
	s_cbranch_execz .LBB216_274
.LBB216_333:
	v_sub_nc_u32_e32 v14, v44, v2
	v_mov_b32_e32 v15, 0
	s_delay_alu instid0(VALU_DEP_1) | instskip(NEXT) | instid1(VALU_DEP_1)
	v_lshlrev_b64 v[14:15], 2, v[14:15]
	v_add_co_u32 v14, vcc_lo, v12, v14
	s_delay_alu instid0(VALU_DEP_2)
	v_add_co_ci_u32_e32 v15, vcc_lo, v13, v15, vcc_lo
	global_store_b32 v[14:15], v63, off
	s_or_b32 exec_lo, exec_lo, s18
	s_and_saveexec_b32 s18, s7
	s_cbranch_execz .LBB216_275
.LBB216_334:
	v_sub_nc_u32_e32 v14, v43, v2
	v_mov_b32_e32 v15, 0
	s_delay_alu instid0(VALU_DEP_1) | instskip(NEXT) | instid1(VALU_DEP_1)
	v_lshlrev_b64 v[14:15], 2, v[14:15]
	v_add_co_u32 v14, vcc_lo, v12, v14
	s_delay_alu instid0(VALU_DEP_2)
	v_add_co_ci_u32_e32 v15, vcc_lo, v13, v15, vcc_lo
	global_store_b32 v[14:15], v62, off
	s_or_b32 exec_lo, exec_lo, s18
	s_and_saveexec_b32 s18, s6
	s_cbranch_execz .LBB216_276
.LBB216_335:
	v_sub_nc_u32_e32 v14, v42, v2
	v_mov_b32_e32 v15, 0
	s_delay_alu instid0(VALU_DEP_1) | instskip(NEXT) | instid1(VALU_DEP_1)
	v_lshlrev_b64 v[14:15], 2, v[14:15]
	v_add_co_u32 v14, vcc_lo, v12, v14
	s_delay_alu instid0(VALU_DEP_2)
	v_add_co_ci_u32_e32 v15, vcc_lo, v13, v15, vcc_lo
	global_store_b32 v[14:15], v61, off
	s_or_b32 exec_lo, exec_lo, s18
	s_and_saveexec_b32 s18, s5
	s_cbranch_execz .LBB216_277
.LBB216_336:
	v_sub_nc_u32_e32 v14, v41, v2
	v_mov_b32_e32 v15, 0
	s_delay_alu instid0(VALU_DEP_1) | instskip(NEXT) | instid1(VALU_DEP_1)
	v_lshlrev_b64 v[14:15], 2, v[14:15]
	v_add_co_u32 v14, vcc_lo, v12, v14
	s_delay_alu instid0(VALU_DEP_2)
	v_add_co_ci_u32_e32 v15, vcc_lo, v13, v15, vcc_lo
	global_store_b32 v[14:15], v56, off
	s_or_b32 exec_lo, exec_lo, s18
	s_and_saveexec_b32 s18, s4
	s_cbranch_execz .LBB216_278
.LBB216_337:
	v_sub_nc_u32_e32 v14, v40, v2
	v_mov_b32_e32 v15, 0
	s_delay_alu instid0(VALU_DEP_1) | instskip(NEXT) | instid1(VALU_DEP_1)
	v_lshlrev_b64 v[14:15], 2, v[14:15]
	v_add_co_u32 v14, vcc_lo, v12, v14
	s_delay_alu instid0(VALU_DEP_2)
	v_add_co_ci_u32_e32 v15, vcc_lo, v13, v15, vcc_lo
	global_store_b32 v[14:15], v55, off
	s_or_b32 exec_lo, exec_lo, s18
	s_and_saveexec_b32 s18, s3
	s_cbranch_execz .LBB216_279
.LBB216_338:
	v_sub_nc_u32_e32 v14, v39, v2
	v_mov_b32_e32 v15, 0
	s_delay_alu instid0(VALU_DEP_1) | instskip(NEXT) | instid1(VALU_DEP_1)
	v_lshlrev_b64 v[14:15], 2, v[14:15]
	v_add_co_u32 v14, vcc_lo, v12, v14
	s_delay_alu instid0(VALU_DEP_2)
	v_add_co_ci_u32_e32 v15, vcc_lo, v13, v15, vcc_lo
	global_store_b32 v[14:15], v53, off
	s_or_b32 exec_lo, exec_lo, s18
	s_and_saveexec_b32 s18, s2
	s_cbranch_execz .LBB216_280
.LBB216_339:
	v_sub_nc_u32_e32 v14, v38, v2
	v_mov_b32_e32 v15, 0
	s_delay_alu instid0(VALU_DEP_1) | instskip(NEXT) | instid1(VALU_DEP_1)
	v_lshlrev_b64 v[14:15], 2, v[14:15]
	v_add_co_u32 v14, vcc_lo, v12, v14
	s_delay_alu instid0(VALU_DEP_2)
	v_add_co_ci_u32_e32 v15, vcc_lo, v13, v15, vcc_lo
	global_store_b32 v[14:15], v54, off
	s_or_b32 exec_lo, exec_lo, s18
	s_and_saveexec_b32 s18, s1
	s_cbranch_execnz .LBB216_281
	s_branch .LBB216_282
.LBB216_340:
	v_sub_nc_u32_e32 v3, v4, v2
	s_delay_alu instid0(VALU_DEP_1)
	v_lshlrev_b32_e32 v3, 2, v3
	ds_store_b32 v3, v69
	s_or_b32 exec_lo, exec_lo, s18
	s_and_saveexec_b32 s14, s13
	s_cbranch_execz .LBB216_286
.LBB216_341:
	v_sub_nc_u32_e32 v3, v47, v2
	s_delay_alu instid0(VALU_DEP_1)
	v_lshlrev_b32_e32 v3, 2, v3
	ds_store_b32 v3, v68
	s_or_b32 exec_lo, exec_lo, s14
	s_and_saveexec_b32 s13, s12
	s_cbranch_execz .LBB216_287
.LBB216_342:
	v_sub_nc_u32_e32 v3, v59, v2
	s_delay_alu instid0(VALU_DEP_1)
	v_lshlrev_b32_e32 v3, 2, v3
	ds_store_b32 v3, v67
	s_or_b32 exec_lo, exec_lo, s13
	s_and_saveexec_b32 s12, s11
	s_cbranch_execz .LBB216_288
.LBB216_343:
	v_sub_nc_u32_e32 v3, v48, v2
	s_delay_alu instid0(VALU_DEP_1)
	v_lshlrev_b32_e32 v3, 2, v3
	ds_store_b32 v3, v66
	s_or_b32 exec_lo, exec_lo, s12
	s_and_saveexec_b32 s11, s10
	s_cbranch_execz .LBB216_289
.LBB216_344:
	v_sub_nc_u32_e32 v3, v46, v2
	s_delay_alu instid0(VALU_DEP_1)
	v_lshlrev_b32_e32 v3, 2, v3
	ds_store_b32 v3, v65
	s_or_b32 exec_lo, exec_lo, s11
	s_and_saveexec_b32 s10, s9
	s_cbranch_execz .LBB216_290
.LBB216_345:
	v_sub_nc_u32_e32 v3, v45, v2
	s_delay_alu instid0(VALU_DEP_1)
	v_lshlrev_b32_e32 v3, 2, v3
	ds_store_b32 v3, v64
	s_or_b32 exec_lo, exec_lo, s10
	s_and_saveexec_b32 s9, s8
	s_cbranch_execz .LBB216_291
.LBB216_346:
	v_sub_nc_u32_e32 v3, v44, v2
	s_delay_alu instid0(VALU_DEP_1)
	v_lshlrev_b32_e32 v3, 2, v3
	ds_store_b32 v3, v63
	s_or_b32 exec_lo, exec_lo, s9
	s_and_saveexec_b32 s8, s7
	s_cbranch_execz .LBB216_292
.LBB216_347:
	v_sub_nc_u32_e32 v3, v43, v2
	s_delay_alu instid0(VALU_DEP_1)
	v_lshlrev_b32_e32 v3, 2, v3
	ds_store_b32 v3, v62
	s_or_b32 exec_lo, exec_lo, s8
	s_and_saveexec_b32 s7, s6
	s_cbranch_execz .LBB216_293
.LBB216_348:
	v_sub_nc_u32_e32 v3, v42, v2
	s_delay_alu instid0(VALU_DEP_1)
	v_lshlrev_b32_e32 v3, 2, v3
	ds_store_b32 v3, v61
	s_or_b32 exec_lo, exec_lo, s7
	s_and_saveexec_b32 s6, s5
	s_cbranch_execz .LBB216_294
.LBB216_349:
	v_sub_nc_u32_e32 v3, v41, v2
	s_delay_alu instid0(VALU_DEP_1)
	v_lshlrev_b32_e32 v3, 2, v3
	ds_store_b32 v3, v56
	s_or_b32 exec_lo, exec_lo, s6
	s_and_saveexec_b32 s5, s4
	s_cbranch_execz .LBB216_295
.LBB216_350:
	v_sub_nc_u32_e32 v3, v40, v2
	s_delay_alu instid0(VALU_DEP_1)
	v_lshlrev_b32_e32 v3, 2, v3
	ds_store_b32 v3, v55
	s_or_b32 exec_lo, exec_lo, s5
	s_and_saveexec_b32 s4, s3
	s_cbranch_execz .LBB216_296
.LBB216_351:
	v_sub_nc_u32_e32 v3, v39, v2
	s_delay_alu instid0(VALU_DEP_1)
	v_lshlrev_b32_e32 v3, 2, v3
	ds_store_b32 v3, v53
	s_or_b32 exec_lo, exec_lo, s4
	s_and_saveexec_b32 s3, s2
	s_cbranch_execz .LBB216_297
.LBB216_352:
	v_sub_nc_u32_e32 v3, v38, v2
	s_delay_alu instid0(VALU_DEP_1)
	v_lshlrev_b32_e32 v3, 2, v3
	ds_store_b32 v3, v54
	s_or_b32 exec_lo, exec_lo, s3
	s_and_saveexec_b32 s2, s1
	s_cbranch_execnz .LBB216_298
	s_branch .LBB216_299
	.section	.rodata,"a",@progbits
	.p2align	6, 0x0
	.amdhsa_kernel _ZN7rocprim17ROCPRIM_400000_NS6detail17trampoline_kernelINS0_14default_configENS1_29reduce_by_key_config_selectorIffN6thrust23THRUST_200600_302600_NS4plusIfEEEEZZNS1_33reduce_by_key_impl_wrapped_configILNS1_25lookback_scan_determinismE0ES3_S9_NS6_6detail15normal_iteratorINS6_10device_ptrIfEEEESG_SG_SG_PmS8_22is_equal_div_10_reduceIfEEE10hipError_tPvRmT2_T3_mT4_T5_T6_T7_T8_P12ihipStream_tbENKUlT_T0_E_clISt17integral_constantIbLb1EES11_EEDaSW_SX_EUlSW_E_NS1_11comp_targetILNS1_3genE9ELNS1_11target_archE1100ELNS1_3gpuE3ELNS1_3repE0EEENS1_30default_config_static_selectorELNS0_4arch9wavefront6targetE0EEEvT1_
		.amdhsa_group_segment_fixed_size 15360
		.amdhsa_private_segment_fixed_size 0
		.amdhsa_kernarg_size 120
		.amdhsa_user_sgpr_count 15
		.amdhsa_user_sgpr_dispatch_ptr 0
		.amdhsa_user_sgpr_queue_ptr 0
		.amdhsa_user_sgpr_kernarg_segment_ptr 1
		.amdhsa_user_sgpr_dispatch_id 0
		.amdhsa_user_sgpr_private_segment_size 0
		.amdhsa_wavefront_size32 1
		.amdhsa_uses_dynamic_stack 0
		.amdhsa_enable_private_segment 0
		.amdhsa_system_sgpr_workgroup_id_x 1
		.amdhsa_system_sgpr_workgroup_id_y 0
		.amdhsa_system_sgpr_workgroup_id_z 0
		.amdhsa_system_sgpr_workgroup_info 0
		.amdhsa_system_vgpr_workitem_id 0
		.amdhsa_next_free_vgpr 85
		.amdhsa_next_free_sgpr 44
		.amdhsa_reserve_vcc 1
		.amdhsa_float_round_mode_32 0
		.amdhsa_float_round_mode_16_64 0
		.amdhsa_float_denorm_mode_32 3
		.amdhsa_float_denorm_mode_16_64 3
		.amdhsa_dx10_clamp 1
		.amdhsa_ieee_mode 1
		.amdhsa_fp16_overflow 0
		.amdhsa_workgroup_processor_mode 1
		.amdhsa_memory_ordered 1
		.amdhsa_forward_progress 0
		.amdhsa_shared_vgpr_count 0
		.amdhsa_exception_fp_ieee_invalid_op 0
		.amdhsa_exception_fp_denorm_src 0
		.amdhsa_exception_fp_ieee_div_zero 0
		.amdhsa_exception_fp_ieee_overflow 0
		.amdhsa_exception_fp_ieee_underflow 0
		.amdhsa_exception_fp_ieee_inexact 0
		.amdhsa_exception_int_div_zero 0
	.end_amdhsa_kernel
	.section	.text._ZN7rocprim17ROCPRIM_400000_NS6detail17trampoline_kernelINS0_14default_configENS1_29reduce_by_key_config_selectorIffN6thrust23THRUST_200600_302600_NS4plusIfEEEEZZNS1_33reduce_by_key_impl_wrapped_configILNS1_25lookback_scan_determinismE0ES3_S9_NS6_6detail15normal_iteratorINS6_10device_ptrIfEEEESG_SG_SG_PmS8_22is_equal_div_10_reduceIfEEE10hipError_tPvRmT2_T3_mT4_T5_T6_T7_T8_P12ihipStream_tbENKUlT_T0_E_clISt17integral_constantIbLb1EES11_EEDaSW_SX_EUlSW_E_NS1_11comp_targetILNS1_3genE9ELNS1_11target_archE1100ELNS1_3gpuE3ELNS1_3repE0EEENS1_30default_config_static_selectorELNS0_4arch9wavefront6targetE0EEEvT1_,"axG",@progbits,_ZN7rocprim17ROCPRIM_400000_NS6detail17trampoline_kernelINS0_14default_configENS1_29reduce_by_key_config_selectorIffN6thrust23THRUST_200600_302600_NS4plusIfEEEEZZNS1_33reduce_by_key_impl_wrapped_configILNS1_25lookback_scan_determinismE0ES3_S9_NS6_6detail15normal_iteratorINS6_10device_ptrIfEEEESG_SG_SG_PmS8_22is_equal_div_10_reduceIfEEE10hipError_tPvRmT2_T3_mT4_T5_T6_T7_T8_P12ihipStream_tbENKUlT_T0_E_clISt17integral_constantIbLb1EES11_EEDaSW_SX_EUlSW_E_NS1_11comp_targetILNS1_3genE9ELNS1_11target_archE1100ELNS1_3gpuE3ELNS1_3repE0EEENS1_30default_config_static_selectorELNS0_4arch9wavefront6targetE0EEEvT1_,comdat
.Lfunc_end216:
	.size	_ZN7rocprim17ROCPRIM_400000_NS6detail17trampoline_kernelINS0_14default_configENS1_29reduce_by_key_config_selectorIffN6thrust23THRUST_200600_302600_NS4plusIfEEEEZZNS1_33reduce_by_key_impl_wrapped_configILNS1_25lookback_scan_determinismE0ES3_S9_NS6_6detail15normal_iteratorINS6_10device_ptrIfEEEESG_SG_SG_PmS8_22is_equal_div_10_reduceIfEEE10hipError_tPvRmT2_T3_mT4_T5_T6_T7_T8_P12ihipStream_tbENKUlT_T0_E_clISt17integral_constantIbLb1EES11_EEDaSW_SX_EUlSW_E_NS1_11comp_targetILNS1_3genE9ELNS1_11target_archE1100ELNS1_3gpuE3ELNS1_3repE0EEENS1_30default_config_static_selectorELNS0_4arch9wavefront6targetE0EEEvT1_, .Lfunc_end216-_ZN7rocprim17ROCPRIM_400000_NS6detail17trampoline_kernelINS0_14default_configENS1_29reduce_by_key_config_selectorIffN6thrust23THRUST_200600_302600_NS4plusIfEEEEZZNS1_33reduce_by_key_impl_wrapped_configILNS1_25lookback_scan_determinismE0ES3_S9_NS6_6detail15normal_iteratorINS6_10device_ptrIfEEEESG_SG_SG_PmS8_22is_equal_div_10_reduceIfEEE10hipError_tPvRmT2_T3_mT4_T5_T6_T7_T8_P12ihipStream_tbENKUlT_T0_E_clISt17integral_constantIbLb1EES11_EEDaSW_SX_EUlSW_E_NS1_11comp_targetILNS1_3genE9ELNS1_11target_archE1100ELNS1_3gpuE3ELNS1_3repE0EEENS1_30default_config_static_selectorELNS0_4arch9wavefront6targetE0EEEvT1_
                                        ; -- End function
	.section	.AMDGPU.csdata,"",@progbits
; Kernel info:
; codeLenInByte = 20980
; NumSgprs: 46
; NumVgprs: 85
; ScratchSize: 0
; MemoryBound: 0
; FloatMode: 240
; IeeeMode: 1
; LDSByteSize: 15360 bytes/workgroup (compile time only)
; SGPRBlocks: 5
; VGPRBlocks: 10
; NumSGPRsForWavesPerEU: 46
; NumVGPRsForWavesPerEU: 85
; Occupancy: 16
; WaveLimiterHint : 1
; COMPUTE_PGM_RSRC2:SCRATCH_EN: 0
; COMPUTE_PGM_RSRC2:USER_SGPR: 15
; COMPUTE_PGM_RSRC2:TRAP_HANDLER: 0
; COMPUTE_PGM_RSRC2:TGID_X_EN: 1
; COMPUTE_PGM_RSRC2:TGID_Y_EN: 0
; COMPUTE_PGM_RSRC2:TGID_Z_EN: 0
; COMPUTE_PGM_RSRC2:TIDIG_COMP_CNT: 0
	.section	.text._ZN7rocprim17ROCPRIM_400000_NS6detail17trampoline_kernelINS0_14default_configENS1_29reduce_by_key_config_selectorIffN6thrust23THRUST_200600_302600_NS4plusIfEEEEZZNS1_33reduce_by_key_impl_wrapped_configILNS1_25lookback_scan_determinismE0ES3_S9_NS6_6detail15normal_iteratorINS6_10device_ptrIfEEEESG_SG_SG_PmS8_22is_equal_div_10_reduceIfEEE10hipError_tPvRmT2_T3_mT4_T5_T6_T7_T8_P12ihipStream_tbENKUlT_T0_E_clISt17integral_constantIbLb1EES11_EEDaSW_SX_EUlSW_E_NS1_11comp_targetILNS1_3genE8ELNS1_11target_archE1030ELNS1_3gpuE2ELNS1_3repE0EEENS1_30default_config_static_selectorELNS0_4arch9wavefront6targetE0EEEvT1_,"axG",@progbits,_ZN7rocprim17ROCPRIM_400000_NS6detail17trampoline_kernelINS0_14default_configENS1_29reduce_by_key_config_selectorIffN6thrust23THRUST_200600_302600_NS4plusIfEEEEZZNS1_33reduce_by_key_impl_wrapped_configILNS1_25lookback_scan_determinismE0ES3_S9_NS6_6detail15normal_iteratorINS6_10device_ptrIfEEEESG_SG_SG_PmS8_22is_equal_div_10_reduceIfEEE10hipError_tPvRmT2_T3_mT4_T5_T6_T7_T8_P12ihipStream_tbENKUlT_T0_E_clISt17integral_constantIbLb1EES11_EEDaSW_SX_EUlSW_E_NS1_11comp_targetILNS1_3genE8ELNS1_11target_archE1030ELNS1_3gpuE2ELNS1_3repE0EEENS1_30default_config_static_selectorELNS0_4arch9wavefront6targetE0EEEvT1_,comdat
	.protected	_ZN7rocprim17ROCPRIM_400000_NS6detail17trampoline_kernelINS0_14default_configENS1_29reduce_by_key_config_selectorIffN6thrust23THRUST_200600_302600_NS4plusIfEEEEZZNS1_33reduce_by_key_impl_wrapped_configILNS1_25lookback_scan_determinismE0ES3_S9_NS6_6detail15normal_iteratorINS6_10device_ptrIfEEEESG_SG_SG_PmS8_22is_equal_div_10_reduceIfEEE10hipError_tPvRmT2_T3_mT4_T5_T6_T7_T8_P12ihipStream_tbENKUlT_T0_E_clISt17integral_constantIbLb1EES11_EEDaSW_SX_EUlSW_E_NS1_11comp_targetILNS1_3genE8ELNS1_11target_archE1030ELNS1_3gpuE2ELNS1_3repE0EEENS1_30default_config_static_selectorELNS0_4arch9wavefront6targetE0EEEvT1_ ; -- Begin function _ZN7rocprim17ROCPRIM_400000_NS6detail17trampoline_kernelINS0_14default_configENS1_29reduce_by_key_config_selectorIffN6thrust23THRUST_200600_302600_NS4plusIfEEEEZZNS1_33reduce_by_key_impl_wrapped_configILNS1_25lookback_scan_determinismE0ES3_S9_NS6_6detail15normal_iteratorINS6_10device_ptrIfEEEESG_SG_SG_PmS8_22is_equal_div_10_reduceIfEEE10hipError_tPvRmT2_T3_mT4_T5_T6_T7_T8_P12ihipStream_tbENKUlT_T0_E_clISt17integral_constantIbLb1EES11_EEDaSW_SX_EUlSW_E_NS1_11comp_targetILNS1_3genE8ELNS1_11target_archE1030ELNS1_3gpuE2ELNS1_3repE0EEENS1_30default_config_static_selectorELNS0_4arch9wavefront6targetE0EEEvT1_
	.globl	_ZN7rocprim17ROCPRIM_400000_NS6detail17trampoline_kernelINS0_14default_configENS1_29reduce_by_key_config_selectorIffN6thrust23THRUST_200600_302600_NS4plusIfEEEEZZNS1_33reduce_by_key_impl_wrapped_configILNS1_25lookback_scan_determinismE0ES3_S9_NS6_6detail15normal_iteratorINS6_10device_ptrIfEEEESG_SG_SG_PmS8_22is_equal_div_10_reduceIfEEE10hipError_tPvRmT2_T3_mT4_T5_T6_T7_T8_P12ihipStream_tbENKUlT_T0_E_clISt17integral_constantIbLb1EES11_EEDaSW_SX_EUlSW_E_NS1_11comp_targetILNS1_3genE8ELNS1_11target_archE1030ELNS1_3gpuE2ELNS1_3repE0EEENS1_30default_config_static_selectorELNS0_4arch9wavefront6targetE0EEEvT1_
	.p2align	8
	.type	_ZN7rocprim17ROCPRIM_400000_NS6detail17trampoline_kernelINS0_14default_configENS1_29reduce_by_key_config_selectorIffN6thrust23THRUST_200600_302600_NS4plusIfEEEEZZNS1_33reduce_by_key_impl_wrapped_configILNS1_25lookback_scan_determinismE0ES3_S9_NS6_6detail15normal_iteratorINS6_10device_ptrIfEEEESG_SG_SG_PmS8_22is_equal_div_10_reduceIfEEE10hipError_tPvRmT2_T3_mT4_T5_T6_T7_T8_P12ihipStream_tbENKUlT_T0_E_clISt17integral_constantIbLb1EES11_EEDaSW_SX_EUlSW_E_NS1_11comp_targetILNS1_3genE8ELNS1_11target_archE1030ELNS1_3gpuE2ELNS1_3repE0EEENS1_30default_config_static_selectorELNS0_4arch9wavefront6targetE0EEEvT1_,@function
_ZN7rocprim17ROCPRIM_400000_NS6detail17trampoline_kernelINS0_14default_configENS1_29reduce_by_key_config_selectorIffN6thrust23THRUST_200600_302600_NS4plusIfEEEEZZNS1_33reduce_by_key_impl_wrapped_configILNS1_25lookback_scan_determinismE0ES3_S9_NS6_6detail15normal_iteratorINS6_10device_ptrIfEEEESG_SG_SG_PmS8_22is_equal_div_10_reduceIfEEE10hipError_tPvRmT2_T3_mT4_T5_T6_T7_T8_P12ihipStream_tbENKUlT_T0_E_clISt17integral_constantIbLb1EES11_EEDaSW_SX_EUlSW_E_NS1_11comp_targetILNS1_3genE8ELNS1_11target_archE1030ELNS1_3gpuE2ELNS1_3repE0EEENS1_30default_config_static_selectorELNS0_4arch9wavefront6targetE0EEEvT1_: ; @_ZN7rocprim17ROCPRIM_400000_NS6detail17trampoline_kernelINS0_14default_configENS1_29reduce_by_key_config_selectorIffN6thrust23THRUST_200600_302600_NS4plusIfEEEEZZNS1_33reduce_by_key_impl_wrapped_configILNS1_25lookback_scan_determinismE0ES3_S9_NS6_6detail15normal_iteratorINS6_10device_ptrIfEEEESG_SG_SG_PmS8_22is_equal_div_10_reduceIfEEE10hipError_tPvRmT2_T3_mT4_T5_T6_T7_T8_P12ihipStream_tbENKUlT_T0_E_clISt17integral_constantIbLb1EES11_EEDaSW_SX_EUlSW_E_NS1_11comp_targetILNS1_3genE8ELNS1_11target_archE1030ELNS1_3gpuE2ELNS1_3repE0EEENS1_30default_config_static_selectorELNS0_4arch9wavefront6targetE0EEEvT1_
; %bb.0:
	.section	.rodata,"a",@progbits
	.p2align	6, 0x0
	.amdhsa_kernel _ZN7rocprim17ROCPRIM_400000_NS6detail17trampoline_kernelINS0_14default_configENS1_29reduce_by_key_config_selectorIffN6thrust23THRUST_200600_302600_NS4plusIfEEEEZZNS1_33reduce_by_key_impl_wrapped_configILNS1_25lookback_scan_determinismE0ES3_S9_NS6_6detail15normal_iteratorINS6_10device_ptrIfEEEESG_SG_SG_PmS8_22is_equal_div_10_reduceIfEEE10hipError_tPvRmT2_T3_mT4_T5_T6_T7_T8_P12ihipStream_tbENKUlT_T0_E_clISt17integral_constantIbLb1EES11_EEDaSW_SX_EUlSW_E_NS1_11comp_targetILNS1_3genE8ELNS1_11target_archE1030ELNS1_3gpuE2ELNS1_3repE0EEENS1_30default_config_static_selectorELNS0_4arch9wavefront6targetE0EEEvT1_
		.amdhsa_group_segment_fixed_size 0
		.amdhsa_private_segment_fixed_size 0
		.amdhsa_kernarg_size 120
		.amdhsa_user_sgpr_count 15
		.amdhsa_user_sgpr_dispatch_ptr 0
		.amdhsa_user_sgpr_queue_ptr 0
		.amdhsa_user_sgpr_kernarg_segment_ptr 1
		.amdhsa_user_sgpr_dispatch_id 0
		.amdhsa_user_sgpr_private_segment_size 0
		.amdhsa_wavefront_size32 1
		.amdhsa_uses_dynamic_stack 0
		.amdhsa_enable_private_segment 0
		.amdhsa_system_sgpr_workgroup_id_x 1
		.amdhsa_system_sgpr_workgroup_id_y 0
		.amdhsa_system_sgpr_workgroup_id_z 0
		.amdhsa_system_sgpr_workgroup_info 0
		.amdhsa_system_vgpr_workitem_id 0
		.amdhsa_next_free_vgpr 1
		.amdhsa_next_free_sgpr 1
		.amdhsa_reserve_vcc 0
		.amdhsa_float_round_mode_32 0
		.amdhsa_float_round_mode_16_64 0
		.amdhsa_float_denorm_mode_32 3
		.amdhsa_float_denorm_mode_16_64 3
		.amdhsa_dx10_clamp 1
		.amdhsa_ieee_mode 1
		.amdhsa_fp16_overflow 0
		.amdhsa_workgroup_processor_mode 1
		.amdhsa_memory_ordered 1
		.amdhsa_forward_progress 0
		.amdhsa_shared_vgpr_count 0
		.amdhsa_exception_fp_ieee_invalid_op 0
		.amdhsa_exception_fp_denorm_src 0
		.amdhsa_exception_fp_ieee_div_zero 0
		.amdhsa_exception_fp_ieee_overflow 0
		.amdhsa_exception_fp_ieee_underflow 0
		.amdhsa_exception_fp_ieee_inexact 0
		.amdhsa_exception_int_div_zero 0
	.end_amdhsa_kernel
	.section	.text._ZN7rocprim17ROCPRIM_400000_NS6detail17trampoline_kernelINS0_14default_configENS1_29reduce_by_key_config_selectorIffN6thrust23THRUST_200600_302600_NS4plusIfEEEEZZNS1_33reduce_by_key_impl_wrapped_configILNS1_25lookback_scan_determinismE0ES3_S9_NS6_6detail15normal_iteratorINS6_10device_ptrIfEEEESG_SG_SG_PmS8_22is_equal_div_10_reduceIfEEE10hipError_tPvRmT2_T3_mT4_T5_T6_T7_T8_P12ihipStream_tbENKUlT_T0_E_clISt17integral_constantIbLb1EES11_EEDaSW_SX_EUlSW_E_NS1_11comp_targetILNS1_3genE8ELNS1_11target_archE1030ELNS1_3gpuE2ELNS1_3repE0EEENS1_30default_config_static_selectorELNS0_4arch9wavefront6targetE0EEEvT1_,"axG",@progbits,_ZN7rocprim17ROCPRIM_400000_NS6detail17trampoline_kernelINS0_14default_configENS1_29reduce_by_key_config_selectorIffN6thrust23THRUST_200600_302600_NS4plusIfEEEEZZNS1_33reduce_by_key_impl_wrapped_configILNS1_25lookback_scan_determinismE0ES3_S9_NS6_6detail15normal_iteratorINS6_10device_ptrIfEEEESG_SG_SG_PmS8_22is_equal_div_10_reduceIfEEE10hipError_tPvRmT2_T3_mT4_T5_T6_T7_T8_P12ihipStream_tbENKUlT_T0_E_clISt17integral_constantIbLb1EES11_EEDaSW_SX_EUlSW_E_NS1_11comp_targetILNS1_3genE8ELNS1_11target_archE1030ELNS1_3gpuE2ELNS1_3repE0EEENS1_30default_config_static_selectorELNS0_4arch9wavefront6targetE0EEEvT1_,comdat
.Lfunc_end217:
	.size	_ZN7rocprim17ROCPRIM_400000_NS6detail17trampoline_kernelINS0_14default_configENS1_29reduce_by_key_config_selectorIffN6thrust23THRUST_200600_302600_NS4plusIfEEEEZZNS1_33reduce_by_key_impl_wrapped_configILNS1_25lookback_scan_determinismE0ES3_S9_NS6_6detail15normal_iteratorINS6_10device_ptrIfEEEESG_SG_SG_PmS8_22is_equal_div_10_reduceIfEEE10hipError_tPvRmT2_T3_mT4_T5_T6_T7_T8_P12ihipStream_tbENKUlT_T0_E_clISt17integral_constantIbLb1EES11_EEDaSW_SX_EUlSW_E_NS1_11comp_targetILNS1_3genE8ELNS1_11target_archE1030ELNS1_3gpuE2ELNS1_3repE0EEENS1_30default_config_static_selectorELNS0_4arch9wavefront6targetE0EEEvT1_, .Lfunc_end217-_ZN7rocprim17ROCPRIM_400000_NS6detail17trampoline_kernelINS0_14default_configENS1_29reduce_by_key_config_selectorIffN6thrust23THRUST_200600_302600_NS4plusIfEEEEZZNS1_33reduce_by_key_impl_wrapped_configILNS1_25lookback_scan_determinismE0ES3_S9_NS6_6detail15normal_iteratorINS6_10device_ptrIfEEEESG_SG_SG_PmS8_22is_equal_div_10_reduceIfEEE10hipError_tPvRmT2_T3_mT4_T5_T6_T7_T8_P12ihipStream_tbENKUlT_T0_E_clISt17integral_constantIbLb1EES11_EEDaSW_SX_EUlSW_E_NS1_11comp_targetILNS1_3genE8ELNS1_11target_archE1030ELNS1_3gpuE2ELNS1_3repE0EEENS1_30default_config_static_selectorELNS0_4arch9wavefront6targetE0EEEvT1_
                                        ; -- End function
	.section	.AMDGPU.csdata,"",@progbits
; Kernel info:
; codeLenInByte = 0
; NumSgprs: 0
; NumVgprs: 0
; ScratchSize: 0
; MemoryBound: 0
; FloatMode: 240
; IeeeMode: 1
; LDSByteSize: 0 bytes/workgroup (compile time only)
; SGPRBlocks: 0
; VGPRBlocks: 0
; NumSGPRsForWavesPerEU: 1
; NumVGPRsForWavesPerEU: 1
; Occupancy: 16
; WaveLimiterHint : 0
; COMPUTE_PGM_RSRC2:SCRATCH_EN: 0
; COMPUTE_PGM_RSRC2:USER_SGPR: 15
; COMPUTE_PGM_RSRC2:TRAP_HANDLER: 0
; COMPUTE_PGM_RSRC2:TGID_X_EN: 1
; COMPUTE_PGM_RSRC2:TGID_Y_EN: 0
; COMPUTE_PGM_RSRC2:TGID_Z_EN: 0
; COMPUTE_PGM_RSRC2:TIDIG_COMP_CNT: 0
	.section	.text._ZN7rocprim17ROCPRIM_400000_NS6detail17trampoline_kernelINS0_14default_configENS1_29reduce_by_key_config_selectorIffN6thrust23THRUST_200600_302600_NS4plusIfEEEEZZNS1_33reduce_by_key_impl_wrapped_configILNS1_25lookback_scan_determinismE0ES3_S9_NS6_6detail15normal_iteratorINS6_10device_ptrIfEEEESG_SG_SG_PmS8_22is_equal_div_10_reduceIfEEE10hipError_tPvRmT2_T3_mT4_T5_T6_T7_T8_P12ihipStream_tbENKUlT_T0_E_clISt17integral_constantIbLb1EES10_IbLb0EEEEDaSW_SX_EUlSW_E_NS1_11comp_targetILNS1_3genE0ELNS1_11target_archE4294967295ELNS1_3gpuE0ELNS1_3repE0EEENS1_30default_config_static_selectorELNS0_4arch9wavefront6targetE0EEEvT1_,"axG",@progbits,_ZN7rocprim17ROCPRIM_400000_NS6detail17trampoline_kernelINS0_14default_configENS1_29reduce_by_key_config_selectorIffN6thrust23THRUST_200600_302600_NS4plusIfEEEEZZNS1_33reduce_by_key_impl_wrapped_configILNS1_25lookback_scan_determinismE0ES3_S9_NS6_6detail15normal_iteratorINS6_10device_ptrIfEEEESG_SG_SG_PmS8_22is_equal_div_10_reduceIfEEE10hipError_tPvRmT2_T3_mT4_T5_T6_T7_T8_P12ihipStream_tbENKUlT_T0_E_clISt17integral_constantIbLb1EES10_IbLb0EEEEDaSW_SX_EUlSW_E_NS1_11comp_targetILNS1_3genE0ELNS1_11target_archE4294967295ELNS1_3gpuE0ELNS1_3repE0EEENS1_30default_config_static_selectorELNS0_4arch9wavefront6targetE0EEEvT1_,comdat
	.protected	_ZN7rocprim17ROCPRIM_400000_NS6detail17trampoline_kernelINS0_14default_configENS1_29reduce_by_key_config_selectorIffN6thrust23THRUST_200600_302600_NS4plusIfEEEEZZNS1_33reduce_by_key_impl_wrapped_configILNS1_25lookback_scan_determinismE0ES3_S9_NS6_6detail15normal_iteratorINS6_10device_ptrIfEEEESG_SG_SG_PmS8_22is_equal_div_10_reduceIfEEE10hipError_tPvRmT2_T3_mT4_T5_T6_T7_T8_P12ihipStream_tbENKUlT_T0_E_clISt17integral_constantIbLb1EES10_IbLb0EEEEDaSW_SX_EUlSW_E_NS1_11comp_targetILNS1_3genE0ELNS1_11target_archE4294967295ELNS1_3gpuE0ELNS1_3repE0EEENS1_30default_config_static_selectorELNS0_4arch9wavefront6targetE0EEEvT1_ ; -- Begin function _ZN7rocprim17ROCPRIM_400000_NS6detail17trampoline_kernelINS0_14default_configENS1_29reduce_by_key_config_selectorIffN6thrust23THRUST_200600_302600_NS4plusIfEEEEZZNS1_33reduce_by_key_impl_wrapped_configILNS1_25lookback_scan_determinismE0ES3_S9_NS6_6detail15normal_iteratorINS6_10device_ptrIfEEEESG_SG_SG_PmS8_22is_equal_div_10_reduceIfEEE10hipError_tPvRmT2_T3_mT4_T5_T6_T7_T8_P12ihipStream_tbENKUlT_T0_E_clISt17integral_constantIbLb1EES10_IbLb0EEEEDaSW_SX_EUlSW_E_NS1_11comp_targetILNS1_3genE0ELNS1_11target_archE4294967295ELNS1_3gpuE0ELNS1_3repE0EEENS1_30default_config_static_selectorELNS0_4arch9wavefront6targetE0EEEvT1_
	.globl	_ZN7rocprim17ROCPRIM_400000_NS6detail17trampoline_kernelINS0_14default_configENS1_29reduce_by_key_config_selectorIffN6thrust23THRUST_200600_302600_NS4plusIfEEEEZZNS1_33reduce_by_key_impl_wrapped_configILNS1_25lookback_scan_determinismE0ES3_S9_NS6_6detail15normal_iteratorINS6_10device_ptrIfEEEESG_SG_SG_PmS8_22is_equal_div_10_reduceIfEEE10hipError_tPvRmT2_T3_mT4_T5_T6_T7_T8_P12ihipStream_tbENKUlT_T0_E_clISt17integral_constantIbLb1EES10_IbLb0EEEEDaSW_SX_EUlSW_E_NS1_11comp_targetILNS1_3genE0ELNS1_11target_archE4294967295ELNS1_3gpuE0ELNS1_3repE0EEENS1_30default_config_static_selectorELNS0_4arch9wavefront6targetE0EEEvT1_
	.p2align	8
	.type	_ZN7rocprim17ROCPRIM_400000_NS6detail17trampoline_kernelINS0_14default_configENS1_29reduce_by_key_config_selectorIffN6thrust23THRUST_200600_302600_NS4plusIfEEEEZZNS1_33reduce_by_key_impl_wrapped_configILNS1_25lookback_scan_determinismE0ES3_S9_NS6_6detail15normal_iteratorINS6_10device_ptrIfEEEESG_SG_SG_PmS8_22is_equal_div_10_reduceIfEEE10hipError_tPvRmT2_T3_mT4_T5_T6_T7_T8_P12ihipStream_tbENKUlT_T0_E_clISt17integral_constantIbLb1EES10_IbLb0EEEEDaSW_SX_EUlSW_E_NS1_11comp_targetILNS1_3genE0ELNS1_11target_archE4294967295ELNS1_3gpuE0ELNS1_3repE0EEENS1_30default_config_static_selectorELNS0_4arch9wavefront6targetE0EEEvT1_,@function
_ZN7rocprim17ROCPRIM_400000_NS6detail17trampoline_kernelINS0_14default_configENS1_29reduce_by_key_config_selectorIffN6thrust23THRUST_200600_302600_NS4plusIfEEEEZZNS1_33reduce_by_key_impl_wrapped_configILNS1_25lookback_scan_determinismE0ES3_S9_NS6_6detail15normal_iteratorINS6_10device_ptrIfEEEESG_SG_SG_PmS8_22is_equal_div_10_reduceIfEEE10hipError_tPvRmT2_T3_mT4_T5_T6_T7_T8_P12ihipStream_tbENKUlT_T0_E_clISt17integral_constantIbLb1EES10_IbLb0EEEEDaSW_SX_EUlSW_E_NS1_11comp_targetILNS1_3genE0ELNS1_11target_archE4294967295ELNS1_3gpuE0ELNS1_3repE0EEENS1_30default_config_static_selectorELNS0_4arch9wavefront6targetE0EEEvT1_: ; @_ZN7rocprim17ROCPRIM_400000_NS6detail17trampoline_kernelINS0_14default_configENS1_29reduce_by_key_config_selectorIffN6thrust23THRUST_200600_302600_NS4plusIfEEEEZZNS1_33reduce_by_key_impl_wrapped_configILNS1_25lookback_scan_determinismE0ES3_S9_NS6_6detail15normal_iteratorINS6_10device_ptrIfEEEESG_SG_SG_PmS8_22is_equal_div_10_reduceIfEEE10hipError_tPvRmT2_T3_mT4_T5_T6_T7_T8_P12ihipStream_tbENKUlT_T0_E_clISt17integral_constantIbLb1EES10_IbLb0EEEEDaSW_SX_EUlSW_E_NS1_11comp_targetILNS1_3genE0ELNS1_11target_archE4294967295ELNS1_3gpuE0ELNS1_3repE0EEENS1_30default_config_static_selectorELNS0_4arch9wavefront6targetE0EEEvT1_
; %bb.0:
	.section	.rodata,"a",@progbits
	.p2align	6, 0x0
	.amdhsa_kernel _ZN7rocprim17ROCPRIM_400000_NS6detail17trampoline_kernelINS0_14default_configENS1_29reduce_by_key_config_selectorIffN6thrust23THRUST_200600_302600_NS4plusIfEEEEZZNS1_33reduce_by_key_impl_wrapped_configILNS1_25lookback_scan_determinismE0ES3_S9_NS6_6detail15normal_iteratorINS6_10device_ptrIfEEEESG_SG_SG_PmS8_22is_equal_div_10_reduceIfEEE10hipError_tPvRmT2_T3_mT4_T5_T6_T7_T8_P12ihipStream_tbENKUlT_T0_E_clISt17integral_constantIbLb1EES10_IbLb0EEEEDaSW_SX_EUlSW_E_NS1_11comp_targetILNS1_3genE0ELNS1_11target_archE4294967295ELNS1_3gpuE0ELNS1_3repE0EEENS1_30default_config_static_selectorELNS0_4arch9wavefront6targetE0EEEvT1_
		.amdhsa_group_segment_fixed_size 0
		.amdhsa_private_segment_fixed_size 0
		.amdhsa_kernarg_size 120
		.amdhsa_user_sgpr_count 15
		.amdhsa_user_sgpr_dispatch_ptr 0
		.amdhsa_user_sgpr_queue_ptr 0
		.amdhsa_user_sgpr_kernarg_segment_ptr 1
		.amdhsa_user_sgpr_dispatch_id 0
		.amdhsa_user_sgpr_private_segment_size 0
		.amdhsa_wavefront_size32 1
		.amdhsa_uses_dynamic_stack 0
		.amdhsa_enable_private_segment 0
		.amdhsa_system_sgpr_workgroup_id_x 1
		.amdhsa_system_sgpr_workgroup_id_y 0
		.amdhsa_system_sgpr_workgroup_id_z 0
		.amdhsa_system_sgpr_workgroup_info 0
		.amdhsa_system_vgpr_workitem_id 0
		.amdhsa_next_free_vgpr 1
		.amdhsa_next_free_sgpr 1
		.amdhsa_reserve_vcc 0
		.amdhsa_float_round_mode_32 0
		.amdhsa_float_round_mode_16_64 0
		.amdhsa_float_denorm_mode_32 3
		.amdhsa_float_denorm_mode_16_64 3
		.amdhsa_dx10_clamp 1
		.amdhsa_ieee_mode 1
		.amdhsa_fp16_overflow 0
		.amdhsa_workgroup_processor_mode 1
		.amdhsa_memory_ordered 1
		.amdhsa_forward_progress 0
		.amdhsa_shared_vgpr_count 0
		.amdhsa_exception_fp_ieee_invalid_op 0
		.amdhsa_exception_fp_denorm_src 0
		.amdhsa_exception_fp_ieee_div_zero 0
		.amdhsa_exception_fp_ieee_overflow 0
		.amdhsa_exception_fp_ieee_underflow 0
		.amdhsa_exception_fp_ieee_inexact 0
		.amdhsa_exception_int_div_zero 0
	.end_amdhsa_kernel
	.section	.text._ZN7rocprim17ROCPRIM_400000_NS6detail17trampoline_kernelINS0_14default_configENS1_29reduce_by_key_config_selectorIffN6thrust23THRUST_200600_302600_NS4plusIfEEEEZZNS1_33reduce_by_key_impl_wrapped_configILNS1_25lookback_scan_determinismE0ES3_S9_NS6_6detail15normal_iteratorINS6_10device_ptrIfEEEESG_SG_SG_PmS8_22is_equal_div_10_reduceIfEEE10hipError_tPvRmT2_T3_mT4_T5_T6_T7_T8_P12ihipStream_tbENKUlT_T0_E_clISt17integral_constantIbLb1EES10_IbLb0EEEEDaSW_SX_EUlSW_E_NS1_11comp_targetILNS1_3genE0ELNS1_11target_archE4294967295ELNS1_3gpuE0ELNS1_3repE0EEENS1_30default_config_static_selectorELNS0_4arch9wavefront6targetE0EEEvT1_,"axG",@progbits,_ZN7rocprim17ROCPRIM_400000_NS6detail17trampoline_kernelINS0_14default_configENS1_29reduce_by_key_config_selectorIffN6thrust23THRUST_200600_302600_NS4plusIfEEEEZZNS1_33reduce_by_key_impl_wrapped_configILNS1_25lookback_scan_determinismE0ES3_S9_NS6_6detail15normal_iteratorINS6_10device_ptrIfEEEESG_SG_SG_PmS8_22is_equal_div_10_reduceIfEEE10hipError_tPvRmT2_T3_mT4_T5_T6_T7_T8_P12ihipStream_tbENKUlT_T0_E_clISt17integral_constantIbLb1EES10_IbLb0EEEEDaSW_SX_EUlSW_E_NS1_11comp_targetILNS1_3genE0ELNS1_11target_archE4294967295ELNS1_3gpuE0ELNS1_3repE0EEENS1_30default_config_static_selectorELNS0_4arch9wavefront6targetE0EEEvT1_,comdat
.Lfunc_end218:
	.size	_ZN7rocprim17ROCPRIM_400000_NS6detail17trampoline_kernelINS0_14default_configENS1_29reduce_by_key_config_selectorIffN6thrust23THRUST_200600_302600_NS4plusIfEEEEZZNS1_33reduce_by_key_impl_wrapped_configILNS1_25lookback_scan_determinismE0ES3_S9_NS6_6detail15normal_iteratorINS6_10device_ptrIfEEEESG_SG_SG_PmS8_22is_equal_div_10_reduceIfEEE10hipError_tPvRmT2_T3_mT4_T5_T6_T7_T8_P12ihipStream_tbENKUlT_T0_E_clISt17integral_constantIbLb1EES10_IbLb0EEEEDaSW_SX_EUlSW_E_NS1_11comp_targetILNS1_3genE0ELNS1_11target_archE4294967295ELNS1_3gpuE0ELNS1_3repE0EEENS1_30default_config_static_selectorELNS0_4arch9wavefront6targetE0EEEvT1_, .Lfunc_end218-_ZN7rocprim17ROCPRIM_400000_NS6detail17trampoline_kernelINS0_14default_configENS1_29reduce_by_key_config_selectorIffN6thrust23THRUST_200600_302600_NS4plusIfEEEEZZNS1_33reduce_by_key_impl_wrapped_configILNS1_25lookback_scan_determinismE0ES3_S9_NS6_6detail15normal_iteratorINS6_10device_ptrIfEEEESG_SG_SG_PmS8_22is_equal_div_10_reduceIfEEE10hipError_tPvRmT2_T3_mT4_T5_T6_T7_T8_P12ihipStream_tbENKUlT_T0_E_clISt17integral_constantIbLb1EES10_IbLb0EEEEDaSW_SX_EUlSW_E_NS1_11comp_targetILNS1_3genE0ELNS1_11target_archE4294967295ELNS1_3gpuE0ELNS1_3repE0EEENS1_30default_config_static_selectorELNS0_4arch9wavefront6targetE0EEEvT1_
                                        ; -- End function
	.section	.AMDGPU.csdata,"",@progbits
; Kernel info:
; codeLenInByte = 0
; NumSgprs: 0
; NumVgprs: 0
; ScratchSize: 0
; MemoryBound: 0
; FloatMode: 240
; IeeeMode: 1
; LDSByteSize: 0 bytes/workgroup (compile time only)
; SGPRBlocks: 0
; VGPRBlocks: 0
; NumSGPRsForWavesPerEU: 1
; NumVGPRsForWavesPerEU: 1
; Occupancy: 16
; WaveLimiterHint : 0
; COMPUTE_PGM_RSRC2:SCRATCH_EN: 0
; COMPUTE_PGM_RSRC2:USER_SGPR: 15
; COMPUTE_PGM_RSRC2:TRAP_HANDLER: 0
; COMPUTE_PGM_RSRC2:TGID_X_EN: 1
; COMPUTE_PGM_RSRC2:TGID_Y_EN: 0
; COMPUTE_PGM_RSRC2:TGID_Z_EN: 0
; COMPUTE_PGM_RSRC2:TIDIG_COMP_CNT: 0
	.section	.text._ZN7rocprim17ROCPRIM_400000_NS6detail17trampoline_kernelINS0_14default_configENS1_29reduce_by_key_config_selectorIffN6thrust23THRUST_200600_302600_NS4plusIfEEEEZZNS1_33reduce_by_key_impl_wrapped_configILNS1_25lookback_scan_determinismE0ES3_S9_NS6_6detail15normal_iteratorINS6_10device_ptrIfEEEESG_SG_SG_PmS8_22is_equal_div_10_reduceIfEEE10hipError_tPvRmT2_T3_mT4_T5_T6_T7_T8_P12ihipStream_tbENKUlT_T0_E_clISt17integral_constantIbLb1EES10_IbLb0EEEEDaSW_SX_EUlSW_E_NS1_11comp_targetILNS1_3genE5ELNS1_11target_archE942ELNS1_3gpuE9ELNS1_3repE0EEENS1_30default_config_static_selectorELNS0_4arch9wavefront6targetE0EEEvT1_,"axG",@progbits,_ZN7rocprim17ROCPRIM_400000_NS6detail17trampoline_kernelINS0_14default_configENS1_29reduce_by_key_config_selectorIffN6thrust23THRUST_200600_302600_NS4plusIfEEEEZZNS1_33reduce_by_key_impl_wrapped_configILNS1_25lookback_scan_determinismE0ES3_S9_NS6_6detail15normal_iteratorINS6_10device_ptrIfEEEESG_SG_SG_PmS8_22is_equal_div_10_reduceIfEEE10hipError_tPvRmT2_T3_mT4_T5_T6_T7_T8_P12ihipStream_tbENKUlT_T0_E_clISt17integral_constantIbLb1EES10_IbLb0EEEEDaSW_SX_EUlSW_E_NS1_11comp_targetILNS1_3genE5ELNS1_11target_archE942ELNS1_3gpuE9ELNS1_3repE0EEENS1_30default_config_static_selectorELNS0_4arch9wavefront6targetE0EEEvT1_,comdat
	.protected	_ZN7rocprim17ROCPRIM_400000_NS6detail17trampoline_kernelINS0_14default_configENS1_29reduce_by_key_config_selectorIffN6thrust23THRUST_200600_302600_NS4plusIfEEEEZZNS1_33reduce_by_key_impl_wrapped_configILNS1_25lookback_scan_determinismE0ES3_S9_NS6_6detail15normal_iteratorINS6_10device_ptrIfEEEESG_SG_SG_PmS8_22is_equal_div_10_reduceIfEEE10hipError_tPvRmT2_T3_mT4_T5_T6_T7_T8_P12ihipStream_tbENKUlT_T0_E_clISt17integral_constantIbLb1EES10_IbLb0EEEEDaSW_SX_EUlSW_E_NS1_11comp_targetILNS1_3genE5ELNS1_11target_archE942ELNS1_3gpuE9ELNS1_3repE0EEENS1_30default_config_static_selectorELNS0_4arch9wavefront6targetE0EEEvT1_ ; -- Begin function _ZN7rocprim17ROCPRIM_400000_NS6detail17trampoline_kernelINS0_14default_configENS1_29reduce_by_key_config_selectorIffN6thrust23THRUST_200600_302600_NS4plusIfEEEEZZNS1_33reduce_by_key_impl_wrapped_configILNS1_25lookback_scan_determinismE0ES3_S9_NS6_6detail15normal_iteratorINS6_10device_ptrIfEEEESG_SG_SG_PmS8_22is_equal_div_10_reduceIfEEE10hipError_tPvRmT2_T3_mT4_T5_T6_T7_T8_P12ihipStream_tbENKUlT_T0_E_clISt17integral_constantIbLb1EES10_IbLb0EEEEDaSW_SX_EUlSW_E_NS1_11comp_targetILNS1_3genE5ELNS1_11target_archE942ELNS1_3gpuE9ELNS1_3repE0EEENS1_30default_config_static_selectorELNS0_4arch9wavefront6targetE0EEEvT1_
	.globl	_ZN7rocprim17ROCPRIM_400000_NS6detail17trampoline_kernelINS0_14default_configENS1_29reduce_by_key_config_selectorIffN6thrust23THRUST_200600_302600_NS4plusIfEEEEZZNS1_33reduce_by_key_impl_wrapped_configILNS1_25lookback_scan_determinismE0ES3_S9_NS6_6detail15normal_iteratorINS6_10device_ptrIfEEEESG_SG_SG_PmS8_22is_equal_div_10_reduceIfEEE10hipError_tPvRmT2_T3_mT4_T5_T6_T7_T8_P12ihipStream_tbENKUlT_T0_E_clISt17integral_constantIbLb1EES10_IbLb0EEEEDaSW_SX_EUlSW_E_NS1_11comp_targetILNS1_3genE5ELNS1_11target_archE942ELNS1_3gpuE9ELNS1_3repE0EEENS1_30default_config_static_selectorELNS0_4arch9wavefront6targetE0EEEvT1_
	.p2align	8
	.type	_ZN7rocprim17ROCPRIM_400000_NS6detail17trampoline_kernelINS0_14default_configENS1_29reduce_by_key_config_selectorIffN6thrust23THRUST_200600_302600_NS4plusIfEEEEZZNS1_33reduce_by_key_impl_wrapped_configILNS1_25lookback_scan_determinismE0ES3_S9_NS6_6detail15normal_iteratorINS6_10device_ptrIfEEEESG_SG_SG_PmS8_22is_equal_div_10_reduceIfEEE10hipError_tPvRmT2_T3_mT4_T5_T6_T7_T8_P12ihipStream_tbENKUlT_T0_E_clISt17integral_constantIbLb1EES10_IbLb0EEEEDaSW_SX_EUlSW_E_NS1_11comp_targetILNS1_3genE5ELNS1_11target_archE942ELNS1_3gpuE9ELNS1_3repE0EEENS1_30default_config_static_selectorELNS0_4arch9wavefront6targetE0EEEvT1_,@function
_ZN7rocprim17ROCPRIM_400000_NS6detail17trampoline_kernelINS0_14default_configENS1_29reduce_by_key_config_selectorIffN6thrust23THRUST_200600_302600_NS4plusIfEEEEZZNS1_33reduce_by_key_impl_wrapped_configILNS1_25lookback_scan_determinismE0ES3_S9_NS6_6detail15normal_iteratorINS6_10device_ptrIfEEEESG_SG_SG_PmS8_22is_equal_div_10_reduceIfEEE10hipError_tPvRmT2_T3_mT4_T5_T6_T7_T8_P12ihipStream_tbENKUlT_T0_E_clISt17integral_constantIbLb1EES10_IbLb0EEEEDaSW_SX_EUlSW_E_NS1_11comp_targetILNS1_3genE5ELNS1_11target_archE942ELNS1_3gpuE9ELNS1_3repE0EEENS1_30default_config_static_selectorELNS0_4arch9wavefront6targetE0EEEvT1_: ; @_ZN7rocprim17ROCPRIM_400000_NS6detail17trampoline_kernelINS0_14default_configENS1_29reduce_by_key_config_selectorIffN6thrust23THRUST_200600_302600_NS4plusIfEEEEZZNS1_33reduce_by_key_impl_wrapped_configILNS1_25lookback_scan_determinismE0ES3_S9_NS6_6detail15normal_iteratorINS6_10device_ptrIfEEEESG_SG_SG_PmS8_22is_equal_div_10_reduceIfEEE10hipError_tPvRmT2_T3_mT4_T5_T6_T7_T8_P12ihipStream_tbENKUlT_T0_E_clISt17integral_constantIbLb1EES10_IbLb0EEEEDaSW_SX_EUlSW_E_NS1_11comp_targetILNS1_3genE5ELNS1_11target_archE942ELNS1_3gpuE9ELNS1_3repE0EEENS1_30default_config_static_selectorELNS0_4arch9wavefront6targetE0EEEvT1_
; %bb.0:
	.section	.rodata,"a",@progbits
	.p2align	6, 0x0
	.amdhsa_kernel _ZN7rocprim17ROCPRIM_400000_NS6detail17trampoline_kernelINS0_14default_configENS1_29reduce_by_key_config_selectorIffN6thrust23THRUST_200600_302600_NS4plusIfEEEEZZNS1_33reduce_by_key_impl_wrapped_configILNS1_25lookback_scan_determinismE0ES3_S9_NS6_6detail15normal_iteratorINS6_10device_ptrIfEEEESG_SG_SG_PmS8_22is_equal_div_10_reduceIfEEE10hipError_tPvRmT2_T3_mT4_T5_T6_T7_T8_P12ihipStream_tbENKUlT_T0_E_clISt17integral_constantIbLb1EES10_IbLb0EEEEDaSW_SX_EUlSW_E_NS1_11comp_targetILNS1_3genE5ELNS1_11target_archE942ELNS1_3gpuE9ELNS1_3repE0EEENS1_30default_config_static_selectorELNS0_4arch9wavefront6targetE0EEEvT1_
		.amdhsa_group_segment_fixed_size 0
		.amdhsa_private_segment_fixed_size 0
		.amdhsa_kernarg_size 120
		.amdhsa_user_sgpr_count 15
		.amdhsa_user_sgpr_dispatch_ptr 0
		.amdhsa_user_sgpr_queue_ptr 0
		.amdhsa_user_sgpr_kernarg_segment_ptr 1
		.amdhsa_user_sgpr_dispatch_id 0
		.amdhsa_user_sgpr_private_segment_size 0
		.amdhsa_wavefront_size32 1
		.amdhsa_uses_dynamic_stack 0
		.amdhsa_enable_private_segment 0
		.amdhsa_system_sgpr_workgroup_id_x 1
		.amdhsa_system_sgpr_workgroup_id_y 0
		.amdhsa_system_sgpr_workgroup_id_z 0
		.amdhsa_system_sgpr_workgroup_info 0
		.amdhsa_system_vgpr_workitem_id 0
		.amdhsa_next_free_vgpr 1
		.amdhsa_next_free_sgpr 1
		.amdhsa_reserve_vcc 0
		.amdhsa_float_round_mode_32 0
		.amdhsa_float_round_mode_16_64 0
		.amdhsa_float_denorm_mode_32 3
		.amdhsa_float_denorm_mode_16_64 3
		.amdhsa_dx10_clamp 1
		.amdhsa_ieee_mode 1
		.amdhsa_fp16_overflow 0
		.amdhsa_workgroup_processor_mode 1
		.amdhsa_memory_ordered 1
		.amdhsa_forward_progress 0
		.amdhsa_shared_vgpr_count 0
		.amdhsa_exception_fp_ieee_invalid_op 0
		.amdhsa_exception_fp_denorm_src 0
		.amdhsa_exception_fp_ieee_div_zero 0
		.amdhsa_exception_fp_ieee_overflow 0
		.amdhsa_exception_fp_ieee_underflow 0
		.amdhsa_exception_fp_ieee_inexact 0
		.amdhsa_exception_int_div_zero 0
	.end_amdhsa_kernel
	.section	.text._ZN7rocprim17ROCPRIM_400000_NS6detail17trampoline_kernelINS0_14default_configENS1_29reduce_by_key_config_selectorIffN6thrust23THRUST_200600_302600_NS4plusIfEEEEZZNS1_33reduce_by_key_impl_wrapped_configILNS1_25lookback_scan_determinismE0ES3_S9_NS6_6detail15normal_iteratorINS6_10device_ptrIfEEEESG_SG_SG_PmS8_22is_equal_div_10_reduceIfEEE10hipError_tPvRmT2_T3_mT4_T5_T6_T7_T8_P12ihipStream_tbENKUlT_T0_E_clISt17integral_constantIbLb1EES10_IbLb0EEEEDaSW_SX_EUlSW_E_NS1_11comp_targetILNS1_3genE5ELNS1_11target_archE942ELNS1_3gpuE9ELNS1_3repE0EEENS1_30default_config_static_selectorELNS0_4arch9wavefront6targetE0EEEvT1_,"axG",@progbits,_ZN7rocprim17ROCPRIM_400000_NS6detail17trampoline_kernelINS0_14default_configENS1_29reduce_by_key_config_selectorIffN6thrust23THRUST_200600_302600_NS4plusIfEEEEZZNS1_33reduce_by_key_impl_wrapped_configILNS1_25lookback_scan_determinismE0ES3_S9_NS6_6detail15normal_iteratorINS6_10device_ptrIfEEEESG_SG_SG_PmS8_22is_equal_div_10_reduceIfEEE10hipError_tPvRmT2_T3_mT4_T5_T6_T7_T8_P12ihipStream_tbENKUlT_T0_E_clISt17integral_constantIbLb1EES10_IbLb0EEEEDaSW_SX_EUlSW_E_NS1_11comp_targetILNS1_3genE5ELNS1_11target_archE942ELNS1_3gpuE9ELNS1_3repE0EEENS1_30default_config_static_selectorELNS0_4arch9wavefront6targetE0EEEvT1_,comdat
.Lfunc_end219:
	.size	_ZN7rocprim17ROCPRIM_400000_NS6detail17trampoline_kernelINS0_14default_configENS1_29reduce_by_key_config_selectorIffN6thrust23THRUST_200600_302600_NS4plusIfEEEEZZNS1_33reduce_by_key_impl_wrapped_configILNS1_25lookback_scan_determinismE0ES3_S9_NS6_6detail15normal_iteratorINS6_10device_ptrIfEEEESG_SG_SG_PmS8_22is_equal_div_10_reduceIfEEE10hipError_tPvRmT2_T3_mT4_T5_T6_T7_T8_P12ihipStream_tbENKUlT_T0_E_clISt17integral_constantIbLb1EES10_IbLb0EEEEDaSW_SX_EUlSW_E_NS1_11comp_targetILNS1_3genE5ELNS1_11target_archE942ELNS1_3gpuE9ELNS1_3repE0EEENS1_30default_config_static_selectorELNS0_4arch9wavefront6targetE0EEEvT1_, .Lfunc_end219-_ZN7rocprim17ROCPRIM_400000_NS6detail17trampoline_kernelINS0_14default_configENS1_29reduce_by_key_config_selectorIffN6thrust23THRUST_200600_302600_NS4plusIfEEEEZZNS1_33reduce_by_key_impl_wrapped_configILNS1_25lookback_scan_determinismE0ES3_S9_NS6_6detail15normal_iteratorINS6_10device_ptrIfEEEESG_SG_SG_PmS8_22is_equal_div_10_reduceIfEEE10hipError_tPvRmT2_T3_mT4_T5_T6_T7_T8_P12ihipStream_tbENKUlT_T0_E_clISt17integral_constantIbLb1EES10_IbLb0EEEEDaSW_SX_EUlSW_E_NS1_11comp_targetILNS1_3genE5ELNS1_11target_archE942ELNS1_3gpuE9ELNS1_3repE0EEENS1_30default_config_static_selectorELNS0_4arch9wavefront6targetE0EEEvT1_
                                        ; -- End function
	.section	.AMDGPU.csdata,"",@progbits
; Kernel info:
; codeLenInByte = 0
; NumSgprs: 0
; NumVgprs: 0
; ScratchSize: 0
; MemoryBound: 0
; FloatMode: 240
; IeeeMode: 1
; LDSByteSize: 0 bytes/workgroup (compile time only)
; SGPRBlocks: 0
; VGPRBlocks: 0
; NumSGPRsForWavesPerEU: 1
; NumVGPRsForWavesPerEU: 1
; Occupancy: 16
; WaveLimiterHint : 0
; COMPUTE_PGM_RSRC2:SCRATCH_EN: 0
; COMPUTE_PGM_RSRC2:USER_SGPR: 15
; COMPUTE_PGM_RSRC2:TRAP_HANDLER: 0
; COMPUTE_PGM_RSRC2:TGID_X_EN: 1
; COMPUTE_PGM_RSRC2:TGID_Y_EN: 0
; COMPUTE_PGM_RSRC2:TGID_Z_EN: 0
; COMPUTE_PGM_RSRC2:TIDIG_COMP_CNT: 0
	.section	.text._ZN7rocprim17ROCPRIM_400000_NS6detail17trampoline_kernelINS0_14default_configENS1_29reduce_by_key_config_selectorIffN6thrust23THRUST_200600_302600_NS4plusIfEEEEZZNS1_33reduce_by_key_impl_wrapped_configILNS1_25lookback_scan_determinismE0ES3_S9_NS6_6detail15normal_iteratorINS6_10device_ptrIfEEEESG_SG_SG_PmS8_22is_equal_div_10_reduceIfEEE10hipError_tPvRmT2_T3_mT4_T5_T6_T7_T8_P12ihipStream_tbENKUlT_T0_E_clISt17integral_constantIbLb1EES10_IbLb0EEEEDaSW_SX_EUlSW_E_NS1_11comp_targetILNS1_3genE4ELNS1_11target_archE910ELNS1_3gpuE8ELNS1_3repE0EEENS1_30default_config_static_selectorELNS0_4arch9wavefront6targetE0EEEvT1_,"axG",@progbits,_ZN7rocprim17ROCPRIM_400000_NS6detail17trampoline_kernelINS0_14default_configENS1_29reduce_by_key_config_selectorIffN6thrust23THRUST_200600_302600_NS4plusIfEEEEZZNS1_33reduce_by_key_impl_wrapped_configILNS1_25lookback_scan_determinismE0ES3_S9_NS6_6detail15normal_iteratorINS6_10device_ptrIfEEEESG_SG_SG_PmS8_22is_equal_div_10_reduceIfEEE10hipError_tPvRmT2_T3_mT4_T5_T6_T7_T8_P12ihipStream_tbENKUlT_T0_E_clISt17integral_constantIbLb1EES10_IbLb0EEEEDaSW_SX_EUlSW_E_NS1_11comp_targetILNS1_3genE4ELNS1_11target_archE910ELNS1_3gpuE8ELNS1_3repE0EEENS1_30default_config_static_selectorELNS0_4arch9wavefront6targetE0EEEvT1_,comdat
	.protected	_ZN7rocprim17ROCPRIM_400000_NS6detail17trampoline_kernelINS0_14default_configENS1_29reduce_by_key_config_selectorIffN6thrust23THRUST_200600_302600_NS4plusIfEEEEZZNS1_33reduce_by_key_impl_wrapped_configILNS1_25lookback_scan_determinismE0ES3_S9_NS6_6detail15normal_iteratorINS6_10device_ptrIfEEEESG_SG_SG_PmS8_22is_equal_div_10_reduceIfEEE10hipError_tPvRmT2_T3_mT4_T5_T6_T7_T8_P12ihipStream_tbENKUlT_T0_E_clISt17integral_constantIbLb1EES10_IbLb0EEEEDaSW_SX_EUlSW_E_NS1_11comp_targetILNS1_3genE4ELNS1_11target_archE910ELNS1_3gpuE8ELNS1_3repE0EEENS1_30default_config_static_selectorELNS0_4arch9wavefront6targetE0EEEvT1_ ; -- Begin function _ZN7rocprim17ROCPRIM_400000_NS6detail17trampoline_kernelINS0_14default_configENS1_29reduce_by_key_config_selectorIffN6thrust23THRUST_200600_302600_NS4plusIfEEEEZZNS1_33reduce_by_key_impl_wrapped_configILNS1_25lookback_scan_determinismE0ES3_S9_NS6_6detail15normal_iteratorINS6_10device_ptrIfEEEESG_SG_SG_PmS8_22is_equal_div_10_reduceIfEEE10hipError_tPvRmT2_T3_mT4_T5_T6_T7_T8_P12ihipStream_tbENKUlT_T0_E_clISt17integral_constantIbLb1EES10_IbLb0EEEEDaSW_SX_EUlSW_E_NS1_11comp_targetILNS1_3genE4ELNS1_11target_archE910ELNS1_3gpuE8ELNS1_3repE0EEENS1_30default_config_static_selectorELNS0_4arch9wavefront6targetE0EEEvT1_
	.globl	_ZN7rocprim17ROCPRIM_400000_NS6detail17trampoline_kernelINS0_14default_configENS1_29reduce_by_key_config_selectorIffN6thrust23THRUST_200600_302600_NS4plusIfEEEEZZNS1_33reduce_by_key_impl_wrapped_configILNS1_25lookback_scan_determinismE0ES3_S9_NS6_6detail15normal_iteratorINS6_10device_ptrIfEEEESG_SG_SG_PmS8_22is_equal_div_10_reduceIfEEE10hipError_tPvRmT2_T3_mT4_T5_T6_T7_T8_P12ihipStream_tbENKUlT_T0_E_clISt17integral_constantIbLb1EES10_IbLb0EEEEDaSW_SX_EUlSW_E_NS1_11comp_targetILNS1_3genE4ELNS1_11target_archE910ELNS1_3gpuE8ELNS1_3repE0EEENS1_30default_config_static_selectorELNS0_4arch9wavefront6targetE0EEEvT1_
	.p2align	8
	.type	_ZN7rocprim17ROCPRIM_400000_NS6detail17trampoline_kernelINS0_14default_configENS1_29reduce_by_key_config_selectorIffN6thrust23THRUST_200600_302600_NS4plusIfEEEEZZNS1_33reduce_by_key_impl_wrapped_configILNS1_25lookback_scan_determinismE0ES3_S9_NS6_6detail15normal_iteratorINS6_10device_ptrIfEEEESG_SG_SG_PmS8_22is_equal_div_10_reduceIfEEE10hipError_tPvRmT2_T3_mT4_T5_T6_T7_T8_P12ihipStream_tbENKUlT_T0_E_clISt17integral_constantIbLb1EES10_IbLb0EEEEDaSW_SX_EUlSW_E_NS1_11comp_targetILNS1_3genE4ELNS1_11target_archE910ELNS1_3gpuE8ELNS1_3repE0EEENS1_30default_config_static_selectorELNS0_4arch9wavefront6targetE0EEEvT1_,@function
_ZN7rocprim17ROCPRIM_400000_NS6detail17trampoline_kernelINS0_14default_configENS1_29reduce_by_key_config_selectorIffN6thrust23THRUST_200600_302600_NS4plusIfEEEEZZNS1_33reduce_by_key_impl_wrapped_configILNS1_25lookback_scan_determinismE0ES3_S9_NS6_6detail15normal_iteratorINS6_10device_ptrIfEEEESG_SG_SG_PmS8_22is_equal_div_10_reduceIfEEE10hipError_tPvRmT2_T3_mT4_T5_T6_T7_T8_P12ihipStream_tbENKUlT_T0_E_clISt17integral_constantIbLb1EES10_IbLb0EEEEDaSW_SX_EUlSW_E_NS1_11comp_targetILNS1_3genE4ELNS1_11target_archE910ELNS1_3gpuE8ELNS1_3repE0EEENS1_30default_config_static_selectorELNS0_4arch9wavefront6targetE0EEEvT1_: ; @_ZN7rocprim17ROCPRIM_400000_NS6detail17trampoline_kernelINS0_14default_configENS1_29reduce_by_key_config_selectorIffN6thrust23THRUST_200600_302600_NS4plusIfEEEEZZNS1_33reduce_by_key_impl_wrapped_configILNS1_25lookback_scan_determinismE0ES3_S9_NS6_6detail15normal_iteratorINS6_10device_ptrIfEEEESG_SG_SG_PmS8_22is_equal_div_10_reduceIfEEE10hipError_tPvRmT2_T3_mT4_T5_T6_T7_T8_P12ihipStream_tbENKUlT_T0_E_clISt17integral_constantIbLb1EES10_IbLb0EEEEDaSW_SX_EUlSW_E_NS1_11comp_targetILNS1_3genE4ELNS1_11target_archE910ELNS1_3gpuE8ELNS1_3repE0EEENS1_30default_config_static_selectorELNS0_4arch9wavefront6targetE0EEEvT1_
; %bb.0:
	.section	.rodata,"a",@progbits
	.p2align	6, 0x0
	.amdhsa_kernel _ZN7rocprim17ROCPRIM_400000_NS6detail17trampoline_kernelINS0_14default_configENS1_29reduce_by_key_config_selectorIffN6thrust23THRUST_200600_302600_NS4plusIfEEEEZZNS1_33reduce_by_key_impl_wrapped_configILNS1_25lookback_scan_determinismE0ES3_S9_NS6_6detail15normal_iteratorINS6_10device_ptrIfEEEESG_SG_SG_PmS8_22is_equal_div_10_reduceIfEEE10hipError_tPvRmT2_T3_mT4_T5_T6_T7_T8_P12ihipStream_tbENKUlT_T0_E_clISt17integral_constantIbLb1EES10_IbLb0EEEEDaSW_SX_EUlSW_E_NS1_11comp_targetILNS1_3genE4ELNS1_11target_archE910ELNS1_3gpuE8ELNS1_3repE0EEENS1_30default_config_static_selectorELNS0_4arch9wavefront6targetE0EEEvT1_
		.amdhsa_group_segment_fixed_size 0
		.amdhsa_private_segment_fixed_size 0
		.amdhsa_kernarg_size 120
		.amdhsa_user_sgpr_count 15
		.amdhsa_user_sgpr_dispatch_ptr 0
		.amdhsa_user_sgpr_queue_ptr 0
		.amdhsa_user_sgpr_kernarg_segment_ptr 1
		.amdhsa_user_sgpr_dispatch_id 0
		.amdhsa_user_sgpr_private_segment_size 0
		.amdhsa_wavefront_size32 1
		.amdhsa_uses_dynamic_stack 0
		.amdhsa_enable_private_segment 0
		.amdhsa_system_sgpr_workgroup_id_x 1
		.amdhsa_system_sgpr_workgroup_id_y 0
		.amdhsa_system_sgpr_workgroup_id_z 0
		.amdhsa_system_sgpr_workgroup_info 0
		.amdhsa_system_vgpr_workitem_id 0
		.amdhsa_next_free_vgpr 1
		.amdhsa_next_free_sgpr 1
		.amdhsa_reserve_vcc 0
		.amdhsa_float_round_mode_32 0
		.amdhsa_float_round_mode_16_64 0
		.amdhsa_float_denorm_mode_32 3
		.amdhsa_float_denorm_mode_16_64 3
		.amdhsa_dx10_clamp 1
		.amdhsa_ieee_mode 1
		.amdhsa_fp16_overflow 0
		.amdhsa_workgroup_processor_mode 1
		.amdhsa_memory_ordered 1
		.amdhsa_forward_progress 0
		.amdhsa_shared_vgpr_count 0
		.amdhsa_exception_fp_ieee_invalid_op 0
		.amdhsa_exception_fp_denorm_src 0
		.amdhsa_exception_fp_ieee_div_zero 0
		.amdhsa_exception_fp_ieee_overflow 0
		.amdhsa_exception_fp_ieee_underflow 0
		.amdhsa_exception_fp_ieee_inexact 0
		.amdhsa_exception_int_div_zero 0
	.end_amdhsa_kernel
	.section	.text._ZN7rocprim17ROCPRIM_400000_NS6detail17trampoline_kernelINS0_14default_configENS1_29reduce_by_key_config_selectorIffN6thrust23THRUST_200600_302600_NS4plusIfEEEEZZNS1_33reduce_by_key_impl_wrapped_configILNS1_25lookback_scan_determinismE0ES3_S9_NS6_6detail15normal_iteratorINS6_10device_ptrIfEEEESG_SG_SG_PmS8_22is_equal_div_10_reduceIfEEE10hipError_tPvRmT2_T3_mT4_T5_T6_T7_T8_P12ihipStream_tbENKUlT_T0_E_clISt17integral_constantIbLb1EES10_IbLb0EEEEDaSW_SX_EUlSW_E_NS1_11comp_targetILNS1_3genE4ELNS1_11target_archE910ELNS1_3gpuE8ELNS1_3repE0EEENS1_30default_config_static_selectorELNS0_4arch9wavefront6targetE0EEEvT1_,"axG",@progbits,_ZN7rocprim17ROCPRIM_400000_NS6detail17trampoline_kernelINS0_14default_configENS1_29reduce_by_key_config_selectorIffN6thrust23THRUST_200600_302600_NS4plusIfEEEEZZNS1_33reduce_by_key_impl_wrapped_configILNS1_25lookback_scan_determinismE0ES3_S9_NS6_6detail15normal_iteratorINS6_10device_ptrIfEEEESG_SG_SG_PmS8_22is_equal_div_10_reduceIfEEE10hipError_tPvRmT2_T3_mT4_T5_T6_T7_T8_P12ihipStream_tbENKUlT_T0_E_clISt17integral_constantIbLb1EES10_IbLb0EEEEDaSW_SX_EUlSW_E_NS1_11comp_targetILNS1_3genE4ELNS1_11target_archE910ELNS1_3gpuE8ELNS1_3repE0EEENS1_30default_config_static_selectorELNS0_4arch9wavefront6targetE0EEEvT1_,comdat
.Lfunc_end220:
	.size	_ZN7rocprim17ROCPRIM_400000_NS6detail17trampoline_kernelINS0_14default_configENS1_29reduce_by_key_config_selectorIffN6thrust23THRUST_200600_302600_NS4plusIfEEEEZZNS1_33reduce_by_key_impl_wrapped_configILNS1_25lookback_scan_determinismE0ES3_S9_NS6_6detail15normal_iteratorINS6_10device_ptrIfEEEESG_SG_SG_PmS8_22is_equal_div_10_reduceIfEEE10hipError_tPvRmT2_T3_mT4_T5_T6_T7_T8_P12ihipStream_tbENKUlT_T0_E_clISt17integral_constantIbLb1EES10_IbLb0EEEEDaSW_SX_EUlSW_E_NS1_11comp_targetILNS1_3genE4ELNS1_11target_archE910ELNS1_3gpuE8ELNS1_3repE0EEENS1_30default_config_static_selectorELNS0_4arch9wavefront6targetE0EEEvT1_, .Lfunc_end220-_ZN7rocprim17ROCPRIM_400000_NS6detail17trampoline_kernelINS0_14default_configENS1_29reduce_by_key_config_selectorIffN6thrust23THRUST_200600_302600_NS4plusIfEEEEZZNS1_33reduce_by_key_impl_wrapped_configILNS1_25lookback_scan_determinismE0ES3_S9_NS6_6detail15normal_iteratorINS6_10device_ptrIfEEEESG_SG_SG_PmS8_22is_equal_div_10_reduceIfEEE10hipError_tPvRmT2_T3_mT4_T5_T6_T7_T8_P12ihipStream_tbENKUlT_T0_E_clISt17integral_constantIbLb1EES10_IbLb0EEEEDaSW_SX_EUlSW_E_NS1_11comp_targetILNS1_3genE4ELNS1_11target_archE910ELNS1_3gpuE8ELNS1_3repE0EEENS1_30default_config_static_selectorELNS0_4arch9wavefront6targetE0EEEvT1_
                                        ; -- End function
	.section	.AMDGPU.csdata,"",@progbits
; Kernel info:
; codeLenInByte = 0
; NumSgprs: 0
; NumVgprs: 0
; ScratchSize: 0
; MemoryBound: 0
; FloatMode: 240
; IeeeMode: 1
; LDSByteSize: 0 bytes/workgroup (compile time only)
; SGPRBlocks: 0
; VGPRBlocks: 0
; NumSGPRsForWavesPerEU: 1
; NumVGPRsForWavesPerEU: 1
; Occupancy: 16
; WaveLimiterHint : 0
; COMPUTE_PGM_RSRC2:SCRATCH_EN: 0
; COMPUTE_PGM_RSRC2:USER_SGPR: 15
; COMPUTE_PGM_RSRC2:TRAP_HANDLER: 0
; COMPUTE_PGM_RSRC2:TGID_X_EN: 1
; COMPUTE_PGM_RSRC2:TGID_Y_EN: 0
; COMPUTE_PGM_RSRC2:TGID_Z_EN: 0
; COMPUTE_PGM_RSRC2:TIDIG_COMP_CNT: 0
	.section	.text._ZN7rocprim17ROCPRIM_400000_NS6detail17trampoline_kernelINS0_14default_configENS1_29reduce_by_key_config_selectorIffN6thrust23THRUST_200600_302600_NS4plusIfEEEEZZNS1_33reduce_by_key_impl_wrapped_configILNS1_25lookback_scan_determinismE0ES3_S9_NS6_6detail15normal_iteratorINS6_10device_ptrIfEEEESG_SG_SG_PmS8_22is_equal_div_10_reduceIfEEE10hipError_tPvRmT2_T3_mT4_T5_T6_T7_T8_P12ihipStream_tbENKUlT_T0_E_clISt17integral_constantIbLb1EES10_IbLb0EEEEDaSW_SX_EUlSW_E_NS1_11comp_targetILNS1_3genE3ELNS1_11target_archE908ELNS1_3gpuE7ELNS1_3repE0EEENS1_30default_config_static_selectorELNS0_4arch9wavefront6targetE0EEEvT1_,"axG",@progbits,_ZN7rocprim17ROCPRIM_400000_NS6detail17trampoline_kernelINS0_14default_configENS1_29reduce_by_key_config_selectorIffN6thrust23THRUST_200600_302600_NS4plusIfEEEEZZNS1_33reduce_by_key_impl_wrapped_configILNS1_25lookback_scan_determinismE0ES3_S9_NS6_6detail15normal_iteratorINS6_10device_ptrIfEEEESG_SG_SG_PmS8_22is_equal_div_10_reduceIfEEE10hipError_tPvRmT2_T3_mT4_T5_T6_T7_T8_P12ihipStream_tbENKUlT_T0_E_clISt17integral_constantIbLb1EES10_IbLb0EEEEDaSW_SX_EUlSW_E_NS1_11comp_targetILNS1_3genE3ELNS1_11target_archE908ELNS1_3gpuE7ELNS1_3repE0EEENS1_30default_config_static_selectorELNS0_4arch9wavefront6targetE0EEEvT1_,comdat
	.protected	_ZN7rocprim17ROCPRIM_400000_NS6detail17trampoline_kernelINS0_14default_configENS1_29reduce_by_key_config_selectorIffN6thrust23THRUST_200600_302600_NS4plusIfEEEEZZNS1_33reduce_by_key_impl_wrapped_configILNS1_25lookback_scan_determinismE0ES3_S9_NS6_6detail15normal_iteratorINS6_10device_ptrIfEEEESG_SG_SG_PmS8_22is_equal_div_10_reduceIfEEE10hipError_tPvRmT2_T3_mT4_T5_T6_T7_T8_P12ihipStream_tbENKUlT_T0_E_clISt17integral_constantIbLb1EES10_IbLb0EEEEDaSW_SX_EUlSW_E_NS1_11comp_targetILNS1_3genE3ELNS1_11target_archE908ELNS1_3gpuE7ELNS1_3repE0EEENS1_30default_config_static_selectorELNS0_4arch9wavefront6targetE0EEEvT1_ ; -- Begin function _ZN7rocprim17ROCPRIM_400000_NS6detail17trampoline_kernelINS0_14default_configENS1_29reduce_by_key_config_selectorIffN6thrust23THRUST_200600_302600_NS4plusIfEEEEZZNS1_33reduce_by_key_impl_wrapped_configILNS1_25lookback_scan_determinismE0ES3_S9_NS6_6detail15normal_iteratorINS6_10device_ptrIfEEEESG_SG_SG_PmS8_22is_equal_div_10_reduceIfEEE10hipError_tPvRmT2_T3_mT4_T5_T6_T7_T8_P12ihipStream_tbENKUlT_T0_E_clISt17integral_constantIbLb1EES10_IbLb0EEEEDaSW_SX_EUlSW_E_NS1_11comp_targetILNS1_3genE3ELNS1_11target_archE908ELNS1_3gpuE7ELNS1_3repE0EEENS1_30default_config_static_selectorELNS0_4arch9wavefront6targetE0EEEvT1_
	.globl	_ZN7rocprim17ROCPRIM_400000_NS6detail17trampoline_kernelINS0_14default_configENS1_29reduce_by_key_config_selectorIffN6thrust23THRUST_200600_302600_NS4plusIfEEEEZZNS1_33reduce_by_key_impl_wrapped_configILNS1_25lookback_scan_determinismE0ES3_S9_NS6_6detail15normal_iteratorINS6_10device_ptrIfEEEESG_SG_SG_PmS8_22is_equal_div_10_reduceIfEEE10hipError_tPvRmT2_T3_mT4_T5_T6_T7_T8_P12ihipStream_tbENKUlT_T0_E_clISt17integral_constantIbLb1EES10_IbLb0EEEEDaSW_SX_EUlSW_E_NS1_11comp_targetILNS1_3genE3ELNS1_11target_archE908ELNS1_3gpuE7ELNS1_3repE0EEENS1_30default_config_static_selectorELNS0_4arch9wavefront6targetE0EEEvT1_
	.p2align	8
	.type	_ZN7rocprim17ROCPRIM_400000_NS6detail17trampoline_kernelINS0_14default_configENS1_29reduce_by_key_config_selectorIffN6thrust23THRUST_200600_302600_NS4plusIfEEEEZZNS1_33reduce_by_key_impl_wrapped_configILNS1_25lookback_scan_determinismE0ES3_S9_NS6_6detail15normal_iteratorINS6_10device_ptrIfEEEESG_SG_SG_PmS8_22is_equal_div_10_reduceIfEEE10hipError_tPvRmT2_T3_mT4_T5_T6_T7_T8_P12ihipStream_tbENKUlT_T0_E_clISt17integral_constantIbLb1EES10_IbLb0EEEEDaSW_SX_EUlSW_E_NS1_11comp_targetILNS1_3genE3ELNS1_11target_archE908ELNS1_3gpuE7ELNS1_3repE0EEENS1_30default_config_static_selectorELNS0_4arch9wavefront6targetE0EEEvT1_,@function
_ZN7rocprim17ROCPRIM_400000_NS6detail17trampoline_kernelINS0_14default_configENS1_29reduce_by_key_config_selectorIffN6thrust23THRUST_200600_302600_NS4plusIfEEEEZZNS1_33reduce_by_key_impl_wrapped_configILNS1_25lookback_scan_determinismE0ES3_S9_NS6_6detail15normal_iteratorINS6_10device_ptrIfEEEESG_SG_SG_PmS8_22is_equal_div_10_reduceIfEEE10hipError_tPvRmT2_T3_mT4_T5_T6_T7_T8_P12ihipStream_tbENKUlT_T0_E_clISt17integral_constantIbLb1EES10_IbLb0EEEEDaSW_SX_EUlSW_E_NS1_11comp_targetILNS1_3genE3ELNS1_11target_archE908ELNS1_3gpuE7ELNS1_3repE0EEENS1_30default_config_static_selectorELNS0_4arch9wavefront6targetE0EEEvT1_: ; @_ZN7rocprim17ROCPRIM_400000_NS6detail17trampoline_kernelINS0_14default_configENS1_29reduce_by_key_config_selectorIffN6thrust23THRUST_200600_302600_NS4plusIfEEEEZZNS1_33reduce_by_key_impl_wrapped_configILNS1_25lookback_scan_determinismE0ES3_S9_NS6_6detail15normal_iteratorINS6_10device_ptrIfEEEESG_SG_SG_PmS8_22is_equal_div_10_reduceIfEEE10hipError_tPvRmT2_T3_mT4_T5_T6_T7_T8_P12ihipStream_tbENKUlT_T0_E_clISt17integral_constantIbLb1EES10_IbLb0EEEEDaSW_SX_EUlSW_E_NS1_11comp_targetILNS1_3genE3ELNS1_11target_archE908ELNS1_3gpuE7ELNS1_3repE0EEENS1_30default_config_static_selectorELNS0_4arch9wavefront6targetE0EEEvT1_
; %bb.0:
	.section	.rodata,"a",@progbits
	.p2align	6, 0x0
	.amdhsa_kernel _ZN7rocprim17ROCPRIM_400000_NS6detail17trampoline_kernelINS0_14default_configENS1_29reduce_by_key_config_selectorIffN6thrust23THRUST_200600_302600_NS4plusIfEEEEZZNS1_33reduce_by_key_impl_wrapped_configILNS1_25lookback_scan_determinismE0ES3_S9_NS6_6detail15normal_iteratorINS6_10device_ptrIfEEEESG_SG_SG_PmS8_22is_equal_div_10_reduceIfEEE10hipError_tPvRmT2_T3_mT4_T5_T6_T7_T8_P12ihipStream_tbENKUlT_T0_E_clISt17integral_constantIbLb1EES10_IbLb0EEEEDaSW_SX_EUlSW_E_NS1_11comp_targetILNS1_3genE3ELNS1_11target_archE908ELNS1_3gpuE7ELNS1_3repE0EEENS1_30default_config_static_selectorELNS0_4arch9wavefront6targetE0EEEvT1_
		.amdhsa_group_segment_fixed_size 0
		.amdhsa_private_segment_fixed_size 0
		.amdhsa_kernarg_size 120
		.amdhsa_user_sgpr_count 15
		.amdhsa_user_sgpr_dispatch_ptr 0
		.amdhsa_user_sgpr_queue_ptr 0
		.amdhsa_user_sgpr_kernarg_segment_ptr 1
		.amdhsa_user_sgpr_dispatch_id 0
		.amdhsa_user_sgpr_private_segment_size 0
		.amdhsa_wavefront_size32 1
		.amdhsa_uses_dynamic_stack 0
		.amdhsa_enable_private_segment 0
		.amdhsa_system_sgpr_workgroup_id_x 1
		.amdhsa_system_sgpr_workgroup_id_y 0
		.amdhsa_system_sgpr_workgroup_id_z 0
		.amdhsa_system_sgpr_workgroup_info 0
		.amdhsa_system_vgpr_workitem_id 0
		.amdhsa_next_free_vgpr 1
		.amdhsa_next_free_sgpr 1
		.amdhsa_reserve_vcc 0
		.amdhsa_float_round_mode_32 0
		.amdhsa_float_round_mode_16_64 0
		.amdhsa_float_denorm_mode_32 3
		.amdhsa_float_denorm_mode_16_64 3
		.amdhsa_dx10_clamp 1
		.amdhsa_ieee_mode 1
		.amdhsa_fp16_overflow 0
		.amdhsa_workgroup_processor_mode 1
		.amdhsa_memory_ordered 1
		.amdhsa_forward_progress 0
		.amdhsa_shared_vgpr_count 0
		.amdhsa_exception_fp_ieee_invalid_op 0
		.amdhsa_exception_fp_denorm_src 0
		.amdhsa_exception_fp_ieee_div_zero 0
		.amdhsa_exception_fp_ieee_overflow 0
		.amdhsa_exception_fp_ieee_underflow 0
		.amdhsa_exception_fp_ieee_inexact 0
		.amdhsa_exception_int_div_zero 0
	.end_amdhsa_kernel
	.section	.text._ZN7rocprim17ROCPRIM_400000_NS6detail17trampoline_kernelINS0_14default_configENS1_29reduce_by_key_config_selectorIffN6thrust23THRUST_200600_302600_NS4plusIfEEEEZZNS1_33reduce_by_key_impl_wrapped_configILNS1_25lookback_scan_determinismE0ES3_S9_NS6_6detail15normal_iteratorINS6_10device_ptrIfEEEESG_SG_SG_PmS8_22is_equal_div_10_reduceIfEEE10hipError_tPvRmT2_T3_mT4_T5_T6_T7_T8_P12ihipStream_tbENKUlT_T0_E_clISt17integral_constantIbLb1EES10_IbLb0EEEEDaSW_SX_EUlSW_E_NS1_11comp_targetILNS1_3genE3ELNS1_11target_archE908ELNS1_3gpuE7ELNS1_3repE0EEENS1_30default_config_static_selectorELNS0_4arch9wavefront6targetE0EEEvT1_,"axG",@progbits,_ZN7rocprim17ROCPRIM_400000_NS6detail17trampoline_kernelINS0_14default_configENS1_29reduce_by_key_config_selectorIffN6thrust23THRUST_200600_302600_NS4plusIfEEEEZZNS1_33reduce_by_key_impl_wrapped_configILNS1_25lookback_scan_determinismE0ES3_S9_NS6_6detail15normal_iteratorINS6_10device_ptrIfEEEESG_SG_SG_PmS8_22is_equal_div_10_reduceIfEEE10hipError_tPvRmT2_T3_mT4_T5_T6_T7_T8_P12ihipStream_tbENKUlT_T0_E_clISt17integral_constantIbLb1EES10_IbLb0EEEEDaSW_SX_EUlSW_E_NS1_11comp_targetILNS1_3genE3ELNS1_11target_archE908ELNS1_3gpuE7ELNS1_3repE0EEENS1_30default_config_static_selectorELNS0_4arch9wavefront6targetE0EEEvT1_,comdat
.Lfunc_end221:
	.size	_ZN7rocprim17ROCPRIM_400000_NS6detail17trampoline_kernelINS0_14default_configENS1_29reduce_by_key_config_selectorIffN6thrust23THRUST_200600_302600_NS4plusIfEEEEZZNS1_33reduce_by_key_impl_wrapped_configILNS1_25lookback_scan_determinismE0ES3_S9_NS6_6detail15normal_iteratorINS6_10device_ptrIfEEEESG_SG_SG_PmS8_22is_equal_div_10_reduceIfEEE10hipError_tPvRmT2_T3_mT4_T5_T6_T7_T8_P12ihipStream_tbENKUlT_T0_E_clISt17integral_constantIbLb1EES10_IbLb0EEEEDaSW_SX_EUlSW_E_NS1_11comp_targetILNS1_3genE3ELNS1_11target_archE908ELNS1_3gpuE7ELNS1_3repE0EEENS1_30default_config_static_selectorELNS0_4arch9wavefront6targetE0EEEvT1_, .Lfunc_end221-_ZN7rocprim17ROCPRIM_400000_NS6detail17trampoline_kernelINS0_14default_configENS1_29reduce_by_key_config_selectorIffN6thrust23THRUST_200600_302600_NS4plusIfEEEEZZNS1_33reduce_by_key_impl_wrapped_configILNS1_25lookback_scan_determinismE0ES3_S9_NS6_6detail15normal_iteratorINS6_10device_ptrIfEEEESG_SG_SG_PmS8_22is_equal_div_10_reduceIfEEE10hipError_tPvRmT2_T3_mT4_T5_T6_T7_T8_P12ihipStream_tbENKUlT_T0_E_clISt17integral_constantIbLb1EES10_IbLb0EEEEDaSW_SX_EUlSW_E_NS1_11comp_targetILNS1_3genE3ELNS1_11target_archE908ELNS1_3gpuE7ELNS1_3repE0EEENS1_30default_config_static_selectorELNS0_4arch9wavefront6targetE0EEEvT1_
                                        ; -- End function
	.section	.AMDGPU.csdata,"",@progbits
; Kernel info:
; codeLenInByte = 0
; NumSgprs: 0
; NumVgprs: 0
; ScratchSize: 0
; MemoryBound: 0
; FloatMode: 240
; IeeeMode: 1
; LDSByteSize: 0 bytes/workgroup (compile time only)
; SGPRBlocks: 0
; VGPRBlocks: 0
; NumSGPRsForWavesPerEU: 1
; NumVGPRsForWavesPerEU: 1
; Occupancy: 16
; WaveLimiterHint : 0
; COMPUTE_PGM_RSRC2:SCRATCH_EN: 0
; COMPUTE_PGM_RSRC2:USER_SGPR: 15
; COMPUTE_PGM_RSRC2:TRAP_HANDLER: 0
; COMPUTE_PGM_RSRC2:TGID_X_EN: 1
; COMPUTE_PGM_RSRC2:TGID_Y_EN: 0
; COMPUTE_PGM_RSRC2:TGID_Z_EN: 0
; COMPUTE_PGM_RSRC2:TIDIG_COMP_CNT: 0
	.section	.text._ZN7rocprim17ROCPRIM_400000_NS6detail17trampoline_kernelINS0_14default_configENS1_29reduce_by_key_config_selectorIffN6thrust23THRUST_200600_302600_NS4plusIfEEEEZZNS1_33reduce_by_key_impl_wrapped_configILNS1_25lookback_scan_determinismE0ES3_S9_NS6_6detail15normal_iteratorINS6_10device_ptrIfEEEESG_SG_SG_PmS8_22is_equal_div_10_reduceIfEEE10hipError_tPvRmT2_T3_mT4_T5_T6_T7_T8_P12ihipStream_tbENKUlT_T0_E_clISt17integral_constantIbLb1EES10_IbLb0EEEEDaSW_SX_EUlSW_E_NS1_11comp_targetILNS1_3genE2ELNS1_11target_archE906ELNS1_3gpuE6ELNS1_3repE0EEENS1_30default_config_static_selectorELNS0_4arch9wavefront6targetE0EEEvT1_,"axG",@progbits,_ZN7rocprim17ROCPRIM_400000_NS6detail17trampoline_kernelINS0_14default_configENS1_29reduce_by_key_config_selectorIffN6thrust23THRUST_200600_302600_NS4plusIfEEEEZZNS1_33reduce_by_key_impl_wrapped_configILNS1_25lookback_scan_determinismE0ES3_S9_NS6_6detail15normal_iteratorINS6_10device_ptrIfEEEESG_SG_SG_PmS8_22is_equal_div_10_reduceIfEEE10hipError_tPvRmT2_T3_mT4_T5_T6_T7_T8_P12ihipStream_tbENKUlT_T0_E_clISt17integral_constantIbLb1EES10_IbLb0EEEEDaSW_SX_EUlSW_E_NS1_11comp_targetILNS1_3genE2ELNS1_11target_archE906ELNS1_3gpuE6ELNS1_3repE0EEENS1_30default_config_static_selectorELNS0_4arch9wavefront6targetE0EEEvT1_,comdat
	.protected	_ZN7rocprim17ROCPRIM_400000_NS6detail17trampoline_kernelINS0_14default_configENS1_29reduce_by_key_config_selectorIffN6thrust23THRUST_200600_302600_NS4plusIfEEEEZZNS1_33reduce_by_key_impl_wrapped_configILNS1_25lookback_scan_determinismE0ES3_S9_NS6_6detail15normal_iteratorINS6_10device_ptrIfEEEESG_SG_SG_PmS8_22is_equal_div_10_reduceIfEEE10hipError_tPvRmT2_T3_mT4_T5_T6_T7_T8_P12ihipStream_tbENKUlT_T0_E_clISt17integral_constantIbLb1EES10_IbLb0EEEEDaSW_SX_EUlSW_E_NS1_11comp_targetILNS1_3genE2ELNS1_11target_archE906ELNS1_3gpuE6ELNS1_3repE0EEENS1_30default_config_static_selectorELNS0_4arch9wavefront6targetE0EEEvT1_ ; -- Begin function _ZN7rocprim17ROCPRIM_400000_NS6detail17trampoline_kernelINS0_14default_configENS1_29reduce_by_key_config_selectorIffN6thrust23THRUST_200600_302600_NS4plusIfEEEEZZNS1_33reduce_by_key_impl_wrapped_configILNS1_25lookback_scan_determinismE0ES3_S9_NS6_6detail15normal_iteratorINS6_10device_ptrIfEEEESG_SG_SG_PmS8_22is_equal_div_10_reduceIfEEE10hipError_tPvRmT2_T3_mT4_T5_T6_T7_T8_P12ihipStream_tbENKUlT_T0_E_clISt17integral_constantIbLb1EES10_IbLb0EEEEDaSW_SX_EUlSW_E_NS1_11comp_targetILNS1_3genE2ELNS1_11target_archE906ELNS1_3gpuE6ELNS1_3repE0EEENS1_30default_config_static_selectorELNS0_4arch9wavefront6targetE0EEEvT1_
	.globl	_ZN7rocprim17ROCPRIM_400000_NS6detail17trampoline_kernelINS0_14default_configENS1_29reduce_by_key_config_selectorIffN6thrust23THRUST_200600_302600_NS4plusIfEEEEZZNS1_33reduce_by_key_impl_wrapped_configILNS1_25lookback_scan_determinismE0ES3_S9_NS6_6detail15normal_iteratorINS6_10device_ptrIfEEEESG_SG_SG_PmS8_22is_equal_div_10_reduceIfEEE10hipError_tPvRmT2_T3_mT4_T5_T6_T7_T8_P12ihipStream_tbENKUlT_T0_E_clISt17integral_constantIbLb1EES10_IbLb0EEEEDaSW_SX_EUlSW_E_NS1_11comp_targetILNS1_3genE2ELNS1_11target_archE906ELNS1_3gpuE6ELNS1_3repE0EEENS1_30default_config_static_selectorELNS0_4arch9wavefront6targetE0EEEvT1_
	.p2align	8
	.type	_ZN7rocprim17ROCPRIM_400000_NS6detail17trampoline_kernelINS0_14default_configENS1_29reduce_by_key_config_selectorIffN6thrust23THRUST_200600_302600_NS4plusIfEEEEZZNS1_33reduce_by_key_impl_wrapped_configILNS1_25lookback_scan_determinismE0ES3_S9_NS6_6detail15normal_iteratorINS6_10device_ptrIfEEEESG_SG_SG_PmS8_22is_equal_div_10_reduceIfEEE10hipError_tPvRmT2_T3_mT4_T5_T6_T7_T8_P12ihipStream_tbENKUlT_T0_E_clISt17integral_constantIbLb1EES10_IbLb0EEEEDaSW_SX_EUlSW_E_NS1_11comp_targetILNS1_3genE2ELNS1_11target_archE906ELNS1_3gpuE6ELNS1_3repE0EEENS1_30default_config_static_selectorELNS0_4arch9wavefront6targetE0EEEvT1_,@function
_ZN7rocprim17ROCPRIM_400000_NS6detail17trampoline_kernelINS0_14default_configENS1_29reduce_by_key_config_selectorIffN6thrust23THRUST_200600_302600_NS4plusIfEEEEZZNS1_33reduce_by_key_impl_wrapped_configILNS1_25lookback_scan_determinismE0ES3_S9_NS6_6detail15normal_iteratorINS6_10device_ptrIfEEEESG_SG_SG_PmS8_22is_equal_div_10_reduceIfEEE10hipError_tPvRmT2_T3_mT4_T5_T6_T7_T8_P12ihipStream_tbENKUlT_T0_E_clISt17integral_constantIbLb1EES10_IbLb0EEEEDaSW_SX_EUlSW_E_NS1_11comp_targetILNS1_3genE2ELNS1_11target_archE906ELNS1_3gpuE6ELNS1_3repE0EEENS1_30default_config_static_selectorELNS0_4arch9wavefront6targetE0EEEvT1_: ; @_ZN7rocprim17ROCPRIM_400000_NS6detail17trampoline_kernelINS0_14default_configENS1_29reduce_by_key_config_selectorIffN6thrust23THRUST_200600_302600_NS4plusIfEEEEZZNS1_33reduce_by_key_impl_wrapped_configILNS1_25lookback_scan_determinismE0ES3_S9_NS6_6detail15normal_iteratorINS6_10device_ptrIfEEEESG_SG_SG_PmS8_22is_equal_div_10_reduceIfEEE10hipError_tPvRmT2_T3_mT4_T5_T6_T7_T8_P12ihipStream_tbENKUlT_T0_E_clISt17integral_constantIbLb1EES10_IbLb0EEEEDaSW_SX_EUlSW_E_NS1_11comp_targetILNS1_3genE2ELNS1_11target_archE906ELNS1_3gpuE6ELNS1_3repE0EEENS1_30default_config_static_selectorELNS0_4arch9wavefront6targetE0EEEvT1_
; %bb.0:
	.section	.rodata,"a",@progbits
	.p2align	6, 0x0
	.amdhsa_kernel _ZN7rocprim17ROCPRIM_400000_NS6detail17trampoline_kernelINS0_14default_configENS1_29reduce_by_key_config_selectorIffN6thrust23THRUST_200600_302600_NS4plusIfEEEEZZNS1_33reduce_by_key_impl_wrapped_configILNS1_25lookback_scan_determinismE0ES3_S9_NS6_6detail15normal_iteratorINS6_10device_ptrIfEEEESG_SG_SG_PmS8_22is_equal_div_10_reduceIfEEE10hipError_tPvRmT2_T3_mT4_T5_T6_T7_T8_P12ihipStream_tbENKUlT_T0_E_clISt17integral_constantIbLb1EES10_IbLb0EEEEDaSW_SX_EUlSW_E_NS1_11comp_targetILNS1_3genE2ELNS1_11target_archE906ELNS1_3gpuE6ELNS1_3repE0EEENS1_30default_config_static_selectorELNS0_4arch9wavefront6targetE0EEEvT1_
		.amdhsa_group_segment_fixed_size 0
		.amdhsa_private_segment_fixed_size 0
		.amdhsa_kernarg_size 120
		.amdhsa_user_sgpr_count 15
		.amdhsa_user_sgpr_dispatch_ptr 0
		.amdhsa_user_sgpr_queue_ptr 0
		.amdhsa_user_sgpr_kernarg_segment_ptr 1
		.amdhsa_user_sgpr_dispatch_id 0
		.amdhsa_user_sgpr_private_segment_size 0
		.amdhsa_wavefront_size32 1
		.amdhsa_uses_dynamic_stack 0
		.amdhsa_enable_private_segment 0
		.amdhsa_system_sgpr_workgroup_id_x 1
		.amdhsa_system_sgpr_workgroup_id_y 0
		.amdhsa_system_sgpr_workgroup_id_z 0
		.amdhsa_system_sgpr_workgroup_info 0
		.amdhsa_system_vgpr_workitem_id 0
		.amdhsa_next_free_vgpr 1
		.amdhsa_next_free_sgpr 1
		.amdhsa_reserve_vcc 0
		.amdhsa_float_round_mode_32 0
		.amdhsa_float_round_mode_16_64 0
		.amdhsa_float_denorm_mode_32 3
		.amdhsa_float_denorm_mode_16_64 3
		.amdhsa_dx10_clamp 1
		.amdhsa_ieee_mode 1
		.amdhsa_fp16_overflow 0
		.amdhsa_workgroup_processor_mode 1
		.amdhsa_memory_ordered 1
		.amdhsa_forward_progress 0
		.amdhsa_shared_vgpr_count 0
		.amdhsa_exception_fp_ieee_invalid_op 0
		.amdhsa_exception_fp_denorm_src 0
		.amdhsa_exception_fp_ieee_div_zero 0
		.amdhsa_exception_fp_ieee_overflow 0
		.amdhsa_exception_fp_ieee_underflow 0
		.amdhsa_exception_fp_ieee_inexact 0
		.amdhsa_exception_int_div_zero 0
	.end_amdhsa_kernel
	.section	.text._ZN7rocprim17ROCPRIM_400000_NS6detail17trampoline_kernelINS0_14default_configENS1_29reduce_by_key_config_selectorIffN6thrust23THRUST_200600_302600_NS4plusIfEEEEZZNS1_33reduce_by_key_impl_wrapped_configILNS1_25lookback_scan_determinismE0ES3_S9_NS6_6detail15normal_iteratorINS6_10device_ptrIfEEEESG_SG_SG_PmS8_22is_equal_div_10_reduceIfEEE10hipError_tPvRmT2_T3_mT4_T5_T6_T7_T8_P12ihipStream_tbENKUlT_T0_E_clISt17integral_constantIbLb1EES10_IbLb0EEEEDaSW_SX_EUlSW_E_NS1_11comp_targetILNS1_3genE2ELNS1_11target_archE906ELNS1_3gpuE6ELNS1_3repE0EEENS1_30default_config_static_selectorELNS0_4arch9wavefront6targetE0EEEvT1_,"axG",@progbits,_ZN7rocprim17ROCPRIM_400000_NS6detail17trampoline_kernelINS0_14default_configENS1_29reduce_by_key_config_selectorIffN6thrust23THRUST_200600_302600_NS4plusIfEEEEZZNS1_33reduce_by_key_impl_wrapped_configILNS1_25lookback_scan_determinismE0ES3_S9_NS6_6detail15normal_iteratorINS6_10device_ptrIfEEEESG_SG_SG_PmS8_22is_equal_div_10_reduceIfEEE10hipError_tPvRmT2_T3_mT4_T5_T6_T7_T8_P12ihipStream_tbENKUlT_T0_E_clISt17integral_constantIbLb1EES10_IbLb0EEEEDaSW_SX_EUlSW_E_NS1_11comp_targetILNS1_3genE2ELNS1_11target_archE906ELNS1_3gpuE6ELNS1_3repE0EEENS1_30default_config_static_selectorELNS0_4arch9wavefront6targetE0EEEvT1_,comdat
.Lfunc_end222:
	.size	_ZN7rocprim17ROCPRIM_400000_NS6detail17trampoline_kernelINS0_14default_configENS1_29reduce_by_key_config_selectorIffN6thrust23THRUST_200600_302600_NS4plusIfEEEEZZNS1_33reduce_by_key_impl_wrapped_configILNS1_25lookback_scan_determinismE0ES3_S9_NS6_6detail15normal_iteratorINS6_10device_ptrIfEEEESG_SG_SG_PmS8_22is_equal_div_10_reduceIfEEE10hipError_tPvRmT2_T3_mT4_T5_T6_T7_T8_P12ihipStream_tbENKUlT_T0_E_clISt17integral_constantIbLb1EES10_IbLb0EEEEDaSW_SX_EUlSW_E_NS1_11comp_targetILNS1_3genE2ELNS1_11target_archE906ELNS1_3gpuE6ELNS1_3repE0EEENS1_30default_config_static_selectorELNS0_4arch9wavefront6targetE0EEEvT1_, .Lfunc_end222-_ZN7rocprim17ROCPRIM_400000_NS6detail17trampoline_kernelINS0_14default_configENS1_29reduce_by_key_config_selectorIffN6thrust23THRUST_200600_302600_NS4plusIfEEEEZZNS1_33reduce_by_key_impl_wrapped_configILNS1_25lookback_scan_determinismE0ES3_S9_NS6_6detail15normal_iteratorINS6_10device_ptrIfEEEESG_SG_SG_PmS8_22is_equal_div_10_reduceIfEEE10hipError_tPvRmT2_T3_mT4_T5_T6_T7_T8_P12ihipStream_tbENKUlT_T0_E_clISt17integral_constantIbLb1EES10_IbLb0EEEEDaSW_SX_EUlSW_E_NS1_11comp_targetILNS1_3genE2ELNS1_11target_archE906ELNS1_3gpuE6ELNS1_3repE0EEENS1_30default_config_static_selectorELNS0_4arch9wavefront6targetE0EEEvT1_
                                        ; -- End function
	.section	.AMDGPU.csdata,"",@progbits
; Kernel info:
; codeLenInByte = 0
; NumSgprs: 0
; NumVgprs: 0
; ScratchSize: 0
; MemoryBound: 0
; FloatMode: 240
; IeeeMode: 1
; LDSByteSize: 0 bytes/workgroup (compile time only)
; SGPRBlocks: 0
; VGPRBlocks: 0
; NumSGPRsForWavesPerEU: 1
; NumVGPRsForWavesPerEU: 1
; Occupancy: 16
; WaveLimiterHint : 0
; COMPUTE_PGM_RSRC2:SCRATCH_EN: 0
; COMPUTE_PGM_RSRC2:USER_SGPR: 15
; COMPUTE_PGM_RSRC2:TRAP_HANDLER: 0
; COMPUTE_PGM_RSRC2:TGID_X_EN: 1
; COMPUTE_PGM_RSRC2:TGID_Y_EN: 0
; COMPUTE_PGM_RSRC2:TGID_Z_EN: 0
; COMPUTE_PGM_RSRC2:TIDIG_COMP_CNT: 0
	.section	.text._ZN7rocprim17ROCPRIM_400000_NS6detail17trampoline_kernelINS0_14default_configENS1_29reduce_by_key_config_selectorIffN6thrust23THRUST_200600_302600_NS4plusIfEEEEZZNS1_33reduce_by_key_impl_wrapped_configILNS1_25lookback_scan_determinismE0ES3_S9_NS6_6detail15normal_iteratorINS6_10device_ptrIfEEEESG_SG_SG_PmS8_22is_equal_div_10_reduceIfEEE10hipError_tPvRmT2_T3_mT4_T5_T6_T7_T8_P12ihipStream_tbENKUlT_T0_E_clISt17integral_constantIbLb1EES10_IbLb0EEEEDaSW_SX_EUlSW_E_NS1_11comp_targetILNS1_3genE10ELNS1_11target_archE1201ELNS1_3gpuE5ELNS1_3repE0EEENS1_30default_config_static_selectorELNS0_4arch9wavefront6targetE0EEEvT1_,"axG",@progbits,_ZN7rocprim17ROCPRIM_400000_NS6detail17trampoline_kernelINS0_14default_configENS1_29reduce_by_key_config_selectorIffN6thrust23THRUST_200600_302600_NS4plusIfEEEEZZNS1_33reduce_by_key_impl_wrapped_configILNS1_25lookback_scan_determinismE0ES3_S9_NS6_6detail15normal_iteratorINS6_10device_ptrIfEEEESG_SG_SG_PmS8_22is_equal_div_10_reduceIfEEE10hipError_tPvRmT2_T3_mT4_T5_T6_T7_T8_P12ihipStream_tbENKUlT_T0_E_clISt17integral_constantIbLb1EES10_IbLb0EEEEDaSW_SX_EUlSW_E_NS1_11comp_targetILNS1_3genE10ELNS1_11target_archE1201ELNS1_3gpuE5ELNS1_3repE0EEENS1_30default_config_static_selectorELNS0_4arch9wavefront6targetE0EEEvT1_,comdat
	.protected	_ZN7rocprim17ROCPRIM_400000_NS6detail17trampoline_kernelINS0_14default_configENS1_29reduce_by_key_config_selectorIffN6thrust23THRUST_200600_302600_NS4plusIfEEEEZZNS1_33reduce_by_key_impl_wrapped_configILNS1_25lookback_scan_determinismE0ES3_S9_NS6_6detail15normal_iteratorINS6_10device_ptrIfEEEESG_SG_SG_PmS8_22is_equal_div_10_reduceIfEEE10hipError_tPvRmT2_T3_mT4_T5_T6_T7_T8_P12ihipStream_tbENKUlT_T0_E_clISt17integral_constantIbLb1EES10_IbLb0EEEEDaSW_SX_EUlSW_E_NS1_11comp_targetILNS1_3genE10ELNS1_11target_archE1201ELNS1_3gpuE5ELNS1_3repE0EEENS1_30default_config_static_selectorELNS0_4arch9wavefront6targetE0EEEvT1_ ; -- Begin function _ZN7rocprim17ROCPRIM_400000_NS6detail17trampoline_kernelINS0_14default_configENS1_29reduce_by_key_config_selectorIffN6thrust23THRUST_200600_302600_NS4plusIfEEEEZZNS1_33reduce_by_key_impl_wrapped_configILNS1_25lookback_scan_determinismE0ES3_S9_NS6_6detail15normal_iteratorINS6_10device_ptrIfEEEESG_SG_SG_PmS8_22is_equal_div_10_reduceIfEEE10hipError_tPvRmT2_T3_mT4_T5_T6_T7_T8_P12ihipStream_tbENKUlT_T0_E_clISt17integral_constantIbLb1EES10_IbLb0EEEEDaSW_SX_EUlSW_E_NS1_11comp_targetILNS1_3genE10ELNS1_11target_archE1201ELNS1_3gpuE5ELNS1_3repE0EEENS1_30default_config_static_selectorELNS0_4arch9wavefront6targetE0EEEvT1_
	.globl	_ZN7rocprim17ROCPRIM_400000_NS6detail17trampoline_kernelINS0_14default_configENS1_29reduce_by_key_config_selectorIffN6thrust23THRUST_200600_302600_NS4plusIfEEEEZZNS1_33reduce_by_key_impl_wrapped_configILNS1_25lookback_scan_determinismE0ES3_S9_NS6_6detail15normal_iteratorINS6_10device_ptrIfEEEESG_SG_SG_PmS8_22is_equal_div_10_reduceIfEEE10hipError_tPvRmT2_T3_mT4_T5_T6_T7_T8_P12ihipStream_tbENKUlT_T0_E_clISt17integral_constantIbLb1EES10_IbLb0EEEEDaSW_SX_EUlSW_E_NS1_11comp_targetILNS1_3genE10ELNS1_11target_archE1201ELNS1_3gpuE5ELNS1_3repE0EEENS1_30default_config_static_selectorELNS0_4arch9wavefront6targetE0EEEvT1_
	.p2align	8
	.type	_ZN7rocprim17ROCPRIM_400000_NS6detail17trampoline_kernelINS0_14default_configENS1_29reduce_by_key_config_selectorIffN6thrust23THRUST_200600_302600_NS4plusIfEEEEZZNS1_33reduce_by_key_impl_wrapped_configILNS1_25lookback_scan_determinismE0ES3_S9_NS6_6detail15normal_iteratorINS6_10device_ptrIfEEEESG_SG_SG_PmS8_22is_equal_div_10_reduceIfEEE10hipError_tPvRmT2_T3_mT4_T5_T6_T7_T8_P12ihipStream_tbENKUlT_T0_E_clISt17integral_constantIbLb1EES10_IbLb0EEEEDaSW_SX_EUlSW_E_NS1_11comp_targetILNS1_3genE10ELNS1_11target_archE1201ELNS1_3gpuE5ELNS1_3repE0EEENS1_30default_config_static_selectorELNS0_4arch9wavefront6targetE0EEEvT1_,@function
_ZN7rocprim17ROCPRIM_400000_NS6detail17trampoline_kernelINS0_14default_configENS1_29reduce_by_key_config_selectorIffN6thrust23THRUST_200600_302600_NS4plusIfEEEEZZNS1_33reduce_by_key_impl_wrapped_configILNS1_25lookback_scan_determinismE0ES3_S9_NS6_6detail15normal_iteratorINS6_10device_ptrIfEEEESG_SG_SG_PmS8_22is_equal_div_10_reduceIfEEE10hipError_tPvRmT2_T3_mT4_T5_T6_T7_T8_P12ihipStream_tbENKUlT_T0_E_clISt17integral_constantIbLb1EES10_IbLb0EEEEDaSW_SX_EUlSW_E_NS1_11comp_targetILNS1_3genE10ELNS1_11target_archE1201ELNS1_3gpuE5ELNS1_3repE0EEENS1_30default_config_static_selectorELNS0_4arch9wavefront6targetE0EEEvT1_: ; @_ZN7rocprim17ROCPRIM_400000_NS6detail17trampoline_kernelINS0_14default_configENS1_29reduce_by_key_config_selectorIffN6thrust23THRUST_200600_302600_NS4plusIfEEEEZZNS1_33reduce_by_key_impl_wrapped_configILNS1_25lookback_scan_determinismE0ES3_S9_NS6_6detail15normal_iteratorINS6_10device_ptrIfEEEESG_SG_SG_PmS8_22is_equal_div_10_reduceIfEEE10hipError_tPvRmT2_T3_mT4_T5_T6_T7_T8_P12ihipStream_tbENKUlT_T0_E_clISt17integral_constantIbLb1EES10_IbLb0EEEEDaSW_SX_EUlSW_E_NS1_11comp_targetILNS1_3genE10ELNS1_11target_archE1201ELNS1_3gpuE5ELNS1_3repE0EEENS1_30default_config_static_selectorELNS0_4arch9wavefront6targetE0EEEvT1_
; %bb.0:
	.section	.rodata,"a",@progbits
	.p2align	6, 0x0
	.amdhsa_kernel _ZN7rocprim17ROCPRIM_400000_NS6detail17trampoline_kernelINS0_14default_configENS1_29reduce_by_key_config_selectorIffN6thrust23THRUST_200600_302600_NS4plusIfEEEEZZNS1_33reduce_by_key_impl_wrapped_configILNS1_25lookback_scan_determinismE0ES3_S9_NS6_6detail15normal_iteratorINS6_10device_ptrIfEEEESG_SG_SG_PmS8_22is_equal_div_10_reduceIfEEE10hipError_tPvRmT2_T3_mT4_T5_T6_T7_T8_P12ihipStream_tbENKUlT_T0_E_clISt17integral_constantIbLb1EES10_IbLb0EEEEDaSW_SX_EUlSW_E_NS1_11comp_targetILNS1_3genE10ELNS1_11target_archE1201ELNS1_3gpuE5ELNS1_3repE0EEENS1_30default_config_static_selectorELNS0_4arch9wavefront6targetE0EEEvT1_
		.amdhsa_group_segment_fixed_size 0
		.amdhsa_private_segment_fixed_size 0
		.amdhsa_kernarg_size 120
		.amdhsa_user_sgpr_count 15
		.amdhsa_user_sgpr_dispatch_ptr 0
		.amdhsa_user_sgpr_queue_ptr 0
		.amdhsa_user_sgpr_kernarg_segment_ptr 1
		.amdhsa_user_sgpr_dispatch_id 0
		.amdhsa_user_sgpr_private_segment_size 0
		.amdhsa_wavefront_size32 1
		.amdhsa_uses_dynamic_stack 0
		.amdhsa_enable_private_segment 0
		.amdhsa_system_sgpr_workgroup_id_x 1
		.amdhsa_system_sgpr_workgroup_id_y 0
		.amdhsa_system_sgpr_workgroup_id_z 0
		.amdhsa_system_sgpr_workgroup_info 0
		.amdhsa_system_vgpr_workitem_id 0
		.amdhsa_next_free_vgpr 1
		.amdhsa_next_free_sgpr 1
		.amdhsa_reserve_vcc 0
		.amdhsa_float_round_mode_32 0
		.amdhsa_float_round_mode_16_64 0
		.amdhsa_float_denorm_mode_32 3
		.amdhsa_float_denorm_mode_16_64 3
		.amdhsa_dx10_clamp 1
		.amdhsa_ieee_mode 1
		.amdhsa_fp16_overflow 0
		.amdhsa_workgroup_processor_mode 1
		.amdhsa_memory_ordered 1
		.amdhsa_forward_progress 0
		.amdhsa_shared_vgpr_count 0
		.amdhsa_exception_fp_ieee_invalid_op 0
		.amdhsa_exception_fp_denorm_src 0
		.amdhsa_exception_fp_ieee_div_zero 0
		.amdhsa_exception_fp_ieee_overflow 0
		.amdhsa_exception_fp_ieee_underflow 0
		.amdhsa_exception_fp_ieee_inexact 0
		.amdhsa_exception_int_div_zero 0
	.end_amdhsa_kernel
	.section	.text._ZN7rocprim17ROCPRIM_400000_NS6detail17trampoline_kernelINS0_14default_configENS1_29reduce_by_key_config_selectorIffN6thrust23THRUST_200600_302600_NS4plusIfEEEEZZNS1_33reduce_by_key_impl_wrapped_configILNS1_25lookback_scan_determinismE0ES3_S9_NS6_6detail15normal_iteratorINS6_10device_ptrIfEEEESG_SG_SG_PmS8_22is_equal_div_10_reduceIfEEE10hipError_tPvRmT2_T3_mT4_T5_T6_T7_T8_P12ihipStream_tbENKUlT_T0_E_clISt17integral_constantIbLb1EES10_IbLb0EEEEDaSW_SX_EUlSW_E_NS1_11comp_targetILNS1_3genE10ELNS1_11target_archE1201ELNS1_3gpuE5ELNS1_3repE0EEENS1_30default_config_static_selectorELNS0_4arch9wavefront6targetE0EEEvT1_,"axG",@progbits,_ZN7rocprim17ROCPRIM_400000_NS6detail17trampoline_kernelINS0_14default_configENS1_29reduce_by_key_config_selectorIffN6thrust23THRUST_200600_302600_NS4plusIfEEEEZZNS1_33reduce_by_key_impl_wrapped_configILNS1_25lookback_scan_determinismE0ES3_S9_NS6_6detail15normal_iteratorINS6_10device_ptrIfEEEESG_SG_SG_PmS8_22is_equal_div_10_reduceIfEEE10hipError_tPvRmT2_T3_mT4_T5_T6_T7_T8_P12ihipStream_tbENKUlT_T0_E_clISt17integral_constantIbLb1EES10_IbLb0EEEEDaSW_SX_EUlSW_E_NS1_11comp_targetILNS1_3genE10ELNS1_11target_archE1201ELNS1_3gpuE5ELNS1_3repE0EEENS1_30default_config_static_selectorELNS0_4arch9wavefront6targetE0EEEvT1_,comdat
.Lfunc_end223:
	.size	_ZN7rocprim17ROCPRIM_400000_NS6detail17trampoline_kernelINS0_14default_configENS1_29reduce_by_key_config_selectorIffN6thrust23THRUST_200600_302600_NS4plusIfEEEEZZNS1_33reduce_by_key_impl_wrapped_configILNS1_25lookback_scan_determinismE0ES3_S9_NS6_6detail15normal_iteratorINS6_10device_ptrIfEEEESG_SG_SG_PmS8_22is_equal_div_10_reduceIfEEE10hipError_tPvRmT2_T3_mT4_T5_T6_T7_T8_P12ihipStream_tbENKUlT_T0_E_clISt17integral_constantIbLb1EES10_IbLb0EEEEDaSW_SX_EUlSW_E_NS1_11comp_targetILNS1_3genE10ELNS1_11target_archE1201ELNS1_3gpuE5ELNS1_3repE0EEENS1_30default_config_static_selectorELNS0_4arch9wavefront6targetE0EEEvT1_, .Lfunc_end223-_ZN7rocprim17ROCPRIM_400000_NS6detail17trampoline_kernelINS0_14default_configENS1_29reduce_by_key_config_selectorIffN6thrust23THRUST_200600_302600_NS4plusIfEEEEZZNS1_33reduce_by_key_impl_wrapped_configILNS1_25lookback_scan_determinismE0ES3_S9_NS6_6detail15normal_iteratorINS6_10device_ptrIfEEEESG_SG_SG_PmS8_22is_equal_div_10_reduceIfEEE10hipError_tPvRmT2_T3_mT4_T5_T6_T7_T8_P12ihipStream_tbENKUlT_T0_E_clISt17integral_constantIbLb1EES10_IbLb0EEEEDaSW_SX_EUlSW_E_NS1_11comp_targetILNS1_3genE10ELNS1_11target_archE1201ELNS1_3gpuE5ELNS1_3repE0EEENS1_30default_config_static_selectorELNS0_4arch9wavefront6targetE0EEEvT1_
                                        ; -- End function
	.section	.AMDGPU.csdata,"",@progbits
; Kernel info:
; codeLenInByte = 0
; NumSgprs: 0
; NumVgprs: 0
; ScratchSize: 0
; MemoryBound: 0
; FloatMode: 240
; IeeeMode: 1
; LDSByteSize: 0 bytes/workgroup (compile time only)
; SGPRBlocks: 0
; VGPRBlocks: 0
; NumSGPRsForWavesPerEU: 1
; NumVGPRsForWavesPerEU: 1
; Occupancy: 16
; WaveLimiterHint : 0
; COMPUTE_PGM_RSRC2:SCRATCH_EN: 0
; COMPUTE_PGM_RSRC2:USER_SGPR: 15
; COMPUTE_PGM_RSRC2:TRAP_HANDLER: 0
; COMPUTE_PGM_RSRC2:TGID_X_EN: 1
; COMPUTE_PGM_RSRC2:TGID_Y_EN: 0
; COMPUTE_PGM_RSRC2:TGID_Z_EN: 0
; COMPUTE_PGM_RSRC2:TIDIG_COMP_CNT: 0
	.section	.text._ZN7rocprim17ROCPRIM_400000_NS6detail17trampoline_kernelINS0_14default_configENS1_29reduce_by_key_config_selectorIffN6thrust23THRUST_200600_302600_NS4plusIfEEEEZZNS1_33reduce_by_key_impl_wrapped_configILNS1_25lookback_scan_determinismE0ES3_S9_NS6_6detail15normal_iteratorINS6_10device_ptrIfEEEESG_SG_SG_PmS8_22is_equal_div_10_reduceIfEEE10hipError_tPvRmT2_T3_mT4_T5_T6_T7_T8_P12ihipStream_tbENKUlT_T0_E_clISt17integral_constantIbLb1EES10_IbLb0EEEEDaSW_SX_EUlSW_E_NS1_11comp_targetILNS1_3genE10ELNS1_11target_archE1200ELNS1_3gpuE4ELNS1_3repE0EEENS1_30default_config_static_selectorELNS0_4arch9wavefront6targetE0EEEvT1_,"axG",@progbits,_ZN7rocprim17ROCPRIM_400000_NS6detail17trampoline_kernelINS0_14default_configENS1_29reduce_by_key_config_selectorIffN6thrust23THRUST_200600_302600_NS4plusIfEEEEZZNS1_33reduce_by_key_impl_wrapped_configILNS1_25lookback_scan_determinismE0ES3_S9_NS6_6detail15normal_iteratorINS6_10device_ptrIfEEEESG_SG_SG_PmS8_22is_equal_div_10_reduceIfEEE10hipError_tPvRmT2_T3_mT4_T5_T6_T7_T8_P12ihipStream_tbENKUlT_T0_E_clISt17integral_constantIbLb1EES10_IbLb0EEEEDaSW_SX_EUlSW_E_NS1_11comp_targetILNS1_3genE10ELNS1_11target_archE1200ELNS1_3gpuE4ELNS1_3repE0EEENS1_30default_config_static_selectorELNS0_4arch9wavefront6targetE0EEEvT1_,comdat
	.protected	_ZN7rocprim17ROCPRIM_400000_NS6detail17trampoline_kernelINS0_14default_configENS1_29reduce_by_key_config_selectorIffN6thrust23THRUST_200600_302600_NS4plusIfEEEEZZNS1_33reduce_by_key_impl_wrapped_configILNS1_25lookback_scan_determinismE0ES3_S9_NS6_6detail15normal_iteratorINS6_10device_ptrIfEEEESG_SG_SG_PmS8_22is_equal_div_10_reduceIfEEE10hipError_tPvRmT2_T3_mT4_T5_T6_T7_T8_P12ihipStream_tbENKUlT_T0_E_clISt17integral_constantIbLb1EES10_IbLb0EEEEDaSW_SX_EUlSW_E_NS1_11comp_targetILNS1_3genE10ELNS1_11target_archE1200ELNS1_3gpuE4ELNS1_3repE0EEENS1_30default_config_static_selectorELNS0_4arch9wavefront6targetE0EEEvT1_ ; -- Begin function _ZN7rocprim17ROCPRIM_400000_NS6detail17trampoline_kernelINS0_14default_configENS1_29reduce_by_key_config_selectorIffN6thrust23THRUST_200600_302600_NS4plusIfEEEEZZNS1_33reduce_by_key_impl_wrapped_configILNS1_25lookback_scan_determinismE0ES3_S9_NS6_6detail15normal_iteratorINS6_10device_ptrIfEEEESG_SG_SG_PmS8_22is_equal_div_10_reduceIfEEE10hipError_tPvRmT2_T3_mT4_T5_T6_T7_T8_P12ihipStream_tbENKUlT_T0_E_clISt17integral_constantIbLb1EES10_IbLb0EEEEDaSW_SX_EUlSW_E_NS1_11comp_targetILNS1_3genE10ELNS1_11target_archE1200ELNS1_3gpuE4ELNS1_3repE0EEENS1_30default_config_static_selectorELNS0_4arch9wavefront6targetE0EEEvT1_
	.globl	_ZN7rocprim17ROCPRIM_400000_NS6detail17trampoline_kernelINS0_14default_configENS1_29reduce_by_key_config_selectorIffN6thrust23THRUST_200600_302600_NS4plusIfEEEEZZNS1_33reduce_by_key_impl_wrapped_configILNS1_25lookback_scan_determinismE0ES3_S9_NS6_6detail15normal_iteratorINS6_10device_ptrIfEEEESG_SG_SG_PmS8_22is_equal_div_10_reduceIfEEE10hipError_tPvRmT2_T3_mT4_T5_T6_T7_T8_P12ihipStream_tbENKUlT_T0_E_clISt17integral_constantIbLb1EES10_IbLb0EEEEDaSW_SX_EUlSW_E_NS1_11comp_targetILNS1_3genE10ELNS1_11target_archE1200ELNS1_3gpuE4ELNS1_3repE0EEENS1_30default_config_static_selectorELNS0_4arch9wavefront6targetE0EEEvT1_
	.p2align	8
	.type	_ZN7rocprim17ROCPRIM_400000_NS6detail17trampoline_kernelINS0_14default_configENS1_29reduce_by_key_config_selectorIffN6thrust23THRUST_200600_302600_NS4plusIfEEEEZZNS1_33reduce_by_key_impl_wrapped_configILNS1_25lookback_scan_determinismE0ES3_S9_NS6_6detail15normal_iteratorINS6_10device_ptrIfEEEESG_SG_SG_PmS8_22is_equal_div_10_reduceIfEEE10hipError_tPvRmT2_T3_mT4_T5_T6_T7_T8_P12ihipStream_tbENKUlT_T0_E_clISt17integral_constantIbLb1EES10_IbLb0EEEEDaSW_SX_EUlSW_E_NS1_11comp_targetILNS1_3genE10ELNS1_11target_archE1200ELNS1_3gpuE4ELNS1_3repE0EEENS1_30default_config_static_selectorELNS0_4arch9wavefront6targetE0EEEvT1_,@function
_ZN7rocprim17ROCPRIM_400000_NS6detail17trampoline_kernelINS0_14default_configENS1_29reduce_by_key_config_selectorIffN6thrust23THRUST_200600_302600_NS4plusIfEEEEZZNS1_33reduce_by_key_impl_wrapped_configILNS1_25lookback_scan_determinismE0ES3_S9_NS6_6detail15normal_iteratorINS6_10device_ptrIfEEEESG_SG_SG_PmS8_22is_equal_div_10_reduceIfEEE10hipError_tPvRmT2_T3_mT4_T5_T6_T7_T8_P12ihipStream_tbENKUlT_T0_E_clISt17integral_constantIbLb1EES10_IbLb0EEEEDaSW_SX_EUlSW_E_NS1_11comp_targetILNS1_3genE10ELNS1_11target_archE1200ELNS1_3gpuE4ELNS1_3repE0EEENS1_30default_config_static_selectorELNS0_4arch9wavefront6targetE0EEEvT1_: ; @_ZN7rocprim17ROCPRIM_400000_NS6detail17trampoline_kernelINS0_14default_configENS1_29reduce_by_key_config_selectorIffN6thrust23THRUST_200600_302600_NS4plusIfEEEEZZNS1_33reduce_by_key_impl_wrapped_configILNS1_25lookback_scan_determinismE0ES3_S9_NS6_6detail15normal_iteratorINS6_10device_ptrIfEEEESG_SG_SG_PmS8_22is_equal_div_10_reduceIfEEE10hipError_tPvRmT2_T3_mT4_T5_T6_T7_T8_P12ihipStream_tbENKUlT_T0_E_clISt17integral_constantIbLb1EES10_IbLb0EEEEDaSW_SX_EUlSW_E_NS1_11comp_targetILNS1_3genE10ELNS1_11target_archE1200ELNS1_3gpuE4ELNS1_3repE0EEENS1_30default_config_static_selectorELNS0_4arch9wavefront6targetE0EEEvT1_
; %bb.0:
	.section	.rodata,"a",@progbits
	.p2align	6, 0x0
	.amdhsa_kernel _ZN7rocprim17ROCPRIM_400000_NS6detail17trampoline_kernelINS0_14default_configENS1_29reduce_by_key_config_selectorIffN6thrust23THRUST_200600_302600_NS4plusIfEEEEZZNS1_33reduce_by_key_impl_wrapped_configILNS1_25lookback_scan_determinismE0ES3_S9_NS6_6detail15normal_iteratorINS6_10device_ptrIfEEEESG_SG_SG_PmS8_22is_equal_div_10_reduceIfEEE10hipError_tPvRmT2_T3_mT4_T5_T6_T7_T8_P12ihipStream_tbENKUlT_T0_E_clISt17integral_constantIbLb1EES10_IbLb0EEEEDaSW_SX_EUlSW_E_NS1_11comp_targetILNS1_3genE10ELNS1_11target_archE1200ELNS1_3gpuE4ELNS1_3repE0EEENS1_30default_config_static_selectorELNS0_4arch9wavefront6targetE0EEEvT1_
		.amdhsa_group_segment_fixed_size 0
		.amdhsa_private_segment_fixed_size 0
		.amdhsa_kernarg_size 120
		.amdhsa_user_sgpr_count 15
		.amdhsa_user_sgpr_dispatch_ptr 0
		.amdhsa_user_sgpr_queue_ptr 0
		.amdhsa_user_sgpr_kernarg_segment_ptr 1
		.amdhsa_user_sgpr_dispatch_id 0
		.amdhsa_user_sgpr_private_segment_size 0
		.amdhsa_wavefront_size32 1
		.amdhsa_uses_dynamic_stack 0
		.amdhsa_enable_private_segment 0
		.amdhsa_system_sgpr_workgroup_id_x 1
		.amdhsa_system_sgpr_workgroup_id_y 0
		.amdhsa_system_sgpr_workgroup_id_z 0
		.amdhsa_system_sgpr_workgroup_info 0
		.amdhsa_system_vgpr_workitem_id 0
		.amdhsa_next_free_vgpr 1
		.amdhsa_next_free_sgpr 1
		.amdhsa_reserve_vcc 0
		.amdhsa_float_round_mode_32 0
		.amdhsa_float_round_mode_16_64 0
		.amdhsa_float_denorm_mode_32 3
		.amdhsa_float_denorm_mode_16_64 3
		.amdhsa_dx10_clamp 1
		.amdhsa_ieee_mode 1
		.amdhsa_fp16_overflow 0
		.amdhsa_workgroup_processor_mode 1
		.amdhsa_memory_ordered 1
		.amdhsa_forward_progress 0
		.amdhsa_shared_vgpr_count 0
		.amdhsa_exception_fp_ieee_invalid_op 0
		.amdhsa_exception_fp_denorm_src 0
		.amdhsa_exception_fp_ieee_div_zero 0
		.amdhsa_exception_fp_ieee_overflow 0
		.amdhsa_exception_fp_ieee_underflow 0
		.amdhsa_exception_fp_ieee_inexact 0
		.amdhsa_exception_int_div_zero 0
	.end_amdhsa_kernel
	.section	.text._ZN7rocprim17ROCPRIM_400000_NS6detail17trampoline_kernelINS0_14default_configENS1_29reduce_by_key_config_selectorIffN6thrust23THRUST_200600_302600_NS4plusIfEEEEZZNS1_33reduce_by_key_impl_wrapped_configILNS1_25lookback_scan_determinismE0ES3_S9_NS6_6detail15normal_iteratorINS6_10device_ptrIfEEEESG_SG_SG_PmS8_22is_equal_div_10_reduceIfEEE10hipError_tPvRmT2_T3_mT4_T5_T6_T7_T8_P12ihipStream_tbENKUlT_T0_E_clISt17integral_constantIbLb1EES10_IbLb0EEEEDaSW_SX_EUlSW_E_NS1_11comp_targetILNS1_3genE10ELNS1_11target_archE1200ELNS1_3gpuE4ELNS1_3repE0EEENS1_30default_config_static_selectorELNS0_4arch9wavefront6targetE0EEEvT1_,"axG",@progbits,_ZN7rocprim17ROCPRIM_400000_NS6detail17trampoline_kernelINS0_14default_configENS1_29reduce_by_key_config_selectorIffN6thrust23THRUST_200600_302600_NS4plusIfEEEEZZNS1_33reduce_by_key_impl_wrapped_configILNS1_25lookback_scan_determinismE0ES3_S9_NS6_6detail15normal_iteratorINS6_10device_ptrIfEEEESG_SG_SG_PmS8_22is_equal_div_10_reduceIfEEE10hipError_tPvRmT2_T3_mT4_T5_T6_T7_T8_P12ihipStream_tbENKUlT_T0_E_clISt17integral_constantIbLb1EES10_IbLb0EEEEDaSW_SX_EUlSW_E_NS1_11comp_targetILNS1_3genE10ELNS1_11target_archE1200ELNS1_3gpuE4ELNS1_3repE0EEENS1_30default_config_static_selectorELNS0_4arch9wavefront6targetE0EEEvT1_,comdat
.Lfunc_end224:
	.size	_ZN7rocprim17ROCPRIM_400000_NS6detail17trampoline_kernelINS0_14default_configENS1_29reduce_by_key_config_selectorIffN6thrust23THRUST_200600_302600_NS4plusIfEEEEZZNS1_33reduce_by_key_impl_wrapped_configILNS1_25lookback_scan_determinismE0ES3_S9_NS6_6detail15normal_iteratorINS6_10device_ptrIfEEEESG_SG_SG_PmS8_22is_equal_div_10_reduceIfEEE10hipError_tPvRmT2_T3_mT4_T5_T6_T7_T8_P12ihipStream_tbENKUlT_T0_E_clISt17integral_constantIbLb1EES10_IbLb0EEEEDaSW_SX_EUlSW_E_NS1_11comp_targetILNS1_3genE10ELNS1_11target_archE1200ELNS1_3gpuE4ELNS1_3repE0EEENS1_30default_config_static_selectorELNS0_4arch9wavefront6targetE0EEEvT1_, .Lfunc_end224-_ZN7rocprim17ROCPRIM_400000_NS6detail17trampoline_kernelINS0_14default_configENS1_29reduce_by_key_config_selectorIffN6thrust23THRUST_200600_302600_NS4plusIfEEEEZZNS1_33reduce_by_key_impl_wrapped_configILNS1_25lookback_scan_determinismE0ES3_S9_NS6_6detail15normal_iteratorINS6_10device_ptrIfEEEESG_SG_SG_PmS8_22is_equal_div_10_reduceIfEEE10hipError_tPvRmT2_T3_mT4_T5_T6_T7_T8_P12ihipStream_tbENKUlT_T0_E_clISt17integral_constantIbLb1EES10_IbLb0EEEEDaSW_SX_EUlSW_E_NS1_11comp_targetILNS1_3genE10ELNS1_11target_archE1200ELNS1_3gpuE4ELNS1_3repE0EEENS1_30default_config_static_selectorELNS0_4arch9wavefront6targetE0EEEvT1_
                                        ; -- End function
	.section	.AMDGPU.csdata,"",@progbits
; Kernel info:
; codeLenInByte = 0
; NumSgprs: 0
; NumVgprs: 0
; ScratchSize: 0
; MemoryBound: 0
; FloatMode: 240
; IeeeMode: 1
; LDSByteSize: 0 bytes/workgroup (compile time only)
; SGPRBlocks: 0
; VGPRBlocks: 0
; NumSGPRsForWavesPerEU: 1
; NumVGPRsForWavesPerEU: 1
; Occupancy: 16
; WaveLimiterHint : 0
; COMPUTE_PGM_RSRC2:SCRATCH_EN: 0
; COMPUTE_PGM_RSRC2:USER_SGPR: 15
; COMPUTE_PGM_RSRC2:TRAP_HANDLER: 0
; COMPUTE_PGM_RSRC2:TGID_X_EN: 1
; COMPUTE_PGM_RSRC2:TGID_Y_EN: 0
; COMPUTE_PGM_RSRC2:TGID_Z_EN: 0
; COMPUTE_PGM_RSRC2:TIDIG_COMP_CNT: 0
	.section	.text._ZN7rocprim17ROCPRIM_400000_NS6detail17trampoline_kernelINS0_14default_configENS1_29reduce_by_key_config_selectorIffN6thrust23THRUST_200600_302600_NS4plusIfEEEEZZNS1_33reduce_by_key_impl_wrapped_configILNS1_25lookback_scan_determinismE0ES3_S9_NS6_6detail15normal_iteratorINS6_10device_ptrIfEEEESG_SG_SG_PmS8_22is_equal_div_10_reduceIfEEE10hipError_tPvRmT2_T3_mT4_T5_T6_T7_T8_P12ihipStream_tbENKUlT_T0_E_clISt17integral_constantIbLb1EES10_IbLb0EEEEDaSW_SX_EUlSW_E_NS1_11comp_targetILNS1_3genE9ELNS1_11target_archE1100ELNS1_3gpuE3ELNS1_3repE0EEENS1_30default_config_static_selectorELNS0_4arch9wavefront6targetE0EEEvT1_,"axG",@progbits,_ZN7rocprim17ROCPRIM_400000_NS6detail17trampoline_kernelINS0_14default_configENS1_29reduce_by_key_config_selectorIffN6thrust23THRUST_200600_302600_NS4plusIfEEEEZZNS1_33reduce_by_key_impl_wrapped_configILNS1_25lookback_scan_determinismE0ES3_S9_NS6_6detail15normal_iteratorINS6_10device_ptrIfEEEESG_SG_SG_PmS8_22is_equal_div_10_reduceIfEEE10hipError_tPvRmT2_T3_mT4_T5_T6_T7_T8_P12ihipStream_tbENKUlT_T0_E_clISt17integral_constantIbLb1EES10_IbLb0EEEEDaSW_SX_EUlSW_E_NS1_11comp_targetILNS1_3genE9ELNS1_11target_archE1100ELNS1_3gpuE3ELNS1_3repE0EEENS1_30default_config_static_selectorELNS0_4arch9wavefront6targetE0EEEvT1_,comdat
	.protected	_ZN7rocprim17ROCPRIM_400000_NS6detail17trampoline_kernelINS0_14default_configENS1_29reduce_by_key_config_selectorIffN6thrust23THRUST_200600_302600_NS4plusIfEEEEZZNS1_33reduce_by_key_impl_wrapped_configILNS1_25lookback_scan_determinismE0ES3_S9_NS6_6detail15normal_iteratorINS6_10device_ptrIfEEEESG_SG_SG_PmS8_22is_equal_div_10_reduceIfEEE10hipError_tPvRmT2_T3_mT4_T5_T6_T7_T8_P12ihipStream_tbENKUlT_T0_E_clISt17integral_constantIbLb1EES10_IbLb0EEEEDaSW_SX_EUlSW_E_NS1_11comp_targetILNS1_3genE9ELNS1_11target_archE1100ELNS1_3gpuE3ELNS1_3repE0EEENS1_30default_config_static_selectorELNS0_4arch9wavefront6targetE0EEEvT1_ ; -- Begin function _ZN7rocprim17ROCPRIM_400000_NS6detail17trampoline_kernelINS0_14default_configENS1_29reduce_by_key_config_selectorIffN6thrust23THRUST_200600_302600_NS4plusIfEEEEZZNS1_33reduce_by_key_impl_wrapped_configILNS1_25lookback_scan_determinismE0ES3_S9_NS6_6detail15normal_iteratorINS6_10device_ptrIfEEEESG_SG_SG_PmS8_22is_equal_div_10_reduceIfEEE10hipError_tPvRmT2_T3_mT4_T5_T6_T7_T8_P12ihipStream_tbENKUlT_T0_E_clISt17integral_constantIbLb1EES10_IbLb0EEEEDaSW_SX_EUlSW_E_NS1_11comp_targetILNS1_3genE9ELNS1_11target_archE1100ELNS1_3gpuE3ELNS1_3repE0EEENS1_30default_config_static_selectorELNS0_4arch9wavefront6targetE0EEEvT1_
	.globl	_ZN7rocprim17ROCPRIM_400000_NS6detail17trampoline_kernelINS0_14default_configENS1_29reduce_by_key_config_selectorIffN6thrust23THRUST_200600_302600_NS4plusIfEEEEZZNS1_33reduce_by_key_impl_wrapped_configILNS1_25lookback_scan_determinismE0ES3_S9_NS6_6detail15normal_iteratorINS6_10device_ptrIfEEEESG_SG_SG_PmS8_22is_equal_div_10_reduceIfEEE10hipError_tPvRmT2_T3_mT4_T5_T6_T7_T8_P12ihipStream_tbENKUlT_T0_E_clISt17integral_constantIbLb1EES10_IbLb0EEEEDaSW_SX_EUlSW_E_NS1_11comp_targetILNS1_3genE9ELNS1_11target_archE1100ELNS1_3gpuE3ELNS1_3repE0EEENS1_30default_config_static_selectorELNS0_4arch9wavefront6targetE0EEEvT1_
	.p2align	8
	.type	_ZN7rocprim17ROCPRIM_400000_NS6detail17trampoline_kernelINS0_14default_configENS1_29reduce_by_key_config_selectorIffN6thrust23THRUST_200600_302600_NS4plusIfEEEEZZNS1_33reduce_by_key_impl_wrapped_configILNS1_25lookback_scan_determinismE0ES3_S9_NS6_6detail15normal_iteratorINS6_10device_ptrIfEEEESG_SG_SG_PmS8_22is_equal_div_10_reduceIfEEE10hipError_tPvRmT2_T3_mT4_T5_T6_T7_T8_P12ihipStream_tbENKUlT_T0_E_clISt17integral_constantIbLb1EES10_IbLb0EEEEDaSW_SX_EUlSW_E_NS1_11comp_targetILNS1_3genE9ELNS1_11target_archE1100ELNS1_3gpuE3ELNS1_3repE0EEENS1_30default_config_static_selectorELNS0_4arch9wavefront6targetE0EEEvT1_,@function
_ZN7rocprim17ROCPRIM_400000_NS6detail17trampoline_kernelINS0_14default_configENS1_29reduce_by_key_config_selectorIffN6thrust23THRUST_200600_302600_NS4plusIfEEEEZZNS1_33reduce_by_key_impl_wrapped_configILNS1_25lookback_scan_determinismE0ES3_S9_NS6_6detail15normal_iteratorINS6_10device_ptrIfEEEESG_SG_SG_PmS8_22is_equal_div_10_reduceIfEEE10hipError_tPvRmT2_T3_mT4_T5_T6_T7_T8_P12ihipStream_tbENKUlT_T0_E_clISt17integral_constantIbLb1EES10_IbLb0EEEEDaSW_SX_EUlSW_E_NS1_11comp_targetILNS1_3genE9ELNS1_11target_archE1100ELNS1_3gpuE3ELNS1_3repE0EEENS1_30default_config_static_selectorELNS0_4arch9wavefront6targetE0EEEvT1_: ; @_ZN7rocprim17ROCPRIM_400000_NS6detail17trampoline_kernelINS0_14default_configENS1_29reduce_by_key_config_selectorIffN6thrust23THRUST_200600_302600_NS4plusIfEEEEZZNS1_33reduce_by_key_impl_wrapped_configILNS1_25lookback_scan_determinismE0ES3_S9_NS6_6detail15normal_iteratorINS6_10device_ptrIfEEEESG_SG_SG_PmS8_22is_equal_div_10_reduceIfEEE10hipError_tPvRmT2_T3_mT4_T5_T6_T7_T8_P12ihipStream_tbENKUlT_T0_E_clISt17integral_constantIbLb1EES10_IbLb0EEEEDaSW_SX_EUlSW_E_NS1_11comp_targetILNS1_3genE9ELNS1_11target_archE1100ELNS1_3gpuE3ELNS1_3repE0EEENS1_30default_config_static_selectorELNS0_4arch9wavefront6targetE0EEEvT1_
; %bb.0:
	s_clause 0x4
	s_load_b256 s[16:23], s[0:1], 0x0
	s_load_b256 s[24:31], s[0:1], 0x38
	s_load_b128 s[36:39], s[0:1], 0x20
	s_load_b64 s[34:35], s[0:1], 0x68
	s_load_b128 s[40:43], s[0:1], 0x58
	s_mov_b32 s3, 0
	s_mul_i32 s2, s15, 0xf00
	s_waitcnt lgkmcnt(0)
	s_lshl_b64 s[0:1], s[18:19], 2
	s_mul_i32 s4, s28, s27
	s_add_u32 s8, s16, s0
	s_mul_hi_u32 s5, s28, s26
	s_addc_u32 s9, s17, s1
	s_add_u32 s10, s20, s0
	s_mul_i32 s6, s29, s26
	s_addc_u32 s11, s21, s1
	s_add_i32 s4, s5, s4
	s_lshl_b64 s[0:1], s[2:3], 2
	s_add_i32 s4, s4, s6
	s_add_u32 s14, s8, s0
	s_addc_u32 s21, s9, s1
	s_mul_i32 s7, s28, s26
	s_add_u32 s20, s10, s0
	s_addc_u32 s29, s11, s1
	s_add_u32 s16, s7, s15
	s_addc_u32 s17, s4, 0
	s_add_u32 s0, s30, -1
	s_addc_u32 s1, s31, -1
	s_mul_i32 s19, s0, 0xfffff100
	s_cmp_eq_u64 s[16:17], s[0:1]
	s_cselect_b32 s18, -1, 0
	s_cmp_lg_u64 s[16:17], s[0:1]
	s_cselect_b32 s28, -1, 0
	s_and_b32 vcc_lo, exec_lo, s18
	s_cbranch_vccnz .LBB225_2
; %bb.1:
	v_lshlrev_b32_e32 v8, 2, v0
	s_delay_alu instid0(VALU_DEP_1) | instskip(NEXT) | instid1(VALU_DEP_1)
	v_add_co_u32 v1, s0, s14, v8
	v_add_co_ci_u32_e64 v2, null, s21, 0, s0
	s_delay_alu instid0(VALU_DEP_2) | instskip(NEXT) | instid1(VALU_DEP_2)
	v_add_co_u32 v3, vcc_lo, 0x1000, v1
	v_add_co_ci_u32_e32 v4, vcc_lo, 0, v2, vcc_lo
	s_clause 0x7
	flat_load_b32 v9, v[1:2]
	flat_load_b32 v10, v[1:2] offset:1024
	flat_load_b32 v11, v[1:2] offset:2048
	;; [unrolled: 1-line block ×3, first 2 shown]
	flat_load_b32 v13, v[3:4]
	flat_load_b32 v14, v[3:4] offset:1024
	flat_load_b32 v15, v[3:4] offset:2048
	;; [unrolled: 1-line block ×3, first 2 shown]
	v_add_co_u32 v3, vcc_lo, 0x2000, v1
	v_add_co_ci_u32_e32 v4, vcc_lo, 0, v2, vcc_lo
	v_add_co_u32 v1, vcc_lo, 0x3000, v1
	v_add_co_ci_u32_e32 v2, vcc_lo, 0, v2, vcc_lo
	s_clause 0x6
	flat_load_b32 v17, v[3:4]
	flat_load_b32 v18, v[3:4] offset:1024
	flat_load_b32 v19, v[3:4] offset:2048
	;; [unrolled: 1-line block ×3, first 2 shown]
	flat_load_b32 v21, v[1:2]
	flat_load_b32 v22, v[1:2] offset:1024
	flat_load_b32 v25, v[1:2] offset:2048
	v_add_co_u32 v2, s0, s20, v8
	s_delay_alu instid0(VALU_DEP_1) | instskip(SKIP_1) | instid1(VALU_DEP_3)
	v_add_co_ci_u32_e64 v3, null, s29, 0, s0
	v_mad_u32_u24 v1, v0, 56, v8
	v_add_co_u32 v4, vcc_lo, 0x1000, v2
	s_delay_alu instid0(VALU_DEP_3)
	v_add_co_ci_u32_e32 v5, vcc_lo, 0, v3, vcc_lo
	v_add_co_u32 v6, vcc_lo, 0x2000, v2
	v_add_co_ci_u32_e32 v7, vcc_lo, 0, v3, vcc_lo
	v_add_co_u32 v23, vcc_lo, 0x3000, v2
	v_add_co_ci_u32_e32 v24, vcc_lo, 0, v3, vcc_lo
	s_waitcnt vmcnt(13) lgkmcnt(13)
	ds_store_2addr_stride64_b32 v8, v9, v10 offset1:4
	s_waitcnt vmcnt(11) lgkmcnt(12)
	ds_store_2addr_stride64_b32 v8, v11, v12 offset0:8 offset1:12
	s_waitcnt vmcnt(9) lgkmcnt(11)
	ds_store_2addr_stride64_b32 v8, v13, v14 offset0:16 offset1:20
	;; [unrolled: 2-line block ×6, first 2 shown]
	s_waitcnt vmcnt(0) lgkmcnt(7)
	ds_store_b32 v8, v25 offset:14336
	s_waitcnt lgkmcnt(0)
	s_barrier
	buffer_gl0_inv
	ds_load_2addr_b32 v[21:22], v1 offset1:1
	ds_load_2addr_b32 v[19:20], v1 offset0:2 offset1:3
	ds_load_2addr_b32 v[17:18], v1 offset0:4 offset1:5
	;; [unrolled: 1-line block ×6, first 2 shown]
	ds_load_b32 v57, v1 offset:56
	s_waitcnt lgkmcnt(0)
	s_barrier
	buffer_gl0_inv
	s_clause 0xe
	flat_load_b32 v25, v[2:3]
	flat_load_b32 v26, v[2:3] offset:1024
	flat_load_b32 v27, v[2:3] offset:2048
	flat_load_b32 v2, v[2:3] offset:3072
	flat_load_b32 v3, v[4:5]
	flat_load_b32 v28, v[4:5] offset:1024
	flat_load_b32 v29, v[4:5] offset:2048
	flat_load_b32 v4, v[4:5] offset:3072
	;; [unrolled: 4-line block ×3, first 2 shown]
	flat_load_b32 v7, v[23:24]
	flat_load_b32 v32, v[23:24] offset:1024
	flat_load_b32 v23, v[23:24] offset:2048
	s_waitcnt vmcnt(13) lgkmcnt(13)
	ds_store_2addr_stride64_b32 v8, v25, v26 offset1:4
	s_waitcnt vmcnt(11) lgkmcnt(12)
	ds_store_2addr_stride64_b32 v8, v27, v2 offset0:8 offset1:12
	s_waitcnt vmcnt(9) lgkmcnt(11)
	ds_store_2addr_stride64_b32 v8, v3, v28 offset0:16 offset1:20
	;; [unrolled: 2-line block ×6, first 2 shown]
	s_waitcnt vmcnt(0) lgkmcnt(7)
	ds_store_b32 v8, v23 offset:14336
	s_waitcnt lgkmcnt(0)
	s_barrier
	s_and_not1_b32 vcc_lo, exec_lo, s3
	s_add_i32 s19, s19, s40
	s_cbranch_vccz .LBB225_3
	s_branch .LBB225_50
.LBB225_2:
                                        ; implicit-def: $vgpr1
                                        ; implicit-def: $vgpr21
                                        ; implicit-def: $vgpr19
                                        ; implicit-def: $vgpr17
                                        ; implicit-def: $vgpr15
                                        ; implicit-def: $vgpr13
                                        ; implicit-def: $vgpr11
                                        ; implicit-def: $vgpr9
                                        ; implicit-def: $vgpr57
	s_add_i32 s19, s19, s40
.LBB225_3:
	s_delay_alu instid0(SALU_CYCLE_1)
	v_cmp_gt_u32_e32 vcc_lo, s19, v0
                                        ; implicit-def: $vgpr1
	s_and_saveexec_b32 s0, vcc_lo
	s_cbranch_execz .LBB225_5
; %bb.4:
	v_lshlrev_b32_e32 v1, 2, v0
	s_delay_alu instid0(VALU_DEP_1) | instskip(NEXT) | instid1(VALU_DEP_1)
	v_add_co_u32 v1, s1, s14, v1
	v_add_co_ci_u32_e64 v2, null, s21, 0, s1
	flat_load_b32 v1, v[1:2]
.LBB225_5:
	s_or_b32 exec_lo, exec_lo, s0
	v_or_b32_e32 v2, 0x100, v0
                                        ; implicit-def: $vgpr9
	s_delay_alu instid0(VALU_DEP_1) | instskip(NEXT) | instid1(VALU_DEP_1)
	v_cmp_gt_u32_e64 s0, s19, v2
	s_and_saveexec_b32 s1, s0
	s_cbranch_execz .LBB225_7
; %bb.6:
	v_lshlrev_b32_e32 v2, 2, v0
	s_delay_alu instid0(VALU_DEP_1) | instskip(NEXT) | instid1(VALU_DEP_1)
	v_add_co_u32 v2, s2, s14, v2
	v_add_co_ci_u32_e64 v3, null, s21, 0, s2
	flat_load_b32 v9, v[2:3] offset:1024
.LBB225_7:
	s_or_b32 exec_lo, exec_lo, s1
	v_or_b32_e32 v2, 0x200, v0
                                        ; implicit-def: $vgpr10
	s_delay_alu instid0(VALU_DEP_1) | instskip(NEXT) | instid1(VALU_DEP_1)
	v_cmp_gt_u32_e64 s1, s19, v2
	s_and_saveexec_b32 s2, s1
	s_cbranch_execz .LBB225_9
; %bb.8:
	v_lshlrev_b32_e32 v2, 2, v0
	s_delay_alu instid0(VALU_DEP_1) | instskip(NEXT) | instid1(VALU_DEP_1)
	v_add_co_u32 v2, s3, s14, v2
	v_add_co_ci_u32_e64 v3, null, s21, 0, s3
	flat_load_b32 v10, v[2:3] offset:2048
.LBB225_9:
	s_or_b32 exec_lo, exec_lo, s2
	v_or_b32_e32 v2, 0x300, v0
                                        ; implicit-def: $vgpr11
	s_delay_alu instid0(VALU_DEP_1) | instskip(NEXT) | instid1(VALU_DEP_1)
	v_cmp_gt_u32_e64 s2, s19, v2
	s_and_saveexec_b32 s3, s2
	s_cbranch_execz .LBB225_11
; %bb.10:
	v_lshlrev_b32_e32 v2, 2, v0
	s_delay_alu instid0(VALU_DEP_1) | instskip(NEXT) | instid1(VALU_DEP_1)
	v_add_co_u32 v2, s4, s14, v2
	v_add_co_ci_u32_e64 v3, null, s21, 0, s4
	flat_load_b32 v11, v[2:3] offset:3072
.LBB225_11:
	s_or_b32 exec_lo, exec_lo, s3
	v_or_b32_e32 v2, 0x400, v0
                                        ; implicit-def: $vgpr12
	s_delay_alu instid0(VALU_DEP_1) | instskip(NEXT) | instid1(VALU_DEP_1)
	v_cmp_gt_u32_e64 s3, s19, v2
	s_and_saveexec_b32 s4, s3
	s_cbranch_execz .LBB225_13
; %bb.12:
	v_lshlrev_b32_e32 v3, 2, v2
	s_delay_alu instid0(VALU_DEP_1) | instskip(NEXT) | instid1(VALU_DEP_1)
	v_add_co_u32 v3, s5, s14, v3
	v_add_co_ci_u32_e64 v4, null, s21, 0, s5
	flat_load_b32 v12, v[3:4]
.LBB225_13:
	s_or_b32 exec_lo, exec_lo, s4
	v_or_b32_e32 v3, 0x500, v0
                                        ; implicit-def: $vgpr13
	s_delay_alu instid0(VALU_DEP_1) | instskip(NEXT) | instid1(VALU_DEP_1)
	v_cmp_gt_u32_e64 s4, s19, v3
	s_and_saveexec_b32 s5, s4
	s_cbranch_execz .LBB225_15
; %bb.14:
	v_lshlrev_b32_e32 v4, 2, v3
	s_delay_alu instid0(VALU_DEP_1) | instskip(NEXT) | instid1(VALU_DEP_1)
	v_add_co_u32 v4, s6, s14, v4
	v_add_co_ci_u32_e64 v5, null, s21, 0, s6
	flat_load_b32 v13, v[4:5]
.LBB225_15:
	s_or_b32 exec_lo, exec_lo, s5
	v_or_b32_e32 v4, 0x600, v0
                                        ; implicit-def: $vgpr14
	s_delay_alu instid0(VALU_DEP_1) | instskip(NEXT) | instid1(VALU_DEP_1)
	v_cmp_gt_u32_e64 s5, s19, v4
	s_and_saveexec_b32 s6, s5
	s_cbranch_execz .LBB225_17
; %bb.16:
	v_lshlrev_b32_e32 v5, 2, v4
	s_delay_alu instid0(VALU_DEP_1) | instskip(NEXT) | instid1(VALU_DEP_1)
	v_add_co_u32 v5, s7, s14, v5
	v_add_co_ci_u32_e64 v6, null, s21, 0, s7
	flat_load_b32 v14, v[5:6]
.LBB225_17:
	s_or_b32 exec_lo, exec_lo, s6
	v_or_b32_e32 v5, 0x700, v0
                                        ; implicit-def: $vgpr15
	s_delay_alu instid0(VALU_DEP_1) | instskip(NEXT) | instid1(VALU_DEP_1)
	v_cmp_gt_u32_e64 s6, s19, v5
	s_and_saveexec_b32 s7, s6
	s_cbranch_execz .LBB225_19
; %bb.18:
	v_lshlrev_b32_e32 v6, 2, v5
	s_delay_alu instid0(VALU_DEP_1) | instskip(NEXT) | instid1(VALU_DEP_1)
	v_add_co_u32 v6, s8, s14, v6
	v_add_co_ci_u32_e64 v7, null, s21, 0, s8
	flat_load_b32 v15, v[6:7]
.LBB225_19:
	s_or_b32 exec_lo, exec_lo, s7
	v_or_b32_e32 v6, 0x800, v0
                                        ; implicit-def: $vgpr16
	s_delay_alu instid0(VALU_DEP_1) | instskip(NEXT) | instid1(VALU_DEP_1)
	v_cmp_gt_u32_e64 s7, s19, v6
	s_and_saveexec_b32 s8, s7
	s_cbranch_execz .LBB225_21
; %bb.20:
	v_lshlrev_b32_e32 v7, 2, v6
	s_delay_alu instid0(VALU_DEP_1) | instskip(NEXT) | instid1(VALU_DEP_1)
	v_add_co_u32 v7, s9, s14, v7
	v_add_co_ci_u32_e64 v8, null, s21, 0, s9
	flat_load_b32 v16, v[7:8]
.LBB225_21:
	s_or_b32 exec_lo, exec_lo, s8
	v_or_b32_e32 v8, 0x900, v0
                                        ; implicit-def: $vgpr17
	s_delay_alu instid0(VALU_DEP_1) | instskip(NEXT) | instid1(VALU_DEP_1)
	v_cmp_gt_u32_e64 s8, s19, v8
	s_and_saveexec_b32 s9, s8
	s_cbranch_execz .LBB225_23
; %bb.22:
	v_lshlrev_b32_e32 v7, 2, v8
	s_delay_alu instid0(VALU_DEP_1) | instskip(NEXT) | instid1(VALU_DEP_1)
	v_add_co_u32 v17, s10, s14, v7
	v_add_co_ci_u32_e64 v18, null, s21, 0, s10
	flat_load_b32 v17, v[17:18]
.LBB225_23:
	s_or_b32 exec_lo, exec_lo, s9
	v_or_b32_e32 v23, 0xa00, v0
                                        ; implicit-def: $vgpr18
	s_delay_alu instid0(VALU_DEP_1) | instskip(NEXT) | instid1(VALU_DEP_1)
	v_cmp_gt_u32_e64 s9, s19, v23
	s_and_saveexec_b32 s10, s9
	s_cbranch_execz .LBB225_25
; %bb.24:
	v_lshlrev_b32_e32 v7, 2, v23
	s_delay_alu instid0(VALU_DEP_1) | instskip(NEXT) | instid1(VALU_DEP_1)
	v_add_co_u32 v18, s11, s14, v7
	v_add_co_ci_u32_e64 v19, null, s21, 0, s11
	flat_load_b32 v18, v[18:19]
.LBB225_25:
	s_or_b32 exec_lo, exec_lo, s10
	v_or_b32_e32 v24, 0xb00, v0
                                        ; implicit-def: $vgpr19
	s_delay_alu instid0(VALU_DEP_1) | instskip(NEXT) | instid1(VALU_DEP_1)
	v_cmp_gt_u32_e64 s10, s19, v24
	s_and_saveexec_b32 s11, s10
	s_cbranch_execz .LBB225_27
; %bb.26:
	v_lshlrev_b32_e32 v7, 2, v24
	s_delay_alu instid0(VALU_DEP_1) | instskip(NEXT) | instid1(VALU_DEP_1)
	v_add_co_u32 v19, s12, s14, v7
	v_add_co_ci_u32_e64 v20, null, s21, 0, s12
	flat_load_b32 v19, v[19:20]
.LBB225_27:
	s_or_b32 exec_lo, exec_lo, s11
	v_or_b32_e32 v25, 0xc00, v0
                                        ; implicit-def: $vgpr20
	s_delay_alu instid0(VALU_DEP_1) | instskip(NEXT) | instid1(VALU_DEP_1)
	v_cmp_gt_u32_e64 s11, s19, v25
	s_and_saveexec_b32 s12, s11
	s_cbranch_execz .LBB225_29
; %bb.28:
	v_lshlrev_b32_e32 v7, 2, v25
	s_delay_alu instid0(VALU_DEP_1) | instskip(NEXT) | instid1(VALU_DEP_1)
	v_add_co_u32 v20, s13, s14, v7
	v_add_co_ci_u32_e64 v21, null, s21, 0, s13
	flat_load_b32 v20, v[20:21]
.LBB225_29:
	s_or_b32 exec_lo, exec_lo, s12
	v_or_b32_e32 v26, 0xd00, v0
                                        ; implicit-def: $vgpr21
	s_delay_alu instid0(VALU_DEP_1) | instskip(NEXT) | instid1(VALU_DEP_1)
	v_cmp_gt_u32_e64 s12, s19, v26
	s_and_saveexec_b32 s13, s12
	s_cbranch_execz .LBB225_31
; %bb.30:
	v_lshlrev_b32_e32 v7, 2, v26
	s_delay_alu instid0(VALU_DEP_1) | instskip(NEXT) | instid1(VALU_DEP_1)
	v_add_co_u32 v21, s30, s14, v7
	v_add_co_ci_u32_e64 v22, null, s21, 0, s30
	flat_load_b32 v21, v[21:22]
.LBB225_31:
	s_or_b32 exec_lo, exec_lo, s13
	v_or_b32_e32 v27, 0xe00, v0
                                        ; implicit-def: $vgpr22
	s_delay_alu instid0(VALU_DEP_1) | instskip(NEXT) | instid1(VALU_DEP_1)
	v_cmp_gt_u32_e64 s13, s19, v27
	s_and_saveexec_b32 s30, s13
	s_cbranch_execz .LBB225_33
; %bb.32:
	v_lshlrev_b32_e32 v7, 2, v27
	s_delay_alu instid0(VALU_DEP_1) | instskip(NEXT) | instid1(VALU_DEP_1)
	v_add_co_u32 v28, s31, s14, v7
	v_add_co_ci_u32_e64 v29, null, s21, 0, s31
	flat_load_b32 v22, v[28:29]
.LBB225_33:
	s_or_b32 exec_lo, exec_lo, s30
	v_lshlrev_b32_e32 v7, 2, v0
                                        ; implicit-def: $vgpr28
	s_waitcnt vmcnt(0) lgkmcnt(0)
	ds_store_2addr_stride64_b32 v7, v1, v9 offset1:4
	ds_store_2addr_stride64_b32 v7, v10, v11 offset0:8 offset1:12
	ds_store_2addr_stride64_b32 v7, v12, v13 offset0:16 offset1:20
	;; [unrolled: 1-line block ×6, first 2 shown]
	v_mad_u32_u24 v1, v0, 56, v7
	ds_store_b32 v7, v22 offset:14336
	s_waitcnt lgkmcnt(0)
	s_barrier
	buffer_gl0_inv
	ds_load_2addr_b32 v[21:22], v1 offset1:1
	ds_load_2addr_b32 v[19:20], v1 offset0:2 offset1:3
	ds_load_2addr_b32 v[17:18], v1 offset0:4 offset1:5
	;; [unrolled: 1-line block ×6, first 2 shown]
	ds_load_b32 v57, v1 offset:56
	s_waitcnt lgkmcnt(0)
	s_barrier
	buffer_gl0_inv
	s_and_saveexec_b32 s30, vcc_lo
	s_cbranch_execnz .LBB225_57
; %bb.34:
	s_or_b32 exec_lo, exec_lo, s30
                                        ; implicit-def: $vgpr29
	s_and_saveexec_b32 s30, s0
	s_cbranch_execnz .LBB225_58
.LBB225_35:
	s_or_b32 exec_lo, exec_lo, s30
                                        ; implicit-def: $vgpr30
	s_and_saveexec_b32 s0, s1
	s_cbranch_execnz .LBB225_59
.LBB225_36:
	s_or_b32 exec_lo, exec_lo, s0
                                        ; implicit-def: $vgpr31
	s_and_saveexec_b32 s0, s2
	s_cbranch_execnz .LBB225_60
.LBB225_37:
	s_or_b32 exec_lo, exec_lo, s0
                                        ; implicit-def: $vgpr32
	s_and_saveexec_b32 s0, s3
	s_cbranch_execnz .LBB225_61
.LBB225_38:
	s_or_b32 exec_lo, exec_lo, s0
                                        ; implicit-def: $vgpr2
	s_and_saveexec_b32 s0, s4
	s_cbranch_execnz .LBB225_62
.LBB225_39:
	s_or_b32 exec_lo, exec_lo, s0
                                        ; implicit-def: $vgpr3
	s_and_saveexec_b32 s0, s5
	s_cbranch_execnz .LBB225_63
.LBB225_40:
	s_or_b32 exec_lo, exec_lo, s0
                                        ; implicit-def: $vgpr4
	s_and_saveexec_b32 s0, s6
	s_cbranch_execnz .LBB225_64
.LBB225_41:
	s_or_b32 exec_lo, exec_lo, s0
                                        ; implicit-def: $vgpr5
	s_and_saveexec_b32 s0, s7
	s_cbranch_execnz .LBB225_65
.LBB225_42:
	s_or_b32 exec_lo, exec_lo, s0
                                        ; implicit-def: $vgpr6
	s_and_saveexec_b32 s0, s8
	s_cbranch_execnz .LBB225_66
.LBB225_43:
	s_or_b32 exec_lo, exec_lo, s0
                                        ; implicit-def: $vgpr8
	s_and_saveexec_b32 s0, s9
	s_cbranch_execnz .LBB225_67
.LBB225_44:
	s_or_b32 exec_lo, exec_lo, s0
                                        ; implicit-def: $vgpr23
	s_and_saveexec_b32 s0, s10
	s_cbranch_execnz .LBB225_68
.LBB225_45:
	s_or_b32 exec_lo, exec_lo, s0
                                        ; implicit-def: $vgpr24
	s_and_saveexec_b32 s0, s11
	s_cbranch_execnz .LBB225_69
.LBB225_46:
	s_or_b32 exec_lo, exec_lo, s0
                                        ; implicit-def: $vgpr25
	s_and_saveexec_b32 s0, s12
	s_cbranch_execnz .LBB225_70
.LBB225_47:
	s_or_b32 exec_lo, exec_lo, s0
                                        ; implicit-def: $vgpr26
	s_and_saveexec_b32 s0, s13
	s_cbranch_execz .LBB225_49
.LBB225_48:
	v_lshlrev_b32_e32 v26, 2, v27
	s_delay_alu instid0(VALU_DEP_1) | instskip(NEXT) | instid1(VALU_DEP_1)
	v_add_co_u32 v26, s1, s20, v26
	v_add_co_ci_u32_e64 v27, null, s29, 0, s1
	flat_load_b32 v26, v[26:27]
.LBB225_49:
	s_or_b32 exec_lo, exec_lo, s0
	s_waitcnt vmcnt(0) lgkmcnt(0)
	ds_store_2addr_stride64_b32 v7, v28, v29 offset1:4
	ds_store_2addr_stride64_b32 v7, v30, v31 offset0:8 offset1:12
	ds_store_2addr_stride64_b32 v7, v32, v2 offset0:16 offset1:20
	;; [unrolled: 1-line block ×6, first 2 shown]
	ds_store_b32 v7, v26 offset:14336
	s_waitcnt lgkmcnt(0)
	s_barrier
.LBB225_50:
	buffer_gl0_inv
	ds_load_2addr_b32 v[47:48], v1 offset1:1
	ds_load_2addr_b32 v[45:46], v1 offset0:2 offset1:3
	ds_load_2addr_b32 v[43:44], v1 offset0:4 offset1:5
	;; [unrolled: 1-line block ×6, first 2 shown]
	ds_load_b32 v59, v1 offset:56
	s_cmp_eq_u64 s[16:17], 0
	s_waitcnt lgkmcnt(0)
	s_cselect_b32 s20, -1, 0
	s_cmp_lg_u64 s[16:17], 0
	s_barrier
	s_cselect_b32 s29, -1, 0
	s_and_b32 vcc_lo, exec_lo, s28
	buffer_gl0_inv
	s_cbranch_vccz .LBB225_56
; %bb.51:
	s_and_b32 vcc_lo, exec_lo, s29
	s_cbranch_vccz .LBB225_71
; %bb.52:
	v_add_co_u32 v1, s0, -4, s14
	s_delay_alu instid0(VALU_DEP_1)
	v_add_co_ci_u32_e64 v2, null, -1, s21, s0
	v_cvt_i32_f32_e32 v4, v57
	v_cvt_i32_f32_e32 v5, v9
	;; [unrolled: 1-line block ×3, first 2 shown]
	flat_load_b32 v1, v[1:2]
	v_cvt_i32_f32_e32 v2, v10
	v_mul_hi_i32 v4, 0x66666667, v4
	v_mul_hi_i32 v5, 0x66666667, v5
	;; [unrolled: 1-line block ×3, first 2 shown]
	v_cvt_i32_f32_e32 v23, v11
	v_mul_hi_i32 v3, 0x66666667, v2
	v_cvt_i32_f32_e32 v25, v18
	v_lshlrev_b32_e32 v2, 2, v0
	s_mov_b32 s28, -1
	s_mov_b32 s30, 0
	v_lshrrev_b32_e32 v8, 31, v5
	v_ashrrev_i32_e32 v5, 2, v5
	v_lshrrev_b32_e32 v24, 31, v7
	v_lshrrev_b32_e32 v6, 31, v3
	v_ashrrev_i32_e32 v3, 2, v3
	v_ashrrev_i32_e32 v7, 2, v7
	v_add_nc_u32_e32 v5, v5, v8
	v_cvt_i32_f32_e32 v8, v14
	v_mul_hi_i32 v25, 0x66666667, v25
	v_add_nc_u32_e32 v3, v3, v6
	v_lshrrev_b32_e32 v6, 31, v4
	v_ashrrev_i32_e32 v4, 2, v4
	v_add_nc_u32_e32 v7, v7, v24
	s_mov_b32 s31, exec_lo
	v_cmp_ne_u32_e64 s0, v5, v3
	ds_store_b32 v2, v57
	v_add_nc_u32_e32 v4, v4, v6
	v_mul_hi_i32 v6, 0x66666667, v23
	v_cmp_ne_u32_e64 s1, v7, v5
	v_cvt_i32_f32_e32 v5, v16
	v_cvt_i32_f32_e32 v23, v15
	v_cmp_ne_u32_e32 vcc_lo, v3, v4
	v_cvt_i32_f32_e32 v3, v13
	v_mul_hi_i32 v4, 0x66666667, v8
	v_mul_hi_i32 v5, 0x66666667, v5
	v_lshrrev_b32_e32 v8, 31, v6
	v_ashrrev_i32_e32 v6, 2, v6
	v_mul_hi_i32 v3, 0x66666667, v3
	s_waitcnt vmcnt(0) lgkmcnt(0)
	s_barrier
	buffer_gl0_inv
	v_add_nc_u32_e32 v6, v6, v8
	v_mul_hi_i32 v8, 0x66666667, v23
	v_lshrrev_b32_e32 v24, 31, v4
	v_ashrrev_i32_e32 v4, 2, v4
	v_lshrrev_b32_e32 v23, 31, v3
	v_ashrrev_i32_e32 v3, 2, v3
	v_cmp_ne_u32_e64 s3, v6, v7
	v_ashrrev_i32_e32 v7, 2, v25
	v_add_nc_u32_e32 v4, v4, v24
	v_lshrrev_b32_e32 v24, 31, v5
	v_ashrrev_i32_e32 v5, 2, v5
	v_add_nc_u32_e32 v3, v3, v23
	v_lshrrev_b32_e32 v23, 31, v8
	v_ashrrev_i32_e32 v8, 2, v8
	v_cmp_ne_u32_e64 s4, v4, v6
	v_add_nc_u32_e32 v5, v5, v24
	v_cmp_ne_u32_e64 s5, v3, v4
	v_lshrrev_b32_e32 v6, 31, v25
	v_add_nc_u32_e32 v4, v8, v23
	v_cvt_i32_f32_e32 v8, v19
	v_cmp_ne_u32_e64 s2, v5, v3
	v_cvt_i32_f32_e32 v3, v17
	v_add_nc_u32_e32 v6, v7, v6
	v_cmp_ne_u32_e64 s6, v4, v5
	v_cvt_i32_f32_e32 v5, v20
	v_cvt_i32_f32_e32 v7, v22
	;; [unrolled: 1-line block ×3, first 2 shown]
	v_mul_hi_i32 v3, 0x66666667, v3
	v_mul_hi_i32 v8, 0x66666667, v8
	;; [unrolled: 1-line block ×3, first 2 shown]
	v_cmp_ne_u32_e64 s7, v6, v4
	v_mul_hi_i32 v4, 0x66666667, v7
	v_mul_hi_i32 v23, 0x66666667, v23
	v_lshrrev_b32_e32 v7, 31, v3
	v_ashrrev_i32_e32 v3, 2, v3
	v_lshrrev_b32_e32 v24, 31, v5
	v_ashrrev_i32_e32 v5, 2, v5
	;; [unrolled: 2-line block ×5, first 2 shown]
	v_add_nc_u32_e32 v7, v3, v7
	v_add_nc_u32_e32 v5, v5, v24
	;; [unrolled: 1-line block ×5, first 2 shown]
	v_cmp_ne_u32_e64 s12, v7, v6
	v_cmp_ne_u32_e64 s8, v5, v7
	;; [unrolled: 1-line block ×5, first 2 shown]
	v_cmpx_ne_u32_e32 0, v0
	s_cbranch_execz .LBB225_54
; %bb.53:
	v_add_nc_u32_e32 v1, -4, v2
	ds_load_b32 v1, v1
.LBB225_54:
	s_or_b32 exec_lo, exec_lo, s31
	s_waitcnt lgkmcnt(0)
	v_cvt_i32_f32_e32 v1, v1
	v_cndmask_b32_e64 v58, 0, 1, vcc_lo
	v_cndmask_b32_e64 v24, 0, 1, s0
	v_cndmask_b32_e64 v23, 0, 1, s1
	;; [unrolled: 1-line block ×3, first 2 shown]
	v_mul_hi_i32 v1, 0x66666667, v1
	v_cndmask_b32_e64 v25, 0, 1, s4
	v_cndmask_b32_e64 v28, 0, 1, s5
	;; [unrolled: 1-line block ×7, first 2 shown]
	v_lshrrev_b32_e32 v2, 31, v1
	v_ashrrev_i32_e32 v1, 2, v1
	v_cndmask_b32_e64 v36, 0, 1, s9
	v_cndmask_b32_e64 v35, 0, 1, s10
	;; [unrolled: 1-line block ×3, first 2 shown]
	s_delay_alu instid0(VALU_DEP_4) | instskip(NEXT) | instid1(VALU_DEP_1)
	v_add_nc_u32_e32 v1, v1, v2
	v_cmp_ne_u32_e64 s2, v1, v3
	s_and_b32 vcc_lo, exec_lo, s30
	s_cbranch_vccnz .LBB225_72
.LBB225_55:
                                        ; implicit-def: $sgpr0
	s_branch .LBB225_110
.LBB225_56:
	s_mov_b32 s28, 0
                                        ; implicit-def: $sgpr2
                                        ; implicit-def: $vgpr58
                                        ; implicit-def: $vgpr24
                                        ; implicit-def: $vgpr23
                                        ; implicit-def: $vgpr26
                                        ; implicit-def: $vgpr25
                                        ; implicit-def: $vgpr28
                                        ; implicit-def: $vgpr27
                                        ; implicit-def: $vgpr30
                                        ; implicit-def: $vgpr29
                                        ; implicit-def: $vgpr32
                                        ; implicit-def: $vgpr31
                                        ; implicit-def: $vgpr36
                                        ; implicit-def: $vgpr35
                                        ; implicit-def: $vgpr50
                                        ; implicit-def: $sgpr0
	s_cbranch_execnz .LBB225_75
	s_branch .LBB225_110
.LBB225_57:
	v_add_co_u32 v28, s31, s20, v7
	s_delay_alu instid0(VALU_DEP_1)
	v_add_co_ci_u32_e64 v29, null, s29, 0, s31
	flat_load_b32 v28, v[28:29]
	s_or_b32 exec_lo, exec_lo, s30
                                        ; implicit-def: $vgpr29
	s_and_saveexec_b32 s30, s0
	s_cbranch_execz .LBB225_35
.LBB225_58:
	v_add_co_u32 v29, s0, s20, v7
	s_delay_alu instid0(VALU_DEP_1)
	v_add_co_ci_u32_e64 v30, null, s29, 0, s0
	flat_load_b32 v29, v[29:30] offset:1024
	s_or_b32 exec_lo, exec_lo, s30
                                        ; implicit-def: $vgpr30
	s_and_saveexec_b32 s0, s1
	s_cbranch_execz .LBB225_36
.LBB225_59:
	v_add_co_u32 v30, s1, s20, v7
	s_delay_alu instid0(VALU_DEP_1)
	v_add_co_ci_u32_e64 v31, null, s29, 0, s1
	flat_load_b32 v30, v[30:31] offset:2048
	s_or_b32 exec_lo, exec_lo, s0
                                        ; implicit-def: $vgpr31
	s_and_saveexec_b32 s0, s2
	s_cbranch_execz .LBB225_37
.LBB225_60:
	v_add_co_u32 v31, s1, s20, v7
	s_delay_alu instid0(VALU_DEP_1)
	v_add_co_ci_u32_e64 v32, null, s29, 0, s1
	flat_load_b32 v31, v[31:32] offset:3072
	s_or_b32 exec_lo, exec_lo, s0
                                        ; implicit-def: $vgpr32
	s_and_saveexec_b32 s0, s3
	s_cbranch_execz .LBB225_38
.LBB225_61:
	v_lshlrev_b32_e32 v2, 2, v2
	s_delay_alu instid0(VALU_DEP_1) | instskip(NEXT) | instid1(VALU_DEP_1)
	v_add_co_u32 v32, s1, s20, v2
	v_add_co_ci_u32_e64 v33, null, s29, 0, s1
	flat_load_b32 v32, v[32:33]
	s_or_b32 exec_lo, exec_lo, s0
                                        ; implicit-def: $vgpr2
	s_and_saveexec_b32 s0, s4
	s_cbranch_execz .LBB225_39
.LBB225_62:
	v_lshlrev_b32_e32 v2, 2, v3
	s_delay_alu instid0(VALU_DEP_1) | instskip(NEXT) | instid1(VALU_DEP_1)
	v_add_co_u32 v2, s1, s20, v2
	v_add_co_ci_u32_e64 v3, null, s29, 0, s1
	flat_load_b32 v2, v[2:3]
	s_or_b32 exec_lo, exec_lo, s0
                                        ; implicit-def: $vgpr3
	s_and_saveexec_b32 s0, s5
	s_cbranch_execz .LBB225_40
.LBB225_63:
	v_lshlrev_b32_e32 v3, 2, v4
	s_delay_alu instid0(VALU_DEP_1) | instskip(NEXT) | instid1(VALU_DEP_1)
	v_add_co_u32 v3, s1, s20, v3
	v_add_co_ci_u32_e64 v4, null, s29, 0, s1
	flat_load_b32 v3, v[3:4]
	s_or_b32 exec_lo, exec_lo, s0
                                        ; implicit-def: $vgpr4
	s_and_saveexec_b32 s0, s6
	s_cbranch_execz .LBB225_41
.LBB225_64:
	v_lshlrev_b32_e32 v4, 2, v5
	s_delay_alu instid0(VALU_DEP_1) | instskip(NEXT) | instid1(VALU_DEP_1)
	v_add_co_u32 v4, s1, s20, v4
	v_add_co_ci_u32_e64 v5, null, s29, 0, s1
	flat_load_b32 v4, v[4:5]
	s_or_b32 exec_lo, exec_lo, s0
                                        ; implicit-def: $vgpr5
	s_and_saveexec_b32 s0, s7
	s_cbranch_execz .LBB225_42
.LBB225_65:
	v_lshlrev_b32_e32 v5, 2, v6
	s_delay_alu instid0(VALU_DEP_1) | instskip(NEXT) | instid1(VALU_DEP_1)
	v_add_co_u32 v5, s1, s20, v5
	v_add_co_ci_u32_e64 v6, null, s29, 0, s1
	flat_load_b32 v5, v[5:6]
	s_or_b32 exec_lo, exec_lo, s0
                                        ; implicit-def: $vgpr6
	s_and_saveexec_b32 s0, s8
	s_cbranch_execz .LBB225_43
.LBB225_66:
	v_lshlrev_b32_e32 v6, 2, v8
	s_delay_alu instid0(VALU_DEP_1) | instskip(NEXT) | instid1(VALU_DEP_1)
	v_add_co_u32 v33, s1, s20, v6
	v_add_co_ci_u32_e64 v34, null, s29, 0, s1
	flat_load_b32 v6, v[33:34]
	s_or_b32 exec_lo, exec_lo, s0
                                        ; implicit-def: $vgpr8
	s_and_saveexec_b32 s0, s9
	s_cbranch_execz .LBB225_44
.LBB225_67:
	v_lshlrev_b32_e32 v8, 2, v23
	s_delay_alu instid0(VALU_DEP_1) | instskip(NEXT) | instid1(VALU_DEP_1)
	v_add_co_u32 v33, s1, s20, v8
	v_add_co_ci_u32_e64 v34, null, s29, 0, s1
	flat_load_b32 v8, v[33:34]
	s_or_b32 exec_lo, exec_lo, s0
                                        ; implicit-def: $vgpr23
	s_and_saveexec_b32 s0, s10
	s_cbranch_execz .LBB225_45
.LBB225_68:
	v_lshlrev_b32_e32 v23, 2, v24
	s_delay_alu instid0(VALU_DEP_1) | instskip(NEXT) | instid1(VALU_DEP_1)
	v_add_co_u32 v23, s1, s20, v23
	v_add_co_ci_u32_e64 v24, null, s29, 0, s1
	flat_load_b32 v23, v[23:24]
	s_or_b32 exec_lo, exec_lo, s0
                                        ; implicit-def: $vgpr24
	s_and_saveexec_b32 s0, s11
	s_cbranch_execz .LBB225_46
.LBB225_69:
	v_lshlrev_b32_e32 v24, 2, v25
	s_delay_alu instid0(VALU_DEP_1) | instskip(NEXT) | instid1(VALU_DEP_1)
	v_add_co_u32 v24, s1, s20, v24
	v_add_co_ci_u32_e64 v25, null, s29, 0, s1
	flat_load_b32 v24, v[24:25]
	s_or_b32 exec_lo, exec_lo, s0
                                        ; implicit-def: $vgpr25
	s_and_saveexec_b32 s0, s12
	s_cbranch_execz .LBB225_47
.LBB225_70:
	v_lshlrev_b32_e32 v25, 2, v26
	s_delay_alu instid0(VALU_DEP_1) | instskip(NEXT) | instid1(VALU_DEP_1)
	v_add_co_u32 v25, s1, s20, v25
	v_add_co_ci_u32_e64 v26, null, s29, 0, s1
	flat_load_b32 v25, v[25:26]
	s_or_b32 exec_lo, exec_lo, s0
                                        ; implicit-def: $vgpr26
	s_and_saveexec_b32 s0, s13
	s_cbranch_execnz .LBB225_48
	s_branch .LBB225_49
.LBB225_71:
	s_mov_b32 s28, 0
                                        ; implicit-def: $sgpr2
                                        ; implicit-def: $vgpr58
                                        ; implicit-def: $vgpr24
                                        ; implicit-def: $vgpr23
                                        ; implicit-def: $vgpr26
                                        ; implicit-def: $vgpr25
                                        ; implicit-def: $vgpr28
                                        ; implicit-def: $vgpr27
                                        ; implicit-def: $vgpr30
                                        ; implicit-def: $vgpr29
                                        ; implicit-def: $vgpr32
                                        ; implicit-def: $vgpr31
                                        ; implicit-def: $vgpr36
                                        ; implicit-def: $vgpr35
                                        ; implicit-def: $vgpr50
	s_cbranch_execz .LBB225_55
.LBB225_72:
	v_cvt_i32_f32_e32 v1, v10
	v_cvt_i32_f32_e32 v2, v57
	;; [unrolled: 1-line block ×5, first 2 shown]
	v_mul_hi_i32 v1, 0x66666667, v1
	v_mul_hi_i32 v2, 0x66666667, v2
	;; [unrolled: 1-line block ×5, first 2 shown]
	s_mov_b32 s0, exec_lo
                                        ; implicit-def: $sgpr2
	v_lshrrev_b32_e32 v6, 31, v1
	v_ashrrev_i32_e32 v1, 2, v1
	v_lshrrev_b32_e32 v7, 31, v2
	v_ashrrev_i32_e32 v2, 2, v2
	;; [unrolled: 2-line block ×3, first 2 shown]
	v_add_nc_u32_e32 v6, v1, v6
	v_lshrrev_b32_e32 v23, 31, v4
	v_add_nc_u32_e32 v2, v2, v7
	v_cvt_i32_f32_e32 v7, v14
	v_add_nc_u32_e32 v3, v3, v8
	v_cvt_i32_f32_e32 v8, v16
	v_lshlrev_b32_e32 v1, 2, v0
	v_cmp_ne_u32_e32 vcc_lo, v6, v2
	v_ashrrev_i32_e32 v2, 2, v4
	v_mul_hi_i32 v7, 0x66666667, v7
	v_lshrrev_b32_e32 v4, 31, v5
	v_ashrrev_i32_e32 v5, 2, v5
	v_cndmask_b32_e64 v58, 0, 1, vcc_lo
	v_cmp_ne_u32_e32 vcc_lo, v3, v6
	v_cvt_i32_f32_e32 v6, v13
	v_add_nc_u32_e32 v2, v2, v23
	v_add_nc_u32_e32 v4, v5, v4
	v_lshrrev_b32_e32 v5, 31, v7
	v_cndmask_b32_e64 v24, 0, 1, vcc_lo
	v_mul_hi_i32 v6, 0x66666667, v6
	v_ashrrev_i32_e32 v7, 2, v7
	v_cmp_ne_u32_e32 vcc_lo, v2, v3
	v_mul_hi_i32 v8, 0x66666667, v8
	ds_store_b32 v1, v57
	s_waitcnt lgkmcnt(0)
	v_add_nc_u32_e32 v3, v7, v5
	v_cndmask_b32_e64 v23, 0, 1, vcc_lo
	v_cmp_ne_u32_e32 vcc_lo, v4, v2
	v_cvt_i32_f32_e32 v2, v15
	v_lshrrev_b32_e32 v5, 31, v6
	v_ashrrev_i32_e32 v6, 2, v6
	v_lshrrev_b32_e32 v7, 31, v8
	v_cndmask_b32_e64 v26, 0, 1, vcc_lo
	v_mul_hi_i32 v2, 0x66666667, v2
	v_cmp_ne_u32_e32 vcc_lo, v3, v4
	v_cvt_i32_f32_e32 v4, v18
	v_add_nc_u32_e32 v5, v6, v5
	v_cvt_i32_f32_e32 v6, v17
	v_ashrrev_i32_e32 v8, 2, v8
	v_cndmask_b32_e64 v25, 0, 1, vcc_lo
	v_mul_hi_i32 v4, 0x66666667, v4
	v_cmp_ne_u32_e32 vcc_lo, v5, v3
	v_mul_hi_i32 v6, 0x66666667, v6
	v_add_nc_u32_e32 v7, v8, v7
	v_lshrrev_b32_e32 v8, 31, v2
	v_ashrrev_i32_e32 v2, 2, v2
	v_cndmask_b32_e64 v28, 0, 1, vcc_lo
	s_barrier
	v_cmp_ne_u32_e32 vcc_lo, v7, v5
	v_lshrrev_b32_e32 v3, 31, v4
	v_add_nc_u32_e32 v2, v2, v8
	v_ashrrev_i32_e32 v4, 2, v4
	v_lshrrev_b32_e32 v5, 31, v6
	v_ashrrev_i32_e32 v6, 2, v6
	v_cvt_i32_f32_e32 v8, v20
	v_cndmask_b32_e64 v27, 0, 1, vcc_lo
	v_cmp_ne_u32_e32 vcc_lo, v2, v7
	v_cvt_i32_f32_e32 v7, v19
	v_add_nc_u32_e32 v3, v4, v3
	v_add_nc_u32_e32 v4, v6, v5
	v_mul_hi_i32 v5, 0x66666667, v8
	v_cvt_i32_f32_e32 v6, v22
	v_mul_hi_i32 v7, 0x66666667, v7
	v_cndmask_b32_e64 v30, 0, 1, vcc_lo
	v_cvt_i32_f32_e32 v8, v21
	v_cmp_ne_u32_e32 vcc_lo, v3, v2
	v_mul_hi_i32 v2, 0x66666667, v6
	buffer_gl0_inv
	v_lshrrev_b32_e32 v6, 31, v5
	v_ashrrev_i32_e32 v5, 2, v5
	v_cndmask_b32_e64 v29, 0, 1, vcc_lo
	v_cmp_ne_u32_e32 vcc_lo, v4, v3
	v_mul_hi_i32 v3, 0x66666667, v8
	v_lshrrev_b32_e32 v8, 31, v7
	v_ashrrev_i32_e32 v7, 2, v7
	v_add_nc_u32_e32 v5, v5, v6
	v_cndmask_b32_e64 v32, 0, 1, vcc_lo
	v_lshrrev_b32_e32 v31, 31, v2
	v_ashrrev_i32_e32 v2, 2, v2
	v_add_nc_u32_e32 v7, v7, v8
	v_cmp_ne_u32_e32 vcc_lo, v5, v4
	v_lshrrev_b32_e32 v6, 31, v3
	v_ashrrev_i32_e32 v3, 2, v3
	v_add_nc_u32_e32 v8, v2, v31
	v_cndmask_b32_e64 v31, 0, 1, vcc_lo
	v_cmp_ne_u32_e32 vcc_lo, v7, v5
	s_delay_alu instid0(VALU_DEP_4) | instskip(SKIP_3) | instid1(VALU_DEP_4)
	v_add_nc_u32_e32 v2, v3, v6
	v_cndmask_b32_e64 v36, 0, 1, vcc_lo
	v_cmp_ne_u32_e32 vcc_lo, v8, v7
	v_cndmask_b32_e64 v35, 0, 1, vcc_lo
	v_cmp_ne_u32_e32 vcc_lo, v2, v8
	v_cndmask_b32_e64 v50, 0, 1, vcc_lo
	v_cmpx_ne_u32_e32 0, v0
	s_xor_b32 s0, exec_lo, s0
	s_cbranch_execz .LBB225_74
; %bb.73:
	v_add_nc_u32_e32 v1, -4, v1
	s_or_b32 s28, s28, exec_lo
	ds_load_b32 v1, v1
	s_waitcnt lgkmcnt(0)
	v_cvt_i32_f32_e32 v1, v1
	s_delay_alu instid0(VALU_DEP_1) | instskip(NEXT) | instid1(VALU_DEP_1)
	v_mul_hi_i32 v1, 0x66666667, v1
	v_lshrrev_b32_e32 v3, 31, v1
	v_ashrrev_i32_e32 v1, 2, v1
	s_delay_alu instid0(VALU_DEP_1) | instskip(NEXT) | instid1(VALU_DEP_1)
	v_add_nc_u32_e32 v1, v1, v3
	v_cmp_ne_u32_e32 vcc_lo, v1, v2
	s_and_b32 s2, vcc_lo, exec_lo
.LBB225_74:
	s_or_b32 exec_lo, exec_lo, s0
	s_mov_b32 s0, 1
	s_branch .LBB225_110
.LBB225_75:
	s_mul_hi_u32 s0, s16, 0xfffff100
	s_mul_i32 s1, s17, 0xfffff100
	s_sub_i32 s0, s0, s16
	s_mul_i32 s2, s16, 0xfffff100
	s_add_i32 s1, s0, s1
	s_add_u32 s0, s2, s40
	s_addc_u32 s1, s1, s41
	s_and_b32 vcc_lo, exec_lo, s29
	s_cbranch_vccz .LBB225_195
; %bb.76:
	v_add_co_u32 v1, s2, -4, s14
	s_delay_alu instid0(VALU_DEP_1)
	v_add_co_ci_u32_e64 v2, null, -1, s21, s2
	v_mad_u32_u24 v23, v0, 15, 14
	v_mov_b32_e32 v24, 0
	v_mov_b32_e32 v58, 0
	flat_load_b32 v3, v[1:2]
	v_lshlrev_b32_e32 v2, 2, v0
	v_mul_u32_u24_e32 v1, 15, v0
	s_mov_b32 s2, exec_lo
	ds_store_b32 v2, v57
	v_cmpx_gt_u64_e64 s[0:1], v[23:24]
	s_cbranch_execz .LBB225_78
; %bb.77:
	v_cvt_i32_f32_e32 v4, v10
	v_cvt_i32_f32_e32 v5, v57
	s_delay_alu instid0(VALU_DEP_2) | instskip(NEXT) | instid1(VALU_DEP_2)
	v_mul_hi_i32 v4, 0x66666667, v4
	v_mul_hi_i32 v5, 0x66666667, v5
	s_delay_alu instid0(VALU_DEP_2) | instskip(SKIP_1) | instid1(VALU_DEP_3)
	v_lshrrev_b32_e32 v6, 31, v4
	v_ashrrev_i32_e32 v4, 2, v4
	v_lshrrev_b32_e32 v7, 31, v5
	v_ashrrev_i32_e32 v5, 2, v5
	s_delay_alu instid0(VALU_DEP_3) | instskip(NEXT) | instid1(VALU_DEP_2)
	v_add_nc_u32_e32 v4, v4, v6
	v_add_nc_u32_e32 v5, v5, v7
	s_delay_alu instid0(VALU_DEP_1)
	v_cmp_ne_u32_e32 vcc_lo, v4, v5
	v_cndmask_b32_e64 v58, 0, 1, vcc_lo
.LBB225_78:
	s_or_b32 exec_lo, exec_lo, s2
	v_add_nc_u32_e32 v23, 13, v1
	s_mov_b32 s2, exec_lo
	s_delay_alu instid0(VALU_DEP_1)
	v_cmpx_gt_u64_e64 s[0:1], v[23:24]
	s_cbranch_execz .LBB225_80
; %bb.79:
	v_cvt_i32_f32_e32 v4, v9
	v_cvt_i32_f32_e32 v5, v10
	s_delay_alu instid0(VALU_DEP_2) | instskip(NEXT) | instid1(VALU_DEP_2)
	v_mul_hi_i32 v4, 0x66666667, v4
	v_mul_hi_i32 v5, 0x66666667, v5
	s_delay_alu instid0(VALU_DEP_2) | instskip(SKIP_1) | instid1(VALU_DEP_3)
	v_lshrrev_b32_e32 v6, 31, v4
	v_ashrrev_i32_e32 v4, 2, v4
	v_lshrrev_b32_e32 v7, 31, v5
	v_ashrrev_i32_e32 v5, 2, v5
	s_delay_alu instid0(VALU_DEP_3) | instskip(NEXT) | instid1(VALU_DEP_2)
	v_add_nc_u32_e32 v4, v4, v6
	v_add_nc_u32_e32 v5, v5, v7
	s_delay_alu instid0(VALU_DEP_1)
	v_cmp_ne_u32_e32 vcc_lo, v4, v5
	v_cndmask_b32_e64 v24, 0, 1, vcc_lo
.LBB225_80:
	s_or_b32 exec_lo, exec_lo, s2
	v_dual_mov_b32 v26, 0 :: v_dual_add_nc_u32 v25, 12, v1
	v_mov_b32_e32 v23, 0
	s_mov_b32 s2, exec_lo
	s_delay_alu instid0(VALU_DEP_2)
	v_cmpx_gt_u64_e64 s[0:1], v[25:26]
	s_cbranch_execz .LBB225_82
; %bb.81:
	v_cvt_i32_f32_e32 v4, v12
	v_cvt_i32_f32_e32 v5, v9
	s_delay_alu instid0(VALU_DEP_2) | instskip(NEXT) | instid1(VALU_DEP_2)
	v_mul_hi_i32 v4, 0x66666667, v4
	v_mul_hi_i32 v5, 0x66666667, v5
	s_delay_alu instid0(VALU_DEP_2) | instskip(SKIP_1) | instid1(VALU_DEP_3)
	v_lshrrev_b32_e32 v6, 31, v4
	v_ashrrev_i32_e32 v4, 2, v4
	v_lshrrev_b32_e32 v7, 31, v5
	v_ashrrev_i32_e32 v5, 2, v5
	s_delay_alu instid0(VALU_DEP_3) | instskip(NEXT) | instid1(VALU_DEP_2)
	v_add_nc_u32_e32 v4, v4, v6
	v_add_nc_u32_e32 v5, v5, v7
	s_delay_alu instid0(VALU_DEP_1)
	v_cmp_ne_u32_e32 vcc_lo, v4, v5
	v_cndmask_b32_e64 v23, 0, 1, vcc_lo
.LBB225_82:
	s_or_b32 exec_lo, exec_lo, s2
	v_add_nc_u32_e32 v25, 11, v1
	s_mov_b32 s2, exec_lo
	s_delay_alu instid0(VALU_DEP_1)
	v_cmpx_gt_u64_e64 s[0:1], v[25:26]
	s_cbranch_execz .LBB225_84
; %bb.83:
	v_cvt_i32_f32_e32 v4, v11
	v_cvt_i32_f32_e32 v5, v12
	s_delay_alu instid0(VALU_DEP_2) | instskip(NEXT) | instid1(VALU_DEP_2)
	v_mul_hi_i32 v4, 0x66666667, v4
	v_mul_hi_i32 v5, 0x66666667, v5
	s_delay_alu instid0(VALU_DEP_2) | instskip(SKIP_1) | instid1(VALU_DEP_3)
	v_lshrrev_b32_e32 v6, 31, v4
	v_ashrrev_i32_e32 v4, 2, v4
	v_lshrrev_b32_e32 v7, 31, v5
	v_ashrrev_i32_e32 v5, 2, v5
	s_delay_alu instid0(VALU_DEP_3) | instskip(NEXT) | instid1(VALU_DEP_2)
	v_add_nc_u32_e32 v4, v4, v6
	v_add_nc_u32_e32 v5, v5, v7
	s_delay_alu instid0(VALU_DEP_1)
	v_cmp_ne_u32_e32 vcc_lo, v4, v5
	v_cndmask_b32_e64 v26, 0, 1, vcc_lo
.LBB225_84:
	s_or_b32 exec_lo, exec_lo, s2
	v_dual_mov_b32 v28, 0 :: v_dual_add_nc_u32 v27, 10, v1
	v_mov_b32_e32 v25, 0
	s_mov_b32 s2, exec_lo
	s_delay_alu instid0(VALU_DEP_2)
	;; [unrolled: 49-line block ×6, first 2 shown]
	v_cmpx_gt_u64_e64 s[0:1], v[49:50]
	s_cbranch_execz .LBB225_102
; %bb.101:
	v_cvt_i32_f32_e32 v4, v22
	v_cvt_i32_f32_e32 v5, v19
	s_delay_alu instid0(VALU_DEP_2) | instskip(NEXT) | instid1(VALU_DEP_2)
	v_mul_hi_i32 v4, 0x66666667, v4
	v_mul_hi_i32 v5, 0x66666667, v5
	s_delay_alu instid0(VALU_DEP_2) | instskip(SKIP_1) | instid1(VALU_DEP_3)
	v_lshrrev_b32_e32 v6, 31, v4
	v_ashrrev_i32_e32 v4, 2, v4
	v_lshrrev_b32_e32 v7, 31, v5
	v_ashrrev_i32_e32 v5, 2, v5
	s_delay_alu instid0(VALU_DEP_3) | instskip(NEXT) | instid1(VALU_DEP_2)
	v_add_nc_u32_e32 v4, v4, v6
	v_add_nc_u32_e32 v5, v5, v7
	s_delay_alu instid0(VALU_DEP_1)
	v_cmp_ne_u32_e32 vcc_lo, v4, v5
	v_cndmask_b32_e64 v35, 0, 1, vcc_lo
.LBB225_102:
	s_or_b32 exec_lo, exec_lo, s2
	v_add_nc_u32_e32 v49, 1, v1
	s_mov_b32 s2, exec_lo
	s_delay_alu instid0(VALU_DEP_1)
	v_cmpx_gt_u64_e64 s[0:1], v[49:50]
	s_cbranch_execz .LBB225_104
; %bb.103:
	v_cvt_i32_f32_e32 v4, v21
	v_cvt_i32_f32_e32 v5, v22
	s_delay_alu instid0(VALU_DEP_2) | instskip(NEXT) | instid1(VALU_DEP_2)
	v_mul_hi_i32 v4, 0x66666667, v4
	v_mul_hi_i32 v5, 0x66666667, v5
	s_delay_alu instid0(VALU_DEP_2) | instskip(SKIP_1) | instid1(VALU_DEP_3)
	v_lshrrev_b32_e32 v6, 31, v4
	v_ashrrev_i32_e32 v4, 2, v4
	v_lshrrev_b32_e32 v7, 31, v5
	v_ashrrev_i32_e32 v5, 2, v5
	s_delay_alu instid0(VALU_DEP_3) | instskip(NEXT) | instid1(VALU_DEP_2)
	v_add_nc_u32_e32 v4, v4, v6
	v_add_nc_u32_e32 v5, v5, v7
	s_delay_alu instid0(VALU_DEP_1)
	v_cmp_ne_u32_e32 vcc_lo, v4, v5
	v_cndmask_b32_e64 v50, 0, 1, vcc_lo
.LBB225_104:
	s_or_b32 exec_lo, exec_lo, s2
	s_mov_b32 s2, 0
	s_mov_b32 s3, exec_lo
	s_waitcnt vmcnt(0) lgkmcnt(0)
	s_barrier
	buffer_gl0_inv
	v_cmpx_ne_u32_e32 0, v0
	s_cbranch_execz .LBB225_106
; %bb.105:
	v_add_nc_u32_e32 v2, -4, v2
	ds_load_b32 v3, v2
.LBB225_106:
	s_or_b32 exec_lo, exec_lo, s3
	v_mov_b32_e32 v2, 0
	s_mov_b32 s3, exec_lo
	s_delay_alu instid0(VALU_DEP_1)
	v_cmpx_gt_u64_e64 s[0:1], v[1:2]
	s_cbranch_execz .LBB225_108
; %bb.107:
	s_waitcnt lgkmcnt(0)
	v_cvt_i32_f32_e32 v1, v3
	v_cvt_i32_f32_e32 v2, v21
	s_delay_alu instid0(VALU_DEP_2) | instskip(NEXT) | instid1(VALU_DEP_2)
	v_mul_hi_i32 v1, 0x66666667, v1
	v_mul_hi_i32 v2, 0x66666667, v2
	s_delay_alu instid0(VALU_DEP_2) | instskip(SKIP_1) | instid1(VALU_DEP_3)
	v_lshrrev_b32_e32 v3, 31, v1
	v_ashrrev_i32_e32 v1, 2, v1
	v_lshrrev_b32_e32 v4, 31, v2
	v_ashrrev_i32_e32 v2, 2, v2
	s_delay_alu instid0(VALU_DEP_3) | instskip(NEXT) | instid1(VALU_DEP_2)
	v_add_nc_u32_e32 v1, v1, v3
	v_add_nc_u32_e32 v2, v2, v4
	s_delay_alu instid0(VALU_DEP_1)
	v_cmp_ne_u32_e32 vcc_lo, v1, v2
	s_and_b32 s2, vcc_lo, exec_lo
.LBB225_108:
	s_or_b32 exec_lo, exec_lo, s3
	s_mov_b32 s28, -1
.LBB225_109:
                                        ; implicit-def: $sgpr0
.LBB225_110:
	v_mov_b32_e32 v49, s0
	s_and_saveexec_b32 s0, s28
.LBB225_111:
	v_cndmask_b32_e64 v49, 0, 1, s2
.LBB225_112:
	s_or_b32 exec_lo, exec_lo, s0
	s_delay_alu instid0(VALU_DEP_1)
	v_add3_u32 v1, v50, v49, v35
	v_add_f32_e32 v74, v47, v48
	v_cmp_eq_u32_e64 s12, 0, v50
	v_cmp_eq_u32_e64 s11, 0, v35
	v_cmp_eq_u32_e64 s9, 0, v36
	v_add3_u32 v73, v1, v36, v31
	v_cmp_eq_u32_e64 s10, 0, v31
	v_cmp_eq_u32_e64 s8, 0, v32
	;; [unrolled: 1-line block ×10, first 2 shown]
	v_cmp_eq_u32_e32 vcc_lo, 0, v58
	v_mbcnt_lo_u32_b32 v70, -1, 0
	v_lshrrev_b32_e32 v71, 5, v0
	v_or_b32_e32 v72, 31, v0
	s_cmp_eq_u64 s[26:27], 0
	s_cselect_b32 s16, -1, 0
	s_cmp_lg_u32 s15, 0
	s_cbranch_scc0 .LBB225_143
; %bb.113:
	v_add3_u32 v2, v73, v32, v29
	v_cndmask_b32_e64 v1, v48, v74, s12
	s_mov_b32 s14, exec_lo
	v_and_b32_e32 v4, 15, v70
	v_and_b32_e32 v6, 16, v70
	v_add3_u32 v2, v2, v30, v27
	v_add_f32_e32 v1, v45, v1
	s_delay_alu instid0(VALU_DEP_2) | instskip(NEXT) | instid1(VALU_DEP_2)
	v_add3_u32 v2, v2, v28, v25
	v_cndmask_b32_e64 v1, v45, v1, s11
	s_delay_alu instid0(VALU_DEP_2) | instskip(NEXT) | instid1(VALU_DEP_1)
	v_add3_u32 v2, v2, v26, v23
	v_add3_u32 v2, v2, v24, v58
	s_delay_alu instid0(VALU_DEP_3) | instskip(NEXT) | instid1(VALU_DEP_2)
	v_add_f32_e32 v1, v46, v1
	v_mov_b32_dpp v5, v2 row_shr:1 row_mask:0xf bank_mask:0xf
	s_delay_alu instid0(VALU_DEP_2) | instskip(NEXT) | instid1(VALU_DEP_1)
	v_cndmask_b32_e64 v1, v46, v1, s9
	v_add_f32_e32 v1, v43, v1
	s_delay_alu instid0(VALU_DEP_1) | instskip(NEXT) | instid1(VALU_DEP_1)
	v_cndmask_b32_e64 v1, v43, v1, s10
	v_add_f32_e32 v1, v44, v1
	s_delay_alu instid0(VALU_DEP_1) | instskip(NEXT) | instid1(VALU_DEP_1)
	;; [unrolled: 3-line block ×10, first 2 shown]
	v_cndmask_b32_e64 v1, v34, v1, s0
	v_add_f32_e32 v1, v59, v1
	s_delay_alu instid0(VALU_DEP_1) | instskip(SKIP_2) | instid1(VALU_DEP_2)
	v_cndmask_b32_e32 v1, v59, v1, vcc_lo
	v_cmp_eq_u32_e32 vcc_lo, 0, v2
	s_waitcnt lgkmcnt(0)
	v_mov_b32_dpp v3, v1 row_shr:1 row_mask:0xf bank_mask:0xf
	s_delay_alu instid0(VALU_DEP_1) | instskip(NEXT) | instid1(VALU_DEP_1)
	v_add_f32_e32 v3, v1, v3
	v_cndmask_b32_e32 v3, v1, v3, vcc_lo
	v_cmp_eq_u32_e32 vcc_lo, 0, v4
	v_cndmask_b32_e64 v5, v5, 0, vcc_lo
	s_delay_alu instid0(VALU_DEP_1) | instskip(NEXT) | instid1(VALU_DEP_1)
	v_dual_cndmask_b32 v1, v3, v1 :: v_dual_add_nc_u32 v2, v5, v2
	v_mov_b32_dpp v3, v1 row_shr:2 row_mask:0xf bank_mask:0xf
	s_delay_alu instid0(VALU_DEP_2) | instskip(NEXT) | instid1(VALU_DEP_2)
	v_cmp_eq_u32_e32 vcc_lo, 0, v2
	v_add_f32_e32 v3, v1, v3
	v_mov_b32_dpp v5, v2 row_shr:2 row_mask:0xf bank_mask:0xf
	s_delay_alu instid0(VALU_DEP_2) | instskip(SKIP_1) | instid1(VALU_DEP_2)
	v_cndmask_b32_e32 v3, v1, v3, vcc_lo
	v_cmp_lt_u32_e32 vcc_lo, 1, v4
	v_cndmask_b32_e32 v1, v1, v3, vcc_lo
	s_delay_alu instid0(VALU_DEP_4) | instskip(NEXT) | instid1(VALU_DEP_2)
	v_cndmask_b32_e32 v3, 0, v5, vcc_lo
	v_mov_b32_dpp v5, v1 row_shr:4 row_mask:0xf bank_mask:0xf
	s_delay_alu instid0(VALU_DEP_1) | instskip(NEXT) | instid1(VALU_DEP_1)
	v_dual_add_f32 v3, v1, v5 :: v_dual_add_nc_u32 v2, v2, v3
	v_cmp_eq_u32_e32 vcc_lo, 0, v2
	v_mov_b32_dpp v5, v2 row_shr:4 row_mask:0xf bank_mask:0xf
	s_delay_alu instid0(VALU_DEP_3) | instskip(SKIP_1) | instid1(VALU_DEP_2)
	v_cndmask_b32_e32 v3, v1, v3, vcc_lo
	v_cmp_lt_u32_e32 vcc_lo, 3, v4
	v_cndmask_b32_e32 v1, v1, v3, vcc_lo
	s_delay_alu instid0(VALU_DEP_4) | instskip(NEXT) | instid1(VALU_DEP_2)
	v_cndmask_b32_e32 v3, 0, v5, vcc_lo
	v_mov_b32_dpp v5, v1 row_shr:8 row_mask:0xf bank_mask:0xf
	s_delay_alu instid0(VALU_DEP_1) | instskip(NEXT) | instid1(VALU_DEP_1)
	v_dual_add_f32 v2, v1, v5 :: v_dual_add_nc_u32 v3, v3, v2
	v_cmp_eq_u32_e32 vcc_lo, 0, v3
	v_mov_b32_dpp v5, v3 row_shr:8 row_mask:0xf bank_mask:0xf
	s_delay_alu instid0(VALU_DEP_3) | instskip(SKIP_1) | instid1(VALU_DEP_2)
	v_cndmask_b32_e32 v2, v1, v2, vcc_lo
	v_cmp_lt_u32_e32 vcc_lo, 7, v4
	v_dual_cndmask_b32 v2, v1, v2 :: v_dual_cndmask_b32 v1, 0, v5
	v_bfe_i32 v5, v70, 4, 1
	s_delay_alu instid0(VALU_DEP_2)
	v_add_nc_u32_e32 v1, v1, v3
	ds_swizzle_b32 v3, v2 offset:swizzle(BROADCAST,32,15)
	ds_swizzle_b32 v4, v1 offset:swizzle(BROADCAST,32,15)
	v_cmp_eq_u32_e32 vcc_lo, 0, v1
	s_waitcnt lgkmcnt(1)
	v_add_f32_e32 v3, v2, v3
	s_waitcnt lgkmcnt(0)
	v_and_b32_e32 v7, v5, v4
	s_delay_alu instid0(VALU_DEP_2) | instskip(SKIP_2) | instid1(VALU_DEP_4)
	v_cndmask_b32_e32 v5, v2, v3, vcc_lo
	v_cmp_eq_u32_e32 vcc_lo, 0, v6
	v_lshlrev_b32_e32 v4, 3, v71
	v_add_nc_u32_e32 v1, v7, v1
	s_delay_alu instid0(VALU_DEP_4)
	v_cndmask_b32_e32 v3, v5, v2, vcc_lo
	v_cmpx_eq_u32_e64 v72, v0
	s_cbranch_execz .LBB225_115
; %bb.114:
	v_cndmask_b32_e32 v2, v5, v2, vcc_lo
	ds_store_b64 v4, v[1:2] offset:2064
.LBB225_115:
	s_or_b32 exec_lo, exec_lo, s14
	s_delay_alu instid0(SALU_CYCLE_1)
	s_mov_b32 s14, exec_lo
	s_waitcnt lgkmcnt(0)
	s_barrier
	buffer_gl0_inv
	v_cmpx_gt_u32_e32 8, v0
	s_cbranch_execz .LBB225_117
; %bb.116:
	v_lshlrev_b32_e32 v2, 3, v0
	ds_load_b64 v[5:6], v2 offset:2064
	s_waitcnt lgkmcnt(0)
	v_mov_b32_dpp v7, v6 row_shr:1 row_mask:0xf bank_mask:0xf
	v_cmp_eq_u32_e32 vcc_lo, 0, v5
	v_mov_b32_dpp v51, v5 row_shr:1 row_mask:0xf bank_mask:0xf
	s_delay_alu instid0(VALU_DEP_3) | instskip(NEXT) | instid1(VALU_DEP_1)
	v_dual_add_f32 v7, v6, v7 :: v_dual_and_b32 v8, 7, v70
	v_cndmask_b32_e32 v7, v6, v7, vcc_lo
	s_delay_alu instid0(VALU_DEP_2) | instskip(NEXT) | instid1(VALU_DEP_4)
	v_cmp_eq_u32_e32 vcc_lo, 0, v8
	v_cndmask_b32_e64 v51, v51, 0, vcc_lo
	s_delay_alu instid0(VALU_DEP_1) | instskip(NEXT) | instid1(VALU_DEP_1)
	v_add_nc_u32_e32 v5, v51, v5
	v_mov_b32_dpp v51, v5 row_shr:2 row_mask:0xf bank_mask:0xf
	v_cndmask_b32_e32 v6, v7, v6, vcc_lo
	v_cmp_eq_u32_e32 vcc_lo, 0, v5
	s_delay_alu instid0(VALU_DEP_2) | instskip(NEXT) | instid1(VALU_DEP_1)
	v_mov_b32_dpp v7, v6 row_shr:2 row_mask:0xf bank_mask:0xf
	v_add_f32_e32 v7, v6, v7
	s_delay_alu instid0(VALU_DEP_1) | instskip(SKIP_1) | instid1(VALU_DEP_2)
	v_cndmask_b32_e32 v7, v6, v7, vcc_lo
	v_cmp_lt_u32_e32 vcc_lo, 1, v8
	v_cndmask_b32_e32 v6, v6, v7, vcc_lo
	v_cndmask_b32_e32 v7, 0, v51, vcc_lo
	v_cmp_lt_u32_e32 vcc_lo, 3, v8
	s_delay_alu instid0(VALU_DEP_3) | instskip(NEXT) | instid1(VALU_DEP_1)
	v_mov_b32_dpp v51, v6 row_shr:4 row_mask:0xf bank_mask:0xf
	v_dual_add_f32 v8, v6, v51 :: v_dual_add_nc_u32 v5, v7, v5
	s_delay_alu instid0(VALU_DEP_1) | instskip(SKIP_1) | instid1(VALU_DEP_2)
	v_mov_b32_dpp v7, v5 row_shr:4 row_mask:0xf bank_mask:0xf
	v_cmp_eq_u32_e64 s13, 0, v5
	v_cndmask_b32_e32 v7, 0, v7, vcc_lo
	s_delay_alu instid0(VALU_DEP_2) | instskip(NEXT) | instid1(VALU_DEP_1)
	s_and_b32 vcc_lo, vcc_lo, s13
	v_dual_cndmask_b32 v6, v6, v8 :: v_dual_add_nc_u32 v5, v7, v5
	ds_store_b64 v2, v[5:6] offset:2064
.LBB225_117:
	s_or_b32 exec_lo, exec_lo, s14
	v_cmp_gt_u32_e32 vcc_lo, 32, v0
	v_dual_mov_b32 v51, 0 :: v_dual_mov_b32 v52, 0
	s_mov_b32 s14, exec_lo
	s_waitcnt lgkmcnt(0)
	s_barrier
	buffer_gl0_inv
	v_cmpx_lt_u32_e32 31, v0
	s_cbranch_execz .LBB225_119
; %bb.118:
	ds_load_b64 v[51:52], v4 offset:2056
	v_cmp_eq_u32_e64 s13, 0, v1
	s_waitcnt lgkmcnt(0)
	v_add_nc_u32_e32 v4, v51, v1
	s_delay_alu instid0(VALU_DEP_1) | instskip(NEXT) | instid1(VALU_DEP_1)
	v_dual_add_f32 v2, v3, v52 :: v_dual_mov_b32 v1, v4
	v_cndmask_b32_e64 v3, v3, v2, s13
.LBB225_119:
	s_or_b32 exec_lo, exec_lo, s14
	v_add_nc_u32_e32 v2, -1, v70
	s_delay_alu instid0(VALU_DEP_1) | instskip(NEXT) | instid1(VALU_DEP_1)
	v_cmp_gt_i32_e64 s13, 0, v2
	v_cndmask_b32_e64 v2, v2, v70, s13
	v_cmp_eq_u32_e64 s13, 0, v70
	s_delay_alu instid0(VALU_DEP_2)
	v_lshlrev_b32_e32 v2, 2, v2
	ds_bpermute_b32 v60, v2, v1
	ds_bpermute_b32 v61, v2, v3
	s_and_saveexec_b32 s17, vcc_lo
	s_cbranch_execz .LBB225_142
; %bb.120:
	v_mov_b32_e32 v4, 0
	ds_load_b64 v[1:2], v4 offset:2120
	s_waitcnt lgkmcnt(0)
	v_readfirstlane_b32 s21, v2
	s_and_saveexec_b32 s14, s13
	s_cbranch_execz .LBB225_122
; %bb.121:
	s_add_i32 s26, s15, 32
	s_mov_b32 s27, 0
	v_mov_b32_e32 v3, 1
	s_lshl_b64 s[28:29], s[26:27], 4
	s_mov_b32 s30, s27
	s_add_u32 s28, s24, s28
	s_addc_u32 s29, s25, s29
	s_and_b32 s31, s21, 0xff000000
	s_and_b32 s41, s21, 0xff0000
	s_mov_b32 s40, s27
	v_dual_mov_b32 v5, s28 :: v_dual_mov_b32 v6, s29
	s_or_b64 s[30:31], s[40:41], s[30:31]
	s_and_b32 s41, s21, 0xff00
	s_delay_alu instid0(SALU_CYCLE_1) | instskip(SKIP_1) | instid1(SALU_CYCLE_1)
	s_or_b64 s[30:31], s[30:31], s[40:41]
	s_and_b32 s41, s21, 0xff
	s_or_b64 s[26:27], s[30:31], s[40:41]
	s_delay_alu instid0(SALU_CYCLE_1)
	v_mov_b32_e32 v2, s27
	;;#ASMSTART
	global_store_dwordx4 v[5:6], v[1:4] off	
s_waitcnt vmcnt(0)
	;;#ASMEND
.LBB225_122:
	s_or_b32 exec_lo, exec_lo, s14
	v_xad_u32 v53, v70, -1, s15
	s_mov_b32 s26, 0
	s_mov_b32 s14, exec_lo
	s_delay_alu instid0(VALU_DEP_1) | instskip(NEXT) | instid1(VALU_DEP_1)
	v_add_nc_u32_e32 v3, 32, v53
	v_lshlrev_b64 v[2:3], 4, v[3:4]
	s_delay_alu instid0(VALU_DEP_1) | instskip(NEXT) | instid1(VALU_DEP_2)
	v_add_co_u32 v2, vcc_lo, s24, v2
	v_add_co_ci_u32_e32 v3, vcc_lo, s25, v3, vcc_lo
	;;#ASMSTART
	global_load_dwordx4 v[5:8], v[2:3] off glc	
s_waitcnt vmcnt(0)
	;;#ASMEND
	v_perm_b32 v4, v6, v7, 0x70605
	v_perm_b32 v8, v6, v7, 0x1000706
	;; [unrolled: 1-line block ×3, first 2 shown]
	v_and_b32_e32 v62, 0xff, v7
	s_delay_alu instid0(VALU_DEP_4) | instskip(NEXT) | instid1(VALU_DEP_4)
	v_lshlrev_b32_e32 v4, 8, v4
	v_lshlrev_b32_e32 v8, 16, v8
	s_delay_alu instid0(VALU_DEP_4) | instskip(SKIP_1) | instid1(VALU_DEP_4)
	v_lshlrev_b32_e32 v55, 24, v54
	v_alignbit_b32 v54, v6, v5, 16
	v_perm_b32 v4, v4, v6, 0xc0c0500
	s_delay_alu instid0(VALU_DEP_4) | instskip(SKIP_2) | instid1(VALU_DEP_3)
	v_and_b32_e32 v56, 0xff0000, v8
	v_alignbit_b32 v8, v6, v5, 8
	v_alignbit_b32 v6, v6, v5, 24
	v_or3_b32 v4, v4, v56, v55
	v_cmpx_eq_u16_e32 0, v62
	s_cbranch_execz .LBB225_128
; %bb.123:
	s_mov_b32 s27, 1
	.p2align	6
.LBB225_124:                            ; =>This Loop Header: Depth=1
                                        ;     Child Loop BB225_125 Depth 2
	s_delay_alu instid0(SALU_CYCLE_1)
	s_max_u32 s28, s27, 1
.LBB225_125:                            ;   Parent Loop BB225_124 Depth=1
                                        ; =>  This Inner Loop Header: Depth=2
	s_delay_alu instid0(SALU_CYCLE_1)
	s_add_i32 s28, s28, -1
	s_sleep 1
	s_cmp_eq_u32 s28, 0
	s_cbranch_scc0 .LBB225_125
; %bb.126:                              ;   in Loop: Header=BB225_124 Depth=1
	;;#ASMSTART
	global_load_dwordx4 v[5:8], v[2:3] off glc	
s_waitcnt vmcnt(0)
	;;#ASMEND
	v_and_b32_e32 v4, 0xff, v7
	s_cmp_lt_u32 s27, 32
	s_cselect_b32 s28, -1, 0
	s_delay_alu instid0(VALU_DEP_1) | instskip(SKIP_3) | instid1(SALU_CYCLE_1)
	v_cmp_ne_u16_e32 vcc_lo, 0, v4
	s_cmp_lg_u32 s28, 0
	s_addc_u32 s27, s27, 0
	s_or_b32 s26, vcc_lo, s26
	s_and_not1_b32 exec_lo, exec_lo, s26
	s_cbranch_execnz .LBB225_124
; %bb.127:
	s_or_b32 exec_lo, exec_lo, s26
	v_perm_b32 v2, v6, v7, 0x70605
	v_perm_b32 v3, v6, v7, 0x1000706
	;; [unrolled: 1-line block ×3, first 2 shown]
	v_alignbit_b32 v8, v6, v5, 8
	v_alignbit_b32 v54, v6, v5, 16
	v_lshlrev_b32_e32 v2, 8, v2
	v_lshlrev_b32_e32 v3, 16, v3
	;; [unrolled: 1-line block ×3, first 2 shown]
	s_delay_alu instid0(VALU_DEP_3) | instskip(NEXT) | instid1(VALU_DEP_3)
	v_perm_b32 v2, v2, v6, 0xc0c0500
	v_and_b32_e32 v3, 0xff0000, v3
	v_alignbit_b32 v6, v6, v5, 24
	s_delay_alu instid0(VALU_DEP_2)
	v_or3_b32 v4, v2, v3, v4
.LBB225_128:
	s_or_b32 exec_lo, exec_lo, s14
	v_cmp_ne_u32_e32 vcc_lo, 31, v70
	v_lshlrev_b32_e32 v8, 8, v8
	v_cmp_gt_u32_e64 s14, 30, v70
	v_and_b32_e32 v5, 0xff, v5
	v_lshlrev_b32_e64 v62, v70, -1
	v_add_co_ci_u32_e32 v2, vcc_lo, 0, v70, vcc_lo
	v_and_b32_e32 v8, 0xff00, v8
	v_add_nc_u32_e32 v64, 2, v70
	v_add_nc_u32_e32 v66, 4, v70
	s_delay_alu instid0(VALU_DEP_4)
	v_lshlrev_b32_e32 v2, 2, v2
	v_add_nc_u32_e32 v68, 8, v70
	v_add_nc_u32_e32 v75, 16, v70
	ds_bpermute_b32 v3, v2, v4
	s_waitcnt lgkmcnt(0)
	v_dual_add_f32 v3, v4, v3 :: v_dual_lshlrev_b32 v54, 16, v54
	s_delay_alu instid0(VALU_DEP_1) | instskip(SKIP_1) | instid1(VALU_DEP_2)
	v_perm_b32 v6, v6, v54, 0x4020c0c
	v_cndmask_b32_e64 v54, 0, 1, s14
	v_or3_b32 v5, v6, v8, v5
	s_delay_alu instid0(VALU_DEP_2) | instskip(NEXT) | instid1(VALU_DEP_1)
	v_lshlrev_b32_e32 v6, 1, v54
	v_add_lshl_u32 v63, v6, v70, 2
	ds_bpermute_b32 v6, v2, v5
	v_and_b32_e32 v55, 0xff, v7
	s_delay_alu instid0(VALU_DEP_1) | instskip(SKIP_2) | instid1(VALU_DEP_2)
	v_cmp_eq_u16_e32 vcc_lo, 2, v55
	v_and_or_b32 v55, vcc_lo, v62, 0x80000000
	v_cmp_eq_u32_e32 vcc_lo, 0, v5
	v_ctz_i32_b32_e32 v8, v55
	v_cndmask_b32_e32 v3, v4, v3, vcc_lo
	s_delay_alu instid0(VALU_DEP_2) | instskip(SKIP_1) | instid1(VALU_DEP_2)
	v_cmp_lt_u32_e32 vcc_lo, v70, v8
	s_waitcnt lgkmcnt(0)
	v_dual_cndmask_b32 v6, 0, v6 :: v_dual_cndmask_b32 v3, v4, v3
	v_cmp_gt_u32_e32 vcc_lo, 28, v70
	ds_bpermute_b32 v4, v63, v3
	v_cndmask_b32_e64 v54, 0, 1, vcc_lo
	s_waitcnt lgkmcnt(0)
	v_dual_add_f32 v4, v3, v4 :: v_dual_add_nc_u32 v5, v6, v5
	s_delay_alu instid0(VALU_DEP_2) | instskip(NEXT) | instid1(VALU_DEP_2)
	v_lshlrev_b32_e32 v6, 2, v54
	v_cmp_eq_u32_e32 vcc_lo, 0, v5
	s_delay_alu instid0(VALU_DEP_2) | instskip(NEXT) | instid1(VALU_DEP_4)
	v_add_lshl_u32 v65, v6, v70, 2
	v_cndmask_b32_e32 v4, v3, v4, vcc_lo
	ds_bpermute_b32 v54, v63, v5
	v_cmp_gt_u32_e32 vcc_lo, v64, v8
	v_cndmask_b32_e32 v3, v4, v3, vcc_lo
	ds_bpermute_b32 v4, v65, v3
	s_waitcnt lgkmcnt(1)
	v_cndmask_b32_e64 v6, v54, 0, vcc_lo
	v_cmp_gt_u32_e32 vcc_lo, 24, v70
	s_delay_alu instid0(VALU_DEP_2)
	v_add_nc_u32_e32 v5, v5, v6
	v_cndmask_b32_e64 v6, 0, 1, vcc_lo
	s_waitcnt lgkmcnt(0)
	v_add_f32_e32 v4, v3, v4
	ds_bpermute_b32 v54, v65, v5
	v_cmp_eq_u32_e32 vcc_lo, 0, v5
	v_lshlrev_b32_e32 v6, 3, v6
	v_cndmask_b32_e32 v4, v3, v4, vcc_lo
	v_cmp_gt_u32_e32 vcc_lo, v66, v8
	s_delay_alu instid0(VALU_DEP_3) | instskip(SKIP_2) | instid1(VALU_DEP_1)
	v_add_lshl_u32 v67, v6, v70, 2
	s_waitcnt lgkmcnt(0)
	v_cndmask_b32_e64 v6, v54, 0, vcc_lo
	v_add_nc_u32_e32 v5, v5, v6
	v_cndmask_b32_e32 v3, v4, v3, vcc_lo
	v_cmp_gt_u32_e32 vcc_lo, 16, v70
	ds_bpermute_b32 v6, v67, v5
	ds_bpermute_b32 v4, v67, v3
	v_cndmask_b32_e64 v54, 0, 1, vcc_lo
	v_cmp_eq_u32_e32 vcc_lo, 0, v5
	s_delay_alu instid0(VALU_DEP_2) | instskip(NEXT) | instid1(VALU_DEP_1)
	v_lshlrev_b32_e32 v54, 4, v54
	v_add_lshl_u32 v69, v54, v70, 2
	s_waitcnt lgkmcnt(0)
	v_add_f32_e32 v4, v3, v4
	s_delay_alu instid0(VALU_DEP_1) | instskip(SKIP_1) | instid1(VALU_DEP_2)
	v_cndmask_b32_e32 v4, v3, v4, vcc_lo
	v_cmp_gt_u32_e32 vcc_lo, v68, v8
	v_cndmask_b32_e32 v3, v4, v3, vcc_lo
	v_cndmask_b32_e64 v6, v6, 0, vcc_lo
	ds_bpermute_b32 v4, v69, v3
	v_add_nc_u32_e32 v5, v5, v6
	ds_bpermute_b32 v54, v69, v5
	v_cmp_eq_u32_e32 vcc_lo, 0, v5
	s_waitcnt lgkmcnt(1)
	v_add_f32_e32 v4, v3, v4
	s_delay_alu instid0(VALU_DEP_1) | instskip(SKIP_1) | instid1(VALU_DEP_2)
	v_cndmask_b32_e32 v4, v3, v4, vcc_lo
	v_cmp_gt_u32_e32 vcc_lo, v75, v8
	v_cndmask_b32_e32 v6, v4, v3, vcc_lo
	s_waitcnt lgkmcnt(0)
	v_cndmask_b32_e64 v3, v54, 0, vcc_lo
	s_delay_alu instid0(VALU_DEP_1)
	v_dual_mov_b32 v54, 0 :: v_dual_add_nc_u32 v5, v3, v5
	s_branch .LBB225_130
.LBB225_129:                            ;   in Loop: Header=BB225_130 Depth=1
	s_or_b32 exec_lo, exec_lo, s14
	ds_bpermute_b32 v55, v2, v6
	v_lshlrev_b32_e32 v56, 16, v77
	v_lshlrev_b32_e32 v8, 8, v8
	v_and_b32_e32 v5, 0xff, v5
	v_subrev_nc_u32_e32 v53, 32, v53
	s_delay_alu instid0(VALU_DEP_4) | instskip(NEXT) | instid1(VALU_DEP_4)
	v_perm_b32 v56, v76, v56, 0x4020c0c
	v_and_b32_e32 v8, 0xff00, v8
	s_delay_alu instid0(VALU_DEP_1) | instskip(SKIP_4) | instid1(VALU_DEP_1)
	v_or3_b32 v5, v56, v8, v5
	ds_bpermute_b32 v56, v2, v5
	s_waitcnt lgkmcnt(1)
	v_add_f32_e32 v8, v6, v55
	v_and_b32_e32 v77, 0xff, v7
	v_cmp_eq_u16_e32 vcc_lo, 2, v77
	v_and_or_b32 v76, vcc_lo, v62, 0x80000000
	v_cmp_eq_u32_e32 vcc_lo, 0, v5
	s_delay_alu instid0(VALU_DEP_2) | instskip(SKIP_1) | instid1(VALU_DEP_2)
	v_ctz_i32_b32_e32 v55, v76
	v_cndmask_b32_e32 v8, v6, v8, vcc_lo
	v_cmp_lt_u32_e32 vcc_lo, v70, v55
	s_waitcnt lgkmcnt(0)
	v_cndmask_b32_e32 v56, 0, v56, vcc_lo
	s_delay_alu instid0(VALU_DEP_1)
	v_dual_cndmask_b32 v6, v6, v8 :: v_dual_add_nc_u32 v5, v56, v5
	ds_bpermute_b32 v8, v63, v6
	ds_bpermute_b32 v56, v63, v5
	v_cmp_eq_u32_e32 vcc_lo, 0, v5
	s_waitcnt lgkmcnt(1)
	v_add_f32_e32 v8, v6, v8
	s_delay_alu instid0(VALU_DEP_1) | instskip(SKIP_3) | instid1(VALU_DEP_1)
	v_cndmask_b32_e32 v8, v6, v8, vcc_lo
	v_cmp_gt_u32_e32 vcc_lo, v64, v55
	s_waitcnt lgkmcnt(0)
	v_cndmask_b32_e64 v56, v56, 0, vcc_lo
	v_dual_cndmask_b32 v6, v8, v6 :: v_dual_add_nc_u32 v5, v5, v56
	ds_bpermute_b32 v8, v65, v6
	ds_bpermute_b32 v56, v65, v5
	v_cmp_eq_u32_e32 vcc_lo, 0, v5
	s_waitcnt lgkmcnt(1)
	v_add_f32_e32 v8, v6, v8
	s_delay_alu instid0(VALU_DEP_1) | instskip(SKIP_3) | instid1(VALU_DEP_1)
	v_cndmask_b32_e32 v8, v6, v8, vcc_lo
	v_cmp_gt_u32_e32 vcc_lo, v66, v55
	s_waitcnt lgkmcnt(0)
	v_cndmask_b32_e64 v56, v56, 0, vcc_lo
	v_dual_cndmask_b32 v6, v8, v6 :: v_dual_add_nc_u32 v5, v5, v56
	ds_bpermute_b32 v8, v67, v6
	ds_bpermute_b32 v56, v67, v5
	v_cmp_eq_u32_e32 vcc_lo, 0, v5
	s_waitcnt lgkmcnt(1)
	v_add_f32_e32 v8, v6, v8
	s_delay_alu instid0(VALU_DEP_1) | instskip(SKIP_3) | instid1(VALU_DEP_1)
	v_cndmask_b32_e32 v8, v6, v8, vcc_lo
	v_cmp_gt_u32_e32 vcc_lo, v68, v55
	s_waitcnt lgkmcnt(0)
	v_cndmask_b32_e64 v56, v56, 0, vcc_lo
	v_dual_cndmask_b32 v6, v8, v6 :: v_dual_add_nc_u32 v5, v5, v56
	ds_bpermute_b32 v8, v69, v6
	ds_bpermute_b32 v56, v69, v5
	v_cmp_eq_u32_e32 vcc_lo, 0, v5
	s_waitcnt lgkmcnt(1)
	v_add_f32_e32 v8, v6, v8
	s_delay_alu instid0(VALU_DEP_1) | instskip(SKIP_1) | instid1(VALU_DEP_2)
	v_cndmask_b32_e32 v8, v6, v8, vcc_lo
	v_cmp_gt_u32_e32 vcc_lo, v75, v55
	v_cndmask_b32_e32 v6, v8, v6, vcc_lo
	s_waitcnt lgkmcnt(0)
	v_cndmask_b32_e64 v8, v56, 0, vcc_lo
	v_cmp_eq_u32_e32 vcc_lo, 0, v3
	s_delay_alu instid0(VALU_DEP_3) | instskip(NEXT) | instid1(VALU_DEP_3)
	v_add_f32_e32 v6, v4, v6
	v_add3_u32 v5, v5, v3, v8
	s_delay_alu instid0(VALU_DEP_2)
	v_cndmask_b32_e32 v6, v4, v6, vcc_lo
.LBB225_130:                            ; =>This Loop Header: Depth=1
                                        ;     Child Loop BB225_133 Depth 2
                                        ;       Child Loop BB225_134 Depth 3
	s_delay_alu instid0(VALU_DEP_1) | instskip(NEXT) | instid1(VALU_DEP_1)
	v_dual_mov_b32 v4, v6 :: v_dual_and_b32 v3, 0xff, v7
	v_cmp_ne_u16_e32 vcc_lo, 2, v3
	v_cndmask_b32_e64 v3, 0, 1, vcc_lo
	;;#ASMSTART
	;;#ASMEND
	s_delay_alu instid0(VALU_DEP_1)
	v_cmp_ne_u32_e32 vcc_lo, 0, v3
	v_mov_b32_e32 v3, v5
	s_cmp_lg_u32 vcc_lo, exec_lo
	s_cbranch_scc1 .LBB225_137
; %bb.131:                              ;   in Loop: Header=BB225_130 Depth=1
	v_lshlrev_b64 v[5:6], 4, v[53:54]
	s_mov_b32 s14, exec_lo
	s_delay_alu instid0(VALU_DEP_1) | instskip(NEXT) | instid1(VALU_DEP_2)
	v_add_co_u32 v55, vcc_lo, s24, v5
	v_add_co_ci_u32_e32 v56, vcc_lo, s25, v6, vcc_lo
	;;#ASMSTART
	global_load_dwordx4 v[5:8], v[55:56] off glc	
s_waitcnt vmcnt(0)
	;;#ASMEND
	v_perm_b32 v8, v6, v7, 0x70605
	v_perm_b32 v76, v6, v7, 0x1000706
	;; [unrolled: 1-line block ×3, first 2 shown]
	v_and_b32_e32 v81, 0xff, v7
	s_delay_alu instid0(VALU_DEP_4) | instskip(NEXT) | instid1(VALU_DEP_4)
	v_lshlrev_b32_e32 v8, 8, v8
	v_lshlrev_b32_e32 v76, 16, v76
	s_delay_alu instid0(VALU_DEP_4) | instskip(SKIP_1) | instid1(VALU_DEP_4)
	v_lshlrev_b32_e32 v78, 24, v77
	v_alignbit_b32 v77, v6, v5, 16
	v_perm_b32 v79, v8, v6, 0xc0c0500
	s_delay_alu instid0(VALU_DEP_4) | instskip(SKIP_2) | instid1(VALU_DEP_3)
	v_and_b32_e32 v80, 0xff0000, v76
	v_alignbit_b32 v8, v6, v5, 8
	v_alignbit_b32 v76, v6, v5, 24
	v_or3_b32 v6, v79, v80, v78
	v_cmpx_eq_u16_e32 0, v81
	s_cbranch_execz .LBB225_129
; %bb.132:                              ;   in Loop: Header=BB225_130 Depth=1
	s_mov_b32 s27, 1
	s_mov_b32 s26, 0
	.p2align	6
.LBB225_133:                            ;   Parent Loop BB225_130 Depth=1
                                        ; =>  This Loop Header: Depth=2
                                        ;       Child Loop BB225_134 Depth 3
	s_max_u32 s28, s27, 1
.LBB225_134:                            ;   Parent Loop BB225_130 Depth=1
                                        ;     Parent Loop BB225_133 Depth=2
                                        ; =>    This Inner Loop Header: Depth=3
	s_delay_alu instid0(SALU_CYCLE_1)
	s_add_i32 s28, s28, -1
	s_sleep 1
	s_cmp_eq_u32 s28, 0
	s_cbranch_scc0 .LBB225_134
; %bb.135:                              ;   in Loop: Header=BB225_133 Depth=2
	;;#ASMSTART
	global_load_dwordx4 v[5:8], v[55:56] off glc	
s_waitcnt vmcnt(0)
	;;#ASMEND
	v_and_b32_e32 v8, 0xff, v7
	s_cmp_lt_u32 s27, 32
	s_cselect_b32 s28, -1, 0
	s_delay_alu instid0(SALU_CYCLE_1) | instskip(NEXT) | instid1(VALU_DEP_1)
	s_cmp_lg_u32 s28, 0
	v_cmp_ne_u16_e32 vcc_lo, 0, v8
	s_addc_u32 s27, s27, 0
	s_or_b32 s26, vcc_lo, s26
	s_delay_alu instid0(SALU_CYCLE_1)
	s_and_not1_b32 exec_lo, exec_lo, s26
	s_cbranch_execnz .LBB225_133
; %bb.136:                              ;   in Loop: Header=BB225_130 Depth=1
	s_or_b32 exec_lo, exec_lo, s26
	v_perm_b32 v8, v6, v7, 0x70605
	v_perm_b32 v55, v6, v7, 0x1000706
	;; [unrolled: 1-line block ×3, first 2 shown]
	v_alignbit_b32 v77, v6, v5, 16
	v_alignbit_b32 v76, v6, v5, 24
	v_lshlrev_b32_e32 v8, 8, v8
	v_lshlrev_b32_e32 v55, 16, v55
	v_lshlrev_b32_e32 v56, 24, v56
	s_delay_alu instid0(VALU_DEP_3) | instskip(NEXT) | instid1(VALU_DEP_3)
	v_perm_b32 v78, v8, v6, 0xc0c0500
	v_and_b32_e32 v55, 0xff0000, v55
	v_alignbit_b32 v8, v6, v5, 8
	s_delay_alu instid0(VALU_DEP_2)
	v_or3_b32 v6, v78, v55, v56
	s_branch .LBB225_129
.LBB225_137:                            ;   in Loop: Header=BB225_130 Depth=1
                                        ; implicit-def: $vgpr6
                                        ; implicit-def: $vgpr5
                                        ; implicit-def: $vgpr7
	s_cbranch_execz .LBB225_130
; %bb.138:
	s_and_saveexec_b32 s14, s13
	s_cbranch_execz .LBB225_140
; %bb.139:
	v_dual_add_f32 v2, s21, v4 :: v_dual_add_nc_u32 v5, v3, v1
	v_cmp_eq_u32_e32 vcc_lo, 0, v1
	s_mov_b32 s27, 0
	s_add_i32 s26, s15, 32
	v_mov_b32_e32 v8, 0
	s_lshl_b64 s[26:27], s[26:27], 4
	v_cndmask_b32_e32 v2, s21, v2, vcc_lo
	s_add_u32 s26, s24, s26
	s_addc_u32 s27, s25, s27
	s_delay_alu instid0(VALU_DEP_1) | instskip(SKIP_1) | instid1(VALU_DEP_1)
	v_and_b32_e32 v6, 0xff000000, v2
	v_and_b32_e32 v7, 0xff0000, v2
	v_or_b32_e32 v6, v7, v6
	v_mov_b32_e32 v7, 2
	v_and_b32_e32 v53, 0xff00, v2
	v_and_b32_e32 v2, 0xff, v2
	s_delay_alu instid0(VALU_DEP_1)
	v_or3_b32 v6, v6, v53, v2
	v_mov_b32_e32 v2, s21
	v_dual_mov_b32 v54, s27 :: v_dual_mov_b32 v53, s26
	;;#ASMSTART
	global_store_dwordx4 v[53:54], v[5:8] off	
s_waitcnt vmcnt(0)
	;;#ASMEND
	ds_store_b128 v8, v[1:4] offset:2048
.LBB225_140:
	s_or_b32 exec_lo, exec_lo, s14
	v_cmp_eq_u32_e32 vcc_lo, 0, v0
	s_and_b32 exec_lo, exec_lo, vcc_lo
	s_cbranch_execz .LBB225_142
; %bb.141:
	v_mov_b32_e32 v1, 0
	ds_store_b64 v1, v[3:4] offset:2120
.LBB225_142:
	s_or_b32 exec_lo, exec_lo, s17
	s_waitcnt lgkmcnt(1)
	v_cndmask_b32_e64 v7, v60, v51, s13
	s_waitcnt lgkmcnt(0)
	v_cndmask_b32_e64 v2, v61, v52, s13
	s_barrier
	buffer_gl0_inv
	v_cmp_eq_u32_e32 vcc_lo, 0, v7
	v_mov_b32_e32 v1, 0
	v_cmp_eq_u32_e64 s13, 0, v49
	ds_load_b64 v[5:6], v1 offset:2120
	s_waitcnt lgkmcnt(0)
	s_barrier
	buffer_gl0_inv
	v_add_f32_e32 v3, v2, v6
	s_delay_alu instid0(VALU_DEP_1) | instskip(SKIP_1) | instid1(VALU_DEP_2)
	v_cndmask_b32_e32 v2, v2, v3, vcc_lo
	v_cmp_eq_u32_e32 vcc_lo, 0, v0
	v_cndmask_b32_e32 v69, v2, v6, vcc_lo
	s_delay_alu instid0(VALU_DEP_1) | instskip(NEXT) | instid1(VALU_DEP_1)
	v_add_f32_e32 v2, v47, v69
	v_cndmask_b32_e64 v68, v47, v2, s13
	s_delay_alu instid0(VALU_DEP_1) | instskip(NEXT) | instid1(VALU_DEP_1)
	v_add_f32_e32 v2, v48, v68
	v_cndmask_b32_e64 v67, v48, v2, s12
	;; [unrolled: 3-line block ×11, first 2 shown]
	ds_load_b128 v[1:4], v1 offset:2048
	v_add_f32_e32 v6, v38, v53
	s_delay_alu instid0(VALU_DEP_1) | instskip(SKIP_2) | instid1(VALU_DEP_2)
	v_cndmask_b32_e64 v54, v38, v6, s2
	s_waitcnt lgkmcnt(0)
	v_add_f32_e32 v4, v4, v2
	v_add_f32_e32 v6, v33, v54
	s_delay_alu instid0(VALU_DEP_1) | instskip(SKIP_2) | instid1(VALU_DEP_2)
	v_cndmask_b32_e64 v52, v33, v6, s1
	v_cndmask_b32_e64 v6, v7, 0, vcc_lo
	v_cmp_eq_u32_e32 vcc_lo, 0, v1
	v_dual_add_f32 v7, v34, v52 :: v_dual_add_nc_u32 v6, v5, v6
	v_cndmask_b32_e32 v51, v2, v4, vcc_lo
	v_mov_b32_e32 v5, v3
	s_delay_alu instid0(VALU_DEP_3) | instskip(NEXT) | instid1(VALU_DEP_4)
	v_cndmask_b32_e64 v60, v34, v7, s0
	v_mov_b32_e32 v4, v6
	s_branch .LBB225_155
.LBB225_143:
                                        ; implicit-def: $vgpr1
                                        ; implicit-def: $vgpr51
                                        ; implicit-def: $vgpr5
                                        ; implicit-def: $vgpr60
                                        ; implicit-def: $vgpr52
                                        ; implicit-def: $vgpr54
                                        ; implicit-def: $vgpr53
                                        ; implicit-def: $vgpr55
                                        ; implicit-def: $vgpr56
                                        ; implicit-def: $vgpr61
                                        ; implicit-def: $vgpr62
                                        ; implicit-def: $vgpr63
                                        ; implicit-def: $vgpr64
                                        ; implicit-def: $vgpr65
                                        ; implicit-def: $vgpr66
                                        ; implicit-def: $vgpr67
                                        ; implicit-def: $vgpr68
                                        ; implicit-def: $vgpr69
	s_cbranch_execz .LBB225_155
; %bb.144:
	s_and_b32 s0, s16, exec_lo
	v_mov_b32_e32 v5, v47
	s_cselect_b32 s1, 0, s35
	s_cselect_b32 s0, 0, s34
	s_delay_alu instid0(SALU_CYCLE_1)
	s_cmp_eq_u64 s[0:1], 0
	s_cbranch_scc1 .LBB225_146
; %bb.145:
	v_mov_b32_e32 v1, 0
	global_load_b32 v5, v1, s[0:1]
.LBB225_146:
	v_cmp_eq_u32_e64 s0, 0, v50
	v_cmp_eq_u32_e64 s1, 0, v35
	v_add3_u32 v2, v73, v32, v29
	v_cmp_eq_u32_e64 s2, 0, v36
	v_cmp_eq_u32_e64 s3, 0, v31
	v_cndmask_b32_e64 v1, v48, v74, s0
	v_cmp_eq_u32_e64 s4, 0, v32
	v_add3_u32 v2, v2, v30, v27
	v_cmp_eq_u32_e64 s5, 0, v29
	v_cmp_eq_u32_e64 s6, 0, v30
	v_dual_add_f32 v1, v45, v1 :: v_dual_and_b32 v4, 15, v70
	s_delay_alu instid0(VALU_DEP_4) | instskip(SKIP_2) | instid1(VALU_DEP_4)
	v_add3_u32 v2, v2, v28, v25
	v_cmp_eq_u32_e64 s7, 0, v27
	v_cmp_eq_u32_e64 s9, 0, v28
	v_cndmask_b32_e64 v1, v45, v1, s1
	v_cmp_eq_u32_e64 s11, 0, v25
	v_add3_u32 v2, v2, v26, v23
	v_cmp_eq_u32_e64 s8, 0, v26
	v_cmp_eq_u32_e64 s10, 0, v23
	v_add_f32_e32 v1, v46, v1
	v_cmp_eq_u32_e32 vcc_lo, 0, v24
	v_add3_u32 v2, v2, v24, v58
	v_cmp_eq_u32_e64 s12, 0, v58
	v_and_b32_e32 v7, 16, v70
	v_cndmask_b32_e64 v1, v46, v1, s2
	s_delay_alu instid0(VALU_DEP_4) | instskip(NEXT) | instid1(VALU_DEP_3)
	v_mov_b32_dpp v6, v2 row_shr:1 row_mask:0xf bank_mask:0xf
	v_cmp_eq_u32_e64 s13, 0, v7
	s_delay_alu instid0(VALU_DEP_3) | instskip(NEXT) | instid1(VALU_DEP_1)
	v_add_f32_e32 v1, v43, v1
	v_cndmask_b32_e64 v1, v43, v1, s3
	s_delay_alu instid0(VALU_DEP_1) | instskip(NEXT) | instid1(VALU_DEP_1)
	v_add_f32_e32 v1, v44, v1
	v_cndmask_b32_e64 v1, v44, v1, s4
	s_delay_alu instid0(VALU_DEP_1) | instskip(NEXT) | instid1(VALU_DEP_1)
	;; [unrolled: 3-line block ×9, first 2 shown]
	v_add_f32_e32 v1, v34, v1
	v_cndmask_b32_e32 v1, v34, v1, vcc_lo
	s_delay_alu instid0(VALU_DEP_1) | instskip(NEXT) | instid1(VALU_DEP_1)
	v_add_f32_e32 v1, v59, v1
	v_cndmask_b32_e64 v1, v59, v1, s12
	v_cmp_eq_u32_e64 s12, 0, v2
	s_waitcnt lgkmcnt(0)
	s_delay_alu instid0(VALU_DEP_2) | instskip(NEXT) | instid1(VALU_DEP_1)
	v_mov_b32_dpp v3, v1 row_shr:1 row_mask:0xf bank_mask:0xf
	v_add_f32_e32 v3, v1, v3
	s_delay_alu instid0(VALU_DEP_1) | instskip(SKIP_1) | instid1(VALU_DEP_1)
	v_cndmask_b32_e64 v3, v1, v3, s12
	v_cmp_eq_u32_e64 s12, 0, v4
	v_cndmask_b32_e64 v6, v6, 0, s12
	s_delay_alu instid0(VALU_DEP_3) | instskip(NEXT) | instid1(VALU_DEP_2)
	v_cndmask_b32_e64 v1, v3, v1, s12
	v_add_nc_u32_e32 v2, v6, v2
	s_delay_alu instid0(VALU_DEP_2) | instskip(NEXT) | instid1(VALU_DEP_2)
	v_mov_b32_dpp v3, v1 row_shr:2 row_mask:0xf bank_mask:0xf
	v_cmp_eq_u32_e64 s12, 0, v2
	s_delay_alu instid0(VALU_DEP_2) | instskip(SKIP_1) | instid1(VALU_DEP_2)
	v_add_f32_e32 v3, v1, v3
	v_mov_b32_dpp v6, v2 row_shr:2 row_mask:0xf bank_mask:0xf
	v_cndmask_b32_e64 v3, v1, v3, s12
	v_cmp_lt_u32_e64 s12, 1, v4
	s_delay_alu instid0(VALU_DEP_1) | instskip(NEXT) | instid1(VALU_DEP_4)
	v_cndmask_b32_e64 v1, v1, v3, s12
	v_cndmask_b32_e64 v3, 0, v6, s12
	s_delay_alu instid0(VALU_DEP_2) | instskip(NEXT) | instid1(VALU_DEP_1)
	v_mov_b32_dpp v6, v1 row_shr:4 row_mask:0xf bank_mask:0xf
	v_dual_add_f32 v3, v1, v6 :: v_dual_add_nc_u32 v2, v2, v3
	s_delay_alu instid0(VALU_DEP_1) | instskip(SKIP_1) | instid1(VALU_DEP_2)
	v_cmp_eq_u32_e64 s12, 0, v2
	v_mov_b32_dpp v6, v2 row_shr:4 row_mask:0xf bank_mask:0xf
	v_cndmask_b32_e64 v3, v1, v3, s12
	v_cmp_lt_u32_e64 s12, 3, v4
	s_delay_alu instid0(VALU_DEP_1) | instskip(NEXT) | instid1(VALU_DEP_4)
	v_cndmask_b32_e64 v1, v1, v3, s12
	v_cndmask_b32_e64 v3, 0, v6, s12
	s_delay_alu instid0(VALU_DEP_2) | instskip(NEXT) | instid1(VALU_DEP_2)
	v_mov_b32_dpp v6, v1 row_shr:8 row_mask:0xf bank_mask:0xf
	v_add_nc_u32_e32 v2, v3, v2
	s_delay_alu instid0(VALU_DEP_2) | instskip(NEXT) | instid1(VALU_DEP_2)
	v_add_f32_e32 v3, v1, v6
	v_cmp_eq_u32_e64 s12, 0, v2
	v_mov_b32_dpp v6, v2 row_shr:8 row_mask:0xf bank_mask:0xf
	s_delay_alu instid0(VALU_DEP_2) | instskip(SKIP_1) | instid1(VALU_DEP_1)
	v_cndmask_b32_e64 v3, v1, v3, s12
	v_cmp_lt_u32_e64 s12, 7, v4
	v_cndmask_b32_e64 v3, v1, v3, s12
	s_delay_alu instid0(VALU_DEP_4) | instskip(SKIP_1) | instid1(VALU_DEP_2)
	v_cndmask_b32_e64 v1, 0, v6, s12
	v_bfe_i32 v6, v70, 4, 1
	v_add_nc_u32_e32 v1, v1, v2
	ds_swizzle_b32 v2, v3 offset:swizzle(BROADCAST,32,15)
	ds_swizzle_b32 v4, v1 offset:swizzle(BROADCAST,32,15)
	v_cmp_eq_u32_e64 s12, 0, v1
	s_waitcnt lgkmcnt(1)
	v_add_f32_e32 v2, v3, v2
	s_waitcnt lgkmcnt(0)
	v_and_b32_e32 v4, v6, v4
	s_delay_alu instid0(VALU_DEP_2) | instskip(NEXT) | instid1(VALU_DEP_2)
	v_cndmask_b32_e64 v2, v3, v2, s12
	v_add_nc_u32_e32 v1, v4, v1
	s_delay_alu instid0(VALU_DEP_2)
	v_cndmask_b32_e64 v2, v2, v3, s13
	s_mov_b32 s13, exec_lo
	v_cmpx_eq_u32_e64 v72, v0
	s_cbranch_execz .LBB225_148
; %bb.147:
	v_lshlrev_b32_e32 v3, 3, v71
	ds_store_b64 v3, v[1:2] offset:2064
.LBB225_148:
	s_or_b32 exec_lo, exec_lo, s13
	s_delay_alu instid0(SALU_CYCLE_1)
	s_mov_b32 s14, exec_lo
	s_waitcnt vmcnt(0) lgkmcnt(0)
	s_barrier
	buffer_gl0_inv
	v_cmpx_gt_u32_e32 8, v0
	s_cbranch_execz .LBB225_150
; %bb.149:
	v_lshlrev_b32_e32 v6, 3, v0
	v_and_b32_e32 v8, 7, v70
	ds_load_b64 v[3:4], v6 offset:2064
	s_waitcnt lgkmcnt(0)
	v_mov_b32_dpp v7, v4 row_shr:1 row_mask:0xf bank_mask:0xf
	v_cmp_eq_u32_e64 s12, 0, v3
	v_mov_b32_dpp v51, v3 row_shr:1 row_mask:0xf bank_mask:0xf
	s_delay_alu instid0(VALU_DEP_3) | instskip(NEXT) | instid1(VALU_DEP_1)
	v_add_f32_e32 v7, v4, v7
	v_cndmask_b32_e64 v7, v4, v7, s12
	v_cmp_eq_u32_e64 s12, 0, v8
	s_delay_alu instid0(VALU_DEP_1) | instskip(NEXT) | instid1(VALU_DEP_3)
	v_cndmask_b32_e64 v51, v51, 0, s12
	v_cndmask_b32_e64 v4, v7, v4, s12
	s_delay_alu instid0(VALU_DEP_2) | instskip(NEXT) | instid1(VALU_DEP_2)
	v_add_nc_u32_e32 v3, v51, v3
	v_mov_b32_dpp v7, v4 row_shr:2 row_mask:0xf bank_mask:0xf
	s_delay_alu instid0(VALU_DEP_2) | instskip(NEXT) | instid1(VALU_DEP_2)
	v_cmp_eq_u32_e64 s12, 0, v3
	v_add_f32_e32 v7, v4, v7
	v_mov_b32_dpp v51, v3 row_shr:2 row_mask:0xf bank_mask:0xf
	s_delay_alu instid0(VALU_DEP_2) | instskip(SKIP_1) | instid1(VALU_DEP_1)
	v_cndmask_b32_e64 v7, v4, v7, s12
	v_cmp_lt_u32_e64 s12, 1, v8
	v_cndmask_b32_e64 v4, v4, v7, s12
	s_delay_alu instid0(VALU_DEP_4) | instskip(SKIP_1) | instid1(VALU_DEP_3)
	v_cndmask_b32_e64 v7, 0, v51, s12
	v_cmp_lt_u32_e64 s12, 3, v8
	v_mov_b32_dpp v51, v4 row_shr:4 row_mask:0xf bank_mask:0xf
	s_delay_alu instid0(VALU_DEP_3) | instskip(NEXT) | instid1(VALU_DEP_2)
	v_add_nc_u32_e32 v3, v7, v3
	v_add_f32_e32 v8, v4, v51
	s_delay_alu instid0(VALU_DEP_2) | instskip(SKIP_1) | instid1(VALU_DEP_2)
	v_mov_b32_dpp v7, v3 row_shr:4 row_mask:0xf bank_mask:0xf
	v_cmp_eq_u32_e64 s13, 0, v3
	v_cndmask_b32_e64 v7, 0, v7, s12
	s_delay_alu instid0(VALU_DEP_2) | instskip(NEXT) | instid1(SALU_CYCLE_1)
	s_and_b32 s12, s12, s13
	v_cndmask_b32_e64 v4, v4, v8, s12
	s_delay_alu instid0(VALU_DEP_2)
	v_add_nc_u32_e32 v3, v7, v3
	ds_store_b64 v6, v[3:4] offset:2064
.LBB225_150:
	s_or_b32 exec_lo, exec_lo, s14
	v_dual_mov_b32 v6, 0 :: v_dual_mov_b32 v3, 0
	v_mov_b32_e32 v7, v5
	s_mov_b32 s13, exec_lo
	s_waitcnt lgkmcnt(0)
	s_barrier
	buffer_gl0_inv
	v_cmpx_lt_u32_e32 31, v0
	s_cbranch_execz .LBB225_152
; %bb.151:
	v_lshlrev_b32_e32 v3, 3, v71
	ds_load_b64 v[3:4], v3 offset:2056
	s_waitcnt lgkmcnt(0)
	v_add_f32_e32 v7, v5, v4
	v_cmp_eq_u32_e64 s12, 0, v3
	s_delay_alu instid0(VALU_DEP_1)
	v_cndmask_b32_e64 v7, v4, v7, s12
.LBB225_152:
	s_or_b32 exec_lo, exec_lo, s13
	v_add_nc_u32_e32 v4, -1, v70
	s_delay_alu instid0(VALU_DEP_2) | instskip(SKIP_1) | instid1(VALU_DEP_3)
	v_dual_add_f32 v8, v2, v7 :: v_dual_add_nc_u32 v51, v3, v1
	v_cmp_eq_u32_e64 s13, 0, v49
	v_cmp_gt_i32_e64 s12, 0, v4
	s_delay_alu instid0(VALU_DEP_1) | instskip(SKIP_1) | instid1(VALU_DEP_2)
	v_cndmask_b32_e64 v4, v4, v70, s12
	v_cmp_eq_u32_e64 s12, 0, v1
	v_lshlrev_b32_e32 v4, 2, v4
	s_delay_alu instid0(VALU_DEP_2)
	v_cndmask_b32_e64 v1, v2, v8, s12
	v_cmp_eq_u32_e64 s12, 0, v70
	ds_bpermute_b32 v2, v4, v51
	ds_bpermute_b32 v1, v4, v1
	s_waitcnt lgkmcnt(1)
	v_cndmask_b32_e64 v4, v2, v3, s12
	s_waitcnt lgkmcnt(0)
	v_cndmask_b32_e64 v69, v1, v7, s12
	v_cmp_eq_u32_e64 s12, 0, v0
	s_delay_alu instid0(VALU_DEP_1) | instskip(NEXT) | instid1(VALU_DEP_1)
	v_cndmask_b32_e64 v1, v69, v5, s12
	v_add_f32_e32 v1, v47, v1
	s_delay_alu instid0(VALU_DEP_1) | instskip(NEXT) | instid1(VALU_DEP_1)
	v_cndmask_b32_e64 v68, v47, v1, s13
	v_add_f32_e32 v1, v48, v68
	;; [unrolled: 3-line block ×11, first 2 shown]
	s_delay_alu instid0(VALU_DEP_1) | instskip(SKIP_2) | instid1(VALU_DEP_1)
	v_cndmask_b32_e64 v53, v37, v1, s11
	ds_load_b64 v[1:2], v6 offset:2120
	v_add_f32_e32 v3, v38, v53
	v_cndmask_b32_e64 v54, v38, v3, s8
	s_delay_alu instid0(VALU_DEP_1) | instskip(NEXT) | instid1(VALU_DEP_1)
	v_add_f32_e32 v3, v33, v54
	v_cndmask_b32_e64 v52, v33, v3, s10
	s_waitcnt lgkmcnt(0)
	v_add_f32_e32 v3, v5, v2
	v_cmp_eq_u32_e64 s0, 0, v1
	s_delay_alu instid0(VALU_DEP_3) | instskip(NEXT) | instid1(VALU_DEP_2)
	v_add_f32_e32 v6, v34, v52
	v_cndmask_b32_e64 v51, v2, v3, s0
	s_and_saveexec_b32 s0, s12
	s_cbranch_execz .LBB225_154
; %bb.153:
	s_delay_alu instid0(VALU_DEP_1)
	v_and_b32_e32 v2, 0xff000000, v51
	v_dual_mov_b32 v4, 0 :: v_dual_and_b32 v3, 0xff0000, v51
	s_add_u32 s2, s24, 0x200
	v_and_b32_e32 v7, 0xff00, v51
	s_addc_u32 s3, s25, 0
	v_and_b32_e32 v8, 0xff, v51
	v_or_b32_e32 v2, v3, v2
	v_mov_b32_e32 v3, 2
	v_mov_b32_e32 v69, v5
	s_delay_alu instid0(VALU_DEP_3)
	v_or3_b32 v2, v2, v7, v8
	v_dual_mov_b32 v8, s3 :: v_dual_mov_b32 v7, s2
	;;#ASMSTART
	global_store_dwordx4 v[7:8], v[1:4] off	
s_waitcnt vmcnt(0)
	;;#ASMEND
.LBB225_154:
	s_or_b32 exec_lo, exec_lo, s0
	v_dual_cndmask_b32 v60, v34, v6 :: v_dual_mov_b32 v5, 0
.LBB225_155:
	v_mov_b32_e32 v7, 0
	s_and_b32 s0, s16, exec_lo
	v_mov_b32_e32 v8, 0
	s_cselect_b32 s1, 0, s43
	s_cselect_b32 s0, 0, s42
	s_waitcnt lgkmcnt(0)
	s_cmp_eq_u64 s[0:1], 0
	s_barrier
	buffer_gl0_inv
	s_cbranch_scc1 .LBB225_157
; %bb.156:
	v_mov_b32_e32 v2, 0
	global_load_b64 v[7:8], v2, s[0:1]
.LBB225_157:
	v_cmp_eq_u32_e32 vcc_lo, 0, v49
	v_add_nc_u32_e32 v47, v4, v49
	v_cmp_ne_u32_e64 s12, 0, v49
	v_cmp_ne_u32_e64 s11, 0, v50
	;; [unrolled: 1-line block ×3, first 2 shown]
	v_cndmask_b32_e64 v2, 1, 2, vcc_lo
	v_cmp_eq_u32_e32 vcc_lo, 0, v50
	v_cmp_ne_u32_e64 s8, 0, v36
	v_cmp_ne_u32_e64 s14, 0, v31
	;; [unrolled: 1-line block ×4, first 2 shown]
	v_cndmask_b32_e64 v3, 1, 2, vcc_lo
	v_cmp_eq_u32_e32 vcc_lo, 0, v35
	v_cmp_ne_u32_e64 s7, 0, v30
	v_cmp_ne_u32_e64 s6, 0, v27
	;; [unrolled: 1-line block ×3, first 2 shown]
	v_and_b32_e32 v2, v3, v2
	v_cndmask_b32_e64 v6, 1, 2, vcc_lo
	v_cmp_eq_u32_e32 vcc_lo, 0, v36
	v_cmp_ne_u32_e64 s4, 0, v25
	v_cmp_ne_u32_e64 s3, 0, v26
	;; [unrolled: 1-line block ×3, first 2 shown]
	v_and_b32_e32 v6, v2, v6
	v_cndmask_b32_e64 v33, 1, 2, vcc_lo
	v_cmp_eq_u32_e32 vcc_lo, 0, v31
	s_waitcnt vmcnt(0)
	v_lshlrev_b64 v[2:3], 2, v[7:8]
	v_cmp_ne_u32_e64 s1, 0, v24
	v_cmp_ne_u32_e64 s0, 0, v58
	v_dual_mov_b32 v6, 0 :: v_dual_and_b32 v33, v6, v33
	v_cndmask_b32_e64 v34, 1, 2, vcc_lo
	v_cmp_eq_u32_e32 vcc_lo, 0, v32
	v_add_nc_u32_e32 v59, v47, v50
	s_mov_b32 s16, -1
	s_delay_alu instid0(VALU_DEP_3) | instskip(SKIP_3) | instid1(VALU_DEP_3)
	v_and_b32_e32 v33, v33, v34
	v_cndmask_b32_e64 v37, 1, 2, vcc_lo
	v_cmp_eq_u32_e32 vcc_lo, 0, v29
	v_add_nc_u32_e32 v48, v59, v35
	v_and_b32_e32 v33, v33, v37
	v_cndmask_b32_e64 v34, 1, 2, vcc_lo
	v_cmp_eq_u32_e32 vcc_lo, 0, v30
	s_delay_alu instid0(VALU_DEP_4) | instskip(NEXT) | instid1(VALU_DEP_3)
	v_add_nc_u32_e32 v46, v48, v36
	v_and_b32_e32 v33, v33, v34
	v_cndmask_b32_e64 v37, 1, 2, vcc_lo
	v_cmp_eq_u32_e32 vcc_lo, 0, v27
	s_delay_alu instid0(VALU_DEP_4) | instskip(NEXT) | instid1(VALU_DEP_3)
	;; [unrolled: 5-line block ×4, first 2 shown]
	v_add_nc_u32_e32 v43, v44, v29
	v_and_b32_e32 v37, v33, v37
	v_cndmask_b32_e64 v38, 1, 2, vcc_lo
	v_cmp_eq_u32_e32 vcc_lo, 0, v26
	s_delay_alu instid0(VALU_DEP_4) | instskip(SKIP_1) | instid1(VALU_DEP_4)
	v_add_nc_u32_e32 v42, v43, v30
	v_lshlrev_b64 v[33:34], 2, v[5:6]
	v_and_b32_e32 v6, v37, v38
	v_cndmask_b32_e64 v70, 1, 2, vcc_lo
	v_cmp_eq_u32_e32 vcc_lo, 0, v23
	v_add_nc_u32_e32 v41, v42, v27
	s_delay_alu instid0(VALU_DEP_3) | instskip(SKIP_4) | instid1(VALU_DEP_3)
	v_and_b32_e32 v74, v6, v70
	v_cndmask_b32_e64 v72, 1, 2, vcc_lo
	v_add_co_u32 v71, vcc_lo, s22, v2
	v_add_co_ci_u32_e32 v73, vcc_lo, s23, v3, vcc_lo
	v_add_nc_u32_e32 v40, v41, v28
	v_add_co_u32 v70, vcc_lo, v71, v33
	s_delay_alu instid0(VALU_DEP_3) | instskip(SKIP_1) | instid1(VALU_DEP_4)
	v_add_co_ci_u32_e32 v71, vcc_lo, v73, v34, vcc_lo
	v_cmp_eq_u32_e32 vcc_lo, 0, v24
	v_add_nc_u32_e32 v39, v40, v25
	v_and_b32_e32 v72, v74, v72
	v_cndmask_b32_e64 v73, 1, 2, vcc_lo
	v_cmp_eq_u32_e32 vcc_lo, 0, v58
	s_delay_alu instid0(VALU_DEP_4) | instskip(NEXT) | instid1(VALU_DEP_3)
	v_add_nc_u32_e32 v38, v39, v26
	v_and_b32_e32 v72, v72, v73
	v_cndmask_b32_e64 v73, 1, 2, vcc_lo
	s_delay_alu instid0(VALU_DEP_3) | instskip(SKIP_1) | instid1(VALU_DEP_3)
	v_add_nc_u32_e32 v37, v38, v23
	v_cmp_gt_u32_e32 vcc_lo, 0x100, v1
	v_and_b32_e32 v72, v72, v73
	s_delay_alu instid0(VALU_DEP_3) | instskip(NEXT) | instid1(VALU_DEP_2)
	v_add_nc_u32_e32 v6, v37, v24
	v_cmp_gt_i16_e64 s15, 2, v72
	s_cbranch_vccz .LBB225_164
; %bb.158:
	s_delay_alu instid0(VALU_DEP_1)
	s_and_saveexec_b32 s16, s15
	s_cbranch_execz .LBB225_163
; %bb.159:
	s_mov_b32 s17, 0
	s_mov_b32 s15, exec_lo
	v_cmpx_ne_u16_e32 1, v72
	s_xor_b32 s15, exec_lo, s15
	s_cbranch_execnz .LBB225_229
; %bb.160:
	s_and_not1_saveexec_b32 s15, s15
	s_cbranch_execnz .LBB225_245
.LBB225_161:
	s_or_b32 exec_lo, exec_lo, s15
	s_delay_alu instid0(SALU_CYCLE_1)
	s_and_b32 exec_lo, exec_lo, s17
	s_cbranch_execz .LBB225_163
.LBB225_162:
	v_sub_nc_u32_e32 v73, v6, v5
	v_mov_b32_e32 v74, 0
	s_delay_alu instid0(VALU_DEP_1) | instskip(NEXT) | instid1(VALU_DEP_1)
	v_lshlrev_b64 v[73:74], 2, v[73:74]
	v_add_co_u32 v73, vcc_lo, v70, v73
	s_delay_alu instid0(VALU_DEP_2)
	v_add_co_ci_u32_e32 v74, vcc_lo, v71, v74, vcc_lo
	global_store_b32 v[73:74], v57, off
.LBB225_163:
	s_or_b32 exec_lo, exec_lo, s16
	s_mov_b32 s16, 0
.LBB225_164:
	s_delay_alu instid0(SALU_CYCLE_1)
	s_and_b32 vcc_lo, exec_lo, s16
	s_cbranch_vccz .LBB225_174
; %bb.165:
	s_mov_b32 s15, exec_lo
	v_cmpx_gt_i16_e32 2, v72
	s_cbranch_execz .LBB225_170
; %bb.166:
	s_mov_b32 s17, 0
	s_mov_b32 s16, exec_lo
	v_cmpx_ne_u16_e32 1, v72
	s_xor_b32 s16, exec_lo, s16
	s_cbranch_execnz .LBB225_246
; %bb.167:
	s_and_not1_saveexec_b32 s0, s16
	s_cbranch_execnz .LBB225_262
.LBB225_168:
	s_or_b32 exec_lo, exec_lo, s0
	s_delay_alu instid0(SALU_CYCLE_1)
	s_and_b32 exec_lo, exec_lo, s17
	s_cbranch_execz .LBB225_170
.LBB225_169:
	v_sub_nc_u32_e32 v9, v6, v5
	s_delay_alu instid0(VALU_DEP_1)
	v_lshlrev_b32_e32 v9, 2, v9
	ds_store_b32 v9, v57
.LBB225_170:
	s_or_b32 exec_lo, exec_lo, s15
	s_delay_alu instid0(SALU_CYCLE_1)
	s_mov_b32 s1, exec_lo
	s_waitcnt lgkmcnt(0)
	s_waitcnt_vscnt null, 0x0
	s_barrier
	buffer_gl0_inv
	v_cmpx_lt_u32_e64 v0, v1
	s_cbranch_execz .LBB225_173
; %bb.171:
	v_dual_mov_b32 v10, 0 :: v_dual_lshlrev_b32 v11, 2, v0
	v_mov_b32_e32 v9, v0
	s_mov_b32 s2, 0
	.p2align	6
.LBB225_172:                            ; =>This Inner Loop Header: Depth=1
	ds_load_b32 v14, v11
	v_lshlrev_b64 v[12:13], 2, v[9:10]
	v_add_nc_u32_e32 v9, 0x100, v9
	v_add_nc_u32_e32 v11, 0x400, v11
	s_delay_alu instid0(VALU_DEP_2) | instskip(NEXT) | instid1(VALU_DEP_4)
	v_cmp_ge_u32_e32 vcc_lo, v9, v1
	v_add_co_u32 v12, s0, v70, v12
	s_delay_alu instid0(VALU_DEP_1)
	v_add_co_ci_u32_e64 v13, s0, v71, v13, s0
	s_or_b32 s2, vcc_lo, s2
	s_waitcnt lgkmcnt(0)
	global_store_b32 v[12:13], v14, off
	s_and_not1_b32 exec_lo, exec_lo, s2
	s_cbranch_execnz .LBB225_172
.LBB225_173:
	s_or_b32 exec_lo, exec_lo, s1
.LBB225_174:
	s_cmpk_lg_i32 s19, 0xf00
	v_cmp_eq_u32_e32 vcc_lo, 0, v0
	s_cselect_b32 s0, -1, 0
	v_cndmask_b32_e64 v14, 0, 1, s20
	s_and_b32 s0, s18, s0
	v_mad_i32_i24 v11, v0, -15, s19
	v_cndmask_b32_e64 v10, 0, 1, s0
	s_mul_hi_u32 s0, s19, 0x88888889
	s_and_b32 s1, vcc_lo, s20
	s_lshr_b32 s0, s0, 3
	v_sub_nc_u32_e32 v9, v1, v14
	v_cndmask_b32_e64 v12, v49, 0, s1
	v_cmp_eq_u32_e32 vcc_lo, s0, v0
	v_cmp_ne_u32_e64 s0, 0, v11
	s_mov_b32 s16, -1
	s_waitcnt_vscnt null, 0x0
	s_barrier
	s_and_b32 vcc_lo, s18, vcc_lo
	v_add_nc_u32_e32 v9, v9, v10
	v_cndmask_b32_e64 v10, 1, v12, s0
	v_cmp_ne_u32_e64 s0, 1, v11
	buffer_gl0_inv
	v_cndmask_b32_e32 v18, v12, v10, vcc_lo
	v_cndmask_b32_e64 v13, 1, v50, s0
	v_cmp_ne_u32_e64 s0, 14, v11
	s_delay_alu instid0(VALU_DEP_3) | instskip(NEXT) | instid1(VALU_DEP_2)
	v_cmp_ne_u32_e64 s14, 0, v18
	v_cndmask_b32_e64 v15, 1, v58, s0
	v_cmp_ne_u32_e64 s0, 2, v11
	s_delay_alu instid0(VALU_DEP_2) | instskip(NEXT) | instid1(VALU_DEP_2)
	v_cndmask_b32_e32 v15, v58, v15, vcc_lo
	v_cndmask_b32_e64 v16, 1, v35, s0
	v_cmp_ne_u32_e64 s0, 3, v11
	s_delay_alu instid0(VALU_DEP_2) | instskip(NEXT) | instid1(VALU_DEP_2)
	v_cndmask_b32_e32 v16, v35, v16, vcc_lo
	v_cndmask_b32_e64 v17, 1, v36, s0
	v_cmp_ne_u32_e64 s0, 4, v11
	s_delay_alu instid0(VALU_DEP_3) | instskip(NEXT) | instid1(VALU_DEP_2)
	v_cmp_ne_u32_e64 s12, 0, v16
	v_cndmask_b32_e64 v10, 1, v31, s0
	v_cmp_ne_u32_e64 s0, 5, v11
	s_delay_alu instid0(VALU_DEP_1) | instskip(SKIP_2) | instid1(VALU_DEP_3)
	v_cndmask_b32_e64 v12, 1, v32, s0
	v_cndmask_b32_e32 v19, v50, v13, vcc_lo
	v_cmp_eq_u32_e64 s0, 0, v18
	v_cndmask_b32_e32 v32, v32, v12, vcc_lo
	s_delay_alu instid0(VALU_DEP_3) | instskip(NEXT) | instid1(VALU_DEP_3)
	v_cmp_ne_u32_e64 s13, 0, v19
	v_cndmask_b32_e64 v13, 1, 2, s0
	v_cmp_eq_u32_e64 s0, 0, v19
	s_delay_alu instid0(VALU_DEP_4) | instskip(NEXT) | instid1(VALU_DEP_2)
	v_cmp_ne_u32_e64 s9, 0, v32
	v_cndmask_b32_e64 v20, 1, 2, s0
	v_cmp_ne_u32_e64 s0, 6, v11
	s_delay_alu instid0(VALU_DEP_2) | instskip(NEXT) | instid1(VALU_DEP_2)
	v_and_b32_e32 v13, v20, v13
	v_cndmask_b32_e64 v21, 1, v29, s0
	v_cmp_eq_u32_e64 s0, 0, v16
	s_delay_alu instid0(VALU_DEP_2) | instskip(NEXT) | instid1(VALU_DEP_2)
	v_cndmask_b32_e32 v21, v29, v21, vcc_lo
	v_cndmask_b32_e64 v20, 1, 2, s0
	v_cmp_ne_u32_e64 s0, 7, v11
	s_delay_alu instid0(VALU_DEP_1) | instskip(SKIP_1) | instid1(VALU_DEP_2)
	v_cndmask_b32_e64 v22, 1, v30, s0
	v_cmp_ne_u32_e64 s0, 8, v11
	v_dual_cndmask_b32 v22, v30, v22 :: v_dual_and_b32 v13, v13, v20
	v_cndmask_b32_e32 v17, v36, v17, vcc_lo
	s_delay_alu instid0(VALU_DEP_3) | instskip(NEXT) | instid1(VALU_DEP_3)
	v_cndmask_b32_e64 v35, 1, v27, s0
	v_cmp_ne_u32_e64 s7, 0, v22
	s_delay_alu instid0(VALU_DEP_3) | instskip(NEXT) | instid1(VALU_DEP_3)
	v_cmp_eq_u32_e64 s0, 0, v17
	v_cndmask_b32_e32 v27, v27, v35, vcc_lo
	s_delay_alu instid0(VALU_DEP_2) | instskip(SKIP_1) | instid1(VALU_DEP_3)
	v_cndmask_b32_e64 v20, 1, 2, s0
	v_cmp_ne_u32_e64 s0, 9, v11
	v_cmp_ne_u32_e64 s6, 0, v27
	s_delay_alu instid0(VALU_DEP_3) | instskip(NEXT) | instid1(VALU_DEP_3)
	v_dual_cndmask_b32 v31, v31, v10 :: v_dual_and_b32 v12, v13, v20
	v_cndmask_b32_e64 v10, 1, v28, s0
	v_cmp_ne_u32_e64 s11, 0, v17
	s_delay_alu instid0(VALU_DEP_3) | instskip(NEXT) | instid1(VALU_DEP_1)
	v_cmp_eq_u32_e64 s0, 0, v31
	v_cndmask_b32_e64 v13, 1, 2, s0
	v_cmp_ne_u32_e64 s0, 10, v11
	s_delay_alu instid0(VALU_DEP_2) | instskip(NEXT) | instid1(VALU_DEP_2)
	v_and_b32_e32 v12, v12, v13
	v_cndmask_b32_e64 v20, 1, v25, s0
	v_cmp_ne_u32_e64 s0, 12, v11
	v_cmp_ne_u32_e64 s10, 0, v31
	s_delay_alu instid0(VALU_DEP_3) | instskip(NEXT) | instid1(VALU_DEP_3)
	v_dual_cndmask_b32 v20, v25, v20 :: v_dual_cndmask_b32 v25, v28, v10
	v_cndmask_b32_e64 v36, 1, v23, s0
	v_cmp_eq_u32_e64 s0, 0, v32
	s_delay_alu instid0(VALU_DEP_3) | instskip(NEXT) | instid1(VALU_DEP_4)
	v_cmp_ne_u32_e64 s4, 0, v20
	v_cmp_ne_u32_e64 s5, 0, v25
	s_delay_alu instid0(VALU_DEP_4) | instskip(NEXT) | instid1(VALU_DEP_4)
	v_cndmask_b32_e32 v23, v23, v36, vcc_lo
	v_cndmask_b32_e64 v13, 1, 2, s0
	v_cmp_ne_u32_e64 s0, 13, v11
	s_delay_alu instid0(VALU_DEP_3) | instskip(NEXT) | instid1(VALU_DEP_3)
	v_cmp_ne_u32_e64 s2, 0, v23
	v_and_b32_e32 v12, v12, v13
	s_delay_alu instid0(VALU_DEP_3) | instskip(SKIP_1) | instid1(VALU_DEP_2)
	v_cndmask_b32_e64 v29, 1, v24, s0
	v_cmp_eq_u32_e64 s0, 0, v21
	v_cndmask_b32_e32 v24, v24, v29, vcc_lo
	s_delay_alu instid0(VALU_DEP_2) | instskip(SKIP_1) | instid1(VALU_DEP_3)
	v_cndmask_b32_e64 v13, 1, 2, s0
	v_cmp_ne_u32_e64 s0, 11, v11
	v_cmp_ne_u32_e64 s1, 0, v24
	s_delay_alu instid0(VALU_DEP_3) | instskip(NEXT) | instid1(VALU_DEP_3)
	v_and_b32_e32 v12, v12, v13
	v_cndmask_b32_e64 v11, 1, v26, s0
	v_cmp_eq_u32_e64 s0, 0, v22
	s_delay_alu instid0(VALU_DEP_2) | instskip(SKIP_1) | instid1(VALU_DEP_3)
	v_cndmask_b32_e32 v26, v26, v11, vcc_lo
	v_cmp_eq_u32_e32 vcc_lo, 0, v27
	v_cndmask_b32_e64 v13, 1, 2, s0
	v_cmp_ne_u32_e64 s8, 0, v21
	v_cmp_ne_u32_e64 s0, 0, v15
	;; [unrolled: 1-line block ×3, first 2 shown]
	v_cndmask_b32_e64 v11, 1, 2, vcc_lo
	v_add_co_u32 v2, vcc_lo, s36, v2
	v_add_co_ci_u32_e32 v3, vcc_lo, s37, v3, vcc_lo
	v_and_b32_e32 v10, v12, v13
	v_cmp_eq_u32_e32 vcc_lo, 0, v25
	s_delay_alu instid0(VALU_DEP_2)
	v_and_b32_e32 v12, v10, v11
	v_cndmask_b32_e64 v13, 1, 2, vcc_lo
	v_add_co_u32 v10, vcc_lo, v2, v33
	v_add_co_ci_u32_e32 v11, vcc_lo, v3, v34, vcc_lo
	v_lshlrev_b32_e32 v2, 2, v14
	v_cmp_eq_u32_e32 vcc_lo, 0, v20
	v_and_b32_e32 v3, v12, v13
	v_cndmask_b32_e64 v12, 1, 2, vcc_lo
	s_delay_alu instid0(VALU_DEP_4) | instskip(SKIP_2) | instid1(VALU_DEP_4)
	v_add_co_u32 v2, vcc_lo, v2, v10
	v_add_co_ci_u32_e32 v13, vcc_lo, 0, v11, vcc_lo
	v_cmp_eq_u32_e32 vcc_lo, 0, v26
	v_and_b32_e32 v3, v3, v12
	v_cndmask_b32_e64 v28, 1, 2, vcc_lo
	v_add_co_u32 v12, vcc_lo, v2, -4
	v_add_co_ci_u32_e32 v13, vcc_lo, -1, v13, vcc_lo
	v_cmp_eq_u32_e32 vcc_lo, 0, v23
	v_add_nc_u32_e32 v2, v5, v14
	v_and_b32_e32 v3, v3, v28
	v_cndmask_b32_e64 v14, 1, 2, vcc_lo
	v_cmp_eq_u32_e32 vcc_lo, 0, v24
	s_delay_alu instid0(VALU_DEP_2) | instskip(SKIP_2) | instid1(VALU_DEP_2)
	v_and_b32_e32 v3, v3, v14
	v_cndmask_b32_e64 v14, 1, 2, vcc_lo
	v_cmp_eq_u32_e32 vcc_lo, 0, v15
	v_and_b32_e32 v3, v3, v14
	v_cndmask_b32_e64 v14, 1, 2, vcc_lo
	v_cmp_gt_u32_e32 vcc_lo, 0x100, v9
	s_delay_alu instid0(VALU_DEP_2) | instskip(NEXT) | instid1(VALU_DEP_1)
	v_and_b32_e32 v3, v3, v14
	v_cmp_gt_i16_e64 s15, 2, v3
	s_cbranch_vccnz .LBB225_178
; %bb.175:
	s_and_b32 vcc_lo, exec_lo, s16
	s_cbranch_vccnz .LBB225_184
.LBB225_176:
	v_cmp_eq_u32_e32 vcc_lo, 0xff, v0
	s_and_b32 s0, vcc_lo, s18
	s_delay_alu instid0(SALU_CYCLE_1)
	s_and_saveexec_b32 s1, s0
	s_cbranch_execnz .LBB225_193
.LBB225_177:
	s_nop 0
	s_sendmsg sendmsg(MSG_DEALLOC_VGPRS)
	s_endpgm
.LBB225_178:
	s_delay_alu instid0(VALU_DEP_1)
	s_and_saveexec_b32 s16, s15
	s_cbranch_execz .LBB225_183
; %bb.179:
	s_mov_b32 s17, 0
	s_mov_b32 s15, exec_lo
	v_cmpx_ne_u16_e32 1, v3
	s_xor_b32 s15, exec_lo, s15
	s_cbranch_execnz .LBB225_263
; %bb.180:
	s_and_not1_saveexec_b32 s15, s15
	s_cbranch_execnz .LBB225_279
.LBB225_181:
	s_or_b32 exec_lo, exec_lo, s15
	s_delay_alu instid0(SALU_CYCLE_1)
	s_and_b32 exec_lo, exec_lo, s17
	s_cbranch_execz .LBB225_183
.LBB225_182:
	v_sub_nc_u32_e32 v14, v6, v2
	v_mov_b32_e32 v15, 0
	s_delay_alu instid0(VALU_DEP_1) | instskip(NEXT) | instid1(VALU_DEP_1)
	v_lshlrev_b64 v[14:15], 2, v[14:15]
	v_add_co_u32 v14, vcc_lo, v12, v14
	s_delay_alu instid0(VALU_DEP_2)
	v_add_co_ci_u32_e32 v15, vcc_lo, v13, v15, vcc_lo
	global_store_b32 v[14:15], v60, off
.LBB225_183:
	s_or_b32 exec_lo, exec_lo, s16
	s_branch .LBB225_176
.LBB225_184:
	s_mov_b32 s15, exec_lo
	v_cmpx_gt_i16_e32 2, v3
	s_cbranch_execz .LBB225_189
; %bb.185:
	s_mov_b32 s17, 0
	s_mov_b32 s16, exec_lo
	v_cmpx_ne_u16_e32 1, v3
	s_xor_b32 s16, exec_lo, s16
	s_cbranch_execnz .LBB225_280
; %bb.186:
	s_and_not1_saveexec_b32 s0, s16
	s_cbranch_execnz .LBB225_296
.LBB225_187:
	s_or_b32 exec_lo, exec_lo, s0
	s_delay_alu instid0(SALU_CYCLE_1)
	s_and_b32 exec_lo, exec_lo, s17
	s_cbranch_execz .LBB225_189
.LBB225_188:
	v_sub_nc_u32_e32 v2, v6, v2
	s_delay_alu instid0(VALU_DEP_1)
	v_lshlrev_b32_e32 v2, 2, v2
	ds_store_b32 v2, v60
.LBB225_189:
	s_or_b32 exec_lo, exec_lo, s15
	s_delay_alu instid0(SALU_CYCLE_1)
	s_mov_b32 s1, exec_lo
	s_waitcnt lgkmcnt(0)
	s_waitcnt_vscnt null, 0x0
	s_barrier
	buffer_gl0_inv
	v_cmpx_lt_u32_e64 v0, v9
	s_cbranch_execz .LBB225_192
; %bb.190:
	v_dual_mov_b32 v3, 0 :: v_dual_lshlrev_b32 v4, 2, v0
	v_mov_b32_e32 v2, v0
	s_mov_b32 s2, 0
	.p2align	6
.LBB225_191:                            ; =>This Inner Loop Header: Depth=1
	ds_load_b32 v6, v4
	v_lshlrev_b64 v[14:15], 2, v[2:3]
	v_add_nc_u32_e32 v2, 0x100, v2
	v_add_nc_u32_e32 v4, 0x400, v4
	s_delay_alu instid0(VALU_DEP_2) | instskip(NEXT) | instid1(VALU_DEP_4)
	v_cmp_ge_u32_e32 vcc_lo, v2, v9
	v_add_co_u32 v14, s0, v12, v14
	s_delay_alu instid0(VALU_DEP_1)
	v_add_co_ci_u32_e64 v15, s0, v13, v15, s0
	s_or_b32 s2, vcc_lo, s2
	s_waitcnt lgkmcnt(0)
	global_store_b32 v[14:15], v6, off
	s_and_not1_b32 exec_lo, exec_lo, s2
	s_cbranch_execnz .LBB225_191
.LBB225_192:
	s_or_b32 exec_lo, exec_lo, s1
	v_cmp_eq_u32_e32 vcc_lo, 0xff, v0
	s_and_b32 s0, vcc_lo, s18
	s_delay_alu instid0(SALU_CYCLE_1)
	s_and_saveexec_b32 s1, s0
	s_cbranch_execz .LBB225_177
.LBB225_193:
	v_add_co_u32 v0, s0, v1, v5
	s_delay_alu instid0(VALU_DEP_1) | instskip(SKIP_1) | instid1(VALU_DEP_3)
	v_add_co_ci_u32_e64 v4, null, 0, 0, s0
	v_mov_b32_e32 v2, 0
	v_add_co_u32 v3, vcc_lo, v0, v7
	s_delay_alu instid0(VALU_DEP_3)
	v_add_co_ci_u32_e32 v4, vcc_lo, v4, v8, vcc_lo
	s_cmpk_lg_i32 s19, 0xf00
	global_store_b64 v2, v[3:4], s[38:39]
	s_cbranch_scc1 .LBB225_177
; %bb.194:
	v_lshlrev_b64 v[0:1], 2, v[1:2]
	s_delay_alu instid0(VALU_DEP_1) | instskip(NEXT) | instid1(VALU_DEP_2)
	v_add_co_u32 v0, vcc_lo, v10, v0
	v_add_co_ci_u32_e32 v1, vcc_lo, v11, v1, vcc_lo
	global_store_b32 v[0:1], v51, off offset:-4
	s_nop 0
	s_sendmsg sendmsg(MSG_DEALLOC_VGPRS)
	s_endpgm
.LBB225_195:
                                        ; implicit-def: $sgpr2
                                        ; implicit-def: $vgpr58
                                        ; implicit-def: $vgpr24
                                        ; implicit-def: $vgpr23
                                        ; implicit-def: $vgpr26
                                        ; implicit-def: $vgpr25
                                        ; implicit-def: $vgpr28
                                        ; implicit-def: $vgpr27
                                        ; implicit-def: $vgpr30
                                        ; implicit-def: $vgpr29
                                        ; implicit-def: $vgpr32
                                        ; implicit-def: $vgpr31
                                        ; implicit-def: $vgpr36
                                        ; implicit-def: $vgpr35
                                        ; implicit-def: $vgpr50
	s_cbranch_execz .LBB225_109
; %bb.196:
	v_mad_u32_u24 v23, v0, 15, 14
	s_waitcnt lgkmcnt(0)
	v_dual_mov_b32 v24, 0 :: v_dual_lshlrev_b32 v3, 2, v0
	v_mul_u32_u24_e32 v1, 15, v0
	v_mov_b32_e32 v58, 0
	s_mov_b32 s2, exec_lo
	ds_store_b32 v3, v57
	v_cmpx_gt_u64_e64 s[0:1], v[23:24]
	s_cbranch_execz .LBB225_198
; %bb.197:
	v_cvt_i32_f32_e32 v2, v10
	v_cvt_i32_f32_e32 v4, v57
	s_delay_alu instid0(VALU_DEP_2) | instskip(NEXT) | instid1(VALU_DEP_2)
	v_mul_hi_i32 v2, 0x66666667, v2
	v_mul_hi_i32 v4, 0x66666667, v4
	s_delay_alu instid0(VALU_DEP_2) | instskip(SKIP_1) | instid1(VALU_DEP_3)
	v_lshrrev_b32_e32 v5, 31, v2
	v_ashrrev_i32_e32 v2, 2, v2
	v_lshrrev_b32_e32 v6, 31, v4
	v_ashrrev_i32_e32 v4, 2, v4
	s_delay_alu instid0(VALU_DEP_3) | instskip(NEXT) | instid1(VALU_DEP_2)
	v_add_nc_u32_e32 v2, v2, v5
	v_add_nc_u32_e32 v4, v4, v6
	s_delay_alu instid0(VALU_DEP_1)
	v_cmp_ne_u32_e32 vcc_lo, v2, v4
	v_cndmask_b32_e64 v58, 0, 1, vcc_lo
.LBB225_198:
	s_or_b32 exec_lo, exec_lo, s2
	v_add_nc_u32_e32 v23, 13, v1
	s_mov_b32 s2, exec_lo
	s_delay_alu instid0(VALU_DEP_1)
	v_cmpx_gt_u64_e64 s[0:1], v[23:24]
	s_cbranch_execz .LBB225_200
; %bb.199:
	v_cvt_i32_f32_e32 v2, v9
	v_cvt_i32_f32_e32 v4, v10
	s_delay_alu instid0(VALU_DEP_2) | instskip(NEXT) | instid1(VALU_DEP_2)
	v_mul_hi_i32 v2, 0x66666667, v2
	v_mul_hi_i32 v4, 0x66666667, v4
	s_delay_alu instid0(VALU_DEP_2) | instskip(SKIP_1) | instid1(VALU_DEP_3)
	v_lshrrev_b32_e32 v5, 31, v2
	v_ashrrev_i32_e32 v2, 2, v2
	v_lshrrev_b32_e32 v6, 31, v4
	v_ashrrev_i32_e32 v4, 2, v4
	s_delay_alu instid0(VALU_DEP_3) | instskip(NEXT) | instid1(VALU_DEP_2)
	v_add_nc_u32_e32 v2, v2, v5
	v_add_nc_u32_e32 v4, v4, v6
	s_delay_alu instid0(VALU_DEP_1)
	v_cmp_ne_u32_e32 vcc_lo, v2, v4
	v_cndmask_b32_e64 v24, 0, 1, vcc_lo
.LBB225_200:
	s_or_b32 exec_lo, exec_lo, s2
	v_dual_mov_b32 v26, 0 :: v_dual_add_nc_u32 v25, 12, v1
	v_mov_b32_e32 v23, 0
	s_mov_b32 s2, exec_lo
	s_delay_alu instid0(VALU_DEP_2)
	v_cmpx_gt_u64_e64 s[0:1], v[25:26]
	s_cbranch_execz .LBB225_202
; %bb.201:
	v_cvt_i32_f32_e32 v2, v12
	v_cvt_i32_f32_e32 v4, v9
	s_delay_alu instid0(VALU_DEP_2) | instskip(NEXT) | instid1(VALU_DEP_2)
	v_mul_hi_i32 v2, 0x66666667, v2
	v_mul_hi_i32 v4, 0x66666667, v4
	s_delay_alu instid0(VALU_DEP_2) | instskip(SKIP_1) | instid1(VALU_DEP_3)
	v_lshrrev_b32_e32 v5, 31, v2
	v_ashrrev_i32_e32 v2, 2, v2
	v_lshrrev_b32_e32 v6, 31, v4
	v_ashrrev_i32_e32 v4, 2, v4
	s_delay_alu instid0(VALU_DEP_3) | instskip(NEXT) | instid1(VALU_DEP_2)
	v_add_nc_u32_e32 v2, v2, v5
	v_add_nc_u32_e32 v4, v4, v6
	s_delay_alu instid0(VALU_DEP_1)
	v_cmp_ne_u32_e32 vcc_lo, v2, v4
	v_cndmask_b32_e64 v23, 0, 1, vcc_lo
.LBB225_202:
	s_or_b32 exec_lo, exec_lo, s2
	v_add_nc_u32_e32 v25, 11, v1
	s_mov_b32 s2, exec_lo
	s_delay_alu instid0(VALU_DEP_1)
	v_cmpx_gt_u64_e64 s[0:1], v[25:26]
	s_cbranch_execz .LBB225_204
; %bb.203:
	v_cvt_i32_f32_e32 v2, v11
	v_cvt_i32_f32_e32 v4, v12
	s_delay_alu instid0(VALU_DEP_2) | instskip(NEXT) | instid1(VALU_DEP_2)
	v_mul_hi_i32 v2, 0x66666667, v2
	v_mul_hi_i32 v4, 0x66666667, v4
	s_delay_alu instid0(VALU_DEP_2) | instskip(SKIP_1) | instid1(VALU_DEP_3)
	v_lshrrev_b32_e32 v5, 31, v2
	v_ashrrev_i32_e32 v2, 2, v2
	v_lshrrev_b32_e32 v6, 31, v4
	v_ashrrev_i32_e32 v4, 2, v4
	s_delay_alu instid0(VALU_DEP_3) | instskip(NEXT) | instid1(VALU_DEP_2)
	v_add_nc_u32_e32 v2, v2, v5
	v_add_nc_u32_e32 v4, v4, v6
	s_delay_alu instid0(VALU_DEP_1)
	v_cmp_ne_u32_e32 vcc_lo, v2, v4
	v_cndmask_b32_e64 v26, 0, 1, vcc_lo
.LBB225_204:
	s_or_b32 exec_lo, exec_lo, s2
	v_dual_mov_b32 v28, 0 :: v_dual_add_nc_u32 v27, 10, v1
	v_mov_b32_e32 v25, 0
	s_mov_b32 s2, exec_lo
	s_delay_alu instid0(VALU_DEP_2)
	;; [unrolled: 49-line block ×6, first 2 shown]
	v_cmpx_gt_u64_e64 s[0:1], v[49:50]
	s_cbranch_execz .LBB225_222
; %bb.221:
	v_cvt_i32_f32_e32 v2, v22
	v_cvt_i32_f32_e32 v4, v19
	s_delay_alu instid0(VALU_DEP_2) | instskip(NEXT) | instid1(VALU_DEP_2)
	v_mul_hi_i32 v2, 0x66666667, v2
	v_mul_hi_i32 v4, 0x66666667, v4
	s_delay_alu instid0(VALU_DEP_2) | instskip(SKIP_1) | instid1(VALU_DEP_3)
	v_lshrrev_b32_e32 v5, 31, v2
	v_ashrrev_i32_e32 v2, 2, v2
	v_lshrrev_b32_e32 v6, 31, v4
	v_ashrrev_i32_e32 v4, 2, v4
	s_delay_alu instid0(VALU_DEP_3) | instskip(NEXT) | instid1(VALU_DEP_2)
	v_add_nc_u32_e32 v2, v2, v5
	v_add_nc_u32_e32 v4, v4, v6
	s_delay_alu instid0(VALU_DEP_1)
	v_cmp_ne_u32_e32 vcc_lo, v2, v4
	v_cndmask_b32_e64 v35, 0, 1, vcc_lo
.LBB225_222:
	s_or_b32 exec_lo, exec_lo, s2
	v_add_nc_u32_e32 v49, 1, v1
	s_mov_b32 s2, exec_lo
	s_delay_alu instid0(VALU_DEP_1)
	v_cmpx_gt_u64_e64 s[0:1], v[49:50]
	s_cbranch_execz .LBB225_224
; %bb.223:
	v_cvt_i32_f32_e32 v2, v21
	v_cvt_i32_f32_e32 v4, v22
	s_delay_alu instid0(VALU_DEP_2) | instskip(NEXT) | instid1(VALU_DEP_2)
	v_mul_hi_i32 v2, 0x66666667, v2
	v_mul_hi_i32 v4, 0x66666667, v4
	s_delay_alu instid0(VALU_DEP_2) | instskip(SKIP_1) | instid1(VALU_DEP_3)
	v_lshrrev_b32_e32 v5, 31, v2
	v_ashrrev_i32_e32 v2, 2, v2
	v_lshrrev_b32_e32 v6, 31, v4
	v_ashrrev_i32_e32 v4, 2, v4
	s_delay_alu instid0(VALU_DEP_3) | instskip(NEXT) | instid1(VALU_DEP_2)
	v_add_nc_u32_e32 v2, v2, v5
	v_add_nc_u32_e32 v4, v4, v6
	s_delay_alu instid0(VALU_DEP_1)
	v_cmp_ne_u32_e32 vcc_lo, v2, v4
	v_cndmask_b32_e64 v50, 0, 1, vcc_lo
.LBB225_224:
	s_or_b32 exec_lo, exec_lo, s2
	s_mov_b32 s4, 0
	s_mov_b32 s3, exec_lo
	s_waitcnt lgkmcnt(0)
	s_barrier
	buffer_gl0_inv
                                        ; implicit-def: $sgpr2
	v_cmpx_ne_u32_e32 0, v0
	s_cbranch_execz .LBB225_228
; %bb.225:
	v_mov_b32_e32 v2, 0
	s_delay_alu instid0(VALU_DEP_1)
	v_cmp_gt_u64_e32 vcc_lo, s[0:1], v[1:2]
	s_and_saveexec_b32 s0, vcc_lo
	s_cbranch_execz .LBB225_227
; %bb.226:
	v_add_nc_u32_e32 v1, -4, v3
	v_cvt_i32_f32_e32 v2, v21
	ds_load_b32 v1, v1
	v_mul_hi_i32 v2, 0x66666667, v2
	s_delay_alu instid0(VALU_DEP_1) | instskip(SKIP_1) | instid1(VALU_DEP_1)
	v_lshrrev_b32_e32 v3, 31, v2
	v_ashrrev_i32_e32 v2, 2, v2
	v_add_nc_u32_e32 v2, v2, v3
	s_waitcnt lgkmcnt(0)
	v_cvt_i32_f32_e32 v1, v1
	s_delay_alu instid0(VALU_DEP_1) | instskip(NEXT) | instid1(VALU_DEP_1)
	v_mul_hi_i32 v1, 0x66666667, v1
	v_lshrrev_b32_e32 v4, 31, v1
	v_ashrrev_i32_e32 v1, 2, v1
	s_delay_alu instid0(VALU_DEP_1) | instskip(NEXT) | instid1(VALU_DEP_1)
	v_add_nc_u32_e32 v1, v1, v4
	v_cmp_ne_u32_e32 vcc_lo, v1, v2
	s_and_b32 s4, vcc_lo, exec_lo
.LBB225_227:
	s_or_b32 exec_lo, exec_lo, s0
	s_delay_alu instid0(SALU_CYCLE_1)
	s_and_b32 s2, s4, exec_lo
	s_or_b32 s28, s28, exec_lo
.LBB225_228:
	s_or_b32 exec_lo, exec_lo, s3
	s_mov_b32 s0, 1
	s_delay_alu instid0(SALU_CYCLE_1)
	v_mov_b32_e32 v49, s0
	s_and_saveexec_b32 s0, s28
	s_cbranch_execnz .LBB225_111
	s_branch .LBB225_112
.LBB225_229:
	s_and_saveexec_b32 s17, s12
	s_cbranch_execnz .LBB225_297
; %bb.230:
	s_or_b32 exec_lo, exec_lo, s17
	s_and_saveexec_b32 s17, s11
	s_cbranch_execnz .LBB225_298
.LBB225_231:
	s_or_b32 exec_lo, exec_lo, s17
	s_and_saveexec_b32 s17, s9
	s_cbranch_execnz .LBB225_299
.LBB225_232:
	s_or_b32 exec_lo, exec_lo, s17
	s_and_saveexec_b32 s17, s8
	s_cbranch_execnz .LBB225_300
.LBB225_233:
	s_or_b32 exec_lo, exec_lo, s17
	s_and_saveexec_b32 s17, s14
	s_cbranch_execnz .LBB225_301
.LBB225_234:
	s_or_b32 exec_lo, exec_lo, s17
	s_and_saveexec_b32 s17, s13
	s_cbranch_execnz .LBB225_302
.LBB225_235:
	s_or_b32 exec_lo, exec_lo, s17
	s_and_saveexec_b32 s17, s10
	s_cbranch_execnz .LBB225_303
.LBB225_236:
	s_or_b32 exec_lo, exec_lo, s17
	s_and_saveexec_b32 s17, s7
	s_cbranch_execnz .LBB225_304
.LBB225_237:
	s_or_b32 exec_lo, exec_lo, s17
	s_and_saveexec_b32 s17, s6
	s_cbranch_execnz .LBB225_305
.LBB225_238:
	s_or_b32 exec_lo, exec_lo, s17
	s_and_saveexec_b32 s17, s5
	s_cbranch_execnz .LBB225_306
.LBB225_239:
	s_or_b32 exec_lo, exec_lo, s17
	s_and_saveexec_b32 s17, s4
	s_cbranch_execnz .LBB225_307
.LBB225_240:
	s_or_b32 exec_lo, exec_lo, s17
	s_and_saveexec_b32 s17, s3
	s_cbranch_execnz .LBB225_308
.LBB225_241:
	s_or_b32 exec_lo, exec_lo, s17
	s_and_saveexec_b32 s17, s2
	s_cbranch_execnz .LBB225_309
.LBB225_242:
	s_or_b32 exec_lo, exec_lo, s17
	s_and_saveexec_b32 s17, s1
	s_cbranch_execz .LBB225_244
.LBB225_243:
	v_sub_nc_u32_e32 v73, v37, v5
	v_mov_b32_e32 v74, 0
	s_delay_alu instid0(VALU_DEP_1) | instskip(NEXT) | instid1(VALU_DEP_1)
	v_lshlrev_b64 v[73:74], 2, v[73:74]
	v_add_co_u32 v73, vcc_lo, v70, v73
	s_delay_alu instid0(VALU_DEP_2)
	v_add_co_ci_u32_e32 v74, vcc_lo, v71, v74, vcc_lo
	global_store_b32 v[73:74], v10, off
.LBB225_244:
	s_or_b32 exec_lo, exec_lo, s17
	s_delay_alu instid0(SALU_CYCLE_1)
	s_and_b32 s17, s0, exec_lo
	s_and_not1_saveexec_b32 s15, s15
	s_cbranch_execz .LBB225_161
.LBB225_245:
	v_sub_nc_u32_e32 v73, v4, v5
	v_mov_b32_e32 v74, 0
	s_or_b32 s17, s17, exec_lo
	s_delay_alu instid0(VALU_DEP_1) | instskip(SKIP_1) | instid1(VALU_DEP_1)
	v_lshlrev_b64 v[75:76], 2, v[73:74]
	v_sub_nc_u32_e32 v73, v47, v5
	v_lshlrev_b64 v[77:78], 2, v[73:74]
	v_sub_nc_u32_e32 v73, v59, v5
	s_delay_alu instid0(VALU_DEP_4) | instskip(SKIP_1) | instid1(VALU_DEP_3)
	v_add_co_u32 v75, vcc_lo, v70, v75
	v_add_co_ci_u32_e32 v76, vcc_lo, v71, v76, vcc_lo
	v_lshlrev_b64 v[79:80], 2, v[73:74]
	v_sub_nc_u32_e32 v73, v48, v5
	v_add_co_u32 v77, vcc_lo, v70, v77
	v_add_co_ci_u32_e32 v78, vcc_lo, v71, v78, vcc_lo
	global_store_b32 v[75:76], v21, off
	v_lshlrev_b64 v[75:76], 2, v[73:74]
	v_sub_nc_u32_e32 v73, v46, v5
	global_store_b32 v[77:78], v22, off
	v_add_co_u32 v77, vcc_lo, v70, v79
	v_add_co_ci_u32_e32 v78, vcc_lo, v71, v80, vcc_lo
	v_lshlrev_b64 v[79:80], 2, v[73:74]
	v_sub_nc_u32_e32 v73, v45, v5
	v_add_co_u32 v75, vcc_lo, v70, v75
	v_add_co_ci_u32_e32 v76, vcc_lo, v71, v76, vcc_lo
	s_delay_alu instid0(VALU_DEP_3) | instskip(SKIP_3) | instid1(VALU_DEP_3)
	v_lshlrev_b64 v[81:82], 2, v[73:74]
	v_sub_nc_u32_e32 v73, v44, v5
	v_add_co_u32 v79, vcc_lo, v70, v79
	v_add_co_ci_u32_e32 v80, vcc_lo, v71, v80, vcc_lo
	v_lshlrev_b64 v[83:84], 2, v[73:74]
	v_sub_nc_u32_e32 v73, v43, v5
	v_add_co_u32 v81, vcc_lo, v70, v81
	v_add_co_ci_u32_e32 v82, vcc_lo, v71, v82, vcc_lo
	s_clause 0x3
	global_store_b32 v[77:78], v19, off
	global_store_b32 v[75:76], v20, off
	;; [unrolled: 1-line block ×4, first 2 shown]
	v_lshlrev_b64 v[75:76], 2, v[73:74]
	v_sub_nc_u32_e32 v73, v42, v5
	v_add_co_u32 v77, vcc_lo, v70, v83
	v_add_co_ci_u32_e32 v78, vcc_lo, v71, v84, vcc_lo
	s_delay_alu instid0(VALU_DEP_3) | instskip(SKIP_3) | instid1(VALU_DEP_3)
	v_lshlrev_b64 v[79:80], 2, v[73:74]
	v_sub_nc_u32_e32 v73, v41, v5
	v_add_co_u32 v75, vcc_lo, v70, v75
	v_add_co_ci_u32_e32 v76, vcc_lo, v71, v76, vcc_lo
	v_lshlrev_b64 v[81:82], 2, v[73:74]
	v_sub_nc_u32_e32 v73, v40, v5
	v_add_co_u32 v79, vcc_lo, v70, v79
	v_add_co_ci_u32_e32 v80, vcc_lo, v71, v80, vcc_lo
	s_delay_alu instid0(VALU_DEP_3)
	v_lshlrev_b64 v[83:84], 2, v[73:74]
	v_sub_nc_u32_e32 v73, v39, v5
	v_add_co_u32 v81, vcc_lo, v70, v81
	v_add_co_ci_u32_e32 v82, vcc_lo, v71, v82, vcc_lo
	s_clause 0x3
	global_store_b32 v[77:78], v15, off
	global_store_b32 v[75:76], v16, off
	global_store_b32 v[79:80], v13, off
	global_store_b32 v[81:82], v14, off
	v_lshlrev_b64 v[75:76], 2, v[73:74]
	v_sub_nc_u32_e32 v73, v38, v5
	v_add_co_u32 v77, vcc_lo, v70, v83
	v_add_co_ci_u32_e32 v78, vcc_lo, v71, v84, vcc_lo
	s_delay_alu instid0(VALU_DEP_3) | instskip(SKIP_3) | instid1(VALU_DEP_3)
	v_lshlrev_b64 v[79:80], 2, v[73:74]
	v_sub_nc_u32_e32 v73, v37, v5
	v_add_co_u32 v75, vcc_lo, v70, v75
	v_add_co_ci_u32_e32 v76, vcc_lo, v71, v76, vcc_lo
	v_lshlrev_b64 v[73:74], 2, v[73:74]
	v_add_co_u32 v79, vcc_lo, v70, v79
	v_add_co_ci_u32_e32 v80, vcc_lo, v71, v80, vcc_lo
	s_clause 0x2
	global_store_b32 v[77:78], v11, off
	global_store_b32 v[75:76], v12, off
	;; [unrolled: 1-line block ×3, first 2 shown]
	v_add_co_u32 v73, vcc_lo, v70, v73
	v_add_co_ci_u32_e32 v74, vcc_lo, v71, v74, vcc_lo
	global_store_b32 v[73:74], v10, off
	s_or_b32 exec_lo, exec_lo, s15
	s_delay_alu instid0(SALU_CYCLE_1)
	s_and_b32 exec_lo, exec_lo, s17
	s_cbranch_execnz .LBB225_162
	s_branch .LBB225_163
.LBB225_246:
	s_and_saveexec_b32 s17, s12
	s_cbranch_execnz .LBB225_310
; %bb.247:
	s_or_b32 exec_lo, exec_lo, s17
	s_and_saveexec_b32 s12, s11
	s_cbranch_execnz .LBB225_311
.LBB225_248:
	s_or_b32 exec_lo, exec_lo, s12
	s_and_saveexec_b32 s11, s9
	s_cbranch_execnz .LBB225_312
.LBB225_249:
	s_or_b32 exec_lo, exec_lo, s11
	s_and_saveexec_b32 s9, s8
	s_cbranch_execnz .LBB225_313
.LBB225_250:
	s_or_b32 exec_lo, exec_lo, s9
	s_and_saveexec_b32 s8, s14
	s_cbranch_execnz .LBB225_314
.LBB225_251:
	s_or_b32 exec_lo, exec_lo, s8
	s_and_saveexec_b32 s8, s13
	s_cbranch_execnz .LBB225_315
.LBB225_252:
	s_or_b32 exec_lo, exec_lo, s8
	s_and_saveexec_b32 s8, s10
	s_cbranch_execnz .LBB225_316
.LBB225_253:
	s_or_b32 exec_lo, exec_lo, s8
	s_and_saveexec_b32 s8, s7
	s_cbranch_execnz .LBB225_317
.LBB225_254:
	s_or_b32 exec_lo, exec_lo, s8
	s_and_saveexec_b32 s7, s6
	s_cbranch_execnz .LBB225_318
.LBB225_255:
	s_or_b32 exec_lo, exec_lo, s7
	s_and_saveexec_b32 s6, s5
	s_cbranch_execnz .LBB225_319
.LBB225_256:
	s_or_b32 exec_lo, exec_lo, s6
	s_and_saveexec_b32 s5, s4
	s_cbranch_execnz .LBB225_320
.LBB225_257:
	s_or_b32 exec_lo, exec_lo, s5
	s_and_saveexec_b32 s4, s3
	s_cbranch_execnz .LBB225_321
.LBB225_258:
	s_or_b32 exec_lo, exec_lo, s4
	s_and_saveexec_b32 s3, s2
	s_cbranch_execnz .LBB225_322
.LBB225_259:
	s_or_b32 exec_lo, exec_lo, s3
	s_and_saveexec_b32 s2, s1
	s_cbranch_execz .LBB225_261
.LBB225_260:
	v_sub_nc_u32_e32 v9, v37, v5
	s_delay_alu instid0(VALU_DEP_1)
	v_lshlrev_b32_e32 v9, 2, v9
	ds_store_b32 v9, v10
.LBB225_261:
	s_or_b32 exec_lo, exec_lo, s2
	s_delay_alu instid0(SALU_CYCLE_1)
	s_and_b32 s17, s0, exec_lo
                                        ; implicit-def: $vgpr21
                                        ; implicit-def: $vgpr19
                                        ; implicit-def: $vgpr17
                                        ; implicit-def: $vgpr15
                                        ; implicit-def: $vgpr13
                                        ; implicit-def: $vgpr11
                                        ; implicit-def: $vgpr9
	s_and_not1_saveexec_b32 s0, s16
	s_cbranch_execz .LBB225_168
.LBB225_262:
	v_sub_nc_u32_e32 v72, v4, v5
	v_sub_nc_u32_e32 v75, v48, v5
	v_sub_nc_u32_e32 v73, v47, v5
	v_sub_nc_u32_e32 v74, v59, v5
	s_or_b32 s17, s17, exec_lo
	v_lshlrev_b32_e32 v72, 2, v72
	v_lshlrev_b32_e32 v75, 2, v75
	;; [unrolled: 1-line block ×4, first 2 shown]
	ds_store_b32 v72, v21
	ds_store_b32 v73, v22
	ds_store_b32 v74, v19
	v_sub_nc_u32_e32 v19, v46, v5
	ds_store_b32 v75, v20
	v_sub_nc_u32_e32 v20, v45, v5
	v_sub_nc_u32_e32 v21, v44, v5
	;; [unrolled: 1-line block ×3, first 2 shown]
	v_lshlrev_b32_e32 v19, 2, v19
	v_sub_nc_u32_e32 v72, v42, v5
	v_lshlrev_b32_e32 v20, 2, v20
	v_lshlrev_b32_e32 v21, 2, v21
	;; [unrolled: 1-line block ×3, first 2 shown]
	ds_store_b32 v19, v17
	v_lshlrev_b32_e32 v17, 2, v72
	ds_store_b32 v20, v18
	ds_store_b32 v21, v15
	;; [unrolled: 1-line block ×3, first 2 shown]
	v_sub_nc_u32_e32 v15, v41, v5
	v_sub_nc_u32_e32 v18, v37, v5
	;; [unrolled: 1-line block ×3, first 2 shown]
	ds_store_b32 v17, v13
	v_sub_nc_u32_e32 v13, v40, v5
	v_lshlrev_b32_e32 v15, 2, v15
	v_sub_nc_u32_e32 v17, v38, v5
	v_lshlrev_b32_e32 v16, 2, v16
	s_delay_alu instid0(VALU_DEP_4)
	v_lshlrev_b32_e32 v13, 2, v13
	ds_store_b32 v15, v14
	v_lshlrev_b32_e32 v14, 2, v18
	v_lshlrev_b32_e32 v17, 2, v17
	ds_store_b32 v13, v11
	ds_store_b32 v16, v12
	;; [unrolled: 1-line block ×4, first 2 shown]
	s_or_b32 exec_lo, exec_lo, s0
	s_delay_alu instid0(SALU_CYCLE_1)
	s_and_b32 exec_lo, exec_lo, s17
	s_cbranch_execnz .LBB225_169
	s_branch .LBB225_170
.LBB225_263:
	s_and_saveexec_b32 s17, s14
	s_cbranch_execnz .LBB225_323
; %bb.264:
	s_or_b32 exec_lo, exec_lo, s17
	s_and_saveexec_b32 s17, s13
	s_cbranch_execnz .LBB225_324
.LBB225_265:
	s_or_b32 exec_lo, exec_lo, s17
	s_and_saveexec_b32 s17, s12
	s_cbranch_execnz .LBB225_325
.LBB225_266:
	s_or_b32 exec_lo, exec_lo, s17
	s_and_saveexec_b32 s17, s11
	s_cbranch_execnz .LBB225_326
.LBB225_267:
	s_or_b32 exec_lo, exec_lo, s17
	s_and_saveexec_b32 s17, s10
	s_cbranch_execnz .LBB225_327
.LBB225_268:
	s_or_b32 exec_lo, exec_lo, s17
	s_and_saveexec_b32 s17, s9
	s_cbranch_execnz .LBB225_328
.LBB225_269:
	s_or_b32 exec_lo, exec_lo, s17
	s_and_saveexec_b32 s17, s8
	s_cbranch_execnz .LBB225_329
.LBB225_270:
	s_or_b32 exec_lo, exec_lo, s17
	s_and_saveexec_b32 s17, s7
	s_cbranch_execnz .LBB225_330
.LBB225_271:
	s_or_b32 exec_lo, exec_lo, s17
	s_and_saveexec_b32 s17, s6
	s_cbranch_execnz .LBB225_331
.LBB225_272:
	s_or_b32 exec_lo, exec_lo, s17
	s_and_saveexec_b32 s17, s5
	s_cbranch_execnz .LBB225_332
.LBB225_273:
	s_or_b32 exec_lo, exec_lo, s17
	s_and_saveexec_b32 s17, s4
	s_cbranch_execnz .LBB225_333
.LBB225_274:
	s_or_b32 exec_lo, exec_lo, s17
	s_and_saveexec_b32 s17, s3
	s_cbranch_execnz .LBB225_334
.LBB225_275:
	s_or_b32 exec_lo, exec_lo, s17
	s_and_saveexec_b32 s17, s2
	s_cbranch_execnz .LBB225_335
.LBB225_276:
	s_or_b32 exec_lo, exec_lo, s17
	s_and_saveexec_b32 s17, s1
	s_cbranch_execz .LBB225_278
.LBB225_277:
	v_sub_nc_u32_e32 v14, v37, v2
	v_mov_b32_e32 v15, 0
	s_delay_alu instid0(VALU_DEP_1) | instskip(NEXT) | instid1(VALU_DEP_1)
	v_lshlrev_b64 v[14:15], 2, v[14:15]
	v_add_co_u32 v14, vcc_lo, v12, v14
	s_delay_alu instid0(VALU_DEP_2)
	v_add_co_ci_u32_e32 v15, vcc_lo, v13, v15, vcc_lo
	global_store_b32 v[14:15], v52, off
.LBB225_278:
	s_or_b32 exec_lo, exec_lo, s17
	s_delay_alu instid0(SALU_CYCLE_1)
	s_and_b32 s17, s0, exec_lo
	s_and_not1_saveexec_b32 s15, s15
	s_cbranch_execz .LBB225_181
.LBB225_279:
	v_sub_nc_u32_e32 v14, v4, v2
	v_mov_b32_e32 v15, 0
	s_or_b32 s17, s17, exec_lo
	s_delay_alu instid0(VALU_DEP_1) | instskip(SKIP_1) | instid1(VALU_DEP_1)
	v_lshlrev_b64 v[16:17], 2, v[14:15]
	v_sub_nc_u32_e32 v14, v47, v2
	v_lshlrev_b64 v[18:19], 2, v[14:15]
	v_sub_nc_u32_e32 v14, v59, v2
	s_delay_alu instid0(VALU_DEP_4) | instskip(SKIP_1) | instid1(VALU_DEP_3)
	v_add_co_u32 v16, vcc_lo, v12, v16
	v_add_co_ci_u32_e32 v17, vcc_lo, v13, v17, vcc_lo
	v_lshlrev_b64 v[20:21], 2, v[14:15]
	v_sub_nc_u32_e32 v14, v48, v2
	v_add_co_u32 v18, vcc_lo, v12, v18
	v_add_co_ci_u32_e32 v19, vcc_lo, v13, v19, vcc_lo
	global_store_b32 v[16:17], v69, off
	v_lshlrev_b64 v[16:17], 2, v[14:15]
	v_sub_nc_u32_e32 v14, v46, v2
	global_store_b32 v[18:19], v68, off
	v_add_co_u32 v18, vcc_lo, v12, v20
	v_add_co_ci_u32_e32 v19, vcc_lo, v13, v21, vcc_lo
	v_lshlrev_b64 v[20:21], 2, v[14:15]
	v_sub_nc_u32_e32 v14, v45, v2
	v_add_co_u32 v16, vcc_lo, v12, v16
	v_add_co_ci_u32_e32 v17, vcc_lo, v13, v17, vcc_lo
	s_delay_alu instid0(VALU_DEP_3) | instskip(SKIP_3) | instid1(VALU_DEP_3)
	v_lshlrev_b64 v[22:23], 2, v[14:15]
	v_sub_nc_u32_e32 v14, v44, v2
	v_add_co_u32 v20, vcc_lo, v12, v20
	v_add_co_ci_u32_e32 v21, vcc_lo, v13, v21, vcc_lo
	v_lshlrev_b64 v[24:25], 2, v[14:15]
	v_sub_nc_u32_e32 v14, v43, v2
	v_add_co_u32 v22, vcc_lo, v12, v22
	v_add_co_ci_u32_e32 v23, vcc_lo, v13, v23, vcc_lo
	s_clause 0x3
	global_store_b32 v[18:19], v67, off
	global_store_b32 v[16:17], v66, off
	;; [unrolled: 1-line block ×4, first 2 shown]
	v_lshlrev_b64 v[16:17], 2, v[14:15]
	v_sub_nc_u32_e32 v14, v42, v2
	v_add_co_u32 v18, vcc_lo, v12, v24
	v_add_co_ci_u32_e32 v19, vcc_lo, v13, v25, vcc_lo
	s_delay_alu instid0(VALU_DEP_3) | instskip(SKIP_3) | instid1(VALU_DEP_3)
	v_lshlrev_b64 v[20:21], 2, v[14:15]
	v_sub_nc_u32_e32 v14, v41, v2
	v_add_co_u32 v16, vcc_lo, v12, v16
	v_add_co_ci_u32_e32 v17, vcc_lo, v13, v17, vcc_lo
	v_lshlrev_b64 v[22:23], 2, v[14:15]
	v_sub_nc_u32_e32 v14, v40, v2
	v_add_co_u32 v20, vcc_lo, v12, v20
	v_add_co_ci_u32_e32 v21, vcc_lo, v13, v21, vcc_lo
	s_delay_alu instid0(VALU_DEP_3)
	v_lshlrev_b64 v[24:25], 2, v[14:15]
	v_sub_nc_u32_e32 v14, v39, v2
	v_add_co_u32 v22, vcc_lo, v12, v22
	v_add_co_ci_u32_e32 v23, vcc_lo, v13, v23, vcc_lo
	s_clause 0x3
	global_store_b32 v[18:19], v63, off
	global_store_b32 v[16:17], v62, off
	;; [unrolled: 1-line block ×4, first 2 shown]
	v_lshlrev_b64 v[16:17], 2, v[14:15]
	v_sub_nc_u32_e32 v14, v38, v2
	v_add_co_u32 v18, vcc_lo, v12, v24
	v_add_co_ci_u32_e32 v19, vcc_lo, v13, v25, vcc_lo
	s_delay_alu instid0(VALU_DEP_3) | instskip(SKIP_3) | instid1(VALU_DEP_3)
	v_lshlrev_b64 v[20:21], 2, v[14:15]
	v_sub_nc_u32_e32 v14, v37, v2
	v_add_co_u32 v16, vcc_lo, v12, v16
	v_add_co_ci_u32_e32 v17, vcc_lo, v13, v17, vcc_lo
	v_lshlrev_b64 v[14:15], 2, v[14:15]
	v_add_co_u32 v20, vcc_lo, v12, v20
	v_add_co_ci_u32_e32 v21, vcc_lo, v13, v21, vcc_lo
	s_clause 0x2
	global_store_b32 v[18:19], v55, off
	global_store_b32 v[16:17], v53, off
	;; [unrolled: 1-line block ×3, first 2 shown]
	v_add_co_u32 v14, vcc_lo, v12, v14
	v_add_co_ci_u32_e32 v15, vcc_lo, v13, v15, vcc_lo
	global_store_b32 v[14:15], v52, off
	s_or_b32 exec_lo, exec_lo, s15
	s_delay_alu instid0(SALU_CYCLE_1)
	s_and_b32 exec_lo, exec_lo, s17
	s_cbranch_execnz .LBB225_182
	s_branch .LBB225_183
.LBB225_280:
	s_and_saveexec_b32 s17, s14
	s_cbranch_execnz .LBB225_336
; %bb.281:
	s_or_b32 exec_lo, exec_lo, s17
	s_and_saveexec_b32 s14, s13
	s_cbranch_execnz .LBB225_337
.LBB225_282:
	s_or_b32 exec_lo, exec_lo, s14
	s_and_saveexec_b32 s13, s12
	s_cbranch_execnz .LBB225_338
.LBB225_283:
	s_or_b32 exec_lo, exec_lo, s13
	s_and_saveexec_b32 s12, s11
	s_cbranch_execnz .LBB225_339
.LBB225_284:
	s_or_b32 exec_lo, exec_lo, s12
	s_and_saveexec_b32 s11, s10
	s_cbranch_execnz .LBB225_340
.LBB225_285:
	s_or_b32 exec_lo, exec_lo, s11
	s_and_saveexec_b32 s10, s9
	s_cbranch_execnz .LBB225_341
.LBB225_286:
	s_or_b32 exec_lo, exec_lo, s10
	s_and_saveexec_b32 s9, s8
	s_cbranch_execnz .LBB225_342
.LBB225_287:
	s_or_b32 exec_lo, exec_lo, s9
	s_and_saveexec_b32 s8, s7
	s_cbranch_execnz .LBB225_343
.LBB225_288:
	s_or_b32 exec_lo, exec_lo, s8
	s_and_saveexec_b32 s7, s6
	s_cbranch_execnz .LBB225_344
.LBB225_289:
	s_or_b32 exec_lo, exec_lo, s7
	s_and_saveexec_b32 s6, s5
	s_cbranch_execnz .LBB225_345
.LBB225_290:
	s_or_b32 exec_lo, exec_lo, s6
	s_and_saveexec_b32 s5, s4
	s_cbranch_execnz .LBB225_346
.LBB225_291:
	s_or_b32 exec_lo, exec_lo, s5
	s_and_saveexec_b32 s4, s3
	s_cbranch_execnz .LBB225_347
.LBB225_292:
	s_or_b32 exec_lo, exec_lo, s4
	s_and_saveexec_b32 s3, s2
	s_cbranch_execnz .LBB225_348
.LBB225_293:
	s_or_b32 exec_lo, exec_lo, s3
	s_and_saveexec_b32 s2, s1
	s_cbranch_execz .LBB225_295
.LBB225_294:
	v_sub_nc_u32_e32 v3, v37, v2
	s_delay_alu instid0(VALU_DEP_1)
	v_lshlrev_b32_e32 v3, 2, v3
	ds_store_b32 v3, v52
.LBB225_295:
	s_or_b32 exec_lo, exec_lo, s2
	s_delay_alu instid0(SALU_CYCLE_1)
	s_and_b32 s17, s0, exec_lo
                                        ; implicit-def: $vgpr52
                                        ; implicit-def: $vgpr54
                                        ; implicit-def: $vgpr53
                                        ; implicit-def: $vgpr55
                                        ; implicit-def: $vgpr56
                                        ; implicit-def: $vgpr61
                                        ; implicit-def: $vgpr62
                                        ; implicit-def: $vgpr63
                                        ; implicit-def: $vgpr64
                                        ; implicit-def: $vgpr65
                                        ; implicit-def: $vgpr66
                                        ; implicit-def: $vgpr67
                                        ; implicit-def: $vgpr68
                                        ; implicit-def: $vgpr69
                                        ; implicit-def: $vgpr47
                                        ; implicit-def: $vgpr59
                                        ; implicit-def: $vgpr48
                                        ; implicit-def: $vgpr46
                                        ; implicit-def: $vgpr45
                                        ; implicit-def: $vgpr44
                                        ; implicit-def: $vgpr43
                                        ; implicit-def: $vgpr42
                                        ; implicit-def: $vgpr41
                                        ; implicit-def: $vgpr40
                                        ; implicit-def: $vgpr39
                                        ; implicit-def: $vgpr38
                                        ; implicit-def: $vgpr37
	s_and_not1_saveexec_b32 s0, s16
	s_cbranch_execz .LBB225_187
.LBB225_296:
	v_sub_nc_u32_e32 v3, v4, v2
	v_sub_nc_u32_e32 v4, v47, v2
	;; [unrolled: 1-line block ×5, first 2 shown]
	v_lshlrev_b32_e32 v3, 2, v3
	v_lshlrev_b32_e32 v4, 2, v4
	;; [unrolled: 1-line block ×4, first 2 shown]
	s_or_b32 s17, s17, exec_lo
	ds_store_b32 v3, v69
	ds_store_b32 v4, v68
	;; [unrolled: 1-line block ×3, first 2 shown]
	v_sub_nc_u32_e32 v3, v46, v2
	v_sub_nc_u32_e32 v4, v45, v2
	;; [unrolled: 1-line block ×3, first 2 shown]
	ds_store_b32 v15, v66
	v_sub_nc_u32_e32 v15, v43, v2
	v_lshlrev_b32_e32 v3, 2, v3
	v_lshlrev_b32_e32 v4, 2, v4
	;; [unrolled: 1-line block ×3, first 2 shown]
	s_delay_alu instid0(VALU_DEP_4)
	v_lshlrev_b32_e32 v15, 2, v15
	ds_store_b32 v3, v65
	v_lshlrev_b32_e32 v3, 2, v16
	ds_store_b32 v4, v64
	ds_store_b32 v14, v63
	;; [unrolled: 1-line block ×3, first 2 shown]
	v_sub_nc_u32_e32 v4, v41, v2
	v_sub_nc_u32_e32 v16, v37, v2
	;; [unrolled: 1-line block ×3, first 2 shown]
	ds_store_b32 v3, v61
	v_sub_nc_u32_e32 v3, v40, v2
	v_lshlrev_b32_e32 v4, 2, v4
	v_sub_nc_u32_e32 v15, v38, v2
	v_lshlrev_b32_e32 v14, 2, v14
	s_delay_alu instid0(VALU_DEP_4)
	v_lshlrev_b32_e32 v3, 2, v3
	ds_store_b32 v4, v56
	v_lshlrev_b32_e32 v4, 2, v16
	v_lshlrev_b32_e32 v15, 2, v15
	ds_store_b32 v3, v55
	ds_store_b32 v14, v53
	;; [unrolled: 1-line block ×4, first 2 shown]
	s_or_b32 exec_lo, exec_lo, s0
	s_delay_alu instid0(SALU_CYCLE_1)
	s_and_b32 exec_lo, exec_lo, s17
	s_cbranch_execnz .LBB225_188
	s_branch .LBB225_189
.LBB225_297:
	v_sub_nc_u32_e32 v73, v4, v5
	v_mov_b32_e32 v74, 0
	s_delay_alu instid0(VALU_DEP_1) | instskip(NEXT) | instid1(VALU_DEP_1)
	v_lshlrev_b64 v[73:74], 2, v[73:74]
	v_add_co_u32 v73, vcc_lo, v70, v73
	s_delay_alu instid0(VALU_DEP_2)
	v_add_co_ci_u32_e32 v74, vcc_lo, v71, v74, vcc_lo
	global_store_b32 v[73:74], v21, off
	s_or_b32 exec_lo, exec_lo, s17
	s_and_saveexec_b32 s17, s11
	s_cbranch_execz .LBB225_231
.LBB225_298:
	v_sub_nc_u32_e32 v73, v47, v5
	v_mov_b32_e32 v74, 0
	s_delay_alu instid0(VALU_DEP_1) | instskip(NEXT) | instid1(VALU_DEP_1)
	v_lshlrev_b64 v[73:74], 2, v[73:74]
	v_add_co_u32 v73, vcc_lo, v70, v73
	s_delay_alu instid0(VALU_DEP_2)
	v_add_co_ci_u32_e32 v74, vcc_lo, v71, v74, vcc_lo
	global_store_b32 v[73:74], v22, off
	s_or_b32 exec_lo, exec_lo, s17
	s_and_saveexec_b32 s17, s9
	s_cbranch_execz .LBB225_232
.LBB225_299:
	v_sub_nc_u32_e32 v73, v59, v5
	v_mov_b32_e32 v74, 0
	s_delay_alu instid0(VALU_DEP_1) | instskip(NEXT) | instid1(VALU_DEP_1)
	v_lshlrev_b64 v[73:74], 2, v[73:74]
	v_add_co_u32 v73, vcc_lo, v70, v73
	s_delay_alu instid0(VALU_DEP_2)
	v_add_co_ci_u32_e32 v74, vcc_lo, v71, v74, vcc_lo
	global_store_b32 v[73:74], v19, off
	s_or_b32 exec_lo, exec_lo, s17
	s_and_saveexec_b32 s17, s8
	s_cbranch_execz .LBB225_233
.LBB225_300:
	v_sub_nc_u32_e32 v73, v48, v5
	v_mov_b32_e32 v74, 0
	s_delay_alu instid0(VALU_DEP_1) | instskip(NEXT) | instid1(VALU_DEP_1)
	v_lshlrev_b64 v[73:74], 2, v[73:74]
	v_add_co_u32 v73, vcc_lo, v70, v73
	s_delay_alu instid0(VALU_DEP_2)
	v_add_co_ci_u32_e32 v74, vcc_lo, v71, v74, vcc_lo
	global_store_b32 v[73:74], v20, off
	s_or_b32 exec_lo, exec_lo, s17
	s_and_saveexec_b32 s17, s14
	s_cbranch_execz .LBB225_234
.LBB225_301:
	v_sub_nc_u32_e32 v73, v46, v5
	v_mov_b32_e32 v74, 0
	s_delay_alu instid0(VALU_DEP_1) | instskip(NEXT) | instid1(VALU_DEP_1)
	v_lshlrev_b64 v[73:74], 2, v[73:74]
	v_add_co_u32 v73, vcc_lo, v70, v73
	s_delay_alu instid0(VALU_DEP_2)
	v_add_co_ci_u32_e32 v74, vcc_lo, v71, v74, vcc_lo
	global_store_b32 v[73:74], v17, off
	s_or_b32 exec_lo, exec_lo, s17
	s_and_saveexec_b32 s17, s13
	s_cbranch_execz .LBB225_235
.LBB225_302:
	v_sub_nc_u32_e32 v73, v45, v5
	v_mov_b32_e32 v74, 0
	s_delay_alu instid0(VALU_DEP_1) | instskip(NEXT) | instid1(VALU_DEP_1)
	v_lshlrev_b64 v[73:74], 2, v[73:74]
	v_add_co_u32 v73, vcc_lo, v70, v73
	s_delay_alu instid0(VALU_DEP_2)
	v_add_co_ci_u32_e32 v74, vcc_lo, v71, v74, vcc_lo
	global_store_b32 v[73:74], v18, off
	s_or_b32 exec_lo, exec_lo, s17
	s_and_saveexec_b32 s17, s10
	s_cbranch_execz .LBB225_236
.LBB225_303:
	v_sub_nc_u32_e32 v73, v44, v5
	v_mov_b32_e32 v74, 0
	s_delay_alu instid0(VALU_DEP_1) | instskip(NEXT) | instid1(VALU_DEP_1)
	v_lshlrev_b64 v[73:74], 2, v[73:74]
	v_add_co_u32 v73, vcc_lo, v70, v73
	s_delay_alu instid0(VALU_DEP_2)
	v_add_co_ci_u32_e32 v74, vcc_lo, v71, v74, vcc_lo
	global_store_b32 v[73:74], v15, off
	s_or_b32 exec_lo, exec_lo, s17
	s_and_saveexec_b32 s17, s7
	s_cbranch_execz .LBB225_237
.LBB225_304:
	v_sub_nc_u32_e32 v73, v43, v5
	v_mov_b32_e32 v74, 0
	s_delay_alu instid0(VALU_DEP_1) | instskip(NEXT) | instid1(VALU_DEP_1)
	v_lshlrev_b64 v[73:74], 2, v[73:74]
	v_add_co_u32 v73, vcc_lo, v70, v73
	s_delay_alu instid0(VALU_DEP_2)
	v_add_co_ci_u32_e32 v74, vcc_lo, v71, v74, vcc_lo
	global_store_b32 v[73:74], v16, off
	s_or_b32 exec_lo, exec_lo, s17
	s_and_saveexec_b32 s17, s6
	s_cbranch_execz .LBB225_238
.LBB225_305:
	v_sub_nc_u32_e32 v73, v42, v5
	v_mov_b32_e32 v74, 0
	s_delay_alu instid0(VALU_DEP_1) | instskip(NEXT) | instid1(VALU_DEP_1)
	v_lshlrev_b64 v[73:74], 2, v[73:74]
	v_add_co_u32 v73, vcc_lo, v70, v73
	s_delay_alu instid0(VALU_DEP_2)
	v_add_co_ci_u32_e32 v74, vcc_lo, v71, v74, vcc_lo
	global_store_b32 v[73:74], v13, off
	s_or_b32 exec_lo, exec_lo, s17
	s_and_saveexec_b32 s17, s5
	s_cbranch_execz .LBB225_239
.LBB225_306:
	v_sub_nc_u32_e32 v73, v41, v5
	v_mov_b32_e32 v74, 0
	s_delay_alu instid0(VALU_DEP_1) | instskip(NEXT) | instid1(VALU_DEP_1)
	v_lshlrev_b64 v[73:74], 2, v[73:74]
	v_add_co_u32 v73, vcc_lo, v70, v73
	s_delay_alu instid0(VALU_DEP_2)
	v_add_co_ci_u32_e32 v74, vcc_lo, v71, v74, vcc_lo
	global_store_b32 v[73:74], v14, off
	s_or_b32 exec_lo, exec_lo, s17
	s_and_saveexec_b32 s17, s4
	s_cbranch_execz .LBB225_240
.LBB225_307:
	v_sub_nc_u32_e32 v73, v40, v5
	v_mov_b32_e32 v74, 0
	s_delay_alu instid0(VALU_DEP_1) | instskip(NEXT) | instid1(VALU_DEP_1)
	v_lshlrev_b64 v[73:74], 2, v[73:74]
	v_add_co_u32 v73, vcc_lo, v70, v73
	s_delay_alu instid0(VALU_DEP_2)
	v_add_co_ci_u32_e32 v74, vcc_lo, v71, v74, vcc_lo
	global_store_b32 v[73:74], v11, off
	s_or_b32 exec_lo, exec_lo, s17
	s_and_saveexec_b32 s17, s3
	s_cbranch_execz .LBB225_241
.LBB225_308:
	v_sub_nc_u32_e32 v73, v39, v5
	v_mov_b32_e32 v74, 0
	s_delay_alu instid0(VALU_DEP_1) | instskip(NEXT) | instid1(VALU_DEP_1)
	v_lshlrev_b64 v[73:74], 2, v[73:74]
	v_add_co_u32 v73, vcc_lo, v70, v73
	s_delay_alu instid0(VALU_DEP_2)
	v_add_co_ci_u32_e32 v74, vcc_lo, v71, v74, vcc_lo
	global_store_b32 v[73:74], v12, off
	s_or_b32 exec_lo, exec_lo, s17
	s_and_saveexec_b32 s17, s2
	s_cbranch_execz .LBB225_242
.LBB225_309:
	v_sub_nc_u32_e32 v73, v38, v5
	v_mov_b32_e32 v74, 0
	s_delay_alu instid0(VALU_DEP_1) | instskip(NEXT) | instid1(VALU_DEP_1)
	v_lshlrev_b64 v[73:74], 2, v[73:74]
	v_add_co_u32 v73, vcc_lo, v70, v73
	s_delay_alu instid0(VALU_DEP_2)
	v_add_co_ci_u32_e32 v74, vcc_lo, v71, v74, vcc_lo
	global_store_b32 v[73:74], v9, off
	s_or_b32 exec_lo, exec_lo, s17
	s_and_saveexec_b32 s17, s1
	s_cbranch_execnz .LBB225_243
	s_branch .LBB225_244
.LBB225_310:
	v_sub_nc_u32_e32 v72, v4, v5
	s_delay_alu instid0(VALU_DEP_1)
	v_lshlrev_b32_e32 v72, 2, v72
	ds_store_b32 v72, v21
	s_or_b32 exec_lo, exec_lo, s17
	s_and_saveexec_b32 s12, s11
	s_cbranch_execz .LBB225_248
.LBB225_311:
	v_sub_nc_u32_e32 v21, v47, v5
	s_delay_alu instid0(VALU_DEP_1)
	v_lshlrev_b32_e32 v21, 2, v21
	ds_store_b32 v21, v22
	s_or_b32 exec_lo, exec_lo, s12
	s_and_saveexec_b32 s11, s9
	s_cbranch_execz .LBB225_249
.LBB225_312:
	v_sub_nc_u32_e32 v21, v59, v5
	s_delay_alu instid0(VALU_DEP_1)
	v_lshlrev_b32_e32 v21, 2, v21
	ds_store_b32 v21, v19
	s_or_b32 exec_lo, exec_lo, s11
	s_and_saveexec_b32 s9, s8
	s_cbranch_execz .LBB225_250
.LBB225_313:
	v_sub_nc_u32_e32 v19, v48, v5
	s_delay_alu instid0(VALU_DEP_1)
	v_lshlrev_b32_e32 v19, 2, v19
	ds_store_b32 v19, v20
	s_or_b32 exec_lo, exec_lo, s9
	s_and_saveexec_b32 s8, s14
	s_cbranch_execz .LBB225_251
.LBB225_314:
	v_sub_nc_u32_e32 v19, v46, v5
	s_delay_alu instid0(VALU_DEP_1)
	v_lshlrev_b32_e32 v19, 2, v19
	ds_store_b32 v19, v17
	s_or_b32 exec_lo, exec_lo, s8
	s_and_saveexec_b32 s8, s13
	s_cbranch_execz .LBB225_252
.LBB225_315:
	v_sub_nc_u32_e32 v17, v45, v5
	s_delay_alu instid0(VALU_DEP_1)
	v_lshlrev_b32_e32 v17, 2, v17
	ds_store_b32 v17, v18
	s_or_b32 exec_lo, exec_lo, s8
	s_and_saveexec_b32 s8, s10
	s_cbranch_execz .LBB225_253
.LBB225_316:
	v_sub_nc_u32_e32 v17, v44, v5
	s_delay_alu instid0(VALU_DEP_1)
	v_lshlrev_b32_e32 v17, 2, v17
	ds_store_b32 v17, v15
	s_or_b32 exec_lo, exec_lo, s8
	s_and_saveexec_b32 s8, s7
	s_cbranch_execz .LBB225_254
.LBB225_317:
	v_sub_nc_u32_e32 v15, v43, v5
	s_delay_alu instid0(VALU_DEP_1)
	v_lshlrev_b32_e32 v15, 2, v15
	ds_store_b32 v15, v16
	s_or_b32 exec_lo, exec_lo, s8
	s_and_saveexec_b32 s7, s6
	s_cbranch_execz .LBB225_255
.LBB225_318:
	v_sub_nc_u32_e32 v15, v42, v5
	s_delay_alu instid0(VALU_DEP_1)
	v_lshlrev_b32_e32 v15, 2, v15
	ds_store_b32 v15, v13
	s_or_b32 exec_lo, exec_lo, s7
	s_and_saveexec_b32 s6, s5
	s_cbranch_execz .LBB225_256
.LBB225_319:
	v_sub_nc_u32_e32 v13, v41, v5
	s_delay_alu instid0(VALU_DEP_1)
	v_lshlrev_b32_e32 v13, 2, v13
	ds_store_b32 v13, v14
	s_or_b32 exec_lo, exec_lo, s6
	s_and_saveexec_b32 s5, s4
	s_cbranch_execz .LBB225_257
.LBB225_320:
	v_sub_nc_u32_e32 v13, v40, v5
	s_delay_alu instid0(VALU_DEP_1)
	v_lshlrev_b32_e32 v13, 2, v13
	ds_store_b32 v13, v11
	s_or_b32 exec_lo, exec_lo, s5
	s_and_saveexec_b32 s4, s3
	s_cbranch_execz .LBB225_258
.LBB225_321:
	v_sub_nc_u32_e32 v11, v39, v5
	s_delay_alu instid0(VALU_DEP_1)
	v_lshlrev_b32_e32 v11, 2, v11
	ds_store_b32 v11, v12
	s_or_b32 exec_lo, exec_lo, s4
	s_and_saveexec_b32 s3, s2
	s_cbranch_execz .LBB225_259
.LBB225_322:
	v_sub_nc_u32_e32 v11, v38, v5
	s_delay_alu instid0(VALU_DEP_1)
	v_lshlrev_b32_e32 v11, 2, v11
	ds_store_b32 v11, v9
	s_or_b32 exec_lo, exec_lo, s3
	s_and_saveexec_b32 s2, s1
	s_cbranch_execnz .LBB225_260
	s_branch .LBB225_261
.LBB225_323:
	v_sub_nc_u32_e32 v14, v4, v2
	v_mov_b32_e32 v15, 0
	s_delay_alu instid0(VALU_DEP_1) | instskip(NEXT) | instid1(VALU_DEP_1)
	v_lshlrev_b64 v[14:15], 2, v[14:15]
	v_add_co_u32 v14, vcc_lo, v12, v14
	s_delay_alu instid0(VALU_DEP_2)
	v_add_co_ci_u32_e32 v15, vcc_lo, v13, v15, vcc_lo
	global_store_b32 v[14:15], v69, off
	s_or_b32 exec_lo, exec_lo, s17
	s_and_saveexec_b32 s17, s13
	s_cbranch_execz .LBB225_265
.LBB225_324:
	v_sub_nc_u32_e32 v14, v47, v2
	v_mov_b32_e32 v15, 0
	s_delay_alu instid0(VALU_DEP_1) | instskip(NEXT) | instid1(VALU_DEP_1)
	v_lshlrev_b64 v[14:15], 2, v[14:15]
	v_add_co_u32 v14, vcc_lo, v12, v14
	s_delay_alu instid0(VALU_DEP_2)
	v_add_co_ci_u32_e32 v15, vcc_lo, v13, v15, vcc_lo
	global_store_b32 v[14:15], v68, off
	s_or_b32 exec_lo, exec_lo, s17
	s_and_saveexec_b32 s17, s12
	s_cbranch_execz .LBB225_266
.LBB225_325:
	v_sub_nc_u32_e32 v14, v59, v2
	v_mov_b32_e32 v15, 0
	s_delay_alu instid0(VALU_DEP_1) | instskip(NEXT) | instid1(VALU_DEP_1)
	v_lshlrev_b64 v[14:15], 2, v[14:15]
	v_add_co_u32 v14, vcc_lo, v12, v14
	s_delay_alu instid0(VALU_DEP_2)
	v_add_co_ci_u32_e32 v15, vcc_lo, v13, v15, vcc_lo
	global_store_b32 v[14:15], v67, off
	s_or_b32 exec_lo, exec_lo, s17
	s_and_saveexec_b32 s17, s11
	s_cbranch_execz .LBB225_267
.LBB225_326:
	v_sub_nc_u32_e32 v14, v48, v2
	v_mov_b32_e32 v15, 0
	s_delay_alu instid0(VALU_DEP_1) | instskip(NEXT) | instid1(VALU_DEP_1)
	v_lshlrev_b64 v[14:15], 2, v[14:15]
	v_add_co_u32 v14, vcc_lo, v12, v14
	s_delay_alu instid0(VALU_DEP_2)
	v_add_co_ci_u32_e32 v15, vcc_lo, v13, v15, vcc_lo
	global_store_b32 v[14:15], v66, off
	s_or_b32 exec_lo, exec_lo, s17
	s_and_saveexec_b32 s17, s10
	s_cbranch_execz .LBB225_268
.LBB225_327:
	v_sub_nc_u32_e32 v14, v46, v2
	v_mov_b32_e32 v15, 0
	s_delay_alu instid0(VALU_DEP_1) | instskip(NEXT) | instid1(VALU_DEP_1)
	v_lshlrev_b64 v[14:15], 2, v[14:15]
	v_add_co_u32 v14, vcc_lo, v12, v14
	s_delay_alu instid0(VALU_DEP_2)
	v_add_co_ci_u32_e32 v15, vcc_lo, v13, v15, vcc_lo
	global_store_b32 v[14:15], v65, off
	s_or_b32 exec_lo, exec_lo, s17
	s_and_saveexec_b32 s17, s9
	s_cbranch_execz .LBB225_269
.LBB225_328:
	v_sub_nc_u32_e32 v14, v45, v2
	v_mov_b32_e32 v15, 0
	s_delay_alu instid0(VALU_DEP_1) | instskip(NEXT) | instid1(VALU_DEP_1)
	v_lshlrev_b64 v[14:15], 2, v[14:15]
	v_add_co_u32 v14, vcc_lo, v12, v14
	s_delay_alu instid0(VALU_DEP_2)
	v_add_co_ci_u32_e32 v15, vcc_lo, v13, v15, vcc_lo
	global_store_b32 v[14:15], v64, off
	s_or_b32 exec_lo, exec_lo, s17
	s_and_saveexec_b32 s17, s8
	s_cbranch_execz .LBB225_270
.LBB225_329:
	v_sub_nc_u32_e32 v14, v44, v2
	v_mov_b32_e32 v15, 0
	s_delay_alu instid0(VALU_DEP_1) | instskip(NEXT) | instid1(VALU_DEP_1)
	v_lshlrev_b64 v[14:15], 2, v[14:15]
	v_add_co_u32 v14, vcc_lo, v12, v14
	s_delay_alu instid0(VALU_DEP_2)
	v_add_co_ci_u32_e32 v15, vcc_lo, v13, v15, vcc_lo
	global_store_b32 v[14:15], v63, off
	s_or_b32 exec_lo, exec_lo, s17
	s_and_saveexec_b32 s17, s7
	s_cbranch_execz .LBB225_271
.LBB225_330:
	v_sub_nc_u32_e32 v14, v43, v2
	v_mov_b32_e32 v15, 0
	s_delay_alu instid0(VALU_DEP_1) | instskip(NEXT) | instid1(VALU_DEP_1)
	v_lshlrev_b64 v[14:15], 2, v[14:15]
	v_add_co_u32 v14, vcc_lo, v12, v14
	s_delay_alu instid0(VALU_DEP_2)
	v_add_co_ci_u32_e32 v15, vcc_lo, v13, v15, vcc_lo
	global_store_b32 v[14:15], v62, off
	s_or_b32 exec_lo, exec_lo, s17
	s_and_saveexec_b32 s17, s6
	s_cbranch_execz .LBB225_272
.LBB225_331:
	v_sub_nc_u32_e32 v14, v42, v2
	v_mov_b32_e32 v15, 0
	s_delay_alu instid0(VALU_DEP_1) | instskip(NEXT) | instid1(VALU_DEP_1)
	v_lshlrev_b64 v[14:15], 2, v[14:15]
	v_add_co_u32 v14, vcc_lo, v12, v14
	s_delay_alu instid0(VALU_DEP_2)
	v_add_co_ci_u32_e32 v15, vcc_lo, v13, v15, vcc_lo
	global_store_b32 v[14:15], v61, off
	s_or_b32 exec_lo, exec_lo, s17
	s_and_saveexec_b32 s17, s5
	s_cbranch_execz .LBB225_273
.LBB225_332:
	v_sub_nc_u32_e32 v14, v41, v2
	v_mov_b32_e32 v15, 0
	s_delay_alu instid0(VALU_DEP_1) | instskip(NEXT) | instid1(VALU_DEP_1)
	v_lshlrev_b64 v[14:15], 2, v[14:15]
	v_add_co_u32 v14, vcc_lo, v12, v14
	s_delay_alu instid0(VALU_DEP_2)
	v_add_co_ci_u32_e32 v15, vcc_lo, v13, v15, vcc_lo
	global_store_b32 v[14:15], v56, off
	s_or_b32 exec_lo, exec_lo, s17
	s_and_saveexec_b32 s17, s4
	s_cbranch_execz .LBB225_274
.LBB225_333:
	v_sub_nc_u32_e32 v14, v40, v2
	v_mov_b32_e32 v15, 0
	s_delay_alu instid0(VALU_DEP_1) | instskip(NEXT) | instid1(VALU_DEP_1)
	v_lshlrev_b64 v[14:15], 2, v[14:15]
	v_add_co_u32 v14, vcc_lo, v12, v14
	s_delay_alu instid0(VALU_DEP_2)
	v_add_co_ci_u32_e32 v15, vcc_lo, v13, v15, vcc_lo
	global_store_b32 v[14:15], v55, off
	s_or_b32 exec_lo, exec_lo, s17
	s_and_saveexec_b32 s17, s3
	s_cbranch_execz .LBB225_275
.LBB225_334:
	v_sub_nc_u32_e32 v14, v39, v2
	v_mov_b32_e32 v15, 0
	s_delay_alu instid0(VALU_DEP_1) | instskip(NEXT) | instid1(VALU_DEP_1)
	v_lshlrev_b64 v[14:15], 2, v[14:15]
	v_add_co_u32 v14, vcc_lo, v12, v14
	s_delay_alu instid0(VALU_DEP_2)
	v_add_co_ci_u32_e32 v15, vcc_lo, v13, v15, vcc_lo
	global_store_b32 v[14:15], v53, off
	s_or_b32 exec_lo, exec_lo, s17
	s_and_saveexec_b32 s17, s2
	s_cbranch_execz .LBB225_276
.LBB225_335:
	v_sub_nc_u32_e32 v14, v38, v2
	v_mov_b32_e32 v15, 0
	s_delay_alu instid0(VALU_DEP_1) | instskip(NEXT) | instid1(VALU_DEP_1)
	v_lshlrev_b64 v[14:15], 2, v[14:15]
	v_add_co_u32 v14, vcc_lo, v12, v14
	s_delay_alu instid0(VALU_DEP_2)
	v_add_co_ci_u32_e32 v15, vcc_lo, v13, v15, vcc_lo
	global_store_b32 v[14:15], v54, off
	s_or_b32 exec_lo, exec_lo, s17
	s_and_saveexec_b32 s17, s1
	s_cbranch_execnz .LBB225_277
	s_branch .LBB225_278
.LBB225_336:
	v_sub_nc_u32_e32 v3, v4, v2
	s_delay_alu instid0(VALU_DEP_1)
	v_lshlrev_b32_e32 v3, 2, v3
	ds_store_b32 v3, v69
	s_or_b32 exec_lo, exec_lo, s17
	s_and_saveexec_b32 s14, s13
	s_cbranch_execz .LBB225_282
.LBB225_337:
	v_sub_nc_u32_e32 v3, v47, v2
	s_delay_alu instid0(VALU_DEP_1)
	v_lshlrev_b32_e32 v3, 2, v3
	ds_store_b32 v3, v68
	s_or_b32 exec_lo, exec_lo, s14
	s_and_saveexec_b32 s13, s12
	s_cbranch_execz .LBB225_283
.LBB225_338:
	v_sub_nc_u32_e32 v3, v59, v2
	s_delay_alu instid0(VALU_DEP_1)
	v_lshlrev_b32_e32 v3, 2, v3
	ds_store_b32 v3, v67
	s_or_b32 exec_lo, exec_lo, s13
	s_and_saveexec_b32 s12, s11
	s_cbranch_execz .LBB225_284
.LBB225_339:
	v_sub_nc_u32_e32 v3, v48, v2
	s_delay_alu instid0(VALU_DEP_1)
	v_lshlrev_b32_e32 v3, 2, v3
	ds_store_b32 v3, v66
	s_or_b32 exec_lo, exec_lo, s12
	s_and_saveexec_b32 s11, s10
	s_cbranch_execz .LBB225_285
.LBB225_340:
	v_sub_nc_u32_e32 v3, v46, v2
	s_delay_alu instid0(VALU_DEP_1)
	v_lshlrev_b32_e32 v3, 2, v3
	ds_store_b32 v3, v65
	s_or_b32 exec_lo, exec_lo, s11
	s_and_saveexec_b32 s10, s9
	s_cbranch_execz .LBB225_286
.LBB225_341:
	v_sub_nc_u32_e32 v3, v45, v2
	s_delay_alu instid0(VALU_DEP_1)
	v_lshlrev_b32_e32 v3, 2, v3
	ds_store_b32 v3, v64
	s_or_b32 exec_lo, exec_lo, s10
	s_and_saveexec_b32 s9, s8
	s_cbranch_execz .LBB225_287
.LBB225_342:
	v_sub_nc_u32_e32 v3, v44, v2
	s_delay_alu instid0(VALU_DEP_1)
	v_lshlrev_b32_e32 v3, 2, v3
	ds_store_b32 v3, v63
	s_or_b32 exec_lo, exec_lo, s9
	s_and_saveexec_b32 s8, s7
	s_cbranch_execz .LBB225_288
.LBB225_343:
	v_sub_nc_u32_e32 v3, v43, v2
	s_delay_alu instid0(VALU_DEP_1)
	v_lshlrev_b32_e32 v3, 2, v3
	ds_store_b32 v3, v62
	s_or_b32 exec_lo, exec_lo, s8
	s_and_saveexec_b32 s7, s6
	s_cbranch_execz .LBB225_289
.LBB225_344:
	v_sub_nc_u32_e32 v3, v42, v2
	s_delay_alu instid0(VALU_DEP_1)
	v_lshlrev_b32_e32 v3, 2, v3
	ds_store_b32 v3, v61
	s_or_b32 exec_lo, exec_lo, s7
	s_and_saveexec_b32 s6, s5
	s_cbranch_execz .LBB225_290
.LBB225_345:
	v_sub_nc_u32_e32 v3, v41, v2
	s_delay_alu instid0(VALU_DEP_1)
	v_lshlrev_b32_e32 v3, 2, v3
	ds_store_b32 v3, v56
	s_or_b32 exec_lo, exec_lo, s6
	s_and_saveexec_b32 s5, s4
	s_cbranch_execz .LBB225_291
.LBB225_346:
	v_sub_nc_u32_e32 v3, v40, v2
	s_delay_alu instid0(VALU_DEP_1)
	v_lshlrev_b32_e32 v3, 2, v3
	ds_store_b32 v3, v55
	s_or_b32 exec_lo, exec_lo, s5
	s_and_saveexec_b32 s4, s3
	s_cbranch_execz .LBB225_292
.LBB225_347:
	v_sub_nc_u32_e32 v3, v39, v2
	s_delay_alu instid0(VALU_DEP_1)
	v_lshlrev_b32_e32 v3, 2, v3
	ds_store_b32 v3, v53
	s_or_b32 exec_lo, exec_lo, s4
	s_and_saveexec_b32 s3, s2
	s_cbranch_execz .LBB225_293
.LBB225_348:
	v_sub_nc_u32_e32 v3, v38, v2
	s_delay_alu instid0(VALU_DEP_1)
	v_lshlrev_b32_e32 v3, 2, v3
	ds_store_b32 v3, v54
	s_or_b32 exec_lo, exec_lo, s3
	s_and_saveexec_b32 s2, s1
	s_cbranch_execnz .LBB225_294
	s_branch .LBB225_295
	.section	.rodata,"a",@progbits
	.p2align	6, 0x0
	.amdhsa_kernel _ZN7rocprim17ROCPRIM_400000_NS6detail17trampoline_kernelINS0_14default_configENS1_29reduce_by_key_config_selectorIffN6thrust23THRUST_200600_302600_NS4plusIfEEEEZZNS1_33reduce_by_key_impl_wrapped_configILNS1_25lookback_scan_determinismE0ES3_S9_NS6_6detail15normal_iteratorINS6_10device_ptrIfEEEESG_SG_SG_PmS8_22is_equal_div_10_reduceIfEEE10hipError_tPvRmT2_T3_mT4_T5_T6_T7_T8_P12ihipStream_tbENKUlT_T0_E_clISt17integral_constantIbLb1EES10_IbLb0EEEEDaSW_SX_EUlSW_E_NS1_11comp_targetILNS1_3genE9ELNS1_11target_archE1100ELNS1_3gpuE3ELNS1_3repE0EEENS1_30default_config_static_selectorELNS0_4arch9wavefront6targetE0EEEvT1_
		.amdhsa_group_segment_fixed_size 15360
		.amdhsa_private_segment_fixed_size 0
		.amdhsa_kernarg_size 120
		.amdhsa_user_sgpr_count 15
		.amdhsa_user_sgpr_dispatch_ptr 0
		.amdhsa_user_sgpr_queue_ptr 0
		.amdhsa_user_sgpr_kernarg_segment_ptr 1
		.amdhsa_user_sgpr_dispatch_id 0
		.amdhsa_user_sgpr_private_segment_size 0
		.amdhsa_wavefront_size32 1
		.amdhsa_uses_dynamic_stack 0
		.amdhsa_enable_private_segment 0
		.amdhsa_system_sgpr_workgroup_id_x 1
		.amdhsa_system_sgpr_workgroup_id_y 0
		.amdhsa_system_sgpr_workgroup_id_z 0
		.amdhsa_system_sgpr_workgroup_info 0
		.amdhsa_system_vgpr_workitem_id 0
		.amdhsa_next_free_vgpr 85
		.amdhsa_next_free_sgpr 44
		.amdhsa_reserve_vcc 1
		.amdhsa_float_round_mode_32 0
		.amdhsa_float_round_mode_16_64 0
		.amdhsa_float_denorm_mode_32 3
		.amdhsa_float_denorm_mode_16_64 3
		.amdhsa_dx10_clamp 1
		.amdhsa_ieee_mode 1
		.amdhsa_fp16_overflow 0
		.amdhsa_workgroup_processor_mode 1
		.amdhsa_memory_ordered 1
		.amdhsa_forward_progress 0
		.amdhsa_shared_vgpr_count 0
		.amdhsa_exception_fp_ieee_invalid_op 0
		.amdhsa_exception_fp_denorm_src 0
		.amdhsa_exception_fp_ieee_div_zero 0
		.amdhsa_exception_fp_ieee_overflow 0
		.amdhsa_exception_fp_ieee_underflow 0
		.amdhsa_exception_fp_ieee_inexact 0
		.amdhsa_exception_int_div_zero 0
	.end_amdhsa_kernel
	.section	.text._ZN7rocprim17ROCPRIM_400000_NS6detail17trampoline_kernelINS0_14default_configENS1_29reduce_by_key_config_selectorIffN6thrust23THRUST_200600_302600_NS4plusIfEEEEZZNS1_33reduce_by_key_impl_wrapped_configILNS1_25lookback_scan_determinismE0ES3_S9_NS6_6detail15normal_iteratorINS6_10device_ptrIfEEEESG_SG_SG_PmS8_22is_equal_div_10_reduceIfEEE10hipError_tPvRmT2_T3_mT4_T5_T6_T7_T8_P12ihipStream_tbENKUlT_T0_E_clISt17integral_constantIbLb1EES10_IbLb0EEEEDaSW_SX_EUlSW_E_NS1_11comp_targetILNS1_3genE9ELNS1_11target_archE1100ELNS1_3gpuE3ELNS1_3repE0EEENS1_30default_config_static_selectorELNS0_4arch9wavefront6targetE0EEEvT1_,"axG",@progbits,_ZN7rocprim17ROCPRIM_400000_NS6detail17trampoline_kernelINS0_14default_configENS1_29reduce_by_key_config_selectorIffN6thrust23THRUST_200600_302600_NS4plusIfEEEEZZNS1_33reduce_by_key_impl_wrapped_configILNS1_25lookback_scan_determinismE0ES3_S9_NS6_6detail15normal_iteratorINS6_10device_ptrIfEEEESG_SG_SG_PmS8_22is_equal_div_10_reduceIfEEE10hipError_tPvRmT2_T3_mT4_T5_T6_T7_T8_P12ihipStream_tbENKUlT_T0_E_clISt17integral_constantIbLb1EES10_IbLb0EEEEDaSW_SX_EUlSW_E_NS1_11comp_targetILNS1_3genE9ELNS1_11target_archE1100ELNS1_3gpuE3ELNS1_3repE0EEENS1_30default_config_static_selectorELNS0_4arch9wavefront6targetE0EEEvT1_,comdat
.Lfunc_end225:
	.size	_ZN7rocprim17ROCPRIM_400000_NS6detail17trampoline_kernelINS0_14default_configENS1_29reduce_by_key_config_selectorIffN6thrust23THRUST_200600_302600_NS4plusIfEEEEZZNS1_33reduce_by_key_impl_wrapped_configILNS1_25lookback_scan_determinismE0ES3_S9_NS6_6detail15normal_iteratorINS6_10device_ptrIfEEEESG_SG_SG_PmS8_22is_equal_div_10_reduceIfEEE10hipError_tPvRmT2_T3_mT4_T5_T6_T7_T8_P12ihipStream_tbENKUlT_T0_E_clISt17integral_constantIbLb1EES10_IbLb0EEEEDaSW_SX_EUlSW_E_NS1_11comp_targetILNS1_3genE9ELNS1_11target_archE1100ELNS1_3gpuE3ELNS1_3repE0EEENS1_30default_config_static_selectorELNS0_4arch9wavefront6targetE0EEEvT1_, .Lfunc_end225-_ZN7rocprim17ROCPRIM_400000_NS6detail17trampoline_kernelINS0_14default_configENS1_29reduce_by_key_config_selectorIffN6thrust23THRUST_200600_302600_NS4plusIfEEEEZZNS1_33reduce_by_key_impl_wrapped_configILNS1_25lookback_scan_determinismE0ES3_S9_NS6_6detail15normal_iteratorINS6_10device_ptrIfEEEESG_SG_SG_PmS8_22is_equal_div_10_reduceIfEEE10hipError_tPvRmT2_T3_mT4_T5_T6_T7_T8_P12ihipStream_tbENKUlT_T0_E_clISt17integral_constantIbLb1EES10_IbLb0EEEEDaSW_SX_EUlSW_E_NS1_11comp_targetILNS1_3genE9ELNS1_11target_archE1100ELNS1_3gpuE3ELNS1_3repE0EEENS1_30default_config_static_selectorELNS0_4arch9wavefront6targetE0EEEvT1_
                                        ; -- End function
	.section	.AMDGPU.csdata,"",@progbits
; Kernel info:
; codeLenInByte = 20900
; NumSgprs: 46
; NumVgprs: 85
; ScratchSize: 0
; MemoryBound: 0
; FloatMode: 240
; IeeeMode: 1
; LDSByteSize: 15360 bytes/workgroup (compile time only)
; SGPRBlocks: 5
; VGPRBlocks: 10
; NumSGPRsForWavesPerEU: 46
; NumVGPRsForWavesPerEU: 85
; Occupancy: 16
; WaveLimiterHint : 1
; COMPUTE_PGM_RSRC2:SCRATCH_EN: 0
; COMPUTE_PGM_RSRC2:USER_SGPR: 15
; COMPUTE_PGM_RSRC2:TRAP_HANDLER: 0
; COMPUTE_PGM_RSRC2:TGID_X_EN: 1
; COMPUTE_PGM_RSRC2:TGID_Y_EN: 0
; COMPUTE_PGM_RSRC2:TGID_Z_EN: 0
; COMPUTE_PGM_RSRC2:TIDIG_COMP_CNT: 0
	.section	.text._ZN7rocprim17ROCPRIM_400000_NS6detail17trampoline_kernelINS0_14default_configENS1_29reduce_by_key_config_selectorIffN6thrust23THRUST_200600_302600_NS4plusIfEEEEZZNS1_33reduce_by_key_impl_wrapped_configILNS1_25lookback_scan_determinismE0ES3_S9_NS6_6detail15normal_iteratorINS6_10device_ptrIfEEEESG_SG_SG_PmS8_22is_equal_div_10_reduceIfEEE10hipError_tPvRmT2_T3_mT4_T5_T6_T7_T8_P12ihipStream_tbENKUlT_T0_E_clISt17integral_constantIbLb1EES10_IbLb0EEEEDaSW_SX_EUlSW_E_NS1_11comp_targetILNS1_3genE8ELNS1_11target_archE1030ELNS1_3gpuE2ELNS1_3repE0EEENS1_30default_config_static_selectorELNS0_4arch9wavefront6targetE0EEEvT1_,"axG",@progbits,_ZN7rocprim17ROCPRIM_400000_NS6detail17trampoline_kernelINS0_14default_configENS1_29reduce_by_key_config_selectorIffN6thrust23THRUST_200600_302600_NS4plusIfEEEEZZNS1_33reduce_by_key_impl_wrapped_configILNS1_25lookback_scan_determinismE0ES3_S9_NS6_6detail15normal_iteratorINS6_10device_ptrIfEEEESG_SG_SG_PmS8_22is_equal_div_10_reduceIfEEE10hipError_tPvRmT2_T3_mT4_T5_T6_T7_T8_P12ihipStream_tbENKUlT_T0_E_clISt17integral_constantIbLb1EES10_IbLb0EEEEDaSW_SX_EUlSW_E_NS1_11comp_targetILNS1_3genE8ELNS1_11target_archE1030ELNS1_3gpuE2ELNS1_3repE0EEENS1_30default_config_static_selectorELNS0_4arch9wavefront6targetE0EEEvT1_,comdat
	.protected	_ZN7rocprim17ROCPRIM_400000_NS6detail17trampoline_kernelINS0_14default_configENS1_29reduce_by_key_config_selectorIffN6thrust23THRUST_200600_302600_NS4plusIfEEEEZZNS1_33reduce_by_key_impl_wrapped_configILNS1_25lookback_scan_determinismE0ES3_S9_NS6_6detail15normal_iteratorINS6_10device_ptrIfEEEESG_SG_SG_PmS8_22is_equal_div_10_reduceIfEEE10hipError_tPvRmT2_T3_mT4_T5_T6_T7_T8_P12ihipStream_tbENKUlT_T0_E_clISt17integral_constantIbLb1EES10_IbLb0EEEEDaSW_SX_EUlSW_E_NS1_11comp_targetILNS1_3genE8ELNS1_11target_archE1030ELNS1_3gpuE2ELNS1_3repE0EEENS1_30default_config_static_selectorELNS0_4arch9wavefront6targetE0EEEvT1_ ; -- Begin function _ZN7rocprim17ROCPRIM_400000_NS6detail17trampoline_kernelINS0_14default_configENS1_29reduce_by_key_config_selectorIffN6thrust23THRUST_200600_302600_NS4plusIfEEEEZZNS1_33reduce_by_key_impl_wrapped_configILNS1_25lookback_scan_determinismE0ES3_S9_NS6_6detail15normal_iteratorINS6_10device_ptrIfEEEESG_SG_SG_PmS8_22is_equal_div_10_reduceIfEEE10hipError_tPvRmT2_T3_mT4_T5_T6_T7_T8_P12ihipStream_tbENKUlT_T0_E_clISt17integral_constantIbLb1EES10_IbLb0EEEEDaSW_SX_EUlSW_E_NS1_11comp_targetILNS1_3genE8ELNS1_11target_archE1030ELNS1_3gpuE2ELNS1_3repE0EEENS1_30default_config_static_selectorELNS0_4arch9wavefront6targetE0EEEvT1_
	.globl	_ZN7rocprim17ROCPRIM_400000_NS6detail17trampoline_kernelINS0_14default_configENS1_29reduce_by_key_config_selectorIffN6thrust23THRUST_200600_302600_NS4plusIfEEEEZZNS1_33reduce_by_key_impl_wrapped_configILNS1_25lookback_scan_determinismE0ES3_S9_NS6_6detail15normal_iteratorINS6_10device_ptrIfEEEESG_SG_SG_PmS8_22is_equal_div_10_reduceIfEEE10hipError_tPvRmT2_T3_mT4_T5_T6_T7_T8_P12ihipStream_tbENKUlT_T0_E_clISt17integral_constantIbLb1EES10_IbLb0EEEEDaSW_SX_EUlSW_E_NS1_11comp_targetILNS1_3genE8ELNS1_11target_archE1030ELNS1_3gpuE2ELNS1_3repE0EEENS1_30default_config_static_selectorELNS0_4arch9wavefront6targetE0EEEvT1_
	.p2align	8
	.type	_ZN7rocprim17ROCPRIM_400000_NS6detail17trampoline_kernelINS0_14default_configENS1_29reduce_by_key_config_selectorIffN6thrust23THRUST_200600_302600_NS4plusIfEEEEZZNS1_33reduce_by_key_impl_wrapped_configILNS1_25lookback_scan_determinismE0ES3_S9_NS6_6detail15normal_iteratorINS6_10device_ptrIfEEEESG_SG_SG_PmS8_22is_equal_div_10_reduceIfEEE10hipError_tPvRmT2_T3_mT4_T5_T6_T7_T8_P12ihipStream_tbENKUlT_T0_E_clISt17integral_constantIbLb1EES10_IbLb0EEEEDaSW_SX_EUlSW_E_NS1_11comp_targetILNS1_3genE8ELNS1_11target_archE1030ELNS1_3gpuE2ELNS1_3repE0EEENS1_30default_config_static_selectorELNS0_4arch9wavefront6targetE0EEEvT1_,@function
_ZN7rocprim17ROCPRIM_400000_NS6detail17trampoline_kernelINS0_14default_configENS1_29reduce_by_key_config_selectorIffN6thrust23THRUST_200600_302600_NS4plusIfEEEEZZNS1_33reduce_by_key_impl_wrapped_configILNS1_25lookback_scan_determinismE0ES3_S9_NS6_6detail15normal_iteratorINS6_10device_ptrIfEEEESG_SG_SG_PmS8_22is_equal_div_10_reduceIfEEE10hipError_tPvRmT2_T3_mT4_T5_T6_T7_T8_P12ihipStream_tbENKUlT_T0_E_clISt17integral_constantIbLb1EES10_IbLb0EEEEDaSW_SX_EUlSW_E_NS1_11comp_targetILNS1_3genE8ELNS1_11target_archE1030ELNS1_3gpuE2ELNS1_3repE0EEENS1_30default_config_static_selectorELNS0_4arch9wavefront6targetE0EEEvT1_: ; @_ZN7rocprim17ROCPRIM_400000_NS6detail17trampoline_kernelINS0_14default_configENS1_29reduce_by_key_config_selectorIffN6thrust23THRUST_200600_302600_NS4plusIfEEEEZZNS1_33reduce_by_key_impl_wrapped_configILNS1_25lookback_scan_determinismE0ES3_S9_NS6_6detail15normal_iteratorINS6_10device_ptrIfEEEESG_SG_SG_PmS8_22is_equal_div_10_reduceIfEEE10hipError_tPvRmT2_T3_mT4_T5_T6_T7_T8_P12ihipStream_tbENKUlT_T0_E_clISt17integral_constantIbLb1EES10_IbLb0EEEEDaSW_SX_EUlSW_E_NS1_11comp_targetILNS1_3genE8ELNS1_11target_archE1030ELNS1_3gpuE2ELNS1_3repE0EEENS1_30default_config_static_selectorELNS0_4arch9wavefront6targetE0EEEvT1_
; %bb.0:
	.section	.rodata,"a",@progbits
	.p2align	6, 0x0
	.amdhsa_kernel _ZN7rocprim17ROCPRIM_400000_NS6detail17trampoline_kernelINS0_14default_configENS1_29reduce_by_key_config_selectorIffN6thrust23THRUST_200600_302600_NS4plusIfEEEEZZNS1_33reduce_by_key_impl_wrapped_configILNS1_25lookback_scan_determinismE0ES3_S9_NS6_6detail15normal_iteratorINS6_10device_ptrIfEEEESG_SG_SG_PmS8_22is_equal_div_10_reduceIfEEE10hipError_tPvRmT2_T3_mT4_T5_T6_T7_T8_P12ihipStream_tbENKUlT_T0_E_clISt17integral_constantIbLb1EES10_IbLb0EEEEDaSW_SX_EUlSW_E_NS1_11comp_targetILNS1_3genE8ELNS1_11target_archE1030ELNS1_3gpuE2ELNS1_3repE0EEENS1_30default_config_static_selectorELNS0_4arch9wavefront6targetE0EEEvT1_
		.amdhsa_group_segment_fixed_size 0
		.amdhsa_private_segment_fixed_size 0
		.amdhsa_kernarg_size 120
		.amdhsa_user_sgpr_count 15
		.amdhsa_user_sgpr_dispatch_ptr 0
		.amdhsa_user_sgpr_queue_ptr 0
		.amdhsa_user_sgpr_kernarg_segment_ptr 1
		.amdhsa_user_sgpr_dispatch_id 0
		.amdhsa_user_sgpr_private_segment_size 0
		.amdhsa_wavefront_size32 1
		.amdhsa_uses_dynamic_stack 0
		.amdhsa_enable_private_segment 0
		.amdhsa_system_sgpr_workgroup_id_x 1
		.amdhsa_system_sgpr_workgroup_id_y 0
		.amdhsa_system_sgpr_workgroup_id_z 0
		.amdhsa_system_sgpr_workgroup_info 0
		.amdhsa_system_vgpr_workitem_id 0
		.amdhsa_next_free_vgpr 1
		.amdhsa_next_free_sgpr 1
		.amdhsa_reserve_vcc 0
		.amdhsa_float_round_mode_32 0
		.amdhsa_float_round_mode_16_64 0
		.amdhsa_float_denorm_mode_32 3
		.amdhsa_float_denorm_mode_16_64 3
		.amdhsa_dx10_clamp 1
		.amdhsa_ieee_mode 1
		.amdhsa_fp16_overflow 0
		.amdhsa_workgroup_processor_mode 1
		.amdhsa_memory_ordered 1
		.amdhsa_forward_progress 0
		.amdhsa_shared_vgpr_count 0
		.amdhsa_exception_fp_ieee_invalid_op 0
		.amdhsa_exception_fp_denorm_src 0
		.amdhsa_exception_fp_ieee_div_zero 0
		.amdhsa_exception_fp_ieee_overflow 0
		.amdhsa_exception_fp_ieee_underflow 0
		.amdhsa_exception_fp_ieee_inexact 0
		.amdhsa_exception_int_div_zero 0
	.end_amdhsa_kernel
	.section	.text._ZN7rocprim17ROCPRIM_400000_NS6detail17trampoline_kernelINS0_14default_configENS1_29reduce_by_key_config_selectorIffN6thrust23THRUST_200600_302600_NS4plusIfEEEEZZNS1_33reduce_by_key_impl_wrapped_configILNS1_25lookback_scan_determinismE0ES3_S9_NS6_6detail15normal_iteratorINS6_10device_ptrIfEEEESG_SG_SG_PmS8_22is_equal_div_10_reduceIfEEE10hipError_tPvRmT2_T3_mT4_T5_T6_T7_T8_P12ihipStream_tbENKUlT_T0_E_clISt17integral_constantIbLb1EES10_IbLb0EEEEDaSW_SX_EUlSW_E_NS1_11comp_targetILNS1_3genE8ELNS1_11target_archE1030ELNS1_3gpuE2ELNS1_3repE0EEENS1_30default_config_static_selectorELNS0_4arch9wavefront6targetE0EEEvT1_,"axG",@progbits,_ZN7rocprim17ROCPRIM_400000_NS6detail17trampoline_kernelINS0_14default_configENS1_29reduce_by_key_config_selectorIffN6thrust23THRUST_200600_302600_NS4plusIfEEEEZZNS1_33reduce_by_key_impl_wrapped_configILNS1_25lookback_scan_determinismE0ES3_S9_NS6_6detail15normal_iteratorINS6_10device_ptrIfEEEESG_SG_SG_PmS8_22is_equal_div_10_reduceIfEEE10hipError_tPvRmT2_T3_mT4_T5_T6_T7_T8_P12ihipStream_tbENKUlT_T0_E_clISt17integral_constantIbLb1EES10_IbLb0EEEEDaSW_SX_EUlSW_E_NS1_11comp_targetILNS1_3genE8ELNS1_11target_archE1030ELNS1_3gpuE2ELNS1_3repE0EEENS1_30default_config_static_selectorELNS0_4arch9wavefront6targetE0EEEvT1_,comdat
.Lfunc_end226:
	.size	_ZN7rocprim17ROCPRIM_400000_NS6detail17trampoline_kernelINS0_14default_configENS1_29reduce_by_key_config_selectorIffN6thrust23THRUST_200600_302600_NS4plusIfEEEEZZNS1_33reduce_by_key_impl_wrapped_configILNS1_25lookback_scan_determinismE0ES3_S9_NS6_6detail15normal_iteratorINS6_10device_ptrIfEEEESG_SG_SG_PmS8_22is_equal_div_10_reduceIfEEE10hipError_tPvRmT2_T3_mT4_T5_T6_T7_T8_P12ihipStream_tbENKUlT_T0_E_clISt17integral_constantIbLb1EES10_IbLb0EEEEDaSW_SX_EUlSW_E_NS1_11comp_targetILNS1_3genE8ELNS1_11target_archE1030ELNS1_3gpuE2ELNS1_3repE0EEENS1_30default_config_static_selectorELNS0_4arch9wavefront6targetE0EEEvT1_, .Lfunc_end226-_ZN7rocprim17ROCPRIM_400000_NS6detail17trampoline_kernelINS0_14default_configENS1_29reduce_by_key_config_selectorIffN6thrust23THRUST_200600_302600_NS4plusIfEEEEZZNS1_33reduce_by_key_impl_wrapped_configILNS1_25lookback_scan_determinismE0ES3_S9_NS6_6detail15normal_iteratorINS6_10device_ptrIfEEEESG_SG_SG_PmS8_22is_equal_div_10_reduceIfEEE10hipError_tPvRmT2_T3_mT4_T5_T6_T7_T8_P12ihipStream_tbENKUlT_T0_E_clISt17integral_constantIbLb1EES10_IbLb0EEEEDaSW_SX_EUlSW_E_NS1_11comp_targetILNS1_3genE8ELNS1_11target_archE1030ELNS1_3gpuE2ELNS1_3repE0EEENS1_30default_config_static_selectorELNS0_4arch9wavefront6targetE0EEEvT1_
                                        ; -- End function
	.section	.AMDGPU.csdata,"",@progbits
; Kernel info:
; codeLenInByte = 0
; NumSgprs: 0
; NumVgprs: 0
; ScratchSize: 0
; MemoryBound: 0
; FloatMode: 240
; IeeeMode: 1
; LDSByteSize: 0 bytes/workgroup (compile time only)
; SGPRBlocks: 0
; VGPRBlocks: 0
; NumSGPRsForWavesPerEU: 1
; NumVGPRsForWavesPerEU: 1
; Occupancy: 16
; WaveLimiterHint : 0
; COMPUTE_PGM_RSRC2:SCRATCH_EN: 0
; COMPUTE_PGM_RSRC2:USER_SGPR: 15
; COMPUTE_PGM_RSRC2:TRAP_HANDLER: 0
; COMPUTE_PGM_RSRC2:TGID_X_EN: 1
; COMPUTE_PGM_RSRC2:TGID_Y_EN: 0
; COMPUTE_PGM_RSRC2:TGID_Z_EN: 0
; COMPUTE_PGM_RSRC2:TIDIG_COMP_CNT: 0
	.section	.text._ZN7rocprim17ROCPRIM_400000_NS6detail17trampoline_kernelINS0_14default_configENS1_29reduce_by_key_config_selectorIffN6thrust23THRUST_200600_302600_NS4plusIfEEEEZZNS1_33reduce_by_key_impl_wrapped_configILNS1_25lookback_scan_determinismE0ES3_S9_NS6_6detail15normal_iteratorINS6_10device_ptrIfEEEESG_SG_SG_PmS8_22is_equal_div_10_reduceIfEEE10hipError_tPvRmT2_T3_mT4_T5_T6_T7_T8_P12ihipStream_tbENKUlT_T0_E_clISt17integral_constantIbLb0EES10_IbLb1EEEEDaSW_SX_EUlSW_E_NS1_11comp_targetILNS1_3genE0ELNS1_11target_archE4294967295ELNS1_3gpuE0ELNS1_3repE0EEENS1_30default_config_static_selectorELNS0_4arch9wavefront6targetE0EEEvT1_,"axG",@progbits,_ZN7rocprim17ROCPRIM_400000_NS6detail17trampoline_kernelINS0_14default_configENS1_29reduce_by_key_config_selectorIffN6thrust23THRUST_200600_302600_NS4plusIfEEEEZZNS1_33reduce_by_key_impl_wrapped_configILNS1_25lookback_scan_determinismE0ES3_S9_NS6_6detail15normal_iteratorINS6_10device_ptrIfEEEESG_SG_SG_PmS8_22is_equal_div_10_reduceIfEEE10hipError_tPvRmT2_T3_mT4_T5_T6_T7_T8_P12ihipStream_tbENKUlT_T0_E_clISt17integral_constantIbLb0EES10_IbLb1EEEEDaSW_SX_EUlSW_E_NS1_11comp_targetILNS1_3genE0ELNS1_11target_archE4294967295ELNS1_3gpuE0ELNS1_3repE0EEENS1_30default_config_static_selectorELNS0_4arch9wavefront6targetE0EEEvT1_,comdat
	.protected	_ZN7rocprim17ROCPRIM_400000_NS6detail17trampoline_kernelINS0_14default_configENS1_29reduce_by_key_config_selectorIffN6thrust23THRUST_200600_302600_NS4plusIfEEEEZZNS1_33reduce_by_key_impl_wrapped_configILNS1_25lookback_scan_determinismE0ES3_S9_NS6_6detail15normal_iteratorINS6_10device_ptrIfEEEESG_SG_SG_PmS8_22is_equal_div_10_reduceIfEEE10hipError_tPvRmT2_T3_mT4_T5_T6_T7_T8_P12ihipStream_tbENKUlT_T0_E_clISt17integral_constantIbLb0EES10_IbLb1EEEEDaSW_SX_EUlSW_E_NS1_11comp_targetILNS1_3genE0ELNS1_11target_archE4294967295ELNS1_3gpuE0ELNS1_3repE0EEENS1_30default_config_static_selectorELNS0_4arch9wavefront6targetE0EEEvT1_ ; -- Begin function _ZN7rocprim17ROCPRIM_400000_NS6detail17trampoline_kernelINS0_14default_configENS1_29reduce_by_key_config_selectorIffN6thrust23THRUST_200600_302600_NS4plusIfEEEEZZNS1_33reduce_by_key_impl_wrapped_configILNS1_25lookback_scan_determinismE0ES3_S9_NS6_6detail15normal_iteratorINS6_10device_ptrIfEEEESG_SG_SG_PmS8_22is_equal_div_10_reduceIfEEE10hipError_tPvRmT2_T3_mT4_T5_T6_T7_T8_P12ihipStream_tbENKUlT_T0_E_clISt17integral_constantIbLb0EES10_IbLb1EEEEDaSW_SX_EUlSW_E_NS1_11comp_targetILNS1_3genE0ELNS1_11target_archE4294967295ELNS1_3gpuE0ELNS1_3repE0EEENS1_30default_config_static_selectorELNS0_4arch9wavefront6targetE0EEEvT1_
	.globl	_ZN7rocprim17ROCPRIM_400000_NS6detail17trampoline_kernelINS0_14default_configENS1_29reduce_by_key_config_selectorIffN6thrust23THRUST_200600_302600_NS4plusIfEEEEZZNS1_33reduce_by_key_impl_wrapped_configILNS1_25lookback_scan_determinismE0ES3_S9_NS6_6detail15normal_iteratorINS6_10device_ptrIfEEEESG_SG_SG_PmS8_22is_equal_div_10_reduceIfEEE10hipError_tPvRmT2_T3_mT4_T5_T6_T7_T8_P12ihipStream_tbENKUlT_T0_E_clISt17integral_constantIbLb0EES10_IbLb1EEEEDaSW_SX_EUlSW_E_NS1_11comp_targetILNS1_3genE0ELNS1_11target_archE4294967295ELNS1_3gpuE0ELNS1_3repE0EEENS1_30default_config_static_selectorELNS0_4arch9wavefront6targetE0EEEvT1_
	.p2align	8
	.type	_ZN7rocprim17ROCPRIM_400000_NS6detail17trampoline_kernelINS0_14default_configENS1_29reduce_by_key_config_selectorIffN6thrust23THRUST_200600_302600_NS4plusIfEEEEZZNS1_33reduce_by_key_impl_wrapped_configILNS1_25lookback_scan_determinismE0ES3_S9_NS6_6detail15normal_iteratorINS6_10device_ptrIfEEEESG_SG_SG_PmS8_22is_equal_div_10_reduceIfEEE10hipError_tPvRmT2_T3_mT4_T5_T6_T7_T8_P12ihipStream_tbENKUlT_T0_E_clISt17integral_constantIbLb0EES10_IbLb1EEEEDaSW_SX_EUlSW_E_NS1_11comp_targetILNS1_3genE0ELNS1_11target_archE4294967295ELNS1_3gpuE0ELNS1_3repE0EEENS1_30default_config_static_selectorELNS0_4arch9wavefront6targetE0EEEvT1_,@function
_ZN7rocprim17ROCPRIM_400000_NS6detail17trampoline_kernelINS0_14default_configENS1_29reduce_by_key_config_selectorIffN6thrust23THRUST_200600_302600_NS4plusIfEEEEZZNS1_33reduce_by_key_impl_wrapped_configILNS1_25lookback_scan_determinismE0ES3_S9_NS6_6detail15normal_iteratorINS6_10device_ptrIfEEEESG_SG_SG_PmS8_22is_equal_div_10_reduceIfEEE10hipError_tPvRmT2_T3_mT4_T5_T6_T7_T8_P12ihipStream_tbENKUlT_T0_E_clISt17integral_constantIbLb0EES10_IbLb1EEEEDaSW_SX_EUlSW_E_NS1_11comp_targetILNS1_3genE0ELNS1_11target_archE4294967295ELNS1_3gpuE0ELNS1_3repE0EEENS1_30default_config_static_selectorELNS0_4arch9wavefront6targetE0EEEvT1_: ; @_ZN7rocprim17ROCPRIM_400000_NS6detail17trampoline_kernelINS0_14default_configENS1_29reduce_by_key_config_selectorIffN6thrust23THRUST_200600_302600_NS4plusIfEEEEZZNS1_33reduce_by_key_impl_wrapped_configILNS1_25lookback_scan_determinismE0ES3_S9_NS6_6detail15normal_iteratorINS6_10device_ptrIfEEEESG_SG_SG_PmS8_22is_equal_div_10_reduceIfEEE10hipError_tPvRmT2_T3_mT4_T5_T6_T7_T8_P12ihipStream_tbENKUlT_T0_E_clISt17integral_constantIbLb0EES10_IbLb1EEEEDaSW_SX_EUlSW_E_NS1_11comp_targetILNS1_3genE0ELNS1_11target_archE4294967295ELNS1_3gpuE0ELNS1_3repE0EEENS1_30default_config_static_selectorELNS0_4arch9wavefront6targetE0EEEvT1_
; %bb.0:
	.section	.rodata,"a",@progbits
	.p2align	6, 0x0
	.amdhsa_kernel _ZN7rocprim17ROCPRIM_400000_NS6detail17trampoline_kernelINS0_14default_configENS1_29reduce_by_key_config_selectorIffN6thrust23THRUST_200600_302600_NS4plusIfEEEEZZNS1_33reduce_by_key_impl_wrapped_configILNS1_25lookback_scan_determinismE0ES3_S9_NS6_6detail15normal_iteratorINS6_10device_ptrIfEEEESG_SG_SG_PmS8_22is_equal_div_10_reduceIfEEE10hipError_tPvRmT2_T3_mT4_T5_T6_T7_T8_P12ihipStream_tbENKUlT_T0_E_clISt17integral_constantIbLb0EES10_IbLb1EEEEDaSW_SX_EUlSW_E_NS1_11comp_targetILNS1_3genE0ELNS1_11target_archE4294967295ELNS1_3gpuE0ELNS1_3repE0EEENS1_30default_config_static_selectorELNS0_4arch9wavefront6targetE0EEEvT1_
		.amdhsa_group_segment_fixed_size 0
		.amdhsa_private_segment_fixed_size 0
		.amdhsa_kernarg_size 120
		.amdhsa_user_sgpr_count 15
		.amdhsa_user_sgpr_dispatch_ptr 0
		.amdhsa_user_sgpr_queue_ptr 0
		.amdhsa_user_sgpr_kernarg_segment_ptr 1
		.amdhsa_user_sgpr_dispatch_id 0
		.amdhsa_user_sgpr_private_segment_size 0
		.amdhsa_wavefront_size32 1
		.amdhsa_uses_dynamic_stack 0
		.amdhsa_enable_private_segment 0
		.amdhsa_system_sgpr_workgroup_id_x 1
		.amdhsa_system_sgpr_workgroup_id_y 0
		.amdhsa_system_sgpr_workgroup_id_z 0
		.amdhsa_system_sgpr_workgroup_info 0
		.amdhsa_system_vgpr_workitem_id 0
		.amdhsa_next_free_vgpr 1
		.amdhsa_next_free_sgpr 1
		.amdhsa_reserve_vcc 0
		.amdhsa_float_round_mode_32 0
		.amdhsa_float_round_mode_16_64 0
		.amdhsa_float_denorm_mode_32 3
		.amdhsa_float_denorm_mode_16_64 3
		.amdhsa_dx10_clamp 1
		.amdhsa_ieee_mode 1
		.amdhsa_fp16_overflow 0
		.amdhsa_workgroup_processor_mode 1
		.amdhsa_memory_ordered 1
		.amdhsa_forward_progress 0
		.amdhsa_shared_vgpr_count 0
		.amdhsa_exception_fp_ieee_invalid_op 0
		.amdhsa_exception_fp_denorm_src 0
		.amdhsa_exception_fp_ieee_div_zero 0
		.amdhsa_exception_fp_ieee_overflow 0
		.amdhsa_exception_fp_ieee_underflow 0
		.amdhsa_exception_fp_ieee_inexact 0
		.amdhsa_exception_int_div_zero 0
	.end_amdhsa_kernel
	.section	.text._ZN7rocprim17ROCPRIM_400000_NS6detail17trampoline_kernelINS0_14default_configENS1_29reduce_by_key_config_selectorIffN6thrust23THRUST_200600_302600_NS4plusIfEEEEZZNS1_33reduce_by_key_impl_wrapped_configILNS1_25lookback_scan_determinismE0ES3_S9_NS6_6detail15normal_iteratorINS6_10device_ptrIfEEEESG_SG_SG_PmS8_22is_equal_div_10_reduceIfEEE10hipError_tPvRmT2_T3_mT4_T5_T6_T7_T8_P12ihipStream_tbENKUlT_T0_E_clISt17integral_constantIbLb0EES10_IbLb1EEEEDaSW_SX_EUlSW_E_NS1_11comp_targetILNS1_3genE0ELNS1_11target_archE4294967295ELNS1_3gpuE0ELNS1_3repE0EEENS1_30default_config_static_selectorELNS0_4arch9wavefront6targetE0EEEvT1_,"axG",@progbits,_ZN7rocprim17ROCPRIM_400000_NS6detail17trampoline_kernelINS0_14default_configENS1_29reduce_by_key_config_selectorIffN6thrust23THRUST_200600_302600_NS4plusIfEEEEZZNS1_33reduce_by_key_impl_wrapped_configILNS1_25lookback_scan_determinismE0ES3_S9_NS6_6detail15normal_iteratorINS6_10device_ptrIfEEEESG_SG_SG_PmS8_22is_equal_div_10_reduceIfEEE10hipError_tPvRmT2_T3_mT4_T5_T6_T7_T8_P12ihipStream_tbENKUlT_T0_E_clISt17integral_constantIbLb0EES10_IbLb1EEEEDaSW_SX_EUlSW_E_NS1_11comp_targetILNS1_3genE0ELNS1_11target_archE4294967295ELNS1_3gpuE0ELNS1_3repE0EEENS1_30default_config_static_selectorELNS0_4arch9wavefront6targetE0EEEvT1_,comdat
.Lfunc_end227:
	.size	_ZN7rocprim17ROCPRIM_400000_NS6detail17trampoline_kernelINS0_14default_configENS1_29reduce_by_key_config_selectorIffN6thrust23THRUST_200600_302600_NS4plusIfEEEEZZNS1_33reduce_by_key_impl_wrapped_configILNS1_25lookback_scan_determinismE0ES3_S9_NS6_6detail15normal_iteratorINS6_10device_ptrIfEEEESG_SG_SG_PmS8_22is_equal_div_10_reduceIfEEE10hipError_tPvRmT2_T3_mT4_T5_T6_T7_T8_P12ihipStream_tbENKUlT_T0_E_clISt17integral_constantIbLb0EES10_IbLb1EEEEDaSW_SX_EUlSW_E_NS1_11comp_targetILNS1_3genE0ELNS1_11target_archE4294967295ELNS1_3gpuE0ELNS1_3repE0EEENS1_30default_config_static_selectorELNS0_4arch9wavefront6targetE0EEEvT1_, .Lfunc_end227-_ZN7rocprim17ROCPRIM_400000_NS6detail17trampoline_kernelINS0_14default_configENS1_29reduce_by_key_config_selectorIffN6thrust23THRUST_200600_302600_NS4plusIfEEEEZZNS1_33reduce_by_key_impl_wrapped_configILNS1_25lookback_scan_determinismE0ES3_S9_NS6_6detail15normal_iteratorINS6_10device_ptrIfEEEESG_SG_SG_PmS8_22is_equal_div_10_reduceIfEEE10hipError_tPvRmT2_T3_mT4_T5_T6_T7_T8_P12ihipStream_tbENKUlT_T0_E_clISt17integral_constantIbLb0EES10_IbLb1EEEEDaSW_SX_EUlSW_E_NS1_11comp_targetILNS1_3genE0ELNS1_11target_archE4294967295ELNS1_3gpuE0ELNS1_3repE0EEENS1_30default_config_static_selectorELNS0_4arch9wavefront6targetE0EEEvT1_
                                        ; -- End function
	.section	.AMDGPU.csdata,"",@progbits
; Kernel info:
; codeLenInByte = 0
; NumSgprs: 0
; NumVgprs: 0
; ScratchSize: 0
; MemoryBound: 0
; FloatMode: 240
; IeeeMode: 1
; LDSByteSize: 0 bytes/workgroup (compile time only)
; SGPRBlocks: 0
; VGPRBlocks: 0
; NumSGPRsForWavesPerEU: 1
; NumVGPRsForWavesPerEU: 1
; Occupancy: 16
; WaveLimiterHint : 0
; COMPUTE_PGM_RSRC2:SCRATCH_EN: 0
; COMPUTE_PGM_RSRC2:USER_SGPR: 15
; COMPUTE_PGM_RSRC2:TRAP_HANDLER: 0
; COMPUTE_PGM_RSRC2:TGID_X_EN: 1
; COMPUTE_PGM_RSRC2:TGID_Y_EN: 0
; COMPUTE_PGM_RSRC2:TGID_Z_EN: 0
; COMPUTE_PGM_RSRC2:TIDIG_COMP_CNT: 0
	.section	.text._ZN7rocprim17ROCPRIM_400000_NS6detail17trampoline_kernelINS0_14default_configENS1_29reduce_by_key_config_selectorIffN6thrust23THRUST_200600_302600_NS4plusIfEEEEZZNS1_33reduce_by_key_impl_wrapped_configILNS1_25lookback_scan_determinismE0ES3_S9_NS6_6detail15normal_iteratorINS6_10device_ptrIfEEEESG_SG_SG_PmS8_22is_equal_div_10_reduceIfEEE10hipError_tPvRmT2_T3_mT4_T5_T6_T7_T8_P12ihipStream_tbENKUlT_T0_E_clISt17integral_constantIbLb0EES10_IbLb1EEEEDaSW_SX_EUlSW_E_NS1_11comp_targetILNS1_3genE5ELNS1_11target_archE942ELNS1_3gpuE9ELNS1_3repE0EEENS1_30default_config_static_selectorELNS0_4arch9wavefront6targetE0EEEvT1_,"axG",@progbits,_ZN7rocprim17ROCPRIM_400000_NS6detail17trampoline_kernelINS0_14default_configENS1_29reduce_by_key_config_selectorIffN6thrust23THRUST_200600_302600_NS4plusIfEEEEZZNS1_33reduce_by_key_impl_wrapped_configILNS1_25lookback_scan_determinismE0ES3_S9_NS6_6detail15normal_iteratorINS6_10device_ptrIfEEEESG_SG_SG_PmS8_22is_equal_div_10_reduceIfEEE10hipError_tPvRmT2_T3_mT4_T5_T6_T7_T8_P12ihipStream_tbENKUlT_T0_E_clISt17integral_constantIbLb0EES10_IbLb1EEEEDaSW_SX_EUlSW_E_NS1_11comp_targetILNS1_3genE5ELNS1_11target_archE942ELNS1_3gpuE9ELNS1_3repE0EEENS1_30default_config_static_selectorELNS0_4arch9wavefront6targetE0EEEvT1_,comdat
	.protected	_ZN7rocprim17ROCPRIM_400000_NS6detail17trampoline_kernelINS0_14default_configENS1_29reduce_by_key_config_selectorIffN6thrust23THRUST_200600_302600_NS4plusIfEEEEZZNS1_33reduce_by_key_impl_wrapped_configILNS1_25lookback_scan_determinismE0ES3_S9_NS6_6detail15normal_iteratorINS6_10device_ptrIfEEEESG_SG_SG_PmS8_22is_equal_div_10_reduceIfEEE10hipError_tPvRmT2_T3_mT4_T5_T6_T7_T8_P12ihipStream_tbENKUlT_T0_E_clISt17integral_constantIbLb0EES10_IbLb1EEEEDaSW_SX_EUlSW_E_NS1_11comp_targetILNS1_3genE5ELNS1_11target_archE942ELNS1_3gpuE9ELNS1_3repE0EEENS1_30default_config_static_selectorELNS0_4arch9wavefront6targetE0EEEvT1_ ; -- Begin function _ZN7rocprim17ROCPRIM_400000_NS6detail17trampoline_kernelINS0_14default_configENS1_29reduce_by_key_config_selectorIffN6thrust23THRUST_200600_302600_NS4plusIfEEEEZZNS1_33reduce_by_key_impl_wrapped_configILNS1_25lookback_scan_determinismE0ES3_S9_NS6_6detail15normal_iteratorINS6_10device_ptrIfEEEESG_SG_SG_PmS8_22is_equal_div_10_reduceIfEEE10hipError_tPvRmT2_T3_mT4_T5_T6_T7_T8_P12ihipStream_tbENKUlT_T0_E_clISt17integral_constantIbLb0EES10_IbLb1EEEEDaSW_SX_EUlSW_E_NS1_11comp_targetILNS1_3genE5ELNS1_11target_archE942ELNS1_3gpuE9ELNS1_3repE0EEENS1_30default_config_static_selectorELNS0_4arch9wavefront6targetE0EEEvT1_
	.globl	_ZN7rocprim17ROCPRIM_400000_NS6detail17trampoline_kernelINS0_14default_configENS1_29reduce_by_key_config_selectorIffN6thrust23THRUST_200600_302600_NS4plusIfEEEEZZNS1_33reduce_by_key_impl_wrapped_configILNS1_25lookback_scan_determinismE0ES3_S9_NS6_6detail15normal_iteratorINS6_10device_ptrIfEEEESG_SG_SG_PmS8_22is_equal_div_10_reduceIfEEE10hipError_tPvRmT2_T3_mT4_T5_T6_T7_T8_P12ihipStream_tbENKUlT_T0_E_clISt17integral_constantIbLb0EES10_IbLb1EEEEDaSW_SX_EUlSW_E_NS1_11comp_targetILNS1_3genE5ELNS1_11target_archE942ELNS1_3gpuE9ELNS1_3repE0EEENS1_30default_config_static_selectorELNS0_4arch9wavefront6targetE0EEEvT1_
	.p2align	8
	.type	_ZN7rocprim17ROCPRIM_400000_NS6detail17trampoline_kernelINS0_14default_configENS1_29reduce_by_key_config_selectorIffN6thrust23THRUST_200600_302600_NS4plusIfEEEEZZNS1_33reduce_by_key_impl_wrapped_configILNS1_25lookback_scan_determinismE0ES3_S9_NS6_6detail15normal_iteratorINS6_10device_ptrIfEEEESG_SG_SG_PmS8_22is_equal_div_10_reduceIfEEE10hipError_tPvRmT2_T3_mT4_T5_T6_T7_T8_P12ihipStream_tbENKUlT_T0_E_clISt17integral_constantIbLb0EES10_IbLb1EEEEDaSW_SX_EUlSW_E_NS1_11comp_targetILNS1_3genE5ELNS1_11target_archE942ELNS1_3gpuE9ELNS1_3repE0EEENS1_30default_config_static_selectorELNS0_4arch9wavefront6targetE0EEEvT1_,@function
_ZN7rocprim17ROCPRIM_400000_NS6detail17trampoline_kernelINS0_14default_configENS1_29reduce_by_key_config_selectorIffN6thrust23THRUST_200600_302600_NS4plusIfEEEEZZNS1_33reduce_by_key_impl_wrapped_configILNS1_25lookback_scan_determinismE0ES3_S9_NS6_6detail15normal_iteratorINS6_10device_ptrIfEEEESG_SG_SG_PmS8_22is_equal_div_10_reduceIfEEE10hipError_tPvRmT2_T3_mT4_T5_T6_T7_T8_P12ihipStream_tbENKUlT_T0_E_clISt17integral_constantIbLb0EES10_IbLb1EEEEDaSW_SX_EUlSW_E_NS1_11comp_targetILNS1_3genE5ELNS1_11target_archE942ELNS1_3gpuE9ELNS1_3repE0EEENS1_30default_config_static_selectorELNS0_4arch9wavefront6targetE0EEEvT1_: ; @_ZN7rocprim17ROCPRIM_400000_NS6detail17trampoline_kernelINS0_14default_configENS1_29reduce_by_key_config_selectorIffN6thrust23THRUST_200600_302600_NS4plusIfEEEEZZNS1_33reduce_by_key_impl_wrapped_configILNS1_25lookback_scan_determinismE0ES3_S9_NS6_6detail15normal_iteratorINS6_10device_ptrIfEEEESG_SG_SG_PmS8_22is_equal_div_10_reduceIfEEE10hipError_tPvRmT2_T3_mT4_T5_T6_T7_T8_P12ihipStream_tbENKUlT_T0_E_clISt17integral_constantIbLb0EES10_IbLb1EEEEDaSW_SX_EUlSW_E_NS1_11comp_targetILNS1_3genE5ELNS1_11target_archE942ELNS1_3gpuE9ELNS1_3repE0EEENS1_30default_config_static_selectorELNS0_4arch9wavefront6targetE0EEEvT1_
; %bb.0:
	.section	.rodata,"a",@progbits
	.p2align	6, 0x0
	.amdhsa_kernel _ZN7rocprim17ROCPRIM_400000_NS6detail17trampoline_kernelINS0_14default_configENS1_29reduce_by_key_config_selectorIffN6thrust23THRUST_200600_302600_NS4plusIfEEEEZZNS1_33reduce_by_key_impl_wrapped_configILNS1_25lookback_scan_determinismE0ES3_S9_NS6_6detail15normal_iteratorINS6_10device_ptrIfEEEESG_SG_SG_PmS8_22is_equal_div_10_reduceIfEEE10hipError_tPvRmT2_T3_mT4_T5_T6_T7_T8_P12ihipStream_tbENKUlT_T0_E_clISt17integral_constantIbLb0EES10_IbLb1EEEEDaSW_SX_EUlSW_E_NS1_11comp_targetILNS1_3genE5ELNS1_11target_archE942ELNS1_3gpuE9ELNS1_3repE0EEENS1_30default_config_static_selectorELNS0_4arch9wavefront6targetE0EEEvT1_
		.amdhsa_group_segment_fixed_size 0
		.amdhsa_private_segment_fixed_size 0
		.amdhsa_kernarg_size 120
		.amdhsa_user_sgpr_count 15
		.amdhsa_user_sgpr_dispatch_ptr 0
		.amdhsa_user_sgpr_queue_ptr 0
		.amdhsa_user_sgpr_kernarg_segment_ptr 1
		.amdhsa_user_sgpr_dispatch_id 0
		.amdhsa_user_sgpr_private_segment_size 0
		.amdhsa_wavefront_size32 1
		.amdhsa_uses_dynamic_stack 0
		.amdhsa_enable_private_segment 0
		.amdhsa_system_sgpr_workgroup_id_x 1
		.amdhsa_system_sgpr_workgroup_id_y 0
		.amdhsa_system_sgpr_workgroup_id_z 0
		.amdhsa_system_sgpr_workgroup_info 0
		.amdhsa_system_vgpr_workitem_id 0
		.amdhsa_next_free_vgpr 1
		.amdhsa_next_free_sgpr 1
		.amdhsa_reserve_vcc 0
		.amdhsa_float_round_mode_32 0
		.amdhsa_float_round_mode_16_64 0
		.amdhsa_float_denorm_mode_32 3
		.amdhsa_float_denorm_mode_16_64 3
		.amdhsa_dx10_clamp 1
		.amdhsa_ieee_mode 1
		.amdhsa_fp16_overflow 0
		.amdhsa_workgroup_processor_mode 1
		.amdhsa_memory_ordered 1
		.amdhsa_forward_progress 0
		.amdhsa_shared_vgpr_count 0
		.amdhsa_exception_fp_ieee_invalid_op 0
		.amdhsa_exception_fp_denorm_src 0
		.amdhsa_exception_fp_ieee_div_zero 0
		.amdhsa_exception_fp_ieee_overflow 0
		.amdhsa_exception_fp_ieee_underflow 0
		.amdhsa_exception_fp_ieee_inexact 0
		.amdhsa_exception_int_div_zero 0
	.end_amdhsa_kernel
	.section	.text._ZN7rocprim17ROCPRIM_400000_NS6detail17trampoline_kernelINS0_14default_configENS1_29reduce_by_key_config_selectorIffN6thrust23THRUST_200600_302600_NS4plusIfEEEEZZNS1_33reduce_by_key_impl_wrapped_configILNS1_25lookback_scan_determinismE0ES3_S9_NS6_6detail15normal_iteratorINS6_10device_ptrIfEEEESG_SG_SG_PmS8_22is_equal_div_10_reduceIfEEE10hipError_tPvRmT2_T3_mT4_T5_T6_T7_T8_P12ihipStream_tbENKUlT_T0_E_clISt17integral_constantIbLb0EES10_IbLb1EEEEDaSW_SX_EUlSW_E_NS1_11comp_targetILNS1_3genE5ELNS1_11target_archE942ELNS1_3gpuE9ELNS1_3repE0EEENS1_30default_config_static_selectorELNS0_4arch9wavefront6targetE0EEEvT1_,"axG",@progbits,_ZN7rocprim17ROCPRIM_400000_NS6detail17trampoline_kernelINS0_14default_configENS1_29reduce_by_key_config_selectorIffN6thrust23THRUST_200600_302600_NS4plusIfEEEEZZNS1_33reduce_by_key_impl_wrapped_configILNS1_25lookback_scan_determinismE0ES3_S9_NS6_6detail15normal_iteratorINS6_10device_ptrIfEEEESG_SG_SG_PmS8_22is_equal_div_10_reduceIfEEE10hipError_tPvRmT2_T3_mT4_T5_T6_T7_T8_P12ihipStream_tbENKUlT_T0_E_clISt17integral_constantIbLb0EES10_IbLb1EEEEDaSW_SX_EUlSW_E_NS1_11comp_targetILNS1_3genE5ELNS1_11target_archE942ELNS1_3gpuE9ELNS1_3repE0EEENS1_30default_config_static_selectorELNS0_4arch9wavefront6targetE0EEEvT1_,comdat
.Lfunc_end228:
	.size	_ZN7rocprim17ROCPRIM_400000_NS6detail17trampoline_kernelINS0_14default_configENS1_29reduce_by_key_config_selectorIffN6thrust23THRUST_200600_302600_NS4plusIfEEEEZZNS1_33reduce_by_key_impl_wrapped_configILNS1_25lookback_scan_determinismE0ES3_S9_NS6_6detail15normal_iteratorINS6_10device_ptrIfEEEESG_SG_SG_PmS8_22is_equal_div_10_reduceIfEEE10hipError_tPvRmT2_T3_mT4_T5_T6_T7_T8_P12ihipStream_tbENKUlT_T0_E_clISt17integral_constantIbLb0EES10_IbLb1EEEEDaSW_SX_EUlSW_E_NS1_11comp_targetILNS1_3genE5ELNS1_11target_archE942ELNS1_3gpuE9ELNS1_3repE0EEENS1_30default_config_static_selectorELNS0_4arch9wavefront6targetE0EEEvT1_, .Lfunc_end228-_ZN7rocprim17ROCPRIM_400000_NS6detail17trampoline_kernelINS0_14default_configENS1_29reduce_by_key_config_selectorIffN6thrust23THRUST_200600_302600_NS4plusIfEEEEZZNS1_33reduce_by_key_impl_wrapped_configILNS1_25lookback_scan_determinismE0ES3_S9_NS6_6detail15normal_iteratorINS6_10device_ptrIfEEEESG_SG_SG_PmS8_22is_equal_div_10_reduceIfEEE10hipError_tPvRmT2_T3_mT4_T5_T6_T7_T8_P12ihipStream_tbENKUlT_T0_E_clISt17integral_constantIbLb0EES10_IbLb1EEEEDaSW_SX_EUlSW_E_NS1_11comp_targetILNS1_3genE5ELNS1_11target_archE942ELNS1_3gpuE9ELNS1_3repE0EEENS1_30default_config_static_selectorELNS0_4arch9wavefront6targetE0EEEvT1_
                                        ; -- End function
	.section	.AMDGPU.csdata,"",@progbits
; Kernel info:
; codeLenInByte = 0
; NumSgprs: 0
; NumVgprs: 0
; ScratchSize: 0
; MemoryBound: 0
; FloatMode: 240
; IeeeMode: 1
; LDSByteSize: 0 bytes/workgroup (compile time only)
; SGPRBlocks: 0
; VGPRBlocks: 0
; NumSGPRsForWavesPerEU: 1
; NumVGPRsForWavesPerEU: 1
; Occupancy: 16
; WaveLimiterHint : 0
; COMPUTE_PGM_RSRC2:SCRATCH_EN: 0
; COMPUTE_PGM_RSRC2:USER_SGPR: 15
; COMPUTE_PGM_RSRC2:TRAP_HANDLER: 0
; COMPUTE_PGM_RSRC2:TGID_X_EN: 1
; COMPUTE_PGM_RSRC2:TGID_Y_EN: 0
; COMPUTE_PGM_RSRC2:TGID_Z_EN: 0
; COMPUTE_PGM_RSRC2:TIDIG_COMP_CNT: 0
	.section	.text._ZN7rocprim17ROCPRIM_400000_NS6detail17trampoline_kernelINS0_14default_configENS1_29reduce_by_key_config_selectorIffN6thrust23THRUST_200600_302600_NS4plusIfEEEEZZNS1_33reduce_by_key_impl_wrapped_configILNS1_25lookback_scan_determinismE0ES3_S9_NS6_6detail15normal_iteratorINS6_10device_ptrIfEEEESG_SG_SG_PmS8_22is_equal_div_10_reduceIfEEE10hipError_tPvRmT2_T3_mT4_T5_T6_T7_T8_P12ihipStream_tbENKUlT_T0_E_clISt17integral_constantIbLb0EES10_IbLb1EEEEDaSW_SX_EUlSW_E_NS1_11comp_targetILNS1_3genE4ELNS1_11target_archE910ELNS1_3gpuE8ELNS1_3repE0EEENS1_30default_config_static_selectorELNS0_4arch9wavefront6targetE0EEEvT1_,"axG",@progbits,_ZN7rocprim17ROCPRIM_400000_NS6detail17trampoline_kernelINS0_14default_configENS1_29reduce_by_key_config_selectorIffN6thrust23THRUST_200600_302600_NS4plusIfEEEEZZNS1_33reduce_by_key_impl_wrapped_configILNS1_25lookback_scan_determinismE0ES3_S9_NS6_6detail15normal_iteratorINS6_10device_ptrIfEEEESG_SG_SG_PmS8_22is_equal_div_10_reduceIfEEE10hipError_tPvRmT2_T3_mT4_T5_T6_T7_T8_P12ihipStream_tbENKUlT_T0_E_clISt17integral_constantIbLb0EES10_IbLb1EEEEDaSW_SX_EUlSW_E_NS1_11comp_targetILNS1_3genE4ELNS1_11target_archE910ELNS1_3gpuE8ELNS1_3repE0EEENS1_30default_config_static_selectorELNS0_4arch9wavefront6targetE0EEEvT1_,comdat
	.protected	_ZN7rocprim17ROCPRIM_400000_NS6detail17trampoline_kernelINS0_14default_configENS1_29reduce_by_key_config_selectorIffN6thrust23THRUST_200600_302600_NS4plusIfEEEEZZNS1_33reduce_by_key_impl_wrapped_configILNS1_25lookback_scan_determinismE0ES3_S9_NS6_6detail15normal_iteratorINS6_10device_ptrIfEEEESG_SG_SG_PmS8_22is_equal_div_10_reduceIfEEE10hipError_tPvRmT2_T3_mT4_T5_T6_T7_T8_P12ihipStream_tbENKUlT_T0_E_clISt17integral_constantIbLb0EES10_IbLb1EEEEDaSW_SX_EUlSW_E_NS1_11comp_targetILNS1_3genE4ELNS1_11target_archE910ELNS1_3gpuE8ELNS1_3repE0EEENS1_30default_config_static_selectorELNS0_4arch9wavefront6targetE0EEEvT1_ ; -- Begin function _ZN7rocprim17ROCPRIM_400000_NS6detail17trampoline_kernelINS0_14default_configENS1_29reduce_by_key_config_selectorIffN6thrust23THRUST_200600_302600_NS4plusIfEEEEZZNS1_33reduce_by_key_impl_wrapped_configILNS1_25lookback_scan_determinismE0ES3_S9_NS6_6detail15normal_iteratorINS6_10device_ptrIfEEEESG_SG_SG_PmS8_22is_equal_div_10_reduceIfEEE10hipError_tPvRmT2_T3_mT4_T5_T6_T7_T8_P12ihipStream_tbENKUlT_T0_E_clISt17integral_constantIbLb0EES10_IbLb1EEEEDaSW_SX_EUlSW_E_NS1_11comp_targetILNS1_3genE4ELNS1_11target_archE910ELNS1_3gpuE8ELNS1_3repE0EEENS1_30default_config_static_selectorELNS0_4arch9wavefront6targetE0EEEvT1_
	.globl	_ZN7rocprim17ROCPRIM_400000_NS6detail17trampoline_kernelINS0_14default_configENS1_29reduce_by_key_config_selectorIffN6thrust23THRUST_200600_302600_NS4plusIfEEEEZZNS1_33reduce_by_key_impl_wrapped_configILNS1_25lookback_scan_determinismE0ES3_S9_NS6_6detail15normal_iteratorINS6_10device_ptrIfEEEESG_SG_SG_PmS8_22is_equal_div_10_reduceIfEEE10hipError_tPvRmT2_T3_mT4_T5_T6_T7_T8_P12ihipStream_tbENKUlT_T0_E_clISt17integral_constantIbLb0EES10_IbLb1EEEEDaSW_SX_EUlSW_E_NS1_11comp_targetILNS1_3genE4ELNS1_11target_archE910ELNS1_3gpuE8ELNS1_3repE0EEENS1_30default_config_static_selectorELNS0_4arch9wavefront6targetE0EEEvT1_
	.p2align	8
	.type	_ZN7rocprim17ROCPRIM_400000_NS6detail17trampoline_kernelINS0_14default_configENS1_29reduce_by_key_config_selectorIffN6thrust23THRUST_200600_302600_NS4plusIfEEEEZZNS1_33reduce_by_key_impl_wrapped_configILNS1_25lookback_scan_determinismE0ES3_S9_NS6_6detail15normal_iteratorINS6_10device_ptrIfEEEESG_SG_SG_PmS8_22is_equal_div_10_reduceIfEEE10hipError_tPvRmT2_T3_mT4_T5_T6_T7_T8_P12ihipStream_tbENKUlT_T0_E_clISt17integral_constantIbLb0EES10_IbLb1EEEEDaSW_SX_EUlSW_E_NS1_11comp_targetILNS1_3genE4ELNS1_11target_archE910ELNS1_3gpuE8ELNS1_3repE0EEENS1_30default_config_static_selectorELNS0_4arch9wavefront6targetE0EEEvT1_,@function
_ZN7rocprim17ROCPRIM_400000_NS6detail17trampoline_kernelINS0_14default_configENS1_29reduce_by_key_config_selectorIffN6thrust23THRUST_200600_302600_NS4plusIfEEEEZZNS1_33reduce_by_key_impl_wrapped_configILNS1_25lookback_scan_determinismE0ES3_S9_NS6_6detail15normal_iteratorINS6_10device_ptrIfEEEESG_SG_SG_PmS8_22is_equal_div_10_reduceIfEEE10hipError_tPvRmT2_T3_mT4_T5_T6_T7_T8_P12ihipStream_tbENKUlT_T0_E_clISt17integral_constantIbLb0EES10_IbLb1EEEEDaSW_SX_EUlSW_E_NS1_11comp_targetILNS1_3genE4ELNS1_11target_archE910ELNS1_3gpuE8ELNS1_3repE0EEENS1_30default_config_static_selectorELNS0_4arch9wavefront6targetE0EEEvT1_: ; @_ZN7rocprim17ROCPRIM_400000_NS6detail17trampoline_kernelINS0_14default_configENS1_29reduce_by_key_config_selectorIffN6thrust23THRUST_200600_302600_NS4plusIfEEEEZZNS1_33reduce_by_key_impl_wrapped_configILNS1_25lookback_scan_determinismE0ES3_S9_NS6_6detail15normal_iteratorINS6_10device_ptrIfEEEESG_SG_SG_PmS8_22is_equal_div_10_reduceIfEEE10hipError_tPvRmT2_T3_mT4_T5_T6_T7_T8_P12ihipStream_tbENKUlT_T0_E_clISt17integral_constantIbLb0EES10_IbLb1EEEEDaSW_SX_EUlSW_E_NS1_11comp_targetILNS1_3genE4ELNS1_11target_archE910ELNS1_3gpuE8ELNS1_3repE0EEENS1_30default_config_static_selectorELNS0_4arch9wavefront6targetE0EEEvT1_
; %bb.0:
	.section	.rodata,"a",@progbits
	.p2align	6, 0x0
	.amdhsa_kernel _ZN7rocprim17ROCPRIM_400000_NS6detail17trampoline_kernelINS0_14default_configENS1_29reduce_by_key_config_selectorIffN6thrust23THRUST_200600_302600_NS4plusIfEEEEZZNS1_33reduce_by_key_impl_wrapped_configILNS1_25lookback_scan_determinismE0ES3_S9_NS6_6detail15normal_iteratorINS6_10device_ptrIfEEEESG_SG_SG_PmS8_22is_equal_div_10_reduceIfEEE10hipError_tPvRmT2_T3_mT4_T5_T6_T7_T8_P12ihipStream_tbENKUlT_T0_E_clISt17integral_constantIbLb0EES10_IbLb1EEEEDaSW_SX_EUlSW_E_NS1_11comp_targetILNS1_3genE4ELNS1_11target_archE910ELNS1_3gpuE8ELNS1_3repE0EEENS1_30default_config_static_selectorELNS0_4arch9wavefront6targetE0EEEvT1_
		.amdhsa_group_segment_fixed_size 0
		.amdhsa_private_segment_fixed_size 0
		.amdhsa_kernarg_size 120
		.amdhsa_user_sgpr_count 15
		.amdhsa_user_sgpr_dispatch_ptr 0
		.amdhsa_user_sgpr_queue_ptr 0
		.amdhsa_user_sgpr_kernarg_segment_ptr 1
		.amdhsa_user_sgpr_dispatch_id 0
		.amdhsa_user_sgpr_private_segment_size 0
		.amdhsa_wavefront_size32 1
		.amdhsa_uses_dynamic_stack 0
		.amdhsa_enable_private_segment 0
		.amdhsa_system_sgpr_workgroup_id_x 1
		.amdhsa_system_sgpr_workgroup_id_y 0
		.amdhsa_system_sgpr_workgroup_id_z 0
		.amdhsa_system_sgpr_workgroup_info 0
		.amdhsa_system_vgpr_workitem_id 0
		.amdhsa_next_free_vgpr 1
		.amdhsa_next_free_sgpr 1
		.amdhsa_reserve_vcc 0
		.amdhsa_float_round_mode_32 0
		.amdhsa_float_round_mode_16_64 0
		.amdhsa_float_denorm_mode_32 3
		.amdhsa_float_denorm_mode_16_64 3
		.amdhsa_dx10_clamp 1
		.amdhsa_ieee_mode 1
		.amdhsa_fp16_overflow 0
		.amdhsa_workgroup_processor_mode 1
		.amdhsa_memory_ordered 1
		.amdhsa_forward_progress 0
		.amdhsa_shared_vgpr_count 0
		.amdhsa_exception_fp_ieee_invalid_op 0
		.amdhsa_exception_fp_denorm_src 0
		.amdhsa_exception_fp_ieee_div_zero 0
		.amdhsa_exception_fp_ieee_overflow 0
		.amdhsa_exception_fp_ieee_underflow 0
		.amdhsa_exception_fp_ieee_inexact 0
		.amdhsa_exception_int_div_zero 0
	.end_amdhsa_kernel
	.section	.text._ZN7rocprim17ROCPRIM_400000_NS6detail17trampoline_kernelINS0_14default_configENS1_29reduce_by_key_config_selectorIffN6thrust23THRUST_200600_302600_NS4plusIfEEEEZZNS1_33reduce_by_key_impl_wrapped_configILNS1_25lookback_scan_determinismE0ES3_S9_NS6_6detail15normal_iteratorINS6_10device_ptrIfEEEESG_SG_SG_PmS8_22is_equal_div_10_reduceIfEEE10hipError_tPvRmT2_T3_mT4_T5_T6_T7_T8_P12ihipStream_tbENKUlT_T0_E_clISt17integral_constantIbLb0EES10_IbLb1EEEEDaSW_SX_EUlSW_E_NS1_11comp_targetILNS1_3genE4ELNS1_11target_archE910ELNS1_3gpuE8ELNS1_3repE0EEENS1_30default_config_static_selectorELNS0_4arch9wavefront6targetE0EEEvT1_,"axG",@progbits,_ZN7rocprim17ROCPRIM_400000_NS6detail17trampoline_kernelINS0_14default_configENS1_29reduce_by_key_config_selectorIffN6thrust23THRUST_200600_302600_NS4plusIfEEEEZZNS1_33reduce_by_key_impl_wrapped_configILNS1_25lookback_scan_determinismE0ES3_S9_NS6_6detail15normal_iteratorINS6_10device_ptrIfEEEESG_SG_SG_PmS8_22is_equal_div_10_reduceIfEEE10hipError_tPvRmT2_T3_mT4_T5_T6_T7_T8_P12ihipStream_tbENKUlT_T0_E_clISt17integral_constantIbLb0EES10_IbLb1EEEEDaSW_SX_EUlSW_E_NS1_11comp_targetILNS1_3genE4ELNS1_11target_archE910ELNS1_3gpuE8ELNS1_3repE0EEENS1_30default_config_static_selectorELNS0_4arch9wavefront6targetE0EEEvT1_,comdat
.Lfunc_end229:
	.size	_ZN7rocprim17ROCPRIM_400000_NS6detail17trampoline_kernelINS0_14default_configENS1_29reduce_by_key_config_selectorIffN6thrust23THRUST_200600_302600_NS4plusIfEEEEZZNS1_33reduce_by_key_impl_wrapped_configILNS1_25lookback_scan_determinismE0ES3_S9_NS6_6detail15normal_iteratorINS6_10device_ptrIfEEEESG_SG_SG_PmS8_22is_equal_div_10_reduceIfEEE10hipError_tPvRmT2_T3_mT4_T5_T6_T7_T8_P12ihipStream_tbENKUlT_T0_E_clISt17integral_constantIbLb0EES10_IbLb1EEEEDaSW_SX_EUlSW_E_NS1_11comp_targetILNS1_3genE4ELNS1_11target_archE910ELNS1_3gpuE8ELNS1_3repE0EEENS1_30default_config_static_selectorELNS0_4arch9wavefront6targetE0EEEvT1_, .Lfunc_end229-_ZN7rocprim17ROCPRIM_400000_NS6detail17trampoline_kernelINS0_14default_configENS1_29reduce_by_key_config_selectorIffN6thrust23THRUST_200600_302600_NS4plusIfEEEEZZNS1_33reduce_by_key_impl_wrapped_configILNS1_25lookback_scan_determinismE0ES3_S9_NS6_6detail15normal_iteratorINS6_10device_ptrIfEEEESG_SG_SG_PmS8_22is_equal_div_10_reduceIfEEE10hipError_tPvRmT2_T3_mT4_T5_T6_T7_T8_P12ihipStream_tbENKUlT_T0_E_clISt17integral_constantIbLb0EES10_IbLb1EEEEDaSW_SX_EUlSW_E_NS1_11comp_targetILNS1_3genE4ELNS1_11target_archE910ELNS1_3gpuE8ELNS1_3repE0EEENS1_30default_config_static_selectorELNS0_4arch9wavefront6targetE0EEEvT1_
                                        ; -- End function
	.section	.AMDGPU.csdata,"",@progbits
; Kernel info:
; codeLenInByte = 0
; NumSgprs: 0
; NumVgprs: 0
; ScratchSize: 0
; MemoryBound: 0
; FloatMode: 240
; IeeeMode: 1
; LDSByteSize: 0 bytes/workgroup (compile time only)
; SGPRBlocks: 0
; VGPRBlocks: 0
; NumSGPRsForWavesPerEU: 1
; NumVGPRsForWavesPerEU: 1
; Occupancy: 16
; WaveLimiterHint : 0
; COMPUTE_PGM_RSRC2:SCRATCH_EN: 0
; COMPUTE_PGM_RSRC2:USER_SGPR: 15
; COMPUTE_PGM_RSRC2:TRAP_HANDLER: 0
; COMPUTE_PGM_RSRC2:TGID_X_EN: 1
; COMPUTE_PGM_RSRC2:TGID_Y_EN: 0
; COMPUTE_PGM_RSRC2:TGID_Z_EN: 0
; COMPUTE_PGM_RSRC2:TIDIG_COMP_CNT: 0
	.section	.text._ZN7rocprim17ROCPRIM_400000_NS6detail17trampoline_kernelINS0_14default_configENS1_29reduce_by_key_config_selectorIffN6thrust23THRUST_200600_302600_NS4plusIfEEEEZZNS1_33reduce_by_key_impl_wrapped_configILNS1_25lookback_scan_determinismE0ES3_S9_NS6_6detail15normal_iteratorINS6_10device_ptrIfEEEESG_SG_SG_PmS8_22is_equal_div_10_reduceIfEEE10hipError_tPvRmT2_T3_mT4_T5_T6_T7_T8_P12ihipStream_tbENKUlT_T0_E_clISt17integral_constantIbLb0EES10_IbLb1EEEEDaSW_SX_EUlSW_E_NS1_11comp_targetILNS1_3genE3ELNS1_11target_archE908ELNS1_3gpuE7ELNS1_3repE0EEENS1_30default_config_static_selectorELNS0_4arch9wavefront6targetE0EEEvT1_,"axG",@progbits,_ZN7rocprim17ROCPRIM_400000_NS6detail17trampoline_kernelINS0_14default_configENS1_29reduce_by_key_config_selectorIffN6thrust23THRUST_200600_302600_NS4plusIfEEEEZZNS1_33reduce_by_key_impl_wrapped_configILNS1_25lookback_scan_determinismE0ES3_S9_NS6_6detail15normal_iteratorINS6_10device_ptrIfEEEESG_SG_SG_PmS8_22is_equal_div_10_reduceIfEEE10hipError_tPvRmT2_T3_mT4_T5_T6_T7_T8_P12ihipStream_tbENKUlT_T0_E_clISt17integral_constantIbLb0EES10_IbLb1EEEEDaSW_SX_EUlSW_E_NS1_11comp_targetILNS1_3genE3ELNS1_11target_archE908ELNS1_3gpuE7ELNS1_3repE0EEENS1_30default_config_static_selectorELNS0_4arch9wavefront6targetE0EEEvT1_,comdat
	.protected	_ZN7rocprim17ROCPRIM_400000_NS6detail17trampoline_kernelINS0_14default_configENS1_29reduce_by_key_config_selectorIffN6thrust23THRUST_200600_302600_NS4plusIfEEEEZZNS1_33reduce_by_key_impl_wrapped_configILNS1_25lookback_scan_determinismE0ES3_S9_NS6_6detail15normal_iteratorINS6_10device_ptrIfEEEESG_SG_SG_PmS8_22is_equal_div_10_reduceIfEEE10hipError_tPvRmT2_T3_mT4_T5_T6_T7_T8_P12ihipStream_tbENKUlT_T0_E_clISt17integral_constantIbLb0EES10_IbLb1EEEEDaSW_SX_EUlSW_E_NS1_11comp_targetILNS1_3genE3ELNS1_11target_archE908ELNS1_3gpuE7ELNS1_3repE0EEENS1_30default_config_static_selectorELNS0_4arch9wavefront6targetE0EEEvT1_ ; -- Begin function _ZN7rocprim17ROCPRIM_400000_NS6detail17trampoline_kernelINS0_14default_configENS1_29reduce_by_key_config_selectorIffN6thrust23THRUST_200600_302600_NS4plusIfEEEEZZNS1_33reduce_by_key_impl_wrapped_configILNS1_25lookback_scan_determinismE0ES3_S9_NS6_6detail15normal_iteratorINS6_10device_ptrIfEEEESG_SG_SG_PmS8_22is_equal_div_10_reduceIfEEE10hipError_tPvRmT2_T3_mT4_T5_T6_T7_T8_P12ihipStream_tbENKUlT_T0_E_clISt17integral_constantIbLb0EES10_IbLb1EEEEDaSW_SX_EUlSW_E_NS1_11comp_targetILNS1_3genE3ELNS1_11target_archE908ELNS1_3gpuE7ELNS1_3repE0EEENS1_30default_config_static_selectorELNS0_4arch9wavefront6targetE0EEEvT1_
	.globl	_ZN7rocprim17ROCPRIM_400000_NS6detail17trampoline_kernelINS0_14default_configENS1_29reduce_by_key_config_selectorIffN6thrust23THRUST_200600_302600_NS4plusIfEEEEZZNS1_33reduce_by_key_impl_wrapped_configILNS1_25lookback_scan_determinismE0ES3_S9_NS6_6detail15normal_iteratorINS6_10device_ptrIfEEEESG_SG_SG_PmS8_22is_equal_div_10_reduceIfEEE10hipError_tPvRmT2_T3_mT4_T5_T6_T7_T8_P12ihipStream_tbENKUlT_T0_E_clISt17integral_constantIbLb0EES10_IbLb1EEEEDaSW_SX_EUlSW_E_NS1_11comp_targetILNS1_3genE3ELNS1_11target_archE908ELNS1_3gpuE7ELNS1_3repE0EEENS1_30default_config_static_selectorELNS0_4arch9wavefront6targetE0EEEvT1_
	.p2align	8
	.type	_ZN7rocprim17ROCPRIM_400000_NS6detail17trampoline_kernelINS0_14default_configENS1_29reduce_by_key_config_selectorIffN6thrust23THRUST_200600_302600_NS4plusIfEEEEZZNS1_33reduce_by_key_impl_wrapped_configILNS1_25lookback_scan_determinismE0ES3_S9_NS6_6detail15normal_iteratorINS6_10device_ptrIfEEEESG_SG_SG_PmS8_22is_equal_div_10_reduceIfEEE10hipError_tPvRmT2_T3_mT4_T5_T6_T7_T8_P12ihipStream_tbENKUlT_T0_E_clISt17integral_constantIbLb0EES10_IbLb1EEEEDaSW_SX_EUlSW_E_NS1_11comp_targetILNS1_3genE3ELNS1_11target_archE908ELNS1_3gpuE7ELNS1_3repE0EEENS1_30default_config_static_selectorELNS0_4arch9wavefront6targetE0EEEvT1_,@function
_ZN7rocprim17ROCPRIM_400000_NS6detail17trampoline_kernelINS0_14default_configENS1_29reduce_by_key_config_selectorIffN6thrust23THRUST_200600_302600_NS4plusIfEEEEZZNS1_33reduce_by_key_impl_wrapped_configILNS1_25lookback_scan_determinismE0ES3_S9_NS6_6detail15normal_iteratorINS6_10device_ptrIfEEEESG_SG_SG_PmS8_22is_equal_div_10_reduceIfEEE10hipError_tPvRmT2_T3_mT4_T5_T6_T7_T8_P12ihipStream_tbENKUlT_T0_E_clISt17integral_constantIbLb0EES10_IbLb1EEEEDaSW_SX_EUlSW_E_NS1_11comp_targetILNS1_3genE3ELNS1_11target_archE908ELNS1_3gpuE7ELNS1_3repE0EEENS1_30default_config_static_selectorELNS0_4arch9wavefront6targetE0EEEvT1_: ; @_ZN7rocprim17ROCPRIM_400000_NS6detail17trampoline_kernelINS0_14default_configENS1_29reduce_by_key_config_selectorIffN6thrust23THRUST_200600_302600_NS4plusIfEEEEZZNS1_33reduce_by_key_impl_wrapped_configILNS1_25lookback_scan_determinismE0ES3_S9_NS6_6detail15normal_iteratorINS6_10device_ptrIfEEEESG_SG_SG_PmS8_22is_equal_div_10_reduceIfEEE10hipError_tPvRmT2_T3_mT4_T5_T6_T7_T8_P12ihipStream_tbENKUlT_T0_E_clISt17integral_constantIbLb0EES10_IbLb1EEEEDaSW_SX_EUlSW_E_NS1_11comp_targetILNS1_3genE3ELNS1_11target_archE908ELNS1_3gpuE7ELNS1_3repE0EEENS1_30default_config_static_selectorELNS0_4arch9wavefront6targetE0EEEvT1_
; %bb.0:
	.section	.rodata,"a",@progbits
	.p2align	6, 0x0
	.amdhsa_kernel _ZN7rocprim17ROCPRIM_400000_NS6detail17trampoline_kernelINS0_14default_configENS1_29reduce_by_key_config_selectorIffN6thrust23THRUST_200600_302600_NS4plusIfEEEEZZNS1_33reduce_by_key_impl_wrapped_configILNS1_25lookback_scan_determinismE0ES3_S9_NS6_6detail15normal_iteratorINS6_10device_ptrIfEEEESG_SG_SG_PmS8_22is_equal_div_10_reduceIfEEE10hipError_tPvRmT2_T3_mT4_T5_T6_T7_T8_P12ihipStream_tbENKUlT_T0_E_clISt17integral_constantIbLb0EES10_IbLb1EEEEDaSW_SX_EUlSW_E_NS1_11comp_targetILNS1_3genE3ELNS1_11target_archE908ELNS1_3gpuE7ELNS1_3repE0EEENS1_30default_config_static_selectorELNS0_4arch9wavefront6targetE0EEEvT1_
		.amdhsa_group_segment_fixed_size 0
		.amdhsa_private_segment_fixed_size 0
		.amdhsa_kernarg_size 120
		.amdhsa_user_sgpr_count 15
		.amdhsa_user_sgpr_dispatch_ptr 0
		.amdhsa_user_sgpr_queue_ptr 0
		.amdhsa_user_sgpr_kernarg_segment_ptr 1
		.amdhsa_user_sgpr_dispatch_id 0
		.amdhsa_user_sgpr_private_segment_size 0
		.amdhsa_wavefront_size32 1
		.amdhsa_uses_dynamic_stack 0
		.amdhsa_enable_private_segment 0
		.amdhsa_system_sgpr_workgroup_id_x 1
		.amdhsa_system_sgpr_workgroup_id_y 0
		.amdhsa_system_sgpr_workgroup_id_z 0
		.amdhsa_system_sgpr_workgroup_info 0
		.amdhsa_system_vgpr_workitem_id 0
		.amdhsa_next_free_vgpr 1
		.amdhsa_next_free_sgpr 1
		.amdhsa_reserve_vcc 0
		.amdhsa_float_round_mode_32 0
		.amdhsa_float_round_mode_16_64 0
		.amdhsa_float_denorm_mode_32 3
		.amdhsa_float_denorm_mode_16_64 3
		.amdhsa_dx10_clamp 1
		.amdhsa_ieee_mode 1
		.amdhsa_fp16_overflow 0
		.amdhsa_workgroup_processor_mode 1
		.amdhsa_memory_ordered 1
		.amdhsa_forward_progress 0
		.amdhsa_shared_vgpr_count 0
		.amdhsa_exception_fp_ieee_invalid_op 0
		.amdhsa_exception_fp_denorm_src 0
		.amdhsa_exception_fp_ieee_div_zero 0
		.amdhsa_exception_fp_ieee_overflow 0
		.amdhsa_exception_fp_ieee_underflow 0
		.amdhsa_exception_fp_ieee_inexact 0
		.amdhsa_exception_int_div_zero 0
	.end_amdhsa_kernel
	.section	.text._ZN7rocprim17ROCPRIM_400000_NS6detail17trampoline_kernelINS0_14default_configENS1_29reduce_by_key_config_selectorIffN6thrust23THRUST_200600_302600_NS4plusIfEEEEZZNS1_33reduce_by_key_impl_wrapped_configILNS1_25lookback_scan_determinismE0ES3_S9_NS6_6detail15normal_iteratorINS6_10device_ptrIfEEEESG_SG_SG_PmS8_22is_equal_div_10_reduceIfEEE10hipError_tPvRmT2_T3_mT4_T5_T6_T7_T8_P12ihipStream_tbENKUlT_T0_E_clISt17integral_constantIbLb0EES10_IbLb1EEEEDaSW_SX_EUlSW_E_NS1_11comp_targetILNS1_3genE3ELNS1_11target_archE908ELNS1_3gpuE7ELNS1_3repE0EEENS1_30default_config_static_selectorELNS0_4arch9wavefront6targetE0EEEvT1_,"axG",@progbits,_ZN7rocprim17ROCPRIM_400000_NS6detail17trampoline_kernelINS0_14default_configENS1_29reduce_by_key_config_selectorIffN6thrust23THRUST_200600_302600_NS4plusIfEEEEZZNS1_33reduce_by_key_impl_wrapped_configILNS1_25lookback_scan_determinismE0ES3_S9_NS6_6detail15normal_iteratorINS6_10device_ptrIfEEEESG_SG_SG_PmS8_22is_equal_div_10_reduceIfEEE10hipError_tPvRmT2_T3_mT4_T5_T6_T7_T8_P12ihipStream_tbENKUlT_T0_E_clISt17integral_constantIbLb0EES10_IbLb1EEEEDaSW_SX_EUlSW_E_NS1_11comp_targetILNS1_3genE3ELNS1_11target_archE908ELNS1_3gpuE7ELNS1_3repE0EEENS1_30default_config_static_selectorELNS0_4arch9wavefront6targetE0EEEvT1_,comdat
.Lfunc_end230:
	.size	_ZN7rocprim17ROCPRIM_400000_NS6detail17trampoline_kernelINS0_14default_configENS1_29reduce_by_key_config_selectorIffN6thrust23THRUST_200600_302600_NS4plusIfEEEEZZNS1_33reduce_by_key_impl_wrapped_configILNS1_25lookback_scan_determinismE0ES3_S9_NS6_6detail15normal_iteratorINS6_10device_ptrIfEEEESG_SG_SG_PmS8_22is_equal_div_10_reduceIfEEE10hipError_tPvRmT2_T3_mT4_T5_T6_T7_T8_P12ihipStream_tbENKUlT_T0_E_clISt17integral_constantIbLb0EES10_IbLb1EEEEDaSW_SX_EUlSW_E_NS1_11comp_targetILNS1_3genE3ELNS1_11target_archE908ELNS1_3gpuE7ELNS1_3repE0EEENS1_30default_config_static_selectorELNS0_4arch9wavefront6targetE0EEEvT1_, .Lfunc_end230-_ZN7rocprim17ROCPRIM_400000_NS6detail17trampoline_kernelINS0_14default_configENS1_29reduce_by_key_config_selectorIffN6thrust23THRUST_200600_302600_NS4plusIfEEEEZZNS1_33reduce_by_key_impl_wrapped_configILNS1_25lookback_scan_determinismE0ES3_S9_NS6_6detail15normal_iteratorINS6_10device_ptrIfEEEESG_SG_SG_PmS8_22is_equal_div_10_reduceIfEEE10hipError_tPvRmT2_T3_mT4_T5_T6_T7_T8_P12ihipStream_tbENKUlT_T0_E_clISt17integral_constantIbLb0EES10_IbLb1EEEEDaSW_SX_EUlSW_E_NS1_11comp_targetILNS1_3genE3ELNS1_11target_archE908ELNS1_3gpuE7ELNS1_3repE0EEENS1_30default_config_static_selectorELNS0_4arch9wavefront6targetE0EEEvT1_
                                        ; -- End function
	.section	.AMDGPU.csdata,"",@progbits
; Kernel info:
; codeLenInByte = 0
; NumSgprs: 0
; NumVgprs: 0
; ScratchSize: 0
; MemoryBound: 0
; FloatMode: 240
; IeeeMode: 1
; LDSByteSize: 0 bytes/workgroup (compile time only)
; SGPRBlocks: 0
; VGPRBlocks: 0
; NumSGPRsForWavesPerEU: 1
; NumVGPRsForWavesPerEU: 1
; Occupancy: 16
; WaveLimiterHint : 0
; COMPUTE_PGM_RSRC2:SCRATCH_EN: 0
; COMPUTE_PGM_RSRC2:USER_SGPR: 15
; COMPUTE_PGM_RSRC2:TRAP_HANDLER: 0
; COMPUTE_PGM_RSRC2:TGID_X_EN: 1
; COMPUTE_PGM_RSRC2:TGID_Y_EN: 0
; COMPUTE_PGM_RSRC2:TGID_Z_EN: 0
; COMPUTE_PGM_RSRC2:TIDIG_COMP_CNT: 0
	.section	.text._ZN7rocprim17ROCPRIM_400000_NS6detail17trampoline_kernelINS0_14default_configENS1_29reduce_by_key_config_selectorIffN6thrust23THRUST_200600_302600_NS4plusIfEEEEZZNS1_33reduce_by_key_impl_wrapped_configILNS1_25lookback_scan_determinismE0ES3_S9_NS6_6detail15normal_iteratorINS6_10device_ptrIfEEEESG_SG_SG_PmS8_22is_equal_div_10_reduceIfEEE10hipError_tPvRmT2_T3_mT4_T5_T6_T7_T8_P12ihipStream_tbENKUlT_T0_E_clISt17integral_constantIbLb0EES10_IbLb1EEEEDaSW_SX_EUlSW_E_NS1_11comp_targetILNS1_3genE2ELNS1_11target_archE906ELNS1_3gpuE6ELNS1_3repE0EEENS1_30default_config_static_selectorELNS0_4arch9wavefront6targetE0EEEvT1_,"axG",@progbits,_ZN7rocprim17ROCPRIM_400000_NS6detail17trampoline_kernelINS0_14default_configENS1_29reduce_by_key_config_selectorIffN6thrust23THRUST_200600_302600_NS4plusIfEEEEZZNS1_33reduce_by_key_impl_wrapped_configILNS1_25lookback_scan_determinismE0ES3_S9_NS6_6detail15normal_iteratorINS6_10device_ptrIfEEEESG_SG_SG_PmS8_22is_equal_div_10_reduceIfEEE10hipError_tPvRmT2_T3_mT4_T5_T6_T7_T8_P12ihipStream_tbENKUlT_T0_E_clISt17integral_constantIbLb0EES10_IbLb1EEEEDaSW_SX_EUlSW_E_NS1_11comp_targetILNS1_3genE2ELNS1_11target_archE906ELNS1_3gpuE6ELNS1_3repE0EEENS1_30default_config_static_selectorELNS0_4arch9wavefront6targetE0EEEvT1_,comdat
	.protected	_ZN7rocprim17ROCPRIM_400000_NS6detail17trampoline_kernelINS0_14default_configENS1_29reduce_by_key_config_selectorIffN6thrust23THRUST_200600_302600_NS4plusIfEEEEZZNS1_33reduce_by_key_impl_wrapped_configILNS1_25lookback_scan_determinismE0ES3_S9_NS6_6detail15normal_iteratorINS6_10device_ptrIfEEEESG_SG_SG_PmS8_22is_equal_div_10_reduceIfEEE10hipError_tPvRmT2_T3_mT4_T5_T6_T7_T8_P12ihipStream_tbENKUlT_T0_E_clISt17integral_constantIbLb0EES10_IbLb1EEEEDaSW_SX_EUlSW_E_NS1_11comp_targetILNS1_3genE2ELNS1_11target_archE906ELNS1_3gpuE6ELNS1_3repE0EEENS1_30default_config_static_selectorELNS0_4arch9wavefront6targetE0EEEvT1_ ; -- Begin function _ZN7rocprim17ROCPRIM_400000_NS6detail17trampoline_kernelINS0_14default_configENS1_29reduce_by_key_config_selectorIffN6thrust23THRUST_200600_302600_NS4plusIfEEEEZZNS1_33reduce_by_key_impl_wrapped_configILNS1_25lookback_scan_determinismE0ES3_S9_NS6_6detail15normal_iteratorINS6_10device_ptrIfEEEESG_SG_SG_PmS8_22is_equal_div_10_reduceIfEEE10hipError_tPvRmT2_T3_mT4_T5_T6_T7_T8_P12ihipStream_tbENKUlT_T0_E_clISt17integral_constantIbLb0EES10_IbLb1EEEEDaSW_SX_EUlSW_E_NS1_11comp_targetILNS1_3genE2ELNS1_11target_archE906ELNS1_3gpuE6ELNS1_3repE0EEENS1_30default_config_static_selectorELNS0_4arch9wavefront6targetE0EEEvT1_
	.globl	_ZN7rocprim17ROCPRIM_400000_NS6detail17trampoline_kernelINS0_14default_configENS1_29reduce_by_key_config_selectorIffN6thrust23THRUST_200600_302600_NS4plusIfEEEEZZNS1_33reduce_by_key_impl_wrapped_configILNS1_25lookback_scan_determinismE0ES3_S9_NS6_6detail15normal_iteratorINS6_10device_ptrIfEEEESG_SG_SG_PmS8_22is_equal_div_10_reduceIfEEE10hipError_tPvRmT2_T3_mT4_T5_T6_T7_T8_P12ihipStream_tbENKUlT_T0_E_clISt17integral_constantIbLb0EES10_IbLb1EEEEDaSW_SX_EUlSW_E_NS1_11comp_targetILNS1_3genE2ELNS1_11target_archE906ELNS1_3gpuE6ELNS1_3repE0EEENS1_30default_config_static_selectorELNS0_4arch9wavefront6targetE0EEEvT1_
	.p2align	8
	.type	_ZN7rocprim17ROCPRIM_400000_NS6detail17trampoline_kernelINS0_14default_configENS1_29reduce_by_key_config_selectorIffN6thrust23THRUST_200600_302600_NS4plusIfEEEEZZNS1_33reduce_by_key_impl_wrapped_configILNS1_25lookback_scan_determinismE0ES3_S9_NS6_6detail15normal_iteratorINS6_10device_ptrIfEEEESG_SG_SG_PmS8_22is_equal_div_10_reduceIfEEE10hipError_tPvRmT2_T3_mT4_T5_T6_T7_T8_P12ihipStream_tbENKUlT_T0_E_clISt17integral_constantIbLb0EES10_IbLb1EEEEDaSW_SX_EUlSW_E_NS1_11comp_targetILNS1_3genE2ELNS1_11target_archE906ELNS1_3gpuE6ELNS1_3repE0EEENS1_30default_config_static_selectorELNS0_4arch9wavefront6targetE0EEEvT1_,@function
_ZN7rocprim17ROCPRIM_400000_NS6detail17trampoline_kernelINS0_14default_configENS1_29reduce_by_key_config_selectorIffN6thrust23THRUST_200600_302600_NS4plusIfEEEEZZNS1_33reduce_by_key_impl_wrapped_configILNS1_25lookback_scan_determinismE0ES3_S9_NS6_6detail15normal_iteratorINS6_10device_ptrIfEEEESG_SG_SG_PmS8_22is_equal_div_10_reduceIfEEE10hipError_tPvRmT2_T3_mT4_T5_T6_T7_T8_P12ihipStream_tbENKUlT_T0_E_clISt17integral_constantIbLb0EES10_IbLb1EEEEDaSW_SX_EUlSW_E_NS1_11comp_targetILNS1_3genE2ELNS1_11target_archE906ELNS1_3gpuE6ELNS1_3repE0EEENS1_30default_config_static_selectorELNS0_4arch9wavefront6targetE0EEEvT1_: ; @_ZN7rocprim17ROCPRIM_400000_NS6detail17trampoline_kernelINS0_14default_configENS1_29reduce_by_key_config_selectorIffN6thrust23THRUST_200600_302600_NS4plusIfEEEEZZNS1_33reduce_by_key_impl_wrapped_configILNS1_25lookback_scan_determinismE0ES3_S9_NS6_6detail15normal_iteratorINS6_10device_ptrIfEEEESG_SG_SG_PmS8_22is_equal_div_10_reduceIfEEE10hipError_tPvRmT2_T3_mT4_T5_T6_T7_T8_P12ihipStream_tbENKUlT_T0_E_clISt17integral_constantIbLb0EES10_IbLb1EEEEDaSW_SX_EUlSW_E_NS1_11comp_targetILNS1_3genE2ELNS1_11target_archE906ELNS1_3gpuE6ELNS1_3repE0EEENS1_30default_config_static_selectorELNS0_4arch9wavefront6targetE0EEEvT1_
; %bb.0:
	.section	.rodata,"a",@progbits
	.p2align	6, 0x0
	.amdhsa_kernel _ZN7rocprim17ROCPRIM_400000_NS6detail17trampoline_kernelINS0_14default_configENS1_29reduce_by_key_config_selectorIffN6thrust23THRUST_200600_302600_NS4plusIfEEEEZZNS1_33reduce_by_key_impl_wrapped_configILNS1_25lookback_scan_determinismE0ES3_S9_NS6_6detail15normal_iteratorINS6_10device_ptrIfEEEESG_SG_SG_PmS8_22is_equal_div_10_reduceIfEEE10hipError_tPvRmT2_T3_mT4_T5_T6_T7_T8_P12ihipStream_tbENKUlT_T0_E_clISt17integral_constantIbLb0EES10_IbLb1EEEEDaSW_SX_EUlSW_E_NS1_11comp_targetILNS1_3genE2ELNS1_11target_archE906ELNS1_3gpuE6ELNS1_3repE0EEENS1_30default_config_static_selectorELNS0_4arch9wavefront6targetE0EEEvT1_
		.amdhsa_group_segment_fixed_size 0
		.amdhsa_private_segment_fixed_size 0
		.amdhsa_kernarg_size 120
		.amdhsa_user_sgpr_count 15
		.amdhsa_user_sgpr_dispatch_ptr 0
		.amdhsa_user_sgpr_queue_ptr 0
		.amdhsa_user_sgpr_kernarg_segment_ptr 1
		.amdhsa_user_sgpr_dispatch_id 0
		.amdhsa_user_sgpr_private_segment_size 0
		.amdhsa_wavefront_size32 1
		.amdhsa_uses_dynamic_stack 0
		.amdhsa_enable_private_segment 0
		.amdhsa_system_sgpr_workgroup_id_x 1
		.amdhsa_system_sgpr_workgroup_id_y 0
		.amdhsa_system_sgpr_workgroup_id_z 0
		.amdhsa_system_sgpr_workgroup_info 0
		.amdhsa_system_vgpr_workitem_id 0
		.amdhsa_next_free_vgpr 1
		.amdhsa_next_free_sgpr 1
		.amdhsa_reserve_vcc 0
		.amdhsa_float_round_mode_32 0
		.amdhsa_float_round_mode_16_64 0
		.amdhsa_float_denorm_mode_32 3
		.amdhsa_float_denorm_mode_16_64 3
		.amdhsa_dx10_clamp 1
		.amdhsa_ieee_mode 1
		.amdhsa_fp16_overflow 0
		.amdhsa_workgroup_processor_mode 1
		.amdhsa_memory_ordered 1
		.amdhsa_forward_progress 0
		.amdhsa_shared_vgpr_count 0
		.amdhsa_exception_fp_ieee_invalid_op 0
		.amdhsa_exception_fp_denorm_src 0
		.amdhsa_exception_fp_ieee_div_zero 0
		.amdhsa_exception_fp_ieee_overflow 0
		.amdhsa_exception_fp_ieee_underflow 0
		.amdhsa_exception_fp_ieee_inexact 0
		.amdhsa_exception_int_div_zero 0
	.end_amdhsa_kernel
	.section	.text._ZN7rocprim17ROCPRIM_400000_NS6detail17trampoline_kernelINS0_14default_configENS1_29reduce_by_key_config_selectorIffN6thrust23THRUST_200600_302600_NS4plusIfEEEEZZNS1_33reduce_by_key_impl_wrapped_configILNS1_25lookback_scan_determinismE0ES3_S9_NS6_6detail15normal_iteratorINS6_10device_ptrIfEEEESG_SG_SG_PmS8_22is_equal_div_10_reduceIfEEE10hipError_tPvRmT2_T3_mT4_T5_T6_T7_T8_P12ihipStream_tbENKUlT_T0_E_clISt17integral_constantIbLb0EES10_IbLb1EEEEDaSW_SX_EUlSW_E_NS1_11comp_targetILNS1_3genE2ELNS1_11target_archE906ELNS1_3gpuE6ELNS1_3repE0EEENS1_30default_config_static_selectorELNS0_4arch9wavefront6targetE0EEEvT1_,"axG",@progbits,_ZN7rocprim17ROCPRIM_400000_NS6detail17trampoline_kernelINS0_14default_configENS1_29reduce_by_key_config_selectorIffN6thrust23THRUST_200600_302600_NS4plusIfEEEEZZNS1_33reduce_by_key_impl_wrapped_configILNS1_25lookback_scan_determinismE0ES3_S9_NS6_6detail15normal_iteratorINS6_10device_ptrIfEEEESG_SG_SG_PmS8_22is_equal_div_10_reduceIfEEE10hipError_tPvRmT2_T3_mT4_T5_T6_T7_T8_P12ihipStream_tbENKUlT_T0_E_clISt17integral_constantIbLb0EES10_IbLb1EEEEDaSW_SX_EUlSW_E_NS1_11comp_targetILNS1_3genE2ELNS1_11target_archE906ELNS1_3gpuE6ELNS1_3repE0EEENS1_30default_config_static_selectorELNS0_4arch9wavefront6targetE0EEEvT1_,comdat
.Lfunc_end231:
	.size	_ZN7rocprim17ROCPRIM_400000_NS6detail17trampoline_kernelINS0_14default_configENS1_29reduce_by_key_config_selectorIffN6thrust23THRUST_200600_302600_NS4plusIfEEEEZZNS1_33reduce_by_key_impl_wrapped_configILNS1_25lookback_scan_determinismE0ES3_S9_NS6_6detail15normal_iteratorINS6_10device_ptrIfEEEESG_SG_SG_PmS8_22is_equal_div_10_reduceIfEEE10hipError_tPvRmT2_T3_mT4_T5_T6_T7_T8_P12ihipStream_tbENKUlT_T0_E_clISt17integral_constantIbLb0EES10_IbLb1EEEEDaSW_SX_EUlSW_E_NS1_11comp_targetILNS1_3genE2ELNS1_11target_archE906ELNS1_3gpuE6ELNS1_3repE0EEENS1_30default_config_static_selectorELNS0_4arch9wavefront6targetE0EEEvT1_, .Lfunc_end231-_ZN7rocprim17ROCPRIM_400000_NS6detail17trampoline_kernelINS0_14default_configENS1_29reduce_by_key_config_selectorIffN6thrust23THRUST_200600_302600_NS4plusIfEEEEZZNS1_33reduce_by_key_impl_wrapped_configILNS1_25lookback_scan_determinismE0ES3_S9_NS6_6detail15normal_iteratorINS6_10device_ptrIfEEEESG_SG_SG_PmS8_22is_equal_div_10_reduceIfEEE10hipError_tPvRmT2_T3_mT4_T5_T6_T7_T8_P12ihipStream_tbENKUlT_T0_E_clISt17integral_constantIbLb0EES10_IbLb1EEEEDaSW_SX_EUlSW_E_NS1_11comp_targetILNS1_3genE2ELNS1_11target_archE906ELNS1_3gpuE6ELNS1_3repE0EEENS1_30default_config_static_selectorELNS0_4arch9wavefront6targetE0EEEvT1_
                                        ; -- End function
	.section	.AMDGPU.csdata,"",@progbits
; Kernel info:
; codeLenInByte = 0
; NumSgprs: 0
; NumVgprs: 0
; ScratchSize: 0
; MemoryBound: 0
; FloatMode: 240
; IeeeMode: 1
; LDSByteSize: 0 bytes/workgroup (compile time only)
; SGPRBlocks: 0
; VGPRBlocks: 0
; NumSGPRsForWavesPerEU: 1
; NumVGPRsForWavesPerEU: 1
; Occupancy: 16
; WaveLimiterHint : 0
; COMPUTE_PGM_RSRC2:SCRATCH_EN: 0
; COMPUTE_PGM_RSRC2:USER_SGPR: 15
; COMPUTE_PGM_RSRC2:TRAP_HANDLER: 0
; COMPUTE_PGM_RSRC2:TGID_X_EN: 1
; COMPUTE_PGM_RSRC2:TGID_Y_EN: 0
; COMPUTE_PGM_RSRC2:TGID_Z_EN: 0
; COMPUTE_PGM_RSRC2:TIDIG_COMP_CNT: 0
	.section	.text._ZN7rocprim17ROCPRIM_400000_NS6detail17trampoline_kernelINS0_14default_configENS1_29reduce_by_key_config_selectorIffN6thrust23THRUST_200600_302600_NS4plusIfEEEEZZNS1_33reduce_by_key_impl_wrapped_configILNS1_25lookback_scan_determinismE0ES3_S9_NS6_6detail15normal_iteratorINS6_10device_ptrIfEEEESG_SG_SG_PmS8_22is_equal_div_10_reduceIfEEE10hipError_tPvRmT2_T3_mT4_T5_T6_T7_T8_P12ihipStream_tbENKUlT_T0_E_clISt17integral_constantIbLb0EES10_IbLb1EEEEDaSW_SX_EUlSW_E_NS1_11comp_targetILNS1_3genE10ELNS1_11target_archE1201ELNS1_3gpuE5ELNS1_3repE0EEENS1_30default_config_static_selectorELNS0_4arch9wavefront6targetE0EEEvT1_,"axG",@progbits,_ZN7rocprim17ROCPRIM_400000_NS6detail17trampoline_kernelINS0_14default_configENS1_29reduce_by_key_config_selectorIffN6thrust23THRUST_200600_302600_NS4plusIfEEEEZZNS1_33reduce_by_key_impl_wrapped_configILNS1_25lookback_scan_determinismE0ES3_S9_NS6_6detail15normal_iteratorINS6_10device_ptrIfEEEESG_SG_SG_PmS8_22is_equal_div_10_reduceIfEEE10hipError_tPvRmT2_T3_mT4_T5_T6_T7_T8_P12ihipStream_tbENKUlT_T0_E_clISt17integral_constantIbLb0EES10_IbLb1EEEEDaSW_SX_EUlSW_E_NS1_11comp_targetILNS1_3genE10ELNS1_11target_archE1201ELNS1_3gpuE5ELNS1_3repE0EEENS1_30default_config_static_selectorELNS0_4arch9wavefront6targetE0EEEvT1_,comdat
	.protected	_ZN7rocprim17ROCPRIM_400000_NS6detail17trampoline_kernelINS0_14default_configENS1_29reduce_by_key_config_selectorIffN6thrust23THRUST_200600_302600_NS4plusIfEEEEZZNS1_33reduce_by_key_impl_wrapped_configILNS1_25lookback_scan_determinismE0ES3_S9_NS6_6detail15normal_iteratorINS6_10device_ptrIfEEEESG_SG_SG_PmS8_22is_equal_div_10_reduceIfEEE10hipError_tPvRmT2_T3_mT4_T5_T6_T7_T8_P12ihipStream_tbENKUlT_T0_E_clISt17integral_constantIbLb0EES10_IbLb1EEEEDaSW_SX_EUlSW_E_NS1_11comp_targetILNS1_3genE10ELNS1_11target_archE1201ELNS1_3gpuE5ELNS1_3repE0EEENS1_30default_config_static_selectorELNS0_4arch9wavefront6targetE0EEEvT1_ ; -- Begin function _ZN7rocprim17ROCPRIM_400000_NS6detail17trampoline_kernelINS0_14default_configENS1_29reduce_by_key_config_selectorIffN6thrust23THRUST_200600_302600_NS4plusIfEEEEZZNS1_33reduce_by_key_impl_wrapped_configILNS1_25lookback_scan_determinismE0ES3_S9_NS6_6detail15normal_iteratorINS6_10device_ptrIfEEEESG_SG_SG_PmS8_22is_equal_div_10_reduceIfEEE10hipError_tPvRmT2_T3_mT4_T5_T6_T7_T8_P12ihipStream_tbENKUlT_T0_E_clISt17integral_constantIbLb0EES10_IbLb1EEEEDaSW_SX_EUlSW_E_NS1_11comp_targetILNS1_3genE10ELNS1_11target_archE1201ELNS1_3gpuE5ELNS1_3repE0EEENS1_30default_config_static_selectorELNS0_4arch9wavefront6targetE0EEEvT1_
	.globl	_ZN7rocprim17ROCPRIM_400000_NS6detail17trampoline_kernelINS0_14default_configENS1_29reduce_by_key_config_selectorIffN6thrust23THRUST_200600_302600_NS4plusIfEEEEZZNS1_33reduce_by_key_impl_wrapped_configILNS1_25lookback_scan_determinismE0ES3_S9_NS6_6detail15normal_iteratorINS6_10device_ptrIfEEEESG_SG_SG_PmS8_22is_equal_div_10_reduceIfEEE10hipError_tPvRmT2_T3_mT4_T5_T6_T7_T8_P12ihipStream_tbENKUlT_T0_E_clISt17integral_constantIbLb0EES10_IbLb1EEEEDaSW_SX_EUlSW_E_NS1_11comp_targetILNS1_3genE10ELNS1_11target_archE1201ELNS1_3gpuE5ELNS1_3repE0EEENS1_30default_config_static_selectorELNS0_4arch9wavefront6targetE0EEEvT1_
	.p2align	8
	.type	_ZN7rocprim17ROCPRIM_400000_NS6detail17trampoline_kernelINS0_14default_configENS1_29reduce_by_key_config_selectorIffN6thrust23THRUST_200600_302600_NS4plusIfEEEEZZNS1_33reduce_by_key_impl_wrapped_configILNS1_25lookback_scan_determinismE0ES3_S9_NS6_6detail15normal_iteratorINS6_10device_ptrIfEEEESG_SG_SG_PmS8_22is_equal_div_10_reduceIfEEE10hipError_tPvRmT2_T3_mT4_T5_T6_T7_T8_P12ihipStream_tbENKUlT_T0_E_clISt17integral_constantIbLb0EES10_IbLb1EEEEDaSW_SX_EUlSW_E_NS1_11comp_targetILNS1_3genE10ELNS1_11target_archE1201ELNS1_3gpuE5ELNS1_3repE0EEENS1_30default_config_static_selectorELNS0_4arch9wavefront6targetE0EEEvT1_,@function
_ZN7rocprim17ROCPRIM_400000_NS6detail17trampoline_kernelINS0_14default_configENS1_29reduce_by_key_config_selectorIffN6thrust23THRUST_200600_302600_NS4plusIfEEEEZZNS1_33reduce_by_key_impl_wrapped_configILNS1_25lookback_scan_determinismE0ES3_S9_NS6_6detail15normal_iteratorINS6_10device_ptrIfEEEESG_SG_SG_PmS8_22is_equal_div_10_reduceIfEEE10hipError_tPvRmT2_T3_mT4_T5_T6_T7_T8_P12ihipStream_tbENKUlT_T0_E_clISt17integral_constantIbLb0EES10_IbLb1EEEEDaSW_SX_EUlSW_E_NS1_11comp_targetILNS1_3genE10ELNS1_11target_archE1201ELNS1_3gpuE5ELNS1_3repE0EEENS1_30default_config_static_selectorELNS0_4arch9wavefront6targetE0EEEvT1_: ; @_ZN7rocprim17ROCPRIM_400000_NS6detail17trampoline_kernelINS0_14default_configENS1_29reduce_by_key_config_selectorIffN6thrust23THRUST_200600_302600_NS4plusIfEEEEZZNS1_33reduce_by_key_impl_wrapped_configILNS1_25lookback_scan_determinismE0ES3_S9_NS6_6detail15normal_iteratorINS6_10device_ptrIfEEEESG_SG_SG_PmS8_22is_equal_div_10_reduceIfEEE10hipError_tPvRmT2_T3_mT4_T5_T6_T7_T8_P12ihipStream_tbENKUlT_T0_E_clISt17integral_constantIbLb0EES10_IbLb1EEEEDaSW_SX_EUlSW_E_NS1_11comp_targetILNS1_3genE10ELNS1_11target_archE1201ELNS1_3gpuE5ELNS1_3repE0EEENS1_30default_config_static_selectorELNS0_4arch9wavefront6targetE0EEEvT1_
; %bb.0:
	.section	.rodata,"a",@progbits
	.p2align	6, 0x0
	.amdhsa_kernel _ZN7rocprim17ROCPRIM_400000_NS6detail17trampoline_kernelINS0_14default_configENS1_29reduce_by_key_config_selectorIffN6thrust23THRUST_200600_302600_NS4plusIfEEEEZZNS1_33reduce_by_key_impl_wrapped_configILNS1_25lookback_scan_determinismE0ES3_S9_NS6_6detail15normal_iteratorINS6_10device_ptrIfEEEESG_SG_SG_PmS8_22is_equal_div_10_reduceIfEEE10hipError_tPvRmT2_T3_mT4_T5_T6_T7_T8_P12ihipStream_tbENKUlT_T0_E_clISt17integral_constantIbLb0EES10_IbLb1EEEEDaSW_SX_EUlSW_E_NS1_11comp_targetILNS1_3genE10ELNS1_11target_archE1201ELNS1_3gpuE5ELNS1_3repE0EEENS1_30default_config_static_selectorELNS0_4arch9wavefront6targetE0EEEvT1_
		.amdhsa_group_segment_fixed_size 0
		.amdhsa_private_segment_fixed_size 0
		.amdhsa_kernarg_size 120
		.amdhsa_user_sgpr_count 15
		.amdhsa_user_sgpr_dispatch_ptr 0
		.amdhsa_user_sgpr_queue_ptr 0
		.amdhsa_user_sgpr_kernarg_segment_ptr 1
		.amdhsa_user_sgpr_dispatch_id 0
		.amdhsa_user_sgpr_private_segment_size 0
		.amdhsa_wavefront_size32 1
		.amdhsa_uses_dynamic_stack 0
		.amdhsa_enable_private_segment 0
		.amdhsa_system_sgpr_workgroup_id_x 1
		.amdhsa_system_sgpr_workgroup_id_y 0
		.amdhsa_system_sgpr_workgroup_id_z 0
		.amdhsa_system_sgpr_workgroup_info 0
		.amdhsa_system_vgpr_workitem_id 0
		.amdhsa_next_free_vgpr 1
		.amdhsa_next_free_sgpr 1
		.amdhsa_reserve_vcc 0
		.amdhsa_float_round_mode_32 0
		.amdhsa_float_round_mode_16_64 0
		.amdhsa_float_denorm_mode_32 3
		.amdhsa_float_denorm_mode_16_64 3
		.amdhsa_dx10_clamp 1
		.amdhsa_ieee_mode 1
		.amdhsa_fp16_overflow 0
		.amdhsa_workgroup_processor_mode 1
		.amdhsa_memory_ordered 1
		.amdhsa_forward_progress 0
		.amdhsa_shared_vgpr_count 0
		.amdhsa_exception_fp_ieee_invalid_op 0
		.amdhsa_exception_fp_denorm_src 0
		.amdhsa_exception_fp_ieee_div_zero 0
		.amdhsa_exception_fp_ieee_overflow 0
		.amdhsa_exception_fp_ieee_underflow 0
		.amdhsa_exception_fp_ieee_inexact 0
		.amdhsa_exception_int_div_zero 0
	.end_amdhsa_kernel
	.section	.text._ZN7rocprim17ROCPRIM_400000_NS6detail17trampoline_kernelINS0_14default_configENS1_29reduce_by_key_config_selectorIffN6thrust23THRUST_200600_302600_NS4plusIfEEEEZZNS1_33reduce_by_key_impl_wrapped_configILNS1_25lookback_scan_determinismE0ES3_S9_NS6_6detail15normal_iteratorINS6_10device_ptrIfEEEESG_SG_SG_PmS8_22is_equal_div_10_reduceIfEEE10hipError_tPvRmT2_T3_mT4_T5_T6_T7_T8_P12ihipStream_tbENKUlT_T0_E_clISt17integral_constantIbLb0EES10_IbLb1EEEEDaSW_SX_EUlSW_E_NS1_11comp_targetILNS1_3genE10ELNS1_11target_archE1201ELNS1_3gpuE5ELNS1_3repE0EEENS1_30default_config_static_selectorELNS0_4arch9wavefront6targetE0EEEvT1_,"axG",@progbits,_ZN7rocprim17ROCPRIM_400000_NS6detail17trampoline_kernelINS0_14default_configENS1_29reduce_by_key_config_selectorIffN6thrust23THRUST_200600_302600_NS4plusIfEEEEZZNS1_33reduce_by_key_impl_wrapped_configILNS1_25lookback_scan_determinismE0ES3_S9_NS6_6detail15normal_iteratorINS6_10device_ptrIfEEEESG_SG_SG_PmS8_22is_equal_div_10_reduceIfEEE10hipError_tPvRmT2_T3_mT4_T5_T6_T7_T8_P12ihipStream_tbENKUlT_T0_E_clISt17integral_constantIbLb0EES10_IbLb1EEEEDaSW_SX_EUlSW_E_NS1_11comp_targetILNS1_3genE10ELNS1_11target_archE1201ELNS1_3gpuE5ELNS1_3repE0EEENS1_30default_config_static_selectorELNS0_4arch9wavefront6targetE0EEEvT1_,comdat
.Lfunc_end232:
	.size	_ZN7rocprim17ROCPRIM_400000_NS6detail17trampoline_kernelINS0_14default_configENS1_29reduce_by_key_config_selectorIffN6thrust23THRUST_200600_302600_NS4plusIfEEEEZZNS1_33reduce_by_key_impl_wrapped_configILNS1_25lookback_scan_determinismE0ES3_S9_NS6_6detail15normal_iteratorINS6_10device_ptrIfEEEESG_SG_SG_PmS8_22is_equal_div_10_reduceIfEEE10hipError_tPvRmT2_T3_mT4_T5_T6_T7_T8_P12ihipStream_tbENKUlT_T0_E_clISt17integral_constantIbLb0EES10_IbLb1EEEEDaSW_SX_EUlSW_E_NS1_11comp_targetILNS1_3genE10ELNS1_11target_archE1201ELNS1_3gpuE5ELNS1_3repE0EEENS1_30default_config_static_selectorELNS0_4arch9wavefront6targetE0EEEvT1_, .Lfunc_end232-_ZN7rocprim17ROCPRIM_400000_NS6detail17trampoline_kernelINS0_14default_configENS1_29reduce_by_key_config_selectorIffN6thrust23THRUST_200600_302600_NS4plusIfEEEEZZNS1_33reduce_by_key_impl_wrapped_configILNS1_25lookback_scan_determinismE0ES3_S9_NS6_6detail15normal_iteratorINS6_10device_ptrIfEEEESG_SG_SG_PmS8_22is_equal_div_10_reduceIfEEE10hipError_tPvRmT2_T3_mT4_T5_T6_T7_T8_P12ihipStream_tbENKUlT_T0_E_clISt17integral_constantIbLb0EES10_IbLb1EEEEDaSW_SX_EUlSW_E_NS1_11comp_targetILNS1_3genE10ELNS1_11target_archE1201ELNS1_3gpuE5ELNS1_3repE0EEENS1_30default_config_static_selectorELNS0_4arch9wavefront6targetE0EEEvT1_
                                        ; -- End function
	.section	.AMDGPU.csdata,"",@progbits
; Kernel info:
; codeLenInByte = 0
; NumSgprs: 0
; NumVgprs: 0
; ScratchSize: 0
; MemoryBound: 0
; FloatMode: 240
; IeeeMode: 1
; LDSByteSize: 0 bytes/workgroup (compile time only)
; SGPRBlocks: 0
; VGPRBlocks: 0
; NumSGPRsForWavesPerEU: 1
; NumVGPRsForWavesPerEU: 1
; Occupancy: 16
; WaveLimiterHint : 0
; COMPUTE_PGM_RSRC2:SCRATCH_EN: 0
; COMPUTE_PGM_RSRC2:USER_SGPR: 15
; COMPUTE_PGM_RSRC2:TRAP_HANDLER: 0
; COMPUTE_PGM_RSRC2:TGID_X_EN: 1
; COMPUTE_PGM_RSRC2:TGID_Y_EN: 0
; COMPUTE_PGM_RSRC2:TGID_Z_EN: 0
; COMPUTE_PGM_RSRC2:TIDIG_COMP_CNT: 0
	.section	.text._ZN7rocprim17ROCPRIM_400000_NS6detail17trampoline_kernelINS0_14default_configENS1_29reduce_by_key_config_selectorIffN6thrust23THRUST_200600_302600_NS4plusIfEEEEZZNS1_33reduce_by_key_impl_wrapped_configILNS1_25lookback_scan_determinismE0ES3_S9_NS6_6detail15normal_iteratorINS6_10device_ptrIfEEEESG_SG_SG_PmS8_22is_equal_div_10_reduceIfEEE10hipError_tPvRmT2_T3_mT4_T5_T6_T7_T8_P12ihipStream_tbENKUlT_T0_E_clISt17integral_constantIbLb0EES10_IbLb1EEEEDaSW_SX_EUlSW_E_NS1_11comp_targetILNS1_3genE10ELNS1_11target_archE1200ELNS1_3gpuE4ELNS1_3repE0EEENS1_30default_config_static_selectorELNS0_4arch9wavefront6targetE0EEEvT1_,"axG",@progbits,_ZN7rocprim17ROCPRIM_400000_NS6detail17trampoline_kernelINS0_14default_configENS1_29reduce_by_key_config_selectorIffN6thrust23THRUST_200600_302600_NS4plusIfEEEEZZNS1_33reduce_by_key_impl_wrapped_configILNS1_25lookback_scan_determinismE0ES3_S9_NS6_6detail15normal_iteratorINS6_10device_ptrIfEEEESG_SG_SG_PmS8_22is_equal_div_10_reduceIfEEE10hipError_tPvRmT2_T3_mT4_T5_T6_T7_T8_P12ihipStream_tbENKUlT_T0_E_clISt17integral_constantIbLb0EES10_IbLb1EEEEDaSW_SX_EUlSW_E_NS1_11comp_targetILNS1_3genE10ELNS1_11target_archE1200ELNS1_3gpuE4ELNS1_3repE0EEENS1_30default_config_static_selectorELNS0_4arch9wavefront6targetE0EEEvT1_,comdat
	.protected	_ZN7rocprim17ROCPRIM_400000_NS6detail17trampoline_kernelINS0_14default_configENS1_29reduce_by_key_config_selectorIffN6thrust23THRUST_200600_302600_NS4plusIfEEEEZZNS1_33reduce_by_key_impl_wrapped_configILNS1_25lookback_scan_determinismE0ES3_S9_NS6_6detail15normal_iteratorINS6_10device_ptrIfEEEESG_SG_SG_PmS8_22is_equal_div_10_reduceIfEEE10hipError_tPvRmT2_T3_mT4_T5_T6_T7_T8_P12ihipStream_tbENKUlT_T0_E_clISt17integral_constantIbLb0EES10_IbLb1EEEEDaSW_SX_EUlSW_E_NS1_11comp_targetILNS1_3genE10ELNS1_11target_archE1200ELNS1_3gpuE4ELNS1_3repE0EEENS1_30default_config_static_selectorELNS0_4arch9wavefront6targetE0EEEvT1_ ; -- Begin function _ZN7rocprim17ROCPRIM_400000_NS6detail17trampoline_kernelINS0_14default_configENS1_29reduce_by_key_config_selectorIffN6thrust23THRUST_200600_302600_NS4plusIfEEEEZZNS1_33reduce_by_key_impl_wrapped_configILNS1_25lookback_scan_determinismE0ES3_S9_NS6_6detail15normal_iteratorINS6_10device_ptrIfEEEESG_SG_SG_PmS8_22is_equal_div_10_reduceIfEEE10hipError_tPvRmT2_T3_mT4_T5_T6_T7_T8_P12ihipStream_tbENKUlT_T0_E_clISt17integral_constantIbLb0EES10_IbLb1EEEEDaSW_SX_EUlSW_E_NS1_11comp_targetILNS1_3genE10ELNS1_11target_archE1200ELNS1_3gpuE4ELNS1_3repE0EEENS1_30default_config_static_selectorELNS0_4arch9wavefront6targetE0EEEvT1_
	.globl	_ZN7rocprim17ROCPRIM_400000_NS6detail17trampoline_kernelINS0_14default_configENS1_29reduce_by_key_config_selectorIffN6thrust23THRUST_200600_302600_NS4plusIfEEEEZZNS1_33reduce_by_key_impl_wrapped_configILNS1_25lookback_scan_determinismE0ES3_S9_NS6_6detail15normal_iteratorINS6_10device_ptrIfEEEESG_SG_SG_PmS8_22is_equal_div_10_reduceIfEEE10hipError_tPvRmT2_T3_mT4_T5_T6_T7_T8_P12ihipStream_tbENKUlT_T0_E_clISt17integral_constantIbLb0EES10_IbLb1EEEEDaSW_SX_EUlSW_E_NS1_11comp_targetILNS1_3genE10ELNS1_11target_archE1200ELNS1_3gpuE4ELNS1_3repE0EEENS1_30default_config_static_selectorELNS0_4arch9wavefront6targetE0EEEvT1_
	.p2align	8
	.type	_ZN7rocprim17ROCPRIM_400000_NS6detail17trampoline_kernelINS0_14default_configENS1_29reduce_by_key_config_selectorIffN6thrust23THRUST_200600_302600_NS4plusIfEEEEZZNS1_33reduce_by_key_impl_wrapped_configILNS1_25lookback_scan_determinismE0ES3_S9_NS6_6detail15normal_iteratorINS6_10device_ptrIfEEEESG_SG_SG_PmS8_22is_equal_div_10_reduceIfEEE10hipError_tPvRmT2_T3_mT4_T5_T6_T7_T8_P12ihipStream_tbENKUlT_T0_E_clISt17integral_constantIbLb0EES10_IbLb1EEEEDaSW_SX_EUlSW_E_NS1_11comp_targetILNS1_3genE10ELNS1_11target_archE1200ELNS1_3gpuE4ELNS1_3repE0EEENS1_30default_config_static_selectorELNS0_4arch9wavefront6targetE0EEEvT1_,@function
_ZN7rocprim17ROCPRIM_400000_NS6detail17trampoline_kernelINS0_14default_configENS1_29reduce_by_key_config_selectorIffN6thrust23THRUST_200600_302600_NS4plusIfEEEEZZNS1_33reduce_by_key_impl_wrapped_configILNS1_25lookback_scan_determinismE0ES3_S9_NS6_6detail15normal_iteratorINS6_10device_ptrIfEEEESG_SG_SG_PmS8_22is_equal_div_10_reduceIfEEE10hipError_tPvRmT2_T3_mT4_T5_T6_T7_T8_P12ihipStream_tbENKUlT_T0_E_clISt17integral_constantIbLb0EES10_IbLb1EEEEDaSW_SX_EUlSW_E_NS1_11comp_targetILNS1_3genE10ELNS1_11target_archE1200ELNS1_3gpuE4ELNS1_3repE0EEENS1_30default_config_static_selectorELNS0_4arch9wavefront6targetE0EEEvT1_: ; @_ZN7rocprim17ROCPRIM_400000_NS6detail17trampoline_kernelINS0_14default_configENS1_29reduce_by_key_config_selectorIffN6thrust23THRUST_200600_302600_NS4plusIfEEEEZZNS1_33reduce_by_key_impl_wrapped_configILNS1_25lookback_scan_determinismE0ES3_S9_NS6_6detail15normal_iteratorINS6_10device_ptrIfEEEESG_SG_SG_PmS8_22is_equal_div_10_reduceIfEEE10hipError_tPvRmT2_T3_mT4_T5_T6_T7_T8_P12ihipStream_tbENKUlT_T0_E_clISt17integral_constantIbLb0EES10_IbLb1EEEEDaSW_SX_EUlSW_E_NS1_11comp_targetILNS1_3genE10ELNS1_11target_archE1200ELNS1_3gpuE4ELNS1_3repE0EEENS1_30default_config_static_selectorELNS0_4arch9wavefront6targetE0EEEvT1_
; %bb.0:
	.section	.rodata,"a",@progbits
	.p2align	6, 0x0
	.amdhsa_kernel _ZN7rocprim17ROCPRIM_400000_NS6detail17trampoline_kernelINS0_14default_configENS1_29reduce_by_key_config_selectorIffN6thrust23THRUST_200600_302600_NS4plusIfEEEEZZNS1_33reduce_by_key_impl_wrapped_configILNS1_25lookback_scan_determinismE0ES3_S9_NS6_6detail15normal_iteratorINS6_10device_ptrIfEEEESG_SG_SG_PmS8_22is_equal_div_10_reduceIfEEE10hipError_tPvRmT2_T3_mT4_T5_T6_T7_T8_P12ihipStream_tbENKUlT_T0_E_clISt17integral_constantIbLb0EES10_IbLb1EEEEDaSW_SX_EUlSW_E_NS1_11comp_targetILNS1_3genE10ELNS1_11target_archE1200ELNS1_3gpuE4ELNS1_3repE0EEENS1_30default_config_static_selectorELNS0_4arch9wavefront6targetE0EEEvT1_
		.amdhsa_group_segment_fixed_size 0
		.amdhsa_private_segment_fixed_size 0
		.amdhsa_kernarg_size 120
		.amdhsa_user_sgpr_count 15
		.amdhsa_user_sgpr_dispatch_ptr 0
		.amdhsa_user_sgpr_queue_ptr 0
		.amdhsa_user_sgpr_kernarg_segment_ptr 1
		.amdhsa_user_sgpr_dispatch_id 0
		.amdhsa_user_sgpr_private_segment_size 0
		.amdhsa_wavefront_size32 1
		.amdhsa_uses_dynamic_stack 0
		.amdhsa_enable_private_segment 0
		.amdhsa_system_sgpr_workgroup_id_x 1
		.amdhsa_system_sgpr_workgroup_id_y 0
		.amdhsa_system_sgpr_workgroup_id_z 0
		.amdhsa_system_sgpr_workgroup_info 0
		.amdhsa_system_vgpr_workitem_id 0
		.amdhsa_next_free_vgpr 1
		.amdhsa_next_free_sgpr 1
		.amdhsa_reserve_vcc 0
		.amdhsa_float_round_mode_32 0
		.amdhsa_float_round_mode_16_64 0
		.amdhsa_float_denorm_mode_32 3
		.amdhsa_float_denorm_mode_16_64 3
		.amdhsa_dx10_clamp 1
		.amdhsa_ieee_mode 1
		.amdhsa_fp16_overflow 0
		.amdhsa_workgroup_processor_mode 1
		.amdhsa_memory_ordered 1
		.amdhsa_forward_progress 0
		.amdhsa_shared_vgpr_count 0
		.amdhsa_exception_fp_ieee_invalid_op 0
		.amdhsa_exception_fp_denorm_src 0
		.amdhsa_exception_fp_ieee_div_zero 0
		.amdhsa_exception_fp_ieee_overflow 0
		.amdhsa_exception_fp_ieee_underflow 0
		.amdhsa_exception_fp_ieee_inexact 0
		.amdhsa_exception_int_div_zero 0
	.end_amdhsa_kernel
	.section	.text._ZN7rocprim17ROCPRIM_400000_NS6detail17trampoline_kernelINS0_14default_configENS1_29reduce_by_key_config_selectorIffN6thrust23THRUST_200600_302600_NS4plusIfEEEEZZNS1_33reduce_by_key_impl_wrapped_configILNS1_25lookback_scan_determinismE0ES3_S9_NS6_6detail15normal_iteratorINS6_10device_ptrIfEEEESG_SG_SG_PmS8_22is_equal_div_10_reduceIfEEE10hipError_tPvRmT2_T3_mT4_T5_T6_T7_T8_P12ihipStream_tbENKUlT_T0_E_clISt17integral_constantIbLb0EES10_IbLb1EEEEDaSW_SX_EUlSW_E_NS1_11comp_targetILNS1_3genE10ELNS1_11target_archE1200ELNS1_3gpuE4ELNS1_3repE0EEENS1_30default_config_static_selectorELNS0_4arch9wavefront6targetE0EEEvT1_,"axG",@progbits,_ZN7rocprim17ROCPRIM_400000_NS6detail17trampoline_kernelINS0_14default_configENS1_29reduce_by_key_config_selectorIffN6thrust23THRUST_200600_302600_NS4plusIfEEEEZZNS1_33reduce_by_key_impl_wrapped_configILNS1_25lookback_scan_determinismE0ES3_S9_NS6_6detail15normal_iteratorINS6_10device_ptrIfEEEESG_SG_SG_PmS8_22is_equal_div_10_reduceIfEEE10hipError_tPvRmT2_T3_mT4_T5_T6_T7_T8_P12ihipStream_tbENKUlT_T0_E_clISt17integral_constantIbLb0EES10_IbLb1EEEEDaSW_SX_EUlSW_E_NS1_11comp_targetILNS1_3genE10ELNS1_11target_archE1200ELNS1_3gpuE4ELNS1_3repE0EEENS1_30default_config_static_selectorELNS0_4arch9wavefront6targetE0EEEvT1_,comdat
.Lfunc_end233:
	.size	_ZN7rocprim17ROCPRIM_400000_NS6detail17trampoline_kernelINS0_14default_configENS1_29reduce_by_key_config_selectorIffN6thrust23THRUST_200600_302600_NS4plusIfEEEEZZNS1_33reduce_by_key_impl_wrapped_configILNS1_25lookback_scan_determinismE0ES3_S9_NS6_6detail15normal_iteratorINS6_10device_ptrIfEEEESG_SG_SG_PmS8_22is_equal_div_10_reduceIfEEE10hipError_tPvRmT2_T3_mT4_T5_T6_T7_T8_P12ihipStream_tbENKUlT_T0_E_clISt17integral_constantIbLb0EES10_IbLb1EEEEDaSW_SX_EUlSW_E_NS1_11comp_targetILNS1_3genE10ELNS1_11target_archE1200ELNS1_3gpuE4ELNS1_3repE0EEENS1_30default_config_static_selectorELNS0_4arch9wavefront6targetE0EEEvT1_, .Lfunc_end233-_ZN7rocprim17ROCPRIM_400000_NS6detail17trampoline_kernelINS0_14default_configENS1_29reduce_by_key_config_selectorIffN6thrust23THRUST_200600_302600_NS4plusIfEEEEZZNS1_33reduce_by_key_impl_wrapped_configILNS1_25lookback_scan_determinismE0ES3_S9_NS6_6detail15normal_iteratorINS6_10device_ptrIfEEEESG_SG_SG_PmS8_22is_equal_div_10_reduceIfEEE10hipError_tPvRmT2_T3_mT4_T5_T6_T7_T8_P12ihipStream_tbENKUlT_T0_E_clISt17integral_constantIbLb0EES10_IbLb1EEEEDaSW_SX_EUlSW_E_NS1_11comp_targetILNS1_3genE10ELNS1_11target_archE1200ELNS1_3gpuE4ELNS1_3repE0EEENS1_30default_config_static_selectorELNS0_4arch9wavefront6targetE0EEEvT1_
                                        ; -- End function
	.section	.AMDGPU.csdata,"",@progbits
; Kernel info:
; codeLenInByte = 0
; NumSgprs: 0
; NumVgprs: 0
; ScratchSize: 0
; MemoryBound: 0
; FloatMode: 240
; IeeeMode: 1
; LDSByteSize: 0 bytes/workgroup (compile time only)
; SGPRBlocks: 0
; VGPRBlocks: 0
; NumSGPRsForWavesPerEU: 1
; NumVGPRsForWavesPerEU: 1
; Occupancy: 16
; WaveLimiterHint : 0
; COMPUTE_PGM_RSRC2:SCRATCH_EN: 0
; COMPUTE_PGM_RSRC2:USER_SGPR: 15
; COMPUTE_PGM_RSRC2:TRAP_HANDLER: 0
; COMPUTE_PGM_RSRC2:TGID_X_EN: 1
; COMPUTE_PGM_RSRC2:TGID_Y_EN: 0
; COMPUTE_PGM_RSRC2:TGID_Z_EN: 0
; COMPUTE_PGM_RSRC2:TIDIG_COMP_CNT: 0
	.section	.text._ZN7rocprim17ROCPRIM_400000_NS6detail17trampoline_kernelINS0_14default_configENS1_29reduce_by_key_config_selectorIffN6thrust23THRUST_200600_302600_NS4plusIfEEEEZZNS1_33reduce_by_key_impl_wrapped_configILNS1_25lookback_scan_determinismE0ES3_S9_NS6_6detail15normal_iteratorINS6_10device_ptrIfEEEESG_SG_SG_PmS8_22is_equal_div_10_reduceIfEEE10hipError_tPvRmT2_T3_mT4_T5_T6_T7_T8_P12ihipStream_tbENKUlT_T0_E_clISt17integral_constantIbLb0EES10_IbLb1EEEEDaSW_SX_EUlSW_E_NS1_11comp_targetILNS1_3genE9ELNS1_11target_archE1100ELNS1_3gpuE3ELNS1_3repE0EEENS1_30default_config_static_selectorELNS0_4arch9wavefront6targetE0EEEvT1_,"axG",@progbits,_ZN7rocprim17ROCPRIM_400000_NS6detail17trampoline_kernelINS0_14default_configENS1_29reduce_by_key_config_selectorIffN6thrust23THRUST_200600_302600_NS4plusIfEEEEZZNS1_33reduce_by_key_impl_wrapped_configILNS1_25lookback_scan_determinismE0ES3_S9_NS6_6detail15normal_iteratorINS6_10device_ptrIfEEEESG_SG_SG_PmS8_22is_equal_div_10_reduceIfEEE10hipError_tPvRmT2_T3_mT4_T5_T6_T7_T8_P12ihipStream_tbENKUlT_T0_E_clISt17integral_constantIbLb0EES10_IbLb1EEEEDaSW_SX_EUlSW_E_NS1_11comp_targetILNS1_3genE9ELNS1_11target_archE1100ELNS1_3gpuE3ELNS1_3repE0EEENS1_30default_config_static_selectorELNS0_4arch9wavefront6targetE0EEEvT1_,comdat
	.protected	_ZN7rocprim17ROCPRIM_400000_NS6detail17trampoline_kernelINS0_14default_configENS1_29reduce_by_key_config_selectorIffN6thrust23THRUST_200600_302600_NS4plusIfEEEEZZNS1_33reduce_by_key_impl_wrapped_configILNS1_25lookback_scan_determinismE0ES3_S9_NS6_6detail15normal_iteratorINS6_10device_ptrIfEEEESG_SG_SG_PmS8_22is_equal_div_10_reduceIfEEE10hipError_tPvRmT2_T3_mT4_T5_T6_T7_T8_P12ihipStream_tbENKUlT_T0_E_clISt17integral_constantIbLb0EES10_IbLb1EEEEDaSW_SX_EUlSW_E_NS1_11comp_targetILNS1_3genE9ELNS1_11target_archE1100ELNS1_3gpuE3ELNS1_3repE0EEENS1_30default_config_static_selectorELNS0_4arch9wavefront6targetE0EEEvT1_ ; -- Begin function _ZN7rocprim17ROCPRIM_400000_NS6detail17trampoline_kernelINS0_14default_configENS1_29reduce_by_key_config_selectorIffN6thrust23THRUST_200600_302600_NS4plusIfEEEEZZNS1_33reduce_by_key_impl_wrapped_configILNS1_25lookback_scan_determinismE0ES3_S9_NS6_6detail15normal_iteratorINS6_10device_ptrIfEEEESG_SG_SG_PmS8_22is_equal_div_10_reduceIfEEE10hipError_tPvRmT2_T3_mT4_T5_T6_T7_T8_P12ihipStream_tbENKUlT_T0_E_clISt17integral_constantIbLb0EES10_IbLb1EEEEDaSW_SX_EUlSW_E_NS1_11comp_targetILNS1_3genE9ELNS1_11target_archE1100ELNS1_3gpuE3ELNS1_3repE0EEENS1_30default_config_static_selectorELNS0_4arch9wavefront6targetE0EEEvT1_
	.globl	_ZN7rocprim17ROCPRIM_400000_NS6detail17trampoline_kernelINS0_14default_configENS1_29reduce_by_key_config_selectorIffN6thrust23THRUST_200600_302600_NS4plusIfEEEEZZNS1_33reduce_by_key_impl_wrapped_configILNS1_25lookback_scan_determinismE0ES3_S9_NS6_6detail15normal_iteratorINS6_10device_ptrIfEEEESG_SG_SG_PmS8_22is_equal_div_10_reduceIfEEE10hipError_tPvRmT2_T3_mT4_T5_T6_T7_T8_P12ihipStream_tbENKUlT_T0_E_clISt17integral_constantIbLb0EES10_IbLb1EEEEDaSW_SX_EUlSW_E_NS1_11comp_targetILNS1_3genE9ELNS1_11target_archE1100ELNS1_3gpuE3ELNS1_3repE0EEENS1_30default_config_static_selectorELNS0_4arch9wavefront6targetE0EEEvT1_
	.p2align	8
	.type	_ZN7rocprim17ROCPRIM_400000_NS6detail17trampoline_kernelINS0_14default_configENS1_29reduce_by_key_config_selectorIffN6thrust23THRUST_200600_302600_NS4plusIfEEEEZZNS1_33reduce_by_key_impl_wrapped_configILNS1_25lookback_scan_determinismE0ES3_S9_NS6_6detail15normal_iteratorINS6_10device_ptrIfEEEESG_SG_SG_PmS8_22is_equal_div_10_reduceIfEEE10hipError_tPvRmT2_T3_mT4_T5_T6_T7_T8_P12ihipStream_tbENKUlT_T0_E_clISt17integral_constantIbLb0EES10_IbLb1EEEEDaSW_SX_EUlSW_E_NS1_11comp_targetILNS1_3genE9ELNS1_11target_archE1100ELNS1_3gpuE3ELNS1_3repE0EEENS1_30default_config_static_selectorELNS0_4arch9wavefront6targetE0EEEvT1_,@function
_ZN7rocprim17ROCPRIM_400000_NS6detail17trampoline_kernelINS0_14default_configENS1_29reduce_by_key_config_selectorIffN6thrust23THRUST_200600_302600_NS4plusIfEEEEZZNS1_33reduce_by_key_impl_wrapped_configILNS1_25lookback_scan_determinismE0ES3_S9_NS6_6detail15normal_iteratorINS6_10device_ptrIfEEEESG_SG_SG_PmS8_22is_equal_div_10_reduceIfEEE10hipError_tPvRmT2_T3_mT4_T5_T6_T7_T8_P12ihipStream_tbENKUlT_T0_E_clISt17integral_constantIbLb0EES10_IbLb1EEEEDaSW_SX_EUlSW_E_NS1_11comp_targetILNS1_3genE9ELNS1_11target_archE1100ELNS1_3gpuE3ELNS1_3repE0EEENS1_30default_config_static_selectorELNS0_4arch9wavefront6targetE0EEEvT1_: ; @_ZN7rocprim17ROCPRIM_400000_NS6detail17trampoline_kernelINS0_14default_configENS1_29reduce_by_key_config_selectorIffN6thrust23THRUST_200600_302600_NS4plusIfEEEEZZNS1_33reduce_by_key_impl_wrapped_configILNS1_25lookback_scan_determinismE0ES3_S9_NS6_6detail15normal_iteratorINS6_10device_ptrIfEEEESG_SG_SG_PmS8_22is_equal_div_10_reduceIfEEE10hipError_tPvRmT2_T3_mT4_T5_T6_T7_T8_P12ihipStream_tbENKUlT_T0_E_clISt17integral_constantIbLb0EES10_IbLb1EEEEDaSW_SX_EUlSW_E_NS1_11comp_targetILNS1_3genE9ELNS1_11target_archE1100ELNS1_3gpuE3ELNS1_3repE0EEENS1_30default_config_static_selectorELNS0_4arch9wavefront6targetE0EEEvT1_
; %bb.0:
	s_clause 0x4
	s_load_b256 s[12:19], s[0:1], 0x0
	s_load_b128 s[28:31], s[0:1], 0x20
	s_load_b256 s[20:27], s[0:1], 0x38
	s_load_b64 s[34:35], s[0:1], 0x68
	s_load_b128 s[36:39], s[0:1], 0x58
	v_cmp_ne_u32_e64 s3, 0, v0
	v_cmp_eq_u32_e64 s2, 0, v0
	s_delay_alu instid0(VALU_DEP_1)
	s_and_saveexec_b32 s4, s2
	s_cbranch_execz .LBB234_4
; %bb.1:
	s_mov_b32 s6, exec_lo
	s_mov_b32 s5, exec_lo
	v_mbcnt_lo_u32_b32 v1, s6, 0
                                        ; implicit-def: $vgpr2
	s_delay_alu instid0(VALU_DEP_1)
	v_cmpx_eq_u32_e32 0, v1
	s_cbranch_execz .LBB234_3
; %bb.2:
	s_load_b64 s[0:1], s[0:1], 0x70
	s_bcnt1_i32_b32 s6, s6
	s_delay_alu instid0(SALU_CYCLE_1)
	v_dual_mov_b32 v2, 0 :: v_dual_mov_b32 v3, s6
	s_waitcnt lgkmcnt(0)
	global_atomic_add_u32 v2, v2, v3, s[0:1] glc
.LBB234_3:
	s_or_b32 exec_lo, exec_lo, s5
	s_waitcnt vmcnt(0)
	v_readfirstlane_b32 s0, v2
	s_delay_alu instid0(VALU_DEP_1)
	v_dual_mov_b32 v2, 0 :: v_dual_add_nc_u32 v1, s0, v1
	ds_store_b32 v2, v1
.LBB234_4:
	s_or_b32 exec_lo, exec_lo, s4
	v_mov_b32_e32 v2, 0
	s_waitcnt lgkmcnt(0)
	s_barrier
	buffer_gl0_inv
	s_lshl_b64 s[4:5], s[14:15], 2
	ds_load_b32 v1, v2
	s_add_u32 s9, s12, s4
	s_mul_i32 s1, s24, s23
	s_mul_hi_u32 s6, s24, s22
	s_addc_u32 s10, s13, s5
	s_add_u32 s11, s16, s4
	s_mul_i32 s7, s25, s22
	s_addc_u32 s12, s17, s5
	s_add_i32 s1, s6, s1
	s_mul_i32 s8, s24, s22
	s_add_i32 s1, s1, s7
	s_mov_b32 s0, 0
	s_waitcnt lgkmcnt(0)
	s_barrier
	buffer_gl0_inv
	v_readfirstlane_b32 s33, v1
	v_mul_lo_u32 v1, 0xf00, v1
	s_delay_alu instid0(VALU_DEP_2) | instskip(SKIP_3) | instid1(VALU_DEP_1)
	s_add_u32 s24, s8, s33
	s_addc_u32 s25, s1, 0
	s_add_u32 s4, s26, -1
	s_addc_u32 s5, s27, -1
	v_lshlrev_b64 v[2:3], 2, v[1:2]
	s_cmp_eq_u64 s[24:25], s[4:5]
	s_mul_i32 s26, s4, 0xfffff100
	s_cselect_b32 s17, -1, 0
	s_cmp_lg_u64 s[24:25], s[4:5]
	s_delay_alu instid0(VALU_DEP_1)
	v_add_co_u32 v1, vcc_lo, s9, v2
	v_add_co_ci_u32_e32 v4, vcc_lo, s10, v3, vcc_lo
	v_add_co_u32 v2, vcc_lo, s11, v2
	v_add_co_ci_u32_e32 v3, vcc_lo, s12, v3, vcc_lo
	s_cselect_b32 s40, -1, 0
	s_and_b32 vcc_lo, exec_lo, s17
	s_cbranch_vccnz .LBB234_6
; %bb.5:
	v_lshlrev_b32_e32 v29, 2, v0
	s_delay_alu instid0(VALU_DEP_1) | instskip(SKIP_1) | instid1(VALU_DEP_2)
	v_add_co_u32 v5, vcc_lo, v1, v29
	v_add_co_ci_u32_e32 v6, vcc_lo, 0, v4, vcc_lo
	v_add_co_u32 v7, vcc_lo, 0x1000, v5
	s_delay_alu instid0(VALU_DEP_2)
	v_add_co_ci_u32_e32 v8, vcc_lo, 0, v6, vcc_lo
	s_clause 0x7
	flat_load_b32 v9, v[5:6]
	flat_load_b32 v10, v[5:6] offset:1024
	flat_load_b32 v11, v[5:6] offset:2048
	;; [unrolled: 1-line block ×3, first 2 shown]
	flat_load_b32 v13, v[7:8]
	flat_load_b32 v14, v[7:8] offset:1024
	flat_load_b32 v15, v[7:8] offset:2048
	;; [unrolled: 1-line block ×3, first 2 shown]
	v_add_co_u32 v7, vcc_lo, 0x2000, v5
	v_add_co_ci_u32_e32 v8, vcc_lo, 0, v6, vcc_lo
	v_add_co_u32 v5, vcc_lo, 0x3000, v5
	v_add_co_ci_u32_e32 v6, vcc_lo, 0, v6, vcc_lo
	s_clause 0x6
	flat_load_b32 v17, v[7:8]
	flat_load_b32 v18, v[7:8] offset:1024
	flat_load_b32 v19, v[7:8] offset:2048
	;; [unrolled: 1-line block ×3, first 2 shown]
	flat_load_b32 v20, v[5:6]
	flat_load_b32 v21, v[5:6] offset:1024
	flat_load_b32 v22, v[5:6] offset:2048
	v_add_co_u32 v6, vcc_lo, v2, v29
	v_add_co_ci_u32_e32 v7, vcc_lo, 0, v3, vcc_lo
	v_mad_u32_u24 v5, v0, 56, v29
	s_delay_alu instid0(VALU_DEP_3) | instskip(NEXT) | instid1(VALU_DEP_3)
	v_add_co_u32 v23, vcc_lo, 0x1000, v6
	v_add_co_ci_u32_e32 v24, vcc_lo, 0, v7, vcc_lo
	v_add_co_u32 v25, vcc_lo, 0x2000, v6
	v_add_co_ci_u32_e32 v26, vcc_lo, 0, v7, vcc_lo
	;; [unrolled: 2-line block ×3, first 2 shown]
	s_waitcnt vmcnt(13) lgkmcnt(13)
	ds_store_2addr_stride64_b32 v29, v9, v10 offset1:4
	s_waitcnt vmcnt(11) lgkmcnt(12)
	ds_store_2addr_stride64_b32 v29, v11, v12 offset0:8 offset1:12
	s_waitcnt vmcnt(9) lgkmcnt(11)
	ds_store_2addr_stride64_b32 v29, v13, v14 offset0:16 offset1:20
	;; [unrolled: 2-line block ×6, first 2 shown]
	s_waitcnt vmcnt(0) lgkmcnt(7)
	ds_store_b32 v29, v22 offset:14336
	s_waitcnt lgkmcnt(0)
	s_barrier
	buffer_gl0_inv
	ds_load_2addr_b32 v[21:22], v5 offset1:1
	ds_load_2addr_b32 v[19:20], v5 offset0:2 offset1:3
	ds_load_2addr_b32 v[17:18], v5 offset0:4 offset1:5
	;; [unrolled: 1-line block ×6, first 2 shown]
	ds_load_b32 v57, v5 offset:56
	s_waitcnt lgkmcnt(0)
	s_barrier
	buffer_gl0_inv
	s_clause 0xe
	flat_load_b32 v8, v[6:7]
	flat_load_b32 v30, v[6:7] offset:1024
	flat_load_b32 v31, v[6:7] offset:2048
	flat_load_b32 v6, v[6:7] offset:3072
	flat_load_b32 v7, v[23:24]
	flat_load_b32 v32, v[23:24] offset:1024
	flat_load_b32 v33, v[23:24] offset:2048
	flat_load_b32 v23, v[23:24] offset:3072
	;; [unrolled: 4-line block ×3, first 2 shown]
	flat_load_b32 v26, v[27:28]
	flat_load_b32 v36, v[27:28] offset:1024
	flat_load_b32 v27, v[27:28] offset:2048
	s_waitcnt vmcnt(13) lgkmcnt(13)
	ds_store_2addr_stride64_b32 v29, v8, v30 offset1:4
	s_waitcnt vmcnt(11) lgkmcnt(12)
	ds_store_2addr_stride64_b32 v29, v31, v6 offset0:8 offset1:12
	s_waitcnt vmcnt(9) lgkmcnt(11)
	ds_store_2addr_stride64_b32 v29, v7, v32 offset0:16 offset1:20
	;; [unrolled: 2-line block ×6, first 2 shown]
	s_waitcnt vmcnt(0) lgkmcnt(7)
	ds_store_b32 v29, v27 offset:14336
	s_waitcnt lgkmcnt(0)
	s_barrier
	s_and_not1_b32 vcc_lo, exec_lo, s0
	s_add_i32 s26, s26, s36
	s_cbranch_vccz .LBB234_7
	s_branch .LBB234_54
.LBB234_6:
                                        ; implicit-def: $vgpr5
                                        ; implicit-def: $vgpr21
                                        ; implicit-def: $vgpr19
                                        ; implicit-def: $vgpr17
                                        ; implicit-def: $vgpr15
                                        ; implicit-def: $vgpr13
                                        ; implicit-def: $vgpr11
                                        ; implicit-def: $vgpr9
                                        ; implicit-def: $vgpr57
	s_add_i32 s26, s26, s36
.LBB234_7:
	s_delay_alu instid0(SALU_CYCLE_1)
	v_cmp_gt_u32_e32 vcc_lo, s26, v0
                                        ; implicit-def: $vgpr5
	s_and_saveexec_b32 s1, vcc_lo
	s_cbranch_execz .LBB234_9
; %bb.8:
	v_lshlrev_b32_e32 v5, 2, v0
	s_delay_alu instid0(VALU_DEP_1) | instskip(NEXT) | instid1(VALU_DEP_1)
	v_add_co_u32 v5, s0, v1, v5
	v_add_co_ci_u32_e64 v6, s0, 0, v4, s0
	flat_load_b32 v5, v[5:6]
.LBB234_9:
	s_or_b32 exec_lo, exec_lo, s1
	v_or_b32_e32 v6, 0x100, v0
                                        ; implicit-def: $vgpr9
	s_delay_alu instid0(VALU_DEP_1) | instskip(NEXT) | instid1(VALU_DEP_1)
	v_cmp_gt_u32_e64 s0, s26, v6
	s_and_saveexec_b32 s4, s0
	s_cbranch_execz .LBB234_11
; %bb.10:
	v_lshlrev_b32_e32 v6, 2, v0
	s_delay_alu instid0(VALU_DEP_1) | instskip(NEXT) | instid1(VALU_DEP_1)
	v_add_co_u32 v6, s1, v1, v6
	v_add_co_ci_u32_e64 v7, s1, 0, v4, s1
	flat_load_b32 v9, v[6:7] offset:1024
.LBB234_11:
	s_or_b32 exec_lo, exec_lo, s4
	v_or_b32_e32 v6, 0x200, v0
                                        ; implicit-def: $vgpr10
	s_delay_alu instid0(VALU_DEP_1) | instskip(NEXT) | instid1(VALU_DEP_1)
	v_cmp_gt_u32_e64 s1, s26, v6
	s_and_saveexec_b32 s5, s1
	s_cbranch_execz .LBB234_13
; %bb.12:
	v_lshlrev_b32_e32 v6, 2, v0
	s_delay_alu instid0(VALU_DEP_1) | instskip(NEXT) | instid1(VALU_DEP_1)
	v_add_co_u32 v6, s4, v1, v6
	v_add_co_ci_u32_e64 v7, s4, 0, v4, s4
	flat_load_b32 v10, v[6:7] offset:2048
.LBB234_13:
	s_or_b32 exec_lo, exec_lo, s5
	v_or_b32_e32 v6, 0x300, v0
                                        ; implicit-def: $vgpr11
	s_delay_alu instid0(VALU_DEP_1) | instskip(NEXT) | instid1(VALU_DEP_1)
	v_cmp_gt_u32_e64 s4, s26, v6
	s_and_saveexec_b32 s6, s4
	s_cbranch_execz .LBB234_15
; %bb.14:
	v_lshlrev_b32_e32 v6, 2, v0
	s_delay_alu instid0(VALU_DEP_1) | instskip(NEXT) | instid1(VALU_DEP_1)
	v_add_co_u32 v6, s5, v1, v6
	v_add_co_ci_u32_e64 v7, s5, 0, v4, s5
	flat_load_b32 v11, v[6:7] offset:3072
.LBB234_15:
	s_or_b32 exec_lo, exec_lo, s6
	v_or_b32_e32 v6, 0x400, v0
                                        ; implicit-def: $vgpr12
	s_delay_alu instid0(VALU_DEP_1) | instskip(SKIP_1) | instid1(VALU_DEP_2)
	v_cmp_gt_u32_e64 s5, s26, v6
	v_lshlrev_b32_e32 v6, 2, v6
	s_and_saveexec_b32 s7, s5
	s_cbranch_execz .LBB234_17
; %bb.16:
	s_delay_alu instid0(VALU_DEP_1) | instskip(NEXT) | instid1(VALU_DEP_1)
	v_add_co_u32 v7, s6, v1, v6
	v_add_co_ci_u32_e64 v8, s6, 0, v4, s6
	flat_load_b32 v12, v[7:8]
.LBB234_17:
	s_or_b32 exec_lo, exec_lo, s7
	v_or_b32_e32 v7, 0x500, v0
                                        ; implicit-def: $vgpr13
	s_delay_alu instid0(VALU_DEP_1) | instskip(SKIP_1) | instid1(VALU_DEP_2)
	v_cmp_gt_u32_e64 s6, s26, v7
	v_lshlrev_b32_e32 v7, 2, v7
	s_and_saveexec_b32 s8, s6
	s_cbranch_execz .LBB234_19
; %bb.18:
	s_delay_alu instid0(VALU_DEP_1) | instskip(NEXT) | instid1(VALU_DEP_1)
	v_add_co_u32 v13, s7, v1, v7
	v_add_co_ci_u32_e64 v14, s7, 0, v4, s7
	flat_load_b32 v13, v[13:14]
.LBB234_19:
	s_or_b32 exec_lo, exec_lo, s8
	v_or_b32_e32 v8, 0x600, v0
                                        ; implicit-def: $vgpr14
	s_delay_alu instid0(VALU_DEP_1) | instskip(SKIP_1) | instid1(VALU_DEP_2)
	v_cmp_gt_u32_e64 s7, s26, v8
	v_lshlrev_b32_e32 v8, 2, v8
	s_and_saveexec_b32 s9, s7
	s_cbranch_execz .LBB234_21
; %bb.20:
	s_delay_alu instid0(VALU_DEP_1) | instskip(NEXT) | instid1(VALU_DEP_1)
	v_add_co_u32 v14, s8, v1, v8
	v_add_co_ci_u32_e64 v15, s8, 0, v4, s8
	flat_load_b32 v14, v[14:15]
.LBB234_21:
	s_or_b32 exec_lo, exec_lo, s9
	v_or_b32_e32 v15, 0x700, v0
	s_delay_alu instid0(VALU_DEP_1) | instskip(SKIP_1) | instid1(VALU_DEP_2)
	v_cmp_gt_u32_e64 s8, s26, v15
	v_lshlrev_b32_e32 v23, 2, v15
                                        ; implicit-def: $vgpr15
	s_and_saveexec_b32 s10, s8
	s_cbranch_execz .LBB234_23
; %bb.22:
	s_delay_alu instid0(VALU_DEP_1) | instskip(NEXT) | instid1(VALU_DEP_1)
	v_add_co_u32 v15, s9, v1, v23
	v_add_co_ci_u32_e64 v16, s9, 0, v4, s9
	flat_load_b32 v15, v[15:16]
.LBB234_23:
	s_or_b32 exec_lo, exec_lo, s10
	v_or_b32_e32 v16, 0x800, v0
	s_delay_alu instid0(VALU_DEP_1) | instskip(SKIP_1) | instid1(VALU_DEP_2)
	v_cmp_gt_u32_e64 s9, s26, v16
	v_lshlrev_b32_e32 v24, 2, v16
                                        ; implicit-def: $vgpr16
	s_and_saveexec_b32 s11, s9
	s_cbranch_execz .LBB234_25
; %bb.24:
	s_delay_alu instid0(VALU_DEP_1) | instskip(NEXT) | instid1(VALU_DEP_1)
	v_add_co_u32 v16, s10, v1, v24
	v_add_co_ci_u32_e64 v17, s10, 0, v4, s10
	flat_load_b32 v16, v[16:17]
.LBB234_25:
	s_or_b32 exec_lo, exec_lo, s11
	v_or_b32_e32 v17, 0x900, v0
	s_delay_alu instid0(VALU_DEP_1) | instskip(SKIP_1) | instid1(VALU_DEP_2)
	v_cmp_gt_u32_e64 s10, s26, v17
	v_lshlrev_b32_e32 v25, 2, v17
                                        ; implicit-def: $vgpr17
	s_and_saveexec_b32 s12, s10
	s_cbranch_execz .LBB234_27
; %bb.26:
	s_delay_alu instid0(VALU_DEP_1) | instskip(NEXT) | instid1(VALU_DEP_1)
	v_add_co_u32 v17, s11, v1, v25
	v_add_co_ci_u32_e64 v18, s11, 0, v4, s11
	flat_load_b32 v17, v[17:18]
.LBB234_27:
	s_or_b32 exec_lo, exec_lo, s12
	v_or_b32_e32 v18, 0xa00, v0
	s_delay_alu instid0(VALU_DEP_1) | instskip(SKIP_1) | instid1(VALU_DEP_2)
	v_cmp_gt_u32_e64 s11, s26, v18
	v_lshlrev_b32_e32 v27, 2, v18
                                        ; implicit-def: $vgpr18
	s_and_saveexec_b32 s13, s11
	s_cbranch_execz .LBB234_29
; %bb.28:
	s_delay_alu instid0(VALU_DEP_1) | instskip(NEXT) | instid1(VALU_DEP_1)
	v_add_co_u32 v18, s12, v1, v27
	v_add_co_ci_u32_e64 v19, s12, 0, v4, s12
	flat_load_b32 v18, v[18:19]
.LBB234_29:
	s_or_b32 exec_lo, exec_lo, s13
	v_or_b32_e32 v19, 0xb00, v0
	s_delay_alu instid0(VALU_DEP_1) | instskip(SKIP_1) | instid1(VALU_DEP_2)
	v_cmp_gt_u32_e64 s12, s26, v19
	v_lshlrev_b32_e32 v28, 2, v19
                                        ; implicit-def: $vgpr19
	s_and_saveexec_b32 s14, s12
	s_cbranch_execz .LBB234_31
; %bb.30:
	s_delay_alu instid0(VALU_DEP_1) | instskip(NEXT) | instid1(VALU_DEP_1)
	v_add_co_u32 v19, s13, v1, v28
	v_add_co_ci_u32_e64 v20, s13, 0, v4, s13
	flat_load_b32 v19, v[19:20]
.LBB234_31:
	s_or_b32 exec_lo, exec_lo, s14
	v_or_b32_e32 v20, 0xc00, v0
	s_delay_alu instid0(VALU_DEP_1) | instskip(SKIP_1) | instid1(VALU_DEP_2)
	v_cmp_gt_u32_e64 s13, s26, v20
	v_lshlrev_b32_e32 v29, 2, v20
                                        ; implicit-def: $vgpr20
	s_and_saveexec_b32 s15, s13
	s_cbranch_execz .LBB234_33
; %bb.32:
	s_delay_alu instid0(VALU_DEP_1) | instskip(NEXT) | instid1(VALU_DEP_1)
	v_add_co_u32 v20, s14, v1, v29
	v_add_co_ci_u32_e64 v21, s14, 0, v4, s14
	flat_load_b32 v20, v[20:21]
.LBB234_33:
	s_or_b32 exec_lo, exec_lo, s15
	v_or_b32_e32 v21, 0xd00, v0
	s_delay_alu instid0(VALU_DEP_1) | instskip(SKIP_1) | instid1(VALU_DEP_2)
	v_cmp_gt_u32_e64 s14, s26, v21
	v_lshlrev_b32_e32 v30, 2, v21
                                        ; implicit-def: $vgpr21
	s_and_saveexec_b32 s16, s14
	s_cbranch_execz .LBB234_35
; %bb.34:
	s_delay_alu instid0(VALU_DEP_1) | instskip(NEXT) | instid1(VALU_DEP_1)
	v_add_co_u32 v21, s15, v1, v30
	v_add_co_ci_u32_e64 v22, s15, 0, v4, s15
	flat_load_b32 v21, v[21:22]
.LBB234_35:
	s_or_b32 exec_lo, exec_lo, s16
	v_or_b32_e32 v22, 0xe00, v0
	s_delay_alu instid0(VALU_DEP_1) | instskip(SKIP_1) | instid1(VALU_DEP_2)
	v_cmp_gt_u32_e64 s15, s26, v22
	v_lshlrev_b32_e32 v31, 2, v22
                                        ; implicit-def: $vgpr22
	s_and_saveexec_b32 s27, s15
	s_cbranch_execz .LBB234_37
; %bb.36:
	s_delay_alu instid0(VALU_DEP_1) | instskip(NEXT) | instid1(VALU_DEP_1)
	v_add_co_u32 v32, s16, v1, v31
	v_add_co_ci_u32_e64 v33, s16, 0, v4, s16
	flat_load_b32 v22, v[32:33]
.LBB234_37:
	s_or_b32 exec_lo, exec_lo, s27
	v_lshlrev_b32_e32 v26, 2, v0
                                        ; implicit-def: $vgpr32
	s_waitcnt vmcnt(0) lgkmcnt(0)
	ds_store_2addr_stride64_b32 v26, v5, v9 offset1:4
	ds_store_2addr_stride64_b32 v26, v10, v11 offset0:8 offset1:12
	ds_store_2addr_stride64_b32 v26, v12, v13 offset0:16 offset1:20
	;; [unrolled: 1-line block ×6, first 2 shown]
	v_mad_u32_u24 v5, v0, 56, v26
	ds_store_b32 v26, v22 offset:14336
	s_waitcnt lgkmcnt(0)
	s_barrier
	buffer_gl0_inv
	ds_load_2addr_b32 v[21:22], v5 offset1:1
	ds_load_2addr_b32 v[19:20], v5 offset0:2 offset1:3
	ds_load_2addr_b32 v[17:18], v5 offset0:4 offset1:5
	;; [unrolled: 1-line block ×6, first 2 shown]
	ds_load_b32 v57, v5 offset:56
	s_waitcnt lgkmcnt(0)
	s_barrier
	buffer_gl0_inv
	s_and_saveexec_b32 s16, vcc_lo
	s_cbranch_execnz .LBB234_61
; %bb.38:
	s_or_b32 exec_lo, exec_lo, s16
                                        ; implicit-def: $vgpr33
	s_and_saveexec_b32 s16, s0
	s_cbranch_execnz .LBB234_62
.LBB234_39:
	s_or_b32 exec_lo, exec_lo, s16
                                        ; implicit-def: $vgpr34
	s_and_saveexec_b32 s0, s1
	s_cbranch_execnz .LBB234_63
.LBB234_40:
	s_or_b32 exec_lo, exec_lo, s0
                                        ; implicit-def: $vgpr35
	s_and_saveexec_b32 s0, s4
	s_cbranch_execnz .LBB234_64
.LBB234_41:
	s_or_b32 exec_lo, exec_lo, s0
                                        ; implicit-def: $vgpr36
	s_and_saveexec_b32 s0, s5
	s_cbranch_execnz .LBB234_65
.LBB234_42:
	s_or_b32 exec_lo, exec_lo, s0
                                        ; implicit-def: $vgpr6
	s_and_saveexec_b32 s0, s6
	s_cbranch_execnz .LBB234_66
.LBB234_43:
	s_or_b32 exec_lo, exec_lo, s0
                                        ; implicit-def: $vgpr7
	s_and_saveexec_b32 s0, s7
	s_cbranch_execnz .LBB234_67
.LBB234_44:
	s_or_b32 exec_lo, exec_lo, s0
                                        ; implicit-def: $vgpr8
	s_and_saveexec_b32 s0, s8
	s_cbranch_execnz .LBB234_68
.LBB234_45:
	s_or_b32 exec_lo, exec_lo, s0
                                        ; implicit-def: $vgpr23
	s_and_saveexec_b32 s0, s9
	s_cbranch_execnz .LBB234_69
.LBB234_46:
	s_or_b32 exec_lo, exec_lo, s0
                                        ; implicit-def: $vgpr24
	s_and_saveexec_b32 s0, s10
	s_cbranch_execnz .LBB234_70
.LBB234_47:
	s_or_b32 exec_lo, exec_lo, s0
                                        ; implicit-def: $vgpr25
	s_and_saveexec_b32 s0, s11
	s_cbranch_execnz .LBB234_71
.LBB234_48:
	s_or_b32 exec_lo, exec_lo, s0
                                        ; implicit-def: $vgpr27
	s_and_saveexec_b32 s0, s12
	s_cbranch_execnz .LBB234_72
.LBB234_49:
	s_or_b32 exec_lo, exec_lo, s0
                                        ; implicit-def: $vgpr28
	s_and_saveexec_b32 s0, s13
	s_cbranch_execnz .LBB234_73
.LBB234_50:
	s_or_b32 exec_lo, exec_lo, s0
                                        ; implicit-def: $vgpr29
	s_and_saveexec_b32 s0, s14
	s_cbranch_execnz .LBB234_74
.LBB234_51:
	s_or_b32 exec_lo, exec_lo, s0
                                        ; implicit-def: $vgpr30
	s_and_saveexec_b32 s0, s15
	s_cbranch_execz .LBB234_53
.LBB234_52:
	v_add_co_u32 v2, vcc_lo, v2, v31
	v_add_co_ci_u32_e32 v3, vcc_lo, 0, v3, vcc_lo
	flat_load_b32 v30, v[2:3]
.LBB234_53:
	s_or_b32 exec_lo, exec_lo, s0
	s_waitcnt vmcnt(0) lgkmcnt(0)
	ds_store_2addr_stride64_b32 v26, v32, v33 offset1:4
	ds_store_2addr_stride64_b32 v26, v34, v35 offset0:8 offset1:12
	ds_store_2addr_stride64_b32 v26, v36, v6 offset0:16 offset1:20
	;; [unrolled: 1-line block ×6, first 2 shown]
	ds_store_b32 v26, v30 offset:14336
	s_waitcnt lgkmcnt(0)
	s_barrier
.LBB234_54:
	buffer_gl0_inv
	ds_load_2addr_b32 v[47:48], v5 offset1:1
	ds_load_2addr_b32 v[45:46], v5 offset0:2 offset1:3
	ds_load_2addr_b32 v[43:44], v5 offset0:4 offset1:5
	;; [unrolled: 1-line block ×6, first 2 shown]
	ds_load_b32 v60, v5 offset:56
	s_cmp_eq_u64 s[24:25], 0
	s_waitcnt lgkmcnt(0)
	s_cselect_b32 s27, -1, 0
	s_cmp_lg_u64 s[24:25], 0
	s_barrier
	s_cselect_b32 s16, -1, 0
	s_and_b32 vcc_lo, exec_lo, s40
	buffer_gl0_inv
	s_cbranch_vccz .LBB234_60
; %bb.55:
	s_and_b32 vcc_lo, exec_lo, s16
	s_cbranch_vccz .LBB234_75
; %bb.56:
	v_add_co_u32 v2, vcc_lo, -4, v1
	v_add_co_ci_u32_e32 v3, vcc_lo, -1, v4, vcc_lo
	v_cvt_i32_f32_e32 v5, v57
	v_cvt_i32_f32_e32 v6, v9
	;; [unrolled: 1-line block ×3, first 2 shown]
	flat_load_b32 v2, v[2:3]
	v_cvt_i32_f32_e32 v3, v10
	v_mul_hi_i32 v5, 0x66666667, v5
	v_mul_hi_i32 v6, 0x66666667, v6
	;; [unrolled: 1-line block ×3, first 2 shown]
	v_cvt_i32_f32_e32 v25, v11
	v_mul_hi_i32 v3, 0x66666667, v3
	v_cvt_i32_f32_e32 v27, v18
	s_mov_b32 s15, -1
	v_lshrrev_b32_e32 v24, 31, v6
	v_ashrrev_i32_e32 v6, 2, v6
	v_lshrrev_b32_e32 v26, 31, v8
	v_lshrrev_b32_e32 v7, 31, v3
	v_ashrrev_i32_e32 v23, 2, v3
	v_ashrrev_i32_e32 v8, 2, v8
	v_add_nc_u32_e32 v6, v6, v24
	v_cvt_i32_f32_e32 v24, v14
	v_mul_hi_i32 v27, 0x66666667, v27
	v_add_nc_u32_e32 v7, v23, v7
	v_lshrrev_b32_e32 v23, 31, v5
	v_ashrrev_i32_e32 v5, 2, v5
	v_add_nc_u32_e32 v8, v8, v26
	v_lshlrev_b32_e32 v3, 2, v0
	v_cmp_ne_u32_e64 s0, v6, v7
	s_delay_alu instid0(VALU_DEP_4)
	v_add_nc_u32_e32 v5, v5, v23
	v_mul_hi_i32 v23, 0x66666667, v25
	v_cmp_ne_u32_e64 s1, v8, v6
	v_cvt_i32_f32_e32 v6, v16
	v_cvt_i32_f32_e32 v25, v15
	v_cmp_ne_u32_e32 vcc_lo, v7, v5
	v_cvt_i32_f32_e32 v5, v13
	v_mul_hi_i32 v7, 0x66666667, v24
	v_mul_hi_i32 v6, 0x66666667, v6
	v_lshrrev_b32_e32 v24, 31, v23
	v_ashrrev_i32_e32 v23, 2, v23
	v_mul_hi_i32 v5, 0x66666667, v5
	ds_store_b32 v3, v57
	s_waitcnt vmcnt(0) lgkmcnt(0)
	s_barrier
	v_add_nc_u32_e32 v23, v23, v24
	v_mul_hi_i32 v24, 0x66666667, v25
	v_lshrrev_b32_e32 v26, 31, v7
	v_ashrrev_i32_e32 v7, 2, v7
	v_lshrrev_b32_e32 v25, 31, v5
	v_ashrrev_i32_e32 v5, 2, v5
	v_cmp_ne_u32_e64 s5, v23, v8
	v_lshrrev_b32_e32 v8, 31, v27
	v_add_nc_u32_e32 v7, v7, v26
	v_lshrrev_b32_e32 v26, 31, v6
	v_ashrrev_i32_e32 v6, 2, v6
	v_add_nc_u32_e32 v5, v5, v25
	v_lshrrev_b32_e32 v25, 31, v24
	v_ashrrev_i32_e32 v24, 2, v24
	v_cmp_ne_u32_e64 s6, v7, v23
	v_add_nc_u32_e32 v6, v6, v26
	v_cmp_ne_u32_e64 s7, v5, v7
	v_ashrrev_i32_e32 v23, 2, v27
	v_add_nc_u32_e32 v7, v24, v25
	v_cvt_i32_f32_e32 v24, v19
	v_cmp_ne_u32_e64 s4, v6, v5
	v_cvt_i32_f32_e32 v5, v17
	v_add_nc_u32_e32 v8, v23, v8
	v_cmp_ne_u32_e64 s8, v7, v6
	v_cvt_i32_f32_e32 v6, v20
	v_cvt_i32_f32_e32 v23, v22
	;; [unrolled: 1-line block ×3, first 2 shown]
	v_mul_hi_i32 v5, 0x66666667, v5
	v_mul_hi_i32 v24, 0x66666667, v24
	;; [unrolled: 1-line block ×3, first 2 shown]
	v_cmp_ne_u32_e64 s9, v8, v7
	v_mul_hi_i32 v7, 0x66666667, v23
	v_mul_hi_i32 v25, 0x66666667, v25
	buffer_gl0_inv
	v_lshrrev_b32_e32 v23, 31, v5
	v_ashrrev_i32_e32 v5, 2, v5
	v_lshrrev_b32_e32 v26, 31, v6
	v_ashrrev_i32_e32 v6, 2, v6
	v_lshrrev_b32_e32 v27, 31, v24
	v_ashrrev_i32_e32 v24, 2, v24
	v_lshrrev_b32_e32 v28, 31, v7
	v_ashrrev_i32_e32 v7, 2, v7
	v_lshrrev_b32_e32 v29, 31, v25
	v_ashrrev_i32_e32 v25, 2, v25
	v_add_nc_u32_e32 v23, v5, v23
	v_add_nc_u32_e32 v6, v6, v26
	v_add_nc_u32_e32 v24, v24, v27
	v_add_nc_u32_e32 v7, v7, v28
	v_add_nc_u32_e32 v5, v25, v29
	v_cmp_ne_u32_e64 s14, v23, v8
	v_cmp_ne_u32_e64 s10, v6, v23
	;; [unrolled: 1-line block ×5, first 2 shown]
	s_and_saveexec_b32 s40, s3
	s_cbranch_execz .LBB234_58
; %bb.57:
	v_add_nc_u32_e32 v2, -4, v3
	ds_load_b32 v2, v2
.LBB234_58:
	s_or_b32 exec_lo, exec_lo, s40
	s_waitcnt lgkmcnt(0)
	v_cvt_i32_f32_e32 v2, v2
	v_cndmask_b32_e64 v58, 0, 1, vcc_lo
	v_cndmask_b32_e64 v59, 0, 1, s1
	v_cndmask_b32_e64 v24, 0, 1, s5
	;; [unrolled: 1-line block ×3, first 2 shown]
	v_mul_hi_i32 v3, 0x66666667, v2
	v_cndmask_b32_e64 v2, 0, 1, s0
	v_cndmask_b32_e64 v26, 0, 1, s7
	;; [unrolled: 1-line block ×7, first 2 shown]
	v_lshrrev_b32_e32 v6, 31, v3
	v_ashrrev_i32_e32 v3, 2, v3
	v_cndmask_b32_e64 v34, 0, 1, s11
	v_cndmask_b32_e64 v33, 0, 1, s12
	;; [unrolled: 1-line block ×3, first 2 shown]
	s_delay_alu instid0(VALU_DEP_4) | instskip(NEXT) | instid1(VALU_DEP_1)
	v_add_nc_u32_e32 v3, v3, v6
	v_cmp_ne_u32_e64 s4, v3, v5
.LBB234_59:
                                        ; implicit-def: $sgpr0
	s_branch .LBB234_79
.LBB234_60:
	s_mov_b32 s15, 0
                                        ; implicit-def: $sgpr4
                                        ; implicit-def: $vgpr58
                                        ; implicit-def: $vgpr2
                                        ; implicit-def: $vgpr59
                                        ; implicit-def: $vgpr24
                                        ; implicit-def: $vgpr23
                                        ; implicit-def: $vgpr26
                                        ; implicit-def: $vgpr25
                                        ; implicit-def: $vgpr30
                                        ; implicit-def: $vgpr29
                                        ; implicit-def: $vgpr32
                                        ; implicit-def: $vgpr31
                                        ; implicit-def: $vgpr34
                                        ; implicit-def: $vgpr33
                                        ; implicit-def: $vgpr50
                                        ; implicit-def: $vgpr28
                                        ; implicit-def: $sgpr0
	s_cbranch_execnz .LBB234_80
	s_branch .LBB234_115
.LBB234_61:
	v_add_co_u32 v32, vcc_lo, v2, v26
	v_add_co_ci_u32_e32 v33, vcc_lo, 0, v3, vcc_lo
	flat_load_b32 v32, v[32:33]
	s_or_b32 exec_lo, exec_lo, s16
                                        ; implicit-def: $vgpr33
	s_and_saveexec_b32 s16, s0
	s_cbranch_execz .LBB234_39
.LBB234_62:
	v_add_co_u32 v33, vcc_lo, v2, v26
	v_add_co_ci_u32_e32 v34, vcc_lo, 0, v3, vcc_lo
	flat_load_b32 v33, v[33:34] offset:1024
	s_or_b32 exec_lo, exec_lo, s16
                                        ; implicit-def: $vgpr34
	s_and_saveexec_b32 s0, s1
	s_cbranch_execz .LBB234_40
.LBB234_63:
	v_add_co_u32 v34, vcc_lo, v2, v26
	v_add_co_ci_u32_e32 v35, vcc_lo, 0, v3, vcc_lo
	flat_load_b32 v34, v[34:35] offset:2048
	s_or_b32 exec_lo, exec_lo, s0
                                        ; implicit-def: $vgpr35
	s_and_saveexec_b32 s0, s4
	s_cbranch_execz .LBB234_41
.LBB234_64:
	v_add_co_u32 v35, vcc_lo, v2, v26
	v_add_co_ci_u32_e32 v36, vcc_lo, 0, v3, vcc_lo
	flat_load_b32 v35, v[35:36] offset:3072
	s_or_b32 exec_lo, exec_lo, s0
                                        ; implicit-def: $vgpr36
	s_and_saveexec_b32 s0, s5
	s_cbranch_execz .LBB234_42
.LBB234_65:
	v_add_co_u32 v36, vcc_lo, v2, v6
	v_add_co_ci_u32_e32 v37, vcc_lo, 0, v3, vcc_lo
	flat_load_b32 v36, v[36:37]
	s_or_b32 exec_lo, exec_lo, s0
                                        ; implicit-def: $vgpr6
	s_and_saveexec_b32 s0, s6
	s_cbranch_execz .LBB234_43
.LBB234_66:
	v_add_co_u32 v6, vcc_lo, v2, v7
	v_add_co_ci_u32_e32 v7, vcc_lo, 0, v3, vcc_lo
	flat_load_b32 v6, v[6:7]
	s_or_b32 exec_lo, exec_lo, s0
                                        ; implicit-def: $vgpr7
	s_and_saveexec_b32 s0, s7
	s_cbranch_execz .LBB234_44
.LBB234_67:
	v_add_co_u32 v7, vcc_lo, v2, v8
	v_add_co_ci_u32_e32 v8, vcc_lo, 0, v3, vcc_lo
	flat_load_b32 v7, v[7:8]
	s_or_b32 exec_lo, exec_lo, s0
                                        ; implicit-def: $vgpr8
	s_and_saveexec_b32 s0, s8
	s_cbranch_execz .LBB234_45
.LBB234_68:
	v_add_co_u32 v37, vcc_lo, v2, v23
	v_add_co_ci_u32_e32 v38, vcc_lo, 0, v3, vcc_lo
	flat_load_b32 v8, v[37:38]
	s_or_b32 exec_lo, exec_lo, s0
                                        ; implicit-def: $vgpr23
	s_and_saveexec_b32 s0, s9
	s_cbranch_execz .LBB234_46
.LBB234_69:
	v_add_co_u32 v23, vcc_lo, v2, v24
	v_add_co_ci_u32_e32 v24, vcc_lo, 0, v3, vcc_lo
	flat_load_b32 v23, v[23:24]
	s_or_b32 exec_lo, exec_lo, s0
                                        ; implicit-def: $vgpr24
	s_and_saveexec_b32 s0, s10
	s_cbranch_execz .LBB234_47
.LBB234_70:
	v_add_co_u32 v24, vcc_lo, v2, v25
	v_add_co_ci_u32_e32 v25, vcc_lo, 0, v3, vcc_lo
	flat_load_b32 v24, v[24:25]
	s_or_b32 exec_lo, exec_lo, s0
                                        ; implicit-def: $vgpr25
	s_and_saveexec_b32 s0, s11
	s_cbranch_execz .LBB234_48
.LBB234_71:
	v_add_co_u32 v37, vcc_lo, v2, v27
	v_add_co_ci_u32_e32 v38, vcc_lo, 0, v3, vcc_lo
	flat_load_b32 v25, v[37:38]
	s_or_b32 exec_lo, exec_lo, s0
                                        ; implicit-def: $vgpr27
	s_and_saveexec_b32 s0, s12
	s_cbranch_execz .LBB234_49
.LBB234_72:
	v_add_co_u32 v27, vcc_lo, v2, v28
	v_add_co_ci_u32_e32 v28, vcc_lo, 0, v3, vcc_lo
	flat_load_b32 v27, v[27:28]
	s_or_b32 exec_lo, exec_lo, s0
                                        ; implicit-def: $vgpr28
	s_and_saveexec_b32 s0, s13
	s_cbranch_execz .LBB234_50
.LBB234_73:
	v_add_co_u32 v28, vcc_lo, v2, v29
	v_add_co_ci_u32_e32 v29, vcc_lo, 0, v3, vcc_lo
	flat_load_b32 v28, v[28:29]
	s_or_b32 exec_lo, exec_lo, s0
                                        ; implicit-def: $vgpr29
	s_and_saveexec_b32 s0, s14
	s_cbranch_execz .LBB234_51
.LBB234_74:
	v_add_co_u32 v29, vcc_lo, v2, v30
	v_add_co_ci_u32_e32 v30, vcc_lo, 0, v3, vcc_lo
	flat_load_b32 v29, v[29:30]
	s_or_b32 exec_lo, exec_lo, s0
                                        ; implicit-def: $vgpr30
	s_and_saveexec_b32 s0, s15
	s_cbranch_execnz .LBB234_52
	s_branch .LBB234_53
.LBB234_75:
	s_mov_b32 s15, 0
                                        ; implicit-def: $sgpr4
                                        ; implicit-def: $vgpr58
                                        ; implicit-def: $vgpr2
                                        ; implicit-def: $vgpr59
                                        ; implicit-def: $vgpr24
                                        ; implicit-def: $vgpr23
                                        ; implicit-def: $vgpr26
                                        ; implicit-def: $vgpr25
                                        ; implicit-def: $vgpr30
                                        ; implicit-def: $vgpr29
                                        ; implicit-def: $vgpr32
                                        ; implicit-def: $vgpr31
                                        ; implicit-def: $vgpr34
                                        ; implicit-def: $vgpr33
                                        ; implicit-def: $vgpr50
	s_cbranch_execz .LBB234_59
; %bb.76:
	v_cvt_i32_f32_e32 v2, v10
	v_cvt_i32_f32_e32 v3, v57
	;; [unrolled: 1-line block ×5, first 2 shown]
	v_mul_hi_i32 v2, 0x66666667, v2
	v_mul_hi_i32 v3, 0x66666667, v3
	;; [unrolled: 1-line block ×5, first 2 shown]
	v_cvt_i32_f32_e32 v31, v21
                                        ; implicit-def: $sgpr4
	v_lshrrev_b32_e32 v8, 31, v2
	v_ashrrev_i32_e32 v2, 2, v2
	v_lshrrev_b32_e32 v23, 31, v3
	v_ashrrev_i32_e32 v3, 2, v3
	;; [unrolled: 2-line block ×3, first 2 shown]
	v_add_nc_u32_e32 v2, v2, v8
	v_lshrrev_b32_e32 v25, 31, v6
	v_add_nc_u32_e32 v8, v3, v23
	v_cvt_i32_f32_e32 v23, v14
	v_add_nc_u32_e32 v5, v5, v24
	v_ashrrev_i32_e32 v6, 2, v6
	v_cvt_i32_f32_e32 v24, v13
	v_cmp_ne_u32_e32 vcc_lo, v2, v8
	v_mul_hi_i32 v23, 0x66666667, v23
	v_lshrrev_b32_e32 v8, 31, v7
	v_ashrrev_i32_e32 v7, 2, v7
	v_add_nc_u32_e32 v6, v6, v25
	v_cndmask_b32_e64 v58, 0, 1, vcc_lo
	v_cmp_ne_u32_e32 vcc_lo, v5, v2
	v_mul_hi_i32 v26, 0x66666667, v24
	v_cvt_i32_f32_e32 v25, v16
	v_add_nc_u32_e32 v7, v7, v8
	v_lshrrev_b32_e32 v8, 31, v23
	v_cndmask_b32_e64 v2, 0, 1, vcc_lo
	v_ashrrev_i32_e32 v23, 2, v23
	v_cmp_ne_u32_e32 vcc_lo, v6, v5
	v_mul_hi_i32 v25, 0x66666667, v25
	v_cvt_i32_f32_e32 v5, v15
	v_lshlrev_b32_e32 v3, 2, v0
	v_cndmask_b32_e64 v59, 0, 1, vcc_lo
	v_cmp_ne_u32_e32 vcc_lo, v7, v6
	v_add_nc_u32_e32 v6, v23, v8
	v_lshrrev_b32_e32 v8, 31, v26
	v_ashrrev_i32_e32 v26, 2, v26
	v_mul_hi_i32 v5, 0x66666667, v5
	v_cndmask_b32_e64 v24, 0, 1, vcc_lo
	v_cmp_ne_u32_e32 vcc_lo, v6, v7
	v_cvt_i32_f32_e32 v7, v18
	v_add_nc_u32_e32 v8, v26, v8
	v_cvt_i32_f32_e32 v26, v17
	v_lshrrev_b32_e32 v27, 31, v25
	v_ashrrev_i32_e32 v25, 2, v25
	v_mul_hi_i32 v7, 0x66666667, v7
	v_cndmask_b32_e64 v23, 0, 1, vcc_lo
	v_mul_hi_i32 v29, 0x66666667, v26
	v_lshrrev_b32_e32 v28, 31, v5
	v_add_nc_u32_e32 v27, v25, v27
	v_ashrrev_i32_e32 v5, 2, v5
	v_cmp_ne_u32_e32 vcc_lo, v8, v6
	ds_store_b32 v3, v57
	v_lshrrev_b32_e32 v6, 31, v7
	v_ashrrev_i32_e32 v7, 2, v7
	v_add_nc_u32_e32 v5, v5, v28
	v_cndmask_b32_e64 v26, 0, 1, vcc_lo
	v_cmp_ne_u32_e32 vcc_lo, v27, v8
	v_lshrrev_b32_e32 v8, 31, v29
	v_ashrrev_i32_e32 v28, 2, v29
	v_cvt_i32_f32_e32 v29, v20
	v_add_nc_u32_e32 v6, v7, v6
	v_cndmask_b32_e64 v25, 0, 1, vcc_lo
	v_cmp_ne_u32_e32 vcc_lo, v5, v27
	v_cvt_i32_f32_e32 v27, v19
	v_add_nc_u32_e32 v7, v28, v8
	v_mul_hi_i32 v8, 0x66666667, v29
	v_cvt_i32_f32_e32 v28, v22
	v_cndmask_b32_e64 v30, 0, 1, vcc_lo
	v_mul_hi_i32 v27, 0x66666667, v27
	v_cmp_ne_u32_e32 vcc_lo, v6, v5
	s_waitcnt lgkmcnt(0)
	v_mul_hi_i32 v5, 0x66666667, v28
	s_barrier
	v_lshrrev_b32_e32 v28, 31, v8
	v_ashrrev_i32_e32 v8, 2, v8
	v_cndmask_b32_e64 v29, 0, 1, vcc_lo
	v_cmp_ne_u32_e32 vcc_lo, v7, v6
	v_mul_hi_i32 v6, 0x66666667, v31
	v_lshrrev_b32_e32 v31, 31, v27
	v_ashrrev_i32_e32 v27, 2, v27
	v_add_nc_u32_e32 v8, v8, v28
	v_cndmask_b32_e64 v32, 0, 1, vcc_lo
	v_lshrrev_b32_e32 v33, 31, v5
	v_ashrrev_i32_e32 v5, 2, v5
	v_add_nc_u32_e32 v27, v27, v31
	v_cmp_ne_u32_e32 vcc_lo, v8, v7
	v_lshrrev_b32_e32 v28, 31, v6
	v_ashrrev_i32_e32 v6, 2, v6
	v_add_nc_u32_e32 v49, v5, v33
	buffer_gl0_inv
	v_cndmask_b32_e64 v31, 0, 1, vcc_lo
	v_cmp_ne_u32_e32 vcc_lo, v27, v8
	v_add_nc_u32_e32 v5, v6, v28
	v_cndmask_b32_e64 v34, 0, 1, vcc_lo
	v_cmp_ne_u32_e32 vcc_lo, v49, v27
	v_cndmask_b32_e64 v33, 0, 1, vcc_lo
	s_delay_alu instid0(VALU_DEP_4) | instskip(SKIP_2) | instid1(SALU_CYCLE_1)
	v_cmp_ne_u32_e32 vcc_lo, v5, v49
	v_cndmask_b32_e64 v50, 0, 1, vcc_lo
	s_and_saveexec_b32 s0, s3
	s_xor_b32 s0, exec_lo, s0
	s_cbranch_execz .LBB234_78
; %bb.77:
	v_add_nc_u32_e32 v3, -4, v3
	s_or_b32 s15, s15, exec_lo
	ds_load_b32 v3, v3
	s_waitcnt lgkmcnt(0)
	v_cvt_i32_f32_e32 v3, v3
	s_delay_alu instid0(VALU_DEP_1) | instskip(NEXT) | instid1(VALU_DEP_1)
	v_mul_hi_i32 v3, 0x66666667, v3
	v_lshrrev_b32_e32 v6, 31, v3
	v_ashrrev_i32_e32 v3, 2, v3
	s_delay_alu instid0(VALU_DEP_1) | instskip(NEXT) | instid1(VALU_DEP_1)
	v_add_nc_u32_e32 v3, v3, v6
	v_cmp_ne_u32_e32 vcc_lo, v3, v5
	s_and_b32 s4, vcc_lo, exec_lo
.LBB234_78:
	s_or_b32 exec_lo, exec_lo, s0
	s_mov_b32 s0, 1
.LBB234_79:
	v_mov_b32_e32 v28, v2
	s_branch .LBB234_115
.LBB234_80:
	s_mul_hi_u32 s0, s24, 0xfffff100
	s_mul_i32 s1, s25, 0xfffff100
	s_sub_i32 s0, s0, s24
	s_mul_i32 s4, s24, 0xfffff100
	v_mul_u32_u24_e32 v3, 15, v0
	v_mad_u32_u24 v27, v0, 15, 14
	s_add_i32 s1, s0, s1
	s_add_u32 s0, s4, s36
	s_addc_u32 s1, s1, s37
	s_and_b32 vcc_lo, exec_lo, s16
	s_cbranch_vccz .LBB234_195
; %bb.81:
	v_add_co_u32 v1, vcc_lo, -4, v1
	v_add_co_ci_u32_e32 v2, vcc_lo, -1, v4, vcc_lo
	v_lshlrev_b32_e32 v4, 2, v0
	v_mov_b32_e32 v58, 0
	s_mov_b32 s4, exec_lo
	flat_load_b32 v5, v[1:2]
	v_mov_b32_e32 v2, 0
	ds_store_b32 v4, v57
	v_mov_b32_e32 v28, v2
	s_delay_alu instid0(VALU_DEP_1)
	v_cmpx_gt_u64_e64 s[0:1], v[27:28]
	s_cbranch_execz .LBB234_83
; %bb.82:
	v_cvt_i32_f32_e32 v1, v10
	v_cvt_i32_f32_e32 v6, v57
	s_delay_alu instid0(VALU_DEP_2) | instskip(NEXT) | instid1(VALU_DEP_2)
	v_mul_hi_i32 v1, 0x66666667, v1
	v_mul_hi_i32 v6, 0x66666667, v6
	s_delay_alu instid0(VALU_DEP_2) | instskip(SKIP_1) | instid1(VALU_DEP_3)
	v_lshrrev_b32_e32 v7, 31, v1
	v_ashrrev_i32_e32 v1, 2, v1
	v_lshrrev_b32_e32 v8, 31, v6
	v_ashrrev_i32_e32 v6, 2, v6
	s_delay_alu instid0(VALU_DEP_3) | instskip(NEXT) | instid1(VALU_DEP_2)
	v_add_nc_u32_e32 v1, v1, v7
	v_add_nc_u32_e32 v6, v6, v8
	s_delay_alu instid0(VALU_DEP_1)
	v_cmp_ne_u32_e32 vcc_lo, v1, v6
	v_cndmask_b32_e64 v58, 0, 1, vcc_lo
.LBB234_83:
	s_or_b32 exec_lo, exec_lo, s4
	v_add_nc_u32_e32 v1, 13, v3
	s_mov_b32 s4, exec_lo
	s_delay_alu instid0(VALU_DEP_1)
	v_cmpx_gt_u64_e64 s[0:1], v[1:2]
	s_cbranch_execz .LBB234_85
; %bb.84:
	v_cvt_i32_f32_e32 v1, v9
	v_cvt_i32_f32_e32 v2, v10
	s_delay_alu instid0(VALU_DEP_2) | instskip(NEXT) | instid1(VALU_DEP_2)
	v_mul_hi_i32 v1, 0x66666667, v1
	v_mul_hi_i32 v2, 0x66666667, v2
	s_delay_alu instid0(VALU_DEP_2) | instskip(SKIP_1) | instid1(VALU_DEP_3)
	v_lshrrev_b32_e32 v6, 31, v1
	v_ashrrev_i32_e32 v1, 2, v1
	v_lshrrev_b32_e32 v7, 31, v2
	v_ashrrev_i32_e32 v2, 2, v2
	s_delay_alu instid0(VALU_DEP_3) | instskip(NEXT) | instid1(VALU_DEP_2)
	v_add_nc_u32_e32 v1, v1, v6
	v_add_nc_u32_e32 v2, v2, v7
	s_delay_alu instid0(VALU_DEP_1)
	v_cmp_ne_u32_e32 vcc_lo, v1, v2
	v_cndmask_b32_e64 v2, 0, 1, vcc_lo
.LBB234_85:
	s_or_b32 exec_lo, exec_lo, s4
	v_dual_mov_b32 v24, 0 :: v_dual_add_nc_u32 v23, 12, v3
	v_mov_b32_e32 v59, 0
	s_mov_b32 s4, exec_lo
	s_delay_alu instid0(VALU_DEP_2)
	v_cmpx_gt_u64_e64 s[0:1], v[23:24]
	s_cbranch_execz .LBB234_87
; %bb.86:
	v_cvt_i32_f32_e32 v1, v12
	v_cvt_i32_f32_e32 v6, v9
	s_delay_alu instid0(VALU_DEP_2) | instskip(NEXT) | instid1(VALU_DEP_2)
	v_mul_hi_i32 v1, 0x66666667, v1
	v_mul_hi_i32 v6, 0x66666667, v6
	s_delay_alu instid0(VALU_DEP_2) | instskip(SKIP_1) | instid1(VALU_DEP_3)
	v_lshrrev_b32_e32 v7, 31, v1
	v_ashrrev_i32_e32 v1, 2, v1
	v_lshrrev_b32_e32 v8, 31, v6
	v_ashrrev_i32_e32 v6, 2, v6
	s_delay_alu instid0(VALU_DEP_3) | instskip(NEXT) | instid1(VALU_DEP_2)
	v_add_nc_u32_e32 v1, v1, v7
	v_add_nc_u32_e32 v6, v6, v8
	s_delay_alu instid0(VALU_DEP_1)
	v_cmp_ne_u32_e32 vcc_lo, v1, v6
	v_cndmask_b32_e64 v59, 0, 1, vcc_lo
.LBB234_87:
	s_or_b32 exec_lo, exec_lo, s4
	v_add_nc_u32_e32 v23, 11, v3
	s_mov_b32 s4, exec_lo
	s_delay_alu instid0(VALU_DEP_1)
	v_cmpx_gt_u64_e64 s[0:1], v[23:24]
	s_cbranch_execz .LBB234_89
; %bb.88:
	v_cvt_i32_f32_e32 v1, v11
	v_cvt_i32_f32_e32 v6, v12
	s_delay_alu instid0(VALU_DEP_2) | instskip(NEXT) | instid1(VALU_DEP_2)
	v_mul_hi_i32 v1, 0x66666667, v1
	v_mul_hi_i32 v6, 0x66666667, v6
	s_delay_alu instid0(VALU_DEP_2) | instskip(SKIP_1) | instid1(VALU_DEP_3)
	v_lshrrev_b32_e32 v7, 31, v1
	v_ashrrev_i32_e32 v1, 2, v1
	v_lshrrev_b32_e32 v8, 31, v6
	v_ashrrev_i32_e32 v6, 2, v6
	s_delay_alu instid0(VALU_DEP_3) | instskip(NEXT) | instid1(VALU_DEP_2)
	v_add_nc_u32_e32 v1, v1, v7
	v_add_nc_u32_e32 v6, v6, v8
	s_delay_alu instid0(VALU_DEP_1)
	v_cmp_ne_u32_e32 vcc_lo, v1, v6
	v_cndmask_b32_e64 v24, 0, 1, vcc_lo
.LBB234_89:
	s_or_b32 exec_lo, exec_lo, s4
	v_dual_mov_b32 v26, 0 :: v_dual_add_nc_u32 v25, 10, v3
	v_mov_b32_e32 v23, 0
	s_mov_b32 s4, exec_lo
	s_delay_alu instid0(VALU_DEP_2)
	;; [unrolled: 49-line block ×6, first 2 shown]
	v_cmpx_gt_u64_e64 s[0:1], v[49:50]
	s_cbranch_execz .LBB234_107
; %bb.106:
	v_cvt_i32_f32_e32 v1, v22
	v_cvt_i32_f32_e32 v6, v19
	s_delay_alu instid0(VALU_DEP_2) | instskip(NEXT) | instid1(VALU_DEP_2)
	v_mul_hi_i32 v1, 0x66666667, v1
	v_mul_hi_i32 v6, 0x66666667, v6
	s_delay_alu instid0(VALU_DEP_2) | instskip(SKIP_1) | instid1(VALU_DEP_3)
	v_lshrrev_b32_e32 v7, 31, v1
	v_ashrrev_i32_e32 v1, 2, v1
	v_lshrrev_b32_e32 v8, 31, v6
	v_ashrrev_i32_e32 v6, 2, v6
	s_delay_alu instid0(VALU_DEP_3) | instskip(NEXT) | instid1(VALU_DEP_2)
	v_add_nc_u32_e32 v1, v1, v7
	v_add_nc_u32_e32 v6, v6, v8
	s_delay_alu instid0(VALU_DEP_1)
	v_cmp_ne_u32_e32 vcc_lo, v1, v6
	v_cndmask_b32_e64 v33, 0, 1, vcc_lo
.LBB234_107:
	s_or_b32 exec_lo, exec_lo, s4
	v_add_nc_u32_e32 v49, 1, v3
	s_mov_b32 s4, exec_lo
	s_delay_alu instid0(VALU_DEP_1)
	v_cmpx_gt_u64_e64 s[0:1], v[49:50]
	s_cbranch_execz .LBB234_109
; %bb.108:
	v_cvt_i32_f32_e32 v1, v21
	v_cvt_i32_f32_e32 v6, v22
	s_delay_alu instid0(VALU_DEP_2) | instskip(NEXT) | instid1(VALU_DEP_2)
	v_mul_hi_i32 v1, 0x66666667, v1
	v_mul_hi_i32 v6, 0x66666667, v6
	s_delay_alu instid0(VALU_DEP_2) | instskip(SKIP_1) | instid1(VALU_DEP_3)
	v_lshrrev_b32_e32 v7, 31, v1
	v_ashrrev_i32_e32 v1, 2, v1
	v_lshrrev_b32_e32 v8, 31, v6
	v_ashrrev_i32_e32 v6, 2, v6
	s_delay_alu instid0(VALU_DEP_3) | instskip(NEXT) | instid1(VALU_DEP_2)
	v_add_nc_u32_e32 v1, v1, v7
	v_add_nc_u32_e32 v6, v6, v8
	s_delay_alu instid0(VALU_DEP_1)
	v_cmp_ne_u32_e32 vcc_lo, v1, v6
	v_cndmask_b32_e64 v50, 0, 1, vcc_lo
.LBB234_109:
	s_or_b32 exec_lo, exec_lo, s4
	s_waitcnt vmcnt(0) lgkmcnt(0)
	s_barrier
	buffer_gl0_inv
	s_and_saveexec_b32 s4, s3
	s_cbranch_execz .LBB234_111
; %bb.110:
	v_add_nc_u32_e32 v1, -4, v4
	ds_load_b32 v5, v1
.LBB234_111:
	s_or_b32 exec_lo, exec_lo, s4
	v_mov_b32_e32 v4, 0
	s_mov_b32 s5, 0
	s_mov_b32 s4, 0
	s_mov_b32 s6, exec_lo
	s_delay_alu instid0(VALU_DEP_1)
	v_cmpx_gt_u64_e64 s[0:1], v[3:4]
	s_cbranch_execz .LBB234_113
; %bb.112:
	s_waitcnt lgkmcnt(0)
	v_cvt_i32_f32_e32 v1, v5
	v_cvt_i32_f32_e32 v4, v21
	s_delay_alu instid0(VALU_DEP_2) | instskip(NEXT) | instid1(VALU_DEP_2)
	v_mul_hi_i32 v1, 0x66666667, v1
	v_mul_hi_i32 v4, 0x66666667, v4
	s_delay_alu instid0(VALU_DEP_2) | instskip(SKIP_1) | instid1(VALU_DEP_3)
	v_lshrrev_b32_e32 v5, 31, v1
	v_ashrrev_i32_e32 v1, 2, v1
	v_lshrrev_b32_e32 v6, 31, v4
	v_ashrrev_i32_e32 v4, 2, v4
	s_delay_alu instid0(VALU_DEP_3) | instskip(NEXT) | instid1(VALU_DEP_2)
	v_add_nc_u32_e32 v1, v1, v5
	v_add_nc_u32_e32 v4, v4, v6
	s_delay_alu instid0(VALU_DEP_1)
	v_cmp_ne_u32_e32 vcc_lo, v1, v4
	s_and_b32 s4, vcc_lo, exec_lo
.LBB234_113:
	s_or_b32 exec_lo, exec_lo, s6
	s_mov_b32 s15, -1
	s_and_b32 vcc_lo, exec_lo, s5
	s_cbranch_vccnz .LBB234_196
.LBB234_114:
                                        ; implicit-def: $vgpr28
                                        ; implicit-def: $sgpr0
.LBB234_115:
	v_mov_b32_e32 v27, s0
	s_and_saveexec_b32 s0, s15
.LBB234_116:
	v_cndmask_b32_e64 v27, 0, 1, s4
	v_mov_b32_e32 v28, v2
.LBB234_117:
	s_or_b32 exec_lo, exec_lo, s0
	s_delay_alu instid0(VALU_DEP_1)
	v_add3_u32 v1, v50, v27, v33
	v_add_f32_e32 v74, v47, v48
	v_cmp_eq_u32_e64 s13, 0, v50
	v_cmp_eq_u32_e64 s12, 0, v33
	;; [unrolled: 1-line block ×3, first 2 shown]
	v_add3_u32 v73, v1, v34, v31
	v_cmp_eq_u32_e64 s11, 0, v31
	v_cmp_eq_u32_e64 s9, 0, v32
	;; [unrolled: 1-line block ×10, first 2 shown]
	v_cmp_eq_u32_e32 vcc_lo, 0, v58
	v_mbcnt_lo_u32_b32 v70, -1, 0
	v_lshrrev_b32_e32 v71, 5, v0
	v_or_b32_e32 v72, 31, v0
	s_cmp_eq_u64 s[22:23], 0
	s_cselect_b32 s16, -1, 0
	s_cmp_lg_u32 s33, 0
	s_cbranch_scc0 .LBB234_143
; %bb.118:
	v_add3_u32 v2, v73, v32, v29
	v_cndmask_b32_e64 v1, v48, v74, s13
	s_mov_b32 s15, exec_lo
	v_and_b32_e32 v4, 15, v70
	v_and_b32_e32 v6, 16, v70
	v_add3_u32 v2, v2, v30, v25
	v_add_f32_e32 v1, v45, v1
	s_delay_alu instid0(VALU_DEP_2) | instskip(NEXT) | instid1(VALU_DEP_2)
	v_add3_u32 v2, v2, v26, v23
	v_cndmask_b32_e64 v1, v45, v1, s12
	s_delay_alu instid0(VALU_DEP_2) | instskip(NEXT) | instid1(VALU_DEP_1)
	v_add3_u32 v2, v2, v24, v59
	v_add3_u32 v2, v2, v28, v58
	s_delay_alu instid0(VALU_DEP_3) | instskip(SKIP_1) | instid1(VALU_DEP_2)
	v_add_f32_e32 v1, v46, v1
	s_waitcnt lgkmcnt(0)
	v_mov_b32_dpp v5, v2 row_shr:1 row_mask:0xf bank_mask:0xf
	s_delay_alu instid0(VALU_DEP_2) | instskip(NEXT) | instid1(VALU_DEP_1)
	v_cndmask_b32_e64 v1, v46, v1, s10
	v_add_f32_e32 v1, v43, v1
	s_delay_alu instid0(VALU_DEP_1) | instskip(NEXT) | instid1(VALU_DEP_1)
	v_cndmask_b32_e64 v1, v43, v1, s11
	v_add_f32_e32 v1, v44, v1
	s_delay_alu instid0(VALU_DEP_1) | instskip(NEXT) | instid1(VALU_DEP_1)
	v_cndmask_b32_e64 v1, v44, v1, s9
	v_add_f32_e32 v1, v41, v1
	s_delay_alu instid0(VALU_DEP_1) | instskip(NEXT) | instid1(VALU_DEP_1)
	v_cndmask_b32_e64 v1, v41, v1, s8
	v_add_f32_e32 v1, v42, v1
	s_delay_alu instid0(VALU_DEP_1) | instskip(NEXT) | instid1(VALU_DEP_1)
	v_cndmask_b32_e64 v1, v42, v1, s7
	v_add_f32_e32 v1, v39, v1
	s_delay_alu instid0(VALU_DEP_1) | instskip(NEXT) | instid1(VALU_DEP_1)
	v_cndmask_b32_e64 v1, v39, v1, s6
	v_add_f32_e32 v1, v40, v1
	s_delay_alu instid0(VALU_DEP_1) | instskip(NEXT) | instid1(VALU_DEP_1)
	v_cndmask_b32_e64 v1, v40, v1, s5
	v_add_f32_e32 v1, v37, v1
	s_delay_alu instid0(VALU_DEP_1) | instskip(NEXT) | instid1(VALU_DEP_1)
	v_cndmask_b32_e64 v1, v37, v1, s4
	v_add_f32_e32 v1, v38, v1
	s_delay_alu instid0(VALU_DEP_1) | instskip(NEXT) | instid1(VALU_DEP_1)
	v_cndmask_b32_e64 v1, v38, v1, s3
	v_add_f32_e32 v1, v35, v1
	s_delay_alu instid0(VALU_DEP_1) | instskip(NEXT) | instid1(VALU_DEP_1)
	v_cndmask_b32_e64 v1, v35, v1, s1
	v_add_f32_e32 v1, v36, v1
	s_delay_alu instid0(VALU_DEP_1) | instskip(NEXT) | instid1(VALU_DEP_1)
	v_cndmask_b32_e64 v1, v36, v1, s0
	v_add_f32_e32 v1, v60, v1
	s_delay_alu instid0(VALU_DEP_1) | instskip(SKIP_1) | instid1(VALU_DEP_2)
	v_cndmask_b32_e32 v1, v60, v1, vcc_lo
	v_cmp_eq_u32_e32 vcc_lo, 0, v2
	v_mov_b32_dpp v3, v1 row_shr:1 row_mask:0xf bank_mask:0xf
	s_delay_alu instid0(VALU_DEP_1) | instskip(NEXT) | instid1(VALU_DEP_1)
	v_add_f32_e32 v3, v1, v3
	v_cndmask_b32_e32 v3, v1, v3, vcc_lo
	v_cmp_eq_u32_e32 vcc_lo, 0, v4
	v_cndmask_b32_e64 v5, v5, 0, vcc_lo
	s_delay_alu instid0(VALU_DEP_1) | instskip(NEXT) | instid1(VALU_DEP_1)
	v_dual_cndmask_b32 v1, v3, v1 :: v_dual_add_nc_u32 v2, v5, v2
	v_mov_b32_dpp v3, v1 row_shr:2 row_mask:0xf bank_mask:0xf
	s_delay_alu instid0(VALU_DEP_2) | instskip(NEXT) | instid1(VALU_DEP_2)
	v_cmp_eq_u32_e32 vcc_lo, 0, v2
	v_add_f32_e32 v3, v1, v3
	v_mov_b32_dpp v5, v2 row_shr:2 row_mask:0xf bank_mask:0xf
	s_delay_alu instid0(VALU_DEP_2) | instskip(SKIP_1) | instid1(VALU_DEP_2)
	v_cndmask_b32_e32 v3, v1, v3, vcc_lo
	v_cmp_lt_u32_e32 vcc_lo, 1, v4
	v_cndmask_b32_e32 v1, v1, v3, vcc_lo
	s_delay_alu instid0(VALU_DEP_4) | instskip(NEXT) | instid1(VALU_DEP_2)
	v_cndmask_b32_e32 v3, 0, v5, vcc_lo
	v_mov_b32_dpp v5, v1 row_shr:4 row_mask:0xf bank_mask:0xf
	s_delay_alu instid0(VALU_DEP_1) | instskip(NEXT) | instid1(VALU_DEP_1)
	v_dual_add_f32 v3, v1, v5 :: v_dual_add_nc_u32 v2, v2, v3
	v_cmp_eq_u32_e32 vcc_lo, 0, v2
	v_mov_b32_dpp v5, v2 row_shr:4 row_mask:0xf bank_mask:0xf
	s_delay_alu instid0(VALU_DEP_3) | instskip(SKIP_1) | instid1(VALU_DEP_2)
	v_cndmask_b32_e32 v3, v1, v3, vcc_lo
	v_cmp_lt_u32_e32 vcc_lo, 3, v4
	v_cndmask_b32_e32 v1, v1, v3, vcc_lo
	s_delay_alu instid0(VALU_DEP_4) | instskip(NEXT) | instid1(VALU_DEP_2)
	v_cndmask_b32_e32 v3, 0, v5, vcc_lo
	v_mov_b32_dpp v5, v1 row_shr:8 row_mask:0xf bank_mask:0xf
	s_delay_alu instid0(VALU_DEP_1) | instskip(NEXT) | instid1(VALU_DEP_1)
	v_dual_add_f32 v2, v1, v5 :: v_dual_add_nc_u32 v3, v3, v2
	v_cmp_eq_u32_e32 vcc_lo, 0, v3
	v_mov_b32_dpp v5, v3 row_shr:8 row_mask:0xf bank_mask:0xf
	s_delay_alu instid0(VALU_DEP_3) | instskip(SKIP_1) | instid1(VALU_DEP_2)
	v_cndmask_b32_e32 v2, v1, v2, vcc_lo
	v_cmp_lt_u32_e32 vcc_lo, 7, v4
	v_dual_cndmask_b32 v2, v1, v2 :: v_dual_cndmask_b32 v1, 0, v5
	v_bfe_i32 v5, v70, 4, 1
	s_delay_alu instid0(VALU_DEP_2)
	v_add_nc_u32_e32 v1, v1, v3
	ds_swizzle_b32 v3, v2 offset:swizzle(BROADCAST,32,15)
	ds_swizzle_b32 v4, v1 offset:swizzle(BROADCAST,32,15)
	v_cmp_eq_u32_e32 vcc_lo, 0, v1
	s_waitcnt lgkmcnt(1)
	v_add_f32_e32 v3, v2, v3
	s_waitcnt lgkmcnt(0)
	v_and_b32_e32 v7, v5, v4
	s_delay_alu instid0(VALU_DEP_2) | instskip(SKIP_2) | instid1(VALU_DEP_4)
	v_cndmask_b32_e32 v5, v2, v3, vcc_lo
	v_cmp_eq_u32_e32 vcc_lo, 0, v6
	v_lshlrev_b32_e32 v4, 3, v71
	v_add_nc_u32_e32 v1, v7, v1
	s_delay_alu instid0(VALU_DEP_4)
	v_cndmask_b32_e32 v3, v5, v2, vcc_lo
	v_cmpx_eq_u32_e64 v72, v0
	s_cbranch_execz .LBB234_120
; %bb.119:
	v_cndmask_b32_e32 v2, v5, v2, vcc_lo
	ds_store_b64 v4, v[1:2] offset:2064
.LBB234_120:
	s_or_b32 exec_lo, exec_lo, s15
	s_delay_alu instid0(SALU_CYCLE_1)
	s_mov_b32 s15, exec_lo
	s_waitcnt lgkmcnt(0)
	s_barrier
	buffer_gl0_inv
	v_cmpx_gt_u32_e32 8, v0
	s_cbranch_execz .LBB234_122
; %bb.121:
	v_lshlrev_b32_e32 v2, 3, v0
	ds_load_b64 v[5:6], v2 offset:2064
	s_waitcnt lgkmcnt(0)
	v_mov_b32_dpp v7, v6 row_shr:1 row_mask:0xf bank_mask:0xf
	v_cmp_eq_u32_e32 vcc_lo, 0, v5
	v_mov_b32_dpp v49, v5 row_shr:1 row_mask:0xf bank_mask:0xf
	s_delay_alu instid0(VALU_DEP_3) | instskip(NEXT) | instid1(VALU_DEP_1)
	v_dual_add_f32 v7, v6, v7 :: v_dual_and_b32 v8, 7, v70
	v_cndmask_b32_e32 v7, v6, v7, vcc_lo
	s_delay_alu instid0(VALU_DEP_2) | instskip(NEXT) | instid1(VALU_DEP_4)
	v_cmp_eq_u32_e32 vcc_lo, 0, v8
	v_cndmask_b32_e64 v49, v49, 0, vcc_lo
	s_delay_alu instid0(VALU_DEP_1) | instskip(NEXT) | instid1(VALU_DEP_1)
	v_dual_cndmask_b32 v6, v7, v6 :: v_dual_add_nc_u32 v5, v49, v5
	v_mov_b32_dpp v7, v6 row_shr:2 row_mask:0xf bank_mask:0xf
	s_delay_alu instid0(VALU_DEP_2) | instskip(NEXT) | instid1(VALU_DEP_2)
	v_cmp_eq_u32_e32 vcc_lo, 0, v5
	v_add_f32_e32 v7, v6, v7
	v_mov_b32_dpp v49, v5 row_shr:2 row_mask:0xf bank_mask:0xf
	s_delay_alu instid0(VALU_DEP_2) | instskip(SKIP_1) | instid1(VALU_DEP_2)
	v_cndmask_b32_e32 v7, v6, v7, vcc_lo
	v_cmp_lt_u32_e32 vcc_lo, 1, v8
	v_dual_cndmask_b32 v6, v6, v7 :: v_dual_cndmask_b32 v7, 0, v49
	v_cmp_lt_u32_e32 vcc_lo, 3, v8
	s_delay_alu instid0(VALU_DEP_2) | instskip(NEXT) | instid1(VALU_DEP_1)
	v_mov_b32_dpp v49, v6 row_shr:4 row_mask:0xf bank_mask:0xf
	v_add_f32_e32 v8, v6, v49
	s_delay_alu instid0(VALU_DEP_4) | instskip(NEXT) | instid1(VALU_DEP_1)
	v_add_nc_u32_e32 v5, v7, v5
	v_mov_b32_dpp v7, v5 row_shr:4 row_mask:0xf bank_mask:0xf
	v_cmp_eq_u32_e64 s14, 0, v5
	s_delay_alu instid0(VALU_DEP_2) | instskip(NEXT) | instid1(VALU_DEP_2)
	v_cndmask_b32_e32 v7, 0, v7, vcc_lo
	s_and_b32 vcc_lo, vcc_lo, s14
	s_delay_alu instid0(VALU_DEP_1)
	v_dual_cndmask_b32 v6, v6, v8 :: v_dual_add_nc_u32 v5, v7, v5
	ds_store_b64 v2, v[5:6] offset:2064
.LBB234_122:
	s_or_b32 exec_lo, exec_lo, s15
	v_cmp_gt_u32_e32 vcc_lo, 32, v0
	v_dual_mov_b32 v51, 0 :: v_dual_mov_b32 v52, 0
	s_mov_b32 s15, exec_lo
	s_waitcnt lgkmcnt(0)
	s_barrier
	buffer_gl0_inv
	v_cmpx_lt_u32_e32 31, v0
	s_cbranch_execz .LBB234_124
; %bb.123:
	ds_load_b64 v[51:52], v4 offset:2056
	v_cmp_eq_u32_e64 s14, 0, v1
	s_waitcnt lgkmcnt(0)
	v_add_nc_u32_e32 v4, v51, v1
	s_delay_alu instid0(VALU_DEP_1) | instskip(NEXT) | instid1(VALU_DEP_1)
	v_dual_add_f32 v2, v3, v52 :: v_dual_mov_b32 v1, v4
	v_cndmask_b32_e64 v3, v3, v2, s14
.LBB234_124:
	s_or_b32 exec_lo, exec_lo, s15
	v_add_nc_u32_e32 v2, -1, v70
	s_delay_alu instid0(VALU_DEP_1) | instskip(NEXT) | instid1(VALU_DEP_1)
	v_cmp_gt_i32_e64 s14, 0, v2
	v_cndmask_b32_e64 v2, v2, v70, s14
	v_cmp_eq_u32_e64 s14, 0, v70
	s_delay_alu instid0(VALU_DEP_2)
	v_lshlrev_b32_e32 v2, 2, v2
	ds_bpermute_b32 v49, v2, v1
	ds_bpermute_b32 v61, v2, v3
	s_and_saveexec_b32 s22, vcc_lo
	s_cbranch_execz .LBB234_142
; %bb.125:
	v_mov_b32_e32 v4, 0
	ds_load_b64 v[1:2], v4 offset:2120
	s_waitcnt lgkmcnt(0)
	v_readfirstlane_b32 s23, v2
	s_and_saveexec_b32 s15, s14
	s_cbranch_execz .LBB234_127
; %bb.126:
	s_add_i32 s24, s33, 32
	s_mov_b32 s25, 0
	v_mov_b32_e32 v3, 1
	s_lshl_b64 s[36:37], s[24:25], 4
	s_mov_b32 s40, s25
	s_add_u32 s36, s20, s36
	s_addc_u32 s37, s21, s37
	s_and_b32 s41, s23, 0xff000000
	s_and_b32 s43, s23, 0xff0000
	s_mov_b32 s42, s25
	v_dual_mov_b32 v5, s36 :: v_dual_mov_b32 v6, s37
	s_or_b64 s[40:41], s[42:43], s[40:41]
	s_and_b32 s43, s23, 0xff00
	s_delay_alu instid0(SALU_CYCLE_1) | instskip(SKIP_1) | instid1(SALU_CYCLE_1)
	s_or_b64 s[40:41], s[40:41], s[42:43]
	s_and_b32 s43, s23, 0xff
	s_or_b64 s[24:25], s[40:41], s[42:43]
	s_delay_alu instid0(SALU_CYCLE_1)
	v_mov_b32_e32 v2, s25
	;;#ASMSTART
	global_store_dwordx4 v[5:6], v[1:4] off	
s_waitcnt vmcnt(0)
	;;#ASMEND
.LBB234_127:
	s_or_b32 exec_lo, exec_lo, s15
	v_xad_u32 v53, v70, -1, s33
	s_mov_b32 s24, 0
	s_mov_b32 s15, exec_lo
	s_delay_alu instid0(VALU_DEP_1) | instskip(NEXT) | instid1(VALU_DEP_1)
	v_add_nc_u32_e32 v3, 32, v53
	v_lshlrev_b64 v[2:3], 4, v[3:4]
	s_delay_alu instid0(VALU_DEP_1) | instskip(NEXT) | instid1(VALU_DEP_2)
	v_add_co_u32 v2, vcc_lo, s20, v2
	v_add_co_ci_u32_e32 v3, vcc_lo, s21, v3, vcc_lo
	;;#ASMSTART
	global_load_dwordx4 v[5:8], v[2:3] off glc	
s_waitcnt vmcnt(0)
	;;#ASMEND
	v_perm_b32 v4, v6, v7, 0x70605
	v_perm_b32 v8, v6, v7, 0x1000706
	;; [unrolled: 1-line block ×3, first 2 shown]
	v_and_b32_e32 v62, 0xff, v7
	s_delay_alu instid0(VALU_DEP_4) | instskip(NEXT) | instid1(VALU_DEP_4)
	v_lshlrev_b32_e32 v4, 8, v4
	v_lshlrev_b32_e32 v8, 16, v8
	s_delay_alu instid0(VALU_DEP_4) | instskip(SKIP_1) | instid1(VALU_DEP_4)
	v_lshlrev_b32_e32 v55, 24, v54
	v_alignbit_b32 v54, v6, v5, 16
	v_perm_b32 v4, v4, v6, 0xc0c0500
	s_delay_alu instid0(VALU_DEP_4) | instskip(SKIP_2) | instid1(VALU_DEP_3)
	v_and_b32_e32 v56, 0xff0000, v8
	v_alignbit_b32 v8, v6, v5, 8
	v_alignbit_b32 v6, v6, v5, 24
	v_or3_b32 v4, v4, v56, v55
	v_cmpx_eq_u16_e32 0, v62
	s_cbranch_execz .LBB234_130
.LBB234_128:                            ; =>This Inner Loop Header: Depth=1
	;;#ASMSTART
	global_load_dwordx4 v[5:8], v[2:3] off glc	
s_waitcnt vmcnt(0)
	;;#ASMEND
	v_and_b32_e32 v4, 0xff, v7
	s_delay_alu instid0(VALU_DEP_1) | instskip(SKIP_1) | instid1(SALU_CYCLE_1)
	v_cmp_ne_u16_e32 vcc_lo, 0, v4
	s_or_b32 s24, vcc_lo, s24
	s_and_not1_b32 exec_lo, exec_lo, s24
	s_cbranch_execnz .LBB234_128
; %bb.129:
	s_or_b32 exec_lo, exec_lo, s24
	v_perm_b32 v2, v6, v7, 0x70605
	v_perm_b32 v3, v6, v7, 0x1000706
	;; [unrolled: 1-line block ×3, first 2 shown]
	v_alignbit_b32 v8, v6, v5, 8
	v_alignbit_b32 v54, v6, v5, 16
	v_lshlrev_b32_e32 v2, 8, v2
	v_lshlrev_b32_e32 v3, 16, v3
	;; [unrolled: 1-line block ×3, first 2 shown]
	s_delay_alu instid0(VALU_DEP_3) | instskip(NEXT) | instid1(VALU_DEP_3)
	v_perm_b32 v2, v2, v6, 0xc0c0500
	v_and_b32_e32 v3, 0xff0000, v3
	v_alignbit_b32 v6, v6, v5, 24
	s_delay_alu instid0(VALU_DEP_2)
	v_or3_b32 v4, v2, v3, v4
.LBB234_130:
	s_or_b32 exec_lo, exec_lo, s15
	v_cmp_ne_u32_e32 vcc_lo, 31, v70
	v_lshlrev_b32_e32 v8, 8, v8
	v_cmp_gt_u32_e64 s15, 30, v70
	v_and_b32_e32 v5, 0xff, v5
	v_lshlrev_b32_e64 v62, v70, -1
	v_add_co_ci_u32_e32 v2, vcc_lo, 0, v70, vcc_lo
	v_and_b32_e32 v8, 0xff00, v8
	v_add_nc_u32_e32 v64, 2, v70
	v_add_nc_u32_e32 v66, 4, v70
	s_delay_alu instid0(VALU_DEP_4)
	v_lshlrev_b32_e32 v2, 2, v2
	v_add_nc_u32_e32 v68, 8, v70
	v_add_nc_u32_e32 v75, 16, v70
	ds_bpermute_b32 v3, v2, v4
	s_waitcnt lgkmcnt(0)
	v_dual_add_f32 v3, v4, v3 :: v_dual_lshlrev_b32 v54, 16, v54
	s_delay_alu instid0(VALU_DEP_1) | instskip(SKIP_1) | instid1(VALU_DEP_2)
	v_perm_b32 v6, v6, v54, 0x4020c0c
	v_cndmask_b32_e64 v54, 0, 1, s15
	v_or3_b32 v5, v6, v8, v5
	s_delay_alu instid0(VALU_DEP_2) | instskip(NEXT) | instid1(VALU_DEP_1)
	v_lshlrev_b32_e32 v6, 1, v54
	v_add_lshl_u32 v63, v6, v70, 2
	ds_bpermute_b32 v6, v2, v5
	v_and_b32_e32 v55, 0xff, v7
	s_delay_alu instid0(VALU_DEP_1) | instskip(SKIP_2) | instid1(VALU_DEP_2)
	v_cmp_eq_u16_e32 vcc_lo, 2, v55
	v_and_or_b32 v55, vcc_lo, v62, 0x80000000
	v_cmp_eq_u32_e32 vcc_lo, 0, v5
	v_ctz_i32_b32_e32 v8, v55
	v_cndmask_b32_e32 v3, v4, v3, vcc_lo
	s_delay_alu instid0(VALU_DEP_2) | instskip(SKIP_1) | instid1(VALU_DEP_2)
	v_cmp_lt_u32_e32 vcc_lo, v70, v8
	s_waitcnt lgkmcnt(0)
	v_dual_cndmask_b32 v6, 0, v6 :: v_dual_cndmask_b32 v3, v4, v3
	v_cmp_gt_u32_e32 vcc_lo, 28, v70
	ds_bpermute_b32 v4, v63, v3
	v_cndmask_b32_e64 v54, 0, 1, vcc_lo
	s_waitcnt lgkmcnt(0)
	v_dual_add_f32 v4, v3, v4 :: v_dual_add_nc_u32 v5, v6, v5
	s_delay_alu instid0(VALU_DEP_2) | instskip(NEXT) | instid1(VALU_DEP_2)
	v_lshlrev_b32_e32 v6, 2, v54
	v_cmp_eq_u32_e32 vcc_lo, 0, v5
	s_delay_alu instid0(VALU_DEP_2) | instskip(NEXT) | instid1(VALU_DEP_4)
	v_add_lshl_u32 v65, v6, v70, 2
	v_cndmask_b32_e32 v4, v3, v4, vcc_lo
	ds_bpermute_b32 v54, v63, v5
	v_cmp_gt_u32_e32 vcc_lo, v64, v8
	v_cndmask_b32_e32 v3, v4, v3, vcc_lo
	ds_bpermute_b32 v4, v65, v3
	s_waitcnt lgkmcnt(1)
	v_cndmask_b32_e64 v6, v54, 0, vcc_lo
	v_cmp_gt_u32_e32 vcc_lo, 24, v70
	s_delay_alu instid0(VALU_DEP_2)
	v_add_nc_u32_e32 v5, v5, v6
	v_cndmask_b32_e64 v6, 0, 1, vcc_lo
	s_waitcnt lgkmcnt(0)
	v_add_f32_e32 v4, v3, v4
	ds_bpermute_b32 v54, v65, v5
	v_cmp_eq_u32_e32 vcc_lo, 0, v5
	v_lshlrev_b32_e32 v6, 3, v6
	v_cndmask_b32_e32 v4, v3, v4, vcc_lo
	v_cmp_gt_u32_e32 vcc_lo, v66, v8
	s_delay_alu instid0(VALU_DEP_3) | instskip(SKIP_2) | instid1(VALU_DEP_1)
	v_add_lshl_u32 v67, v6, v70, 2
	s_waitcnt lgkmcnt(0)
	v_cndmask_b32_e64 v6, v54, 0, vcc_lo
	v_add_nc_u32_e32 v5, v5, v6
	v_cndmask_b32_e32 v3, v4, v3, vcc_lo
	v_cmp_gt_u32_e32 vcc_lo, 16, v70
	ds_bpermute_b32 v6, v67, v5
	ds_bpermute_b32 v4, v67, v3
	v_cndmask_b32_e64 v54, 0, 1, vcc_lo
	v_cmp_eq_u32_e32 vcc_lo, 0, v5
	s_delay_alu instid0(VALU_DEP_2) | instskip(NEXT) | instid1(VALU_DEP_1)
	v_lshlrev_b32_e32 v54, 4, v54
	v_add_lshl_u32 v69, v54, v70, 2
	s_waitcnt lgkmcnt(0)
	v_add_f32_e32 v4, v3, v4
	s_delay_alu instid0(VALU_DEP_1) | instskip(SKIP_1) | instid1(VALU_DEP_2)
	v_cndmask_b32_e32 v4, v3, v4, vcc_lo
	v_cmp_gt_u32_e32 vcc_lo, v68, v8
	v_cndmask_b32_e32 v3, v4, v3, vcc_lo
	v_cndmask_b32_e64 v6, v6, 0, vcc_lo
	ds_bpermute_b32 v4, v69, v3
	v_add_nc_u32_e32 v5, v5, v6
	ds_bpermute_b32 v54, v69, v5
	v_cmp_eq_u32_e32 vcc_lo, 0, v5
	s_waitcnt lgkmcnt(1)
	v_add_f32_e32 v4, v3, v4
	s_delay_alu instid0(VALU_DEP_1) | instskip(SKIP_1) | instid1(VALU_DEP_2)
	v_cndmask_b32_e32 v4, v3, v4, vcc_lo
	v_cmp_gt_u32_e32 vcc_lo, v75, v8
	v_cndmask_b32_e32 v6, v4, v3, vcc_lo
	s_waitcnt lgkmcnt(0)
	v_cndmask_b32_e64 v3, v54, 0, vcc_lo
	s_delay_alu instid0(VALU_DEP_1)
	v_dual_mov_b32 v54, 0 :: v_dual_add_nc_u32 v5, v3, v5
	s_branch .LBB234_132
.LBB234_131:                            ;   in Loop: Header=BB234_132 Depth=1
	s_or_b32 exec_lo, exec_lo, s15
	ds_bpermute_b32 v55, v2, v6
	v_lshlrev_b32_e32 v56, 16, v77
	v_lshlrev_b32_e32 v8, 8, v8
	v_and_b32_e32 v5, 0xff, v5
	v_subrev_nc_u32_e32 v53, 32, v53
	s_delay_alu instid0(VALU_DEP_4) | instskip(NEXT) | instid1(VALU_DEP_4)
	v_perm_b32 v56, v76, v56, 0x4020c0c
	v_and_b32_e32 v8, 0xff00, v8
	s_delay_alu instid0(VALU_DEP_1) | instskip(SKIP_4) | instid1(VALU_DEP_1)
	v_or3_b32 v5, v56, v8, v5
	ds_bpermute_b32 v56, v2, v5
	s_waitcnt lgkmcnt(1)
	v_add_f32_e32 v8, v6, v55
	v_and_b32_e32 v77, 0xff, v7
	v_cmp_eq_u16_e32 vcc_lo, 2, v77
	v_and_or_b32 v76, vcc_lo, v62, 0x80000000
	v_cmp_eq_u32_e32 vcc_lo, 0, v5
	s_delay_alu instid0(VALU_DEP_2) | instskip(SKIP_1) | instid1(VALU_DEP_2)
	v_ctz_i32_b32_e32 v55, v76
	v_cndmask_b32_e32 v8, v6, v8, vcc_lo
	v_cmp_lt_u32_e32 vcc_lo, v70, v55
	s_waitcnt lgkmcnt(0)
	v_cndmask_b32_e32 v56, 0, v56, vcc_lo
	s_delay_alu instid0(VALU_DEP_1)
	v_dual_cndmask_b32 v6, v6, v8 :: v_dual_add_nc_u32 v5, v56, v5
	ds_bpermute_b32 v8, v63, v6
	ds_bpermute_b32 v56, v63, v5
	v_cmp_eq_u32_e32 vcc_lo, 0, v5
	s_waitcnt lgkmcnt(1)
	v_add_f32_e32 v8, v6, v8
	s_delay_alu instid0(VALU_DEP_1) | instskip(SKIP_3) | instid1(VALU_DEP_1)
	v_cndmask_b32_e32 v8, v6, v8, vcc_lo
	v_cmp_gt_u32_e32 vcc_lo, v64, v55
	s_waitcnt lgkmcnt(0)
	v_cndmask_b32_e64 v56, v56, 0, vcc_lo
	v_dual_cndmask_b32 v6, v8, v6 :: v_dual_add_nc_u32 v5, v5, v56
	ds_bpermute_b32 v8, v65, v6
	ds_bpermute_b32 v56, v65, v5
	v_cmp_eq_u32_e32 vcc_lo, 0, v5
	s_waitcnt lgkmcnt(1)
	v_add_f32_e32 v8, v6, v8
	s_delay_alu instid0(VALU_DEP_1) | instskip(SKIP_3) | instid1(VALU_DEP_1)
	v_cndmask_b32_e32 v8, v6, v8, vcc_lo
	v_cmp_gt_u32_e32 vcc_lo, v66, v55
	s_waitcnt lgkmcnt(0)
	v_cndmask_b32_e64 v56, v56, 0, vcc_lo
	;; [unrolled: 11-line block ×3, first 2 shown]
	v_dual_cndmask_b32 v6, v8, v6 :: v_dual_add_nc_u32 v5, v5, v56
	ds_bpermute_b32 v8, v69, v6
	ds_bpermute_b32 v56, v69, v5
	v_cmp_eq_u32_e32 vcc_lo, 0, v5
	s_waitcnt lgkmcnt(1)
	v_add_f32_e32 v8, v6, v8
	s_delay_alu instid0(VALU_DEP_1) | instskip(SKIP_1) | instid1(VALU_DEP_2)
	v_cndmask_b32_e32 v8, v6, v8, vcc_lo
	v_cmp_gt_u32_e32 vcc_lo, v75, v55
	v_cndmask_b32_e32 v6, v8, v6, vcc_lo
	s_waitcnt lgkmcnt(0)
	v_cndmask_b32_e64 v8, v56, 0, vcc_lo
	v_cmp_eq_u32_e32 vcc_lo, 0, v3
	s_delay_alu instid0(VALU_DEP_3) | instskip(NEXT) | instid1(VALU_DEP_3)
	v_add_f32_e32 v6, v4, v6
	v_add3_u32 v5, v5, v3, v8
	s_delay_alu instid0(VALU_DEP_2)
	v_cndmask_b32_e32 v6, v4, v6, vcc_lo
.LBB234_132:                            ; =>This Loop Header: Depth=1
                                        ;     Child Loop BB234_135 Depth 2
	s_delay_alu instid0(VALU_DEP_1) | instskip(NEXT) | instid1(VALU_DEP_1)
	v_dual_mov_b32 v4, v6 :: v_dual_and_b32 v3, 0xff, v7
	v_cmp_ne_u16_e32 vcc_lo, 2, v3
	v_cndmask_b32_e64 v3, 0, 1, vcc_lo
	;;#ASMSTART
	;;#ASMEND
	s_delay_alu instid0(VALU_DEP_1)
	v_cmp_ne_u32_e32 vcc_lo, 0, v3
	v_mov_b32_e32 v3, v5
	s_cmp_lg_u32 vcc_lo, exec_lo
	s_cbranch_scc1 .LBB234_137
; %bb.133:                              ;   in Loop: Header=BB234_132 Depth=1
	v_lshlrev_b64 v[5:6], 4, v[53:54]
	s_mov_b32 s15, exec_lo
	s_delay_alu instid0(VALU_DEP_1) | instskip(NEXT) | instid1(VALU_DEP_2)
	v_add_co_u32 v55, vcc_lo, s20, v5
	v_add_co_ci_u32_e32 v56, vcc_lo, s21, v6, vcc_lo
	;;#ASMSTART
	global_load_dwordx4 v[5:8], v[55:56] off glc	
s_waitcnt vmcnt(0)
	;;#ASMEND
	v_perm_b32 v8, v6, v7, 0x70605
	v_perm_b32 v76, v6, v7, 0x1000706
	;; [unrolled: 1-line block ×3, first 2 shown]
	v_and_b32_e32 v81, 0xff, v7
	s_delay_alu instid0(VALU_DEP_4) | instskip(NEXT) | instid1(VALU_DEP_4)
	v_lshlrev_b32_e32 v8, 8, v8
	v_lshlrev_b32_e32 v76, 16, v76
	s_delay_alu instid0(VALU_DEP_4) | instskip(SKIP_1) | instid1(VALU_DEP_4)
	v_lshlrev_b32_e32 v78, 24, v77
	v_alignbit_b32 v77, v6, v5, 16
	v_perm_b32 v79, v8, v6, 0xc0c0500
	s_delay_alu instid0(VALU_DEP_4) | instskip(SKIP_2) | instid1(VALU_DEP_3)
	v_and_b32_e32 v80, 0xff0000, v76
	v_alignbit_b32 v8, v6, v5, 8
	v_alignbit_b32 v76, v6, v5, 24
	v_or3_b32 v6, v79, v80, v78
	v_cmpx_eq_u16_e32 0, v81
	s_cbranch_execz .LBB234_131
; %bb.134:                              ;   in Loop: Header=BB234_132 Depth=1
	s_mov_b32 s24, 0
.LBB234_135:                            ;   Parent Loop BB234_132 Depth=1
                                        ; =>  This Inner Loop Header: Depth=2
	;;#ASMSTART
	global_load_dwordx4 v[5:8], v[55:56] off glc	
s_waitcnt vmcnt(0)
	;;#ASMEND
	v_and_b32_e32 v8, 0xff, v7
	s_delay_alu instid0(VALU_DEP_1) | instskip(SKIP_1) | instid1(SALU_CYCLE_1)
	v_cmp_ne_u16_e32 vcc_lo, 0, v8
	s_or_b32 s24, vcc_lo, s24
	s_and_not1_b32 exec_lo, exec_lo, s24
	s_cbranch_execnz .LBB234_135
; %bb.136:                              ;   in Loop: Header=BB234_132 Depth=1
	s_or_b32 exec_lo, exec_lo, s24
	v_perm_b32 v8, v6, v7, 0x70605
	v_perm_b32 v55, v6, v7, 0x1000706
	v_perm_b32 v56, v6, v7, 0x2010007
	v_alignbit_b32 v77, v6, v5, 16
	v_alignbit_b32 v76, v6, v5, 24
	v_lshlrev_b32_e32 v8, 8, v8
	v_lshlrev_b32_e32 v55, 16, v55
	;; [unrolled: 1-line block ×3, first 2 shown]
	s_delay_alu instid0(VALU_DEP_3) | instskip(NEXT) | instid1(VALU_DEP_3)
	v_perm_b32 v78, v8, v6, 0xc0c0500
	v_and_b32_e32 v55, 0xff0000, v55
	v_alignbit_b32 v8, v6, v5, 8
	s_delay_alu instid0(VALU_DEP_2)
	v_or3_b32 v6, v78, v55, v56
	s_branch .LBB234_131
.LBB234_137:                            ;   in Loop: Header=BB234_132 Depth=1
                                        ; implicit-def: $vgpr6
                                        ; implicit-def: $vgpr5
                                        ; implicit-def: $vgpr7
	s_cbranch_execz .LBB234_132
; %bb.138:
	s_and_saveexec_b32 s15, s14
	s_cbranch_execz .LBB234_140
; %bb.139:
	v_dual_add_f32 v2, s23, v4 :: v_dual_add_nc_u32 v5, v3, v1
	v_cmp_eq_u32_e32 vcc_lo, 0, v1
	s_mov_b32 s25, 0
	s_add_i32 s24, s33, 32
	v_mov_b32_e32 v8, 0
	s_lshl_b64 s[24:25], s[24:25], 4
	v_cndmask_b32_e32 v2, s23, v2, vcc_lo
	s_add_u32 s24, s20, s24
	s_addc_u32 s25, s21, s25
	s_delay_alu instid0(VALU_DEP_1) | instskip(SKIP_1) | instid1(VALU_DEP_1)
	v_and_b32_e32 v6, 0xff000000, v2
	v_and_b32_e32 v7, 0xff0000, v2
	v_or_b32_e32 v6, v7, v6
	v_mov_b32_e32 v7, 2
	v_and_b32_e32 v53, 0xff00, v2
	v_and_b32_e32 v2, 0xff, v2
	s_delay_alu instid0(VALU_DEP_1)
	v_or3_b32 v6, v6, v53, v2
	v_mov_b32_e32 v2, s23
	v_dual_mov_b32 v54, s25 :: v_dual_mov_b32 v53, s24
	;;#ASMSTART
	global_store_dwordx4 v[53:54], v[5:8] off	
s_waitcnt vmcnt(0)
	;;#ASMEND
	ds_store_b128 v8, v[1:4] offset:2048
.LBB234_140:
	s_or_b32 exec_lo, exec_lo, s15
	s_delay_alu instid0(SALU_CYCLE_1)
	s_and_b32 exec_lo, exec_lo, s2
	s_cbranch_execz .LBB234_142
; %bb.141:
	v_mov_b32_e32 v1, 0
	ds_store_b64 v1, v[3:4] offset:2120
.LBB234_142:
	s_or_b32 exec_lo, exec_lo, s22
	s_waitcnt lgkmcnt(1)
	v_cndmask_b32_e64 v7, v49, v51, s14
	s_waitcnt lgkmcnt(0)
	v_cndmask_b32_e64 v2, v61, v52, s14
	s_barrier
	buffer_gl0_inv
	v_cmp_eq_u32_e32 vcc_lo, 0, v7
	v_mov_b32_e32 v1, 0
	ds_load_b64 v[5:6], v1 offset:2120
	s_waitcnt lgkmcnt(0)
	s_barrier
	buffer_gl0_inv
	v_add_f32_e32 v3, v2, v6
	s_delay_alu instid0(VALU_DEP_1) | instskip(SKIP_1) | instid1(VALU_DEP_2)
	v_cndmask_b32_e32 v2, v2, v3, vcc_lo
	v_cmp_eq_u32_e32 vcc_lo, 0, v27
	v_cndmask_b32_e64 v69, v2, v6, s2
	s_delay_alu instid0(VALU_DEP_1) | instskip(NEXT) | instid1(VALU_DEP_1)
	v_add_f32_e32 v2, v47, v69
	v_cndmask_b32_e32 v68, v47, v2, vcc_lo
	s_delay_alu instid0(VALU_DEP_1) | instskip(NEXT) | instid1(VALU_DEP_1)
	v_add_f32_e32 v2, v48, v68
	v_cndmask_b32_e64 v67, v48, v2, s13
	s_delay_alu instid0(VALU_DEP_1) | instskip(NEXT) | instid1(VALU_DEP_1)
	v_add_f32_e32 v2, v45, v67
	v_cndmask_b32_e64 v66, v45, v2, s12
	;; [unrolled: 3-line block ×10, first 2 shown]
	ds_load_b128 v[1:4], v1 offset:2048
	v_add_f32_e32 v6, v38, v52
	s_delay_alu instid0(VALU_DEP_1) | instskip(SKIP_3) | instid1(VALU_DEP_2)
	v_cndmask_b32_e64 v53, v38, v6, s3
	s_waitcnt lgkmcnt(0)
	v_add_f32_e32 v4, v4, v2
	v_cmp_eq_u32_e32 vcc_lo, 0, v1
	v_dual_add_f32 v6, v35, v53 :: v_dual_cndmask_b32 v49, v2, v4
	s_delay_alu instid0(VALU_DEP_1) | instskip(SKIP_1) | instid1(VALU_DEP_1)
	v_cndmask_b32_e64 v51, v35, v6, s1
	v_cndmask_b32_e64 v6, v7, 0, s2
	v_dual_add_f32 v7, v36, v51 :: v_dual_add_nc_u32 v6, v5, v6
	v_mov_b32_e32 v5, v3
	s_delay_alu instid0(VALU_DEP_2) | instskip(NEXT) | instid1(VALU_DEP_3)
	v_cndmask_b32_e64 v56, v36, v7, s0
	v_mov_b32_e32 v4, v6
	s_branch .LBB234_155
.LBB234_143:
                                        ; implicit-def: $vgpr1
                                        ; implicit-def: $vgpr49
                                        ; implicit-def: $vgpr5
                                        ; implicit-def: $vgpr56
                                        ; implicit-def: $vgpr51
                                        ; implicit-def: $vgpr53
                                        ; implicit-def: $vgpr52
                                        ; implicit-def: $vgpr54
                                        ; implicit-def: $vgpr55
                                        ; implicit-def: $vgpr61
                                        ; implicit-def: $vgpr62
                                        ; implicit-def: $vgpr63
                                        ; implicit-def: $vgpr64
                                        ; implicit-def: $vgpr65
                                        ; implicit-def: $vgpr66
                                        ; implicit-def: $vgpr67
                                        ; implicit-def: $vgpr68
                                        ; implicit-def: $vgpr69
	s_cbranch_execz .LBB234_155
; %bb.144:
	s_and_b32 s0, s16, exec_lo
	s_waitcnt lgkmcnt(0)
	v_mov_b32_e32 v5, v47
	s_cselect_b32 s1, 0, s35
	s_cselect_b32 s0, 0, s34
	s_delay_alu instid0(SALU_CYCLE_1)
	s_cmp_eq_u64 s[0:1], 0
	s_cbranch_scc1 .LBB234_146
; %bb.145:
	v_mov_b32_e32 v1, 0
	global_load_b32 v5, v1, s[0:1]
.LBB234_146:
	v_cmp_eq_u32_e64 s0, 0, v50
	v_cmp_eq_u32_e64 s1, 0, v33
	v_add3_u32 v2, v73, v32, v29
	v_cmp_eq_u32_e64 s3, 0, v34
	v_cmp_eq_u32_e64 s4, 0, v31
	v_cndmask_b32_e64 v1, v48, v74, s0
	v_cmp_eq_u32_e64 s5, 0, v32
	v_add3_u32 v2, v2, v30, v25
	v_cmp_eq_u32_e64 s6, 0, v29
	v_cmp_eq_u32_e64 s7, 0, v30
	v_dual_add_f32 v1, v45, v1 :: v_dual_and_b32 v4, 15, v70
	s_delay_alu instid0(VALU_DEP_4) | instskip(SKIP_2) | instid1(VALU_DEP_4)
	v_add3_u32 v2, v2, v26, v23
	v_cmp_eq_u32_e64 s8, 0, v25
	v_cmp_eq_u32_e64 s10, 0, v26
	v_cndmask_b32_e64 v1, v45, v1, s1
	v_cmp_eq_u32_e64 s12, 0, v23
	v_add3_u32 v2, v2, v24, v59
	v_cmp_eq_u32_e64 s9, 0, v24
	v_cmp_eq_u32_e64 s11, 0, v59
	v_add_f32_e32 v1, v46, v1
	v_cmp_eq_u32_e32 vcc_lo, 0, v28
	v_add3_u32 v2, v2, v28, v58
	v_cmp_eq_u32_e64 s13, 0, v58
	v_and_b32_e32 v7, 16, v70
	v_cndmask_b32_e64 v1, v46, v1, s3
	s_delay_alu instid0(VALU_DEP_4) | instskip(NEXT) | instid1(VALU_DEP_3)
	v_mov_b32_dpp v6, v2 row_shr:1 row_mask:0xf bank_mask:0xf
	v_cmp_eq_u32_e64 s14, 0, v7
	s_delay_alu instid0(VALU_DEP_3) | instskip(NEXT) | instid1(VALU_DEP_1)
	v_add_f32_e32 v1, v43, v1
	v_cndmask_b32_e64 v1, v43, v1, s4
	s_delay_alu instid0(VALU_DEP_1) | instskip(NEXT) | instid1(VALU_DEP_1)
	v_add_f32_e32 v1, v44, v1
	v_cndmask_b32_e64 v1, v44, v1, s5
	s_delay_alu instid0(VALU_DEP_1) | instskip(NEXT) | instid1(VALU_DEP_1)
	;; [unrolled: 3-line block ×9, first 2 shown]
	v_add_f32_e32 v1, v36, v1
	v_cndmask_b32_e32 v1, v36, v1, vcc_lo
	s_delay_alu instid0(VALU_DEP_1) | instskip(NEXT) | instid1(VALU_DEP_1)
	v_add_f32_e32 v1, v60, v1
	v_cndmask_b32_e64 v1, v60, v1, s13
	v_cmp_eq_u32_e64 s13, 0, v2
	s_delay_alu instid0(VALU_DEP_2) | instskip(NEXT) | instid1(VALU_DEP_1)
	v_mov_b32_dpp v3, v1 row_shr:1 row_mask:0xf bank_mask:0xf
	v_add_f32_e32 v3, v1, v3
	s_delay_alu instid0(VALU_DEP_1) | instskip(SKIP_1) | instid1(VALU_DEP_1)
	v_cndmask_b32_e64 v3, v1, v3, s13
	v_cmp_eq_u32_e64 s13, 0, v4
	v_cndmask_b32_e64 v6, v6, 0, s13
	s_delay_alu instid0(VALU_DEP_3) | instskip(NEXT) | instid1(VALU_DEP_2)
	v_cndmask_b32_e64 v1, v3, v1, s13
	v_add_nc_u32_e32 v2, v6, v2
	s_delay_alu instid0(VALU_DEP_2) | instskip(NEXT) | instid1(VALU_DEP_2)
	v_mov_b32_dpp v3, v1 row_shr:2 row_mask:0xf bank_mask:0xf
	v_cmp_eq_u32_e64 s13, 0, v2
	s_delay_alu instid0(VALU_DEP_2) | instskip(SKIP_1) | instid1(VALU_DEP_2)
	v_add_f32_e32 v3, v1, v3
	v_mov_b32_dpp v6, v2 row_shr:2 row_mask:0xf bank_mask:0xf
	v_cndmask_b32_e64 v3, v1, v3, s13
	v_cmp_lt_u32_e64 s13, 1, v4
	s_delay_alu instid0(VALU_DEP_1) | instskip(NEXT) | instid1(VALU_DEP_4)
	v_cndmask_b32_e64 v1, v1, v3, s13
	v_cndmask_b32_e64 v3, 0, v6, s13
	s_delay_alu instid0(VALU_DEP_2) | instskip(NEXT) | instid1(VALU_DEP_1)
	v_mov_b32_dpp v6, v1 row_shr:4 row_mask:0xf bank_mask:0xf
	v_dual_add_f32 v3, v1, v6 :: v_dual_add_nc_u32 v2, v2, v3
	s_delay_alu instid0(VALU_DEP_1) | instskip(SKIP_1) | instid1(VALU_DEP_2)
	v_cmp_eq_u32_e64 s13, 0, v2
	v_mov_b32_dpp v6, v2 row_shr:4 row_mask:0xf bank_mask:0xf
	v_cndmask_b32_e64 v3, v1, v3, s13
	v_cmp_lt_u32_e64 s13, 3, v4
	s_delay_alu instid0(VALU_DEP_1) | instskip(NEXT) | instid1(VALU_DEP_4)
	v_cndmask_b32_e64 v1, v1, v3, s13
	v_cndmask_b32_e64 v3, 0, v6, s13
	s_delay_alu instid0(VALU_DEP_2) | instskip(NEXT) | instid1(VALU_DEP_2)
	v_mov_b32_dpp v6, v1 row_shr:8 row_mask:0xf bank_mask:0xf
	v_add_nc_u32_e32 v2, v3, v2
	s_delay_alu instid0(VALU_DEP_2) | instskip(NEXT) | instid1(VALU_DEP_2)
	v_add_f32_e32 v3, v1, v6
	v_cmp_eq_u32_e64 s13, 0, v2
	v_mov_b32_dpp v6, v2 row_shr:8 row_mask:0xf bank_mask:0xf
	s_delay_alu instid0(VALU_DEP_2) | instskip(SKIP_1) | instid1(VALU_DEP_1)
	v_cndmask_b32_e64 v3, v1, v3, s13
	v_cmp_lt_u32_e64 s13, 7, v4
	v_cndmask_b32_e64 v3, v1, v3, s13
	s_delay_alu instid0(VALU_DEP_4) | instskip(SKIP_1) | instid1(VALU_DEP_2)
	v_cndmask_b32_e64 v1, 0, v6, s13
	v_bfe_i32 v6, v70, 4, 1
	v_add_nc_u32_e32 v1, v1, v2
	ds_swizzle_b32 v2, v3 offset:swizzle(BROADCAST,32,15)
	ds_swizzle_b32 v4, v1 offset:swizzle(BROADCAST,32,15)
	v_cmp_eq_u32_e64 s13, 0, v1
	s_waitcnt lgkmcnt(1)
	v_add_f32_e32 v2, v3, v2
	s_waitcnt lgkmcnt(0)
	v_and_b32_e32 v4, v6, v4
	s_delay_alu instid0(VALU_DEP_2) | instskip(NEXT) | instid1(VALU_DEP_2)
	v_cndmask_b32_e64 v2, v3, v2, s13
	v_add_nc_u32_e32 v1, v4, v1
	s_delay_alu instid0(VALU_DEP_2)
	v_cndmask_b32_e64 v2, v2, v3, s14
	v_lshlrev_b32_e32 v4, 3, v71
	s_mov_b32 s14, exec_lo
	v_cmpx_eq_u32_e64 v72, v0
	s_cbranch_execz .LBB234_148
; %bb.147:
	ds_store_b64 v4, v[1:2] offset:2064
.LBB234_148:
	s_or_b32 exec_lo, exec_lo, s14
	s_delay_alu instid0(SALU_CYCLE_1)
	s_mov_b32 s15, exec_lo
	s_waitcnt vmcnt(0) lgkmcnt(0)
	s_barrier
	buffer_gl0_inv
	v_cmpx_gt_u32_e32 8, v0
	s_cbranch_execz .LBB234_150
; %bb.149:
	v_lshlrev_b32_e32 v3, 3, v0
	v_and_b32_e32 v49, 7, v70
	ds_load_b64 v[6:7], v3 offset:2064
	s_waitcnt lgkmcnt(0)
	v_mov_b32_dpp v8, v7 row_shr:1 row_mask:0xf bank_mask:0xf
	v_cmp_eq_u32_e64 s13, 0, v6
	v_mov_b32_dpp v51, v6 row_shr:1 row_mask:0xf bank_mask:0xf
	s_delay_alu instid0(VALU_DEP_3) | instskip(NEXT) | instid1(VALU_DEP_1)
	v_add_f32_e32 v8, v7, v8
	v_cndmask_b32_e64 v8, v7, v8, s13
	v_cmp_eq_u32_e64 s13, 0, v49
	s_delay_alu instid0(VALU_DEP_1) | instskip(NEXT) | instid1(VALU_DEP_3)
	v_cndmask_b32_e64 v51, v51, 0, s13
	v_cndmask_b32_e64 v7, v8, v7, s13
	s_delay_alu instid0(VALU_DEP_2) | instskip(NEXT) | instid1(VALU_DEP_2)
	v_add_nc_u32_e32 v6, v51, v6
	v_mov_b32_dpp v8, v7 row_shr:2 row_mask:0xf bank_mask:0xf
	s_delay_alu instid0(VALU_DEP_2) | instskip(NEXT) | instid1(VALU_DEP_2)
	v_cmp_eq_u32_e64 s13, 0, v6
	v_add_f32_e32 v8, v7, v8
	v_mov_b32_dpp v51, v6 row_shr:2 row_mask:0xf bank_mask:0xf
	s_delay_alu instid0(VALU_DEP_2) | instskip(SKIP_1) | instid1(VALU_DEP_1)
	v_cndmask_b32_e64 v8, v7, v8, s13
	v_cmp_lt_u32_e64 s13, 1, v49
	v_cndmask_b32_e64 v7, v7, v8, s13
	s_delay_alu instid0(VALU_DEP_4) | instskip(SKIP_1) | instid1(VALU_DEP_3)
	v_cndmask_b32_e64 v8, 0, v51, s13
	v_cmp_lt_u32_e64 s13, 3, v49
	v_mov_b32_dpp v51, v7 row_shr:4 row_mask:0xf bank_mask:0xf
	s_delay_alu instid0(VALU_DEP_1) | instskip(NEXT) | instid1(VALU_DEP_1)
	v_dual_add_f32 v49, v7, v51 :: v_dual_add_nc_u32 v6, v8, v6
	v_mov_b32_dpp v8, v6 row_shr:4 row_mask:0xf bank_mask:0xf
	v_cmp_eq_u32_e64 s14, 0, v6
	s_delay_alu instid0(VALU_DEP_2) | instskip(NEXT) | instid1(VALU_DEP_2)
	v_cndmask_b32_e64 v8, 0, v8, s13
	s_and_b32 s13, s13, s14
	s_delay_alu instid0(SALU_CYCLE_1) | instskip(NEXT) | instid1(VALU_DEP_2)
	v_cndmask_b32_e64 v7, v7, v49, s13
	v_add_nc_u32_e32 v6, v8, v6
	ds_store_b64 v3, v[6:7] offset:2064
.LBB234_150:
	s_or_b32 exec_lo, exec_lo, s15
	v_dual_mov_b32 v6, 0 :: v_dual_mov_b32 v3, 0
	v_mov_b32_e32 v7, v5
	s_mov_b32 s14, exec_lo
	s_waitcnt lgkmcnt(0)
	s_barrier
	buffer_gl0_inv
	v_cmpx_lt_u32_e32 31, v0
	s_cbranch_execz .LBB234_152
; %bb.151:
	ds_load_b64 v[3:4], v4 offset:2056
	s_waitcnt lgkmcnt(0)
	v_add_f32_e32 v7, v5, v4
	v_cmp_eq_u32_e64 s13, 0, v3
	s_delay_alu instid0(VALU_DEP_1)
	v_cndmask_b32_e64 v7, v4, v7, s13
.LBB234_152:
	s_or_b32 exec_lo, exec_lo, s14
	v_add_nc_u32_e32 v4, -1, v70
	s_delay_alu instid0(VALU_DEP_2) | instskip(NEXT) | instid1(VALU_DEP_2)
	v_dual_add_f32 v8, v2, v7 :: v_dual_add_nc_u32 v49, v3, v1
	v_cmp_gt_i32_e64 s13, 0, v4
	s_delay_alu instid0(VALU_DEP_1) | instskip(SKIP_1) | instid1(VALU_DEP_2)
	v_cndmask_b32_e64 v4, v4, v70, s13
	v_cmp_eq_u32_e64 s13, 0, v1
	v_lshlrev_b32_e32 v4, 2, v4
	s_delay_alu instid0(VALU_DEP_2)
	v_cndmask_b32_e64 v1, v2, v8, s13
	v_cmp_eq_u32_e64 s13, 0, v70
	ds_bpermute_b32 v2, v4, v49
	ds_bpermute_b32 v1, v4, v1
	s_waitcnt lgkmcnt(1)
	v_cndmask_b32_e64 v4, v2, v3, s13
	s_waitcnt lgkmcnt(0)
	v_cndmask_b32_e64 v69, v1, v7, s13
	v_cmp_eq_u32_e64 s13, 0, v27
	s_delay_alu instid0(VALU_DEP_2) | instskip(NEXT) | instid1(VALU_DEP_1)
	v_cndmask_b32_e64 v1, v69, v5, s2
	v_add_f32_e32 v1, v47, v1
	s_delay_alu instid0(VALU_DEP_1) | instskip(NEXT) | instid1(VALU_DEP_1)
	v_cndmask_b32_e64 v68, v47, v1, s13
	v_add_f32_e32 v1, v48, v68
	s_delay_alu instid0(VALU_DEP_1) | instskip(NEXT) | instid1(VALU_DEP_1)
	;; [unrolled: 3-line block ×10, first 2 shown]
	v_cndmask_b32_e64 v54, v40, v1, s10
	v_add_f32_e32 v1, v37, v54
	s_delay_alu instid0(VALU_DEP_1) | instskip(SKIP_2) | instid1(VALU_DEP_1)
	v_cndmask_b32_e64 v52, v37, v1, s12
	ds_load_b64 v[1:2], v6 offset:2120
	v_add_f32_e32 v3, v38, v52
	v_cndmask_b32_e64 v53, v38, v3, s9
	s_delay_alu instid0(VALU_DEP_1) | instskip(NEXT) | instid1(VALU_DEP_1)
	v_add_f32_e32 v3, v35, v53
	v_cndmask_b32_e64 v51, v35, v3, s11
	s_waitcnt lgkmcnt(0)
	v_add_f32_e32 v3, v5, v2
	v_cmp_eq_u32_e64 s0, 0, v1
	s_delay_alu instid0(VALU_DEP_3) | instskip(NEXT) | instid1(VALU_DEP_2)
	v_add_f32_e32 v6, v36, v51
	v_cndmask_b32_e64 v49, v2, v3, s0
	s_and_saveexec_b32 s0, s2
	s_cbranch_execz .LBB234_154
; %bb.153:
	s_delay_alu instid0(VALU_DEP_1)
	v_and_b32_e32 v2, 0xff000000, v49
	v_dual_mov_b32 v4, 0 :: v_dual_and_b32 v3, 0xff0000, v49
	s_add_u32 s4, s20, 0x200
	v_and_b32_e32 v7, 0xff00, v49
	s_addc_u32 s5, s21, 0
	v_and_b32_e32 v8, 0xff, v49
	v_or_b32_e32 v2, v3, v2
	v_mov_b32_e32 v3, 2
	v_mov_b32_e32 v69, v5
	s_delay_alu instid0(VALU_DEP_3)
	v_or3_b32 v2, v2, v7, v8
	v_dual_mov_b32 v8, s5 :: v_dual_mov_b32 v7, s4
	;;#ASMSTART
	global_store_dwordx4 v[7:8], v[1:4] off	
s_waitcnt vmcnt(0)
	;;#ASMEND
.LBB234_154:
	s_or_b32 exec_lo, exec_lo, s0
	v_dual_cndmask_b32 v56, v36, v6 :: v_dual_mov_b32 v5, 0
.LBB234_155:
	v_mov_b32_e32 v7, 0
	s_and_b32 s0, s16, exec_lo
	v_mov_b32_e32 v8, 0
	s_cselect_b32 s1, 0, s39
	s_cselect_b32 s0, 0, s38
	s_waitcnt lgkmcnt(0)
	s_cmp_eq_u64 s[0:1], 0
	s_barrier
	buffer_gl0_inv
	s_cbranch_scc1 .LBB234_157
; %bb.156:
	v_mov_b32_e32 v2, 0
	global_load_b64 v[7:8], v2, s[0:1]
.LBB234_157:
	v_cmp_eq_u32_e32 vcc_lo, 0, v27
	v_add_nc_u32_e32 v47, v4, v27
	v_cmp_ne_u32_e64 s13, 0, v27
	v_cmp_ne_u32_e64 s12, 0, v50
	;; [unrolled: 1-line block ×3, first 2 shown]
	v_cndmask_b32_e64 v2, 1, 2, vcc_lo
	v_cmp_eq_u32_e32 vcc_lo, 0, v50
	v_cmp_ne_u32_e64 s9, 0, v34
	v_cmp_ne_u32_e64 s15, 0, v31
	;; [unrolled: 1-line block ×4, first 2 shown]
	v_cndmask_b32_e64 v3, 1, 2, vcc_lo
	v_cmp_eq_u32_e32 vcc_lo, 0, v33
	v_cmp_ne_u32_e64 s8, 0, v30
	v_cmp_ne_u32_e64 s7, 0, v25
	;; [unrolled: 1-line block ×3, first 2 shown]
	v_and_b32_e32 v2, v3, v2
	v_cndmask_b32_e64 v6, 1, 2, vcc_lo
	v_cmp_eq_u32_e32 vcc_lo, 0, v34
	v_cmp_ne_u32_e64 s5, 0, v23
	v_cmp_ne_u32_e64 s4, 0, v24
	;; [unrolled: 1-line block ×3, first 2 shown]
	v_and_b32_e32 v6, v2, v6
	v_cndmask_b32_e64 v35, 1, 2, vcc_lo
	v_cmp_eq_u32_e32 vcc_lo, 0, v31
	s_waitcnt vmcnt(0)
	v_lshlrev_b64 v[2:3], 2, v[7:8]
	v_cmp_ne_u32_e64 s1, 0, v28
	v_cmp_ne_u32_e64 s0, 0, v58
	v_dual_mov_b32 v6, 0 :: v_dual_and_b32 v35, v6, v35
	v_cndmask_b32_e64 v36, 1, 2, vcc_lo
	v_cmp_eq_u32_e32 vcc_lo, 0, v32
	v_add_nc_u32_e32 v60, v47, v50
	s_delay_alu instid0(VALU_DEP_3) | instskip(SKIP_2) | instid1(VALU_DEP_4)
	v_and_b32_e32 v35, v35, v36
	v_cndmask_b32_e64 v37, 1, 2, vcc_lo
	v_cmp_eq_u32_e32 vcc_lo, 0, v29
	v_add_nc_u32_e32 v48, v60, v33
	s_delay_alu instid0(VALU_DEP_3) | instskip(SKIP_2) | instid1(VALU_DEP_4)
	v_and_b32_e32 v35, v35, v37
	;; [unrolled: 5-line block ×6, first 2 shown]
	v_cndmask_b32_e64 v38, 1, 2, vcc_lo
	v_cmp_eq_u32_e32 vcc_lo, 0, v24
	v_add_nc_u32_e32 v42, v43, v30
	v_lshlrev_b64 v[35:36], 2, v[5:6]
	s_delay_alu instid0(VALU_DEP_4) | instskip(SKIP_3) | instid1(VALU_DEP_3)
	v_and_b32_e32 v6, v37, v38
	v_cndmask_b32_e64 v70, 1, 2, vcc_lo
	v_cmp_eq_u32_e32 vcc_lo, 0, v59
	v_add_nc_u32_e32 v41, v42, v25
	v_and_b32_e32 v74, v6, v70
	v_cndmask_b32_e64 v72, 1, 2, vcc_lo
	v_add_co_u32 v71, vcc_lo, s18, v2
	v_add_co_ci_u32_e32 v73, vcc_lo, s19, v3, vcc_lo
	v_add_nc_u32_e32 v40, v41, v26
	s_delay_alu instid0(VALU_DEP_3) | instskip(NEXT) | instid1(VALU_DEP_3)
	v_add_co_u32 v70, vcc_lo, v71, v35
	v_add_co_ci_u32_e32 v71, vcc_lo, v73, v36, vcc_lo
	v_cmp_eq_u32_e32 vcc_lo, 0, v28
	s_delay_alu instid0(VALU_DEP_4)
	v_add_nc_u32_e32 v39, v40, v23
	v_and_b32_e32 v72, v74, v72
	s_mov_b32 s18, -1
	v_cndmask_b32_e64 v73, 1, 2, vcc_lo
	v_cmp_eq_u32_e32 vcc_lo, 0, v58
	v_add_nc_u32_e32 v38, v39, v24
	s_delay_alu instid0(VALU_DEP_3) | instskip(SKIP_1) | instid1(VALU_DEP_3)
	v_and_b32_e32 v72, v72, v73
	v_cndmask_b32_e64 v73, 1, 2, vcc_lo
	v_add_nc_u32_e32 v37, v38, v59
	v_cmp_gt_u32_e32 vcc_lo, 0x100, v1
	s_delay_alu instid0(VALU_DEP_3) | instskip(NEXT) | instid1(VALU_DEP_3)
	v_and_b32_e32 v72, v72, v73
	v_add_nc_u32_e32 v6, v37, v28
	s_delay_alu instid0(VALU_DEP_2)
	v_cmp_gt_i16_e64 s16, 2, v72
	s_cbranch_vccz .LBB234_164
; %bb.158:
	s_delay_alu instid0(VALU_DEP_1)
	s_and_saveexec_b32 s18, s16
	s_cbranch_execz .LBB234_163
; %bb.159:
	s_mov_b32 s19, 0
	s_mov_b32 s16, exec_lo
	v_cmpx_ne_u16_e32 1, v72
	s_xor_b32 s16, exec_lo, s16
	s_cbranch_execnz .LBB234_229
; %bb.160:
	s_and_not1_saveexec_b32 s16, s16
	s_cbranch_execnz .LBB234_245
.LBB234_161:
	s_or_b32 exec_lo, exec_lo, s16
	s_delay_alu instid0(SALU_CYCLE_1)
	s_and_b32 exec_lo, exec_lo, s19
	s_cbranch_execz .LBB234_163
.LBB234_162:
	v_sub_nc_u32_e32 v73, v6, v5
	v_mov_b32_e32 v74, 0
	s_delay_alu instid0(VALU_DEP_1) | instskip(NEXT) | instid1(VALU_DEP_1)
	v_lshlrev_b64 v[73:74], 2, v[73:74]
	v_add_co_u32 v73, vcc_lo, v70, v73
	s_delay_alu instid0(VALU_DEP_2)
	v_add_co_ci_u32_e32 v74, vcc_lo, v71, v74, vcc_lo
	global_store_b32 v[73:74], v57, off
.LBB234_163:
	s_or_b32 exec_lo, exec_lo, s18
	s_mov_b32 s18, 0
.LBB234_164:
	s_delay_alu instid0(SALU_CYCLE_1)
	s_and_b32 vcc_lo, exec_lo, s18
	s_cbranch_vccz .LBB234_174
; %bb.165:
	s_mov_b32 s16, exec_lo
	v_cmpx_gt_i16_e32 2, v72
	s_cbranch_execz .LBB234_170
; %bb.166:
	s_mov_b32 s19, 0
	s_mov_b32 s18, exec_lo
	v_cmpx_ne_u16_e32 1, v72
	s_xor_b32 s18, exec_lo, s18
	s_cbranch_execnz .LBB234_246
; %bb.167:
	s_and_not1_saveexec_b32 s0, s18
	s_cbranch_execnz .LBB234_262
.LBB234_168:
	s_or_b32 exec_lo, exec_lo, s0
	s_delay_alu instid0(SALU_CYCLE_1)
	s_and_b32 exec_lo, exec_lo, s19
	s_cbranch_execz .LBB234_170
.LBB234_169:
	v_sub_nc_u32_e32 v9, v6, v5
	s_delay_alu instid0(VALU_DEP_1)
	v_lshlrev_b32_e32 v9, 2, v9
	ds_store_b32 v9, v57
.LBB234_170:
	s_or_b32 exec_lo, exec_lo, s16
	s_delay_alu instid0(SALU_CYCLE_1)
	s_mov_b32 s1, exec_lo
	s_waitcnt lgkmcnt(0)
	s_waitcnt_vscnt null, 0x0
	s_barrier
	buffer_gl0_inv
	v_cmpx_lt_u32_e64 v0, v1
	s_cbranch_execz .LBB234_173
; %bb.171:
	v_dual_mov_b32 v10, 0 :: v_dual_lshlrev_b32 v11, 2, v0
	v_mov_b32_e32 v9, v0
	s_mov_b32 s3, 0
	.p2align	6
.LBB234_172:                            ; =>This Inner Loop Header: Depth=1
	ds_load_b32 v14, v11
	v_lshlrev_b64 v[12:13], 2, v[9:10]
	v_add_nc_u32_e32 v9, 0x100, v9
	v_add_nc_u32_e32 v11, 0x400, v11
	s_delay_alu instid0(VALU_DEP_2) | instskip(NEXT) | instid1(VALU_DEP_4)
	v_cmp_ge_u32_e32 vcc_lo, v9, v1
	v_add_co_u32 v12, s0, v70, v12
	s_delay_alu instid0(VALU_DEP_1)
	v_add_co_ci_u32_e64 v13, s0, v71, v13, s0
	s_or_b32 s3, vcc_lo, s3
	s_waitcnt lgkmcnt(0)
	global_store_b32 v[12:13], v14, off
	s_and_not1_b32 exec_lo, exec_lo, s3
	s_cbranch_execnz .LBB234_172
.LBB234_173:
	s_or_b32 exec_lo, exec_lo, s1
.LBB234_174:
	s_cmpk_lg_i32 s26, 0xf00
	v_cndmask_b32_e64 v14, 0, 1, s27
	s_cselect_b32 s0, -1, 0
	v_mad_i32_i24 v11, v0, -15, s26
	s_and_b32 s0, s0, s17
	s_and_b32 s1, s2, s27
	v_cndmask_b32_e64 v10, 0, 1, s0
	s_mul_hi_u32 s0, s26, 0x88888889
	v_sub_nc_u32_e32 v9, v1, v14
	s_lshr_b32 s0, s0, 3
	v_cndmask_b32_e64 v12, v27, 0, s1
	v_cmp_eq_u32_e32 vcc_lo, s0, v0
	v_cmp_ne_u32_e64 s0, 0, v11
	s_mov_b32 s16, -1
	s_waitcnt_vscnt null, 0x0
	s_barrier
	s_and_b32 vcc_lo, vcc_lo, s17
	v_add_nc_u32_e32 v9, v9, v10
	v_cndmask_b32_e64 v10, 1, v12, s0
	v_cmp_ne_u32_e64 s0, 1, v11
	buffer_gl0_inv
	v_cndmask_b32_e32 v18, v12, v10, vcc_lo
	v_cndmask_b32_e64 v13, 1, v50, s0
	v_cmp_ne_u32_e64 s0, 14, v11
	s_delay_alu instid0(VALU_DEP_3) | instskip(NEXT) | instid1(VALU_DEP_2)
	v_cmp_ne_u32_e64 s14, 0, v18
	v_cndmask_b32_e64 v15, 1, v58, s0
	v_cmp_ne_u32_e64 s0, 2, v11
	s_delay_alu instid0(VALU_DEP_2) | instskip(NEXT) | instid1(VALU_DEP_2)
	v_cndmask_b32_e32 v15, v58, v15, vcc_lo
	v_cndmask_b32_e64 v16, 1, v33, s0
	v_cmp_ne_u32_e64 s0, 3, v11
	s_delay_alu instid0(VALU_DEP_2) | instskip(NEXT) | instid1(VALU_DEP_2)
	v_dual_cndmask_b32 v19, v50, v13 :: v_dual_cndmask_b32 v16, v33, v16
	v_cndmask_b32_e64 v17, 1, v34, s0
	v_cmp_ne_u32_e64 s0, 4, v11
	s_delay_alu instid0(VALU_DEP_3) | instskip(NEXT) | instid1(VALU_DEP_4)
	v_cmp_ne_u32_e64 s13, 0, v19
	v_cmp_ne_u32_e64 s12, 0, v16
	s_delay_alu instid0(VALU_DEP_3) | instskip(SKIP_1) | instid1(VALU_DEP_1)
	v_cndmask_b32_e64 v10, 1, v31, s0
	v_cmp_ne_u32_e64 s0, 5, v11
	v_cndmask_b32_e64 v12, 1, v32, s0
	v_cmp_eq_u32_e64 s0, 0, v18
	s_delay_alu instid0(VALU_DEP_2) | instskip(NEXT) | instid1(VALU_DEP_2)
	v_cndmask_b32_e32 v32, v32, v12, vcc_lo
	v_cndmask_b32_e64 v13, 1, 2, s0
	v_cmp_eq_u32_e64 s0, 0, v19
	s_delay_alu instid0(VALU_DEP_3) | instskip(NEXT) | instid1(VALU_DEP_2)
	v_cmp_ne_u32_e64 s9, 0, v32
	v_cndmask_b32_e64 v20, 1, 2, s0
	v_cmp_ne_u32_e64 s0, 6, v11
	s_delay_alu instid0(VALU_DEP_2) | instskip(NEXT) | instid1(VALU_DEP_2)
	v_and_b32_e32 v13, v20, v13
	v_cndmask_b32_e64 v21, 1, v29, s0
	v_cmp_eq_u32_e64 s0, 0, v16
	s_delay_alu instid0(VALU_DEP_2) | instskip(NEXT) | instid1(VALU_DEP_2)
	v_cndmask_b32_e32 v21, v29, v21, vcc_lo
	v_cndmask_b32_e64 v20, 1, 2, s0
	v_cmp_ne_u32_e64 s0, 7, v11
	s_delay_alu instid0(VALU_DEP_1) | instskip(SKIP_1) | instid1(VALU_DEP_2)
	v_cndmask_b32_e64 v22, 1, v30, s0
	v_cmp_ne_u32_e64 s0, 8, v11
	v_dual_cndmask_b32 v22, v30, v22 :: v_dual_and_b32 v13, v13, v20
	v_cndmask_b32_e32 v17, v34, v17, vcc_lo
	s_delay_alu instid0(VALU_DEP_3) | instskip(NEXT) | instid1(VALU_DEP_3)
	v_cndmask_b32_e64 v27, 1, v25, s0
	v_cmp_ne_u32_e64 s7, 0, v22
	s_delay_alu instid0(VALU_DEP_3) | instskip(NEXT) | instid1(VALU_DEP_3)
	v_cmp_eq_u32_e64 s0, 0, v17
	v_cndmask_b32_e32 v25, v25, v27, vcc_lo
	s_delay_alu instid0(VALU_DEP_2) | instskip(SKIP_1) | instid1(VALU_DEP_3)
	v_cndmask_b32_e64 v20, 1, 2, s0
	v_cmp_ne_u32_e64 s0, 9, v11
	v_cmp_ne_u32_e64 s6, 0, v25
	s_delay_alu instid0(VALU_DEP_3) | instskip(NEXT) | instid1(VALU_DEP_3)
	v_dual_cndmask_b32 v31, v31, v10 :: v_dual_and_b32 v12, v13, v20
	v_cndmask_b32_e64 v10, 1, v26, s0
	v_cmp_ne_u32_e64 s11, 0, v17
	s_delay_alu instid0(VALU_DEP_3) | instskip(NEXT) | instid1(VALU_DEP_1)
	v_cmp_eq_u32_e64 s0, 0, v31
	v_cndmask_b32_e64 v13, 1, 2, s0
	v_cmp_ne_u32_e64 s0, 10, v11
	s_delay_alu instid0(VALU_DEP_2) | instskip(NEXT) | instid1(VALU_DEP_2)
	v_and_b32_e32 v12, v12, v13
	v_cndmask_b32_e64 v20, 1, v23, s0
	v_cmp_ne_u32_e64 s0, 12, v11
	v_cmp_ne_u32_e64 s10, 0, v31
	s_delay_alu instid0(VALU_DEP_3) | instskip(NEXT) | instid1(VALU_DEP_3)
	v_cndmask_b32_e32 v20, v23, v20, vcc_lo
	v_cndmask_b32_e64 v33, 1, v59, s0
	v_cmp_eq_u32_e64 s0, 0, v32
	v_cndmask_b32_e32 v23, v26, v10, vcc_lo
	s_delay_alu instid0(VALU_DEP_2) | instskip(SKIP_1) | instid1(VALU_DEP_3)
	v_cndmask_b32_e64 v13, 1, 2, s0
	v_cmp_ne_u32_e64 s0, 13, v11
	v_cmp_ne_u32_e64 s5, 0, v23
	s_delay_alu instid0(VALU_DEP_3) | instskip(NEXT) | instid1(VALU_DEP_3)
	v_and_b32_e32 v12, v12, v13
	v_cndmask_b32_e64 v29, 1, v28, s0
	v_cmp_eq_u32_e64 s0, 0, v21
	s_delay_alu instid0(VALU_DEP_2) | instskip(NEXT) | instid1(VALU_DEP_2)
	v_cndmask_b32_e32 v28, v28, v29, vcc_lo
	v_cndmask_b32_e64 v13, 1, 2, s0
	v_cmp_ne_u32_e64 s0, 11, v11
	s_delay_alu instid0(VALU_DEP_3) | instskip(NEXT) | instid1(VALU_DEP_3)
	v_cmp_ne_u32_e64 s1, 0, v28
	v_and_b32_e32 v12, v12, v13
	s_delay_alu instid0(VALU_DEP_3) | instskip(SKIP_1) | instid1(VALU_DEP_2)
	v_cndmask_b32_e64 v11, 1, v24, s0
	v_cmp_eq_u32_e64 s0, 0, v22
	v_cndmask_b32_e32 v24, v24, v11, vcc_lo
	s_delay_alu instid0(VALU_DEP_2) | instskip(SKIP_2) | instid1(VALU_DEP_4)
	v_cndmask_b32_e64 v13, 1, 2, s0
	v_cmp_ne_u32_e64 s8, 0, v21
	v_cmp_ne_u32_e64 s0, 0, v15
	;; [unrolled: 1-line block ×3, first 2 shown]
	s_delay_alu instid0(VALU_DEP_4)
	v_and_b32_e32 v10, v12, v13
	v_cndmask_b32_e32 v29, v59, v33, vcc_lo
	v_cmp_eq_u32_e32 vcc_lo, 0, v25
	v_cndmask_b32_e64 v11, 1, 2, vcc_lo
	v_add_co_u32 v2, vcc_lo, s28, v2
	v_add_co_ci_u32_e32 v3, vcc_lo, s29, v3, vcc_lo
	s_delay_alu instid0(VALU_DEP_3)
	v_and_b32_e32 v12, v10, v11
	v_cmp_eq_u32_e32 vcc_lo, 0, v23
	v_cmp_ne_u32_e64 s2, 0, v29
	v_cndmask_b32_e64 v13, 1, 2, vcc_lo
	v_add_co_u32 v10, vcc_lo, v2, v35
	v_add_co_ci_u32_e32 v11, vcc_lo, v3, v36, vcc_lo
	v_lshlrev_b32_e32 v2, 2, v14
	s_delay_alu instid0(VALU_DEP_4)
	v_and_b32_e32 v3, v12, v13
	v_cmp_eq_u32_e32 vcc_lo, 0, v20
	v_cmp_ne_u32_e64 s4, 0, v20
	v_cndmask_b32_e64 v12, 1, 2, vcc_lo
	v_add_co_u32 v2, vcc_lo, v2, v10
	v_add_co_ci_u32_e32 v13, vcc_lo, 0, v11, vcc_lo
	v_cmp_eq_u32_e32 vcc_lo, 0, v24
	s_delay_alu instid0(VALU_DEP_4)
	v_and_b32_e32 v3, v3, v12
	v_cndmask_b32_e64 v26, 1, 2, vcc_lo
	v_add_co_u32 v12, vcc_lo, v2, -4
	v_add_co_ci_u32_e32 v13, vcc_lo, -1, v13, vcc_lo
	v_cmp_eq_u32_e32 vcc_lo, 0, v29
	v_add_nc_u32_e32 v2, v5, v14
	v_and_b32_e32 v3, v3, v26
	v_cndmask_b32_e64 v14, 1, 2, vcc_lo
	v_cmp_eq_u32_e32 vcc_lo, 0, v28
	s_delay_alu instid0(VALU_DEP_2) | instskip(SKIP_2) | instid1(VALU_DEP_2)
	v_and_b32_e32 v3, v3, v14
	v_cndmask_b32_e64 v14, 1, 2, vcc_lo
	v_cmp_eq_u32_e32 vcc_lo, 0, v15
	v_and_b32_e32 v3, v3, v14
	v_cndmask_b32_e64 v14, 1, 2, vcc_lo
	v_cmp_gt_u32_e32 vcc_lo, 0x100, v9
	s_delay_alu instid0(VALU_DEP_2) | instskip(NEXT) | instid1(VALU_DEP_1)
	v_and_b32_e32 v3, v3, v14
	v_cmp_gt_i16_e64 s15, 2, v3
	s_cbranch_vccnz .LBB234_178
; %bb.175:
	s_and_b32 vcc_lo, exec_lo, s16
	s_cbranch_vccnz .LBB234_184
.LBB234_176:
	v_cmp_eq_u32_e32 vcc_lo, 0xff, v0
	s_and_b32 s0, vcc_lo, s17
	s_delay_alu instid0(SALU_CYCLE_1)
	s_and_saveexec_b32 s1, s0
	s_cbranch_execnz .LBB234_193
.LBB234_177:
	s_nop 0
	s_sendmsg sendmsg(MSG_DEALLOC_VGPRS)
	s_endpgm
.LBB234_178:
	s_delay_alu instid0(VALU_DEP_1)
	s_and_saveexec_b32 s16, s15
	s_cbranch_execz .LBB234_183
; %bb.179:
	s_mov_b32 s18, 0
	s_mov_b32 s15, exec_lo
	v_cmpx_ne_u16_e32 1, v3
	s_xor_b32 s15, exec_lo, s15
	s_cbranch_execnz .LBB234_263
; %bb.180:
	s_and_not1_saveexec_b32 s15, s15
	s_cbranch_execnz .LBB234_279
.LBB234_181:
	s_or_b32 exec_lo, exec_lo, s15
	s_delay_alu instid0(SALU_CYCLE_1)
	s_and_b32 exec_lo, exec_lo, s18
	s_cbranch_execz .LBB234_183
.LBB234_182:
	v_sub_nc_u32_e32 v14, v6, v2
	v_mov_b32_e32 v15, 0
	s_delay_alu instid0(VALU_DEP_1) | instskip(NEXT) | instid1(VALU_DEP_1)
	v_lshlrev_b64 v[14:15], 2, v[14:15]
	v_add_co_u32 v14, vcc_lo, v12, v14
	s_delay_alu instid0(VALU_DEP_2)
	v_add_co_ci_u32_e32 v15, vcc_lo, v13, v15, vcc_lo
	global_store_b32 v[14:15], v56, off
.LBB234_183:
	s_or_b32 exec_lo, exec_lo, s16
	s_branch .LBB234_176
.LBB234_184:
	s_mov_b32 s15, exec_lo
	v_cmpx_gt_i16_e32 2, v3
	s_cbranch_execz .LBB234_189
; %bb.185:
	s_mov_b32 s18, 0
	s_mov_b32 s16, exec_lo
	v_cmpx_ne_u16_e32 1, v3
	s_xor_b32 s16, exec_lo, s16
	s_cbranch_execnz .LBB234_280
; %bb.186:
	s_and_not1_saveexec_b32 s0, s16
	s_cbranch_execnz .LBB234_296
.LBB234_187:
	s_or_b32 exec_lo, exec_lo, s0
	s_delay_alu instid0(SALU_CYCLE_1)
	s_and_b32 exec_lo, exec_lo, s18
	s_cbranch_execz .LBB234_189
.LBB234_188:
	v_sub_nc_u32_e32 v2, v6, v2
	s_delay_alu instid0(VALU_DEP_1)
	v_lshlrev_b32_e32 v2, 2, v2
	ds_store_b32 v2, v56
.LBB234_189:
	s_or_b32 exec_lo, exec_lo, s15
	s_delay_alu instid0(SALU_CYCLE_1)
	s_mov_b32 s1, exec_lo
	s_waitcnt lgkmcnt(0)
	s_waitcnt_vscnt null, 0x0
	s_barrier
	buffer_gl0_inv
	v_cmpx_lt_u32_e64 v0, v9
	s_cbranch_execz .LBB234_192
; %bb.190:
	v_dual_mov_b32 v3, 0 :: v_dual_lshlrev_b32 v4, 2, v0
	v_mov_b32_e32 v2, v0
	s_mov_b32 s2, 0
	.p2align	6
.LBB234_191:                            ; =>This Inner Loop Header: Depth=1
	ds_load_b32 v6, v4
	v_lshlrev_b64 v[14:15], 2, v[2:3]
	v_add_nc_u32_e32 v2, 0x100, v2
	v_add_nc_u32_e32 v4, 0x400, v4
	s_delay_alu instid0(VALU_DEP_2) | instskip(NEXT) | instid1(VALU_DEP_4)
	v_cmp_ge_u32_e32 vcc_lo, v2, v9
	v_add_co_u32 v14, s0, v12, v14
	s_delay_alu instid0(VALU_DEP_1)
	v_add_co_ci_u32_e64 v15, s0, v13, v15, s0
	s_or_b32 s2, vcc_lo, s2
	s_waitcnt lgkmcnt(0)
	global_store_b32 v[14:15], v6, off
	s_and_not1_b32 exec_lo, exec_lo, s2
	s_cbranch_execnz .LBB234_191
.LBB234_192:
	s_or_b32 exec_lo, exec_lo, s1
	v_cmp_eq_u32_e32 vcc_lo, 0xff, v0
	s_and_b32 s0, vcc_lo, s17
	s_delay_alu instid0(SALU_CYCLE_1)
	s_and_saveexec_b32 s1, s0
	s_cbranch_execz .LBB234_177
.LBB234_193:
	v_add_co_u32 v0, s0, v1, v5
	s_delay_alu instid0(VALU_DEP_1) | instskip(SKIP_1) | instid1(VALU_DEP_3)
	v_add_co_ci_u32_e64 v4, null, 0, 0, s0
	v_mov_b32_e32 v2, 0
	v_add_co_u32 v3, vcc_lo, v0, v7
	s_delay_alu instid0(VALU_DEP_3)
	v_add_co_ci_u32_e32 v4, vcc_lo, v4, v8, vcc_lo
	s_cmpk_lg_i32 s26, 0xf00
	global_store_b64 v2, v[3:4], s[30:31]
	s_cbranch_scc1 .LBB234_177
; %bb.194:
	v_lshlrev_b64 v[0:1], 2, v[1:2]
	s_delay_alu instid0(VALU_DEP_1) | instskip(NEXT) | instid1(VALU_DEP_2)
	v_add_co_u32 v0, vcc_lo, v10, v0
	v_add_co_ci_u32_e32 v1, vcc_lo, v11, v1, vcc_lo
	global_store_b32 v[0:1], v49, off offset:-4
	s_nop 0
	s_sendmsg sendmsg(MSG_DEALLOC_VGPRS)
	s_endpgm
.LBB234_195:
                                        ; implicit-def: $sgpr4
                                        ; implicit-def: $vgpr58
                                        ; implicit-def: $vgpr2
                                        ; implicit-def: $vgpr59
                                        ; implicit-def: $vgpr24
                                        ; implicit-def: $vgpr23
                                        ; implicit-def: $vgpr26
                                        ; implicit-def: $vgpr25
                                        ; implicit-def: $vgpr30
                                        ; implicit-def: $vgpr29
                                        ; implicit-def: $vgpr32
                                        ; implicit-def: $vgpr31
                                        ; implicit-def: $vgpr34
                                        ; implicit-def: $vgpr33
                                        ; implicit-def: $vgpr50
	s_cbranch_execz .LBB234_114
.LBB234_196:
	v_dual_mov_b32 v28, 0 :: v_dual_lshlrev_b32 v1, 2, v0
	v_mov_b32_e32 v58, 0
	s_mov_b32 s4, exec_lo
	ds_store_b32 v1, v57
	v_cmpx_gt_u64_e64 s[0:1], v[27:28]
	s_cbranch_execz .LBB234_198
; %bb.197:
	v_cvt_i32_f32_e32 v2, v10
	v_cvt_i32_f32_e32 v4, v57
	s_delay_alu instid0(VALU_DEP_2) | instskip(NEXT) | instid1(VALU_DEP_2)
	v_mul_hi_i32 v2, 0x66666667, v2
	v_mul_hi_i32 v4, 0x66666667, v4
	s_waitcnt lgkmcnt(1)
	s_delay_alu instid0(VALU_DEP_2) | instskip(SKIP_1) | instid1(VALU_DEP_3)
	v_lshrrev_b32_e32 v5, 31, v2
	v_ashrrev_i32_e32 v2, 2, v2
	v_lshrrev_b32_e32 v6, 31, v4
	v_ashrrev_i32_e32 v4, 2, v4
	s_delay_alu instid0(VALU_DEP_3) | instskip(NEXT) | instid1(VALU_DEP_2)
	v_add_nc_u32_e32 v2, v2, v5
	v_add_nc_u32_e32 v4, v4, v6
	s_delay_alu instid0(VALU_DEP_1)
	v_cmp_ne_u32_e32 vcc_lo, v2, v4
	v_cndmask_b32_e64 v58, 0, 1, vcc_lo
.LBB234_198:
	s_or_b32 exec_lo, exec_lo, s4
	v_add_nc_u32_e32 v27, 13, v3
	s_mov_b32 s4, exec_lo
	s_delay_alu instid0(VALU_DEP_1)
	v_cmpx_gt_u64_e64 s[0:1], v[27:28]
	s_cbranch_execz .LBB234_200
; %bb.199:
	v_cvt_i32_f32_e32 v2, v9
	v_cvt_i32_f32_e32 v4, v10
	s_delay_alu instid0(VALU_DEP_2) | instskip(NEXT) | instid1(VALU_DEP_2)
	v_mul_hi_i32 v2, 0x66666667, v2
	v_mul_hi_i32 v4, 0x66666667, v4
	s_waitcnt lgkmcnt(1)
	s_delay_alu instid0(VALU_DEP_2) | instskip(SKIP_1) | instid1(VALU_DEP_3)
	v_lshrrev_b32_e32 v5, 31, v2
	v_ashrrev_i32_e32 v2, 2, v2
	v_lshrrev_b32_e32 v6, 31, v4
	v_ashrrev_i32_e32 v4, 2, v4
	s_delay_alu instid0(VALU_DEP_3) | instskip(NEXT) | instid1(VALU_DEP_2)
	v_add_nc_u32_e32 v2, v2, v5
	v_add_nc_u32_e32 v4, v4, v6
	s_delay_alu instid0(VALU_DEP_1)
	v_cmp_ne_u32_e32 vcc_lo, v2, v4
	v_cndmask_b32_e64 v28, 0, 1, vcc_lo
.LBB234_200:
	s_or_b32 exec_lo, exec_lo, s4
	v_dual_mov_b32 v24, 0 :: v_dual_add_nc_u32 v23, 12, v3
	v_mov_b32_e32 v59, 0
	s_mov_b32 s4, exec_lo
	s_delay_alu instid0(VALU_DEP_2)
	v_cmpx_gt_u64_e64 s[0:1], v[23:24]
	s_cbranch_execz .LBB234_202
; %bb.201:
	v_cvt_i32_f32_e32 v2, v12
	v_cvt_i32_f32_e32 v4, v9
	s_delay_alu instid0(VALU_DEP_2) | instskip(NEXT) | instid1(VALU_DEP_2)
	v_mul_hi_i32 v2, 0x66666667, v2
	v_mul_hi_i32 v4, 0x66666667, v4
	s_waitcnt lgkmcnt(1)
	s_delay_alu instid0(VALU_DEP_2) | instskip(SKIP_1) | instid1(VALU_DEP_3)
	v_lshrrev_b32_e32 v5, 31, v2
	v_ashrrev_i32_e32 v2, 2, v2
	v_lshrrev_b32_e32 v6, 31, v4
	v_ashrrev_i32_e32 v4, 2, v4
	s_delay_alu instid0(VALU_DEP_3) | instskip(NEXT) | instid1(VALU_DEP_2)
	v_add_nc_u32_e32 v2, v2, v5
	v_add_nc_u32_e32 v4, v4, v6
	s_delay_alu instid0(VALU_DEP_1)
	v_cmp_ne_u32_e32 vcc_lo, v2, v4
	v_cndmask_b32_e64 v59, 0, 1, vcc_lo
.LBB234_202:
	s_or_b32 exec_lo, exec_lo, s4
	v_add_nc_u32_e32 v23, 11, v3
	s_mov_b32 s4, exec_lo
	s_delay_alu instid0(VALU_DEP_1)
	v_cmpx_gt_u64_e64 s[0:1], v[23:24]
	s_cbranch_execz .LBB234_204
; %bb.203:
	v_cvt_i32_f32_e32 v2, v11
	v_cvt_i32_f32_e32 v4, v12
	s_delay_alu instid0(VALU_DEP_2) | instskip(NEXT) | instid1(VALU_DEP_2)
	v_mul_hi_i32 v2, 0x66666667, v2
	v_mul_hi_i32 v4, 0x66666667, v4
	s_waitcnt lgkmcnt(1)
	s_delay_alu instid0(VALU_DEP_2) | instskip(SKIP_1) | instid1(VALU_DEP_3)
	v_lshrrev_b32_e32 v5, 31, v2
	v_ashrrev_i32_e32 v2, 2, v2
	v_lshrrev_b32_e32 v6, 31, v4
	v_ashrrev_i32_e32 v4, 2, v4
	s_delay_alu instid0(VALU_DEP_3) | instskip(NEXT) | instid1(VALU_DEP_2)
	v_add_nc_u32_e32 v2, v2, v5
	v_add_nc_u32_e32 v4, v4, v6
	s_delay_alu instid0(VALU_DEP_1)
	v_cmp_ne_u32_e32 vcc_lo, v2, v4
	v_cndmask_b32_e64 v24, 0, 1, vcc_lo
.LBB234_204:
	s_or_b32 exec_lo, exec_lo, s4
	v_dual_mov_b32 v26, 0 :: v_dual_add_nc_u32 v25, 10, v3
	v_mov_b32_e32 v23, 0
	s_mov_b32 s4, exec_lo
	s_delay_alu instid0(VALU_DEP_2)
	;; [unrolled: 51-line block ×6, first 2 shown]
	v_cmpx_gt_u64_e64 s[0:1], v[49:50]
	s_cbranch_execz .LBB234_222
; %bb.221:
	v_cvt_i32_f32_e32 v2, v22
	v_cvt_i32_f32_e32 v4, v19
	s_delay_alu instid0(VALU_DEP_2) | instskip(NEXT) | instid1(VALU_DEP_2)
	v_mul_hi_i32 v2, 0x66666667, v2
	v_mul_hi_i32 v4, 0x66666667, v4
	s_waitcnt lgkmcnt(1)
	s_delay_alu instid0(VALU_DEP_2) | instskip(SKIP_1) | instid1(VALU_DEP_3)
	v_lshrrev_b32_e32 v5, 31, v2
	v_ashrrev_i32_e32 v2, 2, v2
	v_lshrrev_b32_e32 v6, 31, v4
	v_ashrrev_i32_e32 v4, 2, v4
	s_delay_alu instid0(VALU_DEP_3) | instskip(NEXT) | instid1(VALU_DEP_2)
	v_add_nc_u32_e32 v2, v2, v5
	v_add_nc_u32_e32 v4, v4, v6
	s_delay_alu instid0(VALU_DEP_1)
	v_cmp_ne_u32_e32 vcc_lo, v2, v4
	v_cndmask_b32_e64 v33, 0, 1, vcc_lo
.LBB234_222:
	s_or_b32 exec_lo, exec_lo, s4
	v_add_nc_u32_e32 v49, 1, v3
	s_mov_b32 s4, exec_lo
	s_delay_alu instid0(VALU_DEP_1)
	v_cmpx_gt_u64_e64 s[0:1], v[49:50]
	s_cbranch_execz .LBB234_224
; %bb.223:
	v_cvt_i32_f32_e32 v2, v21
	v_cvt_i32_f32_e32 v4, v22
	s_delay_alu instid0(VALU_DEP_2) | instskip(NEXT) | instid1(VALU_DEP_2)
	v_mul_hi_i32 v2, 0x66666667, v2
	v_mul_hi_i32 v4, 0x66666667, v4
	s_waitcnt lgkmcnt(1)
	s_delay_alu instid0(VALU_DEP_2) | instskip(SKIP_1) | instid1(VALU_DEP_3)
	v_lshrrev_b32_e32 v5, 31, v2
	v_ashrrev_i32_e32 v2, 2, v2
	v_lshrrev_b32_e32 v6, 31, v4
	v_ashrrev_i32_e32 v4, 2, v4
	s_delay_alu instid0(VALU_DEP_3) | instskip(NEXT) | instid1(VALU_DEP_2)
	v_add_nc_u32_e32 v2, v2, v5
	v_add_nc_u32_e32 v4, v4, v6
	s_delay_alu instid0(VALU_DEP_1)
	v_cmp_ne_u32_e32 vcc_lo, v2, v4
	v_cndmask_b32_e64 v50, 0, 1, vcc_lo
.LBB234_224:
	s_or_b32 exec_lo, exec_lo, s4
	s_waitcnt lgkmcnt(0)
	s_barrier
	buffer_gl0_inv
                                        ; implicit-def: $sgpr4
	s_and_saveexec_b32 s5, s3
	s_cbranch_execz .LBB234_228
; %bb.225:
	v_mov_b32_e32 v4, 0
	s_delay_alu instid0(VALU_DEP_1)
	v_cmp_gt_u64_e32 vcc_lo, s[0:1], v[3:4]
	s_mov_b32 s1, 0
	s_and_saveexec_b32 s0, vcc_lo
	s_cbranch_execz .LBB234_227
; %bb.226:
	v_add_nc_u32_e32 v1, -4, v1
	v_cvt_i32_f32_e32 v2, v21
	ds_load_b32 v1, v1
	v_mul_hi_i32 v2, 0x66666667, v2
	s_delay_alu instid0(VALU_DEP_1) | instskip(SKIP_1) | instid1(VALU_DEP_1)
	v_lshrrev_b32_e32 v3, 31, v2
	v_ashrrev_i32_e32 v2, 2, v2
	v_add_nc_u32_e32 v2, v2, v3
	s_waitcnt lgkmcnt(0)
	v_cvt_i32_f32_e32 v1, v1
	s_delay_alu instid0(VALU_DEP_1) | instskip(NEXT) | instid1(VALU_DEP_1)
	v_mul_hi_i32 v1, 0x66666667, v1
	v_lshrrev_b32_e32 v4, 31, v1
	v_ashrrev_i32_e32 v1, 2, v1
	s_delay_alu instid0(VALU_DEP_1) | instskip(NEXT) | instid1(VALU_DEP_1)
	v_add_nc_u32_e32 v1, v1, v4
	v_cmp_ne_u32_e32 vcc_lo, v1, v2
	s_and_b32 s1, vcc_lo, exec_lo
.LBB234_227:
	s_or_b32 exec_lo, exec_lo, s0
	s_delay_alu instid0(SALU_CYCLE_1)
	s_and_b32 s4, s1, exec_lo
	s_or_b32 s15, s15, exec_lo
.LBB234_228:
	s_or_b32 exec_lo, exec_lo, s5
	v_mov_b32_e32 v2, v28
	s_mov_b32 s0, 1
	s_delay_alu instid0(SALU_CYCLE_1)
	v_mov_b32_e32 v27, s0
	s_and_saveexec_b32 s0, s15
	s_cbranch_execnz .LBB234_116
	s_branch .LBB234_117
.LBB234_229:
	s_and_saveexec_b32 s19, s13
	s_cbranch_execnz .LBB234_297
; %bb.230:
	s_or_b32 exec_lo, exec_lo, s19
	s_and_saveexec_b32 s19, s12
	s_cbranch_execnz .LBB234_298
.LBB234_231:
	s_or_b32 exec_lo, exec_lo, s19
	s_and_saveexec_b32 s19, s10
	s_cbranch_execnz .LBB234_299
.LBB234_232:
	s_or_b32 exec_lo, exec_lo, s19
	s_and_saveexec_b32 s19, s9
	s_cbranch_execnz .LBB234_300
.LBB234_233:
	s_or_b32 exec_lo, exec_lo, s19
	s_and_saveexec_b32 s19, s15
	s_cbranch_execnz .LBB234_301
.LBB234_234:
	s_or_b32 exec_lo, exec_lo, s19
	s_and_saveexec_b32 s19, s14
	s_cbranch_execnz .LBB234_302
.LBB234_235:
	s_or_b32 exec_lo, exec_lo, s19
	s_and_saveexec_b32 s19, s11
	s_cbranch_execnz .LBB234_303
.LBB234_236:
	s_or_b32 exec_lo, exec_lo, s19
	s_and_saveexec_b32 s19, s8
	s_cbranch_execnz .LBB234_304
.LBB234_237:
	s_or_b32 exec_lo, exec_lo, s19
	s_and_saveexec_b32 s19, s7
	s_cbranch_execnz .LBB234_305
.LBB234_238:
	s_or_b32 exec_lo, exec_lo, s19
	s_and_saveexec_b32 s19, s6
	s_cbranch_execnz .LBB234_306
.LBB234_239:
	s_or_b32 exec_lo, exec_lo, s19
	s_and_saveexec_b32 s19, s5
	s_cbranch_execnz .LBB234_307
.LBB234_240:
	s_or_b32 exec_lo, exec_lo, s19
	s_and_saveexec_b32 s19, s4
	s_cbranch_execnz .LBB234_308
.LBB234_241:
	s_or_b32 exec_lo, exec_lo, s19
	s_and_saveexec_b32 s19, s3
	s_cbranch_execnz .LBB234_309
.LBB234_242:
	s_or_b32 exec_lo, exec_lo, s19
	s_and_saveexec_b32 s19, s1
	s_cbranch_execz .LBB234_244
.LBB234_243:
	v_sub_nc_u32_e32 v73, v37, v5
	v_mov_b32_e32 v74, 0
	s_delay_alu instid0(VALU_DEP_1) | instskip(NEXT) | instid1(VALU_DEP_1)
	v_lshlrev_b64 v[73:74], 2, v[73:74]
	v_add_co_u32 v73, vcc_lo, v70, v73
	s_delay_alu instid0(VALU_DEP_2)
	v_add_co_ci_u32_e32 v74, vcc_lo, v71, v74, vcc_lo
	global_store_b32 v[73:74], v10, off
.LBB234_244:
	s_or_b32 exec_lo, exec_lo, s19
	s_delay_alu instid0(SALU_CYCLE_1)
	s_and_b32 s19, s0, exec_lo
	s_and_not1_saveexec_b32 s16, s16
	s_cbranch_execz .LBB234_161
.LBB234_245:
	v_sub_nc_u32_e32 v73, v4, v5
	v_mov_b32_e32 v74, 0
	s_or_b32 s19, s19, exec_lo
	s_delay_alu instid0(VALU_DEP_1) | instskip(SKIP_1) | instid1(VALU_DEP_1)
	v_lshlrev_b64 v[75:76], 2, v[73:74]
	v_sub_nc_u32_e32 v73, v47, v5
	v_lshlrev_b64 v[77:78], 2, v[73:74]
	v_sub_nc_u32_e32 v73, v60, v5
	s_delay_alu instid0(VALU_DEP_4) | instskip(SKIP_1) | instid1(VALU_DEP_3)
	v_add_co_u32 v75, vcc_lo, v70, v75
	v_add_co_ci_u32_e32 v76, vcc_lo, v71, v76, vcc_lo
	v_lshlrev_b64 v[79:80], 2, v[73:74]
	v_sub_nc_u32_e32 v73, v48, v5
	v_add_co_u32 v77, vcc_lo, v70, v77
	v_add_co_ci_u32_e32 v78, vcc_lo, v71, v78, vcc_lo
	global_store_b32 v[75:76], v21, off
	v_lshlrev_b64 v[75:76], 2, v[73:74]
	v_sub_nc_u32_e32 v73, v46, v5
	global_store_b32 v[77:78], v22, off
	v_add_co_u32 v77, vcc_lo, v70, v79
	v_add_co_ci_u32_e32 v78, vcc_lo, v71, v80, vcc_lo
	v_lshlrev_b64 v[79:80], 2, v[73:74]
	v_sub_nc_u32_e32 v73, v45, v5
	v_add_co_u32 v75, vcc_lo, v70, v75
	v_add_co_ci_u32_e32 v76, vcc_lo, v71, v76, vcc_lo
	s_delay_alu instid0(VALU_DEP_3) | instskip(SKIP_3) | instid1(VALU_DEP_3)
	v_lshlrev_b64 v[81:82], 2, v[73:74]
	v_sub_nc_u32_e32 v73, v44, v5
	v_add_co_u32 v79, vcc_lo, v70, v79
	v_add_co_ci_u32_e32 v80, vcc_lo, v71, v80, vcc_lo
	v_lshlrev_b64 v[83:84], 2, v[73:74]
	v_sub_nc_u32_e32 v73, v43, v5
	v_add_co_u32 v81, vcc_lo, v70, v81
	v_add_co_ci_u32_e32 v82, vcc_lo, v71, v82, vcc_lo
	s_clause 0x3
	global_store_b32 v[77:78], v19, off
	global_store_b32 v[75:76], v20, off
	;; [unrolled: 1-line block ×4, first 2 shown]
	v_lshlrev_b64 v[75:76], 2, v[73:74]
	v_sub_nc_u32_e32 v73, v42, v5
	v_add_co_u32 v77, vcc_lo, v70, v83
	v_add_co_ci_u32_e32 v78, vcc_lo, v71, v84, vcc_lo
	s_delay_alu instid0(VALU_DEP_3) | instskip(SKIP_3) | instid1(VALU_DEP_3)
	v_lshlrev_b64 v[79:80], 2, v[73:74]
	v_sub_nc_u32_e32 v73, v41, v5
	v_add_co_u32 v75, vcc_lo, v70, v75
	v_add_co_ci_u32_e32 v76, vcc_lo, v71, v76, vcc_lo
	v_lshlrev_b64 v[81:82], 2, v[73:74]
	v_sub_nc_u32_e32 v73, v40, v5
	v_add_co_u32 v79, vcc_lo, v70, v79
	v_add_co_ci_u32_e32 v80, vcc_lo, v71, v80, vcc_lo
	s_delay_alu instid0(VALU_DEP_3)
	v_lshlrev_b64 v[83:84], 2, v[73:74]
	v_sub_nc_u32_e32 v73, v39, v5
	v_add_co_u32 v81, vcc_lo, v70, v81
	v_add_co_ci_u32_e32 v82, vcc_lo, v71, v82, vcc_lo
	s_clause 0x3
	global_store_b32 v[77:78], v15, off
	global_store_b32 v[75:76], v16, off
	;; [unrolled: 1-line block ×4, first 2 shown]
	v_lshlrev_b64 v[75:76], 2, v[73:74]
	v_sub_nc_u32_e32 v73, v38, v5
	v_add_co_u32 v77, vcc_lo, v70, v83
	v_add_co_ci_u32_e32 v78, vcc_lo, v71, v84, vcc_lo
	s_delay_alu instid0(VALU_DEP_3) | instskip(SKIP_3) | instid1(VALU_DEP_3)
	v_lshlrev_b64 v[79:80], 2, v[73:74]
	v_sub_nc_u32_e32 v73, v37, v5
	v_add_co_u32 v75, vcc_lo, v70, v75
	v_add_co_ci_u32_e32 v76, vcc_lo, v71, v76, vcc_lo
	v_lshlrev_b64 v[73:74], 2, v[73:74]
	v_add_co_u32 v79, vcc_lo, v70, v79
	v_add_co_ci_u32_e32 v80, vcc_lo, v71, v80, vcc_lo
	s_clause 0x2
	global_store_b32 v[77:78], v11, off
	global_store_b32 v[75:76], v12, off
	;; [unrolled: 1-line block ×3, first 2 shown]
	v_add_co_u32 v73, vcc_lo, v70, v73
	v_add_co_ci_u32_e32 v74, vcc_lo, v71, v74, vcc_lo
	global_store_b32 v[73:74], v10, off
	s_or_b32 exec_lo, exec_lo, s16
	s_delay_alu instid0(SALU_CYCLE_1)
	s_and_b32 exec_lo, exec_lo, s19
	s_cbranch_execnz .LBB234_162
	s_branch .LBB234_163
.LBB234_246:
	s_and_saveexec_b32 s19, s13
	s_cbranch_execnz .LBB234_310
; %bb.247:
	s_or_b32 exec_lo, exec_lo, s19
	s_and_saveexec_b32 s13, s12
	s_cbranch_execnz .LBB234_311
.LBB234_248:
	s_or_b32 exec_lo, exec_lo, s13
	s_and_saveexec_b32 s12, s10
	s_cbranch_execnz .LBB234_312
.LBB234_249:
	s_or_b32 exec_lo, exec_lo, s12
	s_and_saveexec_b32 s10, s9
	s_cbranch_execnz .LBB234_313
.LBB234_250:
	s_or_b32 exec_lo, exec_lo, s10
	s_and_saveexec_b32 s9, s15
	s_cbranch_execnz .LBB234_314
.LBB234_251:
	s_or_b32 exec_lo, exec_lo, s9
	s_and_saveexec_b32 s9, s14
	s_cbranch_execnz .LBB234_315
.LBB234_252:
	s_or_b32 exec_lo, exec_lo, s9
	s_and_saveexec_b32 s9, s11
	s_cbranch_execnz .LBB234_316
.LBB234_253:
	s_or_b32 exec_lo, exec_lo, s9
	s_and_saveexec_b32 s9, s8
	s_cbranch_execnz .LBB234_317
.LBB234_254:
	s_or_b32 exec_lo, exec_lo, s9
	s_and_saveexec_b32 s8, s7
	s_cbranch_execnz .LBB234_318
.LBB234_255:
	s_or_b32 exec_lo, exec_lo, s8
	s_and_saveexec_b32 s7, s6
	s_cbranch_execnz .LBB234_319
.LBB234_256:
	s_or_b32 exec_lo, exec_lo, s7
	s_and_saveexec_b32 s6, s5
	s_cbranch_execnz .LBB234_320
.LBB234_257:
	s_or_b32 exec_lo, exec_lo, s6
	s_and_saveexec_b32 s5, s4
	s_cbranch_execnz .LBB234_321
.LBB234_258:
	s_or_b32 exec_lo, exec_lo, s5
	s_and_saveexec_b32 s4, s3
	s_cbranch_execnz .LBB234_322
.LBB234_259:
	s_or_b32 exec_lo, exec_lo, s4
	s_and_saveexec_b32 s3, s1
	s_cbranch_execz .LBB234_261
.LBB234_260:
	v_sub_nc_u32_e32 v9, v37, v5
	s_delay_alu instid0(VALU_DEP_1)
	v_lshlrev_b32_e32 v9, 2, v9
	ds_store_b32 v9, v10
.LBB234_261:
	s_or_b32 exec_lo, exec_lo, s3
	s_delay_alu instid0(SALU_CYCLE_1)
	s_and_b32 s19, s0, exec_lo
                                        ; implicit-def: $vgpr21
                                        ; implicit-def: $vgpr19
                                        ; implicit-def: $vgpr17
                                        ; implicit-def: $vgpr15
                                        ; implicit-def: $vgpr13
                                        ; implicit-def: $vgpr11
                                        ; implicit-def: $vgpr9
	s_and_not1_saveexec_b32 s0, s18
	s_cbranch_execz .LBB234_168
.LBB234_262:
	v_sub_nc_u32_e32 v72, v4, v5
	v_sub_nc_u32_e32 v75, v48, v5
	;; [unrolled: 1-line block ×4, first 2 shown]
	s_or_b32 s19, s19, exec_lo
	v_lshlrev_b32_e32 v72, 2, v72
	v_lshlrev_b32_e32 v75, 2, v75
	;; [unrolled: 1-line block ×4, first 2 shown]
	ds_store_b32 v72, v21
	ds_store_b32 v73, v22
	;; [unrolled: 1-line block ×3, first 2 shown]
	v_sub_nc_u32_e32 v19, v46, v5
	ds_store_b32 v75, v20
	v_sub_nc_u32_e32 v20, v45, v5
	v_sub_nc_u32_e32 v21, v44, v5
	;; [unrolled: 1-line block ×3, first 2 shown]
	v_lshlrev_b32_e32 v19, 2, v19
	v_sub_nc_u32_e32 v72, v42, v5
	v_lshlrev_b32_e32 v20, 2, v20
	v_lshlrev_b32_e32 v21, 2, v21
	;; [unrolled: 1-line block ×3, first 2 shown]
	ds_store_b32 v19, v17
	v_lshlrev_b32_e32 v17, 2, v72
	ds_store_b32 v20, v18
	ds_store_b32 v21, v15
	;; [unrolled: 1-line block ×3, first 2 shown]
	v_sub_nc_u32_e32 v15, v41, v5
	v_sub_nc_u32_e32 v18, v37, v5
	;; [unrolled: 1-line block ×3, first 2 shown]
	ds_store_b32 v17, v13
	v_sub_nc_u32_e32 v13, v40, v5
	v_lshlrev_b32_e32 v15, 2, v15
	v_sub_nc_u32_e32 v17, v38, v5
	v_lshlrev_b32_e32 v16, 2, v16
	s_delay_alu instid0(VALU_DEP_4)
	v_lshlrev_b32_e32 v13, 2, v13
	ds_store_b32 v15, v14
	v_lshlrev_b32_e32 v14, 2, v18
	v_lshlrev_b32_e32 v17, 2, v17
	ds_store_b32 v13, v11
	ds_store_b32 v16, v12
	ds_store_b32 v17, v9
	ds_store_b32 v14, v10
	s_or_b32 exec_lo, exec_lo, s0
	s_delay_alu instid0(SALU_CYCLE_1)
	s_and_b32 exec_lo, exec_lo, s19
	s_cbranch_execnz .LBB234_169
	s_branch .LBB234_170
.LBB234_263:
	s_and_saveexec_b32 s18, s14
	s_cbranch_execnz .LBB234_323
; %bb.264:
	s_or_b32 exec_lo, exec_lo, s18
	s_and_saveexec_b32 s18, s13
	s_cbranch_execnz .LBB234_324
.LBB234_265:
	s_or_b32 exec_lo, exec_lo, s18
	s_and_saveexec_b32 s18, s12
	s_cbranch_execnz .LBB234_325
.LBB234_266:
	s_or_b32 exec_lo, exec_lo, s18
	s_and_saveexec_b32 s18, s11
	s_cbranch_execnz .LBB234_326
.LBB234_267:
	s_or_b32 exec_lo, exec_lo, s18
	s_and_saveexec_b32 s18, s10
	s_cbranch_execnz .LBB234_327
.LBB234_268:
	s_or_b32 exec_lo, exec_lo, s18
	s_and_saveexec_b32 s18, s9
	s_cbranch_execnz .LBB234_328
.LBB234_269:
	s_or_b32 exec_lo, exec_lo, s18
	s_and_saveexec_b32 s18, s8
	s_cbranch_execnz .LBB234_329
.LBB234_270:
	s_or_b32 exec_lo, exec_lo, s18
	s_and_saveexec_b32 s18, s7
	s_cbranch_execnz .LBB234_330
.LBB234_271:
	s_or_b32 exec_lo, exec_lo, s18
	s_and_saveexec_b32 s18, s6
	s_cbranch_execnz .LBB234_331
.LBB234_272:
	s_or_b32 exec_lo, exec_lo, s18
	s_and_saveexec_b32 s18, s5
	s_cbranch_execnz .LBB234_332
.LBB234_273:
	s_or_b32 exec_lo, exec_lo, s18
	s_and_saveexec_b32 s18, s4
	s_cbranch_execnz .LBB234_333
.LBB234_274:
	s_or_b32 exec_lo, exec_lo, s18
	s_and_saveexec_b32 s18, s3
	s_cbranch_execnz .LBB234_334
.LBB234_275:
	s_or_b32 exec_lo, exec_lo, s18
	s_and_saveexec_b32 s18, s2
	s_cbranch_execnz .LBB234_335
.LBB234_276:
	s_or_b32 exec_lo, exec_lo, s18
	s_and_saveexec_b32 s18, s1
	s_cbranch_execz .LBB234_278
.LBB234_277:
	v_sub_nc_u32_e32 v14, v37, v2
	v_mov_b32_e32 v15, 0
	s_delay_alu instid0(VALU_DEP_1) | instskip(NEXT) | instid1(VALU_DEP_1)
	v_lshlrev_b64 v[14:15], 2, v[14:15]
	v_add_co_u32 v14, vcc_lo, v12, v14
	s_delay_alu instid0(VALU_DEP_2)
	v_add_co_ci_u32_e32 v15, vcc_lo, v13, v15, vcc_lo
	global_store_b32 v[14:15], v51, off
.LBB234_278:
	s_or_b32 exec_lo, exec_lo, s18
	s_delay_alu instid0(SALU_CYCLE_1)
	s_and_b32 s18, s0, exec_lo
	s_and_not1_saveexec_b32 s15, s15
	s_cbranch_execz .LBB234_181
.LBB234_279:
	v_sub_nc_u32_e32 v14, v4, v2
	v_mov_b32_e32 v15, 0
	s_or_b32 s18, s18, exec_lo
	s_delay_alu instid0(VALU_DEP_1) | instskip(SKIP_1) | instid1(VALU_DEP_1)
	v_lshlrev_b64 v[16:17], 2, v[14:15]
	v_sub_nc_u32_e32 v14, v47, v2
	v_lshlrev_b64 v[18:19], 2, v[14:15]
	v_sub_nc_u32_e32 v14, v60, v2
	s_delay_alu instid0(VALU_DEP_4) | instskip(SKIP_1) | instid1(VALU_DEP_3)
	v_add_co_u32 v16, vcc_lo, v12, v16
	v_add_co_ci_u32_e32 v17, vcc_lo, v13, v17, vcc_lo
	v_lshlrev_b64 v[20:21], 2, v[14:15]
	v_sub_nc_u32_e32 v14, v48, v2
	v_add_co_u32 v18, vcc_lo, v12, v18
	v_add_co_ci_u32_e32 v19, vcc_lo, v13, v19, vcc_lo
	global_store_b32 v[16:17], v69, off
	v_lshlrev_b64 v[16:17], 2, v[14:15]
	v_sub_nc_u32_e32 v14, v46, v2
	global_store_b32 v[18:19], v68, off
	v_add_co_u32 v18, vcc_lo, v12, v20
	v_add_co_ci_u32_e32 v19, vcc_lo, v13, v21, vcc_lo
	v_lshlrev_b64 v[20:21], 2, v[14:15]
	v_sub_nc_u32_e32 v14, v45, v2
	v_add_co_u32 v16, vcc_lo, v12, v16
	v_add_co_ci_u32_e32 v17, vcc_lo, v13, v17, vcc_lo
	s_delay_alu instid0(VALU_DEP_3) | instskip(SKIP_3) | instid1(VALU_DEP_3)
	v_lshlrev_b64 v[22:23], 2, v[14:15]
	v_sub_nc_u32_e32 v14, v44, v2
	v_add_co_u32 v20, vcc_lo, v12, v20
	v_add_co_ci_u32_e32 v21, vcc_lo, v13, v21, vcc_lo
	v_lshlrev_b64 v[24:25], 2, v[14:15]
	v_sub_nc_u32_e32 v14, v43, v2
	v_add_co_u32 v22, vcc_lo, v12, v22
	v_add_co_ci_u32_e32 v23, vcc_lo, v13, v23, vcc_lo
	s_clause 0x3
	global_store_b32 v[18:19], v67, off
	global_store_b32 v[16:17], v66, off
	;; [unrolled: 1-line block ×4, first 2 shown]
	v_lshlrev_b64 v[16:17], 2, v[14:15]
	v_sub_nc_u32_e32 v14, v42, v2
	v_add_co_u32 v18, vcc_lo, v12, v24
	v_add_co_ci_u32_e32 v19, vcc_lo, v13, v25, vcc_lo
	s_delay_alu instid0(VALU_DEP_3) | instskip(SKIP_3) | instid1(VALU_DEP_3)
	v_lshlrev_b64 v[20:21], 2, v[14:15]
	v_sub_nc_u32_e32 v14, v41, v2
	v_add_co_u32 v16, vcc_lo, v12, v16
	v_add_co_ci_u32_e32 v17, vcc_lo, v13, v17, vcc_lo
	v_lshlrev_b64 v[22:23], 2, v[14:15]
	v_sub_nc_u32_e32 v14, v40, v2
	v_add_co_u32 v20, vcc_lo, v12, v20
	v_add_co_ci_u32_e32 v21, vcc_lo, v13, v21, vcc_lo
	s_delay_alu instid0(VALU_DEP_3)
	v_lshlrev_b64 v[24:25], 2, v[14:15]
	v_sub_nc_u32_e32 v14, v39, v2
	v_add_co_u32 v22, vcc_lo, v12, v22
	v_add_co_ci_u32_e32 v23, vcc_lo, v13, v23, vcc_lo
	s_clause 0x3
	global_store_b32 v[18:19], v63, off
	global_store_b32 v[16:17], v62, off
	;; [unrolled: 1-line block ×4, first 2 shown]
	v_lshlrev_b64 v[16:17], 2, v[14:15]
	v_sub_nc_u32_e32 v14, v38, v2
	v_add_co_u32 v18, vcc_lo, v12, v24
	v_add_co_ci_u32_e32 v19, vcc_lo, v13, v25, vcc_lo
	s_delay_alu instid0(VALU_DEP_3) | instskip(SKIP_3) | instid1(VALU_DEP_3)
	v_lshlrev_b64 v[20:21], 2, v[14:15]
	v_sub_nc_u32_e32 v14, v37, v2
	v_add_co_u32 v16, vcc_lo, v12, v16
	v_add_co_ci_u32_e32 v17, vcc_lo, v13, v17, vcc_lo
	v_lshlrev_b64 v[14:15], 2, v[14:15]
	v_add_co_u32 v20, vcc_lo, v12, v20
	v_add_co_ci_u32_e32 v21, vcc_lo, v13, v21, vcc_lo
	s_clause 0x2
	global_store_b32 v[18:19], v54, off
	global_store_b32 v[16:17], v52, off
	;; [unrolled: 1-line block ×3, first 2 shown]
	v_add_co_u32 v14, vcc_lo, v12, v14
	v_add_co_ci_u32_e32 v15, vcc_lo, v13, v15, vcc_lo
	global_store_b32 v[14:15], v51, off
	s_or_b32 exec_lo, exec_lo, s15
	s_delay_alu instid0(SALU_CYCLE_1)
	s_and_b32 exec_lo, exec_lo, s18
	s_cbranch_execnz .LBB234_182
	s_branch .LBB234_183
.LBB234_280:
	s_and_saveexec_b32 s18, s14
	s_cbranch_execnz .LBB234_336
; %bb.281:
	s_or_b32 exec_lo, exec_lo, s18
	s_and_saveexec_b32 s14, s13
	s_cbranch_execnz .LBB234_337
.LBB234_282:
	s_or_b32 exec_lo, exec_lo, s14
	s_and_saveexec_b32 s13, s12
	s_cbranch_execnz .LBB234_338
.LBB234_283:
	s_or_b32 exec_lo, exec_lo, s13
	s_and_saveexec_b32 s12, s11
	s_cbranch_execnz .LBB234_339
.LBB234_284:
	s_or_b32 exec_lo, exec_lo, s12
	s_and_saveexec_b32 s11, s10
	s_cbranch_execnz .LBB234_340
.LBB234_285:
	s_or_b32 exec_lo, exec_lo, s11
	s_and_saveexec_b32 s10, s9
	s_cbranch_execnz .LBB234_341
.LBB234_286:
	s_or_b32 exec_lo, exec_lo, s10
	s_and_saveexec_b32 s9, s8
	s_cbranch_execnz .LBB234_342
.LBB234_287:
	s_or_b32 exec_lo, exec_lo, s9
	s_and_saveexec_b32 s8, s7
	s_cbranch_execnz .LBB234_343
.LBB234_288:
	s_or_b32 exec_lo, exec_lo, s8
	s_and_saveexec_b32 s7, s6
	s_cbranch_execnz .LBB234_344
.LBB234_289:
	s_or_b32 exec_lo, exec_lo, s7
	s_and_saveexec_b32 s6, s5
	s_cbranch_execnz .LBB234_345
.LBB234_290:
	s_or_b32 exec_lo, exec_lo, s6
	s_and_saveexec_b32 s5, s4
	s_cbranch_execnz .LBB234_346
.LBB234_291:
	s_or_b32 exec_lo, exec_lo, s5
	s_and_saveexec_b32 s4, s3
	s_cbranch_execnz .LBB234_347
.LBB234_292:
	s_or_b32 exec_lo, exec_lo, s4
	s_and_saveexec_b32 s3, s2
	s_cbranch_execnz .LBB234_348
.LBB234_293:
	s_or_b32 exec_lo, exec_lo, s3
	s_and_saveexec_b32 s2, s1
	s_cbranch_execz .LBB234_295
.LBB234_294:
	v_sub_nc_u32_e32 v3, v37, v2
	s_delay_alu instid0(VALU_DEP_1)
	v_lshlrev_b32_e32 v3, 2, v3
	ds_store_b32 v3, v51
.LBB234_295:
	s_or_b32 exec_lo, exec_lo, s2
	s_delay_alu instid0(SALU_CYCLE_1)
	s_and_b32 s18, s0, exec_lo
                                        ; implicit-def: $vgpr51
                                        ; implicit-def: $vgpr53
                                        ; implicit-def: $vgpr52
                                        ; implicit-def: $vgpr54
                                        ; implicit-def: $vgpr55
                                        ; implicit-def: $vgpr61
                                        ; implicit-def: $vgpr62
                                        ; implicit-def: $vgpr63
                                        ; implicit-def: $vgpr64
                                        ; implicit-def: $vgpr65
                                        ; implicit-def: $vgpr66
                                        ; implicit-def: $vgpr67
                                        ; implicit-def: $vgpr68
                                        ; implicit-def: $vgpr69
                                        ; implicit-def: $vgpr47
                                        ; implicit-def: $vgpr60
                                        ; implicit-def: $vgpr48
                                        ; implicit-def: $vgpr46
                                        ; implicit-def: $vgpr45
                                        ; implicit-def: $vgpr44
                                        ; implicit-def: $vgpr43
                                        ; implicit-def: $vgpr42
                                        ; implicit-def: $vgpr41
                                        ; implicit-def: $vgpr40
                                        ; implicit-def: $vgpr39
                                        ; implicit-def: $vgpr38
                                        ; implicit-def: $vgpr37
	s_and_not1_saveexec_b32 s0, s16
	s_cbranch_execz .LBB234_187
.LBB234_296:
	v_sub_nc_u32_e32 v3, v4, v2
	v_sub_nc_u32_e32 v4, v47, v2
	;; [unrolled: 1-line block ×5, first 2 shown]
	v_lshlrev_b32_e32 v3, 2, v3
	v_lshlrev_b32_e32 v4, 2, v4
	;; [unrolled: 1-line block ×4, first 2 shown]
	s_or_b32 s18, s18, exec_lo
	ds_store_b32 v3, v69
	ds_store_b32 v4, v68
	;; [unrolled: 1-line block ×3, first 2 shown]
	v_sub_nc_u32_e32 v3, v46, v2
	v_sub_nc_u32_e32 v4, v45, v2
	;; [unrolled: 1-line block ×3, first 2 shown]
	ds_store_b32 v15, v66
	v_sub_nc_u32_e32 v15, v43, v2
	v_lshlrev_b32_e32 v3, 2, v3
	v_lshlrev_b32_e32 v4, 2, v4
	;; [unrolled: 1-line block ×3, first 2 shown]
	s_delay_alu instid0(VALU_DEP_4)
	v_lshlrev_b32_e32 v15, 2, v15
	ds_store_b32 v3, v65
	v_lshlrev_b32_e32 v3, 2, v16
	ds_store_b32 v4, v64
	ds_store_b32 v14, v63
	;; [unrolled: 1-line block ×3, first 2 shown]
	v_sub_nc_u32_e32 v4, v41, v2
	v_sub_nc_u32_e32 v16, v37, v2
	;; [unrolled: 1-line block ×3, first 2 shown]
	ds_store_b32 v3, v61
	v_sub_nc_u32_e32 v3, v40, v2
	v_lshlrev_b32_e32 v4, 2, v4
	v_sub_nc_u32_e32 v15, v38, v2
	v_lshlrev_b32_e32 v14, 2, v14
	s_delay_alu instid0(VALU_DEP_4)
	v_lshlrev_b32_e32 v3, 2, v3
	ds_store_b32 v4, v55
	v_lshlrev_b32_e32 v4, 2, v16
	v_lshlrev_b32_e32 v15, 2, v15
	ds_store_b32 v3, v54
	ds_store_b32 v14, v52
	;; [unrolled: 1-line block ×4, first 2 shown]
	s_or_b32 exec_lo, exec_lo, s0
	s_delay_alu instid0(SALU_CYCLE_1)
	s_and_b32 exec_lo, exec_lo, s18
	s_cbranch_execnz .LBB234_188
	s_branch .LBB234_189
.LBB234_297:
	v_sub_nc_u32_e32 v73, v4, v5
	v_mov_b32_e32 v74, 0
	s_delay_alu instid0(VALU_DEP_1) | instskip(NEXT) | instid1(VALU_DEP_1)
	v_lshlrev_b64 v[73:74], 2, v[73:74]
	v_add_co_u32 v73, vcc_lo, v70, v73
	s_delay_alu instid0(VALU_DEP_2)
	v_add_co_ci_u32_e32 v74, vcc_lo, v71, v74, vcc_lo
	global_store_b32 v[73:74], v21, off
	s_or_b32 exec_lo, exec_lo, s19
	s_and_saveexec_b32 s19, s12
	s_cbranch_execz .LBB234_231
.LBB234_298:
	v_sub_nc_u32_e32 v73, v47, v5
	v_mov_b32_e32 v74, 0
	s_delay_alu instid0(VALU_DEP_1) | instskip(NEXT) | instid1(VALU_DEP_1)
	v_lshlrev_b64 v[73:74], 2, v[73:74]
	v_add_co_u32 v73, vcc_lo, v70, v73
	s_delay_alu instid0(VALU_DEP_2)
	v_add_co_ci_u32_e32 v74, vcc_lo, v71, v74, vcc_lo
	global_store_b32 v[73:74], v22, off
	s_or_b32 exec_lo, exec_lo, s19
	s_and_saveexec_b32 s19, s10
	s_cbranch_execz .LBB234_232
.LBB234_299:
	v_sub_nc_u32_e32 v73, v60, v5
	v_mov_b32_e32 v74, 0
	s_delay_alu instid0(VALU_DEP_1) | instskip(NEXT) | instid1(VALU_DEP_1)
	v_lshlrev_b64 v[73:74], 2, v[73:74]
	v_add_co_u32 v73, vcc_lo, v70, v73
	s_delay_alu instid0(VALU_DEP_2)
	v_add_co_ci_u32_e32 v74, vcc_lo, v71, v74, vcc_lo
	global_store_b32 v[73:74], v19, off
	s_or_b32 exec_lo, exec_lo, s19
	s_and_saveexec_b32 s19, s9
	s_cbranch_execz .LBB234_233
.LBB234_300:
	v_sub_nc_u32_e32 v73, v48, v5
	v_mov_b32_e32 v74, 0
	s_delay_alu instid0(VALU_DEP_1) | instskip(NEXT) | instid1(VALU_DEP_1)
	v_lshlrev_b64 v[73:74], 2, v[73:74]
	v_add_co_u32 v73, vcc_lo, v70, v73
	s_delay_alu instid0(VALU_DEP_2)
	v_add_co_ci_u32_e32 v74, vcc_lo, v71, v74, vcc_lo
	global_store_b32 v[73:74], v20, off
	s_or_b32 exec_lo, exec_lo, s19
	s_and_saveexec_b32 s19, s15
	s_cbranch_execz .LBB234_234
.LBB234_301:
	v_sub_nc_u32_e32 v73, v46, v5
	v_mov_b32_e32 v74, 0
	s_delay_alu instid0(VALU_DEP_1) | instskip(NEXT) | instid1(VALU_DEP_1)
	v_lshlrev_b64 v[73:74], 2, v[73:74]
	v_add_co_u32 v73, vcc_lo, v70, v73
	s_delay_alu instid0(VALU_DEP_2)
	v_add_co_ci_u32_e32 v74, vcc_lo, v71, v74, vcc_lo
	global_store_b32 v[73:74], v17, off
	s_or_b32 exec_lo, exec_lo, s19
	s_and_saveexec_b32 s19, s14
	s_cbranch_execz .LBB234_235
.LBB234_302:
	v_sub_nc_u32_e32 v73, v45, v5
	v_mov_b32_e32 v74, 0
	s_delay_alu instid0(VALU_DEP_1) | instskip(NEXT) | instid1(VALU_DEP_1)
	v_lshlrev_b64 v[73:74], 2, v[73:74]
	v_add_co_u32 v73, vcc_lo, v70, v73
	s_delay_alu instid0(VALU_DEP_2)
	v_add_co_ci_u32_e32 v74, vcc_lo, v71, v74, vcc_lo
	global_store_b32 v[73:74], v18, off
	s_or_b32 exec_lo, exec_lo, s19
	s_and_saveexec_b32 s19, s11
	s_cbranch_execz .LBB234_236
.LBB234_303:
	v_sub_nc_u32_e32 v73, v44, v5
	v_mov_b32_e32 v74, 0
	s_delay_alu instid0(VALU_DEP_1) | instskip(NEXT) | instid1(VALU_DEP_1)
	v_lshlrev_b64 v[73:74], 2, v[73:74]
	v_add_co_u32 v73, vcc_lo, v70, v73
	s_delay_alu instid0(VALU_DEP_2)
	v_add_co_ci_u32_e32 v74, vcc_lo, v71, v74, vcc_lo
	global_store_b32 v[73:74], v15, off
	s_or_b32 exec_lo, exec_lo, s19
	s_and_saveexec_b32 s19, s8
	s_cbranch_execz .LBB234_237
.LBB234_304:
	v_sub_nc_u32_e32 v73, v43, v5
	v_mov_b32_e32 v74, 0
	s_delay_alu instid0(VALU_DEP_1) | instskip(NEXT) | instid1(VALU_DEP_1)
	v_lshlrev_b64 v[73:74], 2, v[73:74]
	v_add_co_u32 v73, vcc_lo, v70, v73
	s_delay_alu instid0(VALU_DEP_2)
	v_add_co_ci_u32_e32 v74, vcc_lo, v71, v74, vcc_lo
	global_store_b32 v[73:74], v16, off
	s_or_b32 exec_lo, exec_lo, s19
	s_and_saveexec_b32 s19, s7
	s_cbranch_execz .LBB234_238
.LBB234_305:
	v_sub_nc_u32_e32 v73, v42, v5
	v_mov_b32_e32 v74, 0
	s_delay_alu instid0(VALU_DEP_1) | instskip(NEXT) | instid1(VALU_DEP_1)
	v_lshlrev_b64 v[73:74], 2, v[73:74]
	v_add_co_u32 v73, vcc_lo, v70, v73
	s_delay_alu instid0(VALU_DEP_2)
	v_add_co_ci_u32_e32 v74, vcc_lo, v71, v74, vcc_lo
	global_store_b32 v[73:74], v13, off
	s_or_b32 exec_lo, exec_lo, s19
	s_and_saveexec_b32 s19, s6
	s_cbranch_execz .LBB234_239
.LBB234_306:
	v_sub_nc_u32_e32 v73, v41, v5
	v_mov_b32_e32 v74, 0
	s_delay_alu instid0(VALU_DEP_1) | instskip(NEXT) | instid1(VALU_DEP_1)
	v_lshlrev_b64 v[73:74], 2, v[73:74]
	v_add_co_u32 v73, vcc_lo, v70, v73
	s_delay_alu instid0(VALU_DEP_2)
	v_add_co_ci_u32_e32 v74, vcc_lo, v71, v74, vcc_lo
	global_store_b32 v[73:74], v14, off
	s_or_b32 exec_lo, exec_lo, s19
	s_and_saveexec_b32 s19, s5
	s_cbranch_execz .LBB234_240
.LBB234_307:
	v_sub_nc_u32_e32 v73, v40, v5
	v_mov_b32_e32 v74, 0
	s_delay_alu instid0(VALU_DEP_1) | instskip(NEXT) | instid1(VALU_DEP_1)
	v_lshlrev_b64 v[73:74], 2, v[73:74]
	v_add_co_u32 v73, vcc_lo, v70, v73
	s_delay_alu instid0(VALU_DEP_2)
	v_add_co_ci_u32_e32 v74, vcc_lo, v71, v74, vcc_lo
	global_store_b32 v[73:74], v11, off
	s_or_b32 exec_lo, exec_lo, s19
	s_and_saveexec_b32 s19, s4
	s_cbranch_execz .LBB234_241
.LBB234_308:
	v_sub_nc_u32_e32 v73, v39, v5
	v_mov_b32_e32 v74, 0
	s_delay_alu instid0(VALU_DEP_1) | instskip(NEXT) | instid1(VALU_DEP_1)
	v_lshlrev_b64 v[73:74], 2, v[73:74]
	v_add_co_u32 v73, vcc_lo, v70, v73
	s_delay_alu instid0(VALU_DEP_2)
	v_add_co_ci_u32_e32 v74, vcc_lo, v71, v74, vcc_lo
	global_store_b32 v[73:74], v12, off
	s_or_b32 exec_lo, exec_lo, s19
	s_and_saveexec_b32 s19, s3
	s_cbranch_execz .LBB234_242
.LBB234_309:
	v_sub_nc_u32_e32 v73, v38, v5
	v_mov_b32_e32 v74, 0
	s_delay_alu instid0(VALU_DEP_1) | instskip(NEXT) | instid1(VALU_DEP_1)
	v_lshlrev_b64 v[73:74], 2, v[73:74]
	v_add_co_u32 v73, vcc_lo, v70, v73
	s_delay_alu instid0(VALU_DEP_2)
	v_add_co_ci_u32_e32 v74, vcc_lo, v71, v74, vcc_lo
	global_store_b32 v[73:74], v9, off
	s_or_b32 exec_lo, exec_lo, s19
	s_and_saveexec_b32 s19, s1
	s_cbranch_execnz .LBB234_243
	s_branch .LBB234_244
.LBB234_310:
	v_sub_nc_u32_e32 v72, v4, v5
	s_delay_alu instid0(VALU_DEP_1)
	v_lshlrev_b32_e32 v72, 2, v72
	ds_store_b32 v72, v21
	s_or_b32 exec_lo, exec_lo, s19
	s_and_saveexec_b32 s13, s12
	s_cbranch_execz .LBB234_248
.LBB234_311:
	v_sub_nc_u32_e32 v21, v47, v5
	s_delay_alu instid0(VALU_DEP_1)
	v_lshlrev_b32_e32 v21, 2, v21
	ds_store_b32 v21, v22
	s_or_b32 exec_lo, exec_lo, s13
	s_and_saveexec_b32 s12, s10
	s_cbranch_execz .LBB234_249
.LBB234_312:
	v_sub_nc_u32_e32 v21, v60, v5
	s_delay_alu instid0(VALU_DEP_1)
	v_lshlrev_b32_e32 v21, 2, v21
	ds_store_b32 v21, v19
	s_or_b32 exec_lo, exec_lo, s12
	s_and_saveexec_b32 s10, s9
	s_cbranch_execz .LBB234_250
.LBB234_313:
	v_sub_nc_u32_e32 v19, v48, v5
	s_delay_alu instid0(VALU_DEP_1)
	v_lshlrev_b32_e32 v19, 2, v19
	ds_store_b32 v19, v20
	s_or_b32 exec_lo, exec_lo, s10
	s_and_saveexec_b32 s9, s15
	s_cbranch_execz .LBB234_251
.LBB234_314:
	v_sub_nc_u32_e32 v19, v46, v5
	s_delay_alu instid0(VALU_DEP_1)
	v_lshlrev_b32_e32 v19, 2, v19
	ds_store_b32 v19, v17
	s_or_b32 exec_lo, exec_lo, s9
	s_and_saveexec_b32 s9, s14
	s_cbranch_execz .LBB234_252
.LBB234_315:
	v_sub_nc_u32_e32 v17, v45, v5
	s_delay_alu instid0(VALU_DEP_1)
	v_lshlrev_b32_e32 v17, 2, v17
	ds_store_b32 v17, v18
	s_or_b32 exec_lo, exec_lo, s9
	s_and_saveexec_b32 s9, s11
	s_cbranch_execz .LBB234_253
.LBB234_316:
	v_sub_nc_u32_e32 v17, v44, v5
	s_delay_alu instid0(VALU_DEP_1)
	v_lshlrev_b32_e32 v17, 2, v17
	ds_store_b32 v17, v15
	s_or_b32 exec_lo, exec_lo, s9
	s_and_saveexec_b32 s9, s8
	s_cbranch_execz .LBB234_254
.LBB234_317:
	v_sub_nc_u32_e32 v15, v43, v5
	s_delay_alu instid0(VALU_DEP_1)
	v_lshlrev_b32_e32 v15, 2, v15
	ds_store_b32 v15, v16
	s_or_b32 exec_lo, exec_lo, s9
	s_and_saveexec_b32 s8, s7
	s_cbranch_execz .LBB234_255
.LBB234_318:
	v_sub_nc_u32_e32 v15, v42, v5
	s_delay_alu instid0(VALU_DEP_1)
	v_lshlrev_b32_e32 v15, 2, v15
	ds_store_b32 v15, v13
	s_or_b32 exec_lo, exec_lo, s8
	s_and_saveexec_b32 s7, s6
	s_cbranch_execz .LBB234_256
.LBB234_319:
	v_sub_nc_u32_e32 v13, v41, v5
	s_delay_alu instid0(VALU_DEP_1)
	v_lshlrev_b32_e32 v13, 2, v13
	ds_store_b32 v13, v14
	s_or_b32 exec_lo, exec_lo, s7
	s_and_saveexec_b32 s6, s5
	s_cbranch_execz .LBB234_257
.LBB234_320:
	v_sub_nc_u32_e32 v13, v40, v5
	s_delay_alu instid0(VALU_DEP_1)
	v_lshlrev_b32_e32 v13, 2, v13
	ds_store_b32 v13, v11
	s_or_b32 exec_lo, exec_lo, s6
	s_and_saveexec_b32 s5, s4
	s_cbranch_execz .LBB234_258
.LBB234_321:
	v_sub_nc_u32_e32 v11, v39, v5
	s_delay_alu instid0(VALU_DEP_1)
	v_lshlrev_b32_e32 v11, 2, v11
	ds_store_b32 v11, v12
	s_or_b32 exec_lo, exec_lo, s5
	s_and_saveexec_b32 s4, s3
	s_cbranch_execz .LBB234_259
.LBB234_322:
	v_sub_nc_u32_e32 v11, v38, v5
	s_delay_alu instid0(VALU_DEP_1)
	v_lshlrev_b32_e32 v11, 2, v11
	ds_store_b32 v11, v9
	s_or_b32 exec_lo, exec_lo, s4
	s_and_saveexec_b32 s3, s1
	s_cbranch_execnz .LBB234_260
	s_branch .LBB234_261
.LBB234_323:
	v_sub_nc_u32_e32 v14, v4, v2
	v_mov_b32_e32 v15, 0
	s_delay_alu instid0(VALU_DEP_1) | instskip(NEXT) | instid1(VALU_DEP_1)
	v_lshlrev_b64 v[14:15], 2, v[14:15]
	v_add_co_u32 v14, vcc_lo, v12, v14
	s_delay_alu instid0(VALU_DEP_2)
	v_add_co_ci_u32_e32 v15, vcc_lo, v13, v15, vcc_lo
	global_store_b32 v[14:15], v69, off
	s_or_b32 exec_lo, exec_lo, s18
	s_and_saveexec_b32 s18, s13
	s_cbranch_execz .LBB234_265
.LBB234_324:
	v_sub_nc_u32_e32 v14, v47, v2
	v_mov_b32_e32 v15, 0
	s_delay_alu instid0(VALU_DEP_1) | instskip(NEXT) | instid1(VALU_DEP_1)
	v_lshlrev_b64 v[14:15], 2, v[14:15]
	v_add_co_u32 v14, vcc_lo, v12, v14
	s_delay_alu instid0(VALU_DEP_2)
	v_add_co_ci_u32_e32 v15, vcc_lo, v13, v15, vcc_lo
	global_store_b32 v[14:15], v68, off
	s_or_b32 exec_lo, exec_lo, s18
	s_and_saveexec_b32 s18, s12
	s_cbranch_execz .LBB234_266
.LBB234_325:
	v_sub_nc_u32_e32 v14, v60, v2
	v_mov_b32_e32 v15, 0
	s_delay_alu instid0(VALU_DEP_1) | instskip(NEXT) | instid1(VALU_DEP_1)
	v_lshlrev_b64 v[14:15], 2, v[14:15]
	v_add_co_u32 v14, vcc_lo, v12, v14
	s_delay_alu instid0(VALU_DEP_2)
	v_add_co_ci_u32_e32 v15, vcc_lo, v13, v15, vcc_lo
	global_store_b32 v[14:15], v67, off
	s_or_b32 exec_lo, exec_lo, s18
	s_and_saveexec_b32 s18, s11
	s_cbranch_execz .LBB234_267
.LBB234_326:
	v_sub_nc_u32_e32 v14, v48, v2
	v_mov_b32_e32 v15, 0
	s_delay_alu instid0(VALU_DEP_1) | instskip(NEXT) | instid1(VALU_DEP_1)
	v_lshlrev_b64 v[14:15], 2, v[14:15]
	v_add_co_u32 v14, vcc_lo, v12, v14
	s_delay_alu instid0(VALU_DEP_2)
	v_add_co_ci_u32_e32 v15, vcc_lo, v13, v15, vcc_lo
	global_store_b32 v[14:15], v66, off
	s_or_b32 exec_lo, exec_lo, s18
	s_and_saveexec_b32 s18, s10
	s_cbranch_execz .LBB234_268
.LBB234_327:
	v_sub_nc_u32_e32 v14, v46, v2
	v_mov_b32_e32 v15, 0
	s_delay_alu instid0(VALU_DEP_1) | instskip(NEXT) | instid1(VALU_DEP_1)
	v_lshlrev_b64 v[14:15], 2, v[14:15]
	v_add_co_u32 v14, vcc_lo, v12, v14
	s_delay_alu instid0(VALU_DEP_2)
	v_add_co_ci_u32_e32 v15, vcc_lo, v13, v15, vcc_lo
	global_store_b32 v[14:15], v65, off
	s_or_b32 exec_lo, exec_lo, s18
	s_and_saveexec_b32 s18, s9
	s_cbranch_execz .LBB234_269
.LBB234_328:
	v_sub_nc_u32_e32 v14, v45, v2
	v_mov_b32_e32 v15, 0
	s_delay_alu instid0(VALU_DEP_1) | instskip(NEXT) | instid1(VALU_DEP_1)
	v_lshlrev_b64 v[14:15], 2, v[14:15]
	v_add_co_u32 v14, vcc_lo, v12, v14
	s_delay_alu instid0(VALU_DEP_2)
	v_add_co_ci_u32_e32 v15, vcc_lo, v13, v15, vcc_lo
	global_store_b32 v[14:15], v64, off
	s_or_b32 exec_lo, exec_lo, s18
	s_and_saveexec_b32 s18, s8
	s_cbranch_execz .LBB234_270
.LBB234_329:
	v_sub_nc_u32_e32 v14, v44, v2
	v_mov_b32_e32 v15, 0
	s_delay_alu instid0(VALU_DEP_1) | instskip(NEXT) | instid1(VALU_DEP_1)
	v_lshlrev_b64 v[14:15], 2, v[14:15]
	v_add_co_u32 v14, vcc_lo, v12, v14
	s_delay_alu instid0(VALU_DEP_2)
	v_add_co_ci_u32_e32 v15, vcc_lo, v13, v15, vcc_lo
	global_store_b32 v[14:15], v63, off
	s_or_b32 exec_lo, exec_lo, s18
	s_and_saveexec_b32 s18, s7
	s_cbranch_execz .LBB234_271
.LBB234_330:
	v_sub_nc_u32_e32 v14, v43, v2
	v_mov_b32_e32 v15, 0
	s_delay_alu instid0(VALU_DEP_1) | instskip(NEXT) | instid1(VALU_DEP_1)
	v_lshlrev_b64 v[14:15], 2, v[14:15]
	v_add_co_u32 v14, vcc_lo, v12, v14
	s_delay_alu instid0(VALU_DEP_2)
	v_add_co_ci_u32_e32 v15, vcc_lo, v13, v15, vcc_lo
	global_store_b32 v[14:15], v62, off
	s_or_b32 exec_lo, exec_lo, s18
	s_and_saveexec_b32 s18, s6
	s_cbranch_execz .LBB234_272
.LBB234_331:
	v_sub_nc_u32_e32 v14, v42, v2
	v_mov_b32_e32 v15, 0
	s_delay_alu instid0(VALU_DEP_1) | instskip(NEXT) | instid1(VALU_DEP_1)
	v_lshlrev_b64 v[14:15], 2, v[14:15]
	v_add_co_u32 v14, vcc_lo, v12, v14
	s_delay_alu instid0(VALU_DEP_2)
	v_add_co_ci_u32_e32 v15, vcc_lo, v13, v15, vcc_lo
	global_store_b32 v[14:15], v61, off
	s_or_b32 exec_lo, exec_lo, s18
	s_and_saveexec_b32 s18, s5
	s_cbranch_execz .LBB234_273
.LBB234_332:
	v_sub_nc_u32_e32 v14, v41, v2
	v_mov_b32_e32 v15, 0
	s_delay_alu instid0(VALU_DEP_1) | instskip(NEXT) | instid1(VALU_DEP_1)
	v_lshlrev_b64 v[14:15], 2, v[14:15]
	v_add_co_u32 v14, vcc_lo, v12, v14
	s_delay_alu instid0(VALU_DEP_2)
	v_add_co_ci_u32_e32 v15, vcc_lo, v13, v15, vcc_lo
	global_store_b32 v[14:15], v55, off
	s_or_b32 exec_lo, exec_lo, s18
	s_and_saveexec_b32 s18, s4
	s_cbranch_execz .LBB234_274
.LBB234_333:
	v_sub_nc_u32_e32 v14, v40, v2
	v_mov_b32_e32 v15, 0
	s_delay_alu instid0(VALU_DEP_1) | instskip(NEXT) | instid1(VALU_DEP_1)
	v_lshlrev_b64 v[14:15], 2, v[14:15]
	v_add_co_u32 v14, vcc_lo, v12, v14
	s_delay_alu instid0(VALU_DEP_2)
	v_add_co_ci_u32_e32 v15, vcc_lo, v13, v15, vcc_lo
	global_store_b32 v[14:15], v54, off
	s_or_b32 exec_lo, exec_lo, s18
	s_and_saveexec_b32 s18, s3
	s_cbranch_execz .LBB234_275
.LBB234_334:
	v_sub_nc_u32_e32 v14, v39, v2
	v_mov_b32_e32 v15, 0
	s_delay_alu instid0(VALU_DEP_1) | instskip(NEXT) | instid1(VALU_DEP_1)
	v_lshlrev_b64 v[14:15], 2, v[14:15]
	v_add_co_u32 v14, vcc_lo, v12, v14
	s_delay_alu instid0(VALU_DEP_2)
	v_add_co_ci_u32_e32 v15, vcc_lo, v13, v15, vcc_lo
	global_store_b32 v[14:15], v52, off
	s_or_b32 exec_lo, exec_lo, s18
	s_and_saveexec_b32 s18, s2
	s_cbranch_execz .LBB234_276
.LBB234_335:
	v_sub_nc_u32_e32 v14, v38, v2
	v_mov_b32_e32 v15, 0
	s_delay_alu instid0(VALU_DEP_1) | instskip(NEXT) | instid1(VALU_DEP_1)
	v_lshlrev_b64 v[14:15], 2, v[14:15]
	v_add_co_u32 v14, vcc_lo, v12, v14
	s_delay_alu instid0(VALU_DEP_2)
	v_add_co_ci_u32_e32 v15, vcc_lo, v13, v15, vcc_lo
	global_store_b32 v[14:15], v53, off
	s_or_b32 exec_lo, exec_lo, s18
	s_and_saveexec_b32 s18, s1
	s_cbranch_execnz .LBB234_277
	s_branch .LBB234_278
.LBB234_336:
	v_sub_nc_u32_e32 v3, v4, v2
	s_delay_alu instid0(VALU_DEP_1)
	v_lshlrev_b32_e32 v3, 2, v3
	ds_store_b32 v3, v69
	s_or_b32 exec_lo, exec_lo, s18
	s_and_saveexec_b32 s14, s13
	s_cbranch_execz .LBB234_282
.LBB234_337:
	v_sub_nc_u32_e32 v3, v47, v2
	s_delay_alu instid0(VALU_DEP_1)
	v_lshlrev_b32_e32 v3, 2, v3
	ds_store_b32 v3, v68
	s_or_b32 exec_lo, exec_lo, s14
	s_and_saveexec_b32 s13, s12
	s_cbranch_execz .LBB234_283
.LBB234_338:
	v_sub_nc_u32_e32 v3, v60, v2
	s_delay_alu instid0(VALU_DEP_1)
	v_lshlrev_b32_e32 v3, 2, v3
	ds_store_b32 v3, v67
	s_or_b32 exec_lo, exec_lo, s13
	s_and_saveexec_b32 s12, s11
	s_cbranch_execz .LBB234_284
.LBB234_339:
	v_sub_nc_u32_e32 v3, v48, v2
	s_delay_alu instid0(VALU_DEP_1)
	v_lshlrev_b32_e32 v3, 2, v3
	ds_store_b32 v3, v66
	s_or_b32 exec_lo, exec_lo, s12
	s_and_saveexec_b32 s11, s10
	s_cbranch_execz .LBB234_285
.LBB234_340:
	v_sub_nc_u32_e32 v3, v46, v2
	s_delay_alu instid0(VALU_DEP_1)
	v_lshlrev_b32_e32 v3, 2, v3
	ds_store_b32 v3, v65
	s_or_b32 exec_lo, exec_lo, s11
	s_and_saveexec_b32 s10, s9
	s_cbranch_execz .LBB234_286
.LBB234_341:
	v_sub_nc_u32_e32 v3, v45, v2
	s_delay_alu instid0(VALU_DEP_1)
	v_lshlrev_b32_e32 v3, 2, v3
	ds_store_b32 v3, v64
	s_or_b32 exec_lo, exec_lo, s10
	s_and_saveexec_b32 s9, s8
	s_cbranch_execz .LBB234_287
.LBB234_342:
	v_sub_nc_u32_e32 v3, v44, v2
	s_delay_alu instid0(VALU_DEP_1)
	v_lshlrev_b32_e32 v3, 2, v3
	ds_store_b32 v3, v63
	s_or_b32 exec_lo, exec_lo, s9
	s_and_saveexec_b32 s8, s7
	s_cbranch_execz .LBB234_288
.LBB234_343:
	v_sub_nc_u32_e32 v3, v43, v2
	s_delay_alu instid0(VALU_DEP_1)
	v_lshlrev_b32_e32 v3, 2, v3
	ds_store_b32 v3, v62
	s_or_b32 exec_lo, exec_lo, s8
	s_and_saveexec_b32 s7, s6
	s_cbranch_execz .LBB234_289
.LBB234_344:
	v_sub_nc_u32_e32 v3, v42, v2
	s_delay_alu instid0(VALU_DEP_1)
	v_lshlrev_b32_e32 v3, 2, v3
	ds_store_b32 v3, v61
	s_or_b32 exec_lo, exec_lo, s7
	s_and_saveexec_b32 s6, s5
	s_cbranch_execz .LBB234_290
.LBB234_345:
	v_sub_nc_u32_e32 v3, v41, v2
	s_delay_alu instid0(VALU_DEP_1)
	v_lshlrev_b32_e32 v3, 2, v3
	ds_store_b32 v3, v55
	s_or_b32 exec_lo, exec_lo, s6
	s_and_saveexec_b32 s5, s4
	s_cbranch_execz .LBB234_291
.LBB234_346:
	v_sub_nc_u32_e32 v3, v40, v2
	s_delay_alu instid0(VALU_DEP_1)
	v_lshlrev_b32_e32 v3, 2, v3
	ds_store_b32 v3, v54
	s_or_b32 exec_lo, exec_lo, s5
	s_and_saveexec_b32 s4, s3
	s_cbranch_execz .LBB234_292
.LBB234_347:
	v_sub_nc_u32_e32 v3, v39, v2
	s_delay_alu instid0(VALU_DEP_1)
	v_lshlrev_b32_e32 v3, 2, v3
	ds_store_b32 v3, v52
	s_or_b32 exec_lo, exec_lo, s4
	s_and_saveexec_b32 s3, s2
	s_cbranch_execz .LBB234_293
.LBB234_348:
	v_sub_nc_u32_e32 v3, v38, v2
	s_delay_alu instid0(VALU_DEP_1)
	v_lshlrev_b32_e32 v3, 2, v3
	ds_store_b32 v3, v53
	s_or_b32 exec_lo, exec_lo, s3
	s_and_saveexec_b32 s2, s1
	s_cbranch_execnz .LBB234_294
	s_branch .LBB234_295
	.section	.rodata,"a",@progbits
	.p2align	6, 0x0
	.amdhsa_kernel _ZN7rocprim17ROCPRIM_400000_NS6detail17trampoline_kernelINS0_14default_configENS1_29reduce_by_key_config_selectorIffN6thrust23THRUST_200600_302600_NS4plusIfEEEEZZNS1_33reduce_by_key_impl_wrapped_configILNS1_25lookback_scan_determinismE0ES3_S9_NS6_6detail15normal_iteratorINS6_10device_ptrIfEEEESG_SG_SG_PmS8_22is_equal_div_10_reduceIfEEE10hipError_tPvRmT2_T3_mT4_T5_T6_T7_T8_P12ihipStream_tbENKUlT_T0_E_clISt17integral_constantIbLb0EES10_IbLb1EEEEDaSW_SX_EUlSW_E_NS1_11comp_targetILNS1_3genE9ELNS1_11target_archE1100ELNS1_3gpuE3ELNS1_3repE0EEENS1_30default_config_static_selectorELNS0_4arch9wavefront6targetE0EEEvT1_
		.amdhsa_group_segment_fixed_size 15360
		.amdhsa_private_segment_fixed_size 0
		.amdhsa_kernarg_size 120
		.amdhsa_user_sgpr_count 15
		.amdhsa_user_sgpr_dispatch_ptr 0
		.amdhsa_user_sgpr_queue_ptr 0
		.amdhsa_user_sgpr_kernarg_segment_ptr 1
		.amdhsa_user_sgpr_dispatch_id 0
		.amdhsa_user_sgpr_private_segment_size 0
		.amdhsa_wavefront_size32 1
		.amdhsa_uses_dynamic_stack 0
		.amdhsa_enable_private_segment 0
		.amdhsa_system_sgpr_workgroup_id_x 1
		.amdhsa_system_sgpr_workgroup_id_y 0
		.amdhsa_system_sgpr_workgroup_id_z 0
		.amdhsa_system_sgpr_workgroup_info 0
		.amdhsa_system_vgpr_workitem_id 0
		.amdhsa_next_free_vgpr 85
		.amdhsa_next_free_sgpr 44
		.amdhsa_reserve_vcc 1
		.amdhsa_float_round_mode_32 0
		.amdhsa_float_round_mode_16_64 0
		.amdhsa_float_denorm_mode_32 3
		.amdhsa_float_denorm_mode_16_64 3
		.amdhsa_dx10_clamp 1
		.amdhsa_ieee_mode 1
		.amdhsa_fp16_overflow 0
		.amdhsa_workgroup_processor_mode 1
		.amdhsa_memory_ordered 1
		.amdhsa_forward_progress 0
		.amdhsa_shared_vgpr_count 0
		.amdhsa_exception_fp_ieee_invalid_op 0
		.amdhsa_exception_fp_denorm_src 0
		.amdhsa_exception_fp_ieee_div_zero 0
		.amdhsa_exception_fp_ieee_overflow 0
		.amdhsa_exception_fp_ieee_underflow 0
		.amdhsa_exception_fp_ieee_inexact 0
		.amdhsa_exception_int_div_zero 0
	.end_amdhsa_kernel
	.section	.text._ZN7rocprim17ROCPRIM_400000_NS6detail17trampoline_kernelINS0_14default_configENS1_29reduce_by_key_config_selectorIffN6thrust23THRUST_200600_302600_NS4plusIfEEEEZZNS1_33reduce_by_key_impl_wrapped_configILNS1_25lookback_scan_determinismE0ES3_S9_NS6_6detail15normal_iteratorINS6_10device_ptrIfEEEESG_SG_SG_PmS8_22is_equal_div_10_reduceIfEEE10hipError_tPvRmT2_T3_mT4_T5_T6_T7_T8_P12ihipStream_tbENKUlT_T0_E_clISt17integral_constantIbLb0EES10_IbLb1EEEEDaSW_SX_EUlSW_E_NS1_11comp_targetILNS1_3genE9ELNS1_11target_archE1100ELNS1_3gpuE3ELNS1_3repE0EEENS1_30default_config_static_selectorELNS0_4arch9wavefront6targetE0EEEvT1_,"axG",@progbits,_ZN7rocprim17ROCPRIM_400000_NS6detail17trampoline_kernelINS0_14default_configENS1_29reduce_by_key_config_selectorIffN6thrust23THRUST_200600_302600_NS4plusIfEEEEZZNS1_33reduce_by_key_impl_wrapped_configILNS1_25lookback_scan_determinismE0ES3_S9_NS6_6detail15normal_iteratorINS6_10device_ptrIfEEEESG_SG_SG_PmS8_22is_equal_div_10_reduceIfEEE10hipError_tPvRmT2_T3_mT4_T5_T6_T7_T8_P12ihipStream_tbENKUlT_T0_E_clISt17integral_constantIbLb0EES10_IbLb1EEEEDaSW_SX_EUlSW_E_NS1_11comp_targetILNS1_3genE9ELNS1_11target_archE1100ELNS1_3gpuE3ELNS1_3repE0EEENS1_30default_config_static_selectorELNS0_4arch9wavefront6targetE0EEEvT1_,comdat
.Lfunc_end234:
	.size	_ZN7rocprim17ROCPRIM_400000_NS6detail17trampoline_kernelINS0_14default_configENS1_29reduce_by_key_config_selectorIffN6thrust23THRUST_200600_302600_NS4plusIfEEEEZZNS1_33reduce_by_key_impl_wrapped_configILNS1_25lookback_scan_determinismE0ES3_S9_NS6_6detail15normal_iteratorINS6_10device_ptrIfEEEESG_SG_SG_PmS8_22is_equal_div_10_reduceIfEEE10hipError_tPvRmT2_T3_mT4_T5_T6_T7_T8_P12ihipStream_tbENKUlT_T0_E_clISt17integral_constantIbLb0EES10_IbLb1EEEEDaSW_SX_EUlSW_E_NS1_11comp_targetILNS1_3genE9ELNS1_11target_archE1100ELNS1_3gpuE3ELNS1_3repE0EEENS1_30default_config_static_selectorELNS0_4arch9wavefront6targetE0EEEvT1_, .Lfunc_end234-_ZN7rocprim17ROCPRIM_400000_NS6detail17trampoline_kernelINS0_14default_configENS1_29reduce_by_key_config_selectorIffN6thrust23THRUST_200600_302600_NS4plusIfEEEEZZNS1_33reduce_by_key_impl_wrapped_configILNS1_25lookback_scan_determinismE0ES3_S9_NS6_6detail15normal_iteratorINS6_10device_ptrIfEEEESG_SG_SG_PmS8_22is_equal_div_10_reduceIfEEE10hipError_tPvRmT2_T3_mT4_T5_T6_T7_T8_P12ihipStream_tbENKUlT_T0_E_clISt17integral_constantIbLb0EES10_IbLb1EEEEDaSW_SX_EUlSW_E_NS1_11comp_targetILNS1_3genE9ELNS1_11target_archE1100ELNS1_3gpuE3ELNS1_3repE0EEENS1_30default_config_static_selectorELNS0_4arch9wavefront6targetE0EEEvT1_
                                        ; -- End function
	.section	.AMDGPU.csdata,"",@progbits
; Kernel info:
; codeLenInByte = 20840
; NumSgprs: 46
; NumVgprs: 85
; ScratchSize: 0
; MemoryBound: 0
; FloatMode: 240
; IeeeMode: 1
; LDSByteSize: 15360 bytes/workgroup (compile time only)
; SGPRBlocks: 5
; VGPRBlocks: 10
; NumSGPRsForWavesPerEU: 46
; NumVGPRsForWavesPerEU: 85
; Occupancy: 16
; WaveLimiterHint : 1
; COMPUTE_PGM_RSRC2:SCRATCH_EN: 0
; COMPUTE_PGM_RSRC2:USER_SGPR: 15
; COMPUTE_PGM_RSRC2:TRAP_HANDLER: 0
; COMPUTE_PGM_RSRC2:TGID_X_EN: 1
; COMPUTE_PGM_RSRC2:TGID_Y_EN: 0
; COMPUTE_PGM_RSRC2:TGID_Z_EN: 0
; COMPUTE_PGM_RSRC2:TIDIG_COMP_CNT: 0
	.section	.text._ZN7rocprim17ROCPRIM_400000_NS6detail17trampoline_kernelINS0_14default_configENS1_29reduce_by_key_config_selectorIffN6thrust23THRUST_200600_302600_NS4plusIfEEEEZZNS1_33reduce_by_key_impl_wrapped_configILNS1_25lookback_scan_determinismE0ES3_S9_NS6_6detail15normal_iteratorINS6_10device_ptrIfEEEESG_SG_SG_PmS8_22is_equal_div_10_reduceIfEEE10hipError_tPvRmT2_T3_mT4_T5_T6_T7_T8_P12ihipStream_tbENKUlT_T0_E_clISt17integral_constantIbLb0EES10_IbLb1EEEEDaSW_SX_EUlSW_E_NS1_11comp_targetILNS1_3genE8ELNS1_11target_archE1030ELNS1_3gpuE2ELNS1_3repE0EEENS1_30default_config_static_selectorELNS0_4arch9wavefront6targetE0EEEvT1_,"axG",@progbits,_ZN7rocprim17ROCPRIM_400000_NS6detail17trampoline_kernelINS0_14default_configENS1_29reduce_by_key_config_selectorIffN6thrust23THRUST_200600_302600_NS4plusIfEEEEZZNS1_33reduce_by_key_impl_wrapped_configILNS1_25lookback_scan_determinismE0ES3_S9_NS6_6detail15normal_iteratorINS6_10device_ptrIfEEEESG_SG_SG_PmS8_22is_equal_div_10_reduceIfEEE10hipError_tPvRmT2_T3_mT4_T5_T6_T7_T8_P12ihipStream_tbENKUlT_T0_E_clISt17integral_constantIbLb0EES10_IbLb1EEEEDaSW_SX_EUlSW_E_NS1_11comp_targetILNS1_3genE8ELNS1_11target_archE1030ELNS1_3gpuE2ELNS1_3repE0EEENS1_30default_config_static_selectorELNS0_4arch9wavefront6targetE0EEEvT1_,comdat
	.protected	_ZN7rocprim17ROCPRIM_400000_NS6detail17trampoline_kernelINS0_14default_configENS1_29reduce_by_key_config_selectorIffN6thrust23THRUST_200600_302600_NS4plusIfEEEEZZNS1_33reduce_by_key_impl_wrapped_configILNS1_25lookback_scan_determinismE0ES3_S9_NS6_6detail15normal_iteratorINS6_10device_ptrIfEEEESG_SG_SG_PmS8_22is_equal_div_10_reduceIfEEE10hipError_tPvRmT2_T3_mT4_T5_T6_T7_T8_P12ihipStream_tbENKUlT_T0_E_clISt17integral_constantIbLb0EES10_IbLb1EEEEDaSW_SX_EUlSW_E_NS1_11comp_targetILNS1_3genE8ELNS1_11target_archE1030ELNS1_3gpuE2ELNS1_3repE0EEENS1_30default_config_static_selectorELNS0_4arch9wavefront6targetE0EEEvT1_ ; -- Begin function _ZN7rocprim17ROCPRIM_400000_NS6detail17trampoline_kernelINS0_14default_configENS1_29reduce_by_key_config_selectorIffN6thrust23THRUST_200600_302600_NS4plusIfEEEEZZNS1_33reduce_by_key_impl_wrapped_configILNS1_25lookback_scan_determinismE0ES3_S9_NS6_6detail15normal_iteratorINS6_10device_ptrIfEEEESG_SG_SG_PmS8_22is_equal_div_10_reduceIfEEE10hipError_tPvRmT2_T3_mT4_T5_T6_T7_T8_P12ihipStream_tbENKUlT_T0_E_clISt17integral_constantIbLb0EES10_IbLb1EEEEDaSW_SX_EUlSW_E_NS1_11comp_targetILNS1_3genE8ELNS1_11target_archE1030ELNS1_3gpuE2ELNS1_3repE0EEENS1_30default_config_static_selectorELNS0_4arch9wavefront6targetE0EEEvT1_
	.globl	_ZN7rocprim17ROCPRIM_400000_NS6detail17trampoline_kernelINS0_14default_configENS1_29reduce_by_key_config_selectorIffN6thrust23THRUST_200600_302600_NS4plusIfEEEEZZNS1_33reduce_by_key_impl_wrapped_configILNS1_25lookback_scan_determinismE0ES3_S9_NS6_6detail15normal_iteratorINS6_10device_ptrIfEEEESG_SG_SG_PmS8_22is_equal_div_10_reduceIfEEE10hipError_tPvRmT2_T3_mT4_T5_T6_T7_T8_P12ihipStream_tbENKUlT_T0_E_clISt17integral_constantIbLb0EES10_IbLb1EEEEDaSW_SX_EUlSW_E_NS1_11comp_targetILNS1_3genE8ELNS1_11target_archE1030ELNS1_3gpuE2ELNS1_3repE0EEENS1_30default_config_static_selectorELNS0_4arch9wavefront6targetE0EEEvT1_
	.p2align	8
	.type	_ZN7rocprim17ROCPRIM_400000_NS6detail17trampoline_kernelINS0_14default_configENS1_29reduce_by_key_config_selectorIffN6thrust23THRUST_200600_302600_NS4plusIfEEEEZZNS1_33reduce_by_key_impl_wrapped_configILNS1_25lookback_scan_determinismE0ES3_S9_NS6_6detail15normal_iteratorINS6_10device_ptrIfEEEESG_SG_SG_PmS8_22is_equal_div_10_reduceIfEEE10hipError_tPvRmT2_T3_mT4_T5_T6_T7_T8_P12ihipStream_tbENKUlT_T0_E_clISt17integral_constantIbLb0EES10_IbLb1EEEEDaSW_SX_EUlSW_E_NS1_11comp_targetILNS1_3genE8ELNS1_11target_archE1030ELNS1_3gpuE2ELNS1_3repE0EEENS1_30default_config_static_selectorELNS0_4arch9wavefront6targetE0EEEvT1_,@function
_ZN7rocprim17ROCPRIM_400000_NS6detail17trampoline_kernelINS0_14default_configENS1_29reduce_by_key_config_selectorIffN6thrust23THRUST_200600_302600_NS4plusIfEEEEZZNS1_33reduce_by_key_impl_wrapped_configILNS1_25lookback_scan_determinismE0ES3_S9_NS6_6detail15normal_iteratorINS6_10device_ptrIfEEEESG_SG_SG_PmS8_22is_equal_div_10_reduceIfEEE10hipError_tPvRmT2_T3_mT4_T5_T6_T7_T8_P12ihipStream_tbENKUlT_T0_E_clISt17integral_constantIbLb0EES10_IbLb1EEEEDaSW_SX_EUlSW_E_NS1_11comp_targetILNS1_3genE8ELNS1_11target_archE1030ELNS1_3gpuE2ELNS1_3repE0EEENS1_30default_config_static_selectorELNS0_4arch9wavefront6targetE0EEEvT1_: ; @_ZN7rocprim17ROCPRIM_400000_NS6detail17trampoline_kernelINS0_14default_configENS1_29reduce_by_key_config_selectorIffN6thrust23THRUST_200600_302600_NS4plusIfEEEEZZNS1_33reduce_by_key_impl_wrapped_configILNS1_25lookback_scan_determinismE0ES3_S9_NS6_6detail15normal_iteratorINS6_10device_ptrIfEEEESG_SG_SG_PmS8_22is_equal_div_10_reduceIfEEE10hipError_tPvRmT2_T3_mT4_T5_T6_T7_T8_P12ihipStream_tbENKUlT_T0_E_clISt17integral_constantIbLb0EES10_IbLb1EEEEDaSW_SX_EUlSW_E_NS1_11comp_targetILNS1_3genE8ELNS1_11target_archE1030ELNS1_3gpuE2ELNS1_3repE0EEENS1_30default_config_static_selectorELNS0_4arch9wavefront6targetE0EEEvT1_
; %bb.0:
	.section	.rodata,"a",@progbits
	.p2align	6, 0x0
	.amdhsa_kernel _ZN7rocprim17ROCPRIM_400000_NS6detail17trampoline_kernelINS0_14default_configENS1_29reduce_by_key_config_selectorIffN6thrust23THRUST_200600_302600_NS4plusIfEEEEZZNS1_33reduce_by_key_impl_wrapped_configILNS1_25lookback_scan_determinismE0ES3_S9_NS6_6detail15normal_iteratorINS6_10device_ptrIfEEEESG_SG_SG_PmS8_22is_equal_div_10_reduceIfEEE10hipError_tPvRmT2_T3_mT4_T5_T6_T7_T8_P12ihipStream_tbENKUlT_T0_E_clISt17integral_constantIbLb0EES10_IbLb1EEEEDaSW_SX_EUlSW_E_NS1_11comp_targetILNS1_3genE8ELNS1_11target_archE1030ELNS1_3gpuE2ELNS1_3repE0EEENS1_30default_config_static_selectorELNS0_4arch9wavefront6targetE0EEEvT1_
		.amdhsa_group_segment_fixed_size 0
		.amdhsa_private_segment_fixed_size 0
		.amdhsa_kernarg_size 120
		.amdhsa_user_sgpr_count 15
		.amdhsa_user_sgpr_dispatch_ptr 0
		.amdhsa_user_sgpr_queue_ptr 0
		.amdhsa_user_sgpr_kernarg_segment_ptr 1
		.amdhsa_user_sgpr_dispatch_id 0
		.amdhsa_user_sgpr_private_segment_size 0
		.amdhsa_wavefront_size32 1
		.amdhsa_uses_dynamic_stack 0
		.amdhsa_enable_private_segment 0
		.amdhsa_system_sgpr_workgroup_id_x 1
		.amdhsa_system_sgpr_workgroup_id_y 0
		.amdhsa_system_sgpr_workgroup_id_z 0
		.amdhsa_system_sgpr_workgroup_info 0
		.amdhsa_system_vgpr_workitem_id 0
		.amdhsa_next_free_vgpr 1
		.amdhsa_next_free_sgpr 1
		.amdhsa_reserve_vcc 0
		.amdhsa_float_round_mode_32 0
		.amdhsa_float_round_mode_16_64 0
		.amdhsa_float_denorm_mode_32 3
		.amdhsa_float_denorm_mode_16_64 3
		.amdhsa_dx10_clamp 1
		.amdhsa_ieee_mode 1
		.amdhsa_fp16_overflow 0
		.amdhsa_workgroup_processor_mode 1
		.amdhsa_memory_ordered 1
		.amdhsa_forward_progress 0
		.amdhsa_shared_vgpr_count 0
		.amdhsa_exception_fp_ieee_invalid_op 0
		.amdhsa_exception_fp_denorm_src 0
		.amdhsa_exception_fp_ieee_div_zero 0
		.amdhsa_exception_fp_ieee_overflow 0
		.amdhsa_exception_fp_ieee_underflow 0
		.amdhsa_exception_fp_ieee_inexact 0
		.amdhsa_exception_int_div_zero 0
	.end_amdhsa_kernel
	.section	.text._ZN7rocprim17ROCPRIM_400000_NS6detail17trampoline_kernelINS0_14default_configENS1_29reduce_by_key_config_selectorIffN6thrust23THRUST_200600_302600_NS4plusIfEEEEZZNS1_33reduce_by_key_impl_wrapped_configILNS1_25lookback_scan_determinismE0ES3_S9_NS6_6detail15normal_iteratorINS6_10device_ptrIfEEEESG_SG_SG_PmS8_22is_equal_div_10_reduceIfEEE10hipError_tPvRmT2_T3_mT4_T5_T6_T7_T8_P12ihipStream_tbENKUlT_T0_E_clISt17integral_constantIbLb0EES10_IbLb1EEEEDaSW_SX_EUlSW_E_NS1_11comp_targetILNS1_3genE8ELNS1_11target_archE1030ELNS1_3gpuE2ELNS1_3repE0EEENS1_30default_config_static_selectorELNS0_4arch9wavefront6targetE0EEEvT1_,"axG",@progbits,_ZN7rocprim17ROCPRIM_400000_NS6detail17trampoline_kernelINS0_14default_configENS1_29reduce_by_key_config_selectorIffN6thrust23THRUST_200600_302600_NS4plusIfEEEEZZNS1_33reduce_by_key_impl_wrapped_configILNS1_25lookback_scan_determinismE0ES3_S9_NS6_6detail15normal_iteratorINS6_10device_ptrIfEEEESG_SG_SG_PmS8_22is_equal_div_10_reduceIfEEE10hipError_tPvRmT2_T3_mT4_T5_T6_T7_T8_P12ihipStream_tbENKUlT_T0_E_clISt17integral_constantIbLb0EES10_IbLb1EEEEDaSW_SX_EUlSW_E_NS1_11comp_targetILNS1_3genE8ELNS1_11target_archE1030ELNS1_3gpuE2ELNS1_3repE0EEENS1_30default_config_static_selectorELNS0_4arch9wavefront6targetE0EEEvT1_,comdat
.Lfunc_end235:
	.size	_ZN7rocprim17ROCPRIM_400000_NS6detail17trampoline_kernelINS0_14default_configENS1_29reduce_by_key_config_selectorIffN6thrust23THRUST_200600_302600_NS4plusIfEEEEZZNS1_33reduce_by_key_impl_wrapped_configILNS1_25lookback_scan_determinismE0ES3_S9_NS6_6detail15normal_iteratorINS6_10device_ptrIfEEEESG_SG_SG_PmS8_22is_equal_div_10_reduceIfEEE10hipError_tPvRmT2_T3_mT4_T5_T6_T7_T8_P12ihipStream_tbENKUlT_T0_E_clISt17integral_constantIbLb0EES10_IbLb1EEEEDaSW_SX_EUlSW_E_NS1_11comp_targetILNS1_3genE8ELNS1_11target_archE1030ELNS1_3gpuE2ELNS1_3repE0EEENS1_30default_config_static_selectorELNS0_4arch9wavefront6targetE0EEEvT1_, .Lfunc_end235-_ZN7rocprim17ROCPRIM_400000_NS6detail17trampoline_kernelINS0_14default_configENS1_29reduce_by_key_config_selectorIffN6thrust23THRUST_200600_302600_NS4plusIfEEEEZZNS1_33reduce_by_key_impl_wrapped_configILNS1_25lookback_scan_determinismE0ES3_S9_NS6_6detail15normal_iteratorINS6_10device_ptrIfEEEESG_SG_SG_PmS8_22is_equal_div_10_reduceIfEEE10hipError_tPvRmT2_T3_mT4_T5_T6_T7_T8_P12ihipStream_tbENKUlT_T0_E_clISt17integral_constantIbLb0EES10_IbLb1EEEEDaSW_SX_EUlSW_E_NS1_11comp_targetILNS1_3genE8ELNS1_11target_archE1030ELNS1_3gpuE2ELNS1_3repE0EEENS1_30default_config_static_selectorELNS0_4arch9wavefront6targetE0EEEvT1_
                                        ; -- End function
	.section	.AMDGPU.csdata,"",@progbits
; Kernel info:
; codeLenInByte = 0
; NumSgprs: 0
; NumVgprs: 0
; ScratchSize: 0
; MemoryBound: 0
; FloatMode: 240
; IeeeMode: 1
; LDSByteSize: 0 bytes/workgroup (compile time only)
; SGPRBlocks: 0
; VGPRBlocks: 0
; NumSGPRsForWavesPerEU: 1
; NumVGPRsForWavesPerEU: 1
; Occupancy: 16
; WaveLimiterHint : 0
; COMPUTE_PGM_RSRC2:SCRATCH_EN: 0
; COMPUTE_PGM_RSRC2:USER_SGPR: 15
; COMPUTE_PGM_RSRC2:TRAP_HANDLER: 0
; COMPUTE_PGM_RSRC2:TGID_X_EN: 1
; COMPUTE_PGM_RSRC2:TGID_Y_EN: 0
; COMPUTE_PGM_RSRC2:TGID_Z_EN: 0
; COMPUTE_PGM_RSRC2:TIDIG_COMP_CNT: 0
	.section	.text._ZN6thrust23THRUST_200600_302600_NS11hip_rocprim14__parallel_for6kernelILj256ENS1_20__uninitialized_fill7functorINS0_10device_ptrIyEEyEEmLj1EEEvT0_T1_SA_,"axG",@progbits,_ZN6thrust23THRUST_200600_302600_NS11hip_rocprim14__parallel_for6kernelILj256ENS1_20__uninitialized_fill7functorINS0_10device_ptrIyEEyEEmLj1EEEvT0_T1_SA_,comdat
	.protected	_ZN6thrust23THRUST_200600_302600_NS11hip_rocprim14__parallel_for6kernelILj256ENS1_20__uninitialized_fill7functorINS0_10device_ptrIyEEyEEmLj1EEEvT0_T1_SA_ ; -- Begin function _ZN6thrust23THRUST_200600_302600_NS11hip_rocprim14__parallel_for6kernelILj256ENS1_20__uninitialized_fill7functorINS0_10device_ptrIyEEyEEmLj1EEEvT0_T1_SA_
	.globl	_ZN6thrust23THRUST_200600_302600_NS11hip_rocprim14__parallel_for6kernelILj256ENS1_20__uninitialized_fill7functorINS0_10device_ptrIyEEyEEmLj1EEEvT0_T1_SA_
	.p2align	8
	.type	_ZN6thrust23THRUST_200600_302600_NS11hip_rocprim14__parallel_for6kernelILj256ENS1_20__uninitialized_fill7functorINS0_10device_ptrIyEEyEEmLj1EEEvT0_T1_SA_,@function
_ZN6thrust23THRUST_200600_302600_NS11hip_rocprim14__parallel_for6kernelILj256ENS1_20__uninitialized_fill7functorINS0_10device_ptrIyEEyEEmLj1EEEvT0_T1_SA_: ; @_ZN6thrust23THRUST_200600_302600_NS11hip_rocprim14__parallel_for6kernelILj256ENS1_20__uninitialized_fill7functorINS0_10device_ptrIyEEyEEmLj1EEEvT0_T1_SA_
; %bb.0:
	s_load_b256 s[0:7], s[0:1], 0x0
	s_lshl_b32 s8, s15, 8
	s_waitcnt lgkmcnt(0)
	s_add_u32 s6, s8, s6
	s_addc_u32 s7, 0, s7
	s_sub_u32 s4, s4, s6
	s_subb_u32 s5, s5, s7
	s_delay_alu instid0(SALU_CYCLE_1) | instskip(NEXT) | instid1(VALU_DEP_1)
	v_cmp_gt_u64_e64 s5, 0x100, s[4:5]
	s_and_b32 vcc_lo, exec_lo, s5
	s_mov_b32 s5, 0
	s_cbranch_vccz .LBB236_2
; %bb.1:
	v_cmp_gt_u32_e32 vcc_lo, s4, v0
	s_and_b32 s5, vcc_lo, exec_lo
	s_cbranch_execz .LBB236_3
	s_branch .LBB236_4
.LBB236_2:
.LBB236_3:
	s_or_b32 s5, s5, exec_lo
.LBB236_4:
	s_delay_alu instid0(SALU_CYCLE_1)
	s_and_saveexec_b32 s4, s5
	s_cbranch_execnz .LBB236_6
; %bb.5:
	s_endpgm
.LBB236_6:
	v_dual_mov_b32 v1, 0 :: v_dual_mov_b32 v2, s2
	s_lshl_b64 s[4:5], s[6:7], 3
	v_mov_b32_e32 v3, s3
	s_add_u32 s0, s0, s4
	s_delay_alu instid0(VALU_DEP_2) | instskip(SKIP_1) | instid1(VALU_DEP_1)
	v_lshlrev_b64 v[0:1], 3, v[0:1]
	s_addc_u32 s1, s1, s5
	v_add_co_u32 v0, vcc_lo, s0, v0
	s_delay_alu instid0(VALU_DEP_2)
	v_add_co_ci_u32_e32 v1, vcc_lo, s1, v1, vcc_lo
	flat_store_b64 v[0:1], v[2:3]
	s_endpgm
	.section	.rodata,"a",@progbits
	.p2align	6, 0x0
	.amdhsa_kernel _ZN6thrust23THRUST_200600_302600_NS11hip_rocprim14__parallel_for6kernelILj256ENS1_20__uninitialized_fill7functorINS0_10device_ptrIyEEyEEmLj1EEEvT0_T1_SA_
		.amdhsa_group_segment_fixed_size 0
		.amdhsa_private_segment_fixed_size 0
		.amdhsa_kernarg_size 32
		.amdhsa_user_sgpr_count 15
		.amdhsa_user_sgpr_dispatch_ptr 0
		.amdhsa_user_sgpr_queue_ptr 0
		.amdhsa_user_sgpr_kernarg_segment_ptr 1
		.amdhsa_user_sgpr_dispatch_id 0
		.amdhsa_user_sgpr_private_segment_size 0
		.amdhsa_wavefront_size32 1
		.amdhsa_uses_dynamic_stack 0
		.amdhsa_enable_private_segment 0
		.amdhsa_system_sgpr_workgroup_id_x 1
		.amdhsa_system_sgpr_workgroup_id_y 0
		.amdhsa_system_sgpr_workgroup_id_z 0
		.amdhsa_system_sgpr_workgroup_info 0
		.amdhsa_system_vgpr_workitem_id 0
		.amdhsa_next_free_vgpr 4
		.amdhsa_next_free_sgpr 16
		.amdhsa_reserve_vcc 1
		.amdhsa_float_round_mode_32 0
		.amdhsa_float_round_mode_16_64 0
		.amdhsa_float_denorm_mode_32 3
		.amdhsa_float_denorm_mode_16_64 3
		.amdhsa_dx10_clamp 1
		.amdhsa_ieee_mode 1
		.amdhsa_fp16_overflow 0
		.amdhsa_workgroup_processor_mode 1
		.amdhsa_memory_ordered 1
		.amdhsa_forward_progress 0
		.amdhsa_shared_vgpr_count 0
		.amdhsa_exception_fp_ieee_invalid_op 0
		.amdhsa_exception_fp_denorm_src 0
		.amdhsa_exception_fp_ieee_div_zero 0
		.amdhsa_exception_fp_ieee_overflow 0
		.amdhsa_exception_fp_ieee_underflow 0
		.amdhsa_exception_fp_ieee_inexact 0
		.amdhsa_exception_int_div_zero 0
	.end_amdhsa_kernel
	.section	.text._ZN6thrust23THRUST_200600_302600_NS11hip_rocprim14__parallel_for6kernelILj256ENS1_20__uninitialized_fill7functorINS0_10device_ptrIyEEyEEmLj1EEEvT0_T1_SA_,"axG",@progbits,_ZN6thrust23THRUST_200600_302600_NS11hip_rocprim14__parallel_for6kernelILj256ENS1_20__uninitialized_fill7functorINS0_10device_ptrIyEEyEEmLj1EEEvT0_T1_SA_,comdat
.Lfunc_end236:
	.size	_ZN6thrust23THRUST_200600_302600_NS11hip_rocprim14__parallel_for6kernelILj256ENS1_20__uninitialized_fill7functorINS0_10device_ptrIyEEyEEmLj1EEEvT0_T1_SA_, .Lfunc_end236-_ZN6thrust23THRUST_200600_302600_NS11hip_rocprim14__parallel_for6kernelILj256ENS1_20__uninitialized_fill7functorINS0_10device_ptrIyEEyEEmLj1EEEvT0_T1_SA_
                                        ; -- End function
	.section	.AMDGPU.csdata,"",@progbits
; Kernel info:
; codeLenInByte = 160
; NumSgprs: 18
; NumVgprs: 4
; ScratchSize: 0
; MemoryBound: 0
; FloatMode: 240
; IeeeMode: 1
; LDSByteSize: 0 bytes/workgroup (compile time only)
; SGPRBlocks: 2
; VGPRBlocks: 0
; NumSGPRsForWavesPerEU: 18
; NumVGPRsForWavesPerEU: 4
; Occupancy: 16
; WaveLimiterHint : 0
; COMPUTE_PGM_RSRC2:SCRATCH_EN: 0
; COMPUTE_PGM_RSRC2:USER_SGPR: 15
; COMPUTE_PGM_RSRC2:TRAP_HANDLER: 0
; COMPUTE_PGM_RSRC2:TGID_X_EN: 1
; COMPUTE_PGM_RSRC2:TGID_Y_EN: 0
; COMPUTE_PGM_RSRC2:TGID_Z_EN: 0
; COMPUTE_PGM_RSRC2:TIDIG_COMP_CNT: 0
	.section	.text._ZN7rocprim17ROCPRIM_400000_NS6detail25reduce_by_key_init_kernelINS1_19lookback_scan_stateINS0_5tupleIJjyEEELb0ELb0EEEyNS1_16block_id_wrapperIjLb0EEEEEvT_jbjPmPT0_T1_,"axG",@progbits,_ZN7rocprim17ROCPRIM_400000_NS6detail25reduce_by_key_init_kernelINS1_19lookback_scan_stateINS0_5tupleIJjyEEELb0ELb0EEEyNS1_16block_id_wrapperIjLb0EEEEEvT_jbjPmPT0_T1_,comdat
	.protected	_ZN7rocprim17ROCPRIM_400000_NS6detail25reduce_by_key_init_kernelINS1_19lookback_scan_stateINS0_5tupleIJjyEEELb0ELb0EEEyNS1_16block_id_wrapperIjLb0EEEEEvT_jbjPmPT0_T1_ ; -- Begin function _ZN7rocprim17ROCPRIM_400000_NS6detail25reduce_by_key_init_kernelINS1_19lookback_scan_stateINS0_5tupleIJjyEEELb0ELb0EEEyNS1_16block_id_wrapperIjLb0EEEEEvT_jbjPmPT0_T1_
	.globl	_ZN7rocprim17ROCPRIM_400000_NS6detail25reduce_by_key_init_kernelINS1_19lookback_scan_stateINS0_5tupleIJjyEEELb0ELb0EEEyNS1_16block_id_wrapperIjLb0EEEEEvT_jbjPmPT0_T1_
	.p2align	8
	.type	_ZN7rocprim17ROCPRIM_400000_NS6detail25reduce_by_key_init_kernelINS1_19lookback_scan_stateINS0_5tupleIJjyEEELb0ELb0EEEyNS1_16block_id_wrapperIjLb0EEEEEvT_jbjPmPT0_T1_,@function
_ZN7rocprim17ROCPRIM_400000_NS6detail25reduce_by_key_init_kernelINS1_19lookback_scan_stateINS0_5tupleIJjyEEELb0ELb0EEEyNS1_16block_id_wrapperIjLb0EEEEEvT_jbjPmPT0_T1_: ; @_ZN7rocprim17ROCPRIM_400000_NS6detail25reduce_by_key_init_kernelINS1_19lookback_scan_stateINS0_5tupleIJjyEEELb0ELb0EEEyNS1_16block_id_wrapperIjLb0EEEEEvT_jbjPmPT0_T1_
; %bb.0:
	s_clause 0x2
	s_load_b32 s2, s[0:1], 0x4c
	s_load_b256 s[4:11], s[0:1], 0x18
	s_load_b64 s[12:13], s[0:1], 0x10
	s_waitcnt lgkmcnt(0)
	s_and_b32 s2, s2, 0xffff
	s_delay_alu instid0(SALU_CYCLE_1) | instskip(SKIP_1) | instid1(SALU_CYCLE_1)
	v_mad_u64_u32 v[1:2], null, s15, s2, v[0:1]
	s_and_b32 s2, s5, 1
	s_cmp_eq_u32 s2, 0
	s_mov_b32 s2, -1
	s_cbranch_scc1 .LBB237_7
; %bb.1:
	s_and_not1_b32 vcc_lo, exec_lo, s2
	s_cbranch_vccz .LBB237_13
.LBB237_2:
	s_mov_b32 s0, exec_lo
	v_cmpx_gt_u32_e64 s4, v1
	s_cbranch_execz .LBB237_4
.LBB237_3:
	v_add_nc_u32_e32 v0, 32, v1
	v_mov_b32_e32 v2, 0
	global_store_b8 v0, v2, s[12:13]
.LBB237_4:
	s_or_b32 exec_lo, exec_lo, s0
	s_delay_alu instid0(SALU_CYCLE_1)
	s_mov_b32 s0, exec_lo
	v_cmpx_gt_u32_e32 32, v1
	s_cbranch_execz .LBB237_6
; %bb.5:
	v_mov_b32_e32 v0, 0xff
	global_store_b8 v1, v0, s[12:13]
.LBB237_6:
	s_nop 0
	s_sendmsg sendmsg(MSG_DEALLOC_VGPRS)
	s_endpgm
.LBB237_7:
	s_cmp_lt_u32 s6, s4
	s_mov_b32 s5, exec_lo
	s_cselect_b32 s2, s6, 0
	s_delay_alu instid0(SALU_CYCLE_1)
	v_cmpx_eq_u32_e64 s2, v1
	s_cbranch_execz .LBB237_12
; %bb.8:
	s_add_i32 s6, s6, 32
	s_load_b128 s[0:3], s[0:1], 0x0
	v_mov_b32_e32 v0, s6
	s_add_u32 s14, s12, s6
	s_addc_u32 s15, s13, 0
	s_mov_b32 s7, 0
	global_load_u8 v0, v0, s[12:13] glc
	s_waitcnt vmcnt(0)
	v_cmp_ne_u16_e32 vcc_lo, 0, v0
	v_readfirstlane_b32 s16, v0
	s_cbranch_vccnz .LBB237_11
; %bb.9:
	v_mov_b32_e32 v0, 0
.LBB237_10:                             ; =>This Inner Loop Header: Depth=1
	global_load_u8 v2, v0, s[14:15] glc
	s_waitcnt vmcnt(0)
	v_cmp_eq_u16_e32 vcc_lo, 0, v2
	v_readfirstlane_b32 s16, v2
	s_cbranch_vccnz .LBB237_10
.LBB237_11:
	s_delay_alu instid0(VALU_DEP_1)
	s_and_b32 s14, 0xffff, s16
	v_mov_b32_e32 v0, 0
	s_cmp_eq_u32 s14, 1
	s_waitcnt lgkmcnt(0)
	buffer_gl1_inv
	buffer_gl0_inv
	s_cselect_b32 s3, s1, s3
	s_cselect_b32 s2, s0, s2
	s_lshl_b64 s[0:1], s[6:7], 4
	s_delay_alu instid0(SALU_CYCLE_1)
	s_add_u32 s0, s2, s0
	s_addc_u32 s1, s3, s1
	s_clause 0x2
	global_load_b64 v[2:3], v0, s[8:9]
	global_load_b32 v6, v0, s[0:1]
	global_load_b64 v[4:5], v0, s[0:1] offset:8
	s_waitcnt vmcnt(1)
	v_add_co_u32 v2, vcc_lo, v2, v6
	v_add_co_ci_u32_e32 v3, vcc_lo, 0, v3, vcc_lo
	global_store_b64 v0, v[2:3], s[8:9]
	s_waitcnt vmcnt(0)
	global_store_b64 v0, v[4:5], s[10:11]
.LBB237_12:
	s_or_b32 exec_lo, exec_lo, s5
	s_cbranch_execnz .LBB237_2
.LBB237_13:
	s_delay_alu instid0(VALU_DEP_1) | instskip(SKIP_2) | instid1(SALU_CYCLE_1)
	v_cmp_eq_u32_e32 vcc_lo, 0, v1
	s_cmp_lg_u64 s[8:9], 0
	s_cselect_b32 s0, -1, 0
	s_and_b32 s1, s0, vcc_lo
	s_delay_alu instid0(SALU_CYCLE_1)
	s_and_saveexec_b32 s0, s1
	s_cbranch_execz .LBB237_15
; %bb.14:
	v_mov_b32_e32 v2, 0
	s_delay_alu instid0(VALU_DEP_1)
	v_mov_b32_e32 v3, v2
	global_store_b64 v2, v[2:3], s[8:9]
.LBB237_15:
	s_or_b32 exec_lo, exec_lo, s0
	s_delay_alu instid0(SALU_CYCLE_1)
	s_mov_b32 s0, exec_lo
	v_cmpx_gt_u32_e64 s4, v1
	s_cbranch_execnz .LBB237_3
	s_branch .LBB237_4
	.section	.rodata,"a",@progbits
	.p2align	6, 0x0
	.amdhsa_kernel _ZN7rocprim17ROCPRIM_400000_NS6detail25reduce_by_key_init_kernelINS1_19lookback_scan_stateINS0_5tupleIJjyEEELb0ELb0EEEyNS1_16block_id_wrapperIjLb0EEEEEvT_jbjPmPT0_T1_
		.amdhsa_group_segment_fixed_size 0
		.amdhsa_private_segment_fixed_size 0
		.amdhsa_kernarg_size 320
		.amdhsa_user_sgpr_count 15
		.amdhsa_user_sgpr_dispatch_ptr 0
		.amdhsa_user_sgpr_queue_ptr 0
		.amdhsa_user_sgpr_kernarg_segment_ptr 1
		.amdhsa_user_sgpr_dispatch_id 0
		.amdhsa_user_sgpr_private_segment_size 0
		.amdhsa_wavefront_size32 1
		.amdhsa_uses_dynamic_stack 0
		.amdhsa_enable_private_segment 0
		.amdhsa_system_sgpr_workgroup_id_x 1
		.amdhsa_system_sgpr_workgroup_id_y 0
		.amdhsa_system_sgpr_workgroup_id_z 0
		.amdhsa_system_sgpr_workgroup_info 0
		.amdhsa_system_vgpr_workitem_id 0
		.amdhsa_next_free_vgpr 7
		.amdhsa_next_free_sgpr 17
		.amdhsa_reserve_vcc 1
		.amdhsa_float_round_mode_32 0
		.amdhsa_float_round_mode_16_64 0
		.amdhsa_float_denorm_mode_32 3
		.amdhsa_float_denorm_mode_16_64 3
		.amdhsa_dx10_clamp 1
		.amdhsa_ieee_mode 1
		.amdhsa_fp16_overflow 0
		.amdhsa_workgroup_processor_mode 1
		.amdhsa_memory_ordered 1
		.amdhsa_forward_progress 0
		.amdhsa_shared_vgpr_count 0
		.amdhsa_exception_fp_ieee_invalid_op 0
		.amdhsa_exception_fp_denorm_src 0
		.amdhsa_exception_fp_ieee_div_zero 0
		.amdhsa_exception_fp_ieee_overflow 0
		.amdhsa_exception_fp_ieee_underflow 0
		.amdhsa_exception_fp_ieee_inexact 0
		.amdhsa_exception_int_div_zero 0
	.end_amdhsa_kernel
	.section	.text._ZN7rocprim17ROCPRIM_400000_NS6detail25reduce_by_key_init_kernelINS1_19lookback_scan_stateINS0_5tupleIJjyEEELb0ELb0EEEyNS1_16block_id_wrapperIjLb0EEEEEvT_jbjPmPT0_T1_,"axG",@progbits,_ZN7rocprim17ROCPRIM_400000_NS6detail25reduce_by_key_init_kernelINS1_19lookback_scan_stateINS0_5tupleIJjyEEELb0ELb0EEEyNS1_16block_id_wrapperIjLb0EEEEEvT_jbjPmPT0_T1_,comdat
.Lfunc_end237:
	.size	_ZN7rocprim17ROCPRIM_400000_NS6detail25reduce_by_key_init_kernelINS1_19lookback_scan_stateINS0_5tupleIJjyEEELb0ELb0EEEyNS1_16block_id_wrapperIjLb0EEEEEvT_jbjPmPT0_T1_, .Lfunc_end237-_ZN7rocprim17ROCPRIM_400000_NS6detail25reduce_by_key_init_kernelINS1_19lookback_scan_stateINS0_5tupleIJjyEEELb0ELb0EEEyNS1_16block_id_wrapperIjLb0EEEEEvT_jbjPmPT0_T1_
                                        ; -- End function
	.section	.AMDGPU.csdata,"",@progbits
; Kernel info:
; codeLenInByte = 480
; NumSgprs: 19
; NumVgprs: 7
; ScratchSize: 0
; MemoryBound: 0
; FloatMode: 240
; IeeeMode: 1
; LDSByteSize: 0 bytes/workgroup (compile time only)
; SGPRBlocks: 2
; VGPRBlocks: 0
; NumSGPRsForWavesPerEU: 19
; NumVGPRsForWavesPerEU: 7
; Occupancy: 16
; WaveLimiterHint : 0
; COMPUTE_PGM_RSRC2:SCRATCH_EN: 0
; COMPUTE_PGM_RSRC2:USER_SGPR: 15
; COMPUTE_PGM_RSRC2:TRAP_HANDLER: 0
; COMPUTE_PGM_RSRC2:TGID_X_EN: 1
; COMPUTE_PGM_RSRC2:TGID_Y_EN: 0
; COMPUTE_PGM_RSRC2:TGID_Z_EN: 0
; COMPUTE_PGM_RSRC2:TIDIG_COMP_CNT: 0
	.section	.text._ZN7rocprim17ROCPRIM_400000_NS6detail17trampoline_kernelINS0_14default_configENS1_29reduce_by_key_config_selectorIyyN6thrust23THRUST_200600_302600_NS4plusIyEEEEZZNS1_33reduce_by_key_impl_wrapped_configILNS1_25lookback_scan_determinismE0ES3_S9_NS6_6detail15normal_iteratorINS6_10device_ptrIyEEEESG_SG_SG_PmS8_NS6_8equal_toIyEEEE10hipError_tPvRmT2_T3_mT4_T5_T6_T7_T8_P12ihipStream_tbENKUlT_T0_E_clISt17integral_constantIbLb0EES11_EEDaSW_SX_EUlSW_E_NS1_11comp_targetILNS1_3genE0ELNS1_11target_archE4294967295ELNS1_3gpuE0ELNS1_3repE0EEENS1_30default_config_static_selectorELNS0_4arch9wavefront6targetE0EEEvT1_,"axG",@progbits,_ZN7rocprim17ROCPRIM_400000_NS6detail17trampoline_kernelINS0_14default_configENS1_29reduce_by_key_config_selectorIyyN6thrust23THRUST_200600_302600_NS4plusIyEEEEZZNS1_33reduce_by_key_impl_wrapped_configILNS1_25lookback_scan_determinismE0ES3_S9_NS6_6detail15normal_iteratorINS6_10device_ptrIyEEEESG_SG_SG_PmS8_NS6_8equal_toIyEEEE10hipError_tPvRmT2_T3_mT4_T5_T6_T7_T8_P12ihipStream_tbENKUlT_T0_E_clISt17integral_constantIbLb0EES11_EEDaSW_SX_EUlSW_E_NS1_11comp_targetILNS1_3genE0ELNS1_11target_archE4294967295ELNS1_3gpuE0ELNS1_3repE0EEENS1_30default_config_static_selectorELNS0_4arch9wavefront6targetE0EEEvT1_,comdat
	.protected	_ZN7rocprim17ROCPRIM_400000_NS6detail17trampoline_kernelINS0_14default_configENS1_29reduce_by_key_config_selectorIyyN6thrust23THRUST_200600_302600_NS4plusIyEEEEZZNS1_33reduce_by_key_impl_wrapped_configILNS1_25lookback_scan_determinismE0ES3_S9_NS6_6detail15normal_iteratorINS6_10device_ptrIyEEEESG_SG_SG_PmS8_NS6_8equal_toIyEEEE10hipError_tPvRmT2_T3_mT4_T5_T6_T7_T8_P12ihipStream_tbENKUlT_T0_E_clISt17integral_constantIbLb0EES11_EEDaSW_SX_EUlSW_E_NS1_11comp_targetILNS1_3genE0ELNS1_11target_archE4294967295ELNS1_3gpuE0ELNS1_3repE0EEENS1_30default_config_static_selectorELNS0_4arch9wavefront6targetE0EEEvT1_ ; -- Begin function _ZN7rocprim17ROCPRIM_400000_NS6detail17trampoline_kernelINS0_14default_configENS1_29reduce_by_key_config_selectorIyyN6thrust23THRUST_200600_302600_NS4plusIyEEEEZZNS1_33reduce_by_key_impl_wrapped_configILNS1_25lookback_scan_determinismE0ES3_S9_NS6_6detail15normal_iteratorINS6_10device_ptrIyEEEESG_SG_SG_PmS8_NS6_8equal_toIyEEEE10hipError_tPvRmT2_T3_mT4_T5_T6_T7_T8_P12ihipStream_tbENKUlT_T0_E_clISt17integral_constantIbLb0EES11_EEDaSW_SX_EUlSW_E_NS1_11comp_targetILNS1_3genE0ELNS1_11target_archE4294967295ELNS1_3gpuE0ELNS1_3repE0EEENS1_30default_config_static_selectorELNS0_4arch9wavefront6targetE0EEEvT1_
	.globl	_ZN7rocprim17ROCPRIM_400000_NS6detail17trampoline_kernelINS0_14default_configENS1_29reduce_by_key_config_selectorIyyN6thrust23THRUST_200600_302600_NS4plusIyEEEEZZNS1_33reduce_by_key_impl_wrapped_configILNS1_25lookback_scan_determinismE0ES3_S9_NS6_6detail15normal_iteratorINS6_10device_ptrIyEEEESG_SG_SG_PmS8_NS6_8equal_toIyEEEE10hipError_tPvRmT2_T3_mT4_T5_T6_T7_T8_P12ihipStream_tbENKUlT_T0_E_clISt17integral_constantIbLb0EES11_EEDaSW_SX_EUlSW_E_NS1_11comp_targetILNS1_3genE0ELNS1_11target_archE4294967295ELNS1_3gpuE0ELNS1_3repE0EEENS1_30default_config_static_selectorELNS0_4arch9wavefront6targetE0EEEvT1_
	.p2align	8
	.type	_ZN7rocprim17ROCPRIM_400000_NS6detail17trampoline_kernelINS0_14default_configENS1_29reduce_by_key_config_selectorIyyN6thrust23THRUST_200600_302600_NS4plusIyEEEEZZNS1_33reduce_by_key_impl_wrapped_configILNS1_25lookback_scan_determinismE0ES3_S9_NS6_6detail15normal_iteratorINS6_10device_ptrIyEEEESG_SG_SG_PmS8_NS6_8equal_toIyEEEE10hipError_tPvRmT2_T3_mT4_T5_T6_T7_T8_P12ihipStream_tbENKUlT_T0_E_clISt17integral_constantIbLb0EES11_EEDaSW_SX_EUlSW_E_NS1_11comp_targetILNS1_3genE0ELNS1_11target_archE4294967295ELNS1_3gpuE0ELNS1_3repE0EEENS1_30default_config_static_selectorELNS0_4arch9wavefront6targetE0EEEvT1_,@function
_ZN7rocprim17ROCPRIM_400000_NS6detail17trampoline_kernelINS0_14default_configENS1_29reduce_by_key_config_selectorIyyN6thrust23THRUST_200600_302600_NS4plusIyEEEEZZNS1_33reduce_by_key_impl_wrapped_configILNS1_25lookback_scan_determinismE0ES3_S9_NS6_6detail15normal_iteratorINS6_10device_ptrIyEEEESG_SG_SG_PmS8_NS6_8equal_toIyEEEE10hipError_tPvRmT2_T3_mT4_T5_T6_T7_T8_P12ihipStream_tbENKUlT_T0_E_clISt17integral_constantIbLb0EES11_EEDaSW_SX_EUlSW_E_NS1_11comp_targetILNS1_3genE0ELNS1_11target_archE4294967295ELNS1_3gpuE0ELNS1_3repE0EEENS1_30default_config_static_selectorELNS0_4arch9wavefront6targetE0EEEvT1_: ; @_ZN7rocprim17ROCPRIM_400000_NS6detail17trampoline_kernelINS0_14default_configENS1_29reduce_by_key_config_selectorIyyN6thrust23THRUST_200600_302600_NS4plusIyEEEEZZNS1_33reduce_by_key_impl_wrapped_configILNS1_25lookback_scan_determinismE0ES3_S9_NS6_6detail15normal_iteratorINS6_10device_ptrIyEEEESG_SG_SG_PmS8_NS6_8equal_toIyEEEE10hipError_tPvRmT2_T3_mT4_T5_T6_T7_T8_P12ihipStream_tbENKUlT_T0_E_clISt17integral_constantIbLb0EES11_EEDaSW_SX_EUlSW_E_NS1_11comp_targetILNS1_3genE0ELNS1_11target_archE4294967295ELNS1_3gpuE0ELNS1_3repE0EEENS1_30default_config_static_selectorELNS0_4arch9wavefront6targetE0EEEvT1_
; %bb.0:
	.section	.rodata,"a",@progbits
	.p2align	6, 0x0
	.amdhsa_kernel _ZN7rocprim17ROCPRIM_400000_NS6detail17trampoline_kernelINS0_14default_configENS1_29reduce_by_key_config_selectorIyyN6thrust23THRUST_200600_302600_NS4plusIyEEEEZZNS1_33reduce_by_key_impl_wrapped_configILNS1_25lookback_scan_determinismE0ES3_S9_NS6_6detail15normal_iteratorINS6_10device_ptrIyEEEESG_SG_SG_PmS8_NS6_8equal_toIyEEEE10hipError_tPvRmT2_T3_mT4_T5_T6_T7_T8_P12ihipStream_tbENKUlT_T0_E_clISt17integral_constantIbLb0EES11_EEDaSW_SX_EUlSW_E_NS1_11comp_targetILNS1_3genE0ELNS1_11target_archE4294967295ELNS1_3gpuE0ELNS1_3repE0EEENS1_30default_config_static_selectorELNS0_4arch9wavefront6targetE0EEEvT1_
		.amdhsa_group_segment_fixed_size 0
		.amdhsa_private_segment_fixed_size 0
		.amdhsa_kernarg_size 136
		.amdhsa_user_sgpr_count 15
		.amdhsa_user_sgpr_dispatch_ptr 0
		.amdhsa_user_sgpr_queue_ptr 0
		.amdhsa_user_sgpr_kernarg_segment_ptr 1
		.amdhsa_user_sgpr_dispatch_id 0
		.amdhsa_user_sgpr_private_segment_size 0
		.amdhsa_wavefront_size32 1
		.amdhsa_uses_dynamic_stack 0
		.amdhsa_enable_private_segment 0
		.amdhsa_system_sgpr_workgroup_id_x 1
		.amdhsa_system_sgpr_workgroup_id_y 0
		.amdhsa_system_sgpr_workgroup_id_z 0
		.amdhsa_system_sgpr_workgroup_info 0
		.amdhsa_system_vgpr_workitem_id 0
		.amdhsa_next_free_vgpr 1
		.amdhsa_next_free_sgpr 1
		.amdhsa_reserve_vcc 0
		.amdhsa_float_round_mode_32 0
		.amdhsa_float_round_mode_16_64 0
		.amdhsa_float_denorm_mode_32 3
		.amdhsa_float_denorm_mode_16_64 3
		.amdhsa_dx10_clamp 1
		.amdhsa_ieee_mode 1
		.amdhsa_fp16_overflow 0
		.amdhsa_workgroup_processor_mode 1
		.amdhsa_memory_ordered 1
		.amdhsa_forward_progress 0
		.amdhsa_shared_vgpr_count 0
		.amdhsa_exception_fp_ieee_invalid_op 0
		.amdhsa_exception_fp_denorm_src 0
		.amdhsa_exception_fp_ieee_div_zero 0
		.amdhsa_exception_fp_ieee_overflow 0
		.amdhsa_exception_fp_ieee_underflow 0
		.amdhsa_exception_fp_ieee_inexact 0
		.amdhsa_exception_int_div_zero 0
	.end_amdhsa_kernel
	.section	.text._ZN7rocprim17ROCPRIM_400000_NS6detail17trampoline_kernelINS0_14default_configENS1_29reduce_by_key_config_selectorIyyN6thrust23THRUST_200600_302600_NS4plusIyEEEEZZNS1_33reduce_by_key_impl_wrapped_configILNS1_25lookback_scan_determinismE0ES3_S9_NS6_6detail15normal_iteratorINS6_10device_ptrIyEEEESG_SG_SG_PmS8_NS6_8equal_toIyEEEE10hipError_tPvRmT2_T3_mT4_T5_T6_T7_T8_P12ihipStream_tbENKUlT_T0_E_clISt17integral_constantIbLb0EES11_EEDaSW_SX_EUlSW_E_NS1_11comp_targetILNS1_3genE0ELNS1_11target_archE4294967295ELNS1_3gpuE0ELNS1_3repE0EEENS1_30default_config_static_selectorELNS0_4arch9wavefront6targetE0EEEvT1_,"axG",@progbits,_ZN7rocprim17ROCPRIM_400000_NS6detail17trampoline_kernelINS0_14default_configENS1_29reduce_by_key_config_selectorIyyN6thrust23THRUST_200600_302600_NS4plusIyEEEEZZNS1_33reduce_by_key_impl_wrapped_configILNS1_25lookback_scan_determinismE0ES3_S9_NS6_6detail15normal_iteratorINS6_10device_ptrIyEEEESG_SG_SG_PmS8_NS6_8equal_toIyEEEE10hipError_tPvRmT2_T3_mT4_T5_T6_T7_T8_P12ihipStream_tbENKUlT_T0_E_clISt17integral_constantIbLb0EES11_EEDaSW_SX_EUlSW_E_NS1_11comp_targetILNS1_3genE0ELNS1_11target_archE4294967295ELNS1_3gpuE0ELNS1_3repE0EEENS1_30default_config_static_selectorELNS0_4arch9wavefront6targetE0EEEvT1_,comdat
.Lfunc_end238:
	.size	_ZN7rocprim17ROCPRIM_400000_NS6detail17trampoline_kernelINS0_14default_configENS1_29reduce_by_key_config_selectorIyyN6thrust23THRUST_200600_302600_NS4plusIyEEEEZZNS1_33reduce_by_key_impl_wrapped_configILNS1_25lookback_scan_determinismE0ES3_S9_NS6_6detail15normal_iteratorINS6_10device_ptrIyEEEESG_SG_SG_PmS8_NS6_8equal_toIyEEEE10hipError_tPvRmT2_T3_mT4_T5_T6_T7_T8_P12ihipStream_tbENKUlT_T0_E_clISt17integral_constantIbLb0EES11_EEDaSW_SX_EUlSW_E_NS1_11comp_targetILNS1_3genE0ELNS1_11target_archE4294967295ELNS1_3gpuE0ELNS1_3repE0EEENS1_30default_config_static_selectorELNS0_4arch9wavefront6targetE0EEEvT1_, .Lfunc_end238-_ZN7rocprim17ROCPRIM_400000_NS6detail17trampoline_kernelINS0_14default_configENS1_29reduce_by_key_config_selectorIyyN6thrust23THRUST_200600_302600_NS4plusIyEEEEZZNS1_33reduce_by_key_impl_wrapped_configILNS1_25lookback_scan_determinismE0ES3_S9_NS6_6detail15normal_iteratorINS6_10device_ptrIyEEEESG_SG_SG_PmS8_NS6_8equal_toIyEEEE10hipError_tPvRmT2_T3_mT4_T5_T6_T7_T8_P12ihipStream_tbENKUlT_T0_E_clISt17integral_constantIbLb0EES11_EEDaSW_SX_EUlSW_E_NS1_11comp_targetILNS1_3genE0ELNS1_11target_archE4294967295ELNS1_3gpuE0ELNS1_3repE0EEENS1_30default_config_static_selectorELNS0_4arch9wavefront6targetE0EEEvT1_
                                        ; -- End function
	.section	.AMDGPU.csdata,"",@progbits
; Kernel info:
; codeLenInByte = 0
; NumSgprs: 0
; NumVgprs: 0
; ScratchSize: 0
; MemoryBound: 0
; FloatMode: 240
; IeeeMode: 1
; LDSByteSize: 0 bytes/workgroup (compile time only)
; SGPRBlocks: 0
; VGPRBlocks: 0
; NumSGPRsForWavesPerEU: 1
; NumVGPRsForWavesPerEU: 1
; Occupancy: 16
; WaveLimiterHint : 0
; COMPUTE_PGM_RSRC2:SCRATCH_EN: 0
; COMPUTE_PGM_RSRC2:USER_SGPR: 15
; COMPUTE_PGM_RSRC2:TRAP_HANDLER: 0
; COMPUTE_PGM_RSRC2:TGID_X_EN: 1
; COMPUTE_PGM_RSRC2:TGID_Y_EN: 0
; COMPUTE_PGM_RSRC2:TGID_Z_EN: 0
; COMPUTE_PGM_RSRC2:TIDIG_COMP_CNT: 0
	.section	.text._ZN7rocprim17ROCPRIM_400000_NS6detail17trampoline_kernelINS0_14default_configENS1_29reduce_by_key_config_selectorIyyN6thrust23THRUST_200600_302600_NS4plusIyEEEEZZNS1_33reduce_by_key_impl_wrapped_configILNS1_25lookback_scan_determinismE0ES3_S9_NS6_6detail15normal_iteratorINS6_10device_ptrIyEEEESG_SG_SG_PmS8_NS6_8equal_toIyEEEE10hipError_tPvRmT2_T3_mT4_T5_T6_T7_T8_P12ihipStream_tbENKUlT_T0_E_clISt17integral_constantIbLb0EES11_EEDaSW_SX_EUlSW_E_NS1_11comp_targetILNS1_3genE5ELNS1_11target_archE942ELNS1_3gpuE9ELNS1_3repE0EEENS1_30default_config_static_selectorELNS0_4arch9wavefront6targetE0EEEvT1_,"axG",@progbits,_ZN7rocprim17ROCPRIM_400000_NS6detail17trampoline_kernelINS0_14default_configENS1_29reduce_by_key_config_selectorIyyN6thrust23THRUST_200600_302600_NS4plusIyEEEEZZNS1_33reduce_by_key_impl_wrapped_configILNS1_25lookback_scan_determinismE0ES3_S9_NS6_6detail15normal_iteratorINS6_10device_ptrIyEEEESG_SG_SG_PmS8_NS6_8equal_toIyEEEE10hipError_tPvRmT2_T3_mT4_T5_T6_T7_T8_P12ihipStream_tbENKUlT_T0_E_clISt17integral_constantIbLb0EES11_EEDaSW_SX_EUlSW_E_NS1_11comp_targetILNS1_3genE5ELNS1_11target_archE942ELNS1_3gpuE9ELNS1_3repE0EEENS1_30default_config_static_selectorELNS0_4arch9wavefront6targetE0EEEvT1_,comdat
	.protected	_ZN7rocprim17ROCPRIM_400000_NS6detail17trampoline_kernelINS0_14default_configENS1_29reduce_by_key_config_selectorIyyN6thrust23THRUST_200600_302600_NS4plusIyEEEEZZNS1_33reduce_by_key_impl_wrapped_configILNS1_25lookback_scan_determinismE0ES3_S9_NS6_6detail15normal_iteratorINS6_10device_ptrIyEEEESG_SG_SG_PmS8_NS6_8equal_toIyEEEE10hipError_tPvRmT2_T3_mT4_T5_T6_T7_T8_P12ihipStream_tbENKUlT_T0_E_clISt17integral_constantIbLb0EES11_EEDaSW_SX_EUlSW_E_NS1_11comp_targetILNS1_3genE5ELNS1_11target_archE942ELNS1_3gpuE9ELNS1_3repE0EEENS1_30default_config_static_selectorELNS0_4arch9wavefront6targetE0EEEvT1_ ; -- Begin function _ZN7rocprim17ROCPRIM_400000_NS6detail17trampoline_kernelINS0_14default_configENS1_29reduce_by_key_config_selectorIyyN6thrust23THRUST_200600_302600_NS4plusIyEEEEZZNS1_33reduce_by_key_impl_wrapped_configILNS1_25lookback_scan_determinismE0ES3_S9_NS6_6detail15normal_iteratorINS6_10device_ptrIyEEEESG_SG_SG_PmS8_NS6_8equal_toIyEEEE10hipError_tPvRmT2_T3_mT4_T5_T6_T7_T8_P12ihipStream_tbENKUlT_T0_E_clISt17integral_constantIbLb0EES11_EEDaSW_SX_EUlSW_E_NS1_11comp_targetILNS1_3genE5ELNS1_11target_archE942ELNS1_3gpuE9ELNS1_3repE0EEENS1_30default_config_static_selectorELNS0_4arch9wavefront6targetE0EEEvT1_
	.globl	_ZN7rocprim17ROCPRIM_400000_NS6detail17trampoline_kernelINS0_14default_configENS1_29reduce_by_key_config_selectorIyyN6thrust23THRUST_200600_302600_NS4plusIyEEEEZZNS1_33reduce_by_key_impl_wrapped_configILNS1_25lookback_scan_determinismE0ES3_S9_NS6_6detail15normal_iteratorINS6_10device_ptrIyEEEESG_SG_SG_PmS8_NS6_8equal_toIyEEEE10hipError_tPvRmT2_T3_mT4_T5_T6_T7_T8_P12ihipStream_tbENKUlT_T0_E_clISt17integral_constantIbLb0EES11_EEDaSW_SX_EUlSW_E_NS1_11comp_targetILNS1_3genE5ELNS1_11target_archE942ELNS1_3gpuE9ELNS1_3repE0EEENS1_30default_config_static_selectorELNS0_4arch9wavefront6targetE0EEEvT1_
	.p2align	8
	.type	_ZN7rocprim17ROCPRIM_400000_NS6detail17trampoline_kernelINS0_14default_configENS1_29reduce_by_key_config_selectorIyyN6thrust23THRUST_200600_302600_NS4plusIyEEEEZZNS1_33reduce_by_key_impl_wrapped_configILNS1_25lookback_scan_determinismE0ES3_S9_NS6_6detail15normal_iteratorINS6_10device_ptrIyEEEESG_SG_SG_PmS8_NS6_8equal_toIyEEEE10hipError_tPvRmT2_T3_mT4_T5_T6_T7_T8_P12ihipStream_tbENKUlT_T0_E_clISt17integral_constantIbLb0EES11_EEDaSW_SX_EUlSW_E_NS1_11comp_targetILNS1_3genE5ELNS1_11target_archE942ELNS1_3gpuE9ELNS1_3repE0EEENS1_30default_config_static_selectorELNS0_4arch9wavefront6targetE0EEEvT1_,@function
_ZN7rocprim17ROCPRIM_400000_NS6detail17trampoline_kernelINS0_14default_configENS1_29reduce_by_key_config_selectorIyyN6thrust23THRUST_200600_302600_NS4plusIyEEEEZZNS1_33reduce_by_key_impl_wrapped_configILNS1_25lookback_scan_determinismE0ES3_S9_NS6_6detail15normal_iteratorINS6_10device_ptrIyEEEESG_SG_SG_PmS8_NS6_8equal_toIyEEEE10hipError_tPvRmT2_T3_mT4_T5_T6_T7_T8_P12ihipStream_tbENKUlT_T0_E_clISt17integral_constantIbLb0EES11_EEDaSW_SX_EUlSW_E_NS1_11comp_targetILNS1_3genE5ELNS1_11target_archE942ELNS1_3gpuE9ELNS1_3repE0EEENS1_30default_config_static_selectorELNS0_4arch9wavefront6targetE0EEEvT1_: ; @_ZN7rocprim17ROCPRIM_400000_NS6detail17trampoline_kernelINS0_14default_configENS1_29reduce_by_key_config_selectorIyyN6thrust23THRUST_200600_302600_NS4plusIyEEEEZZNS1_33reduce_by_key_impl_wrapped_configILNS1_25lookback_scan_determinismE0ES3_S9_NS6_6detail15normal_iteratorINS6_10device_ptrIyEEEESG_SG_SG_PmS8_NS6_8equal_toIyEEEE10hipError_tPvRmT2_T3_mT4_T5_T6_T7_T8_P12ihipStream_tbENKUlT_T0_E_clISt17integral_constantIbLb0EES11_EEDaSW_SX_EUlSW_E_NS1_11comp_targetILNS1_3genE5ELNS1_11target_archE942ELNS1_3gpuE9ELNS1_3repE0EEENS1_30default_config_static_selectorELNS0_4arch9wavefront6targetE0EEEvT1_
; %bb.0:
	.section	.rodata,"a",@progbits
	.p2align	6, 0x0
	.amdhsa_kernel _ZN7rocprim17ROCPRIM_400000_NS6detail17trampoline_kernelINS0_14default_configENS1_29reduce_by_key_config_selectorIyyN6thrust23THRUST_200600_302600_NS4plusIyEEEEZZNS1_33reduce_by_key_impl_wrapped_configILNS1_25lookback_scan_determinismE0ES3_S9_NS6_6detail15normal_iteratorINS6_10device_ptrIyEEEESG_SG_SG_PmS8_NS6_8equal_toIyEEEE10hipError_tPvRmT2_T3_mT4_T5_T6_T7_T8_P12ihipStream_tbENKUlT_T0_E_clISt17integral_constantIbLb0EES11_EEDaSW_SX_EUlSW_E_NS1_11comp_targetILNS1_3genE5ELNS1_11target_archE942ELNS1_3gpuE9ELNS1_3repE0EEENS1_30default_config_static_selectorELNS0_4arch9wavefront6targetE0EEEvT1_
		.amdhsa_group_segment_fixed_size 0
		.amdhsa_private_segment_fixed_size 0
		.amdhsa_kernarg_size 136
		.amdhsa_user_sgpr_count 15
		.amdhsa_user_sgpr_dispatch_ptr 0
		.amdhsa_user_sgpr_queue_ptr 0
		.amdhsa_user_sgpr_kernarg_segment_ptr 1
		.amdhsa_user_sgpr_dispatch_id 0
		.amdhsa_user_sgpr_private_segment_size 0
		.amdhsa_wavefront_size32 1
		.amdhsa_uses_dynamic_stack 0
		.amdhsa_enable_private_segment 0
		.amdhsa_system_sgpr_workgroup_id_x 1
		.amdhsa_system_sgpr_workgroup_id_y 0
		.amdhsa_system_sgpr_workgroup_id_z 0
		.amdhsa_system_sgpr_workgroup_info 0
		.amdhsa_system_vgpr_workitem_id 0
		.amdhsa_next_free_vgpr 1
		.amdhsa_next_free_sgpr 1
		.amdhsa_reserve_vcc 0
		.amdhsa_float_round_mode_32 0
		.amdhsa_float_round_mode_16_64 0
		.amdhsa_float_denorm_mode_32 3
		.amdhsa_float_denorm_mode_16_64 3
		.amdhsa_dx10_clamp 1
		.amdhsa_ieee_mode 1
		.amdhsa_fp16_overflow 0
		.amdhsa_workgroup_processor_mode 1
		.amdhsa_memory_ordered 1
		.amdhsa_forward_progress 0
		.amdhsa_shared_vgpr_count 0
		.amdhsa_exception_fp_ieee_invalid_op 0
		.amdhsa_exception_fp_denorm_src 0
		.amdhsa_exception_fp_ieee_div_zero 0
		.amdhsa_exception_fp_ieee_overflow 0
		.amdhsa_exception_fp_ieee_underflow 0
		.amdhsa_exception_fp_ieee_inexact 0
		.amdhsa_exception_int_div_zero 0
	.end_amdhsa_kernel
	.section	.text._ZN7rocprim17ROCPRIM_400000_NS6detail17trampoline_kernelINS0_14default_configENS1_29reduce_by_key_config_selectorIyyN6thrust23THRUST_200600_302600_NS4plusIyEEEEZZNS1_33reduce_by_key_impl_wrapped_configILNS1_25lookback_scan_determinismE0ES3_S9_NS6_6detail15normal_iteratorINS6_10device_ptrIyEEEESG_SG_SG_PmS8_NS6_8equal_toIyEEEE10hipError_tPvRmT2_T3_mT4_T5_T6_T7_T8_P12ihipStream_tbENKUlT_T0_E_clISt17integral_constantIbLb0EES11_EEDaSW_SX_EUlSW_E_NS1_11comp_targetILNS1_3genE5ELNS1_11target_archE942ELNS1_3gpuE9ELNS1_3repE0EEENS1_30default_config_static_selectorELNS0_4arch9wavefront6targetE0EEEvT1_,"axG",@progbits,_ZN7rocprim17ROCPRIM_400000_NS6detail17trampoline_kernelINS0_14default_configENS1_29reduce_by_key_config_selectorIyyN6thrust23THRUST_200600_302600_NS4plusIyEEEEZZNS1_33reduce_by_key_impl_wrapped_configILNS1_25lookback_scan_determinismE0ES3_S9_NS6_6detail15normal_iteratorINS6_10device_ptrIyEEEESG_SG_SG_PmS8_NS6_8equal_toIyEEEE10hipError_tPvRmT2_T3_mT4_T5_T6_T7_T8_P12ihipStream_tbENKUlT_T0_E_clISt17integral_constantIbLb0EES11_EEDaSW_SX_EUlSW_E_NS1_11comp_targetILNS1_3genE5ELNS1_11target_archE942ELNS1_3gpuE9ELNS1_3repE0EEENS1_30default_config_static_selectorELNS0_4arch9wavefront6targetE0EEEvT1_,comdat
.Lfunc_end239:
	.size	_ZN7rocprim17ROCPRIM_400000_NS6detail17trampoline_kernelINS0_14default_configENS1_29reduce_by_key_config_selectorIyyN6thrust23THRUST_200600_302600_NS4plusIyEEEEZZNS1_33reduce_by_key_impl_wrapped_configILNS1_25lookback_scan_determinismE0ES3_S9_NS6_6detail15normal_iteratorINS6_10device_ptrIyEEEESG_SG_SG_PmS8_NS6_8equal_toIyEEEE10hipError_tPvRmT2_T3_mT4_T5_T6_T7_T8_P12ihipStream_tbENKUlT_T0_E_clISt17integral_constantIbLb0EES11_EEDaSW_SX_EUlSW_E_NS1_11comp_targetILNS1_3genE5ELNS1_11target_archE942ELNS1_3gpuE9ELNS1_3repE0EEENS1_30default_config_static_selectorELNS0_4arch9wavefront6targetE0EEEvT1_, .Lfunc_end239-_ZN7rocprim17ROCPRIM_400000_NS6detail17trampoline_kernelINS0_14default_configENS1_29reduce_by_key_config_selectorIyyN6thrust23THRUST_200600_302600_NS4plusIyEEEEZZNS1_33reduce_by_key_impl_wrapped_configILNS1_25lookback_scan_determinismE0ES3_S9_NS6_6detail15normal_iteratorINS6_10device_ptrIyEEEESG_SG_SG_PmS8_NS6_8equal_toIyEEEE10hipError_tPvRmT2_T3_mT4_T5_T6_T7_T8_P12ihipStream_tbENKUlT_T0_E_clISt17integral_constantIbLb0EES11_EEDaSW_SX_EUlSW_E_NS1_11comp_targetILNS1_3genE5ELNS1_11target_archE942ELNS1_3gpuE9ELNS1_3repE0EEENS1_30default_config_static_selectorELNS0_4arch9wavefront6targetE0EEEvT1_
                                        ; -- End function
	.section	.AMDGPU.csdata,"",@progbits
; Kernel info:
; codeLenInByte = 0
; NumSgprs: 0
; NumVgprs: 0
; ScratchSize: 0
; MemoryBound: 0
; FloatMode: 240
; IeeeMode: 1
; LDSByteSize: 0 bytes/workgroup (compile time only)
; SGPRBlocks: 0
; VGPRBlocks: 0
; NumSGPRsForWavesPerEU: 1
; NumVGPRsForWavesPerEU: 1
; Occupancy: 16
; WaveLimiterHint : 0
; COMPUTE_PGM_RSRC2:SCRATCH_EN: 0
; COMPUTE_PGM_RSRC2:USER_SGPR: 15
; COMPUTE_PGM_RSRC2:TRAP_HANDLER: 0
; COMPUTE_PGM_RSRC2:TGID_X_EN: 1
; COMPUTE_PGM_RSRC2:TGID_Y_EN: 0
; COMPUTE_PGM_RSRC2:TGID_Z_EN: 0
; COMPUTE_PGM_RSRC2:TIDIG_COMP_CNT: 0
	.section	.text._ZN7rocprim17ROCPRIM_400000_NS6detail17trampoline_kernelINS0_14default_configENS1_29reduce_by_key_config_selectorIyyN6thrust23THRUST_200600_302600_NS4plusIyEEEEZZNS1_33reduce_by_key_impl_wrapped_configILNS1_25lookback_scan_determinismE0ES3_S9_NS6_6detail15normal_iteratorINS6_10device_ptrIyEEEESG_SG_SG_PmS8_NS6_8equal_toIyEEEE10hipError_tPvRmT2_T3_mT4_T5_T6_T7_T8_P12ihipStream_tbENKUlT_T0_E_clISt17integral_constantIbLb0EES11_EEDaSW_SX_EUlSW_E_NS1_11comp_targetILNS1_3genE4ELNS1_11target_archE910ELNS1_3gpuE8ELNS1_3repE0EEENS1_30default_config_static_selectorELNS0_4arch9wavefront6targetE0EEEvT1_,"axG",@progbits,_ZN7rocprim17ROCPRIM_400000_NS6detail17trampoline_kernelINS0_14default_configENS1_29reduce_by_key_config_selectorIyyN6thrust23THRUST_200600_302600_NS4plusIyEEEEZZNS1_33reduce_by_key_impl_wrapped_configILNS1_25lookback_scan_determinismE0ES3_S9_NS6_6detail15normal_iteratorINS6_10device_ptrIyEEEESG_SG_SG_PmS8_NS6_8equal_toIyEEEE10hipError_tPvRmT2_T3_mT4_T5_T6_T7_T8_P12ihipStream_tbENKUlT_T0_E_clISt17integral_constantIbLb0EES11_EEDaSW_SX_EUlSW_E_NS1_11comp_targetILNS1_3genE4ELNS1_11target_archE910ELNS1_3gpuE8ELNS1_3repE0EEENS1_30default_config_static_selectorELNS0_4arch9wavefront6targetE0EEEvT1_,comdat
	.protected	_ZN7rocprim17ROCPRIM_400000_NS6detail17trampoline_kernelINS0_14default_configENS1_29reduce_by_key_config_selectorIyyN6thrust23THRUST_200600_302600_NS4plusIyEEEEZZNS1_33reduce_by_key_impl_wrapped_configILNS1_25lookback_scan_determinismE0ES3_S9_NS6_6detail15normal_iteratorINS6_10device_ptrIyEEEESG_SG_SG_PmS8_NS6_8equal_toIyEEEE10hipError_tPvRmT2_T3_mT4_T5_T6_T7_T8_P12ihipStream_tbENKUlT_T0_E_clISt17integral_constantIbLb0EES11_EEDaSW_SX_EUlSW_E_NS1_11comp_targetILNS1_3genE4ELNS1_11target_archE910ELNS1_3gpuE8ELNS1_3repE0EEENS1_30default_config_static_selectorELNS0_4arch9wavefront6targetE0EEEvT1_ ; -- Begin function _ZN7rocprim17ROCPRIM_400000_NS6detail17trampoline_kernelINS0_14default_configENS1_29reduce_by_key_config_selectorIyyN6thrust23THRUST_200600_302600_NS4plusIyEEEEZZNS1_33reduce_by_key_impl_wrapped_configILNS1_25lookback_scan_determinismE0ES3_S9_NS6_6detail15normal_iteratorINS6_10device_ptrIyEEEESG_SG_SG_PmS8_NS6_8equal_toIyEEEE10hipError_tPvRmT2_T3_mT4_T5_T6_T7_T8_P12ihipStream_tbENKUlT_T0_E_clISt17integral_constantIbLb0EES11_EEDaSW_SX_EUlSW_E_NS1_11comp_targetILNS1_3genE4ELNS1_11target_archE910ELNS1_3gpuE8ELNS1_3repE0EEENS1_30default_config_static_selectorELNS0_4arch9wavefront6targetE0EEEvT1_
	.globl	_ZN7rocprim17ROCPRIM_400000_NS6detail17trampoline_kernelINS0_14default_configENS1_29reduce_by_key_config_selectorIyyN6thrust23THRUST_200600_302600_NS4plusIyEEEEZZNS1_33reduce_by_key_impl_wrapped_configILNS1_25lookback_scan_determinismE0ES3_S9_NS6_6detail15normal_iteratorINS6_10device_ptrIyEEEESG_SG_SG_PmS8_NS6_8equal_toIyEEEE10hipError_tPvRmT2_T3_mT4_T5_T6_T7_T8_P12ihipStream_tbENKUlT_T0_E_clISt17integral_constantIbLb0EES11_EEDaSW_SX_EUlSW_E_NS1_11comp_targetILNS1_3genE4ELNS1_11target_archE910ELNS1_3gpuE8ELNS1_3repE0EEENS1_30default_config_static_selectorELNS0_4arch9wavefront6targetE0EEEvT1_
	.p2align	8
	.type	_ZN7rocprim17ROCPRIM_400000_NS6detail17trampoline_kernelINS0_14default_configENS1_29reduce_by_key_config_selectorIyyN6thrust23THRUST_200600_302600_NS4plusIyEEEEZZNS1_33reduce_by_key_impl_wrapped_configILNS1_25lookback_scan_determinismE0ES3_S9_NS6_6detail15normal_iteratorINS6_10device_ptrIyEEEESG_SG_SG_PmS8_NS6_8equal_toIyEEEE10hipError_tPvRmT2_T3_mT4_T5_T6_T7_T8_P12ihipStream_tbENKUlT_T0_E_clISt17integral_constantIbLb0EES11_EEDaSW_SX_EUlSW_E_NS1_11comp_targetILNS1_3genE4ELNS1_11target_archE910ELNS1_3gpuE8ELNS1_3repE0EEENS1_30default_config_static_selectorELNS0_4arch9wavefront6targetE0EEEvT1_,@function
_ZN7rocprim17ROCPRIM_400000_NS6detail17trampoline_kernelINS0_14default_configENS1_29reduce_by_key_config_selectorIyyN6thrust23THRUST_200600_302600_NS4plusIyEEEEZZNS1_33reduce_by_key_impl_wrapped_configILNS1_25lookback_scan_determinismE0ES3_S9_NS6_6detail15normal_iteratorINS6_10device_ptrIyEEEESG_SG_SG_PmS8_NS6_8equal_toIyEEEE10hipError_tPvRmT2_T3_mT4_T5_T6_T7_T8_P12ihipStream_tbENKUlT_T0_E_clISt17integral_constantIbLb0EES11_EEDaSW_SX_EUlSW_E_NS1_11comp_targetILNS1_3genE4ELNS1_11target_archE910ELNS1_3gpuE8ELNS1_3repE0EEENS1_30default_config_static_selectorELNS0_4arch9wavefront6targetE0EEEvT1_: ; @_ZN7rocprim17ROCPRIM_400000_NS6detail17trampoline_kernelINS0_14default_configENS1_29reduce_by_key_config_selectorIyyN6thrust23THRUST_200600_302600_NS4plusIyEEEEZZNS1_33reduce_by_key_impl_wrapped_configILNS1_25lookback_scan_determinismE0ES3_S9_NS6_6detail15normal_iteratorINS6_10device_ptrIyEEEESG_SG_SG_PmS8_NS6_8equal_toIyEEEE10hipError_tPvRmT2_T3_mT4_T5_T6_T7_T8_P12ihipStream_tbENKUlT_T0_E_clISt17integral_constantIbLb0EES11_EEDaSW_SX_EUlSW_E_NS1_11comp_targetILNS1_3genE4ELNS1_11target_archE910ELNS1_3gpuE8ELNS1_3repE0EEENS1_30default_config_static_selectorELNS0_4arch9wavefront6targetE0EEEvT1_
; %bb.0:
	.section	.rodata,"a",@progbits
	.p2align	6, 0x0
	.amdhsa_kernel _ZN7rocprim17ROCPRIM_400000_NS6detail17trampoline_kernelINS0_14default_configENS1_29reduce_by_key_config_selectorIyyN6thrust23THRUST_200600_302600_NS4plusIyEEEEZZNS1_33reduce_by_key_impl_wrapped_configILNS1_25lookback_scan_determinismE0ES3_S9_NS6_6detail15normal_iteratorINS6_10device_ptrIyEEEESG_SG_SG_PmS8_NS6_8equal_toIyEEEE10hipError_tPvRmT2_T3_mT4_T5_T6_T7_T8_P12ihipStream_tbENKUlT_T0_E_clISt17integral_constantIbLb0EES11_EEDaSW_SX_EUlSW_E_NS1_11comp_targetILNS1_3genE4ELNS1_11target_archE910ELNS1_3gpuE8ELNS1_3repE0EEENS1_30default_config_static_selectorELNS0_4arch9wavefront6targetE0EEEvT1_
		.amdhsa_group_segment_fixed_size 0
		.amdhsa_private_segment_fixed_size 0
		.amdhsa_kernarg_size 136
		.amdhsa_user_sgpr_count 15
		.amdhsa_user_sgpr_dispatch_ptr 0
		.amdhsa_user_sgpr_queue_ptr 0
		.amdhsa_user_sgpr_kernarg_segment_ptr 1
		.amdhsa_user_sgpr_dispatch_id 0
		.amdhsa_user_sgpr_private_segment_size 0
		.amdhsa_wavefront_size32 1
		.amdhsa_uses_dynamic_stack 0
		.amdhsa_enable_private_segment 0
		.amdhsa_system_sgpr_workgroup_id_x 1
		.amdhsa_system_sgpr_workgroup_id_y 0
		.amdhsa_system_sgpr_workgroup_id_z 0
		.amdhsa_system_sgpr_workgroup_info 0
		.amdhsa_system_vgpr_workitem_id 0
		.amdhsa_next_free_vgpr 1
		.amdhsa_next_free_sgpr 1
		.amdhsa_reserve_vcc 0
		.amdhsa_float_round_mode_32 0
		.amdhsa_float_round_mode_16_64 0
		.amdhsa_float_denorm_mode_32 3
		.amdhsa_float_denorm_mode_16_64 3
		.amdhsa_dx10_clamp 1
		.amdhsa_ieee_mode 1
		.amdhsa_fp16_overflow 0
		.amdhsa_workgroup_processor_mode 1
		.amdhsa_memory_ordered 1
		.amdhsa_forward_progress 0
		.amdhsa_shared_vgpr_count 0
		.amdhsa_exception_fp_ieee_invalid_op 0
		.amdhsa_exception_fp_denorm_src 0
		.amdhsa_exception_fp_ieee_div_zero 0
		.amdhsa_exception_fp_ieee_overflow 0
		.amdhsa_exception_fp_ieee_underflow 0
		.amdhsa_exception_fp_ieee_inexact 0
		.amdhsa_exception_int_div_zero 0
	.end_amdhsa_kernel
	.section	.text._ZN7rocprim17ROCPRIM_400000_NS6detail17trampoline_kernelINS0_14default_configENS1_29reduce_by_key_config_selectorIyyN6thrust23THRUST_200600_302600_NS4plusIyEEEEZZNS1_33reduce_by_key_impl_wrapped_configILNS1_25lookback_scan_determinismE0ES3_S9_NS6_6detail15normal_iteratorINS6_10device_ptrIyEEEESG_SG_SG_PmS8_NS6_8equal_toIyEEEE10hipError_tPvRmT2_T3_mT4_T5_T6_T7_T8_P12ihipStream_tbENKUlT_T0_E_clISt17integral_constantIbLb0EES11_EEDaSW_SX_EUlSW_E_NS1_11comp_targetILNS1_3genE4ELNS1_11target_archE910ELNS1_3gpuE8ELNS1_3repE0EEENS1_30default_config_static_selectorELNS0_4arch9wavefront6targetE0EEEvT1_,"axG",@progbits,_ZN7rocprim17ROCPRIM_400000_NS6detail17trampoline_kernelINS0_14default_configENS1_29reduce_by_key_config_selectorIyyN6thrust23THRUST_200600_302600_NS4plusIyEEEEZZNS1_33reduce_by_key_impl_wrapped_configILNS1_25lookback_scan_determinismE0ES3_S9_NS6_6detail15normal_iteratorINS6_10device_ptrIyEEEESG_SG_SG_PmS8_NS6_8equal_toIyEEEE10hipError_tPvRmT2_T3_mT4_T5_T6_T7_T8_P12ihipStream_tbENKUlT_T0_E_clISt17integral_constantIbLb0EES11_EEDaSW_SX_EUlSW_E_NS1_11comp_targetILNS1_3genE4ELNS1_11target_archE910ELNS1_3gpuE8ELNS1_3repE0EEENS1_30default_config_static_selectorELNS0_4arch9wavefront6targetE0EEEvT1_,comdat
.Lfunc_end240:
	.size	_ZN7rocprim17ROCPRIM_400000_NS6detail17trampoline_kernelINS0_14default_configENS1_29reduce_by_key_config_selectorIyyN6thrust23THRUST_200600_302600_NS4plusIyEEEEZZNS1_33reduce_by_key_impl_wrapped_configILNS1_25lookback_scan_determinismE0ES3_S9_NS6_6detail15normal_iteratorINS6_10device_ptrIyEEEESG_SG_SG_PmS8_NS6_8equal_toIyEEEE10hipError_tPvRmT2_T3_mT4_T5_T6_T7_T8_P12ihipStream_tbENKUlT_T0_E_clISt17integral_constantIbLb0EES11_EEDaSW_SX_EUlSW_E_NS1_11comp_targetILNS1_3genE4ELNS1_11target_archE910ELNS1_3gpuE8ELNS1_3repE0EEENS1_30default_config_static_selectorELNS0_4arch9wavefront6targetE0EEEvT1_, .Lfunc_end240-_ZN7rocprim17ROCPRIM_400000_NS6detail17trampoline_kernelINS0_14default_configENS1_29reduce_by_key_config_selectorIyyN6thrust23THRUST_200600_302600_NS4plusIyEEEEZZNS1_33reduce_by_key_impl_wrapped_configILNS1_25lookback_scan_determinismE0ES3_S9_NS6_6detail15normal_iteratorINS6_10device_ptrIyEEEESG_SG_SG_PmS8_NS6_8equal_toIyEEEE10hipError_tPvRmT2_T3_mT4_T5_T6_T7_T8_P12ihipStream_tbENKUlT_T0_E_clISt17integral_constantIbLb0EES11_EEDaSW_SX_EUlSW_E_NS1_11comp_targetILNS1_3genE4ELNS1_11target_archE910ELNS1_3gpuE8ELNS1_3repE0EEENS1_30default_config_static_selectorELNS0_4arch9wavefront6targetE0EEEvT1_
                                        ; -- End function
	.section	.AMDGPU.csdata,"",@progbits
; Kernel info:
; codeLenInByte = 0
; NumSgprs: 0
; NumVgprs: 0
; ScratchSize: 0
; MemoryBound: 0
; FloatMode: 240
; IeeeMode: 1
; LDSByteSize: 0 bytes/workgroup (compile time only)
; SGPRBlocks: 0
; VGPRBlocks: 0
; NumSGPRsForWavesPerEU: 1
; NumVGPRsForWavesPerEU: 1
; Occupancy: 16
; WaveLimiterHint : 0
; COMPUTE_PGM_RSRC2:SCRATCH_EN: 0
; COMPUTE_PGM_RSRC2:USER_SGPR: 15
; COMPUTE_PGM_RSRC2:TRAP_HANDLER: 0
; COMPUTE_PGM_RSRC2:TGID_X_EN: 1
; COMPUTE_PGM_RSRC2:TGID_Y_EN: 0
; COMPUTE_PGM_RSRC2:TGID_Z_EN: 0
; COMPUTE_PGM_RSRC2:TIDIG_COMP_CNT: 0
	.section	.text._ZN7rocprim17ROCPRIM_400000_NS6detail17trampoline_kernelINS0_14default_configENS1_29reduce_by_key_config_selectorIyyN6thrust23THRUST_200600_302600_NS4plusIyEEEEZZNS1_33reduce_by_key_impl_wrapped_configILNS1_25lookback_scan_determinismE0ES3_S9_NS6_6detail15normal_iteratorINS6_10device_ptrIyEEEESG_SG_SG_PmS8_NS6_8equal_toIyEEEE10hipError_tPvRmT2_T3_mT4_T5_T6_T7_T8_P12ihipStream_tbENKUlT_T0_E_clISt17integral_constantIbLb0EES11_EEDaSW_SX_EUlSW_E_NS1_11comp_targetILNS1_3genE3ELNS1_11target_archE908ELNS1_3gpuE7ELNS1_3repE0EEENS1_30default_config_static_selectorELNS0_4arch9wavefront6targetE0EEEvT1_,"axG",@progbits,_ZN7rocprim17ROCPRIM_400000_NS6detail17trampoline_kernelINS0_14default_configENS1_29reduce_by_key_config_selectorIyyN6thrust23THRUST_200600_302600_NS4plusIyEEEEZZNS1_33reduce_by_key_impl_wrapped_configILNS1_25lookback_scan_determinismE0ES3_S9_NS6_6detail15normal_iteratorINS6_10device_ptrIyEEEESG_SG_SG_PmS8_NS6_8equal_toIyEEEE10hipError_tPvRmT2_T3_mT4_T5_T6_T7_T8_P12ihipStream_tbENKUlT_T0_E_clISt17integral_constantIbLb0EES11_EEDaSW_SX_EUlSW_E_NS1_11comp_targetILNS1_3genE3ELNS1_11target_archE908ELNS1_3gpuE7ELNS1_3repE0EEENS1_30default_config_static_selectorELNS0_4arch9wavefront6targetE0EEEvT1_,comdat
	.protected	_ZN7rocprim17ROCPRIM_400000_NS6detail17trampoline_kernelINS0_14default_configENS1_29reduce_by_key_config_selectorIyyN6thrust23THRUST_200600_302600_NS4plusIyEEEEZZNS1_33reduce_by_key_impl_wrapped_configILNS1_25lookback_scan_determinismE0ES3_S9_NS6_6detail15normal_iteratorINS6_10device_ptrIyEEEESG_SG_SG_PmS8_NS6_8equal_toIyEEEE10hipError_tPvRmT2_T3_mT4_T5_T6_T7_T8_P12ihipStream_tbENKUlT_T0_E_clISt17integral_constantIbLb0EES11_EEDaSW_SX_EUlSW_E_NS1_11comp_targetILNS1_3genE3ELNS1_11target_archE908ELNS1_3gpuE7ELNS1_3repE0EEENS1_30default_config_static_selectorELNS0_4arch9wavefront6targetE0EEEvT1_ ; -- Begin function _ZN7rocprim17ROCPRIM_400000_NS6detail17trampoline_kernelINS0_14default_configENS1_29reduce_by_key_config_selectorIyyN6thrust23THRUST_200600_302600_NS4plusIyEEEEZZNS1_33reduce_by_key_impl_wrapped_configILNS1_25lookback_scan_determinismE0ES3_S9_NS6_6detail15normal_iteratorINS6_10device_ptrIyEEEESG_SG_SG_PmS8_NS6_8equal_toIyEEEE10hipError_tPvRmT2_T3_mT4_T5_T6_T7_T8_P12ihipStream_tbENKUlT_T0_E_clISt17integral_constantIbLb0EES11_EEDaSW_SX_EUlSW_E_NS1_11comp_targetILNS1_3genE3ELNS1_11target_archE908ELNS1_3gpuE7ELNS1_3repE0EEENS1_30default_config_static_selectorELNS0_4arch9wavefront6targetE0EEEvT1_
	.globl	_ZN7rocprim17ROCPRIM_400000_NS6detail17trampoline_kernelINS0_14default_configENS1_29reduce_by_key_config_selectorIyyN6thrust23THRUST_200600_302600_NS4plusIyEEEEZZNS1_33reduce_by_key_impl_wrapped_configILNS1_25lookback_scan_determinismE0ES3_S9_NS6_6detail15normal_iteratorINS6_10device_ptrIyEEEESG_SG_SG_PmS8_NS6_8equal_toIyEEEE10hipError_tPvRmT2_T3_mT4_T5_T6_T7_T8_P12ihipStream_tbENKUlT_T0_E_clISt17integral_constantIbLb0EES11_EEDaSW_SX_EUlSW_E_NS1_11comp_targetILNS1_3genE3ELNS1_11target_archE908ELNS1_3gpuE7ELNS1_3repE0EEENS1_30default_config_static_selectorELNS0_4arch9wavefront6targetE0EEEvT1_
	.p2align	8
	.type	_ZN7rocprim17ROCPRIM_400000_NS6detail17trampoline_kernelINS0_14default_configENS1_29reduce_by_key_config_selectorIyyN6thrust23THRUST_200600_302600_NS4plusIyEEEEZZNS1_33reduce_by_key_impl_wrapped_configILNS1_25lookback_scan_determinismE0ES3_S9_NS6_6detail15normal_iteratorINS6_10device_ptrIyEEEESG_SG_SG_PmS8_NS6_8equal_toIyEEEE10hipError_tPvRmT2_T3_mT4_T5_T6_T7_T8_P12ihipStream_tbENKUlT_T0_E_clISt17integral_constantIbLb0EES11_EEDaSW_SX_EUlSW_E_NS1_11comp_targetILNS1_3genE3ELNS1_11target_archE908ELNS1_3gpuE7ELNS1_3repE0EEENS1_30default_config_static_selectorELNS0_4arch9wavefront6targetE0EEEvT1_,@function
_ZN7rocprim17ROCPRIM_400000_NS6detail17trampoline_kernelINS0_14default_configENS1_29reduce_by_key_config_selectorIyyN6thrust23THRUST_200600_302600_NS4plusIyEEEEZZNS1_33reduce_by_key_impl_wrapped_configILNS1_25lookback_scan_determinismE0ES3_S9_NS6_6detail15normal_iteratorINS6_10device_ptrIyEEEESG_SG_SG_PmS8_NS6_8equal_toIyEEEE10hipError_tPvRmT2_T3_mT4_T5_T6_T7_T8_P12ihipStream_tbENKUlT_T0_E_clISt17integral_constantIbLb0EES11_EEDaSW_SX_EUlSW_E_NS1_11comp_targetILNS1_3genE3ELNS1_11target_archE908ELNS1_3gpuE7ELNS1_3repE0EEENS1_30default_config_static_selectorELNS0_4arch9wavefront6targetE0EEEvT1_: ; @_ZN7rocprim17ROCPRIM_400000_NS6detail17trampoline_kernelINS0_14default_configENS1_29reduce_by_key_config_selectorIyyN6thrust23THRUST_200600_302600_NS4plusIyEEEEZZNS1_33reduce_by_key_impl_wrapped_configILNS1_25lookback_scan_determinismE0ES3_S9_NS6_6detail15normal_iteratorINS6_10device_ptrIyEEEESG_SG_SG_PmS8_NS6_8equal_toIyEEEE10hipError_tPvRmT2_T3_mT4_T5_T6_T7_T8_P12ihipStream_tbENKUlT_T0_E_clISt17integral_constantIbLb0EES11_EEDaSW_SX_EUlSW_E_NS1_11comp_targetILNS1_3genE3ELNS1_11target_archE908ELNS1_3gpuE7ELNS1_3repE0EEENS1_30default_config_static_selectorELNS0_4arch9wavefront6targetE0EEEvT1_
; %bb.0:
	.section	.rodata,"a",@progbits
	.p2align	6, 0x0
	.amdhsa_kernel _ZN7rocprim17ROCPRIM_400000_NS6detail17trampoline_kernelINS0_14default_configENS1_29reduce_by_key_config_selectorIyyN6thrust23THRUST_200600_302600_NS4plusIyEEEEZZNS1_33reduce_by_key_impl_wrapped_configILNS1_25lookback_scan_determinismE0ES3_S9_NS6_6detail15normal_iteratorINS6_10device_ptrIyEEEESG_SG_SG_PmS8_NS6_8equal_toIyEEEE10hipError_tPvRmT2_T3_mT4_T5_T6_T7_T8_P12ihipStream_tbENKUlT_T0_E_clISt17integral_constantIbLb0EES11_EEDaSW_SX_EUlSW_E_NS1_11comp_targetILNS1_3genE3ELNS1_11target_archE908ELNS1_3gpuE7ELNS1_3repE0EEENS1_30default_config_static_selectorELNS0_4arch9wavefront6targetE0EEEvT1_
		.amdhsa_group_segment_fixed_size 0
		.amdhsa_private_segment_fixed_size 0
		.amdhsa_kernarg_size 136
		.amdhsa_user_sgpr_count 15
		.amdhsa_user_sgpr_dispatch_ptr 0
		.amdhsa_user_sgpr_queue_ptr 0
		.amdhsa_user_sgpr_kernarg_segment_ptr 1
		.amdhsa_user_sgpr_dispatch_id 0
		.amdhsa_user_sgpr_private_segment_size 0
		.amdhsa_wavefront_size32 1
		.amdhsa_uses_dynamic_stack 0
		.amdhsa_enable_private_segment 0
		.amdhsa_system_sgpr_workgroup_id_x 1
		.amdhsa_system_sgpr_workgroup_id_y 0
		.amdhsa_system_sgpr_workgroup_id_z 0
		.amdhsa_system_sgpr_workgroup_info 0
		.amdhsa_system_vgpr_workitem_id 0
		.amdhsa_next_free_vgpr 1
		.amdhsa_next_free_sgpr 1
		.amdhsa_reserve_vcc 0
		.amdhsa_float_round_mode_32 0
		.amdhsa_float_round_mode_16_64 0
		.amdhsa_float_denorm_mode_32 3
		.amdhsa_float_denorm_mode_16_64 3
		.amdhsa_dx10_clamp 1
		.amdhsa_ieee_mode 1
		.amdhsa_fp16_overflow 0
		.amdhsa_workgroup_processor_mode 1
		.amdhsa_memory_ordered 1
		.amdhsa_forward_progress 0
		.amdhsa_shared_vgpr_count 0
		.amdhsa_exception_fp_ieee_invalid_op 0
		.amdhsa_exception_fp_denorm_src 0
		.amdhsa_exception_fp_ieee_div_zero 0
		.amdhsa_exception_fp_ieee_overflow 0
		.amdhsa_exception_fp_ieee_underflow 0
		.amdhsa_exception_fp_ieee_inexact 0
		.amdhsa_exception_int_div_zero 0
	.end_amdhsa_kernel
	.section	.text._ZN7rocprim17ROCPRIM_400000_NS6detail17trampoline_kernelINS0_14default_configENS1_29reduce_by_key_config_selectorIyyN6thrust23THRUST_200600_302600_NS4plusIyEEEEZZNS1_33reduce_by_key_impl_wrapped_configILNS1_25lookback_scan_determinismE0ES3_S9_NS6_6detail15normal_iteratorINS6_10device_ptrIyEEEESG_SG_SG_PmS8_NS6_8equal_toIyEEEE10hipError_tPvRmT2_T3_mT4_T5_T6_T7_T8_P12ihipStream_tbENKUlT_T0_E_clISt17integral_constantIbLb0EES11_EEDaSW_SX_EUlSW_E_NS1_11comp_targetILNS1_3genE3ELNS1_11target_archE908ELNS1_3gpuE7ELNS1_3repE0EEENS1_30default_config_static_selectorELNS0_4arch9wavefront6targetE0EEEvT1_,"axG",@progbits,_ZN7rocprim17ROCPRIM_400000_NS6detail17trampoline_kernelINS0_14default_configENS1_29reduce_by_key_config_selectorIyyN6thrust23THRUST_200600_302600_NS4plusIyEEEEZZNS1_33reduce_by_key_impl_wrapped_configILNS1_25lookback_scan_determinismE0ES3_S9_NS6_6detail15normal_iteratorINS6_10device_ptrIyEEEESG_SG_SG_PmS8_NS6_8equal_toIyEEEE10hipError_tPvRmT2_T3_mT4_T5_T6_T7_T8_P12ihipStream_tbENKUlT_T0_E_clISt17integral_constantIbLb0EES11_EEDaSW_SX_EUlSW_E_NS1_11comp_targetILNS1_3genE3ELNS1_11target_archE908ELNS1_3gpuE7ELNS1_3repE0EEENS1_30default_config_static_selectorELNS0_4arch9wavefront6targetE0EEEvT1_,comdat
.Lfunc_end241:
	.size	_ZN7rocprim17ROCPRIM_400000_NS6detail17trampoline_kernelINS0_14default_configENS1_29reduce_by_key_config_selectorIyyN6thrust23THRUST_200600_302600_NS4plusIyEEEEZZNS1_33reduce_by_key_impl_wrapped_configILNS1_25lookback_scan_determinismE0ES3_S9_NS6_6detail15normal_iteratorINS6_10device_ptrIyEEEESG_SG_SG_PmS8_NS6_8equal_toIyEEEE10hipError_tPvRmT2_T3_mT4_T5_T6_T7_T8_P12ihipStream_tbENKUlT_T0_E_clISt17integral_constantIbLb0EES11_EEDaSW_SX_EUlSW_E_NS1_11comp_targetILNS1_3genE3ELNS1_11target_archE908ELNS1_3gpuE7ELNS1_3repE0EEENS1_30default_config_static_selectorELNS0_4arch9wavefront6targetE0EEEvT1_, .Lfunc_end241-_ZN7rocprim17ROCPRIM_400000_NS6detail17trampoline_kernelINS0_14default_configENS1_29reduce_by_key_config_selectorIyyN6thrust23THRUST_200600_302600_NS4plusIyEEEEZZNS1_33reduce_by_key_impl_wrapped_configILNS1_25lookback_scan_determinismE0ES3_S9_NS6_6detail15normal_iteratorINS6_10device_ptrIyEEEESG_SG_SG_PmS8_NS6_8equal_toIyEEEE10hipError_tPvRmT2_T3_mT4_T5_T6_T7_T8_P12ihipStream_tbENKUlT_T0_E_clISt17integral_constantIbLb0EES11_EEDaSW_SX_EUlSW_E_NS1_11comp_targetILNS1_3genE3ELNS1_11target_archE908ELNS1_3gpuE7ELNS1_3repE0EEENS1_30default_config_static_selectorELNS0_4arch9wavefront6targetE0EEEvT1_
                                        ; -- End function
	.section	.AMDGPU.csdata,"",@progbits
; Kernel info:
; codeLenInByte = 0
; NumSgprs: 0
; NumVgprs: 0
; ScratchSize: 0
; MemoryBound: 0
; FloatMode: 240
; IeeeMode: 1
; LDSByteSize: 0 bytes/workgroup (compile time only)
; SGPRBlocks: 0
; VGPRBlocks: 0
; NumSGPRsForWavesPerEU: 1
; NumVGPRsForWavesPerEU: 1
; Occupancy: 16
; WaveLimiterHint : 0
; COMPUTE_PGM_RSRC2:SCRATCH_EN: 0
; COMPUTE_PGM_RSRC2:USER_SGPR: 15
; COMPUTE_PGM_RSRC2:TRAP_HANDLER: 0
; COMPUTE_PGM_RSRC2:TGID_X_EN: 1
; COMPUTE_PGM_RSRC2:TGID_Y_EN: 0
; COMPUTE_PGM_RSRC2:TGID_Z_EN: 0
; COMPUTE_PGM_RSRC2:TIDIG_COMP_CNT: 0
	.section	.text._ZN7rocprim17ROCPRIM_400000_NS6detail17trampoline_kernelINS0_14default_configENS1_29reduce_by_key_config_selectorIyyN6thrust23THRUST_200600_302600_NS4plusIyEEEEZZNS1_33reduce_by_key_impl_wrapped_configILNS1_25lookback_scan_determinismE0ES3_S9_NS6_6detail15normal_iteratorINS6_10device_ptrIyEEEESG_SG_SG_PmS8_NS6_8equal_toIyEEEE10hipError_tPvRmT2_T3_mT4_T5_T6_T7_T8_P12ihipStream_tbENKUlT_T0_E_clISt17integral_constantIbLb0EES11_EEDaSW_SX_EUlSW_E_NS1_11comp_targetILNS1_3genE2ELNS1_11target_archE906ELNS1_3gpuE6ELNS1_3repE0EEENS1_30default_config_static_selectorELNS0_4arch9wavefront6targetE0EEEvT1_,"axG",@progbits,_ZN7rocprim17ROCPRIM_400000_NS6detail17trampoline_kernelINS0_14default_configENS1_29reduce_by_key_config_selectorIyyN6thrust23THRUST_200600_302600_NS4plusIyEEEEZZNS1_33reduce_by_key_impl_wrapped_configILNS1_25lookback_scan_determinismE0ES3_S9_NS6_6detail15normal_iteratorINS6_10device_ptrIyEEEESG_SG_SG_PmS8_NS6_8equal_toIyEEEE10hipError_tPvRmT2_T3_mT4_T5_T6_T7_T8_P12ihipStream_tbENKUlT_T0_E_clISt17integral_constantIbLb0EES11_EEDaSW_SX_EUlSW_E_NS1_11comp_targetILNS1_3genE2ELNS1_11target_archE906ELNS1_3gpuE6ELNS1_3repE0EEENS1_30default_config_static_selectorELNS0_4arch9wavefront6targetE0EEEvT1_,comdat
	.protected	_ZN7rocprim17ROCPRIM_400000_NS6detail17trampoline_kernelINS0_14default_configENS1_29reduce_by_key_config_selectorIyyN6thrust23THRUST_200600_302600_NS4plusIyEEEEZZNS1_33reduce_by_key_impl_wrapped_configILNS1_25lookback_scan_determinismE0ES3_S9_NS6_6detail15normal_iteratorINS6_10device_ptrIyEEEESG_SG_SG_PmS8_NS6_8equal_toIyEEEE10hipError_tPvRmT2_T3_mT4_T5_T6_T7_T8_P12ihipStream_tbENKUlT_T0_E_clISt17integral_constantIbLb0EES11_EEDaSW_SX_EUlSW_E_NS1_11comp_targetILNS1_3genE2ELNS1_11target_archE906ELNS1_3gpuE6ELNS1_3repE0EEENS1_30default_config_static_selectorELNS0_4arch9wavefront6targetE0EEEvT1_ ; -- Begin function _ZN7rocprim17ROCPRIM_400000_NS6detail17trampoline_kernelINS0_14default_configENS1_29reduce_by_key_config_selectorIyyN6thrust23THRUST_200600_302600_NS4plusIyEEEEZZNS1_33reduce_by_key_impl_wrapped_configILNS1_25lookback_scan_determinismE0ES3_S9_NS6_6detail15normal_iteratorINS6_10device_ptrIyEEEESG_SG_SG_PmS8_NS6_8equal_toIyEEEE10hipError_tPvRmT2_T3_mT4_T5_T6_T7_T8_P12ihipStream_tbENKUlT_T0_E_clISt17integral_constantIbLb0EES11_EEDaSW_SX_EUlSW_E_NS1_11comp_targetILNS1_3genE2ELNS1_11target_archE906ELNS1_3gpuE6ELNS1_3repE0EEENS1_30default_config_static_selectorELNS0_4arch9wavefront6targetE0EEEvT1_
	.globl	_ZN7rocprim17ROCPRIM_400000_NS6detail17trampoline_kernelINS0_14default_configENS1_29reduce_by_key_config_selectorIyyN6thrust23THRUST_200600_302600_NS4plusIyEEEEZZNS1_33reduce_by_key_impl_wrapped_configILNS1_25lookback_scan_determinismE0ES3_S9_NS6_6detail15normal_iteratorINS6_10device_ptrIyEEEESG_SG_SG_PmS8_NS6_8equal_toIyEEEE10hipError_tPvRmT2_T3_mT4_T5_T6_T7_T8_P12ihipStream_tbENKUlT_T0_E_clISt17integral_constantIbLb0EES11_EEDaSW_SX_EUlSW_E_NS1_11comp_targetILNS1_3genE2ELNS1_11target_archE906ELNS1_3gpuE6ELNS1_3repE0EEENS1_30default_config_static_selectorELNS0_4arch9wavefront6targetE0EEEvT1_
	.p2align	8
	.type	_ZN7rocprim17ROCPRIM_400000_NS6detail17trampoline_kernelINS0_14default_configENS1_29reduce_by_key_config_selectorIyyN6thrust23THRUST_200600_302600_NS4plusIyEEEEZZNS1_33reduce_by_key_impl_wrapped_configILNS1_25lookback_scan_determinismE0ES3_S9_NS6_6detail15normal_iteratorINS6_10device_ptrIyEEEESG_SG_SG_PmS8_NS6_8equal_toIyEEEE10hipError_tPvRmT2_T3_mT4_T5_T6_T7_T8_P12ihipStream_tbENKUlT_T0_E_clISt17integral_constantIbLb0EES11_EEDaSW_SX_EUlSW_E_NS1_11comp_targetILNS1_3genE2ELNS1_11target_archE906ELNS1_3gpuE6ELNS1_3repE0EEENS1_30default_config_static_selectorELNS0_4arch9wavefront6targetE0EEEvT1_,@function
_ZN7rocprim17ROCPRIM_400000_NS6detail17trampoline_kernelINS0_14default_configENS1_29reduce_by_key_config_selectorIyyN6thrust23THRUST_200600_302600_NS4plusIyEEEEZZNS1_33reduce_by_key_impl_wrapped_configILNS1_25lookback_scan_determinismE0ES3_S9_NS6_6detail15normal_iteratorINS6_10device_ptrIyEEEESG_SG_SG_PmS8_NS6_8equal_toIyEEEE10hipError_tPvRmT2_T3_mT4_T5_T6_T7_T8_P12ihipStream_tbENKUlT_T0_E_clISt17integral_constantIbLb0EES11_EEDaSW_SX_EUlSW_E_NS1_11comp_targetILNS1_3genE2ELNS1_11target_archE906ELNS1_3gpuE6ELNS1_3repE0EEENS1_30default_config_static_selectorELNS0_4arch9wavefront6targetE0EEEvT1_: ; @_ZN7rocprim17ROCPRIM_400000_NS6detail17trampoline_kernelINS0_14default_configENS1_29reduce_by_key_config_selectorIyyN6thrust23THRUST_200600_302600_NS4plusIyEEEEZZNS1_33reduce_by_key_impl_wrapped_configILNS1_25lookback_scan_determinismE0ES3_S9_NS6_6detail15normal_iteratorINS6_10device_ptrIyEEEESG_SG_SG_PmS8_NS6_8equal_toIyEEEE10hipError_tPvRmT2_T3_mT4_T5_T6_T7_T8_P12ihipStream_tbENKUlT_T0_E_clISt17integral_constantIbLb0EES11_EEDaSW_SX_EUlSW_E_NS1_11comp_targetILNS1_3genE2ELNS1_11target_archE906ELNS1_3gpuE6ELNS1_3repE0EEENS1_30default_config_static_selectorELNS0_4arch9wavefront6targetE0EEEvT1_
; %bb.0:
	.section	.rodata,"a",@progbits
	.p2align	6, 0x0
	.amdhsa_kernel _ZN7rocprim17ROCPRIM_400000_NS6detail17trampoline_kernelINS0_14default_configENS1_29reduce_by_key_config_selectorIyyN6thrust23THRUST_200600_302600_NS4plusIyEEEEZZNS1_33reduce_by_key_impl_wrapped_configILNS1_25lookback_scan_determinismE0ES3_S9_NS6_6detail15normal_iteratorINS6_10device_ptrIyEEEESG_SG_SG_PmS8_NS6_8equal_toIyEEEE10hipError_tPvRmT2_T3_mT4_T5_T6_T7_T8_P12ihipStream_tbENKUlT_T0_E_clISt17integral_constantIbLb0EES11_EEDaSW_SX_EUlSW_E_NS1_11comp_targetILNS1_3genE2ELNS1_11target_archE906ELNS1_3gpuE6ELNS1_3repE0EEENS1_30default_config_static_selectorELNS0_4arch9wavefront6targetE0EEEvT1_
		.amdhsa_group_segment_fixed_size 0
		.amdhsa_private_segment_fixed_size 0
		.amdhsa_kernarg_size 136
		.amdhsa_user_sgpr_count 15
		.amdhsa_user_sgpr_dispatch_ptr 0
		.amdhsa_user_sgpr_queue_ptr 0
		.amdhsa_user_sgpr_kernarg_segment_ptr 1
		.amdhsa_user_sgpr_dispatch_id 0
		.amdhsa_user_sgpr_private_segment_size 0
		.amdhsa_wavefront_size32 1
		.amdhsa_uses_dynamic_stack 0
		.amdhsa_enable_private_segment 0
		.amdhsa_system_sgpr_workgroup_id_x 1
		.amdhsa_system_sgpr_workgroup_id_y 0
		.amdhsa_system_sgpr_workgroup_id_z 0
		.amdhsa_system_sgpr_workgroup_info 0
		.amdhsa_system_vgpr_workitem_id 0
		.amdhsa_next_free_vgpr 1
		.amdhsa_next_free_sgpr 1
		.amdhsa_reserve_vcc 0
		.amdhsa_float_round_mode_32 0
		.amdhsa_float_round_mode_16_64 0
		.amdhsa_float_denorm_mode_32 3
		.amdhsa_float_denorm_mode_16_64 3
		.amdhsa_dx10_clamp 1
		.amdhsa_ieee_mode 1
		.amdhsa_fp16_overflow 0
		.amdhsa_workgroup_processor_mode 1
		.amdhsa_memory_ordered 1
		.amdhsa_forward_progress 0
		.amdhsa_shared_vgpr_count 0
		.amdhsa_exception_fp_ieee_invalid_op 0
		.amdhsa_exception_fp_denorm_src 0
		.amdhsa_exception_fp_ieee_div_zero 0
		.amdhsa_exception_fp_ieee_overflow 0
		.amdhsa_exception_fp_ieee_underflow 0
		.amdhsa_exception_fp_ieee_inexact 0
		.amdhsa_exception_int_div_zero 0
	.end_amdhsa_kernel
	.section	.text._ZN7rocprim17ROCPRIM_400000_NS6detail17trampoline_kernelINS0_14default_configENS1_29reduce_by_key_config_selectorIyyN6thrust23THRUST_200600_302600_NS4plusIyEEEEZZNS1_33reduce_by_key_impl_wrapped_configILNS1_25lookback_scan_determinismE0ES3_S9_NS6_6detail15normal_iteratorINS6_10device_ptrIyEEEESG_SG_SG_PmS8_NS6_8equal_toIyEEEE10hipError_tPvRmT2_T3_mT4_T5_T6_T7_T8_P12ihipStream_tbENKUlT_T0_E_clISt17integral_constantIbLb0EES11_EEDaSW_SX_EUlSW_E_NS1_11comp_targetILNS1_3genE2ELNS1_11target_archE906ELNS1_3gpuE6ELNS1_3repE0EEENS1_30default_config_static_selectorELNS0_4arch9wavefront6targetE0EEEvT1_,"axG",@progbits,_ZN7rocprim17ROCPRIM_400000_NS6detail17trampoline_kernelINS0_14default_configENS1_29reduce_by_key_config_selectorIyyN6thrust23THRUST_200600_302600_NS4plusIyEEEEZZNS1_33reduce_by_key_impl_wrapped_configILNS1_25lookback_scan_determinismE0ES3_S9_NS6_6detail15normal_iteratorINS6_10device_ptrIyEEEESG_SG_SG_PmS8_NS6_8equal_toIyEEEE10hipError_tPvRmT2_T3_mT4_T5_T6_T7_T8_P12ihipStream_tbENKUlT_T0_E_clISt17integral_constantIbLb0EES11_EEDaSW_SX_EUlSW_E_NS1_11comp_targetILNS1_3genE2ELNS1_11target_archE906ELNS1_3gpuE6ELNS1_3repE0EEENS1_30default_config_static_selectorELNS0_4arch9wavefront6targetE0EEEvT1_,comdat
.Lfunc_end242:
	.size	_ZN7rocprim17ROCPRIM_400000_NS6detail17trampoline_kernelINS0_14default_configENS1_29reduce_by_key_config_selectorIyyN6thrust23THRUST_200600_302600_NS4plusIyEEEEZZNS1_33reduce_by_key_impl_wrapped_configILNS1_25lookback_scan_determinismE0ES3_S9_NS6_6detail15normal_iteratorINS6_10device_ptrIyEEEESG_SG_SG_PmS8_NS6_8equal_toIyEEEE10hipError_tPvRmT2_T3_mT4_T5_T6_T7_T8_P12ihipStream_tbENKUlT_T0_E_clISt17integral_constantIbLb0EES11_EEDaSW_SX_EUlSW_E_NS1_11comp_targetILNS1_3genE2ELNS1_11target_archE906ELNS1_3gpuE6ELNS1_3repE0EEENS1_30default_config_static_selectorELNS0_4arch9wavefront6targetE0EEEvT1_, .Lfunc_end242-_ZN7rocprim17ROCPRIM_400000_NS6detail17trampoline_kernelINS0_14default_configENS1_29reduce_by_key_config_selectorIyyN6thrust23THRUST_200600_302600_NS4plusIyEEEEZZNS1_33reduce_by_key_impl_wrapped_configILNS1_25lookback_scan_determinismE0ES3_S9_NS6_6detail15normal_iteratorINS6_10device_ptrIyEEEESG_SG_SG_PmS8_NS6_8equal_toIyEEEE10hipError_tPvRmT2_T3_mT4_T5_T6_T7_T8_P12ihipStream_tbENKUlT_T0_E_clISt17integral_constantIbLb0EES11_EEDaSW_SX_EUlSW_E_NS1_11comp_targetILNS1_3genE2ELNS1_11target_archE906ELNS1_3gpuE6ELNS1_3repE0EEENS1_30default_config_static_selectorELNS0_4arch9wavefront6targetE0EEEvT1_
                                        ; -- End function
	.section	.AMDGPU.csdata,"",@progbits
; Kernel info:
; codeLenInByte = 0
; NumSgprs: 0
; NumVgprs: 0
; ScratchSize: 0
; MemoryBound: 0
; FloatMode: 240
; IeeeMode: 1
; LDSByteSize: 0 bytes/workgroup (compile time only)
; SGPRBlocks: 0
; VGPRBlocks: 0
; NumSGPRsForWavesPerEU: 1
; NumVGPRsForWavesPerEU: 1
; Occupancy: 16
; WaveLimiterHint : 0
; COMPUTE_PGM_RSRC2:SCRATCH_EN: 0
; COMPUTE_PGM_RSRC2:USER_SGPR: 15
; COMPUTE_PGM_RSRC2:TRAP_HANDLER: 0
; COMPUTE_PGM_RSRC2:TGID_X_EN: 1
; COMPUTE_PGM_RSRC2:TGID_Y_EN: 0
; COMPUTE_PGM_RSRC2:TGID_Z_EN: 0
; COMPUTE_PGM_RSRC2:TIDIG_COMP_CNT: 0
	.section	.text._ZN7rocprim17ROCPRIM_400000_NS6detail17trampoline_kernelINS0_14default_configENS1_29reduce_by_key_config_selectorIyyN6thrust23THRUST_200600_302600_NS4plusIyEEEEZZNS1_33reduce_by_key_impl_wrapped_configILNS1_25lookback_scan_determinismE0ES3_S9_NS6_6detail15normal_iteratorINS6_10device_ptrIyEEEESG_SG_SG_PmS8_NS6_8equal_toIyEEEE10hipError_tPvRmT2_T3_mT4_T5_T6_T7_T8_P12ihipStream_tbENKUlT_T0_E_clISt17integral_constantIbLb0EES11_EEDaSW_SX_EUlSW_E_NS1_11comp_targetILNS1_3genE10ELNS1_11target_archE1201ELNS1_3gpuE5ELNS1_3repE0EEENS1_30default_config_static_selectorELNS0_4arch9wavefront6targetE0EEEvT1_,"axG",@progbits,_ZN7rocprim17ROCPRIM_400000_NS6detail17trampoline_kernelINS0_14default_configENS1_29reduce_by_key_config_selectorIyyN6thrust23THRUST_200600_302600_NS4plusIyEEEEZZNS1_33reduce_by_key_impl_wrapped_configILNS1_25lookback_scan_determinismE0ES3_S9_NS6_6detail15normal_iteratorINS6_10device_ptrIyEEEESG_SG_SG_PmS8_NS6_8equal_toIyEEEE10hipError_tPvRmT2_T3_mT4_T5_T6_T7_T8_P12ihipStream_tbENKUlT_T0_E_clISt17integral_constantIbLb0EES11_EEDaSW_SX_EUlSW_E_NS1_11comp_targetILNS1_3genE10ELNS1_11target_archE1201ELNS1_3gpuE5ELNS1_3repE0EEENS1_30default_config_static_selectorELNS0_4arch9wavefront6targetE0EEEvT1_,comdat
	.protected	_ZN7rocprim17ROCPRIM_400000_NS6detail17trampoline_kernelINS0_14default_configENS1_29reduce_by_key_config_selectorIyyN6thrust23THRUST_200600_302600_NS4plusIyEEEEZZNS1_33reduce_by_key_impl_wrapped_configILNS1_25lookback_scan_determinismE0ES3_S9_NS6_6detail15normal_iteratorINS6_10device_ptrIyEEEESG_SG_SG_PmS8_NS6_8equal_toIyEEEE10hipError_tPvRmT2_T3_mT4_T5_T6_T7_T8_P12ihipStream_tbENKUlT_T0_E_clISt17integral_constantIbLb0EES11_EEDaSW_SX_EUlSW_E_NS1_11comp_targetILNS1_3genE10ELNS1_11target_archE1201ELNS1_3gpuE5ELNS1_3repE0EEENS1_30default_config_static_selectorELNS0_4arch9wavefront6targetE0EEEvT1_ ; -- Begin function _ZN7rocprim17ROCPRIM_400000_NS6detail17trampoline_kernelINS0_14default_configENS1_29reduce_by_key_config_selectorIyyN6thrust23THRUST_200600_302600_NS4plusIyEEEEZZNS1_33reduce_by_key_impl_wrapped_configILNS1_25lookback_scan_determinismE0ES3_S9_NS6_6detail15normal_iteratorINS6_10device_ptrIyEEEESG_SG_SG_PmS8_NS6_8equal_toIyEEEE10hipError_tPvRmT2_T3_mT4_T5_T6_T7_T8_P12ihipStream_tbENKUlT_T0_E_clISt17integral_constantIbLb0EES11_EEDaSW_SX_EUlSW_E_NS1_11comp_targetILNS1_3genE10ELNS1_11target_archE1201ELNS1_3gpuE5ELNS1_3repE0EEENS1_30default_config_static_selectorELNS0_4arch9wavefront6targetE0EEEvT1_
	.globl	_ZN7rocprim17ROCPRIM_400000_NS6detail17trampoline_kernelINS0_14default_configENS1_29reduce_by_key_config_selectorIyyN6thrust23THRUST_200600_302600_NS4plusIyEEEEZZNS1_33reduce_by_key_impl_wrapped_configILNS1_25lookback_scan_determinismE0ES3_S9_NS6_6detail15normal_iteratorINS6_10device_ptrIyEEEESG_SG_SG_PmS8_NS6_8equal_toIyEEEE10hipError_tPvRmT2_T3_mT4_T5_T6_T7_T8_P12ihipStream_tbENKUlT_T0_E_clISt17integral_constantIbLb0EES11_EEDaSW_SX_EUlSW_E_NS1_11comp_targetILNS1_3genE10ELNS1_11target_archE1201ELNS1_3gpuE5ELNS1_3repE0EEENS1_30default_config_static_selectorELNS0_4arch9wavefront6targetE0EEEvT1_
	.p2align	8
	.type	_ZN7rocprim17ROCPRIM_400000_NS6detail17trampoline_kernelINS0_14default_configENS1_29reduce_by_key_config_selectorIyyN6thrust23THRUST_200600_302600_NS4plusIyEEEEZZNS1_33reduce_by_key_impl_wrapped_configILNS1_25lookback_scan_determinismE0ES3_S9_NS6_6detail15normal_iteratorINS6_10device_ptrIyEEEESG_SG_SG_PmS8_NS6_8equal_toIyEEEE10hipError_tPvRmT2_T3_mT4_T5_T6_T7_T8_P12ihipStream_tbENKUlT_T0_E_clISt17integral_constantIbLb0EES11_EEDaSW_SX_EUlSW_E_NS1_11comp_targetILNS1_3genE10ELNS1_11target_archE1201ELNS1_3gpuE5ELNS1_3repE0EEENS1_30default_config_static_selectorELNS0_4arch9wavefront6targetE0EEEvT1_,@function
_ZN7rocprim17ROCPRIM_400000_NS6detail17trampoline_kernelINS0_14default_configENS1_29reduce_by_key_config_selectorIyyN6thrust23THRUST_200600_302600_NS4plusIyEEEEZZNS1_33reduce_by_key_impl_wrapped_configILNS1_25lookback_scan_determinismE0ES3_S9_NS6_6detail15normal_iteratorINS6_10device_ptrIyEEEESG_SG_SG_PmS8_NS6_8equal_toIyEEEE10hipError_tPvRmT2_T3_mT4_T5_T6_T7_T8_P12ihipStream_tbENKUlT_T0_E_clISt17integral_constantIbLb0EES11_EEDaSW_SX_EUlSW_E_NS1_11comp_targetILNS1_3genE10ELNS1_11target_archE1201ELNS1_3gpuE5ELNS1_3repE0EEENS1_30default_config_static_selectorELNS0_4arch9wavefront6targetE0EEEvT1_: ; @_ZN7rocprim17ROCPRIM_400000_NS6detail17trampoline_kernelINS0_14default_configENS1_29reduce_by_key_config_selectorIyyN6thrust23THRUST_200600_302600_NS4plusIyEEEEZZNS1_33reduce_by_key_impl_wrapped_configILNS1_25lookback_scan_determinismE0ES3_S9_NS6_6detail15normal_iteratorINS6_10device_ptrIyEEEESG_SG_SG_PmS8_NS6_8equal_toIyEEEE10hipError_tPvRmT2_T3_mT4_T5_T6_T7_T8_P12ihipStream_tbENKUlT_T0_E_clISt17integral_constantIbLb0EES11_EEDaSW_SX_EUlSW_E_NS1_11comp_targetILNS1_3genE10ELNS1_11target_archE1201ELNS1_3gpuE5ELNS1_3repE0EEENS1_30default_config_static_selectorELNS0_4arch9wavefront6targetE0EEEvT1_
; %bb.0:
	.section	.rodata,"a",@progbits
	.p2align	6, 0x0
	.amdhsa_kernel _ZN7rocprim17ROCPRIM_400000_NS6detail17trampoline_kernelINS0_14default_configENS1_29reduce_by_key_config_selectorIyyN6thrust23THRUST_200600_302600_NS4plusIyEEEEZZNS1_33reduce_by_key_impl_wrapped_configILNS1_25lookback_scan_determinismE0ES3_S9_NS6_6detail15normal_iteratorINS6_10device_ptrIyEEEESG_SG_SG_PmS8_NS6_8equal_toIyEEEE10hipError_tPvRmT2_T3_mT4_T5_T6_T7_T8_P12ihipStream_tbENKUlT_T0_E_clISt17integral_constantIbLb0EES11_EEDaSW_SX_EUlSW_E_NS1_11comp_targetILNS1_3genE10ELNS1_11target_archE1201ELNS1_3gpuE5ELNS1_3repE0EEENS1_30default_config_static_selectorELNS0_4arch9wavefront6targetE0EEEvT1_
		.amdhsa_group_segment_fixed_size 0
		.amdhsa_private_segment_fixed_size 0
		.amdhsa_kernarg_size 136
		.amdhsa_user_sgpr_count 15
		.amdhsa_user_sgpr_dispatch_ptr 0
		.amdhsa_user_sgpr_queue_ptr 0
		.amdhsa_user_sgpr_kernarg_segment_ptr 1
		.amdhsa_user_sgpr_dispatch_id 0
		.amdhsa_user_sgpr_private_segment_size 0
		.amdhsa_wavefront_size32 1
		.amdhsa_uses_dynamic_stack 0
		.amdhsa_enable_private_segment 0
		.amdhsa_system_sgpr_workgroup_id_x 1
		.amdhsa_system_sgpr_workgroup_id_y 0
		.amdhsa_system_sgpr_workgroup_id_z 0
		.amdhsa_system_sgpr_workgroup_info 0
		.amdhsa_system_vgpr_workitem_id 0
		.amdhsa_next_free_vgpr 1
		.amdhsa_next_free_sgpr 1
		.amdhsa_reserve_vcc 0
		.amdhsa_float_round_mode_32 0
		.amdhsa_float_round_mode_16_64 0
		.amdhsa_float_denorm_mode_32 3
		.amdhsa_float_denorm_mode_16_64 3
		.amdhsa_dx10_clamp 1
		.amdhsa_ieee_mode 1
		.amdhsa_fp16_overflow 0
		.amdhsa_workgroup_processor_mode 1
		.amdhsa_memory_ordered 1
		.amdhsa_forward_progress 0
		.amdhsa_shared_vgpr_count 0
		.amdhsa_exception_fp_ieee_invalid_op 0
		.amdhsa_exception_fp_denorm_src 0
		.amdhsa_exception_fp_ieee_div_zero 0
		.amdhsa_exception_fp_ieee_overflow 0
		.amdhsa_exception_fp_ieee_underflow 0
		.amdhsa_exception_fp_ieee_inexact 0
		.amdhsa_exception_int_div_zero 0
	.end_amdhsa_kernel
	.section	.text._ZN7rocprim17ROCPRIM_400000_NS6detail17trampoline_kernelINS0_14default_configENS1_29reduce_by_key_config_selectorIyyN6thrust23THRUST_200600_302600_NS4plusIyEEEEZZNS1_33reduce_by_key_impl_wrapped_configILNS1_25lookback_scan_determinismE0ES3_S9_NS6_6detail15normal_iteratorINS6_10device_ptrIyEEEESG_SG_SG_PmS8_NS6_8equal_toIyEEEE10hipError_tPvRmT2_T3_mT4_T5_T6_T7_T8_P12ihipStream_tbENKUlT_T0_E_clISt17integral_constantIbLb0EES11_EEDaSW_SX_EUlSW_E_NS1_11comp_targetILNS1_3genE10ELNS1_11target_archE1201ELNS1_3gpuE5ELNS1_3repE0EEENS1_30default_config_static_selectorELNS0_4arch9wavefront6targetE0EEEvT1_,"axG",@progbits,_ZN7rocprim17ROCPRIM_400000_NS6detail17trampoline_kernelINS0_14default_configENS1_29reduce_by_key_config_selectorIyyN6thrust23THRUST_200600_302600_NS4plusIyEEEEZZNS1_33reduce_by_key_impl_wrapped_configILNS1_25lookback_scan_determinismE0ES3_S9_NS6_6detail15normal_iteratorINS6_10device_ptrIyEEEESG_SG_SG_PmS8_NS6_8equal_toIyEEEE10hipError_tPvRmT2_T3_mT4_T5_T6_T7_T8_P12ihipStream_tbENKUlT_T0_E_clISt17integral_constantIbLb0EES11_EEDaSW_SX_EUlSW_E_NS1_11comp_targetILNS1_3genE10ELNS1_11target_archE1201ELNS1_3gpuE5ELNS1_3repE0EEENS1_30default_config_static_selectorELNS0_4arch9wavefront6targetE0EEEvT1_,comdat
.Lfunc_end243:
	.size	_ZN7rocprim17ROCPRIM_400000_NS6detail17trampoline_kernelINS0_14default_configENS1_29reduce_by_key_config_selectorIyyN6thrust23THRUST_200600_302600_NS4plusIyEEEEZZNS1_33reduce_by_key_impl_wrapped_configILNS1_25lookback_scan_determinismE0ES3_S9_NS6_6detail15normal_iteratorINS6_10device_ptrIyEEEESG_SG_SG_PmS8_NS6_8equal_toIyEEEE10hipError_tPvRmT2_T3_mT4_T5_T6_T7_T8_P12ihipStream_tbENKUlT_T0_E_clISt17integral_constantIbLb0EES11_EEDaSW_SX_EUlSW_E_NS1_11comp_targetILNS1_3genE10ELNS1_11target_archE1201ELNS1_3gpuE5ELNS1_3repE0EEENS1_30default_config_static_selectorELNS0_4arch9wavefront6targetE0EEEvT1_, .Lfunc_end243-_ZN7rocprim17ROCPRIM_400000_NS6detail17trampoline_kernelINS0_14default_configENS1_29reduce_by_key_config_selectorIyyN6thrust23THRUST_200600_302600_NS4plusIyEEEEZZNS1_33reduce_by_key_impl_wrapped_configILNS1_25lookback_scan_determinismE0ES3_S9_NS6_6detail15normal_iteratorINS6_10device_ptrIyEEEESG_SG_SG_PmS8_NS6_8equal_toIyEEEE10hipError_tPvRmT2_T3_mT4_T5_T6_T7_T8_P12ihipStream_tbENKUlT_T0_E_clISt17integral_constantIbLb0EES11_EEDaSW_SX_EUlSW_E_NS1_11comp_targetILNS1_3genE10ELNS1_11target_archE1201ELNS1_3gpuE5ELNS1_3repE0EEENS1_30default_config_static_selectorELNS0_4arch9wavefront6targetE0EEEvT1_
                                        ; -- End function
	.section	.AMDGPU.csdata,"",@progbits
; Kernel info:
; codeLenInByte = 0
; NumSgprs: 0
; NumVgprs: 0
; ScratchSize: 0
; MemoryBound: 0
; FloatMode: 240
; IeeeMode: 1
; LDSByteSize: 0 bytes/workgroup (compile time only)
; SGPRBlocks: 0
; VGPRBlocks: 0
; NumSGPRsForWavesPerEU: 1
; NumVGPRsForWavesPerEU: 1
; Occupancy: 16
; WaveLimiterHint : 0
; COMPUTE_PGM_RSRC2:SCRATCH_EN: 0
; COMPUTE_PGM_RSRC2:USER_SGPR: 15
; COMPUTE_PGM_RSRC2:TRAP_HANDLER: 0
; COMPUTE_PGM_RSRC2:TGID_X_EN: 1
; COMPUTE_PGM_RSRC2:TGID_Y_EN: 0
; COMPUTE_PGM_RSRC2:TGID_Z_EN: 0
; COMPUTE_PGM_RSRC2:TIDIG_COMP_CNT: 0
	.section	.text._ZN7rocprim17ROCPRIM_400000_NS6detail17trampoline_kernelINS0_14default_configENS1_29reduce_by_key_config_selectorIyyN6thrust23THRUST_200600_302600_NS4plusIyEEEEZZNS1_33reduce_by_key_impl_wrapped_configILNS1_25lookback_scan_determinismE0ES3_S9_NS6_6detail15normal_iteratorINS6_10device_ptrIyEEEESG_SG_SG_PmS8_NS6_8equal_toIyEEEE10hipError_tPvRmT2_T3_mT4_T5_T6_T7_T8_P12ihipStream_tbENKUlT_T0_E_clISt17integral_constantIbLb0EES11_EEDaSW_SX_EUlSW_E_NS1_11comp_targetILNS1_3genE10ELNS1_11target_archE1200ELNS1_3gpuE4ELNS1_3repE0EEENS1_30default_config_static_selectorELNS0_4arch9wavefront6targetE0EEEvT1_,"axG",@progbits,_ZN7rocprim17ROCPRIM_400000_NS6detail17trampoline_kernelINS0_14default_configENS1_29reduce_by_key_config_selectorIyyN6thrust23THRUST_200600_302600_NS4plusIyEEEEZZNS1_33reduce_by_key_impl_wrapped_configILNS1_25lookback_scan_determinismE0ES3_S9_NS6_6detail15normal_iteratorINS6_10device_ptrIyEEEESG_SG_SG_PmS8_NS6_8equal_toIyEEEE10hipError_tPvRmT2_T3_mT4_T5_T6_T7_T8_P12ihipStream_tbENKUlT_T0_E_clISt17integral_constantIbLb0EES11_EEDaSW_SX_EUlSW_E_NS1_11comp_targetILNS1_3genE10ELNS1_11target_archE1200ELNS1_3gpuE4ELNS1_3repE0EEENS1_30default_config_static_selectorELNS0_4arch9wavefront6targetE0EEEvT1_,comdat
	.protected	_ZN7rocprim17ROCPRIM_400000_NS6detail17trampoline_kernelINS0_14default_configENS1_29reduce_by_key_config_selectorIyyN6thrust23THRUST_200600_302600_NS4plusIyEEEEZZNS1_33reduce_by_key_impl_wrapped_configILNS1_25lookback_scan_determinismE0ES3_S9_NS6_6detail15normal_iteratorINS6_10device_ptrIyEEEESG_SG_SG_PmS8_NS6_8equal_toIyEEEE10hipError_tPvRmT2_T3_mT4_T5_T6_T7_T8_P12ihipStream_tbENKUlT_T0_E_clISt17integral_constantIbLb0EES11_EEDaSW_SX_EUlSW_E_NS1_11comp_targetILNS1_3genE10ELNS1_11target_archE1200ELNS1_3gpuE4ELNS1_3repE0EEENS1_30default_config_static_selectorELNS0_4arch9wavefront6targetE0EEEvT1_ ; -- Begin function _ZN7rocprim17ROCPRIM_400000_NS6detail17trampoline_kernelINS0_14default_configENS1_29reduce_by_key_config_selectorIyyN6thrust23THRUST_200600_302600_NS4plusIyEEEEZZNS1_33reduce_by_key_impl_wrapped_configILNS1_25lookback_scan_determinismE0ES3_S9_NS6_6detail15normal_iteratorINS6_10device_ptrIyEEEESG_SG_SG_PmS8_NS6_8equal_toIyEEEE10hipError_tPvRmT2_T3_mT4_T5_T6_T7_T8_P12ihipStream_tbENKUlT_T0_E_clISt17integral_constantIbLb0EES11_EEDaSW_SX_EUlSW_E_NS1_11comp_targetILNS1_3genE10ELNS1_11target_archE1200ELNS1_3gpuE4ELNS1_3repE0EEENS1_30default_config_static_selectorELNS0_4arch9wavefront6targetE0EEEvT1_
	.globl	_ZN7rocprim17ROCPRIM_400000_NS6detail17trampoline_kernelINS0_14default_configENS1_29reduce_by_key_config_selectorIyyN6thrust23THRUST_200600_302600_NS4plusIyEEEEZZNS1_33reduce_by_key_impl_wrapped_configILNS1_25lookback_scan_determinismE0ES3_S9_NS6_6detail15normal_iteratorINS6_10device_ptrIyEEEESG_SG_SG_PmS8_NS6_8equal_toIyEEEE10hipError_tPvRmT2_T3_mT4_T5_T6_T7_T8_P12ihipStream_tbENKUlT_T0_E_clISt17integral_constantIbLb0EES11_EEDaSW_SX_EUlSW_E_NS1_11comp_targetILNS1_3genE10ELNS1_11target_archE1200ELNS1_3gpuE4ELNS1_3repE0EEENS1_30default_config_static_selectorELNS0_4arch9wavefront6targetE0EEEvT1_
	.p2align	8
	.type	_ZN7rocprim17ROCPRIM_400000_NS6detail17trampoline_kernelINS0_14default_configENS1_29reduce_by_key_config_selectorIyyN6thrust23THRUST_200600_302600_NS4plusIyEEEEZZNS1_33reduce_by_key_impl_wrapped_configILNS1_25lookback_scan_determinismE0ES3_S9_NS6_6detail15normal_iteratorINS6_10device_ptrIyEEEESG_SG_SG_PmS8_NS6_8equal_toIyEEEE10hipError_tPvRmT2_T3_mT4_T5_T6_T7_T8_P12ihipStream_tbENKUlT_T0_E_clISt17integral_constantIbLb0EES11_EEDaSW_SX_EUlSW_E_NS1_11comp_targetILNS1_3genE10ELNS1_11target_archE1200ELNS1_3gpuE4ELNS1_3repE0EEENS1_30default_config_static_selectorELNS0_4arch9wavefront6targetE0EEEvT1_,@function
_ZN7rocprim17ROCPRIM_400000_NS6detail17trampoline_kernelINS0_14default_configENS1_29reduce_by_key_config_selectorIyyN6thrust23THRUST_200600_302600_NS4plusIyEEEEZZNS1_33reduce_by_key_impl_wrapped_configILNS1_25lookback_scan_determinismE0ES3_S9_NS6_6detail15normal_iteratorINS6_10device_ptrIyEEEESG_SG_SG_PmS8_NS6_8equal_toIyEEEE10hipError_tPvRmT2_T3_mT4_T5_T6_T7_T8_P12ihipStream_tbENKUlT_T0_E_clISt17integral_constantIbLb0EES11_EEDaSW_SX_EUlSW_E_NS1_11comp_targetILNS1_3genE10ELNS1_11target_archE1200ELNS1_3gpuE4ELNS1_3repE0EEENS1_30default_config_static_selectorELNS0_4arch9wavefront6targetE0EEEvT1_: ; @_ZN7rocprim17ROCPRIM_400000_NS6detail17trampoline_kernelINS0_14default_configENS1_29reduce_by_key_config_selectorIyyN6thrust23THRUST_200600_302600_NS4plusIyEEEEZZNS1_33reduce_by_key_impl_wrapped_configILNS1_25lookback_scan_determinismE0ES3_S9_NS6_6detail15normal_iteratorINS6_10device_ptrIyEEEESG_SG_SG_PmS8_NS6_8equal_toIyEEEE10hipError_tPvRmT2_T3_mT4_T5_T6_T7_T8_P12ihipStream_tbENKUlT_T0_E_clISt17integral_constantIbLb0EES11_EEDaSW_SX_EUlSW_E_NS1_11comp_targetILNS1_3genE10ELNS1_11target_archE1200ELNS1_3gpuE4ELNS1_3repE0EEENS1_30default_config_static_selectorELNS0_4arch9wavefront6targetE0EEEvT1_
; %bb.0:
	.section	.rodata,"a",@progbits
	.p2align	6, 0x0
	.amdhsa_kernel _ZN7rocprim17ROCPRIM_400000_NS6detail17trampoline_kernelINS0_14default_configENS1_29reduce_by_key_config_selectorIyyN6thrust23THRUST_200600_302600_NS4plusIyEEEEZZNS1_33reduce_by_key_impl_wrapped_configILNS1_25lookback_scan_determinismE0ES3_S9_NS6_6detail15normal_iteratorINS6_10device_ptrIyEEEESG_SG_SG_PmS8_NS6_8equal_toIyEEEE10hipError_tPvRmT2_T3_mT4_T5_T6_T7_T8_P12ihipStream_tbENKUlT_T0_E_clISt17integral_constantIbLb0EES11_EEDaSW_SX_EUlSW_E_NS1_11comp_targetILNS1_3genE10ELNS1_11target_archE1200ELNS1_3gpuE4ELNS1_3repE0EEENS1_30default_config_static_selectorELNS0_4arch9wavefront6targetE0EEEvT1_
		.amdhsa_group_segment_fixed_size 0
		.amdhsa_private_segment_fixed_size 0
		.amdhsa_kernarg_size 136
		.amdhsa_user_sgpr_count 15
		.amdhsa_user_sgpr_dispatch_ptr 0
		.amdhsa_user_sgpr_queue_ptr 0
		.amdhsa_user_sgpr_kernarg_segment_ptr 1
		.amdhsa_user_sgpr_dispatch_id 0
		.amdhsa_user_sgpr_private_segment_size 0
		.amdhsa_wavefront_size32 1
		.amdhsa_uses_dynamic_stack 0
		.amdhsa_enable_private_segment 0
		.amdhsa_system_sgpr_workgroup_id_x 1
		.amdhsa_system_sgpr_workgroup_id_y 0
		.amdhsa_system_sgpr_workgroup_id_z 0
		.amdhsa_system_sgpr_workgroup_info 0
		.amdhsa_system_vgpr_workitem_id 0
		.amdhsa_next_free_vgpr 1
		.amdhsa_next_free_sgpr 1
		.amdhsa_reserve_vcc 0
		.amdhsa_float_round_mode_32 0
		.amdhsa_float_round_mode_16_64 0
		.amdhsa_float_denorm_mode_32 3
		.amdhsa_float_denorm_mode_16_64 3
		.amdhsa_dx10_clamp 1
		.amdhsa_ieee_mode 1
		.amdhsa_fp16_overflow 0
		.amdhsa_workgroup_processor_mode 1
		.amdhsa_memory_ordered 1
		.amdhsa_forward_progress 0
		.amdhsa_shared_vgpr_count 0
		.amdhsa_exception_fp_ieee_invalid_op 0
		.amdhsa_exception_fp_denorm_src 0
		.amdhsa_exception_fp_ieee_div_zero 0
		.amdhsa_exception_fp_ieee_overflow 0
		.amdhsa_exception_fp_ieee_underflow 0
		.amdhsa_exception_fp_ieee_inexact 0
		.amdhsa_exception_int_div_zero 0
	.end_amdhsa_kernel
	.section	.text._ZN7rocprim17ROCPRIM_400000_NS6detail17trampoline_kernelINS0_14default_configENS1_29reduce_by_key_config_selectorIyyN6thrust23THRUST_200600_302600_NS4plusIyEEEEZZNS1_33reduce_by_key_impl_wrapped_configILNS1_25lookback_scan_determinismE0ES3_S9_NS6_6detail15normal_iteratorINS6_10device_ptrIyEEEESG_SG_SG_PmS8_NS6_8equal_toIyEEEE10hipError_tPvRmT2_T3_mT4_T5_T6_T7_T8_P12ihipStream_tbENKUlT_T0_E_clISt17integral_constantIbLb0EES11_EEDaSW_SX_EUlSW_E_NS1_11comp_targetILNS1_3genE10ELNS1_11target_archE1200ELNS1_3gpuE4ELNS1_3repE0EEENS1_30default_config_static_selectorELNS0_4arch9wavefront6targetE0EEEvT1_,"axG",@progbits,_ZN7rocprim17ROCPRIM_400000_NS6detail17trampoline_kernelINS0_14default_configENS1_29reduce_by_key_config_selectorIyyN6thrust23THRUST_200600_302600_NS4plusIyEEEEZZNS1_33reduce_by_key_impl_wrapped_configILNS1_25lookback_scan_determinismE0ES3_S9_NS6_6detail15normal_iteratorINS6_10device_ptrIyEEEESG_SG_SG_PmS8_NS6_8equal_toIyEEEE10hipError_tPvRmT2_T3_mT4_T5_T6_T7_T8_P12ihipStream_tbENKUlT_T0_E_clISt17integral_constantIbLb0EES11_EEDaSW_SX_EUlSW_E_NS1_11comp_targetILNS1_3genE10ELNS1_11target_archE1200ELNS1_3gpuE4ELNS1_3repE0EEENS1_30default_config_static_selectorELNS0_4arch9wavefront6targetE0EEEvT1_,comdat
.Lfunc_end244:
	.size	_ZN7rocprim17ROCPRIM_400000_NS6detail17trampoline_kernelINS0_14default_configENS1_29reduce_by_key_config_selectorIyyN6thrust23THRUST_200600_302600_NS4plusIyEEEEZZNS1_33reduce_by_key_impl_wrapped_configILNS1_25lookback_scan_determinismE0ES3_S9_NS6_6detail15normal_iteratorINS6_10device_ptrIyEEEESG_SG_SG_PmS8_NS6_8equal_toIyEEEE10hipError_tPvRmT2_T3_mT4_T5_T6_T7_T8_P12ihipStream_tbENKUlT_T0_E_clISt17integral_constantIbLb0EES11_EEDaSW_SX_EUlSW_E_NS1_11comp_targetILNS1_3genE10ELNS1_11target_archE1200ELNS1_3gpuE4ELNS1_3repE0EEENS1_30default_config_static_selectorELNS0_4arch9wavefront6targetE0EEEvT1_, .Lfunc_end244-_ZN7rocprim17ROCPRIM_400000_NS6detail17trampoline_kernelINS0_14default_configENS1_29reduce_by_key_config_selectorIyyN6thrust23THRUST_200600_302600_NS4plusIyEEEEZZNS1_33reduce_by_key_impl_wrapped_configILNS1_25lookback_scan_determinismE0ES3_S9_NS6_6detail15normal_iteratorINS6_10device_ptrIyEEEESG_SG_SG_PmS8_NS6_8equal_toIyEEEE10hipError_tPvRmT2_T3_mT4_T5_T6_T7_T8_P12ihipStream_tbENKUlT_T0_E_clISt17integral_constantIbLb0EES11_EEDaSW_SX_EUlSW_E_NS1_11comp_targetILNS1_3genE10ELNS1_11target_archE1200ELNS1_3gpuE4ELNS1_3repE0EEENS1_30default_config_static_selectorELNS0_4arch9wavefront6targetE0EEEvT1_
                                        ; -- End function
	.section	.AMDGPU.csdata,"",@progbits
; Kernel info:
; codeLenInByte = 0
; NumSgprs: 0
; NumVgprs: 0
; ScratchSize: 0
; MemoryBound: 0
; FloatMode: 240
; IeeeMode: 1
; LDSByteSize: 0 bytes/workgroup (compile time only)
; SGPRBlocks: 0
; VGPRBlocks: 0
; NumSGPRsForWavesPerEU: 1
; NumVGPRsForWavesPerEU: 1
; Occupancy: 16
; WaveLimiterHint : 0
; COMPUTE_PGM_RSRC2:SCRATCH_EN: 0
; COMPUTE_PGM_RSRC2:USER_SGPR: 15
; COMPUTE_PGM_RSRC2:TRAP_HANDLER: 0
; COMPUTE_PGM_RSRC2:TGID_X_EN: 1
; COMPUTE_PGM_RSRC2:TGID_Y_EN: 0
; COMPUTE_PGM_RSRC2:TGID_Z_EN: 0
; COMPUTE_PGM_RSRC2:TIDIG_COMP_CNT: 0
	.section	.text._ZN7rocprim17ROCPRIM_400000_NS6detail17trampoline_kernelINS0_14default_configENS1_29reduce_by_key_config_selectorIyyN6thrust23THRUST_200600_302600_NS4plusIyEEEEZZNS1_33reduce_by_key_impl_wrapped_configILNS1_25lookback_scan_determinismE0ES3_S9_NS6_6detail15normal_iteratorINS6_10device_ptrIyEEEESG_SG_SG_PmS8_NS6_8equal_toIyEEEE10hipError_tPvRmT2_T3_mT4_T5_T6_T7_T8_P12ihipStream_tbENKUlT_T0_E_clISt17integral_constantIbLb0EES11_EEDaSW_SX_EUlSW_E_NS1_11comp_targetILNS1_3genE9ELNS1_11target_archE1100ELNS1_3gpuE3ELNS1_3repE0EEENS1_30default_config_static_selectorELNS0_4arch9wavefront6targetE0EEEvT1_,"axG",@progbits,_ZN7rocprim17ROCPRIM_400000_NS6detail17trampoline_kernelINS0_14default_configENS1_29reduce_by_key_config_selectorIyyN6thrust23THRUST_200600_302600_NS4plusIyEEEEZZNS1_33reduce_by_key_impl_wrapped_configILNS1_25lookback_scan_determinismE0ES3_S9_NS6_6detail15normal_iteratorINS6_10device_ptrIyEEEESG_SG_SG_PmS8_NS6_8equal_toIyEEEE10hipError_tPvRmT2_T3_mT4_T5_T6_T7_T8_P12ihipStream_tbENKUlT_T0_E_clISt17integral_constantIbLb0EES11_EEDaSW_SX_EUlSW_E_NS1_11comp_targetILNS1_3genE9ELNS1_11target_archE1100ELNS1_3gpuE3ELNS1_3repE0EEENS1_30default_config_static_selectorELNS0_4arch9wavefront6targetE0EEEvT1_,comdat
	.protected	_ZN7rocprim17ROCPRIM_400000_NS6detail17trampoline_kernelINS0_14default_configENS1_29reduce_by_key_config_selectorIyyN6thrust23THRUST_200600_302600_NS4plusIyEEEEZZNS1_33reduce_by_key_impl_wrapped_configILNS1_25lookback_scan_determinismE0ES3_S9_NS6_6detail15normal_iteratorINS6_10device_ptrIyEEEESG_SG_SG_PmS8_NS6_8equal_toIyEEEE10hipError_tPvRmT2_T3_mT4_T5_T6_T7_T8_P12ihipStream_tbENKUlT_T0_E_clISt17integral_constantIbLb0EES11_EEDaSW_SX_EUlSW_E_NS1_11comp_targetILNS1_3genE9ELNS1_11target_archE1100ELNS1_3gpuE3ELNS1_3repE0EEENS1_30default_config_static_selectorELNS0_4arch9wavefront6targetE0EEEvT1_ ; -- Begin function _ZN7rocprim17ROCPRIM_400000_NS6detail17trampoline_kernelINS0_14default_configENS1_29reduce_by_key_config_selectorIyyN6thrust23THRUST_200600_302600_NS4plusIyEEEEZZNS1_33reduce_by_key_impl_wrapped_configILNS1_25lookback_scan_determinismE0ES3_S9_NS6_6detail15normal_iteratorINS6_10device_ptrIyEEEESG_SG_SG_PmS8_NS6_8equal_toIyEEEE10hipError_tPvRmT2_T3_mT4_T5_T6_T7_T8_P12ihipStream_tbENKUlT_T0_E_clISt17integral_constantIbLb0EES11_EEDaSW_SX_EUlSW_E_NS1_11comp_targetILNS1_3genE9ELNS1_11target_archE1100ELNS1_3gpuE3ELNS1_3repE0EEENS1_30default_config_static_selectorELNS0_4arch9wavefront6targetE0EEEvT1_
	.globl	_ZN7rocprim17ROCPRIM_400000_NS6detail17trampoline_kernelINS0_14default_configENS1_29reduce_by_key_config_selectorIyyN6thrust23THRUST_200600_302600_NS4plusIyEEEEZZNS1_33reduce_by_key_impl_wrapped_configILNS1_25lookback_scan_determinismE0ES3_S9_NS6_6detail15normal_iteratorINS6_10device_ptrIyEEEESG_SG_SG_PmS8_NS6_8equal_toIyEEEE10hipError_tPvRmT2_T3_mT4_T5_T6_T7_T8_P12ihipStream_tbENKUlT_T0_E_clISt17integral_constantIbLb0EES11_EEDaSW_SX_EUlSW_E_NS1_11comp_targetILNS1_3genE9ELNS1_11target_archE1100ELNS1_3gpuE3ELNS1_3repE0EEENS1_30default_config_static_selectorELNS0_4arch9wavefront6targetE0EEEvT1_
	.p2align	8
	.type	_ZN7rocprim17ROCPRIM_400000_NS6detail17trampoline_kernelINS0_14default_configENS1_29reduce_by_key_config_selectorIyyN6thrust23THRUST_200600_302600_NS4plusIyEEEEZZNS1_33reduce_by_key_impl_wrapped_configILNS1_25lookback_scan_determinismE0ES3_S9_NS6_6detail15normal_iteratorINS6_10device_ptrIyEEEESG_SG_SG_PmS8_NS6_8equal_toIyEEEE10hipError_tPvRmT2_T3_mT4_T5_T6_T7_T8_P12ihipStream_tbENKUlT_T0_E_clISt17integral_constantIbLb0EES11_EEDaSW_SX_EUlSW_E_NS1_11comp_targetILNS1_3genE9ELNS1_11target_archE1100ELNS1_3gpuE3ELNS1_3repE0EEENS1_30default_config_static_selectorELNS0_4arch9wavefront6targetE0EEEvT1_,@function
_ZN7rocprim17ROCPRIM_400000_NS6detail17trampoline_kernelINS0_14default_configENS1_29reduce_by_key_config_selectorIyyN6thrust23THRUST_200600_302600_NS4plusIyEEEEZZNS1_33reduce_by_key_impl_wrapped_configILNS1_25lookback_scan_determinismE0ES3_S9_NS6_6detail15normal_iteratorINS6_10device_ptrIyEEEESG_SG_SG_PmS8_NS6_8equal_toIyEEEE10hipError_tPvRmT2_T3_mT4_T5_T6_T7_T8_P12ihipStream_tbENKUlT_T0_E_clISt17integral_constantIbLb0EES11_EEDaSW_SX_EUlSW_E_NS1_11comp_targetILNS1_3genE9ELNS1_11target_archE1100ELNS1_3gpuE3ELNS1_3repE0EEENS1_30default_config_static_selectorELNS0_4arch9wavefront6targetE0EEEvT1_: ; @_ZN7rocprim17ROCPRIM_400000_NS6detail17trampoline_kernelINS0_14default_configENS1_29reduce_by_key_config_selectorIyyN6thrust23THRUST_200600_302600_NS4plusIyEEEEZZNS1_33reduce_by_key_impl_wrapped_configILNS1_25lookback_scan_determinismE0ES3_S9_NS6_6detail15normal_iteratorINS6_10device_ptrIyEEEESG_SG_SG_PmS8_NS6_8equal_toIyEEEE10hipError_tPvRmT2_T3_mT4_T5_T6_T7_T8_P12ihipStream_tbENKUlT_T0_E_clISt17integral_constantIbLb0EES11_EEDaSW_SX_EUlSW_E_NS1_11comp_targetILNS1_3genE9ELNS1_11target_archE1100ELNS1_3gpuE3ELNS1_3repE0EEENS1_30default_config_static_selectorELNS0_4arch9wavefront6targetE0EEEvT1_
; %bb.0:
	s_clause 0x2
	s_load_b256 s[16:23], s[0:1], 0x0
	s_load_b512 s[36:51], s[0:1], 0x38
	s_load_b128 s[24:27], s[0:1], 0x20
	s_mov_b32 s3, 0
	s_mul_i32 s2, s15, 0xf00
	s_waitcnt lgkmcnt(0)
	s_lshl_b64 s[4:5], s[18:19], 3
	s_mul_i32 s6, s44, s43
	s_add_u32 s10, s16, s4
	s_mul_hi_u32 s7, s44, s42
	s_addc_u32 s11, s17, s5
	s_add_u32 s12, s20, s4
	s_mul_i32 s8, s45, s42
	s_addc_u32 s13, s21, s5
	s_add_i32 s6, s7, s6
	s_lshl_b64 s[4:5], s[2:3], 3
	s_add_i32 s6, s6, s8
	s_add_u32 s33, s10, s4
	s_addc_u32 s31, s11, s5
	s_mul_i32 s9, s44, s42
	s_add_u32 s20, s12, s4
	s_addc_u32 s21, s13, s5
	s_add_u32 s16, s9, s15
	s_addc_u32 s17, s6, 0
	s_add_u32 s4, s46, -1
	s_addc_u32 s5, s47, -1
	s_mul_i32 s29, s4, 0xfffff100
	s_cmp_eq_u64 s[16:17], s[4:5]
	s_cselect_b32 s28, -1, 0
	s_cmp_lg_u64 s[16:17], s[4:5]
	s_cselect_b32 s14, -1, 0
	s_and_b32 vcc_lo, exec_lo, s28
	s_cbranch_vccnz .LBB245_2
; %bb.1:
	v_lshlrev_b32_e32 v62, 3, v0
	s_delay_alu instid0(VALU_DEP_1) | instskip(NEXT) | instid1(VALU_DEP_1)
	v_add_co_u32 v1, s2, s33, v62
	v_add_co_ci_u32_e64 v2, null, s31, 0, s2
	v_add_co_u32 v31, s2, s20, v62
	s_delay_alu instid0(VALU_DEP_3) | instskip(NEXT) | instid1(VALU_DEP_3)
	v_add_co_u32 v3, vcc_lo, 0x1000, v1
	v_add_co_ci_u32_e32 v4, vcc_lo, 0, v2, vcc_lo
	v_add_co_u32 v5, vcc_lo, 0x2000, v1
	v_add_co_ci_u32_e32 v6, vcc_lo, 0, v2, vcc_lo
	;; [unrolled: 2-line block ×6, first 2 shown]
	s_clause 0x7
	flat_load_b64 v[9:10], v[1:2]
	flat_load_b64 v[11:12], v[1:2] offset:2048
	flat_load_b64 v[13:14], v[3:4]
	flat_load_b64 v[3:4], v[3:4] offset:2048
	;; [unrolled: 2-line block ×4, first 2 shown]
	v_add_co_u32 v1, vcc_lo, 0x7000, v1
	v_add_co_ci_u32_e32 v2, vcc_lo, 0, v2, vcc_lo
	s_clause 0x6
	flat_load_b64 v[25:26], v[19:20]
	flat_load_b64 v[19:20], v[19:20] offset:2048
	flat_load_b64 v[27:28], v[21:22]
	flat_load_b64 v[21:22], v[21:22] offset:2048
	;; [unrolled: 2-line block ×3, first 2 shown]
	flat_load_b64 v[1:2], v[1:2]
	v_add_co_ci_u32_e64 v32, null, s21, 0, s2
	v_add_co_u32 v33, vcc_lo, 0x1000, v31
	v_mad_u32_u24 v61, 0x70, v0, v62
	s_delay_alu instid0(VALU_DEP_3)
	v_add_co_ci_u32_e32 v34, vcc_lo, 0, v32, vcc_lo
	v_add_co_u32 v35, vcc_lo, 0x2000, v31
	v_add_co_ci_u32_e32 v36, vcc_lo, 0, v32, vcc_lo
	v_add_co_u32 v37, vcc_lo, 0x3000, v31
	v_add_co_ci_u32_e32 v38, vcc_lo, 0, v32, vcc_lo
	v_add_co_u32 v39, vcc_lo, 0x4000, v31
	v_add_co_ci_u32_e32 v40, vcc_lo, 0, v32, vcc_lo
	v_add_co_u32 v41, vcc_lo, 0x5000, v31
	v_add_co_ci_u32_e32 v42, vcc_lo, 0, v32, vcc_lo
	v_add_co_u32 v43, vcc_lo, 0x6000, v31
	v_add_co_ci_u32_e32 v44, vcc_lo, 0, v32, vcc_lo
	v_add_co_u32 v45, vcc_lo, 0x7000, v31
	v_add_co_ci_u32_e32 v46, vcc_lo, 0, v32, vcc_lo
	s_waitcnt vmcnt(13) lgkmcnt(13)
	ds_store_2addr_stride64_b64 v62, v[9:10], v[11:12] offset1:4
	s_waitcnt vmcnt(11) lgkmcnt(12)
	ds_store_2addr_stride64_b64 v62, v[13:14], v[3:4] offset0:8 offset1:12
	s_waitcnt vmcnt(9) lgkmcnt(11)
	ds_store_2addr_stride64_b64 v62, v[15:16], v[5:6] offset0:16 offset1:20
	;; [unrolled: 2-line block ×6, first 2 shown]
	s_waitcnt vmcnt(0) lgkmcnt(7)
	ds_store_b64 v62, v[1:2] offset:28672
	s_waitcnt lgkmcnt(0)
	s_barrier
	buffer_gl0_inv
	ds_load_2addr_b64 v[25:28], v61 offset1:1
	ds_load_2addr_b64 v[21:24], v61 offset0:2 offset1:3
	ds_load_2addr_b64 v[17:20], v61 offset0:4 offset1:5
	;; [unrolled: 1-line block ×6, first 2 shown]
	ds_load_b64 v[57:58], v61 offset:112
	s_waitcnt lgkmcnt(0)
	s_barrier
	buffer_gl0_inv
	s_clause 0xe
	flat_load_b64 v[29:30], v[31:32]
	flat_load_b64 v[31:32], v[31:32] offset:2048
	flat_load_b64 v[47:48], v[33:34]
	flat_load_b64 v[33:34], v[33:34] offset:2048
	;; [unrolled: 2-line block ×7, first 2 shown]
	flat_load_b64 v[45:46], v[45:46]
	s_waitcnt vmcnt(13) lgkmcnt(13)
	ds_store_2addr_stride64_b64 v62, v[29:30], v[31:32] offset1:4
	s_waitcnt vmcnt(11) lgkmcnt(12)
	ds_store_2addr_stride64_b64 v62, v[47:48], v[33:34] offset0:8 offset1:12
	s_waitcnt vmcnt(9) lgkmcnt(11)
	ds_store_2addr_stride64_b64 v62, v[49:50], v[35:36] offset0:16 offset1:20
	;; [unrolled: 2-line block ×6, first 2 shown]
	s_waitcnt vmcnt(0) lgkmcnt(7)
	ds_store_b64 v62, v[45:46] offset:28672
	s_waitcnt lgkmcnt(0)
	s_barrier
	s_load_b64 s[18:19], s[0:1], 0x78
	s_and_not1_b32 vcc_lo, exec_lo, s3
	s_add_i32 s29, s29, s48
	s_cbranch_vccz .LBB245_3
	s_branch .LBB245_50
.LBB245_2:
                                        ; implicit-def: $vgpr61
                                        ; implicit-def: $vgpr25_vgpr26
                                        ; implicit-def: $vgpr21_vgpr22
                                        ; implicit-def: $vgpr17_vgpr18
                                        ; implicit-def: $vgpr13_vgpr14
                                        ; implicit-def: $vgpr9_vgpr10
                                        ; implicit-def: $vgpr5_vgpr6
                                        ; implicit-def: $vgpr1_vgpr2
                                        ; implicit-def: $vgpr57_vgpr58
	s_load_b64 s[18:19], s[0:1], 0x78
	s_add_i32 s29, s29, s48
.LBB245_3:
	s_delay_alu instid0(SALU_CYCLE_1)
	v_cmp_gt_u32_e32 vcc_lo, s29, v0
                                        ; implicit-def: $vgpr1_vgpr2
	s_and_saveexec_b32 s0, vcc_lo
	s_cbranch_execz .LBB245_5
; %bb.4:
	v_lshlrev_b32_e32 v1, 3, v0
	s_delay_alu instid0(VALU_DEP_1) | instskip(NEXT) | instid1(VALU_DEP_1)
	v_add_co_u32 v1, s1, s33, v1
	v_add_co_ci_u32_e64 v2, null, s31, 0, s1
	flat_load_b64 v[1:2], v[1:2]
.LBB245_5:
	s_or_b32 exec_lo, exec_lo, s0
	v_or_b32_e32 v3, 0x100, v0
	s_delay_alu instid0(VALU_DEP_1) | instskip(NEXT) | instid1(VALU_DEP_1)
	v_cmp_gt_u32_e64 s0, s29, v3
                                        ; implicit-def: $vgpr3_vgpr4
	s_and_saveexec_b32 s1, s0
	s_cbranch_execz .LBB245_7
; %bb.6:
	v_lshlrev_b32_e32 v3, 3, v0
	s_delay_alu instid0(VALU_DEP_1) | instskip(NEXT) | instid1(VALU_DEP_1)
	v_add_co_u32 v3, s2, s33, v3
	v_add_co_ci_u32_e64 v4, null, s31, 0, s2
	flat_load_b64 v[3:4], v[3:4] offset:2048
.LBB245_7:
	s_or_b32 exec_lo, exec_lo, s1
	v_or_b32_e32 v5, 0x200, v0
	s_delay_alu instid0(VALU_DEP_1) | instskip(SKIP_1) | instid1(VALU_DEP_2)
	v_cmp_gt_u32_e64 s1, s29, v5
	v_lshlrev_b32_e32 v35, 3, v5
                                        ; implicit-def: $vgpr5_vgpr6
	s_and_saveexec_b32 s2, s1
	s_cbranch_execz .LBB245_9
; %bb.8:
	s_delay_alu instid0(VALU_DEP_1) | instskip(NEXT) | instid1(VALU_DEP_1)
	v_add_co_u32 v5, s3, s33, v35
	v_add_co_ci_u32_e64 v6, null, s31, 0, s3
	flat_load_b64 v[5:6], v[5:6]
.LBB245_9:
	s_or_b32 exec_lo, exec_lo, s2
	v_or_b32_e32 v7, 0x300, v0
	s_delay_alu instid0(VALU_DEP_1) | instskip(SKIP_1) | instid1(VALU_DEP_2)
	v_cmp_gt_u32_e64 s2, s29, v7
	v_lshlrev_b32_e32 v37, 3, v7
                                        ; implicit-def: $vgpr7_vgpr8
	s_and_saveexec_b32 s3, s2
	s_cbranch_execz .LBB245_11
; %bb.10:
	s_delay_alu instid0(VALU_DEP_1) | instskip(NEXT) | instid1(VALU_DEP_1)
	v_add_co_u32 v7, s4, s33, v37
	v_add_co_ci_u32_e64 v8, null, s31, 0, s4
	flat_load_b64 v[7:8], v[7:8]
.LBB245_11:
	s_or_b32 exec_lo, exec_lo, s3
	v_or_b32_e32 v9, 0x400, v0
	s_delay_alu instid0(VALU_DEP_1) | instskip(SKIP_1) | instid1(VALU_DEP_2)
	v_cmp_gt_u32_e64 s3, s29, v9
	v_lshlrev_b32_e32 v39, 3, v9
                                        ; implicit-def: $vgpr9_vgpr10
	s_and_saveexec_b32 s4, s3
	s_cbranch_execz .LBB245_13
; %bb.12:
	s_delay_alu instid0(VALU_DEP_1) | instskip(NEXT) | instid1(VALU_DEP_1)
	v_add_co_u32 v9, s5, s33, v39
	v_add_co_ci_u32_e64 v10, null, s31, 0, s5
	flat_load_b64 v[9:10], v[9:10]
.LBB245_13:
	s_or_b32 exec_lo, exec_lo, s4
	v_or_b32_e32 v11, 0x500, v0
	s_delay_alu instid0(VALU_DEP_1) | instskip(SKIP_1) | instid1(VALU_DEP_2)
	v_cmp_gt_u32_e64 s4, s29, v11
	v_lshlrev_b32_e32 v41, 3, v11
                                        ; implicit-def: $vgpr11_vgpr12
	s_and_saveexec_b32 s5, s4
	s_cbranch_execz .LBB245_15
; %bb.14:
	s_delay_alu instid0(VALU_DEP_1) | instskip(NEXT) | instid1(VALU_DEP_1)
	v_add_co_u32 v11, s6, s33, v41
	v_add_co_ci_u32_e64 v12, null, s31, 0, s6
	flat_load_b64 v[11:12], v[11:12]
.LBB245_15:
	s_or_b32 exec_lo, exec_lo, s5
	v_or_b32_e32 v13, 0x600, v0
	s_delay_alu instid0(VALU_DEP_1) | instskip(SKIP_1) | instid1(VALU_DEP_2)
	v_cmp_gt_u32_e64 s5, s29, v13
	v_lshlrev_b32_e32 v43, 3, v13
                                        ; implicit-def: $vgpr13_vgpr14
	s_and_saveexec_b32 s6, s5
	s_cbranch_execz .LBB245_17
; %bb.16:
	s_delay_alu instid0(VALU_DEP_1) | instskip(NEXT) | instid1(VALU_DEP_1)
	v_add_co_u32 v13, s7, s33, v43
	v_add_co_ci_u32_e64 v14, null, s31, 0, s7
	flat_load_b64 v[13:14], v[13:14]
.LBB245_17:
	s_or_b32 exec_lo, exec_lo, s6
	v_or_b32_e32 v15, 0x700, v0
	s_delay_alu instid0(VALU_DEP_1) | instskip(SKIP_1) | instid1(VALU_DEP_2)
	v_cmp_gt_u32_e64 s6, s29, v15
	v_lshlrev_b32_e32 v45, 3, v15
                                        ; implicit-def: $vgpr15_vgpr16
	s_and_saveexec_b32 s7, s6
	s_cbranch_execz .LBB245_19
; %bb.18:
	s_delay_alu instid0(VALU_DEP_1) | instskip(NEXT) | instid1(VALU_DEP_1)
	v_add_co_u32 v15, s8, s33, v45
	v_add_co_ci_u32_e64 v16, null, s31, 0, s8
	flat_load_b64 v[15:16], v[15:16]
.LBB245_19:
	s_or_b32 exec_lo, exec_lo, s7
	v_or_b32_e32 v17, 0x800, v0
	s_delay_alu instid0(VALU_DEP_1) | instskip(SKIP_1) | instid1(VALU_DEP_2)
	v_cmp_gt_u32_e64 s7, s29, v17
	v_lshlrev_b32_e32 v47, 3, v17
                                        ; implicit-def: $vgpr17_vgpr18
	s_and_saveexec_b32 s8, s7
	s_cbranch_execz .LBB245_21
; %bb.20:
	s_delay_alu instid0(VALU_DEP_1) | instskip(NEXT) | instid1(VALU_DEP_1)
	v_add_co_u32 v17, s9, s33, v47
	v_add_co_ci_u32_e64 v18, null, s31, 0, s9
	flat_load_b64 v[17:18], v[17:18]
.LBB245_21:
	s_or_b32 exec_lo, exec_lo, s8
	v_or_b32_e32 v19, 0x900, v0
	s_delay_alu instid0(VALU_DEP_1) | instskip(SKIP_1) | instid1(VALU_DEP_2)
	v_cmp_gt_u32_e64 s8, s29, v19
	v_lshlrev_b32_e32 v49, 3, v19
                                        ; implicit-def: $vgpr19_vgpr20
	s_and_saveexec_b32 s9, s8
	s_cbranch_execz .LBB245_23
; %bb.22:
	s_delay_alu instid0(VALU_DEP_1) | instskip(NEXT) | instid1(VALU_DEP_1)
	v_add_co_u32 v19, s10, s33, v49
	v_add_co_ci_u32_e64 v20, null, s31, 0, s10
	flat_load_b64 v[19:20], v[19:20]
.LBB245_23:
	s_or_b32 exec_lo, exec_lo, s9
	v_or_b32_e32 v21, 0xa00, v0
	s_delay_alu instid0(VALU_DEP_1) | instskip(SKIP_1) | instid1(VALU_DEP_2)
	v_cmp_gt_u32_e64 s9, s29, v21
	v_lshlrev_b32_e32 v51, 3, v21
                                        ; implicit-def: $vgpr21_vgpr22
	s_and_saveexec_b32 s10, s9
	s_cbranch_execz .LBB245_25
; %bb.24:
	s_delay_alu instid0(VALU_DEP_1) | instskip(NEXT) | instid1(VALU_DEP_1)
	v_add_co_u32 v21, s11, s33, v51
	v_add_co_ci_u32_e64 v22, null, s31, 0, s11
	flat_load_b64 v[21:22], v[21:22]
.LBB245_25:
	s_or_b32 exec_lo, exec_lo, s10
	v_or_b32_e32 v23, 0xb00, v0
	s_delay_alu instid0(VALU_DEP_1) | instskip(SKIP_1) | instid1(VALU_DEP_2)
	v_cmp_gt_u32_e64 s10, s29, v23
	v_lshlrev_b32_e32 v53, 3, v23
                                        ; implicit-def: $vgpr23_vgpr24
	s_and_saveexec_b32 s11, s10
	s_cbranch_execz .LBB245_27
; %bb.26:
	s_delay_alu instid0(VALU_DEP_1) | instskip(NEXT) | instid1(VALU_DEP_1)
	v_add_co_u32 v23, s12, s33, v53
	v_add_co_ci_u32_e64 v24, null, s31, 0, s12
	flat_load_b64 v[23:24], v[23:24]
.LBB245_27:
	s_or_b32 exec_lo, exec_lo, s11
	v_or_b32_e32 v25, 0xc00, v0
	s_delay_alu instid0(VALU_DEP_1) | instskip(SKIP_1) | instid1(VALU_DEP_2)
	v_cmp_gt_u32_e64 s11, s29, v25
	v_lshlrev_b32_e32 v55, 3, v25
                                        ; implicit-def: $vgpr25_vgpr26
	s_and_saveexec_b32 s12, s11
	s_cbranch_execz .LBB245_29
; %bb.28:
	s_delay_alu instid0(VALU_DEP_1) | instskip(NEXT) | instid1(VALU_DEP_1)
	v_add_co_u32 v25, s13, s33, v55
	v_add_co_ci_u32_e64 v26, null, s31, 0, s13
	flat_load_b64 v[25:26], v[25:26]
.LBB245_29:
	s_or_b32 exec_lo, exec_lo, s12
	v_or_b32_e32 v27, 0xd00, v0
	s_delay_alu instid0(VALU_DEP_1) | instskip(SKIP_1) | instid1(VALU_DEP_2)
	v_cmp_gt_u32_e64 s12, s29, v27
	v_lshlrev_b32_e32 v59, 3, v27
                                        ; implicit-def: $vgpr27_vgpr28
	s_and_saveexec_b32 s13, s12
	s_cbranch_execz .LBB245_31
; %bb.30:
	s_delay_alu instid0(VALU_DEP_1) | instskip(NEXT) | instid1(VALU_DEP_1)
	v_add_co_u32 v27, s30, s33, v59
	v_add_co_ci_u32_e64 v28, null, s31, 0, s30
	flat_load_b64 v[27:28], v[27:28]
.LBB245_31:
	s_or_b32 exec_lo, exec_lo, s13
	v_or_b32_e32 v29, 0xe00, v0
	s_delay_alu instid0(VALU_DEP_1) | instskip(SKIP_1) | instid1(VALU_DEP_2)
	v_cmp_gt_u32_e64 s13, s29, v29
	v_lshlrev_b32_e32 v63, 3, v29
                                        ; implicit-def: $vgpr29_vgpr30
	s_and_saveexec_b32 s30, s13
	s_cbranch_execz .LBB245_33
; %bb.32:
	s_delay_alu instid0(VALU_DEP_1) | instskip(NEXT) | instid1(VALU_DEP_1)
	v_add_co_u32 v29, s34, s33, v63
	v_add_co_ci_u32_e64 v30, null, s31, 0, s34
	flat_load_b64 v[29:30], v[29:30]
.LBB245_33:
	s_or_b32 exec_lo, exec_lo, s30
	v_lshlrev_b32_e32 v62, 3, v0
	s_waitcnt vmcnt(0) lgkmcnt(0)
	ds_store_2addr_stride64_b64 v62, v[1:2], v[3:4] offset1:4
	ds_store_2addr_stride64_b64 v62, v[5:6], v[7:8] offset0:8 offset1:12
	ds_store_2addr_stride64_b64 v62, v[9:10], v[11:12] offset0:16 offset1:20
	;; [unrolled: 1-line block ×6, first 2 shown]
	v_mad_u32_u24 v61, 0x70, v0, v62
	ds_store_b64 v62, v[29:30] offset:28672
	s_waitcnt lgkmcnt(0)
	s_barrier
	buffer_gl0_inv
	ds_load_2addr_b64 v[25:28], v61 offset1:1
	ds_load_2addr_b64 v[21:24], v61 offset0:2 offset1:3
	ds_load_2addr_b64 v[17:20], v61 offset0:4 offset1:5
	;; [unrolled: 1-line block ×6, first 2 shown]
	ds_load_b64 v[57:58], v61 offset:112
	s_waitcnt lgkmcnt(0)
	s_barrier
	buffer_gl0_inv
                                        ; implicit-def: $vgpr29_vgpr30
	s_and_saveexec_b32 s30, vcc_lo
	s_cbranch_execnz .LBB245_57
; %bb.34:
	s_or_b32 exec_lo, exec_lo, s30
                                        ; implicit-def: $vgpr31_vgpr32
	s_and_saveexec_b32 s30, s0
	s_cbranch_execnz .LBB245_58
.LBB245_35:
	s_or_b32 exec_lo, exec_lo, s30
                                        ; implicit-def: $vgpr33_vgpr34
	s_and_saveexec_b32 s0, s1
	s_cbranch_execnz .LBB245_59
.LBB245_36:
	s_or_b32 exec_lo, exec_lo, s0
                                        ; implicit-def: $vgpr35_vgpr36
	s_and_saveexec_b32 s0, s2
	s_cbranch_execnz .LBB245_60
.LBB245_37:
	s_or_b32 exec_lo, exec_lo, s0
                                        ; implicit-def: $vgpr37_vgpr38
	s_and_saveexec_b32 s0, s3
	s_cbranch_execnz .LBB245_61
.LBB245_38:
	s_or_b32 exec_lo, exec_lo, s0
                                        ; implicit-def: $vgpr39_vgpr40
	s_and_saveexec_b32 s0, s4
	s_cbranch_execnz .LBB245_62
.LBB245_39:
	s_or_b32 exec_lo, exec_lo, s0
                                        ; implicit-def: $vgpr41_vgpr42
	s_and_saveexec_b32 s0, s5
	s_cbranch_execnz .LBB245_63
.LBB245_40:
	s_or_b32 exec_lo, exec_lo, s0
                                        ; implicit-def: $vgpr43_vgpr44
	s_and_saveexec_b32 s0, s6
	s_cbranch_execnz .LBB245_64
.LBB245_41:
	s_or_b32 exec_lo, exec_lo, s0
                                        ; implicit-def: $vgpr45_vgpr46
	s_and_saveexec_b32 s0, s7
	s_cbranch_execnz .LBB245_65
.LBB245_42:
	s_or_b32 exec_lo, exec_lo, s0
                                        ; implicit-def: $vgpr47_vgpr48
	s_and_saveexec_b32 s0, s8
	s_cbranch_execnz .LBB245_66
.LBB245_43:
	s_or_b32 exec_lo, exec_lo, s0
                                        ; implicit-def: $vgpr49_vgpr50
	s_and_saveexec_b32 s0, s9
	s_cbranch_execnz .LBB245_67
.LBB245_44:
	s_or_b32 exec_lo, exec_lo, s0
                                        ; implicit-def: $vgpr51_vgpr52
	s_and_saveexec_b32 s0, s10
	s_cbranch_execnz .LBB245_68
.LBB245_45:
	s_or_b32 exec_lo, exec_lo, s0
                                        ; implicit-def: $vgpr53_vgpr54
	s_and_saveexec_b32 s0, s11
	s_cbranch_execnz .LBB245_69
.LBB245_46:
	s_or_b32 exec_lo, exec_lo, s0
                                        ; implicit-def: $vgpr55_vgpr56
	s_and_saveexec_b32 s0, s12
	s_cbranch_execnz .LBB245_70
.LBB245_47:
	s_or_b32 exec_lo, exec_lo, s0
                                        ; implicit-def: $vgpr59_vgpr60
	s_and_saveexec_b32 s0, s13
	s_cbranch_execz .LBB245_49
.LBB245_48:
	v_add_co_u32 v59, s1, s20, v63
	s_delay_alu instid0(VALU_DEP_1)
	v_add_co_ci_u32_e64 v60, null, s21, 0, s1
	flat_load_b64 v[59:60], v[59:60]
.LBB245_49:
	s_or_b32 exec_lo, exec_lo, s0
	s_waitcnt vmcnt(0) lgkmcnt(0)
	ds_store_2addr_stride64_b64 v62, v[29:30], v[31:32] offset1:4
	ds_store_2addr_stride64_b64 v62, v[33:34], v[35:36] offset0:8 offset1:12
	ds_store_2addr_stride64_b64 v62, v[37:38], v[39:40] offset0:16 offset1:20
	;; [unrolled: 1-line block ×6, first 2 shown]
	ds_store_b64 v62, v[59:60] offset:28672
	s_waitcnt lgkmcnt(0)
	s_barrier
.LBB245_50:
	s_waitcnt lgkmcnt(0)
	buffer_gl0_inv
	ds_load_2addr_b64 v[53:56], v61 offset1:1
	ds_load_2addr_b64 v[49:52], v61 offset0:2 offset1:3
	ds_load_2addr_b64 v[45:48], v61 offset0:4 offset1:5
	;; [unrolled: 1-line block ×6, first 2 shown]
	ds_load_b64 v[59:60], v61 offset:112
	s_cmp_eq_u64 s[16:17], 0
	s_waitcnt lgkmcnt(0)
	s_cselect_b32 s30, -1, 0
	s_cmp_lg_u64 s[16:17], 0
	s_barrier
	s_cselect_b32 s35, -1, 0
	s_and_b32 vcc_lo, exec_lo, s14
	buffer_gl0_inv
	s_cbranch_vccz .LBB245_56
; %bb.51:
	s_and_b32 vcc_lo, exec_lo, s35
	s_cbranch_vccz .LBB245_71
; %bb.52:
	v_add_co_u32 v61, s0, -8, s33
	s_delay_alu instid0(VALU_DEP_1)
	v_add_co_ci_u32_e64 v62, null, -1, s31, s0
	v_cmp_ne_u64_e64 s0, v[3:4], v[57:58]
	v_cmp_ne_u64_e64 s1, v[1:2], v[3:4]
	;; [unrolled: 1-line block ×3, first 2 shown]
	flat_load_b64 v[61:62], v[61:62]
	v_cmp_ne_u64_e64 s3, v[5:6], v[7:8]
	v_cmp_ne_u64_e64 s4, v[11:12], v[5:6]
	;; [unrolled: 1-line block ×10, first 2 shown]
	v_cmp_ne_u64_e32 vcc_lo, v[25:26], v[27:28]
	v_lshlrev_b32_e32 v63, 3, v0
	s_mov_b32 s34, -1
	s_mov_b32 s14, 0
	s_mov_b32 s20, exec_lo
	ds_store_b64 v63, v[57:58]
	s_waitcnt vmcnt(0) lgkmcnt(0)
	s_barrier
	buffer_gl0_inv
	v_cmpx_ne_u32_e32 0, v0
	s_cbranch_execz .LBB245_54
; %bb.53:
	v_add_nc_u32_e32 v61, -8, v63
	ds_load_b64 v[61:62], v61
.LBB245_54:
	s_or_b32 exec_lo, exec_lo, s20
	v_cndmask_b32_e64 v104, 0, 1, s0
	v_cndmask_b32_e64 v99, 0, 1, s1
	;; [unrolled: 1-line block ×13, first 2 shown]
	s_waitcnt lgkmcnt(0)
	v_cmp_ne_u64_e64 s0, v[61:62], v[25:26]
	v_cndmask_b32_e64 v112, 0, 1, vcc_lo
	s_and_b32 vcc_lo, exec_lo, s14
	s_cbranch_vccnz .LBB245_72
.LBB245_55:
                                        ; implicit-def: $sgpr1
	s_branch .LBB245_83
.LBB245_56:
	s_mov_b32 s34, 0
                                        ; implicit-def: $sgpr0
                                        ; implicit-def: $vgpr104
                                        ; implicit-def: $vgpr99
                                        ; implicit-def: $vgpr100
                                        ; implicit-def: $vgpr101
                                        ; implicit-def: $vgpr102
                                        ; implicit-def: $vgpr103
                                        ; implicit-def: $vgpr105
                                        ; implicit-def: $vgpr106
                                        ; implicit-def: $vgpr107
                                        ; implicit-def: $vgpr108
                                        ; implicit-def: $vgpr109
                                        ; implicit-def: $vgpr110
                                        ; implicit-def: $vgpr111
                                        ; implicit-def: $vgpr112
                                        ; implicit-def: $sgpr1
	s_cbranch_execnz .LBB245_75
	s_branch .LBB245_83
.LBB245_57:
	v_add_co_u32 v29, s34, s20, v62
	s_delay_alu instid0(VALU_DEP_1)
	v_add_co_ci_u32_e64 v30, null, s21, 0, s34
	flat_load_b64 v[29:30], v[29:30]
	s_or_b32 exec_lo, exec_lo, s30
                                        ; implicit-def: $vgpr31_vgpr32
	s_and_saveexec_b32 s30, s0
	s_cbranch_execz .LBB245_35
.LBB245_58:
	v_add_co_u32 v31, s0, s20, v62
	s_delay_alu instid0(VALU_DEP_1)
	v_add_co_ci_u32_e64 v32, null, s21, 0, s0
	flat_load_b64 v[31:32], v[31:32] offset:2048
	s_or_b32 exec_lo, exec_lo, s30
                                        ; implicit-def: $vgpr33_vgpr34
	s_and_saveexec_b32 s0, s1
	s_cbranch_execz .LBB245_36
.LBB245_59:
	v_add_co_u32 v33, s1, s20, v35
	s_delay_alu instid0(VALU_DEP_1)
	v_add_co_ci_u32_e64 v34, null, s21, 0, s1
	flat_load_b64 v[33:34], v[33:34]
	s_or_b32 exec_lo, exec_lo, s0
                                        ; implicit-def: $vgpr35_vgpr36
	s_and_saveexec_b32 s0, s2
	s_cbranch_execz .LBB245_37
.LBB245_60:
	v_add_co_u32 v35, s1, s20, v37
	s_delay_alu instid0(VALU_DEP_1)
	v_add_co_ci_u32_e64 v36, null, s21, 0, s1
	flat_load_b64 v[35:36], v[35:36]
	s_or_b32 exec_lo, exec_lo, s0
                                        ; implicit-def: $vgpr37_vgpr38
	s_and_saveexec_b32 s0, s3
	s_cbranch_execz .LBB245_38
.LBB245_61:
	v_add_co_u32 v37, s1, s20, v39
	s_delay_alu instid0(VALU_DEP_1)
	v_add_co_ci_u32_e64 v38, null, s21, 0, s1
	flat_load_b64 v[37:38], v[37:38]
	s_or_b32 exec_lo, exec_lo, s0
                                        ; implicit-def: $vgpr39_vgpr40
	s_and_saveexec_b32 s0, s4
	s_cbranch_execz .LBB245_39
.LBB245_62:
	v_add_co_u32 v39, s1, s20, v41
	s_delay_alu instid0(VALU_DEP_1)
	v_add_co_ci_u32_e64 v40, null, s21, 0, s1
	flat_load_b64 v[39:40], v[39:40]
	s_or_b32 exec_lo, exec_lo, s0
                                        ; implicit-def: $vgpr41_vgpr42
	s_and_saveexec_b32 s0, s5
	s_cbranch_execz .LBB245_40
.LBB245_63:
	v_add_co_u32 v41, s1, s20, v43
	s_delay_alu instid0(VALU_DEP_1)
	v_add_co_ci_u32_e64 v42, null, s21, 0, s1
	flat_load_b64 v[41:42], v[41:42]
	s_or_b32 exec_lo, exec_lo, s0
                                        ; implicit-def: $vgpr43_vgpr44
	s_and_saveexec_b32 s0, s6
	s_cbranch_execz .LBB245_41
.LBB245_64:
	v_add_co_u32 v43, s1, s20, v45
	s_delay_alu instid0(VALU_DEP_1)
	v_add_co_ci_u32_e64 v44, null, s21, 0, s1
	flat_load_b64 v[43:44], v[43:44]
	s_or_b32 exec_lo, exec_lo, s0
                                        ; implicit-def: $vgpr45_vgpr46
	s_and_saveexec_b32 s0, s7
	s_cbranch_execz .LBB245_42
.LBB245_65:
	v_add_co_u32 v45, s1, s20, v47
	s_delay_alu instid0(VALU_DEP_1)
	v_add_co_ci_u32_e64 v46, null, s21, 0, s1
	flat_load_b64 v[45:46], v[45:46]
	s_or_b32 exec_lo, exec_lo, s0
                                        ; implicit-def: $vgpr47_vgpr48
	s_and_saveexec_b32 s0, s8
	s_cbranch_execz .LBB245_43
.LBB245_66:
	v_add_co_u32 v47, s1, s20, v49
	s_delay_alu instid0(VALU_DEP_1)
	v_add_co_ci_u32_e64 v48, null, s21, 0, s1
	flat_load_b64 v[47:48], v[47:48]
	s_or_b32 exec_lo, exec_lo, s0
                                        ; implicit-def: $vgpr49_vgpr50
	s_and_saveexec_b32 s0, s9
	s_cbranch_execz .LBB245_44
.LBB245_67:
	v_add_co_u32 v49, s1, s20, v51
	s_delay_alu instid0(VALU_DEP_1)
	v_add_co_ci_u32_e64 v50, null, s21, 0, s1
	flat_load_b64 v[49:50], v[49:50]
	s_or_b32 exec_lo, exec_lo, s0
                                        ; implicit-def: $vgpr51_vgpr52
	s_and_saveexec_b32 s0, s10
	s_cbranch_execz .LBB245_45
.LBB245_68:
	v_add_co_u32 v51, s1, s20, v53
	s_delay_alu instid0(VALU_DEP_1)
	v_add_co_ci_u32_e64 v52, null, s21, 0, s1
	flat_load_b64 v[51:52], v[51:52]
	s_or_b32 exec_lo, exec_lo, s0
                                        ; implicit-def: $vgpr53_vgpr54
	s_and_saveexec_b32 s0, s11
	s_cbranch_execz .LBB245_46
.LBB245_69:
	v_add_co_u32 v53, s1, s20, v55
	s_delay_alu instid0(VALU_DEP_1)
	v_add_co_ci_u32_e64 v54, null, s21, 0, s1
	flat_load_b64 v[53:54], v[53:54]
	s_or_b32 exec_lo, exec_lo, s0
                                        ; implicit-def: $vgpr55_vgpr56
	s_and_saveexec_b32 s0, s12
	s_cbranch_execz .LBB245_47
.LBB245_70:
	v_add_co_u32 v55, s1, s20, v59
	s_delay_alu instid0(VALU_DEP_1)
	v_add_co_ci_u32_e64 v56, null, s21, 0, s1
	flat_load_b64 v[55:56], v[55:56]
	s_or_b32 exec_lo, exec_lo, s0
                                        ; implicit-def: $vgpr59_vgpr60
	s_and_saveexec_b32 s0, s13
	s_cbranch_execnz .LBB245_48
	s_branch .LBB245_49
.LBB245_71:
	s_mov_b32 s34, 0
                                        ; implicit-def: $sgpr0
                                        ; implicit-def: $vgpr104
                                        ; implicit-def: $vgpr99
                                        ; implicit-def: $vgpr100
                                        ; implicit-def: $vgpr101
                                        ; implicit-def: $vgpr102
                                        ; implicit-def: $vgpr103
                                        ; implicit-def: $vgpr105
                                        ; implicit-def: $vgpr106
                                        ; implicit-def: $vgpr107
                                        ; implicit-def: $vgpr108
                                        ; implicit-def: $vgpr109
                                        ; implicit-def: $vgpr110
                                        ; implicit-def: $vgpr111
                                        ; implicit-def: $vgpr112
	s_cbranch_execz .LBB245_55
.LBB245_72:
	v_cmp_ne_u64_e32 vcc_lo, v[3:4], v[57:58]
	v_lshlrev_b32_e32 v61, 3, v0
	s_mov_b32 s1, exec_lo
                                        ; implicit-def: $sgpr0
	ds_store_b64 v61, v[57:58]
	v_cndmask_b32_e64 v104, 0, 1, vcc_lo
	v_cmp_ne_u64_e32 vcc_lo, v[1:2], v[3:4]
	s_waitcnt lgkmcnt(0)
	s_barrier
	buffer_gl0_inv
	v_cndmask_b32_e64 v99, 0, 1, vcc_lo
	v_cmp_ne_u64_e32 vcc_lo, v[7:8], v[1:2]
	v_cndmask_b32_e64 v100, 0, 1, vcc_lo
	v_cmp_ne_u64_e32 vcc_lo, v[5:6], v[7:8]
	;; [unrolled: 2-line block ×12, first 2 shown]
	v_cndmask_b32_e64 v112, 0, 1, vcc_lo
	v_cmpx_ne_u32_e32 0, v0
	s_xor_b32 s1, exec_lo, s1
	s_cbranch_execz .LBB245_74
; %bb.73:
	v_add_nc_u32_e32 v61, -8, v61
	s_or_b32 s34, s34, exec_lo
	ds_load_b64 v[61:62], v61
	s_waitcnt lgkmcnt(0)
	v_cmp_ne_u64_e32 vcc_lo, v[61:62], v[25:26]
	s_and_b32 s0, vcc_lo, exec_lo
.LBB245_74:
	s_or_b32 exec_lo, exec_lo, s1
	s_mov_b32 s1, 1
	s_branch .LBB245_83
.LBB245_75:
	s_mul_hi_u32 s0, s16, 0xfffff100
	s_mul_i32 s1, s17, 0xfffff100
	s_sub_i32 s0, s0, s16
	s_mul_i32 s2, s16, 0xfffff100
	s_add_i32 s0, s0, s1
	s_add_u32 s20, s2, s48
	s_addc_u32 s21, s0, s49
	v_cmp_ne_u64_e64 s13, v[3:4], v[57:58]
	v_cmp_ne_u64_e64 s14, v[1:2], v[3:4]
	;; [unrolled: 1-line block ×14, first 2 shown]
	v_mad_u32_u24 v61, v0, 15, 14
	v_mad_u32_u24 v87, v0, 15, 13
	;; [unrolled: 1-line block ×14, first 2 shown]
	v_cmp_ne_u32_e64 s6, 0, v0
	s_and_b32 vcc_lo, exec_lo, s35
	s_cbranch_vccz .LBB245_80
; %bb.76:
	v_add_co_u32 v88, s16, -8, s33
	s_delay_alu instid0(VALU_DEP_1)
	v_add_co_ci_u32_e64 v89, null, -1, s31, s16
	v_mov_b32_e32 v62, 0
	v_lshlrev_b32_e32 v92, 3, v0
	v_mul_u32_u24_e32 v91, 15, v0
	flat_load_b64 v[89:90], v[88:89]
	s_mov_b32 s34, -1
	v_cmp_gt_u64_e32 vcc_lo, s[20:21], v[61:62]
	v_mov_b32_e32 v88, v62
	v_mov_b32_e32 v86, v62
	;; [unrolled: 1-line block ×5, first 2 shown]
	v_cmp_gt_u64_e64 s16, s[20:21], v[87:88]
	s_and_b32 s31, vcc_lo, s13
	v_cmp_gt_u64_e32 vcc_lo, s[20:21], v[85:86]
	v_mov_b32_e32 v78, v62
	v_mov_b32_e32 v76, v62
	v_cmp_gt_u64_e64 s13, s[20:21], v[83:84]
	s_and_b32 s33, s16, s14
	v_mov_b32_e32 v74, v62
	s_and_b32 s35, vcc_lo, s12
	v_cmp_gt_u64_e32 vcc_lo, s[20:21], v[81:82]
	v_cmp_gt_u64_e64 s12, s[20:21], v[79:80]
	v_cmp_gt_u64_e64 s14, s[20:21], v[77:78]
	;; [unrolled: 1-line block ×3, first 2 shown]
	v_mov_b32_e32 v72, v62
	v_mov_b32_e32 v70, v62
	v_mov_b32_e32 v68, v62
	v_mov_b32_e32 v66, v62
	v_mov_b32_e32 v64, v62
	s_and_b32 s13, s13, s11
	s_and_b32 s44, vcc_lo, s7
	s_and_b32 s45, s12, s8
	s_and_b32 s14, s14, s9
	;; [unrolled: 1-line block ×3, first 2 shown]
	v_cmp_gt_u64_e32 vcc_lo, s[20:21], v[73:74]
	v_cmp_gt_u64_e64 s7, s[20:21], v[71:72]
	v_cmp_gt_u64_e64 s8, s[20:21], v[69:70]
	;; [unrolled: 1-line block ×5, first 2 shown]
	s_mov_b32 s17, 0
	s_and_b32 s0, vcc_lo, s0
	s_and_b32 s7, s7, s1
	s_and_b32 s8, s8, s2
	;; [unrolled: 1-line block ×5, first 2 shown]
	ds_store_b64 v92, v[57:58]
	s_waitcnt vmcnt(0) lgkmcnt(0)
	s_barrier
	buffer_gl0_inv
	s_and_saveexec_b32 s4, s6
	s_cbranch_execz .LBB245_78
; %bb.77:
	v_add_nc_u32_e32 v64, -8, v92
	ds_load_b64 v[89:90], v64
.LBB245_78:
	s_or_b32 exec_lo, exec_lo, s4
	v_mov_b32_e32 v92, v62
	v_cndmask_b32_e64 v107, 0, 1, s0
	s_waitcnt lgkmcnt(0)
	v_cmp_ne_u64_e64 s0, v[89:90], v[25:26]
	v_cndmask_b32_e64 v104, 0, 1, s31
	v_cndmask_b32_e64 v99, 0, 1, s33
	v_cmp_gt_u64_e32 vcc_lo, s[20:21], v[91:92]
	v_cndmask_b32_e64 v100, 0, 1, s35
	v_cndmask_b32_e64 v101, 0, 1, s13
	v_cndmask_b32_e64 v102, 0, 1, s44
	v_cndmask_b32_e64 v103, 0, 1, s45
	v_cndmask_b32_e64 v105, 0, 1, s14
	v_cndmask_b32_e64 v106, 0, 1, s12
	v_cndmask_b32_e64 v108, 0, 1, s7
	v_cndmask_b32_e64 v109, 0, 1, s8
	v_cndmask_b32_e64 v110, 0, 1, s1
	v_cndmask_b32_e64 v111, 0, 1, s2
	v_cndmask_b32_e64 v112, 0, 1, s3
	s_and_b32 s0, vcc_lo, s0
	s_and_b32 vcc_lo, exec_lo, s17
	s_cbranch_vccnz .LBB245_81
.LBB245_79:
                                        ; implicit-def: $sgpr1
	v_mov_b32_e32 v113, s1
	s_and_saveexec_b32 s1, s34
	s_cbranch_execnz .LBB245_84
	s_branch .LBB245_85
.LBB245_80:
                                        ; implicit-def: $sgpr0
                                        ; implicit-def: $vgpr104
                                        ; implicit-def: $vgpr99
                                        ; implicit-def: $vgpr100
                                        ; implicit-def: $vgpr101
                                        ; implicit-def: $vgpr102
                                        ; implicit-def: $vgpr103
                                        ; implicit-def: $vgpr105
                                        ; implicit-def: $vgpr106
                                        ; implicit-def: $vgpr107
                                        ; implicit-def: $vgpr108
                                        ; implicit-def: $vgpr109
                                        ; implicit-def: $vgpr110
                                        ; implicit-def: $vgpr111
                                        ; implicit-def: $vgpr112
	s_cbranch_execz .LBB245_79
.LBB245_81:
	v_dual_mov_b32 v62, 0 :: v_dual_lshlrev_b32 v89, 3, v0
	v_cmp_ne_u64_e64 s0, v[1:2], v[3:4]
	v_cmp_ne_u64_e32 vcc_lo, v[3:4], v[57:58]
	v_cmp_ne_u64_e64 s2, v[7:8], v[1:2]
	s_delay_alu instid0(VALU_DEP_4)
	v_mov_b32_e32 v88, v62
	v_mov_b32_e32 v86, v62
	v_cmp_gt_u64_e64 s1, s[20:21], v[61:62]
	v_mov_b32_e32 v82, v62
	v_mov_b32_e32 v84, v62
	v_cmp_gt_u64_e64 s3, s[20:21], v[87:88]
	v_cmp_gt_u64_e64 s4, s[20:21], v[85:86]
	v_mov_b32_e32 v78, v62
	s_and_b32 s1, s1, vcc_lo
	v_cmp_gt_u64_e64 s5, s[20:21], v[83:84]
	v_cndmask_b32_e64 v104, 0, 1, s1
	s_and_b32 s0, s3, s0
	v_cmp_ne_u64_e64 s1, v[11:12], v[5:6]
	v_cndmask_b32_e64 v99, 0, 1, s0
	s_and_b32 s0, s4, s2
	v_cmp_ne_u64_e32 vcc_lo, v[5:6], v[7:8]
	v_cndmask_b32_e64 v100, 0, 1, s0
	v_cmp_gt_u64_e64 s0, s[20:21], v[81:82]
	v_mov_b32_e32 v80, v62
	v_mov_b32_e32 v74, v62
	;; [unrolled: 1-line block ×3, first 2 shown]
	s_and_b32 s2, s5, vcc_lo
	v_mov_b32_e32 v76, v62
	s_and_b32 s0, s0, s1
	v_cmp_ne_u64_e64 s1, v[15:16], v[9:10]
	v_cndmask_b32_e64 v102, 0, 1, s0
	v_cmp_gt_u64_e64 s0, s[20:21], v[77:78]
	v_cndmask_b32_e64 v101, 0, 1, s2
	v_cmp_gt_u64_e32 vcc_lo, s[20:21], v[79:80]
	v_cmp_ne_u64_e64 s2, v[9:10], v[11:12]
	v_cmp_gt_u64_e64 s3, s[20:21], v[71:72]
	v_cmp_ne_u64_e64 s4, v[17:18], v[19:20]
	s_and_b32 s0, s0, s1
	v_cmp_ne_u64_e64 s1, v[19:20], v[13:14]
	v_cndmask_b32_e64 v105, 0, 1, s0
	v_cmp_gt_u64_e64 s0, s[20:21], v[73:74]
	s_and_b32 s2, vcc_lo, s2
	v_cmp_gt_u64_e32 vcc_lo, s[20:21], v[75:76]
	v_cndmask_b32_e64 v103, 0, 1, s2
	v_cmp_ne_u64_e64 s2, v[13:14], v[15:16]
	v_mov_b32_e32 v70, v62
	s_and_b32 s0, s0, s1
	v_mov_b32_e32 v68, v62
	v_cndmask_b32_e64 v107, 0, 1, s0
	s_and_b32 s0, s3, s4
	v_mov_b32_e32 v66, v62
	s_and_b32 s2, vcc_lo, s2
	v_cndmask_b32_e64 v108, 0, 1, s0
	v_cmp_gt_u64_e32 vcc_lo, s[20:21], v[69:70]
	v_cmp_ne_u64_e64 s0, v[23:24], v[17:18]
	v_mov_b32_e32 v64, v62
	v_cndmask_b32_e64 v106, 0, 1, s2
	v_cmp_gt_u64_e64 s1, s[20:21], v[67:68]
	v_cmp_ne_u64_e64 s2, v[21:22], v[23:24]
	v_cmp_gt_u64_e64 s3, s[20:21], v[65:66]
	v_cmp_ne_u64_e64 s4, v[27:28], v[21:22]
	;; [unrolled: 2-line block ×3, first 2 shown]
	s_and_b32 s0, vcc_lo, s0
	ds_store_b64 v89, v[57:58]
	v_cndmask_b32_e64 v109, 0, 1, s0
	s_and_b32 s0, s1, s2
	s_mov_b32 s1, 1
	v_cndmask_b32_e64 v110, 0, 1, s0
	s_and_b32 s0, s3, s4
	s_mov_b32 s2, exec_lo
	v_cndmask_b32_e64 v111, 0, 1, s0
	s_and_b32 s0, s5, s6
	s_waitcnt lgkmcnt(0)
	v_cndmask_b32_e64 v112, 0, 1, s0
	s_barrier
	buffer_gl0_inv
                                        ; implicit-def: $sgpr0
	v_cmpx_ne_u32_e32 0, v0
	s_cbranch_execz .LBB245_216
; %bb.82:
	v_add_nc_u32_e32 v61, -8, v89
	s_or_b32 s34, s34, exec_lo
	ds_load_b64 v[63:64], v61
	v_mul_u32_u24_e32 v61, 15, v0
	s_delay_alu instid0(VALU_DEP_1) | instskip(SKIP_2) | instid1(VALU_DEP_1)
	v_cmp_gt_u64_e32 vcc_lo, s[20:21], v[61:62]
	s_waitcnt lgkmcnt(0)
	v_cmp_ne_u64_e64 s0, v[63:64], v[25:26]
	s_and_b32 s0, vcc_lo, s0
	s_delay_alu instid0(SALU_CYCLE_1)
	s_and_b32 s0, s0, exec_lo
	s_or_b32 exec_lo, exec_lo, s2
.LBB245_83:
	v_mov_b32_e32 v113, s1
	s_and_saveexec_b32 s1, s34
.LBB245_84:
	v_cndmask_b32_e64 v113, 0, 1, s0
.LBB245_85:
	s_or_b32 exec_lo, exec_lo, s1
	s_delay_alu instid0(VALU_DEP_1)
	v_add3_u32 v61, v112, v113, v111
	v_dual_mov_b32 v95, v53 :: v_dual_mov_b32 v96, v54
	v_cmp_eq_u32_e64 s12, 0, v112
	v_cmp_eq_u32_e64 s11, 0, v111
	v_cmp_eq_u32_e64 s10, 0, v110
	v_add3_u32 v116, v61, v110, v109
	v_cmp_eq_u32_e64 s9, 0, v109
	v_cmp_eq_u32_e64 s8, 0, v108
	;; [unrolled: 1-line block ×10, first 2 shown]
	v_cmp_eq_u32_e32 vcc_lo, 0, v104
	v_mbcnt_lo_u32_b32 v115, -1, 0
	s_cmp_eq_u64 s[42:43], 0
	s_cselect_b32 s14, -1, 0
	s_cmp_lg_u32 s15, 0
	s_cbranch_scc0 .LBB245_148
; %bb.86:
	v_cndmask_b32_e64 v61, 0, v53, s12
	v_cndmask_b32_e64 v62, 0, v54, s12
	v_add3_u32 v63, v116, v108, v107
	s_delay_alu instid0(VALU_DEP_3) | instskip(NEXT) | instid1(VALU_DEP_1)
	v_add_co_u32 v61, s13, v61, v55
	v_add_co_ci_u32_e64 v62, s13, v62, v56, s13
	s_delay_alu instid0(VALU_DEP_3) | instskip(NEXT) | instid1(VALU_DEP_3)
	v_add3_u32 v63, v63, v106, v105
	v_cndmask_b32_e64 v61, 0, v61, s11
	s_delay_alu instid0(VALU_DEP_3) | instskip(NEXT) | instid1(VALU_DEP_3)
	v_cndmask_b32_e64 v62, 0, v62, s11
	v_add3_u32 v63, v63, v103, v102
	s_delay_alu instid0(VALU_DEP_3) | instskip(NEXT) | instid1(VALU_DEP_1)
	v_add_co_u32 v61, s13, v61, v49
	v_add_co_ci_u32_e64 v62, s13, v62, v50, s13
	s_delay_alu instid0(VALU_DEP_3) | instskip(NEXT) | instid1(VALU_DEP_3)
	v_add3_u32 v63, v63, v101, v100
	v_cndmask_b32_e64 v61, 0, v61, s10
	s_delay_alu instid0(VALU_DEP_3) | instskip(NEXT) | instid1(VALU_DEP_3)
	v_cndmask_b32_e64 v62, 0, v62, s10
	v_add3_u32 v65, v63, v99, v104
	s_delay_alu instid0(VALU_DEP_3) | instskip(NEXT) | instid1(VALU_DEP_1)
	v_add_co_u32 v61, s13, v61, v51
	v_add_co_ci_u32_e64 v62, s13, v62, v52, s13
	s_delay_alu instid0(VALU_DEP_2) | instskip(NEXT) | instid1(VALU_DEP_2)
	v_cndmask_b32_e64 v61, 0, v61, s9
	v_cndmask_b32_e64 v62, 0, v62, s9
	s_delay_alu instid0(VALU_DEP_2) | instskip(NEXT) | instid1(VALU_DEP_1)
	v_add_co_u32 v61, s13, v61, v45
	v_add_co_ci_u32_e64 v62, s13, v62, v46, s13
	s_delay_alu instid0(VALU_DEP_2) | instskip(NEXT) | instid1(VALU_DEP_2)
	v_cndmask_b32_e64 v61, 0, v61, s8
	v_cndmask_b32_e64 v62, 0, v62, s8
	s_delay_alu instid0(VALU_DEP_2) | instskip(NEXT) | instid1(VALU_DEP_1)
	;; [unrolled: 6-line block ×10, first 2 shown]
	v_add_co_u32 v61, s13, v61, v31
	v_add_co_ci_u32_e64 v62, s13, v62, v32, s13
	s_mov_b32 s13, exec_lo
	s_delay_alu instid0(VALU_DEP_1) | instskip(NEXT) | instid1(VALU_DEP_1)
	v_dual_cndmask_b32 v61, 0, v61 :: v_dual_cndmask_b32 v62, 0, v62
	v_add_co_u32 v63, vcc_lo, v61, v59
	s_delay_alu instid0(VALU_DEP_2) | instskip(SKIP_2) | instid1(VALU_DEP_4)
	v_add_co_ci_u32_e32 v64, vcc_lo, v62, v60, vcc_lo
	v_and_b32_e32 v61, 15, v115
	v_mov_b32_dpp v62, v65 row_shr:1 row_mask:0xf bank_mask:0xf
	v_mov_b32_dpp v66, v63 row_shr:1 row_mask:0xf bank_mask:0xf
	s_delay_alu instid0(VALU_DEP_4) | instskip(NEXT) | instid1(VALU_DEP_4)
	v_mov_b32_dpp v67, v64 row_shr:1 row_mask:0xf bank_mask:0xf
	v_cmpx_ne_u32_e32 0, v61
; %bb.87:
	v_cmp_eq_u32_e32 vcc_lo, 0, v65
	v_add_nc_u32_e32 v65, v62, v65
	s_delay_alu instid0(VALU_DEP_4) | instskip(NEXT) | instid1(VALU_DEP_1)
	v_dual_cndmask_b32 v67, 0, v67 :: v_dual_cndmask_b32 v66, 0, v66
	v_add_co_u32 v63, vcc_lo, v66, v63
	s_delay_alu instid0(VALU_DEP_2)
	v_add_co_ci_u32_e32 v64, vcc_lo, v67, v64, vcc_lo
; %bb.88:
	s_or_b32 exec_lo, exec_lo, s13
	v_mov_b32_dpp v62, v65 row_shr:2 row_mask:0xf bank_mask:0xf
	s_delay_alu instid0(VALU_DEP_3) | instskip(NEXT) | instid1(VALU_DEP_3)
	v_mov_b32_dpp v66, v63 row_shr:2 row_mask:0xf bank_mask:0xf
	v_mov_b32_dpp v67, v64 row_shr:2 row_mask:0xf bank_mask:0xf
	s_mov_b32 s13, exec_lo
	v_cmpx_lt_u32_e32 1, v61
; %bb.89:
	v_cmp_eq_u32_e32 vcc_lo, 0, v65
	v_add_nc_u32_e32 v65, v62, v65
	v_dual_cndmask_b32 v67, 0, v67 :: v_dual_cndmask_b32 v66, 0, v66
	s_delay_alu instid0(VALU_DEP_1) | instskip(NEXT) | instid1(VALU_DEP_2)
	v_add_co_u32 v63, vcc_lo, v66, v63
	v_add_co_ci_u32_e32 v64, vcc_lo, v67, v64, vcc_lo
; %bb.90:
	s_or_b32 exec_lo, exec_lo, s13
	v_mov_b32_dpp v62, v65 row_shr:4 row_mask:0xf bank_mask:0xf
	s_delay_alu instid0(VALU_DEP_3) | instskip(NEXT) | instid1(VALU_DEP_3)
	v_mov_b32_dpp v66, v63 row_shr:4 row_mask:0xf bank_mask:0xf
	v_mov_b32_dpp v67, v64 row_shr:4 row_mask:0xf bank_mask:0xf
	s_mov_b32 s13, exec_lo
	v_cmpx_lt_u32_e32 3, v61
; %bb.91:
	v_cmp_eq_u32_e32 vcc_lo, 0, v65
	v_add_nc_u32_e32 v65, v62, v65
	v_dual_cndmask_b32 v67, 0, v67 :: v_dual_cndmask_b32 v66, 0, v66
	s_delay_alu instid0(VALU_DEP_1) | instskip(NEXT) | instid1(VALU_DEP_2)
	v_add_co_u32 v63, vcc_lo, v66, v63
	;; [unrolled: 15-line block ×3, first 2 shown]
	v_add_co_ci_u32_e32 v64, vcc_lo, v61, v64, vcc_lo
; %bb.94:
	s_or_b32 exec_lo, exec_lo, s13
	ds_swizzle_b32 v61, v65 offset:swizzle(BROADCAST,32,15)
	ds_swizzle_b32 v62, v63 offset:swizzle(BROADCAST,32,15)
	;; [unrolled: 1-line block ×3, first 2 shown]
	v_and_b32_e32 v67, 16, v115
	s_mov_b32 s13, exec_lo
	s_delay_alu instid0(VALU_DEP_1)
	v_cmpx_ne_u32_e32 0, v67
	s_cbranch_execz .LBB245_96
; %bb.95:
	v_cmp_eq_u32_e32 vcc_lo, 0, v65
	s_waitcnt lgkmcnt(1)
	v_dual_cndmask_b32 v62, 0, v62 :: v_dual_add_nc_u32 v65, v61, v65
	s_waitcnt lgkmcnt(0)
	v_cndmask_b32_e32 v66, 0, v66, vcc_lo
	s_delay_alu instid0(VALU_DEP_2) | instskip(NEXT) | instid1(VALU_DEP_2)
	v_add_co_u32 v63, vcc_lo, v62, v63
	v_add_co_ci_u32_e32 v64, vcc_lo, v66, v64, vcc_lo
.LBB245_96:
	s_or_b32 exec_lo, exec_lo, s13
	s_waitcnt lgkmcnt(1)
	v_lshrrev_b32_e32 v62, 5, v0
	v_or_b32_e32 v61, 31, v0
	s_mov_b32 s13, exec_lo
	s_waitcnt lgkmcnt(0)
	s_delay_alu instid0(VALU_DEP_2) | instskip(NEXT) | instid1(VALU_DEP_2)
	v_lshlrev_b32_e32 v66, 4, v62
	v_cmpx_eq_u32_e64 v61, v0
	s_cbranch_execz .LBB245_98
; %bb.97:
	ds_store_b32 v66, v65 offset:4128
	ds_store_b64 v66, v[63:64] offset:4136
.LBB245_98:
	s_or_b32 exec_lo, exec_lo, s13
	s_delay_alu instid0(SALU_CYCLE_1)
	s_mov_b32 s13, exec_lo
	s_waitcnt lgkmcnt(0)
	s_barrier
	buffer_gl0_inv
	v_cmpx_gt_u32_e32 8, v0
	s_cbranch_execz .LBB245_106
; %bb.99:
	v_lshlrev_b32_e32 v67, 4, v0
	v_and_b32_e32 v69, 7, v115
	s_mov_b32 s16, exec_lo
	ds_load_b32 v68, v67 offset:4128
	ds_load_b64 v[61:62], v67 offset:4136
	s_waitcnt lgkmcnt(1)
	v_mov_b32_dpp v70, v68 row_shr:1 row_mask:0xf bank_mask:0xf
	s_waitcnt lgkmcnt(0)
	v_mov_b32_dpp v71, v61 row_shr:1 row_mask:0xf bank_mask:0xf
	v_mov_b32_dpp v72, v62 row_shr:1 row_mask:0xf bank_mask:0xf
	v_cmpx_ne_u32_e32 0, v69
; %bb.100:
	v_cmp_eq_u32_e32 vcc_lo, 0, v68
	v_add_nc_u32_e32 v68, v70, v68
	s_delay_alu instid0(VALU_DEP_4) | instskip(NEXT) | instid1(VALU_DEP_1)
	v_dual_cndmask_b32 v72, 0, v72 :: v_dual_cndmask_b32 v71, 0, v71
	v_add_co_u32 v61, vcc_lo, v71, v61
	s_delay_alu instid0(VALU_DEP_2)
	v_add_co_ci_u32_e32 v62, vcc_lo, v72, v62, vcc_lo
; %bb.101:
	s_or_b32 exec_lo, exec_lo, s16
	v_mov_b32_dpp v70, v68 row_shr:2 row_mask:0xf bank_mask:0xf
	s_delay_alu instid0(VALU_DEP_3) | instskip(NEXT) | instid1(VALU_DEP_3)
	v_mov_b32_dpp v71, v61 row_shr:2 row_mask:0xf bank_mask:0xf
	v_mov_b32_dpp v72, v62 row_shr:2 row_mask:0xf bank_mask:0xf
	s_mov_b32 s16, exec_lo
	v_cmpx_lt_u32_e32 1, v69
; %bb.102:
	v_cmp_eq_u32_e32 vcc_lo, 0, v68
	v_add_nc_u32_e32 v68, v70, v68
	v_dual_cndmask_b32 v72, 0, v72 :: v_dual_cndmask_b32 v71, 0, v71
	s_delay_alu instid0(VALU_DEP_1) | instskip(NEXT) | instid1(VALU_DEP_2)
	v_add_co_u32 v61, vcc_lo, v71, v61
	v_add_co_ci_u32_e32 v62, vcc_lo, v72, v62, vcc_lo
; %bb.103:
	s_or_b32 exec_lo, exec_lo, s16
	v_mov_b32_dpp v70, v68 row_shr:4 row_mask:0xf bank_mask:0xf
	s_delay_alu instid0(VALU_DEP_3) | instskip(NEXT) | instid1(VALU_DEP_3)
	v_mov_b32_dpp v71, v61 row_shr:4 row_mask:0xf bank_mask:0xf
	v_mov_b32_dpp v72, v62 row_shr:4 row_mask:0xf bank_mask:0xf
	s_mov_b32 s16, exec_lo
	v_cmpx_lt_u32_e32 3, v69
; %bb.104:
	v_cmp_eq_u32_e32 vcc_lo, 0, v68
	v_dual_cndmask_b32 v71, 0, v71 :: v_dual_add_nc_u32 v68, v70, v68
	v_cndmask_b32_e32 v69, 0, v72, vcc_lo
	s_delay_alu instid0(VALU_DEP_2) | instskip(NEXT) | instid1(VALU_DEP_2)
	v_add_co_u32 v61, vcc_lo, v71, v61
	v_add_co_ci_u32_e32 v62, vcc_lo, v69, v62, vcc_lo
; %bb.105:
	s_or_b32 exec_lo, exec_lo, s16
	ds_store_b32 v67, v68 offset:4128
	ds_store_b64 v67, v[61:62] offset:4136
.LBB245_106:
	s_or_b32 exec_lo, exec_lo, s13
	v_mov_b32_e32 v61, 0
	v_cmp_gt_u32_e32 vcc_lo, 32, v0
	v_dual_mov_b32 v62, 0 :: v_dual_mov_b32 v71, 0
	s_mov_b32 s16, exec_lo
	s_waitcnt lgkmcnt(0)
	s_barrier
	buffer_gl0_inv
	v_cmpx_lt_u32_e32 31, v0
	s_cbranch_execz .LBB245_108
; %bb.107:
	ds_load_b64 v[61:62], v66 offset:4120
	ds_load_b32 v71, v66 offset:4112
	v_cmp_eq_u32_e64 s13, 0, v65
	s_waitcnt lgkmcnt(1)
	s_delay_alu instid0(VALU_DEP_1) | instskip(SKIP_3) | instid1(VALU_DEP_3)
	v_cndmask_b32_e64 v67, 0, v61, s13
	v_cndmask_b32_e64 v66, 0, v62, s13
	s_waitcnt lgkmcnt(0)
	v_add_nc_u32_e32 v65, v71, v65
	v_add_co_u32 v63, s13, v67, v63
	s_delay_alu instid0(VALU_DEP_1)
	v_add_co_ci_u32_e64 v64, s13, v66, v64, s13
.LBB245_108:
	s_or_b32 exec_lo, exec_lo, s16
	v_add_nc_u32_e32 v66, -1, v115
	s_delay_alu instid0(VALU_DEP_1) | instskip(NEXT) | instid1(VALU_DEP_1)
	v_cmp_gt_i32_e64 s13, 0, v66
	v_cndmask_b32_e64 v66, v66, v115, s13
	v_cmp_eq_u32_e64 s13, 0, v115
	s_delay_alu instid0(VALU_DEP_2)
	v_lshlrev_b32_e32 v66, 2, v66
	ds_bpermute_b32 v74, v66, v65
	ds_bpermute_b32 v73, v66, v63
	;; [unrolled: 1-line block ×3, first 2 shown]
	s_and_saveexec_b32 s16, vcc_lo
	s_cbranch_execz .LBB245_147
; %bb.109:
	v_mov_b32_e32 v67, 0
	ds_load_b32 v75, v67 offset:4240
	ds_load_b64 v[63:64], v67 offset:4248
	s_and_saveexec_b32 s17, s13
	s_cbranch_execz .LBB245_111
; %bb.110:
	s_add_i32 s20, s15, 32
	s_mov_b32 s21, 0
	v_dual_mov_b32 v65, s20 :: v_dual_mov_b32 v66, 1
	s_lshl_b64 s[34:35], s[20:21], 4
	s_delay_alu instid0(SALU_CYCLE_1)
	s_add_u32 s20, s36, s34
	s_addc_u32 s21, s37, s35
	s_waitcnt lgkmcnt(1)
	global_store_b32 v67, v75, s[20:21]
	s_waitcnt lgkmcnt(0)
	global_store_b64 v67, v[63:64], s[20:21] offset:8
	s_waitcnt_vscnt null, 0x0
	buffer_gl1_inv
	buffer_gl0_inv
	global_store_b8 v65, v66, s[40:41]
.LBB245_111:
	s_or_b32 exec_lo, exec_lo, s17
	v_xad_u32 v65, v115, -1, s15
	s_mov_b32 s20, 0
	s_mov_b32 s17, exec_lo
	s_delay_alu instid0(VALU_DEP_1)
	v_add_nc_u32_e32 v66, 32, v65
	global_load_u8 v76, v66, s[40:41] glc
	s_waitcnt vmcnt(0)
	v_cmpx_eq_u16_e32 0, v76
	s_cbranch_execz .LBB245_115
; %bb.112:
	v_add_co_u32 v68, s21, s40, v66
	s_delay_alu instid0(VALU_DEP_1)
	v_add_co_ci_u32_e64 v69, null, s41, 0, s21
.LBB245_113:                            ; =>This Inner Loop Header: Depth=1
	global_load_u8 v76, v[68:69], off glc
	s_waitcnt vmcnt(0)
	v_cmp_ne_u16_e32 vcc_lo, 0, v76
	s_or_b32 s20, vcc_lo, s20
	s_delay_alu instid0(SALU_CYCLE_1)
	s_and_not1_b32 exec_lo, exec_lo, s20
	s_cbranch_execnz .LBB245_113
; %bb.114:
	s_or_b32 exec_lo, exec_lo, s20
.LBB245_115:
	s_delay_alu instid0(SALU_CYCLE_1)
	s_or_b32 exec_lo, exec_lo, s17
	v_dual_mov_b32 v68, s37 :: v_dual_mov_b32 v69, s36
	v_cmp_eq_u16_e32 vcc_lo, 1, v76
	v_lshlrev_b64 v[66:67], 4, v[66:67]
	s_waitcnt lgkmcnt(0)
	s_waitcnt_vscnt null, 0x0
	buffer_gl1_inv
	buffer_gl0_inv
	v_lshlrev_b32_e64 v78, v115, -1
	s_mov_b32 s17, exec_lo
	v_cndmask_b32_e32 v69, s38, v69, vcc_lo
	v_cndmask_b32_e32 v68, s39, v68, vcc_lo
	s_delay_alu instid0(VALU_DEP_2) | instskip(NEXT) | instid1(VALU_DEP_2)
	v_add_co_u32 v66, vcc_lo, v69, v66
	v_add_co_ci_u32_e32 v67, vcc_lo, v68, v67, vcc_lo
	v_cmp_ne_u32_e32 vcc_lo, 31, v115
	s_clause 0x1
	global_load_b32 v88, v[66:67], off
	global_load_b64 v[69:70], v[66:67], off offset:8
	v_add_co_ci_u32_e32 v66, vcc_lo, 0, v115, vcc_lo
	v_cmp_eq_u16_e32 vcc_lo, 2, v76
	s_delay_alu instid0(VALU_DEP_2) | instskip(SKIP_1) | instid1(VALU_DEP_1)
	v_lshlrev_b32_e32 v77, 2, v66
	v_and_or_b32 v66, vcc_lo, v78, 0x80000000
	v_ctz_i32_b32_e32 v66, v66
	s_waitcnt vmcnt(1)
	ds_bpermute_b32 v67, v77, v88
	s_waitcnt vmcnt(0)
	ds_bpermute_b32 v68, v77, v69
	ds_bpermute_b32 v79, v77, v70
	v_cmpx_lt_u32_e64 v115, v66
	s_cbranch_execz .LBB245_117
; %bb.116:
	v_cmp_eq_u32_e32 vcc_lo, 0, v88
	s_waitcnt lgkmcnt(0)
	v_dual_cndmask_b32 v79, 0, v79 :: v_dual_add_nc_u32 v88, v67, v88
	v_cndmask_b32_e32 v68, 0, v68, vcc_lo
	s_delay_alu instid0(VALU_DEP_1) | instskip(NEXT) | instid1(VALU_DEP_3)
	v_add_co_u32 v69, vcc_lo, v68, v69
	v_add_co_ci_u32_e32 v70, vcc_lo, v79, v70, vcc_lo
.LBB245_117:
	s_or_b32 exec_lo, exec_lo, s17
	v_cmp_gt_u32_e32 vcc_lo, 30, v115
	v_add_nc_u32_e32 v80, 2, v115
	s_mov_b32 s17, exec_lo
	s_waitcnt lgkmcnt(2)
	v_cndmask_b32_e64 v67, 0, 1, vcc_lo
	s_delay_alu instid0(VALU_DEP_1) | instskip(SKIP_1) | instid1(VALU_DEP_1)
	v_lshlrev_b32_e32 v67, 1, v67
	s_waitcnt lgkmcnt(0)
	v_add_lshl_u32 v79, v67, v115, 2
	ds_bpermute_b32 v67, v79, v88
	ds_bpermute_b32 v68, v79, v69
	ds_bpermute_b32 v81, v79, v70
	v_cmpx_le_u32_e64 v80, v66
	s_cbranch_execz .LBB245_119
; %bb.118:
	v_cmp_eq_u32_e32 vcc_lo, 0, v88
	s_waitcnt lgkmcnt(0)
	v_dual_cndmask_b32 v81, 0, v81 :: v_dual_add_nc_u32 v88, v67, v88
	v_cndmask_b32_e32 v68, 0, v68, vcc_lo
	s_delay_alu instid0(VALU_DEP_1) | instskip(NEXT) | instid1(VALU_DEP_3)
	v_add_co_u32 v69, vcc_lo, v68, v69
	v_add_co_ci_u32_e32 v70, vcc_lo, v81, v70, vcc_lo
.LBB245_119:
	s_or_b32 exec_lo, exec_lo, s17
	v_cmp_gt_u32_e32 vcc_lo, 28, v115
	v_add_nc_u32_e32 v82, 4, v115
	s_mov_b32 s17, exec_lo
	s_waitcnt lgkmcnt(2)
	v_cndmask_b32_e64 v67, 0, 1, vcc_lo
	s_delay_alu instid0(VALU_DEP_1) | instskip(SKIP_1) | instid1(VALU_DEP_1)
	v_lshlrev_b32_e32 v67, 2, v67
	s_waitcnt lgkmcnt(0)
	v_add_lshl_u32 v81, v67, v115, 2
	ds_bpermute_b32 v67, v81, v88
	ds_bpermute_b32 v68, v81, v69
	ds_bpermute_b32 v83, v81, v70
	v_cmpx_le_u32_e64 v82, v66
	;; [unrolled: 24-line block ×3, first 2 shown]
	s_cbranch_execz .LBB245_123
; %bb.122:
	v_cmp_eq_u32_e32 vcc_lo, 0, v88
	s_waitcnt lgkmcnt(0)
	v_dual_cndmask_b32 v85, 0, v85 :: v_dual_add_nc_u32 v88, v67, v88
	v_cndmask_b32_e32 v68, 0, v68, vcc_lo
	s_delay_alu instid0(VALU_DEP_1) | instskip(NEXT) | instid1(VALU_DEP_3)
	v_add_co_u32 v69, vcc_lo, v68, v69
	v_add_co_ci_u32_e32 v70, vcc_lo, v85, v70, vcc_lo
.LBB245_123:
	s_or_b32 exec_lo, exec_lo, s17
	v_cmp_gt_u32_e32 vcc_lo, 16, v115
	v_add_nc_u32_e32 v87, 16, v115
	s_mov_b32 s17, exec_lo
	s_waitcnt lgkmcnt(2)
	v_cndmask_b32_e64 v67, 0, 1, vcc_lo
	s_delay_alu instid0(VALU_DEP_1) | instskip(NEXT) | instid1(VALU_DEP_1)
	v_lshlrev_b32_e32 v67, 4, v67
	v_add_lshl_u32 v86, v67, v115, 2
	ds_bpermute_b32 v67, v86, v88
	s_waitcnt lgkmcnt(2)
	ds_bpermute_b32 v68, v86, v69
	s_waitcnt lgkmcnt(2)
	ds_bpermute_b32 v85, v86, v70
	v_cmpx_le_u32_e64 v87, v66
	s_cbranch_execz .LBB245_125
; %bb.124:
	v_cmp_eq_u32_e32 vcc_lo, 0, v88
	s_waitcnt lgkmcnt(2)
	v_add_nc_u32_e32 v88, v67, v88
	s_waitcnt lgkmcnt(1)
	v_cndmask_b32_e32 v68, 0, v68, vcc_lo
	s_waitcnt lgkmcnt(0)
	v_cndmask_b32_e32 v66, 0, v85, vcc_lo
	s_delay_alu instid0(VALU_DEP_2) | instskip(NEXT) | instid1(VALU_DEP_2)
	v_add_co_u32 v69, vcc_lo, v68, v69
	v_add_co_ci_u32_e32 v70, vcc_lo, v66, v70, vcc_lo
.LBB245_125:
	s_or_b32 exec_lo, exec_lo, s17
	v_mov_b32_e32 v66, 0
	s_branch .LBB245_127
.LBB245_126:                            ;   in Loop: Header=BB245_127 Depth=1
	s_or_b32 exec_lo, exec_lo, s17
	v_cmp_eq_u32_e32 vcc_lo, 0, v85
	v_subrev_nc_u32_e32 v65, 32, v65
	v_add_nc_u32_e32 v88, v88, v85
	v_dual_cndmask_b32 v70, 0, v70 :: v_dual_cndmask_b32 v69, 0, v69
	s_delay_alu instid0(VALU_DEP_1) | instskip(NEXT) | instid1(VALU_DEP_2)
	v_add_co_u32 v69, vcc_lo, v69, v67
	v_add_co_ci_u32_e32 v70, vcc_lo, v70, v68, vcc_lo
.LBB245_127:                            ; =>This Loop Header: Depth=1
                                        ;     Child Loop BB245_130 Depth 2
	s_waitcnt lgkmcnt(2)
	v_and_b32_e32 v67, 0xff, v76
	s_waitcnt lgkmcnt(0)
	v_mov_b32_e32 v85, v88
	s_delay_alu instid0(VALU_DEP_2) | instskip(SKIP_2) | instid1(VALU_DEP_1)
	v_cmp_ne_u16_e32 vcc_lo, 2, v67
	v_cndmask_b32_e64 v67, 0, 1, vcc_lo
	;;#ASMSTART
	;;#ASMEND
	v_cmp_ne_u32_e32 vcc_lo, 0, v67
	v_dual_mov_b32 v67, v69 :: v_dual_mov_b32 v68, v70
	s_cmp_lg_u32 vcc_lo, exec_lo
	s_cbranch_scc1 .LBB245_142
; %bb.128:                              ;   in Loop: Header=BB245_127 Depth=1
	global_load_u8 v76, v65, s[40:41] glc
	s_mov_b32 s17, exec_lo
	s_waitcnt vmcnt(0)
	v_cmpx_eq_u16_e32 0, v76
	s_cbranch_execz .LBB245_132
; %bb.129:                              ;   in Loop: Header=BB245_127 Depth=1
	v_add_co_u32 v69, s20, s40, v65
	s_delay_alu instid0(VALU_DEP_1)
	v_add_co_ci_u32_e64 v70, null, s41, 0, s20
	s_mov_b32 s20, 0
.LBB245_130:                            ;   Parent Loop BB245_127 Depth=1
                                        ; =>  This Inner Loop Header: Depth=2
	global_load_u8 v76, v[69:70], off glc
	s_waitcnt vmcnt(0)
	v_cmp_ne_u16_e32 vcc_lo, 0, v76
	s_or_b32 s20, vcc_lo, s20
	s_delay_alu instid0(SALU_CYCLE_1)
	s_and_not1_b32 exec_lo, exec_lo, s20
	s_cbranch_execnz .LBB245_130
; %bb.131:                              ;   in Loop: Header=BB245_127 Depth=1
	s_or_b32 exec_lo, exec_lo, s20
.LBB245_132:                            ;   in Loop: Header=BB245_127 Depth=1
	s_delay_alu instid0(SALU_CYCLE_1)
	s_or_b32 exec_lo, exec_lo, s17
	v_dual_mov_b32 v88, s37 :: v_dual_mov_b32 v89, s36
	v_cmp_eq_u16_e32 vcc_lo, 1, v76
	v_lshlrev_b64 v[69:70], 4, v[65:66]
	buffer_gl1_inv
	buffer_gl0_inv
	s_mov_b32 s17, exec_lo
	v_cndmask_b32_e32 v89, s38, v89, vcc_lo
	v_cndmask_b32_e32 v88, s39, v88, vcc_lo
	s_delay_alu instid0(VALU_DEP_2) | instskip(NEXT) | instid1(VALU_DEP_2)
	v_add_co_u32 v69, vcc_lo, v89, v69
	v_add_co_ci_u32_e32 v70, vcc_lo, v88, v70, vcc_lo
	v_cmp_eq_u16_e32 vcc_lo, 2, v76
	s_clause 0x1
	global_load_b32 v88, v[69:70], off
	global_load_b64 v[69:70], v[69:70], off offset:8
	v_and_or_b32 v89, vcc_lo, v78, 0x80000000
	s_delay_alu instid0(VALU_DEP_1)
	v_ctz_i32_b32_e32 v89, v89
	s_waitcnt vmcnt(1)
	ds_bpermute_b32 v90, v77, v88
	s_waitcnt vmcnt(0)
	ds_bpermute_b32 v91, v77, v69
	ds_bpermute_b32 v92, v77, v70
	v_cmpx_lt_u32_e64 v115, v89
	s_cbranch_execz .LBB245_134
; %bb.133:                              ;   in Loop: Header=BB245_127 Depth=1
	v_cmp_eq_u32_e32 vcc_lo, 0, v88
	s_waitcnt lgkmcnt(2)
	v_add_nc_u32_e32 v88, v90, v88
	s_waitcnt lgkmcnt(0)
	v_dual_cndmask_b32 v92, 0, v92 :: v_dual_cndmask_b32 v91, 0, v91
	s_delay_alu instid0(VALU_DEP_1) | instskip(NEXT) | instid1(VALU_DEP_2)
	v_add_co_u32 v69, vcc_lo, v91, v69
	v_add_co_ci_u32_e32 v70, vcc_lo, v92, v70, vcc_lo
.LBB245_134:                            ;   in Loop: Header=BB245_127 Depth=1
	s_or_b32 exec_lo, exec_lo, s17
	s_waitcnt lgkmcnt(2)
	ds_bpermute_b32 v90, v79, v88
	s_waitcnt lgkmcnt(2)
	ds_bpermute_b32 v91, v79, v69
	s_waitcnt lgkmcnt(2)
	ds_bpermute_b32 v92, v79, v70
	s_mov_b32 s17, exec_lo
	v_cmpx_le_u32_e64 v80, v89
	s_cbranch_execz .LBB245_136
; %bb.135:                              ;   in Loop: Header=BB245_127 Depth=1
	v_cmp_eq_u32_e32 vcc_lo, 0, v88
	s_waitcnt lgkmcnt(2)
	v_add_nc_u32_e32 v88, v90, v88
	s_waitcnt lgkmcnt(0)
	v_dual_cndmask_b32 v92, 0, v92 :: v_dual_cndmask_b32 v91, 0, v91
	s_delay_alu instid0(VALU_DEP_1) | instskip(NEXT) | instid1(VALU_DEP_2)
	v_add_co_u32 v69, vcc_lo, v91, v69
	v_add_co_ci_u32_e32 v70, vcc_lo, v92, v70, vcc_lo
.LBB245_136:                            ;   in Loop: Header=BB245_127 Depth=1
	s_or_b32 exec_lo, exec_lo, s17
	s_waitcnt lgkmcnt(2)
	ds_bpermute_b32 v90, v81, v88
	s_waitcnt lgkmcnt(2)
	ds_bpermute_b32 v91, v81, v69
	s_waitcnt lgkmcnt(2)
	ds_bpermute_b32 v92, v81, v70
	s_mov_b32 s17, exec_lo
	v_cmpx_le_u32_e64 v82, v89
	s_cbranch_execz .LBB245_138
; %bb.137:                              ;   in Loop: Header=BB245_127 Depth=1
	v_cmp_eq_u32_e32 vcc_lo, 0, v88
	s_waitcnt lgkmcnt(2)
	v_add_nc_u32_e32 v88, v90, v88
	s_waitcnt lgkmcnt(0)
	v_dual_cndmask_b32 v92, 0, v92 :: v_dual_cndmask_b32 v91, 0, v91
	s_delay_alu instid0(VALU_DEP_1) | instskip(NEXT) | instid1(VALU_DEP_2)
	v_add_co_u32 v69, vcc_lo, v91, v69
	v_add_co_ci_u32_e32 v70, vcc_lo, v92, v70, vcc_lo
.LBB245_138:                            ;   in Loop: Header=BB245_127 Depth=1
	s_or_b32 exec_lo, exec_lo, s17
	s_waitcnt lgkmcnt(2)
	ds_bpermute_b32 v90, v83, v88
	s_waitcnt lgkmcnt(2)
	ds_bpermute_b32 v91, v83, v69
	s_waitcnt lgkmcnt(2)
	ds_bpermute_b32 v92, v83, v70
	s_mov_b32 s17, exec_lo
	v_cmpx_le_u32_e64 v84, v89
	s_cbranch_execz .LBB245_140
; %bb.139:                              ;   in Loop: Header=BB245_127 Depth=1
	v_cmp_eq_u32_e32 vcc_lo, 0, v88
	s_waitcnt lgkmcnt(2)
	v_add_nc_u32_e32 v88, v90, v88
	s_waitcnt lgkmcnt(0)
	v_dual_cndmask_b32 v92, 0, v92 :: v_dual_cndmask_b32 v91, 0, v91
	s_delay_alu instid0(VALU_DEP_1) | instskip(NEXT) | instid1(VALU_DEP_2)
	v_add_co_u32 v69, vcc_lo, v91, v69
	v_add_co_ci_u32_e32 v70, vcc_lo, v92, v70, vcc_lo
.LBB245_140:                            ;   in Loop: Header=BB245_127 Depth=1
	s_or_b32 exec_lo, exec_lo, s17
	s_waitcnt lgkmcnt(2)
	ds_bpermute_b32 v90, v86, v88
	s_waitcnt lgkmcnt(2)
	ds_bpermute_b32 v91, v86, v69
	s_waitcnt lgkmcnt(2)
	ds_bpermute_b32 v92, v86, v70
	s_mov_b32 s17, exec_lo
	v_cmpx_le_u32_e64 v87, v89
	s_cbranch_execz .LBB245_126
; %bb.141:                              ;   in Loop: Header=BB245_127 Depth=1
	v_cmp_eq_u32_e32 vcc_lo, 0, v88
	s_waitcnt lgkmcnt(1)
	v_dual_cndmask_b32 v91, 0, v91 :: v_dual_add_nc_u32 v88, v90, v88
	s_waitcnt lgkmcnt(0)
	v_cndmask_b32_e32 v89, 0, v92, vcc_lo
	s_delay_alu instid0(VALU_DEP_2) | instskip(NEXT) | instid1(VALU_DEP_2)
	v_add_co_u32 v69, vcc_lo, v91, v69
	v_add_co_ci_u32_e32 v70, vcc_lo, v89, v70, vcc_lo
	s_branch .LBB245_126
.LBB245_142:                            ;   in Loop: Header=BB245_127 Depth=1
                                        ; implicit-def: $vgpr69_vgpr70
                                        ; implicit-def: $vgpr88
                                        ; implicit-def: $vgpr76
	s_cbranch_execz .LBB245_127
; %bb.143:
	s_and_saveexec_b32 s17, s13
	s_cbranch_execz .LBB245_145
; %bb.144:
	v_cmp_eq_u32_e32 vcc_lo, 0, v75
	s_mov_b32 s21, 0
	s_add_i32 s20, s15, 32
	v_dual_mov_b32 v70, 0 :: v_dual_add_nc_u32 v69, v85, v75
	v_dual_cndmask_b32 v66, 0, v68 :: v_dual_cndmask_b32 v65, 0, v67
	s_lshl_b64 s[34:35], s[20:21], 4
	v_dual_mov_b32 v76, s20 :: v_dual_mov_b32 v77, 2
	s_add_u32 s34, s38, s34
	s_delay_alu instid0(VALU_DEP_2)
	v_add_co_u32 v65, vcc_lo, v65, v63
	v_add_co_ci_u32_e32 v66, vcc_lo, v66, v64, vcc_lo
	s_addc_u32 s35, s39, s35
	s_clause 0x1
	global_store_b32 v70, v69, s[34:35]
	global_store_b64 v70, v[65:66], s[34:35] offset:8
	s_waitcnt lgkmcnt(0)
	s_waitcnt_vscnt null, 0x0
	buffer_gl1_inv
	buffer_gl0_inv
	global_store_b8 v76, v77, s[40:41]
	ds_store_b32 v70, v75 offset:4096
	ds_store_b64 v70, v[63:64] offset:4104
	ds_store_b32 v70, v85 offset:4112
	ds_store_b64 v70, v[67:68] offset:4120
.LBB245_145:
	s_or_b32 exec_lo, exec_lo, s17
	v_cmp_eq_u32_e32 vcc_lo, 0, v0
	s_and_b32 exec_lo, exec_lo, vcc_lo
	s_cbranch_execz .LBB245_147
; %bb.146:
	v_mov_b32_e32 v63, 0
	ds_store_b32 v63, v85 offset:4240
	ds_store_b64 v63, v[67:68] offset:4248
.LBB245_147:
	s_or_b32 exec_lo, exec_lo, s16
	s_waitcnt lgkmcnt(2)
	v_cndmask_b32_e64 v66, v74, v71, s13
	s_waitcnt lgkmcnt(0)
	s_waitcnt_vscnt null, 0x0
	s_barrier
	buffer_gl0_inv
	v_cndmask_b32_e64 v61, v73, v61, s13
	v_cmp_eq_u32_e32 vcc_lo, 0, v66
	v_mov_b32_e32 v65, 0
	v_cndmask_b32_e64 v62, v72, v62, s13
	ds_load_b64 v[63:64], v65 offset:4248
	s_waitcnt lgkmcnt(0)
	v_dual_cndmask_b32 v68, 0, v63 :: v_dual_cndmask_b32 v67, 0, v64
	s_delay_alu instid0(VALU_DEP_1) | instskip(NEXT) | instid1(VALU_DEP_2)
	v_add_co_u32 v61, vcc_lo, v68, v61
	v_add_co_ci_u32_e32 v62, vcc_lo, v67, v62, vcc_lo
	v_cmp_eq_u32_e32 vcc_lo, 0, v0
	v_cndmask_b32_e64 v66, v66, 0, vcc_lo
	s_delay_alu instid0(VALU_DEP_3)
	v_dual_cndmask_b32 v78, v62, v64 :: v_dual_cndmask_b32 v77, v61, v63
	v_cmp_eq_u32_e32 vcc_lo, 0, v113
	ds_load_b32 v64, v65 offset:4240
	s_waitcnt lgkmcnt(0)
	s_barrier
	buffer_gl0_inv
	v_dual_cndmask_b32 v62, 0, v77 :: v_dual_cndmask_b32 v61, 0, v78
	ds_load_b64 v[117:118], v65 offset:4104
	v_add_co_u32 v75, vcc_lo, v62, v53
	v_add_co_ci_u32_e32 v76, vcc_lo, v61, v54, vcc_lo
	s_delay_alu instid0(VALU_DEP_2) | instskip(NEXT) | instid1(VALU_DEP_2)
	v_cndmask_b32_e64 v61, 0, v75, s12
	v_cndmask_b32_e64 v62, 0, v76, s12
	s_delay_alu instid0(VALU_DEP_2) | instskip(NEXT) | instid1(VALU_DEP_2)
	v_add_co_u32 v81, vcc_lo, v61, v55
	v_add_co_ci_u32_e32 v82, vcc_lo, v62, v56, vcc_lo
	v_add_nc_u32_e32 v114, v64, v66
	s_delay_alu instid0(VALU_DEP_3) | instskip(NEXT) | instid1(VALU_DEP_3)
	v_cndmask_b32_e64 v61, 0, v81, s11
	v_cndmask_b32_e64 v62, 0, v82, s11
	s_delay_alu instid0(VALU_DEP_2) | instskip(NEXT) | instid1(VALU_DEP_2)
	v_add_co_u32 v85, vcc_lo, v61, v49
	v_add_co_ci_u32_e32 v86, vcc_lo, v62, v50, vcc_lo
	s_delay_alu instid0(VALU_DEP_2) | instskip(NEXT) | instid1(VALU_DEP_2)
	v_cndmask_b32_e64 v61, 0, v85, s10
	v_cndmask_b32_e64 v62, 0, v86, s10
	s_delay_alu instid0(VALU_DEP_2) | instskip(NEXT) | instid1(VALU_DEP_2)
	v_add_co_u32 v67, vcc_lo, v61, v51
	v_add_co_ci_u32_e32 v68, vcc_lo, v62, v52, vcc_lo
	s_delay_alu instid0(VALU_DEP_2) | instskip(NEXT) | instid1(VALU_DEP_2)
	;; [unrolled: 6-line block ×7, first 2 shown]
	v_cndmask_b32_e64 v61, 0, v69, s4
	v_cndmask_b32_e64 v62, 0, v70, s4
	s_delay_alu instid0(VALU_DEP_2) | instskip(NEXT) | instid1(VALU_DEP_2)
	v_add_co_u32 v73, vcc_lo, v61, v39
	v_add_co_ci_u32_e32 v74, vcc_lo, v62, v40, vcc_lo
	ds_load_b32 v61, v65 offset:4096
	v_cndmask_b32_e64 v62, 0, v73, s3
	v_cndmask_b32_e64 v63, 0, v74, s3
	s_delay_alu instid0(VALU_DEP_2) | instskip(NEXT) | instid1(VALU_DEP_2)
	v_add_co_u32 v89, vcc_lo, v62, v33
	v_add_co_ci_u32_e32 v90, vcc_lo, v63, v34, vcc_lo
	ds_load_b64 v[62:63], v65 offset:4120
	v_cndmask_b32_e64 v91, 0, v89, s2
	ds_load_b32 v65, v65 offset:4112
	v_cndmask_b32_e64 v92, 0, v90, s2
	v_add_co_u32 v93, vcc_lo, v91, v35
	s_delay_alu instid0(VALU_DEP_2) | instskip(SKIP_2) | instid1(VALU_DEP_3)
	v_add_co_ci_u32_e32 v94, vcc_lo, v92, v36, vcc_lo
	s_waitcnt lgkmcnt(2)
	v_cmp_eq_u32_e32 vcc_lo, 0, v61
	v_cndmask_b32_e64 v91, 0, v93, s1
	s_delay_alu instid0(VALU_DEP_3) | instskip(NEXT) | instid1(VALU_DEP_2)
	v_cndmask_b32_e64 v92, 0, v94, s1
	v_add_co_u32 v91, s1, v91, v29
	s_delay_alu instid0(VALU_DEP_1) | instskip(SKIP_2) | instid1(VALU_DEP_3)
	v_add_co_ci_u32_e64 v92, s1, v92, v30, s1
	s_waitcnt lgkmcnt(1)
	v_dual_cndmask_b32 v119, 0, v63 :: v_dual_cndmask_b32 v62, 0, v62
	v_cndmask_b32_e64 v97, 0, v91, s0
	s_delay_alu instid0(VALU_DEP_3) | instskip(NEXT) | instid1(VALU_DEP_3)
	v_cndmask_b32_e64 v98, 0, v92, s0
	v_add_co_u32 v63, vcc_lo, v62, v117
	s_delay_alu instid0(VALU_DEP_4)
	v_add_co_ci_u32_e32 v64, vcc_lo, v119, v118, vcc_lo
	s_branch .LBB245_176
.LBB245_148:
                                        ; implicit-def: $vgpr61
                                        ; implicit-def: $vgpr63_vgpr64
                                        ; implicit-def: $vgpr65
                                        ; implicit-def: $vgpr77_vgpr78
                                        ; implicit-def: $vgpr75_vgpr76
                                        ; implicit-def: $vgpr81_vgpr82
                                        ; implicit-def: $vgpr85_vgpr86
                                        ; implicit-def: $vgpr67_vgpr68
                                        ; implicit-def: $vgpr71_vgpr72
                                        ; implicit-def: $vgpr79_vgpr80
                                        ; implicit-def: $vgpr83_vgpr84
                                        ; implicit-def: $vgpr87_vgpr88
                                        ; implicit-def: $vgpr69_vgpr70
                                        ; implicit-def: $vgpr73_vgpr74
                                        ; implicit-def: $vgpr89_vgpr90
                                        ; implicit-def: $vgpr93_vgpr94
                                        ; implicit-def: $vgpr91_vgpr92
                                        ; implicit-def: $vgpr97_vgpr98
                                        ; implicit-def: $vgpr114
	s_cbranch_execz .LBB245_176
; %bb.149:
	s_and_b32 s0, s14, exec_lo
	s_cselect_b32 s1, 0, s19
	s_cselect_b32 s0, 0, s18
	s_delay_alu instid0(SALU_CYCLE_1)
	s_cmp_eq_u64 s[0:1], 0
	s_cbranch_scc1 .LBB245_151
; %bb.150:
	v_mov_b32_e32 v61, 0
	global_load_b64 v[95:96], v61, s[0:1]
.LBB245_151:
	v_cmp_eq_u32_e64 s11, 0, v112
	v_cmp_eq_u32_e64 s10, 0, v111
	;; [unrolled: 1-line block ×5, first 2 shown]
	v_cndmask_b32_e64 v62, 0, v53, s11
	v_cndmask_b32_e64 v61, 0, v54, s11
	v_cmp_eq_u32_e64 s6, 0, v107
	v_cmp_eq_u32_e64 s5, 0, v106
	;; [unrolled: 1-line block ×3, first 2 shown]
	v_add_co_u32 v62, vcc_lo, v62, v55
	v_add_co_ci_u32_e32 v61, vcc_lo, v61, v56, vcc_lo
	v_cmp_eq_u32_e64 s3, 0, v103
	s_delay_alu instid0(VALU_DEP_3) | instskip(SKIP_1) | instid1(VALU_DEP_4)
	v_cndmask_b32_e64 v62, 0, v62, s10
	v_cmp_eq_u32_e64 s2, 0, v102
	v_cndmask_b32_e64 v61, 0, v61, s10
	v_cmp_eq_u32_e64 s1, 0, v100
	v_add3_u32 v63, v116, v108, v107
	v_add_co_u32 v62, vcc_lo, v62, v49
	s_delay_alu instid0(VALU_DEP_4) | instskip(NEXT) | instid1(VALU_DEP_3)
	v_add_co_ci_u32_e32 v61, vcc_lo, v61, v50, vcc_lo
	v_add3_u32 v63, v63, v106, v105
	s_delay_alu instid0(VALU_DEP_3) | instskip(SKIP_1) | instid1(VALU_DEP_3)
	v_cndmask_b32_e64 v62, 0, v62, s9
	s_mov_b32 s13, exec_lo
	v_cndmask_b32_e64 v61, 0, v61, s9
	s_delay_alu instid0(VALU_DEP_3) | instskip(NEXT) | instid1(VALU_DEP_3)
	v_add3_u32 v63, v63, v103, v102
	v_add_co_u32 v62, vcc_lo, v62, v51
	s_delay_alu instid0(VALU_DEP_3) | instskip(NEXT) | instid1(VALU_DEP_3)
	v_add_co_ci_u32_e32 v61, vcc_lo, v61, v52, vcc_lo
	v_add3_u32 v63, v63, v101, v100
	s_delay_alu instid0(VALU_DEP_3) | instskip(NEXT) | instid1(VALU_DEP_3)
	v_cndmask_b32_e64 v62, 0, v62, s8
	v_cndmask_b32_e64 v61, 0, v61, s8
	s_delay_alu instid0(VALU_DEP_3) | instskip(NEXT) | instid1(VALU_DEP_3)
	v_add3_u32 v63, v63, v99, v104
	v_add_co_u32 v62, vcc_lo, v62, v45
	s_delay_alu instid0(VALU_DEP_3) | instskip(NEXT) | instid1(VALU_DEP_2)
	v_add_co_ci_u32_e32 v61, vcc_lo, v61, v46, vcc_lo
	v_cndmask_b32_e64 v62, 0, v62, s7
	s_delay_alu instid0(VALU_DEP_2) | instskip(NEXT) | instid1(VALU_DEP_2)
	v_cndmask_b32_e64 v61, 0, v61, s7
	v_add_co_u32 v62, vcc_lo, v62, v47
	s_delay_alu instid0(VALU_DEP_2) | instskip(NEXT) | instid1(VALU_DEP_2)
	v_add_co_ci_u32_e32 v61, vcc_lo, v61, v48, vcc_lo
	v_cndmask_b32_e64 v62, 0, v62, s6
	s_delay_alu instid0(VALU_DEP_2) | instskip(NEXT) | instid1(VALU_DEP_2)
	v_cndmask_b32_e64 v61, 0, v61, s6
	v_add_co_u32 v62, vcc_lo, v62, v41
	s_delay_alu instid0(VALU_DEP_2) | instskip(NEXT) | instid1(VALU_DEP_2)
	;; [unrolled: 6-line block ×5, first 2 shown]
	v_add_co_ci_u32_e32 v61, vcc_lo, v61, v40, vcc_lo
	v_cndmask_b32_e64 v62, 0, v62, s2
	s_delay_alu instid0(VALU_DEP_2) | instskip(NEXT) | instid1(VALU_DEP_2)
	v_cndmask_b32_e64 v61, 0, v61, s2
	v_add_co_u32 v62, vcc_lo, v62, v33
	s_delay_alu instid0(VALU_DEP_2) | instskip(SKIP_1) | instid1(VALU_DEP_2)
	v_add_co_ci_u32_e32 v61, vcc_lo, v61, v34, vcc_lo
	v_cmp_eq_u32_e32 vcc_lo, 0, v101
	v_dual_cndmask_b32 v61, 0, v61 :: v_dual_cndmask_b32 v62, 0, v62
	s_delay_alu instid0(VALU_DEP_1) | instskip(NEXT) | instid1(VALU_DEP_1)
	v_add_co_u32 v62, s0, v62, v35
	v_add_co_ci_u32_e64 v61, s0, v61, v36, s0
	s_delay_alu instid0(VALU_DEP_2) | instskip(NEXT) | instid1(VALU_DEP_2)
	v_cndmask_b32_e64 v62, 0, v62, s1
	v_cndmask_b32_e64 v61, 0, v61, s1
	s_delay_alu instid0(VALU_DEP_2) | instskip(NEXT) | instid1(VALU_DEP_1)
	v_add_co_u32 v62, s0, v62, v29
	v_add_co_ci_u32_e64 v61, s0, v61, v30, s0
	v_cmp_eq_u32_e64 s0, 0, v99
	s_delay_alu instid0(VALU_DEP_1) | instskip(NEXT) | instid1(VALU_DEP_3)
	v_cndmask_b32_e64 v62, 0, v62, s0
	v_cndmask_b32_e64 v61, 0, v61, s0
	s_delay_alu instid0(VALU_DEP_2) | instskip(NEXT) | instid1(VALU_DEP_1)
	v_add_co_u32 v62, s12, v62, v31
	v_add_co_ci_u32_e64 v61, s12, v61, v32, s12
	v_cmp_eq_u32_e64 s12, 0, v104
	s_delay_alu instid0(VALU_DEP_1) | instskip(NEXT) | instid1(VALU_DEP_3)
	v_cndmask_b32_e64 v62, 0, v62, s12
	v_cndmask_b32_e64 v61, 0, v61, s12
	s_delay_alu instid0(VALU_DEP_2) | instskip(NEXT) | instid1(VALU_DEP_1)
	v_add_co_u32 v59, s12, v62, v59
	v_add_co_ci_u32_e64 v60, s12, v61, v60, s12
	v_and_b32_e32 v61, 15, v115
	v_mov_b32_dpp v62, v63 row_shr:1 row_mask:0xf bank_mask:0xf
	s_delay_alu instid0(VALU_DEP_4)
	v_mov_b32_dpp v64, v59 row_shr:1 row_mask:0xf bank_mask:0xf
	s_waitcnt lgkmcnt(0)
	v_mov_b32_dpp v65, v60 row_shr:1 row_mask:0xf bank_mask:0xf
	v_cmpx_ne_u32_e32 0, v61
; %bb.152:
	v_cmp_eq_u32_e64 s12, 0, v63
	v_add_nc_u32_e32 v63, v62, v63
	s_delay_alu instid0(VALU_DEP_2) | instskip(SKIP_1) | instid1(VALU_DEP_2)
	v_cndmask_b32_e64 v64, 0, v64, s12
	v_cndmask_b32_e64 v65, 0, v65, s12
	v_add_co_u32 v59, s12, v64, v59
	s_delay_alu instid0(VALU_DEP_1)
	v_add_co_ci_u32_e64 v60, s12, v65, v60, s12
; %bb.153:
	s_or_b32 exec_lo, exec_lo, s13
	v_mov_b32_dpp v62, v63 row_shr:2 row_mask:0xf bank_mask:0xf
	s_delay_alu instid0(VALU_DEP_3) | instskip(NEXT) | instid1(VALU_DEP_3)
	v_mov_b32_dpp v64, v59 row_shr:2 row_mask:0xf bank_mask:0xf
	v_mov_b32_dpp v65, v60 row_shr:2 row_mask:0xf bank_mask:0xf
	s_mov_b32 s13, exec_lo
	v_cmpx_lt_u32_e32 1, v61
; %bb.154:
	v_cmp_eq_u32_e64 s12, 0, v63
	v_add_nc_u32_e32 v63, v62, v63
	s_delay_alu instid0(VALU_DEP_2) | instskip(SKIP_1) | instid1(VALU_DEP_2)
	v_cndmask_b32_e64 v64, 0, v64, s12
	v_cndmask_b32_e64 v65, 0, v65, s12
	v_add_co_u32 v59, s12, v64, v59
	s_delay_alu instid0(VALU_DEP_1)
	v_add_co_ci_u32_e64 v60, s12, v65, v60, s12
; %bb.155:
	s_or_b32 exec_lo, exec_lo, s13
	v_mov_b32_dpp v62, v63 row_shr:4 row_mask:0xf bank_mask:0xf
	s_delay_alu instid0(VALU_DEP_3) | instskip(NEXT) | instid1(VALU_DEP_3)
	v_mov_b32_dpp v64, v59 row_shr:4 row_mask:0xf bank_mask:0xf
	v_mov_b32_dpp v65, v60 row_shr:4 row_mask:0xf bank_mask:0xf
	s_mov_b32 s13, exec_lo
	v_cmpx_lt_u32_e32 3, v61
; %bb.156:
	v_cmp_eq_u32_e64 s12, 0, v63
	v_add_nc_u32_e32 v63, v62, v63
	s_delay_alu instid0(VALU_DEP_2) | instskip(SKIP_1) | instid1(VALU_DEP_2)
	v_cndmask_b32_e64 v64, 0, v64, s12
	v_cndmask_b32_e64 v65, 0, v65, s12
	v_add_co_u32 v59, s12, v64, v59
	s_delay_alu instid0(VALU_DEP_1)
	v_add_co_ci_u32_e64 v60, s12, v65, v60, s12
; %bb.157:
	s_or_b32 exec_lo, exec_lo, s13
	v_mov_b32_dpp v62, v63 row_shr:8 row_mask:0xf bank_mask:0xf
	s_delay_alu instid0(VALU_DEP_3) | instskip(NEXT) | instid1(VALU_DEP_3)
	v_mov_b32_dpp v64, v59 row_shr:8 row_mask:0xf bank_mask:0xf
	v_mov_b32_dpp v65, v60 row_shr:8 row_mask:0xf bank_mask:0xf
	s_mov_b32 s13, exec_lo
	v_cmpx_lt_u32_e32 7, v61
; %bb.158:
	v_cmp_eq_u32_e64 s12, 0, v63
	v_add_nc_u32_e32 v63, v62, v63
	s_delay_alu instid0(VALU_DEP_2) | instskip(SKIP_1) | instid1(VALU_DEP_2)
	v_cndmask_b32_e64 v64, 0, v64, s12
	v_cndmask_b32_e64 v61, 0, v65, s12
	v_add_co_u32 v59, s12, v64, v59
	s_delay_alu instid0(VALU_DEP_1)
	v_add_co_ci_u32_e64 v60, s12, v61, v60, s12
; %bb.159:
	s_or_b32 exec_lo, exec_lo, s13
	ds_swizzle_b32 v61, v63 offset:swizzle(BROADCAST,32,15)
	ds_swizzle_b32 v62, v59 offset:swizzle(BROADCAST,32,15)
	;; [unrolled: 1-line block ×3, first 2 shown]
	v_and_b32_e32 v65, 16, v115
	s_mov_b32 s13, exec_lo
	s_delay_alu instid0(VALU_DEP_1)
	v_cmpx_ne_u32_e32 0, v65
	s_cbranch_execz .LBB245_161
; %bb.160:
	v_cmp_eq_u32_e64 s12, 0, v63
	s_waitcnt lgkmcnt(2)
	v_add_nc_u32_e32 v63, v61, v63
	s_waitcnt lgkmcnt(1)
	s_delay_alu instid0(VALU_DEP_2) | instskip(SKIP_2) | instid1(VALU_DEP_2)
	v_cndmask_b32_e64 v62, 0, v62, s12
	s_waitcnt lgkmcnt(0)
	v_cndmask_b32_e64 v64, 0, v64, s12
	v_add_co_u32 v59, s12, v62, v59
	s_delay_alu instid0(VALU_DEP_1)
	v_add_co_ci_u32_e64 v60, s12, v64, v60, s12
.LBB245_161:
	s_or_b32 exec_lo, exec_lo, s13
	s_waitcnt lgkmcnt(1)
	v_lshrrev_b32_e32 v62, 5, v0
	v_or_b32_e32 v61, 31, v0
	s_mov_b32 s13, exec_lo
	s_delay_alu instid0(VALU_DEP_2) | instskip(NEXT) | instid1(VALU_DEP_2)
	v_lshlrev_b32_e32 v65, 4, v62
	v_cmpx_eq_u32_e64 v61, v0
	s_cbranch_execz .LBB245_163
; %bb.162:
	ds_store_b32 v65, v63 offset:4128
	ds_store_b64 v65, v[59:60] offset:4136
.LBB245_163:
	s_or_b32 exec_lo, exec_lo, s13
	s_delay_alu instid0(SALU_CYCLE_1)
	s_mov_b32 s13, exec_lo
	s_waitcnt vmcnt(0) lgkmcnt(0)
	s_barrier
	buffer_gl0_inv
	v_cmpx_gt_u32_e32 8, v0
	s_cbranch_execz .LBB245_171
; %bb.164:
	v_lshlrev_b32_e32 v64, 4, v0
	v_and_b32_e32 v67, 7, v115
	s_mov_b32 s15, exec_lo
	ds_load_b32 v66, v64 offset:4128
	ds_load_b64 v[61:62], v64 offset:4136
	s_waitcnt lgkmcnt(1)
	v_mov_b32_dpp v68, v66 row_shr:1 row_mask:0xf bank_mask:0xf
	s_waitcnt lgkmcnt(0)
	v_mov_b32_dpp v69, v61 row_shr:1 row_mask:0xf bank_mask:0xf
	v_mov_b32_dpp v70, v62 row_shr:1 row_mask:0xf bank_mask:0xf
	v_cmpx_ne_u32_e32 0, v67
; %bb.165:
	v_cmp_eq_u32_e64 s12, 0, v66
	v_add_nc_u32_e32 v66, v68, v66
	s_delay_alu instid0(VALU_DEP_2) | instskip(SKIP_1) | instid1(VALU_DEP_2)
	v_cndmask_b32_e64 v69, 0, v69, s12
	v_cndmask_b32_e64 v70, 0, v70, s12
	v_add_co_u32 v61, s12, v69, v61
	s_delay_alu instid0(VALU_DEP_1)
	v_add_co_ci_u32_e64 v62, s12, v70, v62, s12
; %bb.166:
	s_or_b32 exec_lo, exec_lo, s15
	v_mov_b32_dpp v68, v66 row_shr:2 row_mask:0xf bank_mask:0xf
	s_delay_alu instid0(VALU_DEP_3) | instskip(NEXT) | instid1(VALU_DEP_3)
	v_mov_b32_dpp v69, v61 row_shr:2 row_mask:0xf bank_mask:0xf
	v_mov_b32_dpp v70, v62 row_shr:2 row_mask:0xf bank_mask:0xf
	s_mov_b32 s15, exec_lo
	v_cmpx_lt_u32_e32 1, v67
; %bb.167:
	v_cmp_eq_u32_e64 s12, 0, v66
	v_add_nc_u32_e32 v66, v68, v66
	s_delay_alu instid0(VALU_DEP_2) | instskip(SKIP_1) | instid1(VALU_DEP_2)
	v_cndmask_b32_e64 v69, 0, v69, s12
	v_cndmask_b32_e64 v70, 0, v70, s12
	v_add_co_u32 v61, s12, v69, v61
	s_delay_alu instid0(VALU_DEP_1)
	v_add_co_ci_u32_e64 v62, s12, v70, v62, s12
; %bb.168:
	s_or_b32 exec_lo, exec_lo, s15
	v_mov_b32_dpp v68, v66 row_shr:4 row_mask:0xf bank_mask:0xf
	s_delay_alu instid0(VALU_DEP_3) | instskip(NEXT) | instid1(VALU_DEP_3)
	v_mov_b32_dpp v69, v61 row_shr:4 row_mask:0xf bank_mask:0xf
	v_mov_b32_dpp v70, v62 row_shr:4 row_mask:0xf bank_mask:0xf
	s_mov_b32 s15, exec_lo
	v_cmpx_lt_u32_e32 3, v67
; %bb.169:
	v_cmp_eq_u32_e64 s12, 0, v66
	v_add_nc_u32_e32 v66, v68, v66
	s_delay_alu instid0(VALU_DEP_2) | instskip(SKIP_1) | instid1(VALU_DEP_2)
	v_cndmask_b32_e64 v69, 0, v69, s12
	v_cndmask_b32_e64 v67, 0, v70, s12
	v_add_co_u32 v61, s12, v69, v61
	s_delay_alu instid0(VALU_DEP_1)
	v_add_co_ci_u32_e64 v62, s12, v67, v62, s12
; %bb.170:
	s_or_b32 exec_lo, exec_lo, s15
	ds_store_b32 v64, v66 offset:4128
	ds_store_b64 v64, v[61:62] offset:4136
.LBB245_171:
	s_or_b32 exec_lo, exec_lo, s13
	v_dual_mov_b32 v64, 0 :: v_dual_mov_b32 v61, v95
	v_mov_b32_e32 v66, 0
	v_mov_b32_e32 v62, v96
	s_mov_b32 s13, exec_lo
	s_waitcnt lgkmcnt(0)
	s_barrier
	buffer_gl0_inv
	v_cmpx_lt_u32_e32 31, v0
	s_cbranch_execz .LBB245_173
; %bb.172:
	ds_load_b32 v66, v65 offset:4112
	ds_load_b64 v[61:62], v65 offset:4120
	s_waitcnt lgkmcnt(1)
	v_cmp_eq_u32_e64 s12, 0, v66
	s_delay_alu instid0(VALU_DEP_1) | instskip(SKIP_2) | instid1(VALU_DEP_2)
	v_cndmask_b32_e64 v67, 0, v95, s12
	v_cndmask_b32_e64 v65, 0, v96, s12
	s_waitcnt lgkmcnt(0)
	v_add_co_u32 v61, s12, v67, v61
	s_delay_alu instid0(VALU_DEP_1)
	v_add_co_ci_u32_e64 v62, s12, v65, v62, s12
.LBB245_173:
	s_or_b32 exec_lo, exec_lo, s13
	v_add_nc_u32_e32 v65, -1, v115
	v_cmp_eq_u32_e64 s12, 0, v63
	v_add_nc_u32_e32 v63, v66, v63
	s_delay_alu instid0(VALU_DEP_3) | instskip(NEXT) | instid1(VALU_DEP_3)
	v_cmp_gt_i32_e64 s13, 0, v65
	v_cndmask_b32_e64 v68, 0, v61, s12
	v_cndmask_b32_e64 v67, 0, v62, s12
	s_delay_alu instid0(VALU_DEP_3) | instskip(NEXT) | instid1(VALU_DEP_3)
	v_cndmask_b32_e64 v65, v65, v115, s13
	v_add_co_u32 v59, s12, v68, v59
	s_delay_alu instid0(VALU_DEP_1) | instskip(NEXT) | instid1(VALU_DEP_3)
	v_add_co_ci_u32_e64 v60, s12, v67, v60, s12
	v_lshlrev_b32_e32 v65, 2, v65
	v_cmp_eq_u32_e64 s12, 0, v115
	v_cmp_eq_u32_e64 s13, 0, v113
	ds_bpermute_b32 v63, v65, v63
	ds_bpermute_b32 v60, v65, v60
	;; [unrolled: 1-line block ×3, first 2 shown]
	s_waitcnt lgkmcnt(2)
	v_cndmask_b32_e64 v114, v63, v66, s12
	s_waitcnt lgkmcnt(1)
	v_cndmask_b32_e64 v78, v60, v62, s12
	;; [unrolled: 2-line block ×3, first 2 shown]
	v_cmp_eq_u32_e64 s12, 0, v0
	ds_load_b32 v61, v64 offset:4240
	v_cndmask_b32_e64 v59, v77, v95, s12
	v_cndmask_b32_e64 v60, v78, v96, s12
	s_delay_alu instid0(VALU_DEP_2) | instskip(NEXT) | instid1(VALU_DEP_2)
	v_cndmask_b32_e64 v59, 0, v59, s13
	v_cndmask_b32_e64 v60, 0, v60, s13
	s_delay_alu instid0(VALU_DEP_2) | instskip(NEXT) | instid1(VALU_DEP_1)
	v_add_co_u32 v75, s13, v59, v53
	v_add_co_ci_u32_e64 v76, s13, v60, v54, s13
	s_delay_alu instid0(VALU_DEP_2) | instskip(NEXT) | instid1(VALU_DEP_2)
	v_cndmask_b32_e64 v53, 0, v75, s11
	v_cndmask_b32_e64 v54, 0, v76, s11
	s_delay_alu instid0(VALU_DEP_2) | instskip(NEXT) | instid1(VALU_DEP_1)
	v_add_co_u32 v81, s11, v53, v55
	v_add_co_ci_u32_e64 v82, s11, v54, v56, s11
	;; [unrolled: 6-line block ×11, first 2 shown]
	ds_load_b64 v[33:34], v64 offset:4248
	v_dual_cndmask_b32 v37, 0, v89 :: v_dual_cndmask_b32 v38, 0, v90
	s_delay_alu instid0(VALU_DEP_1) | instskip(NEXT) | instid1(VALU_DEP_2)
	v_add_co_u32 v93, vcc_lo, v37, v35
	v_add_co_ci_u32_e32 v94, vcc_lo, v38, v36, vcc_lo
	s_waitcnt lgkmcnt(1)
	v_cmp_eq_u32_e32 vcc_lo, 0, v61
	s_delay_alu instid0(VALU_DEP_3) | instskip(NEXT) | instid1(VALU_DEP_3)
	v_cndmask_b32_e64 v35, 0, v93, s1
	v_cndmask_b32_e64 v36, 0, v94, s1
	s_delay_alu instid0(VALU_DEP_2) | instskip(NEXT) | instid1(VALU_DEP_1)
	v_add_co_u32 v91, s1, v35, v29
	v_add_co_ci_u32_e64 v92, s1, v36, v30, s1
	v_dual_cndmask_b32 v30, 0, v95 :: v_dual_cndmask_b32 v29, 0, v96
	s_delay_alu instid0(VALU_DEP_3) | instskip(NEXT) | instid1(VALU_DEP_3)
	v_cndmask_b32_e64 v97, 0, v91, s0
	v_cndmask_b32_e64 v98, 0, v92, s0
	s_waitcnt lgkmcnt(0)
	s_delay_alu instid0(VALU_DEP_3)
	v_add_co_u32 v63, vcc_lo, v30, v33
	v_add_co_ci_u32_e32 v64, vcc_lo, v29, v34, vcc_lo
	s_and_saveexec_b32 s0, s12
	s_cbranch_execz .LBB245_175
; %bb.174:
	v_dual_mov_b32 v114, 0 :: v_dual_mov_b32 v29, 2
	v_dual_mov_b32 v77, v95 :: v_dual_mov_b32 v78, v96
	s_clause 0x1
	global_store_b32 v114, v61, s[38:39] offset:512
	global_store_b64 v114, v[63:64], s[38:39] offset:520
	s_waitcnt_vscnt null, 0x0
	buffer_gl1_inv
	buffer_gl0_inv
	global_store_b8 v114, v29, s[40:41] offset:32
.LBB245_175:
	s_or_b32 exec_lo, exec_lo, s0
	v_mov_b32_e32 v65, 0
.LBB245_176:
	v_mov_b32_e32 v29, 0
	s_and_b32 s0, s14, exec_lo
	v_mov_b32_e32 v30, 0
	s_cselect_b32 s1, 0, s51
	s_cselect_b32 s0, 0, s50
	s_waitcnt lgkmcnt(0)
	s_waitcnt_vscnt null, 0x0
	s_cmp_eq_u64 s[0:1], 0
	s_barrier
	buffer_gl0_inv
	s_cbranch_scc1 .LBB245_178
; %bb.177:
	v_mov_b32_e32 v29, 0
	global_load_b64 v[29:30], v29, s[0:1]
.LBB245_178:
	v_cmp_eq_u32_e32 vcc_lo, 0, v113
	v_add_nc_u32_e32 v48, v114, v113
	v_cmp_ne_u32_e64 s12, 0, v113
	v_cmp_ne_u32_e64 s11, 0, v112
	;; [unrolled: 1-line block ×3, first 2 shown]
	v_cndmask_b32_e64 v33, 1, 2, vcc_lo
	v_cmp_eq_u32_e32 vcc_lo, 0, v112
	v_add_nc_u32_e32 v50, v48, v112
	v_cmp_ne_u32_e64 s8, 0, v110
	v_cmp_ne_u32_e64 s14, 0, v109
	;; [unrolled: 1-line block ×3, first 2 shown]
	v_cndmask_b32_e64 v34, 1, 2, vcc_lo
	v_cmp_eq_u32_e32 vcc_lo, 0, v111
	v_add_nc_u32_e32 v49, v50, v111
	v_cmp_ne_u32_e64 s10, 0, v107
	s_delay_alu instid0(VALU_DEP_4)
	v_dual_mov_b32 v66, 0 :: v_dual_and_b32 v33, v34, v33
	v_cndmask_b32_e64 v35, 1, 2, vcc_lo
	v_cmp_eq_u32_e32 vcc_lo, 0, v110
	v_add_nc_u32_e32 v47, v49, v110
	v_cmp_ne_u32_e64 s7, 0, v106
	v_cmp_ne_u32_e64 s6, 0, v105
	v_and_b32_e32 v35, v33, v35
	v_cndmask_b32_e64 v36, 1, 2, vcc_lo
	v_cmp_eq_u32_e32 vcc_lo, 0, v109
	v_add_nc_u32_e32 v46, v47, v109
	s_waitcnt vmcnt(0)
	v_lshlrev_b64 v[33:34], 3, v[29:30]
	v_cmp_ne_u32_e64 s5, 0, v103
	v_and_b32_e32 v35, v35, v36
	v_cndmask_b32_e64 v37, 1, 2, vcc_lo
	v_cmp_eq_u32_e32 vcc_lo, 0, v108
	v_add_nc_u32_e32 v45, v46, v108
	v_cmp_ne_u32_e64 s4, 0, v102
	v_cmp_ne_u32_e64 s3, 0, v101
	v_and_b32_e32 v35, v35, v37
	v_cndmask_b32_e64 v36, 1, 2, vcc_lo
	v_cmp_eq_u32_e32 vcc_lo, 0, v107
	v_add_nc_u32_e32 v44, v45, v107
	v_cmp_ne_u32_e64 s2, 0, v100
	;; [unrolled: 6-line block ×3, first 2 shown]
	s_mov_b32 s16, -1
	v_and_b32_e32 v35, v35, v37
	v_cndmask_b32_e64 v36, 1, 2, vcc_lo
	v_cmp_eq_u32_e32 vcc_lo, 0, v105
	v_add_nc_u32_e32 v42, v43, v105
	s_delay_alu instid0(VALU_DEP_3) | instskip(SKIP_2) | instid1(VALU_DEP_4)
	v_and_b32_e32 v35, v35, v36
	v_cndmask_b32_e64 v37, 1, 2, vcc_lo
	v_cmp_eq_u32_e32 vcc_lo, 0, v103
	v_add_nc_u32_e32 v41, v42, v103
	s_delay_alu instid0(VALU_DEP_3) | instskip(SKIP_2) | instid1(VALU_DEP_4)
	v_and_b32_e32 v35, v35, v37
	v_cndmask_b32_e64 v36, 1, 2, vcc_lo
	v_cmp_eq_u32_e32 vcc_lo, 0, v102
	v_add_nc_u32_e32 v40, v41, v102
	s_delay_alu instid0(VALU_DEP_3) | instskip(SKIP_3) | instid1(VALU_DEP_3)
	v_and_b32_e32 v39, v35, v36
	v_cndmask_b32_e64 v37, 1, 2, vcc_lo
	v_cmp_eq_u32_e32 vcc_lo, 0, v101
	v_lshlrev_b64 v[35:36], 3, v[65:66]
	v_and_b32_e32 v37, v39, v37
	v_cndmask_b32_e64 v38, 1, 2, vcc_lo
	v_cmp_eq_u32_e32 vcc_lo, 0, v100
	v_add_nc_u32_e32 v39, v40, v101
	s_delay_alu instid0(VALU_DEP_3) | instskip(SKIP_3) | instid1(VALU_DEP_3)
	v_and_b32_e32 v54, v37, v38
	v_cndmask_b32_e64 v53, 1, 2, vcc_lo
	v_add_co_u32 v51, vcc_lo, s22, v33
	v_add_co_ci_u32_e32 v52, vcc_lo, s23, v34, vcc_lo
	v_and_b32_e32 v53, v54, v53
	s_delay_alu instid0(VALU_DEP_3) | instskip(NEXT) | instid1(VALU_DEP_3)
	v_add_co_u32 v51, vcc_lo, v51, v35
	v_add_co_ci_u32_e32 v52, vcc_lo, v52, v36, vcc_lo
	v_cmp_eq_u32_e32 vcc_lo, 0, v99
	v_add_nc_u32_e32 v38, v39, v100
	v_cndmask_b32_e64 v54, 1, 2, vcc_lo
	v_cmp_eq_u32_e32 vcc_lo, 0, v104
	s_delay_alu instid0(VALU_DEP_3) | instskip(NEXT) | instid1(VALU_DEP_3)
	v_add_nc_u32_e32 v37, v38, v99
	v_and_b32_e32 v53, v53, v54
	v_cndmask_b32_e64 v54, 1, 2, vcc_lo
	v_cmp_gt_u32_e32 vcc_lo, 0x100, v61
	s_delay_alu instid0(VALU_DEP_2) | instskip(NEXT) | instid1(VALU_DEP_1)
	v_and_b32_e32 v53, v53, v54
	v_cmp_gt_i16_e64 s15, 2, v53
	s_cbranch_vccz .LBB245_185
; %bb.179:
	s_delay_alu instid0(VALU_DEP_1)
	s_and_saveexec_b32 s16, s15
	s_cbranch_execz .LBB245_184
; %bb.180:
	s_mov_b32 s17, 0
	s_mov_b32 s15, exec_lo
	v_cmpx_ne_u16_e32 1, v53
	s_xor_b32 s15, exec_lo, s15
	s_cbranch_execnz .LBB245_217
; %bb.181:
	s_and_not1_saveexec_b32 s15, s15
	s_cbranch_execnz .LBB245_233
.LBB245_182:
	s_or_b32 exec_lo, exec_lo, s15
	s_delay_alu instid0(SALU_CYCLE_1)
	s_and_b32 exec_lo, exec_lo, s17
	s_cbranch_execz .LBB245_184
.LBB245_183:
	v_sub_nc_u32_e32 v54, v37, v65
	v_mov_b32_e32 v55, 0
	s_delay_alu instid0(VALU_DEP_1) | instskip(NEXT) | instid1(VALU_DEP_1)
	v_lshlrev_b64 v[54:55], 3, v[54:55]
	v_add_co_u32 v54, vcc_lo, v51, v54
	s_delay_alu instid0(VALU_DEP_2)
	v_add_co_ci_u32_e32 v55, vcc_lo, v52, v55, vcc_lo
	global_store_b64 v[54:55], v[57:58], off
.LBB245_184:
	s_or_b32 exec_lo, exec_lo, s16
	s_mov_b32 s16, 0
.LBB245_185:
	s_delay_alu instid0(SALU_CYCLE_1)
	s_and_b32 vcc_lo, exec_lo, s16
	s_cbranch_vccz .LBB245_195
; %bb.186:
	s_mov_b32 s15, exec_lo
	v_cmpx_gt_i16_e32 2, v53
	s_cbranch_execz .LBB245_191
; %bb.187:
	s_mov_b32 s17, 0
	s_mov_b32 s16, exec_lo
	v_cmpx_ne_u16_e32 1, v53
	s_xor_b32 s16, exec_lo, s16
	s_cbranch_execnz .LBB245_234
; %bb.188:
	s_and_not1_saveexec_b32 s0, s16
	s_cbranch_execnz .LBB245_250
.LBB245_189:
	s_or_b32 exec_lo, exec_lo, s0
	s_delay_alu instid0(SALU_CYCLE_1)
	s_and_b32 exec_lo, exec_lo, s17
	s_cbranch_execz .LBB245_191
.LBB245_190:
	v_sub_nc_u32_e32 v1, v37, v65
	s_delay_alu instid0(VALU_DEP_1)
	v_lshlrev_b32_e32 v1, 3, v1
	ds_store_b64 v1, v[57:58]
.LBB245_191:
	s_or_b32 exec_lo, exec_lo, s15
	s_delay_alu instid0(SALU_CYCLE_1)
	s_mov_b32 s1, exec_lo
	s_waitcnt lgkmcnt(0)
	s_waitcnt_vscnt null, 0x0
	s_barrier
	buffer_gl0_inv
	v_cmpx_lt_u32_e64 v0, v61
	s_cbranch_execz .LBB245_194
; %bb.192:
	v_dual_mov_b32 v2, 0 :: v_dual_lshlrev_b32 v3, 3, v0
	v_mov_b32_e32 v1, v0
	s_mov_b32 s2, 0
	.p2align	6
.LBB245_193:                            ; =>This Inner Loop Header: Depth=1
	ds_load_b64 v[4:5], v3
	v_lshlrev_b64 v[6:7], 3, v[1:2]
	v_add_nc_u32_e32 v1, 0x100, v1
	v_add_nc_u32_e32 v3, 0x800, v3
	s_delay_alu instid0(VALU_DEP_2) | instskip(NEXT) | instid1(VALU_DEP_4)
	v_cmp_ge_u32_e32 vcc_lo, v1, v61
	v_add_co_u32 v6, s0, v51, v6
	s_delay_alu instid0(VALU_DEP_1)
	v_add_co_ci_u32_e64 v7, s0, v52, v7, s0
	s_or_b32 s2, vcc_lo, s2
	s_waitcnt lgkmcnt(0)
	global_store_b64 v[6:7], v[4:5], off
	s_and_not1_b32 exec_lo, exec_lo, s2
	s_cbranch_execnz .LBB245_193
.LBB245_194:
	s_or_b32 exec_lo, exec_lo, s1
.LBB245_195:
	v_add_co_u32 v1, vcc_lo, v97, v31
	s_cmpk_lg_i32 s29, 0xf00
	v_add_co_ci_u32_e32 v2, vcc_lo, v98, v32, vcc_lo
	s_cselect_b32 s0, -1, 0
	v_cmp_eq_u32_e32 vcc_lo, 0, v0
	s_and_b32 s0, s28, s0
	v_cndmask_b32_e64 v8, 0, 1, s30
	v_mad_i32_i24 v5, v0, -15, s29
	v_cndmask_b32_e64 v4, 0, 1, s0
	s_mul_hi_u32 s0, s29, 0x88888889
	s_and_b32 s1, vcc_lo, s30
	s_lshr_b32 s0, s0, 3
	v_sub_nc_u32_e32 v3, v61, v8
	v_cndmask_b32_e64 v6, v113, 0, s1
	v_cmp_eq_u32_e32 vcc_lo, s0, v0
	v_cmp_ne_u32_e64 s0, 0, v5
	s_mov_b32 s16, -1
	s_waitcnt_vscnt null, 0x0
	s_barrier
	s_and_b32 vcc_lo, s28, vcc_lo
	v_add_nc_u32_e32 v3, v3, v4
	v_cndmask_b32_e64 v4, 1, v6, s0
	v_cmp_ne_u32_e64 s0, 1, v5
	buffer_gl0_inv
	v_cndmask_b32_e64 v7, 1, v112, s0
	v_cmp_ne_u32_e64 s0, 14, v5
	s_delay_alu instid0(VALU_DEP_1) | instskip(SKIP_1) | instid1(VALU_DEP_2)
	v_cndmask_b32_e64 v9, 1, v104, s0
	v_cmp_ne_u32_e64 s0, 2, v5
	v_cndmask_b32_e32 v12, v104, v9, vcc_lo
	s_delay_alu instid0(VALU_DEP_2) | instskip(SKIP_1) | instid1(VALU_DEP_2)
	v_cndmask_b32_e64 v10, 1, v111, s0
	v_cmp_ne_u32_e64 s0, 3, v5
	v_dual_cndmask_b32 v9, v6, v4 :: v_dual_cndmask_b32 v10, v111, v10
	s_delay_alu instid0(VALU_DEP_2) | instskip(SKIP_1) | instid1(VALU_DEP_3)
	v_cndmask_b32_e64 v11, 1, v110, s0
	v_cmp_ne_u32_e64 s0, 4, v5
	v_cmp_ne_u32_e64 s14, 0, v9
	s_delay_alu instid0(VALU_DEP_4) | instskip(NEXT) | instid1(VALU_DEP_3)
	v_cmp_ne_u32_e64 s12, 0, v10
	v_cndmask_b32_e64 v4, 1, v109, s0
	v_cmp_ne_u32_e64 s0, 5, v5
	s_delay_alu instid0(VALU_DEP_2) | instskip(NEXT) | instid1(VALU_DEP_2)
	v_dual_cndmask_b32 v13, v112, v7 :: v_dual_cndmask_b32 v18, v109, v4
	v_cndmask_b32_e64 v6, 1, v108, s0
	v_cmp_eq_u32_e64 s0, 0, v9
	s_delay_alu instid0(VALU_DEP_3) | instskip(NEXT) | instid1(VALU_DEP_4)
	v_cmp_ne_u32_e64 s13, 0, v13
	v_cmp_ne_u32_e64 s10, 0, v18
	s_delay_alu instid0(VALU_DEP_4) | instskip(NEXT) | instid1(VALU_DEP_4)
	v_cndmask_b32_e32 v19, v108, v6, vcc_lo
	v_cndmask_b32_e64 v7, 1, 2, s0
	v_cmp_eq_u32_e64 s0, 0, v13
	s_delay_alu instid0(VALU_DEP_1) | instskip(SKIP_1) | instid1(VALU_DEP_2)
	v_cndmask_b32_e64 v14, 1, 2, s0
	v_cmp_ne_u32_e64 s0, 6, v5
	v_and_b32_e32 v7, v14, v7
	s_delay_alu instid0(VALU_DEP_2) | instskip(SKIP_1) | instid1(VALU_DEP_2)
	v_cndmask_b32_e64 v15, 1, v107, s0
	v_cmp_eq_u32_e64 s0, 0, v10
	v_cndmask_b32_e32 v15, v107, v15, vcc_lo
	s_delay_alu instid0(VALU_DEP_2) | instskip(SKIP_1) | instid1(VALU_DEP_1)
	v_cndmask_b32_e64 v14, 1, 2, s0
	v_cmp_ne_u32_e64 s0, 7, v5
	v_cndmask_b32_e64 v16, 1, v106, s0
	v_cmp_ne_u32_e64 s0, 8, v5
	s_delay_alu instid0(VALU_DEP_2) | instskip(SKIP_1) | instid1(VALU_DEP_3)
	v_dual_cndmask_b32 v16, v106, v16 :: v_dual_and_b32 v7, v7, v14
	v_cndmask_b32_e32 v11, v110, v11, vcc_lo
	v_cndmask_b32_e64 v17, 1, v105, s0
	s_delay_alu instid0(VALU_DEP_3) | instskip(NEXT) | instid1(VALU_DEP_3)
	v_cmp_ne_u32_e64 s7, 0, v16
	v_cmp_eq_u32_e64 s0, 0, v11
	s_delay_alu instid0(VALU_DEP_3) | instskip(NEXT) | instid1(VALU_DEP_2)
	v_cndmask_b32_e32 v17, v105, v17, vcc_lo
	v_cndmask_b32_e64 v14, 1, 2, s0
	v_cmp_ne_u32_e64 s0, 9, v5
	s_delay_alu instid0(VALU_DEP_3) | instskip(NEXT) | instid1(VALU_DEP_3)
	v_cmp_ne_u32_e64 s6, 0, v17
	v_and_b32_e32 v6, v7, v14
	s_delay_alu instid0(VALU_DEP_3) | instskip(SKIP_2) | instid1(VALU_DEP_3)
	v_cndmask_b32_e64 v4, 1, v103, s0
	v_cmp_eq_u32_e64 s0, 0, v18
	v_cmp_ne_u32_e64 s11, 0, v11
	v_cndmask_b32_e32 v23, v103, v4, vcc_lo
	s_delay_alu instid0(VALU_DEP_3) | instskip(SKIP_1) | instid1(VALU_DEP_3)
	v_cndmask_b32_e64 v7, 1, 2, s0
	v_cmp_ne_u32_e64 s0, 10, v5
	v_cmp_ne_u32_e64 s5, 0, v23
	s_delay_alu instid0(VALU_DEP_3) | instskip(NEXT) | instid1(VALU_DEP_3)
	v_and_b32_e32 v6, v6, v7
	v_cndmask_b32_e64 v14, 1, v102, s0
	v_cmp_ne_u32_e64 s0, 12, v5
	v_cmp_ne_u32_e64 s9, 0, v19
	s_delay_alu instid0(VALU_DEP_3) | instskip(NEXT) | instid1(VALU_DEP_3)
	v_cndmask_b32_e32 v14, v102, v14, vcc_lo
	v_cndmask_b32_e64 v20, 1, v100, s0
	v_cmp_eq_u32_e64 s0, 0, v19
	s_delay_alu instid0(VALU_DEP_3) | instskip(NEXT) | instid1(VALU_DEP_3)
	v_cmp_ne_u32_e64 s4, 0, v14
	v_cndmask_b32_e32 v20, v100, v20, vcc_lo
	s_delay_alu instid0(VALU_DEP_3) | instskip(SKIP_1) | instid1(VALU_DEP_3)
	v_cndmask_b32_e64 v7, 1, 2, s0
	v_cmp_ne_u32_e64 s0, 13, v5
	v_cmp_ne_u32_e64 s2, 0, v20
	s_delay_alu instid0(VALU_DEP_2) | instskip(SKIP_1) | instid1(VALU_DEP_2)
	v_cndmask_b32_e64 v21, 1, v99, s0
	v_cmp_eq_u32_e64 s0, 0, v15
	v_dual_cndmask_b32 v21, v99, v21 :: v_dual_and_b32 v6, v6, v7
	s_delay_alu instid0(VALU_DEP_2) | instskip(SKIP_1) | instid1(VALU_DEP_3)
	v_cndmask_b32_e64 v7, 1, 2, s0
	v_cmp_ne_u32_e64 s0, 11, v5
	v_cmp_ne_u32_e64 s1, 0, v21
	s_delay_alu instid0(VALU_DEP_3) | instskip(NEXT) | instid1(VALU_DEP_3)
	v_and_b32_e32 v6, v6, v7
	v_cndmask_b32_e64 v5, 1, v101, s0
	v_cmp_eq_u32_e64 s0, 0, v16
	s_delay_alu instid0(VALU_DEP_2) | instskip(NEXT) | instid1(VALU_DEP_2)
	v_cndmask_b32_e32 v22, v101, v5, vcc_lo
	v_cndmask_b32_e64 v7, 1, 2, s0
	v_cmp_eq_u32_e32 vcc_lo, 0, v17
	v_cmp_ne_u32_e64 s8, 0, v15
	v_cmp_ne_u32_e64 s0, 0, v12
	;; [unrolled: 1-line block ×3, first 2 shown]
	v_and_b32_e32 v4, v6, v7
	v_cndmask_b32_e64 v5, 1, 2, vcc_lo
	v_add_co_u32 v6, vcc_lo, s24, v33
	v_add_co_ci_u32_e32 v7, vcc_lo, s25, v34, vcc_lo
	v_cmp_eq_u32_e32 vcc_lo, 0, v23
	s_delay_alu instid0(VALU_DEP_4)
	v_and_b32_e32 v24, v4, v5
	v_cndmask_b32_e64 v25, 1, 2, vcc_lo
	v_add_co_u32 v4, vcc_lo, v6, v35
	v_add_co_ci_u32_e32 v5, vcc_lo, v7, v36, vcc_lo
	v_lshlrev_b32_e32 v6, 3, v8
	v_cmp_eq_u32_e32 vcc_lo, 0, v14
	v_and_b32_e32 v7, v24, v25
	v_add_nc_u32_e32 v8, v65, v8
	v_cndmask_b32_e64 v24, 1, 2, vcc_lo
	v_add_co_u32 v6, vcc_lo, v6, v4
	v_add_co_ci_u32_e32 v25, vcc_lo, 0, v5, vcc_lo
	v_cmp_eq_u32_e32 vcc_lo, 0, v22
	s_delay_alu instid0(VALU_DEP_4) | instskip(SKIP_4) | instid1(VALU_DEP_4)
	v_and_b32_e32 v24, v7, v24
	v_cndmask_b32_e64 v26, 1, 2, vcc_lo
	v_add_co_u32 v6, vcc_lo, v6, -8
	v_add_co_ci_u32_e32 v7, vcc_lo, -1, v25, vcc_lo
	v_cmp_eq_u32_e32 vcc_lo, 0, v20
	v_and_b32_e32 v24, v24, v26
	v_cndmask_b32_e64 v25, 1, 2, vcc_lo
	v_cmp_eq_u32_e32 vcc_lo, 0, v21
	s_delay_alu instid0(VALU_DEP_2) | instskip(SKIP_2) | instid1(VALU_DEP_2)
	v_and_b32_e32 v9, v24, v25
	v_cndmask_b32_e64 v10, 1, 2, vcc_lo
	v_cmp_eq_u32_e32 vcc_lo, 0, v12
	v_and_b32_e32 v9, v9, v10
	v_cndmask_b32_e64 v10, 1, 2, vcc_lo
	v_cmp_gt_u32_e32 vcc_lo, 0x100, v3
	s_delay_alu instid0(VALU_DEP_2) | instskip(NEXT) | instid1(VALU_DEP_1)
	v_and_b32_e32 v9, v9, v10
	v_cmp_gt_i16_e64 s15, 2, v9
	s_cbranch_vccnz .LBB245_199
; %bb.196:
	s_and_b32 vcc_lo, exec_lo, s16
	s_cbranch_vccnz .LBB245_205
.LBB245_197:
	v_cmp_eq_u32_e32 vcc_lo, 0xff, v0
	s_and_b32 s0, vcc_lo, s28
	s_delay_alu instid0(SALU_CYCLE_1)
	s_and_saveexec_b32 s1, s0
	s_cbranch_execnz .LBB245_214
.LBB245_198:
	s_nop 0
	s_sendmsg sendmsg(MSG_DEALLOC_VGPRS)
	s_endpgm
.LBB245_199:
	s_delay_alu instid0(VALU_DEP_1)
	s_and_saveexec_b32 s16, s15
	s_cbranch_execz .LBB245_204
; %bb.200:
	s_mov_b32 s17, 0
	s_mov_b32 s15, exec_lo
	v_cmpx_ne_u16_e32 1, v9
	s_xor_b32 s15, exec_lo, s15
	s_cbranch_execnz .LBB245_251
; %bb.201:
	s_and_not1_saveexec_b32 s15, s15
	s_cbranch_execnz .LBB245_267
.LBB245_202:
	s_or_b32 exec_lo, exec_lo, s15
	s_delay_alu instid0(SALU_CYCLE_1)
	s_and_b32 exec_lo, exec_lo, s17
	s_cbranch_execz .LBB245_204
.LBB245_203:
	v_sub_nc_u32_e32 v10, v37, v8
	v_mov_b32_e32 v11, 0
	s_delay_alu instid0(VALU_DEP_1) | instskip(NEXT) | instid1(VALU_DEP_1)
	v_lshlrev_b64 v[10:11], 3, v[10:11]
	v_add_co_u32 v10, vcc_lo, v6, v10
	s_delay_alu instid0(VALU_DEP_2)
	v_add_co_ci_u32_e32 v11, vcc_lo, v7, v11, vcc_lo
	global_store_b64 v[10:11], v[1:2], off
.LBB245_204:
	s_or_b32 exec_lo, exec_lo, s16
	s_branch .LBB245_197
.LBB245_205:
	s_mov_b32 s15, exec_lo
	v_cmpx_gt_i16_e32 2, v9
	s_cbranch_execz .LBB245_210
; %bb.206:
	s_mov_b32 s17, 0
	s_mov_b32 s16, exec_lo
	v_cmpx_ne_u16_e32 1, v9
	s_xor_b32 s16, exec_lo, s16
	s_cbranch_execnz .LBB245_268
; %bb.207:
	s_and_not1_saveexec_b32 s0, s16
	s_cbranch_execnz .LBB245_284
.LBB245_208:
	s_or_b32 exec_lo, exec_lo, s0
	s_delay_alu instid0(SALU_CYCLE_1)
	s_and_b32 exec_lo, exec_lo, s17
	s_cbranch_execz .LBB245_210
.LBB245_209:
	v_sub_nc_u32_e32 v8, v37, v8
	s_delay_alu instid0(VALU_DEP_1)
	v_lshlrev_b32_e32 v8, 3, v8
	ds_store_b64 v8, v[1:2]
.LBB245_210:
	s_or_b32 exec_lo, exec_lo, s15
	s_delay_alu instid0(SALU_CYCLE_1)
	s_mov_b32 s1, exec_lo
	s_waitcnt lgkmcnt(0)
	s_waitcnt_vscnt null, 0x0
	s_barrier
	buffer_gl0_inv
	v_cmpx_lt_u32_e64 v0, v3
	s_cbranch_execz .LBB245_213
; %bb.211:
	v_dual_mov_b32 v1, v0 :: v_dual_lshlrev_b32 v8, 3, v0
	v_mov_b32_e32 v2, 0
	s_mov_b32 s2, 0
	.p2align	6
.LBB245_212:                            ; =>This Inner Loop Header: Depth=1
	ds_load_b64 v[9:10], v8
	v_lshlrev_b64 v[11:12], 3, v[1:2]
	v_add_nc_u32_e32 v1, 0x100, v1
	v_add_nc_u32_e32 v8, 0x800, v8
	s_delay_alu instid0(VALU_DEP_2) | instskip(NEXT) | instid1(VALU_DEP_4)
	v_cmp_ge_u32_e32 vcc_lo, v1, v3
	v_add_co_u32 v11, s0, v6, v11
	s_delay_alu instid0(VALU_DEP_1)
	v_add_co_ci_u32_e64 v12, s0, v7, v12, s0
	s_or_b32 s2, vcc_lo, s2
	s_waitcnt lgkmcnt(0)
	global_store_b64 v[11:12], v[9:10], off
	s_and_not1_b32 exec_lo, exec_lo, s2
	s_cbranch_execnz .LBB245_212
.LBB245_213:
	s_or_b32 exec_lo, exec_lo, s1
	v_cmp_eq_u32_e32 vcc_lo, 0xff, v0
	s_and_b32 s0, vcc_lo, s28
	s_delay_alu instid0(SALU_CYCLE_1)
	s_and_saveexec_b32 s1, s0
	s_cbranch_execz .LBB245_198
.LBB245_214:
	v_add_co_u32 v0, s0, v61, v65
	s_delay_alu instid0(VALU_DEP_1) | instskip(SKIP_1) | instid1(VALU_DEP_3)
	v_add_co_ci_u32_e64 v1, null, 0, 0, s0
	v_mov_b32_e32 v62, 0
	v_add_co_u32 v0, vcc_lo, v0, v29
	s_delay_alu instid0(VALU_DEP_3)
	v_add_co_ci_u32_e32 v1, vcc_lo, v1, v30, vcc_lo
	s_cmpk_lg_i32 s29, 0xf00
	global_store_b64 v62, v[0:1], s[26:27]
	s_cbranch_scc1 .LBB245_198
; %bb.215:
	v_lshlrev_b64 v[0:1], 3, v[61:62]
	s_delay_alu instid0(VALU_DEP_1) | instskip(NEXT) | instid1(VALU_DEP_2)
	v_add_co_u32 v0, vcc_lo, v4, v0
	v_add_co_ci_u32_e32 v1, vcc_lo, v5, v1, vcc_lo
	global_store_b64 v[0:1], v[63:64], off offset:-8
	s_nop 0
	s_sendmsg sendmsg(MSG_DEALLOC_VGPRS)
	s_endpgm
.LBB245_216:
	s_or_b32 exec_lo, exec_lo, s2
	v_mov_b32_e32 v113, s1
	s_and_saveexec_b32 s1, s34
	s_cbranch_execnz .LBB245_84
	s_branch .LBB245_85
.LBB245_217:
	s_and_saveexec_b32 s17, s12
	s_cbranch_execnz .LBB245_285
; %bb.218:
	s_or_b32 exec_lo, exec_lo, s17
	s_and_saveexec_b32 s17, s11
	s_cbranch_execnz .LBB245_286
.LBB245_219:
	s_or_b32 exec_lo, exec_lo, s17
	s_and_saveexec_b32 s17, s9
	s_cbranch_execnz .LBB245_287
.LBB245_220:
	s_or_b32 exec_lo, exec_lo, s17
	s_and_saveexec_b32 s17, s8
	s_cbranch_execnz .LBB245_288
.LBB245_221:
	s_or_b32 exec_lo, exec_lo, s17
	s_and_saveexec_b32 s17, s14
	s_cbranch_execnz .LBB245_289
.LBB245_222:
	s_or_b32 exec_lo, exec_lo, s17
	s_and_saveexec_b32 s17, s13
	s_cbranch_execnz .LBB245_290
.LBB245_223:
	s_or_b32 exec_lo, exec_lo, s17
	s_and_saveexec_b32 s17, s10
	s_cbranch_execnz .LBB245_291
.LBB245_224:
	s_or_b32 exec_lo, exec_lo, s17
	s_and_saveexec_b32 s17, s7
	s_cbranch_execnz .LBB245_292
.LBB245_225:
	s_or_b32 exec_lo, exec_lo, s17
	s_and_saveexec_b32 s17, s6
	s_cbranch_execnz .LBB245_293
.LBB245_226:
	s_or_b32 exec_lo, exec_lo, s17
	s_and_saveexec_b32 s17, s5
	s_cbranch_execnz .LBB245_294
.LBB245_227:
	s_or_b32 exec_lo, exec_lo, s17
	s_and_saveexec_b32 s17, s4
	s_cbranch_execnz .LBB245_295
.LBB245_228:
	s_or_b32 exec_lo, exec_lo, s17
	s_and_saveexec_b32 s17, s3
	s_cbranch_execnz .LBB245_296
.LBB245_229:
	s_or_b32 exec_lo, exec_lo, s17
	s_and_saveexec_b32 s17, s2
	s_cbranch_execnz .LBB245_297
.LBB245_230:
	s_or_b32 exec_lo, exec_lo, s17
	s_and_saveexec_b32 s17, s1
	s_cbranch_execz .LBB245_232
.LBB245_231:
	v_sub_nc_u32_e32 v54, v38, v65
	v_mov_b32_e32 v55, 0
	s_delay_alu instid0(VALU_DEP_1) | instskip(NEXT) | instid1(VALU_DEP_1)
	v_lshlrev_b64 v[54:55], 3, v[54:55]
	v_add_co_u32 v54, vcc_lo, v51, v54
	s_delay_alu instid0(VALU_DEP_2)
	v_add_co_ci_u32_e32 v55, vcc_lo, v52, v55, vcc_lo
	global_store_b64 v[54:55], v[3:4], off
.LBB245_232:
	s_or_b32 exec_lo, exec_lo, s17
	s_delay_alu instid0(SALU_CYCLE_1)
	s_and_b32 s17, s0, exec_lo
	s_and_not1_saveexec_b32 s15, s15
	s_cbranch_execz .LBB245_182
.LBB245_233:
	v_sub_nc_u32_e32 v54, v114, v65
	v_mov_b32_e32 v55, 0
	s_or_b32 s17, s17, exec_lo
	s_delay_alu instid0(VALU_DEP_1) | instskip(SKIP_1) | instid1(VALU_DEP_1)
	v_lshlrev_b64 v[59:60], 3, v[54:55]
	v_sub_nc_u32_e32 v54, v48, v65
	v_lshlrev_b64 v[95:96], 3, v[54:55]
	v_sub_nc_u32_e32 v54, v50, v65
	s_delay_alu instid0(VALU_DEP_4) | instskip(SKIP_1) | instid1(VALU_DEP_3)
	v_add_co_u32 v59, vcc_lo, v51, v59
	v_add_co_ci_u32_e32 v60, vcc_lo, v52, v60, vcc_lo
	v_lshlrev_b64 v[115:116], 3, v[54:55]
	v_sub_nc_u32_e32 v54, v49, v65
	v_add_co_u32 v95, vcc_lo, v51, v95
	v_add_co_ci_u32_e32 v96, vcc_lo, v52, v96, vcc_lo
	global_store_b64 v[59:60], v[25:26], off
	v_lshlrev_b64 v[59:60], 3, v[54:55]
	v_sub_nc_u32_e32 v54, v47, v65
	global_store_b64 v[95:96], v[27:28], off
	v_add_co_u32 v95, vcc_lo, v51, v115
	v_add_co_ci_u32_e32 v96, vcc_lo, v52, v116, vcc_lo
	v_lshlrev_b64 v[115:116], 3, v[54:55]
	v_sub_nc_u32_e32 v54, v46, v65
	v_add_co_u32 v59, vcc_lo, v51, v59
	v_add_co_ci_u32_e32 v60, vcc_lo, v52, v60, vcc_lo
	s_delay_alu instid0(VALU_DEP_3) | instskip(SKIP_3) | instid1(VALU_DEP_3)
	v_lshlrev_b64 v[117:118], 3, v[54:55]
	v_sub_nc_u32_e32 v54, v45, v65
	v_add_co_u32 v115, vcc_lo, v51, v115
	v_add_co_ci_u32_e32 v116, vcc_lo, v52, v116, vcc_lo
	v_lshlrev_b64 v[119:120], 3, v[54:55]
	v_sub_nc_u32_e32 v54, v44, v65
	v_add_co_u32 v117, vcc_lo, v51, v117
	v_add_co_ci_u32_e32 v118, vcc_lo, v52, v118, vcc_lo
	s_clause 0x3
	global_store_b64 v[95:96], v[21:22], off
	global_store_b64 v[59:60], v[23:24], off
	;; [unrolled: 1-line block ×4, first 2 shown]
	v_lshlrev_b64 v[59:60], 3, v[54:55]
	v_sub_nc_u32_e32 v54, v43, v65
	v_add_co_u32 v95, vcc_lo, v51, v119
	v_add_co_ci_u32_e32 v96, vcc_lo, v52, v120, vcc_lo
	s_delay_alu instid0(VALU_DEP_3) | instskip(SKIP_3) | instid1(VALU_DEP_3)
	v_lshlrev_b64 v[115:116], 3, v[54:55]
	v_sub_nc_u32_e32 v54, v42, v65
	v_add_co_u32 v59, vcc_lo, v51, v59
	v_add_co_ci_u32_e32 v60, vcc_lo, v52, v60, vcc_lo
	v_lshlrev_b64 v[117:118], 3, v[54:55]
	v_sub_nc_u32_e32 v54, v41, v65
	v_add_co_u32 v115, vcc_lo, v51, v115
	v_add_co_ci_u32_e32 v116, vcc_lo, v52, v116, vcc_lo
	s_delay_alu instid0(VALU_DEP_3)
	v_lshlrev_b64 v[119:120], 3, v[54:55]
	v_sub_nc_u32_e32 v54, v40, v65
	v_add_co_u32 v117, vcc_lo, v51, v117
	v_add_co_ci_u32_e32 v118, vcc_lo, v52, v118, vcc_lo
	s_clause 0x3
	global_store_b64 v[95:96], v[13:14], off
	global_store_b64 v[59:60], v[15:16], off
	;; [unrolled: 1-line block ×4, first 2 shown]
	v_lshlrev_b64 v[59:60], 3, v[54:55]
	v_sub_nc_u32_e32 v54, v39, v65
	v_add_co_u32 v95, vcc_lo, v51, v119
	v_add_co_ci_u32_e32 v96, vcc_lo, v52, v120, vcc_lo
	s_delay_alu instid0(VALU_DEP_3) | instskip(SKIP_3) | instid1(VALU_DEP_3)
	v_lshlrev_b64 v[115:116], 3, v[54:55]
	v_sub_nc_u32_e32 v54, v38, v65
	v_add_co_u32 v59, vcc_lo, v51, v59
	v_add_co_ci_u32_e32 v60, vcc_lo, v52, v60, vcc_lo
	v_lshlrev_b64 v[54:55], 3, v[54:55]
	v_add_co_u32 v115, vcc_lo, v51, v115
	v_add_co_ci_u32_e32 v116, vcc_lo, v52, v116, vcc_lo
	s_clause 0x2
	global_store_b64 v[95:96], v[5:6], off
	global_store_b64 v[59:60], v[7:8], off
	;; [unrolled: 1-line block ×3, first 2 shown]
	v_add_co_u32 v54, vcc_lo, v51, v54
	v_add_co_ci_u32_e32 v55, vcc_lo, v52, v55, vcc_lo
	global_store_b64 v[54:55], v[3:4], off
	s_or_b32 exec_lo, exec_lo, s15
	s_delay_alu instid0(SALU_CYCLE_1)
	s_and_b32 exec_lo, exec_lo, s17
	s_cbranch_execnz .LBB245_183
	s_branch .LBB245_184
.LBB245_234:
	s_and_saveexec_b32 s17, s12
	s_cbranch_execnz .LBB245_298
; %bb.235:
	s_or_b32 exec_lo, exec_lo, s17
	s_and_saveexec_b32 s12, s11
	s_cbranch_execnz .LBB245_299
.LBB245_236:
	s_or_b32 exec_lo, exec_lo, s12
	s_and_saveexec_b32 s11, s9
	s_cbranch_execnz .LBB245_300
.LBB245_237:
	s_or_b32 exec_lo, exec_lo, s11
	s_and_saveexec_b32 s9, s8
	s_cbranch_execnz .LBB245_301
.LBB245_238:
	s_or_b32 exec_lo, exec_lo, s9
	s_and_saveexec_b32 s8, s14
	s_cbranch_execnz .LBB245_302
.LBB245_239:
	s_or_b32 exec_lo, exec_lo, s8
	s_and_saveexec_b32 s8, s13
	s_cbranch_execnz .LBB245_303
.LBB245_240:
	s_or_b32 exec_lo, exec_lo, s8
	s_and_saveexec_b32 s8, s10
	s_cbranch_execnz .LBB245_304
.LBB245_241:
	s_or_b32 exec_lo, exec_lo, s8
	s_and_saveexec_b32 s8, s7
	s_cbranch_execnz .LBB245_305
.LBB245_242:
	s_or_b32 exec_lo, exec_lo, s8
	s_and_saveexec_b32 s7, s6
	s_cbranch_execnz .LBB245_306
.LBB245_243:
	s_or_b32 exec_lo, exec_lo, s7
	s_and_saveexec_b32 s6, s5
	s_cbranch_execnz .LBB245_307
.LBB245_244:
	s_or_b32 exec_lo, exec_lo, s6
	s_and_saveexec_b32 s5, s4
	s_cbranch_execnz .LBB245_308
.LBB245_245:
	s_or_b32 exec_lo, exec_lo, s5
	s_and_saveexec_b32 s4, s3
	s_cbranch_execnz .LBB245_309
.LBB245_246:
	s_or_b32 exec_lo, exec_lo, s4
	s_and_saveexec_b32 s3, s2
	s_cbranch_execnz .LBB245_310
.LBB245_247:
	s_or_b32 exec_lo, exec_lo, s3
	s_and_saveexec_b32 s2, s1
	s_cbranch_execz .LBB245_249
.LBB245_248:
	v_sub_nc_u32_e32 v1, v38, v65
	s_delay_alu instid0(VALU_DEP_1)
	v_lshlrev_b32_e32 v1, 3, v1
	ds_store_b64 v1, v[3:4]
.LBB245_249:
	s_or_b32 exec_lo, exec_lo, s2
	s_delay_alu instid0(SALU_CYCLE_1)
	s_and_b32 s17, s0, exec_lo
                                        ; implicit-def: $vgpr25_vgpr26
                                        ; implicit-def: $vgpr21_vgpr22
                                        ; implicit-def: $vgpr17_vgpr18
                                        ; implicit-def: $vgpr13_vgpr14
                                        ; implicit-def: $vgpr9_vgpr10
                                        ; implicit-def: $vgpr5_vgpr6
                                        ; implicit-def: $vgpr1_vgpr2
	s_and_not1_saveexec_b32 s0, s16
	s_cbranch_execz .LBB245_189
.LBB245_250:
	v_sub_nc_u32_e32 v53, v114, v65
	v_sub_nc_u32_e32 v54, v48, v65
	;; [unrolled: 1-line block ×4, first 2 shown]
	s_or_b32 s17, s17, exec_lo
	v_lshlrev_b32_e32 v53, 3, v53
	v_lshlrev_b32_e32 v54, 3, v54
	;; [unrolled: 1-line block ×4, first 2 shown]
	ds_store_b64 v53, v[25:26]
	ds_store_b64 v54, v[27:28]
	;; [unrolled: 1-line block ×3, first 2 shown]
	v_sub_nc_u32_e32 v21, v47, v65
	v_sub_nc_u32_e32 v22, v46, v65
	ds_store_b64 v56, v[23:24]
	v_sub_nc_u32_e32 v23, v45, v65
	v_sub_nc_u32_e32 v24, v44, v65
	v_lshlrev_b32_e32 v21, 3, v21
	v_sub_nc_u32_e32 v25, v43, v65
	v_lshlrev_b32_e32 v22, 3, v22
	v_lshlrev_b32_e32 v23, 3, v23
	;; [unrolled: 1-line block ×3, first 2 shown]
	ds_store_b64 v21, v[17:18]
	v_lshlrev_b32_e32 v17, 3, v25
	ds_store_b64 v22, v[19:20]
	ds_store_b64 v23, v[13:14]
	;; [unrolled: 1-line block ×3, first 2 shown]
	v_sub_nc_u32_e32 v13, v42, v65
	v_sub_nc_u32_e32 v15, v38, v65
	;; [unrolled: 1-line block ×3, first 2 shown]
	ds_store_b64 v17, v[9:10]
	v_sub_nc_u32_e32 v9, v41, v65
	v_lshlrev_b32_e32 v13, 3, v13
	v_sub_nc_u32_e32 v10, v40, v65
	v_lshlrev_b32_e32 v14, 3, v14
	s_delay_alu instid0(VALU_DEP_4)
	v_lshlrev_b32_e32 v9, 3, v9
	ds_store_b64 v13, v[11:12]
	v_lshlrev_b32_e32 v11, 3, v15
	v_lshlrev_b32_e32 v10, 3, v10
	ds_store_b64 v9, v[5:6]
	ds_store_b64 v10, v[7:8]
	;; [unrolled: 1-line block ×4, first 2 shown]
	s_or_b32 exec_lo, exec_lo, s0
	s_delay_alu instid0(SALU_CYCLE_1)
	s_and_b32 exec_lo, exec_lo, s17
	s_cbranch_execnz .LBB245_190
	s_branch .LBB245_191
.LBB245_251:
	s_and_saveexec_b32 s17, s14
	s_cbranch_execnz .LBB245_311
; %bb.252:
	s_or_b32 exec_lo, exec_lo, s17
	s_and_saveexec_b32 s17, s13
	s_cbranch_execnz .LBB245_312
.LBB245_253:
	s_or_b32 exec_lo, exec_lo, s17
	s_and_saveexec_b32 s17, s12
	s_cbranch_execnz .LBB245_313
.LBB245_254:
	s_or_b32 exec_lo, exec_lo, s17
	s_and_saveexec_b32 s17, s11
	s_cbranch_execnz .LBB245_314
.LBB245_255:
	s_or_b32 exec_lo, exec_lo, s17
	s_and_saveexec_b32 s17, s10
	s_cbranch_execnz .LBB245_315
.LBB245_256:
	s_or_b32 exec_lo, exec_lo, s17
	s_and_saveexec_b32 s17, s9
	s_cbranch_execnz .LBB245_316
.LBB245_257:
	s_or_b32 exec_lo, exec_lo, s17
	s_and_saveexec_b32 s17, s8
	s_cbranch_execnz .LBB245_317
.LBB245_258:
	s_or_b32 exec_lo, exec_lo, s17
	s_and_saveexec_b32 s17, s7
	s_cbranch_execnz .LBB245_318
.LBB245_259:
	s_or_b32 exec_lo, exec_lo, s17
	s_and_saveexec_b32 s17, s6
	s_cbranch_execnz .LBB245_319
.LBB245_260:
	s_or_b32 exec_lo, exec_lo, s17
	s_and_saveexec_b32 s17, s5
	s_cbranch_execnz .LBB245_320
.LBB245_261:
	s_or_b32 exec_lo, exec_lo, s17
	s_and_saveexec_b32 s17, s4
	s_cbranch_execnz .LBB245_321
.LBB245_262:
	s_or_b32 exec_lo, exec_lo, s17
	s_and_saveexec_b32 s17, s3
	s_cbranch_execnz .LBB245_322
.LBB245_263:
	s_or_b32 exec_lo, exec_lo, s17
	s_and_saveexec_b32 s17, s2
	s_cbranch_execnz .LBB245_323
.LBB245_264:
	s_or_b32 exec_lo, exec_lo, s17
	s_and_saveexec_b32 s17, s1
	s_cbranch_execz .LBB245_266
.LBB245_265:
	v_sub_nc_u32_e32 v10, v38, v8
	v_mov_b32_e32 v11, 0
	s_delay_alu instid0(VALU_DEP_1) | instskip(NEXT) | instid1(VALU_DEP_1)
	v_lshlrev_b64 v[10:11], 3, v[10:11]
	v_add_co_u32 v10, vcc_lo, v6, v10
	s_delay_alu instid0(VALU_DEP_2)
	v_add_co_ci_u32_e32 v11, vcc_lo, v7, v11, vcc_lo
	global_store_b64 v[10:11], v[91:92], off
.LBB245_266:
	s_or_b32 exec_lo, exec_lo, s17
	s_delay_alu instid0(SALU_CYCLE_1)
	s_and_b32 s17, s0, exec_lo
	s_and_not1_saveexec_b32 s15, s15
	s_cbranch_execz .LBB245_202
.LBB245_267:
	v_sub_nc_u32_e32 v10, v114, v8
	v_mov_b32_e32 v11, 0
	s_or_b32 s17, s17, exec_lo
	s_delay_alu instid0(VALU_DEP_1) | instskip(SKIP_1) | instid1(VALU_DEP_1)
	v_lshlrev_b64 v[12:13], 3, v[10:11]
	v_sub_nc_u32_e32 v10, v48, v8
	v_lshlrev_b64 v[14:15], 3, v[10:11]
	v_sub_nc_u32_e32 v10, v50, v8
	s_delay_alu instid0(VALU_DEP_4) | instskip(SKIP_1) | instid1(VALU_DEP_3)
	v_add_co_u32 v12, vcc_lo, v6, v12
	v_add_co_ci_u32_e32 v13, vcc_lo, v7, v13, vcc_lo
	v_lshlrev_b64 v[16:17], 3, v[10:11]
	v_sub_nc_u32_e32 v10, v49, v8
	v_add_co_u32 v14, vcc_lo, v6, v14
	v_add_co_ci_u32_e32 v15, vcc_lo, v7, v15, vcc_lo
	global_store_b64 v[12:13], v[77:78], off
	v_lshlrev_b64 v[12:13], 3, v[10:11]
	v_sub_nc_u32_e32 v10, v47, v8
	global_store_b64 v[14:15], v[75:76], off
	v_add_co_u32 v14, vcc_lo, v6, v16
	v_add_co_ci_u32_e32 v15, vcc_lo, v7, v17, vcc_lo
	v_lshlrev_b64 v[16:17], 3, v[10:11]
	v_sub_nc_u32_e32 v10, v46, v8
	v_add_co_u32 v12, vcc_lo, v6, v12
	v_add_co_ci_u32_e32 v13, vcc_lo, v7, v13, vcc_lo
	s_delay_alu instid0(VALU_DEP_3) | instskip(SKIP_3) | instid1(VALU_DEP_3)
	v_lshlrev_b64 v[18:19], 3, v[10:11]
	v_sub_nc_u32_e32 v10, v45, v8
	v_add_co_u32 v16, vcc_lo, v6, v16
	v_add_co_ci_u32_e32 v17, vcc_lo, v7, v17, vcc_lo
	v_lshlrev_b64 v[20:21], 3, v[10:11]
	v_sub_nc_u32_e32 v10, v44, v8
	v_add_co_u32 v18, vcc_lo, v6, v18
	v_add_co_ci_u32_e32 v19, vcc_lo, v7, v19, vcc_lo
	s_clause 0x3
	global_store_b64 v[14:15], v[81:82], off
	global_store_b64 v[12:13], v[85:86], off
	;; [unrolled: 1-line block ×4, first 2 shown]
	v_lshlrev_b64 v[12:13], 3, v[10:11]
	v_sub_nc_u32_e32 v10, v43, v8
	v_add_co_u32 v14, vcc_lo, v6, v20
	v_add_co_ci_u32_e32 v15, vcc_lo, v7, v21, vcc_lo
	s_delay_alu instid0(VALU_DEP_3) | instskip(SKIP_3) | instid1(VALU_DEP_3)
	v_lshlrev_b64 v[16:17], 3, v[10:11]
	v_sub_nc_u32_e32 v10, v42, v8
	v_add_co_u32 v12, vcc_lo, v6, v12
	v_add_co_ci_u32_e32 v13, vcc_lo, v7, v13, vcc_lo
	v_lshlrev_b64 v[18:19], 3, v[10:11]
	v_sub_nc_u32_e32 v10, v41, v8
	v_add_co_u32 v16, vcc_lo, v6, v16
	v_add_co_ci_u32_e32 v17, vcc_lo, v7, v17, vcc_lo
	s_delay_alu instid0(VALU_DEP_3)
	v_lshlrev_b64 v[20:21], 3, v[10:11]
	v_sub_nc_u32_e32 v10, v40, v8
	v_add_co_u32 v18, vcc_lo, v6, v18
	v_add_co_ci_u32_e32 v19, vcc_lo, v7, v19, vcc_lo
	s_clause 0x3
	global_store_b64 v[14:15], v[79:80], off
	global_store_b64 v[12:13], v[83:84], off
	global_store_b64 v[16:17], v[87:88], off
	global_store_b64 v[18:19], v[69:70], off
	v_lshlrev_b64 v[12:13], 3, v[10:11]
	v_sub_nc_u32_e32 v10, v39, v8
	v_add_co_u32 v14, vcc_lo, v6, v20
	v_add_co_ci_u32_e32 v15, vcc_lo, v7, v21, vcc_lo
	s_delay_alu instid0(VALU_DEP_3) | instskip(SKIP_3) | instid1(VALU_DEP_3)
	v_lshlrev_b64 v[16:17], 3, v[10:11]
	v_sub_nc_u32_e32 v10, v38, v8
	v_add_co_u32 v12, vcc_lo, v6, v12
	v_add_co_ci_u32_e32 v13, vcc_lo, v7, v13, vcc_lo
	v_lshlrev_b64 v[10:11], 3, v[10:11]
	v_add_co_u32 v16, vcc_lo, v6, v16
	v_add_co_ci_u32_e32 v17, vcc_lo, v7, v17, vcc_lo
	s_clause 0x2
	global_store_b64 v[14:15], v[73:74], off
	global_store_b64 v[12:13], v[89:90], off
	;; [unrolled: 1-line block ×3, first 2 shown]
	v_add_co_u32 v10, vcc_lo, v6, v10
	v_add_co_ci_u32_e32 v11, vcc_lo, v7, v11, vcc_lo
	global_store_b64 v[10:11], v[91:92], off
	s_or_b32 exec_lo, exec_lo, s15
	s_delay_alu instid0(SALU_CYCLE_1)
	s_and_b32 exec_lo, exec_lo, s17
	s_cbranch_execnz .LBB245_203
	s_branch .LBB245_204
.LBB245_268:
	s_and_saveexec_b32 s17, s14
	s_cbranch_execnz .LBB245_324
; %bb.269:
	s_or_b32 exec_lo, exec_lo, s17
	s_and_saveexec_b32 s14, s13
	s_cbranch_execnz .LBB245_325
.LBB245_270:
	s_or_b32 exec_lo, exec_lo, s14
	s_and_saveexec_b32 s13, s12
	s_cbranch_execnz .LBB245_326
.LBB245_271:
	s_or_b32 exec_lo, exec_lo, s13
	s_and_saveexec_b32 s12, s11
	s_cbranch_execnz .LBB245_327
.LBB245_272:
	s_or_b32 exec_lo, exec_lo, s12
	s_and_saveexec_b32 s11, s10
	s_cbranch_execnz .LBB245_328
.LBB245_273:
	s_or_b32 exec_lo, exec_lo, s11
	s_and_saveexec_b32 s10, s9
	s_cbranch_execnz .LBB245_329
.LBB245_274:
	s_or_b32 exec_lo, exec_lo, s10
	s_and_saveexec_b32 s9, s8
	s_cbranch_execnz .LBB245_330
.LBB245_275:
	s_or_b32 exec_lo, exec_lo, s9
	s_and_saveexec_b32 s8, s7
	s_cbranch_execnz .LBB245_331
.LBB245_276:
	s_or_b32 exec_lo, exec_lo, s8
	s_and_saveexec_b32 s7, s6
	s_cbranch_execnz .LBB245_332
.LBB245_277:
	s_or_b32 exec_lo, exec_lo, s7
	s_and_saveexec_b32 s6, s5
	s_cbranch_execnz .LBB245_333
.LBB245_278:
	s_or_b32 exec_lo, exec_lo, s6
	s_and_saveexec_b32 s5, s4
	s_cbranch_execnz .LBB245_334
.LBB245_279:
	s_or_b32 exec_lo, exec_lo, s5
	s_and_saveexec_b32 s4, s3
	s_cbranch_execnz .LBB245_335
.LBB245_280:
	s_or_b32 exec_lo, exec_lo, s4
	s_and_saveexec_b32 s3, s2
	s_cbranch_execnz .LBB245_336
.LBB245_281:
	s_or_b32 exec_lo, exec_lo, s3
	s_and_saveexec_b32 s2, s1
	s_cbranch_execz .LBB245_283
.LBB245_282:
	v_sub_nc_u32_e32 v9, v38, v8
	s_delay_alu instid0(VALU_DEP_1)
	v_lshlrev_b32_e32 v9, 3, v9
	ds_store_b64 v9, v[91:92]
.LBB245_283:
	s_or_b32 exec_lo, exec_lo, s2
	s_delay_alu instid0(SALU_CYCLE_1)
	s_and_b32 s17, s0, exec_lo
                                        ; implicit-def: $vgpr77_vgpr78
                                        ; implicit-def: $vgpr75_vgpr76
                                        ; implicit-def: $vgpr81_vgpr82
                                        ; implicit-def: $vgpr85_vgpr86
                                        ; implicit-def: $vgpr67_vgpr68
                                        ; implicit-def: $vgpr71_vgpr72
                                        ; implicit-def: $vgpr79_vgpr80
                                        ; implicit-def: $vgpr83_vgpr84
                                        ; implicit-def: $vgpr87_vgpr88
                                        ; implicit-def: $vgpr69_vgpr70
                                        ; implicit-def: $vgpr73_vgpr74
                                        ; implicit-def: $vgpr89_vgpr90
                                        ; implicit-def: $vgpr93_vgpr94
                                        ; implicit-def: $vgpr91_vgpr92
                                        ; implicit-def: $vgpr114
                                        ; implicit-def: $vgpr48
                                        ; implicit-def: $vgpr50
                                        ; implicit-def: $vgpr49
                                        ; implicit-def: $vgpr47
                                        ; implicit-def: $vgpr46
                                        ; implicit-def: $vgpr45
                                        ; implicit-def: $vgpr44
                                        ; implicit-def: $vgpr43
                                        ; implicit-def: $vgpr42
                                        ; implicit-def: $vgpr41
                                        ; implicit-def: $vgpr40
                                        ; implicit-def: $vgpr39
                                        ; implicit-def: $vgpr38
	s_and_not1_saveexec_b32 s0, s16
	s_cbranch_execz .LBB245_208
.LBB245_284:
	v_sub_nc_u32_e32 v9, v114, v8
	v_sub_nc_u32_e32 v10, v48, v8
	;; [unrolled: 1-line block ×5, first 2 shown]
	v_lshlrev_b32_e32 v9, 3, v9
	v_lshlrev_b32_e32 v10, 3, v10
	v_lshlrev_b32_e32 v11, 3, v11
	v_lshlrev_b32_e32 v12, 3, v12
	s_or_b32 s17, s17, exec_lo
	ds_store_b64 v9, v[77:78]
	ds_store_b64 v10, v[75:76]
	;; [unrolled: 1-line block ×3, first 2 shown]
	v_sub_nc_u32_e32 v9, v47, v8
	v_sub_nc_u32_e32 v10, v46, v8
	;; [unrolled: 1-line block ×3, first 2 shown]
	ds_store_b64 v12, v[85:86]
	v_sub_nc_u32_e32 v12, v44, v8
	v_lshlrev_b32_e32 v9, 3, v9
	v_lshlrev_b32_e32 v10, 3, v10
	;; [unrolled: 1-line block ×3, first 2 shown]
	s_delay_alu instid0(VALU_DEP_4)
	v_lshlrev_b32_e32 v12, 3, v12
	ds_store_b64 v9, v[67:68]
	v_lshlrev_b32_e32 v9, 3, v13
	ds_store_b64 v10, v[71:72]
	ds_store_b64 v11, v[79:80]
	;; [unrolled: 1-line block ×3, first 2 shown]
	v_sub_nc_u32_e32 v10, v42, v8
	v_sub_nc_u32_e32 v13, v38, v8
	;; [unrolled: 1-line block ×3, first 2 shown]
	ds_store_b64 v9, v[87:88]
	v_sub_nc_u32_e32 v9, v41, v8
	v_lshlrev_b32_e32 v10, 3, v10
	v_sub_nc_u32_e32 v12, v39, v8
	v_lshlrev_b32_e32 v11, 3, v11
	s_delay_alu instid0(VALU_DEP_4)
	v_lshlrev_b32_e32 v9, 3, v9
	ds_store_b64 v10, v[69:70]
	v_lshlrev_b32_e32 v10, 3, v13
	v_lshlrev_b32_e32 v12, 3, v12
	ds_store_b64 v9, v[73:74]
	ds_store_b64 v11, v[89:90]
	ds_store_b64 v12, v[93:94]
	ds_store_b64 v10, v[91:92]
	s_or_b32 exec_lo, exec_lo, s0
	s_delay_alu instid0(SALU_CYCLE_1)
	s_and_b32 exec_lo, exec_lo, s17
	s_cbranch_execnz .LBB245_209
	s_branch .LBB245_210
.LBB245_285:
	v_sub_nc_u32_e32 v54, v114, v65
	v_mov_b32_e32 v55, 0
	s_delay_alu instid0(VALU_DEP_1) | instskip(NEXT) | instid1(VALU_DEP_1)
	v_lshlrev_b64 v[54:55], 3, v[54:55]
	v_add_co_u32 v54, vcc_lo, v51, v54
	s_delay_alu instid0(VALU_DEP_2)
	v_add_co_ci_u32_e32 v55, vcc_lo, v52, v55, vcc_lo
	global_store_b64 v[54:55], v[25:26], off
	s_or_b32 exec_lo, exec_lo, s17
	s_and_saveexec_b32 s17, s11
	s_cbranch_execz .LBB245_219
.LBB245_286:
	v_sub_nc_u32_e32 v54, v48, v65
	v_mov_b32_e32 v55, 0
	s_delay_alu instid0(VALU_DEP_1) | instskip(NEXT) | instid1(VALU_DEP_1)
	v_lshlrev_b64 v[54:55], 3, v[54:55]
	v_add_co_u32 v54, vcc_lo, v51, v54
	s_delay_alu instid0(VALU_DEP_2)
	v_add_co_ci_u32_e32 v55, vcc_lo, v52, v55, vcc_lo
	global_store_b64 v[54:55], v[27:28], off
	s_or_b32 exec_lo, exec_lo, s17
	s_and_saveexec_b32 s17, s9
	s_cbranch_execz .LBB245_220
.LBB245_287:
	v_sub_nc_u32_e32 v54, v50, v65
	v_mov_b32_e32 v55, 0
	s_delay_alu instid0(VALU_DEP_1) | instskip(NEXT) | instid1(VALU_DEP_1)
	v_lshlrev_b64 v[54:55], 3, v[54:55]
	v_add_co_u32 v54, vcc_lo, v51, v54
	s_delay_alu instid0(VALU_DEP_2)
	v_add_co_ci_u32_e32 v55, vcc_lo, v52, v55, vcc_lo
	global_store_b64 v[54:55], v[21:22], off
	s_or_b32 exec_lo, exec_lo, s17
	s_and_saveexec_b32 s17, s8
	s_cbranch_execz .LBB245_221
.LBB245_288:
	v_sub_nc_u32_e32 v54, v49, v65
	v_mov_b32_e32 v55, 0
	s_delay_alu instid0(VALU_DEP_1) | instskip(NEXT) | instid1(VALU_DEP_1)
	v_lshlrev_b64 v[54:55], 3, v[54:55]
	v_add_co_u32 v54, vcc_lo, v51, v54
	s_delay_alu instid0(VALU_DEP_2)
	v_add_co_ci_u32_e32 v55, vcc_lo, v52, v55, vcc_lo
	global_store_b64 v[54:55], v[23:24], off
	s_or_b32 exec_lo, exec_lo, s17
	s_and_saveexec_b32 s17, s14
	s_cbranch_execz .LBB245_222
.LBB245_289:
	v_sub_nc_u32_e32 v54, v47, v65
	v_mov_b32_e32 v55, 0
	s_delay_alu instid0(VALU_DEP_1) | instskip(NEXT) | instid1(VALU_DEP_1)
	v_lshlrev_b64 v[54:55], 3, v[54:55]
	v_add_co_u32 v54, vcc_lo, v51, v54
	s_delay_alu instid0(VALU_DEP_2)
	v_add_co_ci_u32_e32 v55, vcc_lo, v52, v55, vcc_lo
	global_store_b64 v[54:55], v[17:18], off
	s_or_b32 exec_lo, exec_lo, s17
	s_and_saveexec_b32 s17, s13
	s_cbranch_execz .LBB245_223
.LBB245_290:
	v_sub_nc_u32_e32 v54, v46, v65
	v_mov_b32_e32 v55, 0
	s_delay_alu instid0(VALU_DEP_1) | instskip(NEXT) | instid1(VALU_DEP_1)
	v_lshlrev_b64 v[54:55], 3, v[54:55]
	v_add_co_u32 v54, vcc_lo, v51, v54
	s_delay_alu instid0(VALU_DEP_2)
	v_add_co_ci_u32_e32 v55, vcc_lo, v52, v55, vcc_lo
	global_store_b64 v[54:55], v[19:20], off
	s_or_b32 exec_lo, exec_lo, s17
	s_and_saveexec_b32 s17, s10
	s_cbranch_execz .LBB245_224
.LBB245_291:
	v_sub_nc_u32_e32 v54, v45, v65
	v_mov_b32_e32 v55, 0
	s_delay_alu instid0(VALU_DEP_1) | instskip(NEXT) | instid1(VALU_DEP_1)
	v_lshlrev_b64 v[54:55], 3, v[54:55]
	v_add_co_u32 v54, vcc_lo, v51, v54
	s_delay_alu instid0(VALU_DEP_2)
	v_add_co_ci_u32_e32 v55, vcc_lo, v52, v55, vcc_lo
	global_store_b64 v[54:55], v[13:14], off
	s_or_b32 exec_lo, exec_lo, s17
	s_and_saveexec_b32 s17, s7
	s_cbranch_execz .LBB245_225
.LBB245_292:
	v_sub_nc_u32_e32 v54, v44, v65
	v_mov_b32_e32 v55, 0
	s_delay_alu instid0(VALU_DEP_1) | instskip(NEXT) | instid1(VALU_DEP_1)
	v_lshlrev_b64 v[54:55], 3, v[54:55]
	v_add_co_u32 v54, vcc_lo, v51, v54
	s_delay_alu instid0(VALU_DEP_2)
	v_add_co_ci_u32_e32 v55, vcc_lo, v52, v55, vcc_lo
	global_store_b64 v[54:55], v[15:16], off
	s_or_b32 exec_lo, exec_lo, s17
	s_and_saveexec_b32 s17, s6
	s_cbranch_execz .LBB245_226
.LBB245_293:
	v_sub_nc_u32_e32 v54, v43, v65
	v_mov_b32_e32 v55, 0
	s_delay_alu instid0(VALU_DEP_1) | instskip(NEXT) | instid1(VALU_DEP_1)
	v_lshlrev_b64 v[54:55], 3, v[54:55]
	v_add_co_u32 v54, vcc_lo, v51, v54
	s_delay_alu instid0(VALU_DEP_2)
	v_add_co_ci_u32_e32 v55, vcc_lo, v52, v55, vcc_lo
	global_store_b64 v[54:55], v[9:10], off
	s_or_b32 exec_lo, exec_lo, s17
	s_and_saveexec_b32 s17, s5
	s_cbranch_execz .LBB245_227
.LBB245_294:
	v_sub_nc_u32_e32 v54, v42, v65
	v_mov_b32_e32 v55, 0
	s_delay_alu instid0(VALU_DEP_1) | instskip(NEXT) | instid1(VALU_DEP_1)
	v_lshlrev_b64 v[54:55], 3, v[54:55]
	v_add_co_u32 v54, vcc_lo, v51, v54
	s_delay_alu instid0(VALU_DEP_2)
	v_add_co_ci_u32_e32 v55, vcc_lo, v52, v55, vcc_lo
	global_store_b64 v[54:55], v[11:12], off
	s_or_b32 exec_lo, exec_lo, s17
	s_and_saveexec_b32 s17, s4
	s_cbranch_execz .LBB245_228
.LBB245_295:
	v_sub_nc_u32_e32 v54, v41, v65
	v_mov_b32_e32 v55, 0
	s_delay_alu instid0(VALU_DEP_1) | instskip(NEXT) | instid1(VALU_DEP_1)
	v_lshlrev_b64 v[54:55], 3, v[54:55]
	v_add_co_u32 v54, vcc_lo, v51, v54
	s_delay_alu instid0(VALU_DEP_2)
	v_add_co_ci_u32_e32 v55, vcc_lo, v52, v55, vcc_lo
	global_store_b64 v[54:55], v[5:6], off
	s_or_b32 exec_lo, exec_lo, s17
	s_and_saveexec_b32 s17, s3
	s_cbranch_execz .LBB245_229
.LBB245_296:
	v_sub_nc_u32_e32 v54, v40, v65
	v_mov_b32_e32 v55, 0
	s_delay_alu instid0(VALU_DEP_1) | instskip(NEXT) | instid1(VALU_DEP_1)
	v_lshlrev_b64 v[54:55], 3, v[54:55]
	v_add_co_u32 v54, vcc_lo, v51, v54
	s_delay_alu instid0(VALU_DEP_2)
	v_add_co_ci_u32_e32 v55, vcc_lo, v52, v55, vcc_lo
	global_store_b64 v[54:55], v[7:8], off
	s_or_b32 exec_lo, exec_lo, s17
	s_and_saveexec_b32 s17, s2
	s_cbranch_execz .LBB245_230
.LBB245_297:
	v_sub_nc_u32_e32 v54, v39, v65
	v_mov_b32_e32 v55, 0
	s_delay_alu instid0(VALU_DEP_1) | instskip(NEXT) | instid1(VALU_DEP_1)
	v_lshlrev_b64 v[54:55], 3, v[54:55]
	v_add_co_u32 v54, vcc_lo, v51, v54
	s_delay_alu instid0(VALU_DEP_2)
	v_add_co_ci_u32_e32 v55, vcc_lo, v52, v55, vcc_lo
	global_store_b64 v[54:55], v[1:2], off
	s_or_b32 exec_lo, exec_lo, s17
	s_and_saveexec_b32 s17, s1
	s_cbranch_execnz .LBB245_231
	s_branch .LBB245_232
.LBB245_298:
	v_sub_nc_u32_e32 v53, v114, v65
	s_delay_alu instid0(VALU_DEP_1)
	v_lshlrev_b32_e32 v53, 3, v53
	ds_store_b64 v53, v[25:26]
	s_or_b32 exec_lo, exec_lo, s17
	s_and_saveexec_b32 s12, s11
	s_cbranch_execz .LBB245_236
.LBB245_299:
	v_sub_nc_u32_e32 v25, v48, v65
	s_delay_alu instid0(VALU_DEP_1)
	v_lshlrev_b32_e32 v25, 3, v25
	ds_store_b64 v25, v[27:28]
	s_or_b32 exec_lo, exec_lo, s12
	s_and_saveexec_b32 s11, s9
	s_cbranch_execz .LBB245_237
.LBB245_300:
	v_sub_nc_u32_e32 v25, v50, v65
	s_delay_alu instid0(VALU_DEP_1)
	v_lshlrev_b32_e32 v25, 3, v25
	ds_store_b64 v25, v[21:22]
	s_or_b32 exec_lo, exec_lo, s11
	s_and_saveexec_b32 s9, s8
	s_cbranch_execz .LBB245_238
.LBB245_301:
	v_sub_nc_u32_e32 v21, v49, v65
	s_delay_alu instid0(VALU_DEP_1)
	v_lshlrev_b32_e32 v21, 3, v21
	ds_store_b64 v21, v[23:24]
	s_or_b32 exec_lo, exec_lo, s9
	s_and_saveexec_b32 s8, s14
	s_cbranch_execz .LBB245_239
.LBB245_302:
	v_sub_nc_u32_e32 v21, v47, v65
	s_delay_alu instid0(VALU_DEP_1)
	v_lshlrev_b32_e32 v21, 3, v21
	ds_store_b64 v21, v[17:18]
	s_or_b32 exec_lo, exec_lo, s8
	s_and_saveexec_b32 s8, s13
	s_cbranch_execz .LBB245_240
.LBB245_303:
	v_sub_nc_u32_e32 v17, v46, v65
	s_delay_alu instid0(VALU_DEP_1)
	v_lshlrev_b32_e32 v17, 3, v17
	ds_store_b64 v17, v[19:20]
	s_or_b32 exec_lo, exec_lo, s8
	s_and_saveexec_b32 s8, s10
	s_cbranch_execz .LBB245_241
.LBB245_304:
	v_sub_nc_u32_e32 v17, v45, v65
	s_delay_alu instid0(VALU_DEP_1)
	v_lshlrev_b32_e32 v17, 3, v17
	ds_store_b64 v17, v[13:14]
	s_or_b32 exec_lo, exec_lo, s8
	s_and_saveexec_b32 s8, s7
	s_cbranch_execz .LBB245_242
.LBB245_305:
	v_sub_nc_u32_e32 v13, v44, v65
	s_delay_alu instid0(VALU_DEP_1)
	v_lshlrev_b32_e32 v13, 3, v13
	ds_store_b64 v13, v[15:16]
	s_or_b32 exec_lo, exec_lo, s8
	s_and_saveexec_b32 s7, s6
	s_cbranch_execz .LBB245_243
.LBB245_306:
	v_sub_nc_u32_e32 v13, v43, v65
	s_delay_alu instid0(VALU_DEP_1)
	v_lshlrev_b32_e32 v13, 3, v13
	ds_store_b64 v13, v[9:10]
	s_or_b32 exec_lo, exec_lo, s7
	s_and_saveexec_b32 s6, s5
	s_cbranch_execz .LBB245_244
.LBB245_307:
	v_sub_nc_u32_e32 v9, v42, v65
	s_delay_alu instid0(VALU_DEP_1)
	v_lshlrev_b32_e32 v9, 3, v9
	ds_store_b64 v9, v[11:12]
	s_or_b32 exec_lo, exec_lo, s6
	s_and_saveexec_b32 s5, s4
	s_cbranch_execz .LBB245_245
.LBB245_308:
	v_sub_nc_u32_e32 v9, v41, v65
	s_delay_alu instid0(VALU_DEP_1)
	v_lshlrev_b32_e32 v9, 3, v9
	ds_store_b64 v9, v[5:6]
	s_or_b32 exec_lo, exec_lo, s5
	s_and_saveexec_b32 s4, s3
	s_cbranch_execz .LBB245_246
.LBB245_309:
	v_sub_nc_u32_e32 v5, v40, v65
	s_delay_alu instid0(VALU_DEP_1)
	v_lshlrev_b32_e32 v5, 3, v5
	ds_store_b64 v5, v[7:8]
	s_or_b32 exec_lo, exec_lo, s4
	s_and_saveexec_b32 s3, s2
	s_cbranch_execz .LBB245_247
.LBB245_310:
	v_sub_nc_u32_e32 v5, v39, v65
	s_delay_alu instid0(VALU_DEP_1)
	v_lshlrev_b32_e32 v5, 3, v5
	ds_store_b64 v5, v[1:2]
	s_or_b32 exec_lo, exec_lo, s3
	s_and_saveexec_b32 s2, s1
	s_cbranch_execnz .LBB245_248
	s_branch .LBB245_249
.LBB245_311:
	v_sub_nc_u32_e32 v10, v114, v8
	v_mov_b32_e32 v11, 0
	s_delay_alu instid0(VALU_DEP_1) | instskip(NEXT) | instid1(VALU_DEP_1)
	v_lshlrev_b64 v[10:11], 3, v[10:11]
	v_add_co_u32 v10, vcc_lo, v6, v10
	s_delay_alu instid0(VALU_DEP_2)
	v_add_co_ci_u32_e32 v11, vcc_lo, v7, v11, vcc_lo
	global_store_b64 v[10:11], v[77:78], off
	s_or_b32 exec_lo, exec_lo, s17
	s_and_saveexec_b32 s17, s13
	s_cbranch_execz .LBB245_253
.LBB245_312:
	v_sub_nc_u32_e32 v10, v48, v8
	v_mov_b32_e32 v11, 0
	s_delay_alu instid0(VALU_DEP_1) | instskip(NEXT) | instid1(VALU_DEP_1)
	v_lshlrev_b64 v[10:11], 3, v[10:11]
	v_add_co_u32 v10, vcc_lo, v6, v10
	s_delay_alu instid0(VALU_DEP_2)
	v_add_co_ci_u32_e32 v11, vcc_lo, v7, v11, vcc_lo
	global_store_b64 v[10:11], v[75:76], off
	s_or_b32 exec_lo, exec_lo, s17
	s_and_saveexec_b32 s17, s12
	s_cbranch_execz .LBB245_254
.LBB245_313:
	v_sub_nc_u32_e32 v10, v50, v8
	v_mov_b32_e32 v11, 0
	s_delay_alu instid0(VALU_DEP_1) | instskip(NEXT) | instid1(VALU_DEP_1)
	v_lshlrev_b64 v[10:11], 3, v[10:11]
	v_add_co_u32 v10, vcc_lo, v6, v10
	s_delay_alu instid0(VALU_DEP_2)
	v_add_co_ci_u32_e32 v11, vcc_lo, v7, v11, vcc_lo
	global_store_b64 v[10:11], v[81:82], off
	s_or_b32 exec_lo, exec_lo, s17
	s_and_saveexec_b32 s17, s11
	s_cbranch_execz .LBB245_255
.LBB245_314:
	v_sub_nc_u32_e32 v10, v49, v8
	v_mov_b32_e32 v11, 0
	s_delay_alu instid0(VALU_DEP_1) | instskip(NEXT) | instid1(VALU_DEP_1)
	v_lshlrev_b64 v[10:11], 3, v[10:11]
	v_add_co_u32 v10, vcc_lo, v6, v10
	s_delay_alu instid0(VALU_DEP_2)
	v_add_co_ci_u32_e32 v11, vcc_lo, v7, v11, vcc_lo
	global_store_b64 v[10:11], v[85:86], off
	s_or_b32 exec_lo, exec_lo, s17
	s_and_saveexec_b32 s17, s10
	s_cbranch_execz .LBB245_256
.LBB245_315:
	v_sub_nc_u32_e32 v10, v47, v8
	v_mov_b32_e32 v11, 0
	s_delay_alu instid0(VALU_DEP_1) | instskip(NEXT) | instid1(VALU_DEP_1)
	v_lshlrev_b64 v[10:11], 3, v[10:11]
	v_add_co_u32 v10, vcc_lo, v6, v10
	s_delay_alu instid0(VALU_DEP_2)
	v_add_co_ci_u32_e32 v11, vcc_lo, v7, v11, vcc_lo
	global_store_b64 v[10:11], v[67:68], off
	s_or_b32 exec_lo, exec_lo, s17
	s_and_saveexec_b32 s17, s9
	s_cbranch_execz .LBB245_257
.LBB245_316:
	v_sub_nc_u32_e32 v10, v46, v8
	v_mov_b32_e32 v11, 0
	s_delay_alu instid0(VALU_DEP_1) | instskip(NEXT) | instid1(VALU_DEP_1)
	v_lshlrev_b64 v[10:11], 3, v[10:11]
	v_add_co_u32 v10, vcc_lo, v6, v10
	s_delay_alu instid0(VALU_DEP_2)
	v_add_co_ci_u32_e32 v11, vcc_lo, v7, v11, vcc_lo
	global_store_b64 v[10:11], v[71:72], off
	s_or_b32 exec_lo, exec_lo, s17
	s_and_saveexec_b32 s17, s8
	s_cbranch_execz .LBB245_258
.LBB245_317:
	v_sub_nc_u32_e32 v10, v45, v8
	v_mov_b32_e32 v11, 0
	s_delay_alu instid0(VALU_DEP_1) | instskip(NEXT) | instid1(VALU_DEP_1)
	v_lshlrev_b64 v[10:11], 3, v[10:11]
	v_add_co_u32 v10, vcc_lo, v6, v10
	s_delay_alu instid0(VALU_DEP_2)
	v_add_co_ci_u32_e32 v11, vcc_lo, v7, v11, vcc_lo
	global_store_b64 v[10:11], v[79:80], off
	s_or_b32 exec_lo, exec_lo, s17
	s_and_saveexec_b32 s17, s7
	s_cbranch_execz .LBB245_259
.LBB245_318:
	v_sub_nc_u32_e32 v10, v44, v8
	v_mov_b32_e32 v11, 0
	s_delay_alu instid0(VALU_DEP_1) | instskip(NEXT) | instid1(VALU_DEP_1)
	v_lshlrev_b64 v[10:11], 3, v[10:11]
	v_add_co_u32 v10, vcc_lo, v6, v10
	s_delay_alu instid0(VALU_DEP_2)
	v_add_co_ci_u32_e32 v11, vcc_lo, v7, v11, vcc_lo
	global_store_b64 v[10:11], v[83:84], off
	s_or_b32 exec_lo, exec_lo, s17
	s_and_saveexec_b32 s17, s6
	s_cbranch_execz .LBB245_260
.LBB245_319:
	v_sub_nc_u32_e32 v10, v43, v8
	v_mov_b32_e32 v11, 0
	s_delay_alu instid0(VALU_DEP_1) | instskip(NEXT) | instid1(VALU_DEP_1)
	v_lshlrev_b64 v[10:11], 3, v[10:11]
	v_add_co_u32 v10, vcc_lo, v6, v10
	s_delay_alu instid0(VALU_DEP_2)
	v_add_co_ci_u32_e32 v11, vcc_lo, v7, v11, vcc_lo
	global_store_b64 v[10:11], v[87:88], off
	s_or_b32 exec_lo, exec_lo, s17
	s_and_saveexec_b32 s17, s5
	s_cbranch_execz .LBB245_261
.LBB245_320:
	v_sub_nc_u32_e32 v10, v42, v8
	v_mov_b32_e32 v11, 0
	s_delay_alu instid0(VALU_DEP_1) | instskip(NEXT) | instid1(VALU_DEP_1)
	v_lshlrev_b64 v[10:11], 3, v[10:11]
	v_add_co_u32 v10, vcc_lo, v6, v10
	s_delay_alu instid0(VALU_DEP_2)
	v_add_co_ci_u32_e32 v11, vcc_lo, v7, v11, vcc_lo
	global_store_b64 v[10:11], v[69:70], off
	s_or_b32 exec_lo, exec_lo, s17
	s_and_saveexec_b32 s17, s4
	s_cbranch_execz .LBB245_262
.LBB245_321:
	v_sub_nc_u32_e32 v10, v41, v8
	v_mov_b32_e32 v11, 0
	s_delay_alu instid0(VALU_DEP_1) | instskip(NEXT) | instid1(VALU_DEP_1)
	v_lshlrev_b64 v[10:11], 3, v[10:11]
	v_add_co_u32 v10, vcc_lo, v6, v10
	s_delay_alu instid0(VALU_DEP_2)
	v_add_co_ci_u32_e32 v11, vcc_lo, v7, v11, vcc_lo
	global_store_b64 v[10:11], v[73:74], off
	s_or_b32 exec_lo, exec_lo, s17
	s_and_saveexec_b32 s17, s3
	s_cbranch_execz .LBB245_263
.LBB245_322:
	v_sub_nc_u32_e32 v10, v40, v8
	v_mov_b32_e32 v11, 0
	s_delay_alu instid0(VALU_DEP_1) | instskip(NEXT) | instid1(VALU_DEP_1)
	v_lshlrev_b64 v[10:11], 3, v[10:11]
	v_add_co_u32 v10, vcc_lo, v6, v10
	s_delay_alu instid0(VALU_DEP_2)
	v_add_co_ci_u32_e32 v11, vcc_lo, v7, v11, vcc_lo
	global_store_b64 v[10:11], v[89:90], off
	s_or_b32 exec_lo, exec_lo, s17
	s_and_saveexec_b32 s17, s2
	s_cbranch_execz .LBB245_264
.LBB245_323:
	v_sub_nc_u32_e32 v10, v39, v8
	v_mov_b32_e32 v11, 0
	s_delay_alu instid0(VALU_DEP_1) | instskip(NEXT) | instid1(VALU_DEP_1)
	v_lshlrev_b64 v[10:11], 3, v[10:11]
	v_add_co_u32 v10, vcc_lo, v6, v10
	s_delay_alu instid0(VALU_DEP_2)
	v_add_co_ci_u32_e32 v11, vcc_lo, v7, v11, vcc_lo
	global_store_b64 v[10:11], v[93:94], off
	s_or_b32 exec_lo, exec_lo, s17
	s_and_saveexec_b32 s17, s1
	s_cbranch_execnz .LBB245_265
	s_branch .LBB245_266
.LBB245_324:
	v_sub_nc_u32_e32 v9, v114, v8
	s_delay_alu instid0(VALU_DEP_1)
	v_lshlrev_b32_e32 v9, 3, v9
	ds_store_b64 v9, v[77:78]
	s_or_b32 exec_lo, exec_lo, s17
	s_and_saveexec_b32 s14, s13
	s_cbranch_execz .LBB245_270
.LBB245_325:
	v_sub_nc_u32_e32 v9, v48, v8
	s_delay_alu instid0(VALU_DEP_1)
	v_lshlrev_b32_e32 v9, 3, v9
	ds_store_b64 v9, v[75:76]
	s_or_b32 exec_lo, exec_lo, s14
	s_and_saveexec_b32 s13, s12
	s_cbranch_execz .LBB245_271
.LBB245_326:
	v_sub_nc_u32_e32 v9, v50, v8
	s_delay_alu instid0(VALU_DEP_1)
	v_lshlrev_b32_e32 v9, 3, v9
	ds_store_b64 v9, v[81:82]
	s_or_b32 exec_lo, exec_lo, s13
	s_and_saveexec_b32 s12, s11
	s_cbranch_execz .LBB245_272
.LBB245_327:
	v_sub_nc_u32_e32 v9, v49, v8
	s_delay_alu instid0(VALU_DEP_1)
	v_lshlrev_b32_e32 v9, 3, v9
	ds_store_b64 v9, v[85:86]
	s_or_b32 exec_lo, exec_lo, s12
	s_and_saveexec_b32 s11, s10
	s_cbranch_execz .LBB245_273
.LBB245_328:
	v_sub_nc_u32_e32 v9, v47, v8
	s_delay_alu instid0(VALU_DEP_1)
	v_lshlrev_b32_e32 v9, 3, v9
	ds_store_b64 v9, v[67:68]
	s_or_b32 exec_lo, exec_lo, s11
	s_and_saveexec_b32 s10, s9
	s_cbranch_execz .LBB245_274
.LBB245_329:
	v_sub_nc_u32_e32 v9, v46, v8
	s_delay_alu instid0(VALU_DEP_1)
	v_lshlrev_b32_e32 v9, 3, v9
	ds_store_b64 v9, v[71:72]
	s_or_b32 exec_lo, exec_lo, s10
	s_and_saveexec_b32 s9, s8
	s_cbranch_execz .LBB245_275
.LBB245_330:
	v_sub_nc_u32_e32 v9, v45, v8
	s_delay_alu instid0(VALU_DEP_1)
	v_lshlrev_b32_e32 v9, 3, v9
	ds_store_b64 v9, v[79:80]
	s_or_b32 exec_lo, exec_lo, s9
	s_and_saveexec_b32 s8, s7
	s_cbranch_execz .LBB245_276
.LBB245_331:
	v_sub_nc_u32_e32 v9, v44, v8
	s_delay_alu instid0(VALU_DEP_1)
	v_lshlrev_b32_e32 v9, 3, v9
	ds_store_b64 v9, v[83:84]
	s_or_b32 exec_lo, exec_lo, s8
	s_and_saveexec_b32 s7, s6
	s_cbranch_execz .LBB245_277
.LBB245_332:
	v_sub_nc_u32_e32 v9, v43, v8
	s_delay_alu instid0(VALU_DEP_1)
	v_lshlrev_b32_e32 v9, 3, v9
	ds_store_b64 v9, v[87:88]
	s_or_b32 exec_lo, exec_lo, s7
	s_and_saveexec_b32 s6, s5
	s_cbranch_execz .LBB245_278
.LBB245_333:
	v_sub_nc_u32_e32 v9, v42, v8
	s_delay_alu instid0(VALU_DEP_1)
	v_lshlrev_b32_e32 v9, 3, v9
	ds_store_b64 v9, v[69:70]
	s_or_b32 exec_lo, exec_lo, s6
	s_and_saveexec_b32 s5, s4
	s_cbranch_execz .LBB245_279
.LBB245_334:
	v_sub_nc_u32_e32 v9, v41, v8
	s_delay_alu instid0(VALU_DEP_1)
	v_lshlrev_b32_e32 v9, 3, v9
	ds_store_b64 v9, v[73:74]
	s_or_b32 exec_lo, exec_lo, s5
	s_and_saveexec_b32 s4, s3
	s_cbranch_execz .LBB245_280
.LBB245_335:
	v_sub_nc_u32_e32 v9, v40, v8
	s_delay_alu instid0(VALU_DEP_1)
	v_lshlrev_b32_e32 v9, 3, v9
	ds_store_b64 v9, v[89:90]
	s_or_b32 exec_lo, exec_lo, s4
	s_and_saveexec_b32 s3, s2
	s_cbranch_execz .LBB245_281
.LBB245_336:
	v_sub_nc_u32_e32 v9, v39, v8
	s_delay_alu instid0(VALU_DEP_1)
	v_lshlrev_b32_e32 v9, 3, v9
	ds_store_b64 v9, v[93:94]
	s_or_b32 exec_lo, exec_lo, s3
	s_and_saveexec_b32 s2, s1
	s_cbranch_execnz .LBB245_282
	s_branch .LBB245_283
	.section	.rodata,"a",@progbits
	.p2align	6, 0x0
	.amdhsa_kernel _ZN7rocprim17ROCPRIM_400000_NS6detail17trampoline_kernelINS0_14default_configENS1_29reduce_by_key_config_selectorIyyN6thrust23THRUST_200600_302600_NS4plusIyEEEEZZNS1_33reduce_by_key_impl_wrapped_configILNS1_25lookback_scan_determinismE0ES3_S9_NS6_6detail15normal_iteratorINS6_10device_ptrIyEEEESG_SG_SG_PmS8_NS6_8equal_toIyEEEE10hipError_tPvRmT2_T3_mT4_T5_T6_T7_T8_P12ihipStream_tbENKUlT_T0_E_clISt17integral_constantIbLb0EES11_EEDaSW_SX_EUlSW_E_NS1_11comp_targetILNS1_3genE9ELNS1_11target_archE1100ELNS1_3gpuE3ELNS1_3repE0EEENS1_30default_config_static_selectorELNS0_4arch9wavefront6targetE0EEEvT1_
		.amdhsa_group_segment_fixed_size 30720
		.amdhsa_private_segment_fixed_size 0
		.amdhsa_kernarg_size 136
		.amdhsa_user_sgpr_count 15
		.amdhsa_user_sgpr_dispatch_ptr 0
		.amdhsa_user_sgpr_queue_ptr 0
		.amdhsa_user_sgpr_kernarg_segment_ptr 1
		.amdhsa_user_sgpr_dispatch_id 0
		.amdhsa_user_sgpr_private_segment_size 0
		.amdhsa_wavefront_size32 1
		.amdhsa_uses_dynamic_stack 0
		.amdhsa_enable_private_segment 0
		.amdhsa_system_sgpr_workgroup_id_x 1
		.amdhsa_system_sgpr_workgroup_id_y 0
		.amdhsa_system_sgpr_workgroup_id_z 0
		.amdhsa_system_sgpr_workgroup_info 0
		.amdhsa_system_vgpr_workitem_id 0
		.amdhsa_next_free_vgpr 121
		.amdhsa_next_free_sgpr 52
		.amdhsa_reserve_vcc 1
		.amdhsa_float_round_mode_32 0
		.amdhsa_float_round_mode_16_64 0
		.amdhsa_float_denorm_mode_32 3
		.amdhsa_float_denorm_mode_16_64 3
		.amdhsa_dx10_clamp 1
		.amdhsa_ieee_mode 1
		.amdhsa_fp16_overflow 0
		.amdhsa_workgroup_processor_mode 1
		.amdhsa_memory_ordered 1
		.amdhsa_forward_progress 0
		.amdhsa_shared_vgpr_count 0
		.amdhsa_exception_fp_ieee_invalid_op 0
		.amdhsa_exception_fp_denorm_src 0
		.amdhsa_exception_fp_ieee_div_zero 0
		.amdhsa_exception_fp_ieee_overflow 0
		.amdhsa_exception_fp_ieee_underflow 0
		.amdhsa_exception_fp_ieee_inexact 0
		.amdhsa_exception_int_div_zero 0
	.end_amdhsa_kernel
	.section	.text._ZN7rocprim17ROCPRIM_400000_NS6detail17trampoline_kernelINS0_14default_configENS1_29reduce_by_key_config_selectorIyyN6thrust23THRUST_200600_302600_NS4plusIyEEEEZZNS1_33reduce_by_key_impl_wrapped_configILNS1_25lookback_scan_determinismE0ES3_S9_NS6_6detail15normal_iteratorINS6_10device_ptrIyEEEESG_SG_SG_PmS8_NS6_8equal_toIyEEEE10hipError_tPvRmT2_T3_mT4_T5_T6_T7_T8_P12ihipStream_tbENKUlT_T0_E_clISt17integral_constantIbLb0EES11_EEDaSW_SX_EUlSW_E_NS1_11comp_targetILNS1_3genE9ELNS1_11target_archE1100ELNS1_3gpuE3ELNS1_3repE0EEENS1_30default_config_static_selectorELNS0_4arch9wavefront6targetE0EEEvT1_,"axG",@progbits,_ZN7rocprim17ROCPRIM_400000_NS6detail17trampoline_kernelINS0_14default_configENS1_29reduce_by_key_config_selectorIyyN6thrust23THRUST_200600_302600_NS4plusIyEEEEZZNS1_33reduce_by_key_impl_wrapped_configILNS1_25lookback_scan_determinismE0ES3_S9_NS6_6detail15normal_iteratorINS6_10device_ptrIyEEEESG_SG_SG_PmS8_NS6_8equal_toIyEEEE10hipError_tPvRmT2_T3_mT4_T5_T6_T7_T8_P12ihipStream_tbENKUlT_T0_E_clISt17integral_constantIbLb0EES11_EEDaSW_SX_EUlSW_E_NS1_11comp_targetILNS1_3genE9ELNS1_11target_archE1100ELNS1_3gpuE3ELNS1_3repE0EEENS1_30default_config_static_selectorELNS0_4arch9wavefront6targetE0EEEvT1_,comdat
.Lfunc_end245:
	.size	_ZN7rocprim17ROCPRIM_400000_NS6detail17trampoline_kernelINS0_14default_configENS1_29reduce_by_key_config_selectorIyyN6thrust23THRUST_200600_302600_NS4plusIyEEEEZZNS1_33reduce_by_key_impl_wrapped_configILNS1_25lookback_scan_determinismE0ES3_S9_NS6_6detail15normal_iteratorINS6_10device_ptrIyEEEESG_SG_SG_PmS8_NS6_8equal_toIyEEEE10hipError_tPvRmT2_T3_mT4_T5_T6_T7_T8_P12ihipStream_tbENKUlT_T0_E_clISt17integral_constantIbLb0EES11_EEDaSW_SX_EUlSW_E_NS1_11comp_targetILNS1_3genE9ELNS1_11target_archE1100ELNS1_3gpuE3ELNS1_3repE0EEENS1_30default_config_static_selectorELNS0_4arch9wavefront6targetE0EEEvT1_, .Lfunc_end245-_ZN7rocprim17ROCPRIM_400000_NS6detail17trampoline_kernelINS0_14default_configENS1_29reduce_by_key_config_selectorIyyN6thrust23THRUST_200600_302600_NS4plusIyEEEEZZNS1_33reduce_by_key_impl_wrapped_configILNS1_25lookback_scan_determinismE0ES3_S9_NS6_6detail15normal_iteratorINS6_10device_ptrIyEEEESG_SG_SG_PmS8_NS6_8equal_toIyEEEE10hipError_tPvRmT2_T3_mT4_T5_T6_T7_T8_P12ihipStream_tbENKUlT_T0_E_clISt17integral_constantIbLb0EES11_EEDaSW_SX_EUlSW_E_NS1_11comp_targetILNS1_3genE9ELNS1_11target_archE1100ELNS1_3gpuE3ELNS1_3repE0EEENS1_30default_config_static_selectorELNS0_4arch9wavefront6targetE0EEEvT1_
                                        ; -- End function
	.section	.AMDGPU.csdata,"",@progbits
; Kernel info:
; codeLenInByte = 19000
; NumSgprs: 54
; NumVgprs: 121
; ScratchSize: 0
; MemoryBound: 0
; FloatMode: 240
; IeeeMode: 1
; LDSByteSize: 30720 bytes/workgroup (compile time only)
; SGPRBlocks: 6
; VGPRBlocks: 15
; NumSGPRsForWavesPerEU: 54
; NumVGPRsForWavesPerEU: 121
; Occupancy: 8
; WaveLimiterHint : 1
; COMPUTE_PGM_RSRC2:SCRATCH_EN: 0
; COMPUTE_PGM_RSRC2:USER_SGPR: 15
; COMPUTE_PGM_RSRC2:TRAP_HANDLER: 0
; COMPUTE_PGM_RSRC2:TGID_X_EN: 1
; COMPUTE_PGM_RSRC2:TGID_Y_EN: 0
; COMPUTE_PGM_RSRC2:TGID_Z_EN: 0
; COMPUTE_PGM_RSRC2:TIDIG_COMP_CNT: 0
	.section	.text._ZN7rocprim17ROCPRIM_400000_NS6detail17trampoline_kernelINS0_14default_configENS1_29reduce_by_key_config_selectorIyyN6thrust23THRUST_200600_302600_NS4plusIyEEEEZZNS1_33reduce_by_key_impl_wrapped_configILNS1_25lookback_scan_determinismE0ES3_S9_NS6_6detail15normal_iteratorINS6_10device_ptrIyEEEESG_SG_SG_PmS8_NS6_8equal_toIyEEEE10hipError_tPvRmT2_T3_mT4_T5_T6_T7_T8_P12ihipStream_tbENKUlT_T0_E_clISt17integral_constantIbLb0EES11_EEDaSW_SX_EUlSW_E_NS1_11comp_targetILNS1_3genE8ELNS1_11target_archE1030ELNS1_3gpuE2ELNS1_3repE0EEENS1_30default_config_static_selectorELNS0_4arch9wavefront6targetE0EEEvT1_,"axG",@progbits,_ZN7rocprim17ROCPRIM_400000_NS6detail17trampoline_kernelINS0_14default_configENS1_29reduce_by_key_config_selectorIyyN6thrust23THRUST_200600_302600_NS4plusIyEEEEZZNS1_33reduce_by_key_impl_wrapped_configILNS1_25lookback_scan_determinismE0ES3_S9_NS6_6detail15normal_iteratorINS6_10device_ptrIyEEEESG_SG_SG_PmS8_NS6_8equal_toIyEEEE10hipError_tPvRmT2_T3_mT4_T5_T6_T7_T8_P12ihipStream_tbENKUlT_T0_E_clISt17integral_constantIbLb0EES11_EEDaSW_SX_EUlSW_E_NS1_11comp_targetILNS1_3genE8ELNS1_11target_archE1030ELNS1_3gpuE2ELNS1_3repE0EEENS1_30default_config_static_selectorELNS0_4arch9wavefront6targetE0EEEvT1_,comdat
	.protected	_ZN7rocprim17ROCPRIM_400000_NS6detail17trampoline_kernelINS0_14default_configENS1_29reduce_by_key_config_selectorIyyN6thrust23THRUST_200600_302600_NS4plusIyEEEEZZNS1_33reduce_by_key_impl_wrapped_configILNS1_25lookback_scan_determinismE0ES3_S9_NS6_6detail15normal_iteratorINS6_10device_ptrIyEEEESG_SG_SG_PmS8_NS6_8equal_toIyEEEE10hipError_tPvRmT2_T3_mT4_T5_T6_T7_T8_P12ihipStream_tbENKUlT_T0_E_clISt17integral_constantIbLb0EES11_EEDaSW_SX_EUlSW_E_NS1_11comp_targetILNS1_3genE8ELNS1_11target_archE1030ELNS1_3gpuE2ELNS1_3repE0EEENS1_30default_config_static_selectorELNS0_4arch9wavefront6targetE0EEEvT1_ ; -- Begin function _ZN7rocprim17ROCPRIM_400000_NS6detail17trampoline_kernelINS0_14default_configENS1_29reduce_by_key_config_selectorIyyN6thrust23THRUST_200600_302600_NS4plusIyEEEEZZNS1_33reduce_by_key_impl_wrapped_configILNS1_25lookback_scan_determinismE0ES3_S9_NS6_6detail15normal_iteratorINS6_10device_ptrIyEEEESG_SG_SG_PmS8_NS6_8equal_toIyEEEE10hipError_tPvRmT2_T3_mT4_T5_T6_T7_T8_P12ihipStream_tbENKUlT_T0_E_clISt17integral_constantIbLb0EES11_EEDaSW_SX_EUlSW_E_NS1_11comp_targetILNS1_3genE8ELNS1_11target_archE1030ELNS1_3gpuE2ELNS1_3repE0EEENS1_30default_config_static_selectorELNS0_4arch9wavefront6targetE0EEEvT1_
	.globl	_ZN7rocprim17ROCPRIM_400000_NS6detail17trampoline_kernelINS0_14default_configENS1_29reduce_by_key_config_selectorIyyN6thrust23THRUST_200600_302600_NS4plusIyEEEEZZNS1_33reduce_by_key_impl_wrapped_configILNS1_25lookback_scan_determinismE0ES3_S9_NS6_6detail15normal_iteratorINS6_10device_ptrIyEEEESG_SG_SG_PmS8_NS6_8equal_toIyEEEE10hipError_tPvRmT2_T3_mT4_T5_T6_T7_T8_P12ihipStream_tbENKUlT_T0_E_clISt17integral_constantIbLb0EES11_EEDaSW_SX_EUlSW_E_NS1_11comp_targetILNS1_3genE8ELNS1_11target_archE1030ELNS1_3gpuE2ELNS1_3repE0EEENS1_30default_config_static_selectorELNS0_4arch9wavefront6targetE0EEEvT1_
	.p2align	8
	.type	_ZN7rocprim17ROCPRIM_400000_NS6detail17trampoline_kernelINS0_14default_configENS1_29reduce_by_key_config_selectorIyyN6thrust23THRUST_200600_302600_NS4plusIyEEEEZZNS1_33reduce_by_key_impl_wrapped_configILNS1_25lookback_scan_determinismE0ES3_S9_NS6_6detail15normal_iteratorINS6_10device_ptrIyEEEESG_SG_SG_PmS8_NS6_8equal_toIyEEEE10hipError_tPvRmT2_T3_mT4_T5_T6_T7_T8_P12ihipStream_tbENKUlT_T0_E_clISt17integral_constantIbLb0EES11_EEDaSW_SX_EUlSW_E_NS1_11comp_targetILNS1_3genE8ELNS1_11target_archE1030ELNS1_3gpuE2ELNS1_3repE0EEENS1_30default_config_static_selectorELNS0_4arch9wavefront6targetE0EEEvT1_,@function
_ZN7rocprim17ROCPRIM_400000_NS6detail17trampoline_kernelINS0_14default_configENS1_29reduce_by_key_config_selectorIyyN6thrust23THRUST_200600_302600_NS4plusIyEEEEZZNS1_33reduce_by_key_impl_wrapped_configILNS1_25lookback_scan_determinismE0ES3_S9_NS6_6detail15normal_iteratorINS6_10device_ptrIyEEEESG_SG_SG_PmS8_NS6_8equal_toIyEEEE10hipError_tPvRmT2_T3_mT4_T5_T6_T7_T8_P12ihipStream_tbENKUlT_T0_E_clISt17integral_constantIbLb0EES11_EEDaSW_SX_EUlSW_E_NS1_11comp_targetILNS1_3genE8ELNS1_11target_archE1030ELNS1_3gpuE2ELNS1_3repE0EEENS1_30default_config_static_selectorELNS0_4arch9wavefront6targetE0EEEvT1_: ; @_ZN7rocprim17ROCPRIM_400000_NS6detail17trampoline_kernelINS0_14default_configENS1_29reduce_by_key_config_selectorIyyN6thrust23THRUST_200600_302600_NS4plusIyEEEEZZNS1_33reduce_by_key_impl_wrapped_configILNS1_25lookback_scan_determinismE0ES3_S9_NS6_6detail15normal_iteratorINS6_10device_ptrIyEEEESG_SG_SG_PmS8_NS6_8equal_toIyEEEE10hipError_tPvRmT2_T3_mT4_T5_T6_T7_T8_P12ihipStream_tbENKUlT_T0_E_clISt17integral_constantIbLb0EES11_EEDaSW_SX_EUlSW_E_NS1_11comp_targetILNS1_3genE8ELNS1_11target_archE1030ELNS1_3gpuE2ELNS1_3repE0EEENS1_30default_config_static_selectorELNS0_4arch9wavefront6targetE0EEEvT1_
; %bb.0:
	.section	.rodata,"a",@progbits
	.p2align	6, 0x0
	.amdhsa_kernel _ZN7rocprim17ROCPRIM_400000_NS6detail17trampoline_kernelINS0_14default_configENS1_29reduce_by_key_config_selectorIyyN6thrust23THRUST_200600_302600_NS4plusIyEEEEZZNS1_33reduce_by_key_impl_wrapped_configILNS1_25lookback_scan_determinismE0ES3_S9_NS6_6detail15normal_iteratorINS6_10device_ptrIyEEEESG_SG_SG_PmS8_NS6_8equal_toIyEEEE10hipError_tPvRmT2_T3_mT4_T5_T6_T7_T8_P12ihipStream_tbENKUlT_T0_E_clISt17integral_constantIbLb0EES11_EEDaSW_SX_EUlSW_E_NS1_11comp_targetILNS1_3genE8ELNS1_11target_archE1030ELNS1_3gpuE2ELNS1_3repE0EEENS1_30default_config_static_selectorELNS0_4arch9wavefront6targetE0EEEvT1_
		.amdhsa_group_segment_fixed_size 0
		.amdhsa_private_segment_fixed_size 0
		.amdhsa_kernarg_size 136
		.amdhsa_user_sgpr_count 15
		.amdhsa_user_sgpr_dispatch_ptr 0
		.amdhsa_user_sgpr_queue_ptr 0
		.amdhsa_user_sgpr_kernarg_segment_ptr 1
		.amdhsa_user_sgpr_dispatch_id 0
		.amdhsa_user_sgpr_private_segment_size 0
		.amdhsa_wavefront_size32 1
		.amdhsa_uses_dynamic_stack 0
		.amdhsa_enable_private_segment 0
		.amdhsa_system_sgpr_workgroup_id_x 1
		.amdhsa_system_sgpr_workgroup_id_y 0
		.amdhsa_system_sgpr_workgroup_id_z 0
		.amdhsa_system_sgpr_workgroup_info 0
		.amdhsa_system_vgpr_workitem_id 0
		.amdhsa_next_free_vgpr 1
		.amdhsa_next_free_sgpr 1
		.amdhsa_reserve_vcc 0
		.amdhsa_float_round_mode_32 0
		.amdhsa_float_round_mode_16_64 0
		.amdhsa_float_denorm_mode_32 3
		.amdhsa_float_denorm_mode_16_64 3
		.amdhsa_dx10_clamp 1
		.amdhsa_ieee_mode 1
		.amdhsa_fp16_overflow 0
		.amdhsa_workgroup_processor_mode 1
		.amdhsa_memory_ordered 1
		.amdhsa_forward_progress 0
		.amdhsa_shared_vgpr_count 0
		.amdhsa_exception_fp_ieee_invalid_op 0
		.amdhsa_exception_fp_denorm_src 0
		.amdhsa_exception_fp_ieee_div_zero 0
		.amdhsa_exception_fp_ieee_overflow 0
		.amdhsa_exception_fp_ieee_underflow 0
		.amdhsa_exception_fp_ieee_inexact 0
		.amdhsa_exception_int_div_zero 0
	.end_amdhsa_kernel
	.section	.text._ZN7rocprim17ROCPRIM_400000_NS6detail17trampoline_kernelINS0_14default_configENS1_29reduce_by_key_config_selectorIyyN6thrust23THRUST_200600_302600_NS4plusIyEEEEZZNS1_33reduce_by_key_impl_wrapped_configILNS1_25lookback_scan_determinismE0ES3_S9_NS6_6detail15normal_iteratorINS6_10device_ptrIyEEEESG_SG_SG_PmS8_NS6_8equal_toIyEEEE10hipError_tPvRmT2_T3_mT4_T5_T6_T7_T8_P12ihipStream_tbENKUlT_T0_E_clISt17integral_constantIbLb0EES11_EEDaSW_SX_EUlSW_E_NS1_11comp_targetILNS1_3genE8ELNS1_11target_archE1030ELNS1_3gpuE2ELNS1_3repE0EEENS1_30default_config_static_selectorELNS0_4arch9wavefront6targetE0EEEvT1_,"axG",@progbits,_ZN7rocprim17ROCPRIM_400000_NS6detail17trampoline_kernelINS0_14default_configENS1_29reduce_by_key_config_selectorIyyN6thrust23THRUST_200600_302600_NS4plusIyEEEEZZNS1_33reduce_by_key_impl_wrapped_configILNS1_25lookback_scan_determinismE0ES3_S9_NS6_6detail15normal_iteratorINS6_10device_ptrIyEEEESG_SG_SG_PmS8_NS6_8equal_toIyEEEE10hipError_tPvRmT2_T3_mT4_T5_T6_T7_T8_P12ihipStream_tbENKUlT_T0_E_clISt17integral_constantIbLb0EES11_EEDaSW_SX_EUlSW_E_NS1_11comp_targetILNS1_3genE8ELNS1_11target_archE1030ELNS1_3gpuE2ELNS1_3repE0EEENS1_30default_config_static_selectorELNS0_4arch9wavefront6targetE0EEEvT1_,comdat
.Lfunc_end246:
	.size	_ZN7rocprim17ROCPRIM_400000_NS6detail17trampoline_kernelINS0_14default_configENS1_29reduce_by_key_config_selectorIyyN6thrust23THRUST_200600_302600_NS4plusIyEEEEZZNS1_33reduce_by_key_impl_wrapped_configILNS1_25lookback_scan_determinismE0ES3_S9_NS6_6detail15normal_iteratorINS6_10device_ptrIyEEEESG_SG_SG_PmS8_NS6_8equal_toIyEEEE10hipError_tPvRmT2_T3_mT4_T5_T6_T7_T8_P12ihipStream_tbENKUlT_T0_E_clISt17integral_constantIbLb0EES11_EEDaSW_SX_EUlSW_E_NS1_11comp_targetILNS1_3genE8ELNS1_11target_archE1030ELNS1_3gpuE2ELNS1_3repE0EEENS1_30default_config_static_selectorELNS0_4arch9wavefront6targetE0EEEvT1_, .Lfunc_end246-_ZN7rocprim17ROCPRIM_400000_NS6detail17trampoline_kernelINS0_14default_configENS1_29reduce_by_key_config_selectorIyyN6thrust23THRUST_200600_302600_NS4plusIyEEEEZZNS1_33reduce_by_key_impl_wrapped_configILNS1_25lookback_scan_determinismE0ES3_S9_NS6_6detail15normal_iteratorINS6_10device_ptrIyEEEESG_SG_SG_PmS8_NS6_8equal_toIyEEEE10hipError_tPvRmT2_T3_mT4_T5_T6_T7_T8_P12ihipStream_tbENKUlT_T0_E_clISt17integral_constantIbLb0EES11_EEDaSW_SX_EUlSW_E_NS1_11comp_targetILNS1_3genE8ELNS1_11target_archE1030ELNS1_3gpuE2ELNS1_3repE0EEENS1_30default_config_static_selectorELNS0_4arch9wavefront6targetE0EEEvT1_
                                        ; -- End function
	.section	.AMDGPU.csdata,"",@progbits
; Kernel info:
; codeLenInByte = 0
; NumSgprs: 0
; NumVgprs: 0
; ScratchSize: 0
; MemoryBound: 0
; FloatMode: 240
; IeeeMode: 1
; LDSByteSize: 0 bytes/workgroup (compile time only)
; SGPRBlocks: 0
; VGPRBlocks: 0
; NumSGPRsForWavesPerEU: 1
; NumVGPRsForWavesPerEU: 1
; Occupancy: 16
; WaveLimiterHint : 0
; COMPUTE_PGM_RSRC2:SCRATCH_EN: 0
; COMPUTE_PGM_RSRC2:USER_SGPR: 15
; COMPUTE_PGM_RSRC2:TRAP_HANDLER: 0
; COMPUTE_PGM_RSRC2:TGID_X_EN: 1
; COMPUTE_PGM_RSRC2:TGID_Y_EN: 0
; COMPUTE_PGM_RSRC2:TGID_Z_EN: 0
; COMPUTE_PGM_RSRC2:TIDIG_COMP_CNT: 0
	.section	.text._ZN7rocprim17ROCPRIM_400000_NS6detail25reduce_by_key_init_kernelINS1_19lookback_scan_stateINS0_5tupleIJjyEEELb1ELb0EEEyNS1_16block_id_wrapperIjLb1EEEEEvT_jbjPmPT0_T1_,"axG",@progbits,_ZN7rocprim17ROCPRIM_400000_NS6detail25reduce_by_key_init_kernelINS1_19lookback_scan_stateINS0_5tupleIJjyEEELb1ELb0EEEyNS1_16block_id_wrapperIjLb1EEEEEvT_jbjPmPT0_T1_,comdat
	.protected	_ZN7rocprim17ROCPRIM_400000_NS6detail25reduce_by_key_init_kernelINS1_19lookback_scan_stateINS0_5tupleIJjyEEELb1ELb0EEEyNS1_16block_id_wrapperIjLb1EEEEEvT_jbjPmPT0_T1_ ; -- Begin function _ZN7rocprim17ROCPRIM_400000_NS6detail25reduce_by_key_init_kernelINS1_19lookback_scan_stateINS0_5tupleIJjyEEELb1ELb0EEEyNS1_16block_id_wrapperIjLb1EEEEEvT_jbjPmPT0_T1_
	.globl	_ZN7rocprim17ROCPRIM_400000_NS6detail25reduce_by_key_init_kernelINS1_19lookback_scan_stateINS0_5tupleIJjyEEELb1ELb0EEEyNS1_16block_id_wrapperIjLb1EEEEEvT_jbjPmPT0_T1_
	.p2align	8
	.type	_ZN7rocprim17ROCPRIM_400000_NS6detail25reduce_by_key_init_kernelINS1_19lookback_scan_stateINS0_5tupleIJjyEEELb1ELb0EEEyNS1_16block_id_wrapperIjLb1EEEEEvT_jbjPmPT0_T1_,@function
_ZN7rocprim17ROCPRIM_400000_NS6detail25reduce_by_key_init_kernelINS1_19lookback_scan_stateINS0_5tupleIJjyEEELb1ELb0EEEyNS1_16block_id_wrapperIjLb1EEEEEvT_jbjPmPT0_T1_: ; @_ZN7rocprim17ROCPRIM_400000_NS6detail25reduce_by_key_init_kernelINS1_19lookback_scan_stateINS0_5tupleIJjyEEELb1ELb0EEEyNS1_16block_id_wrapperIjLb1EEEEEvT_jbjPmPT0_T1_
; %bb.0:
	s_clause 0x3
	s_load_b32 s2, s[0:1], 0x4c
	s_load_b256 s[4:11], s[0:1], 0x18
	s_load_b64 s[16:17], s[0:1], 0x38
	s_load_b64 s[12:13], s[0:1], 0x10
	s_waitcnt lgkmcnt(0)
	s_and_b32 s2, s2, 0xffff
	s_delay_alu instid0(SALU_CYCLE_1) | instskip(SKIP_1) | instid1(SALU_CYCLE_1)
	v_mad_u64_u32 v[1:2], null, s15, s2, v[0:1]
	s_and_b32 s2, s5, 1
	s_cmp_eq_u32 s2, 0
	s_mov_b32 s2, -1
	s_cbranch_scc0 .LBB247_11
; %bb.1:
	s_cmp_lt_u32 s6, s4
	s_mov_b32 s5, exec_lo
	s_cselect_b32 s2, s6, 0
	s_delay_alu instid0(SALU_CYCLE_1)
	v_cmpx_eq_u32_e64 s2, v1
	s_cbranch_execz .LBB247_10
; %bb.2:
	s_add_i32 s6, s6, 32
	s_load_b128 s[0:3], s[0:1], 0x0
	v_mov_b32_e32 v0, s6
	s_add_u32 s14, s12, s6
	s_addc_u32 s15, s13, 0
	s_mov_b32 s7, 0
	global_load_u8 v0, v0, s[12:13] glc
	s_waitcnt vmcnt(0)
	v_cmp_ne_u16_e32 vcc_lo, 0, v0
	v_readfirstlane_b32 s18, v0
	s_cbranch_vccz .LBB247_4
; %bb.3:
	s_delay_alu instid0(VALU_DEP_1)
	s_and_b32 s14, 0xffff, s18
	s_branch .LBB247_9
.LBB247_4:
	v_mov_b32_e32 v0, 0
	s_mov_b32 s18, 1
.LBB247_5:                              ; =>This Loop Header: Depth=1
                                        ;     Child Loop BB247_6 Depth 2
	s_delay_alu instid0(SALU_CYCLE_1)
	s_max_u32 s19, s18, 1
.LBB247_6:                              ;   Parent Loop BB247_5 Depth=1
                                        ; =>  This Inner Loop Header: Depth=2
	s_delay_alu instid0(SALU_CYCLE_1)
	s_add_i32 s19, s19, -1
	s_sleep 1
	s_cmp_eq_u32 s19, 0
	s_cbranch_scc0 .LBB247_6
; %bb.7:                                ;   in Loop: Header=BB247_5 Depth=1
	global_load_u8 v2, v0, s[14:15] glc
	s_cmp_lt_u32 s18, 32
	s_cselect_b32 s19, -1, 0
	s_delay_alu instid0(SALU_CYCLE_1)
	s_cmp_lg_u32 s19, 0
	s_addc_u32 s18, s18, 0
	s_waitcnt vmcnt(0)
	v_cmp_ne_u16_e32 vcc_lo, 0, v2
	v_readfirstlane_b32 s19, v2
	s_cbranch_vccz .LBB247_5
; %bb.8:
	s_delay_alu instid0(VALU_DEP_1)
	s_and_b32 s14, 0xffff, s19
.LBB247_9:
	s_delay_alu instid0(SALU_CYCLE_1)
	s_cmp_eq_u32 s14, 1
	v_mov_b32_e32 v0, 0
	s_waitcnt lgkmcnt(0)
	s_cselect_b32 s3, s1, s3
	s_cselect_b32 s2, s0, s2
	s_lshl_b64 s[0:1], s[6:7], 4
	buffer_gl1_inv
	buffer_gl0_inv
	s_add_u32 s0, s2, s0
	s_addc_u32 s1, s3, s1
	s_clause 0x2
	global_load_b64 v[2:3], v0, s[8:9]
	global_load_b32 v6, v0, s[0:1]
	global_load_b64 v[4:5], v0, s[0:1] offset:8
	s_waitcnt vmcnt(1)
	v_add_co_u32 v2, vcc_lo, v2, v6
	v_add_co_ci_u32_e32 v3, vcc_lo, 0, v3, vcc_lo
	global_store_b64 v0, v[2:3], s[8:9]
	s_waitcnt vmcnt(0)
	global_store_b64 v0, v[4:5], s[10:11]
.LBB247_10:
	s_or_b32 exec_lo, exec_lo, s5
	s_mov_b32 s2, 0
.LBB247_11:
	s_delay_alu instid0(VALU_DEP_1)
	v_cmp_eq_u32_e64 s0, 0, v1
	s_and_not1_b32 vcc_lo, exec_lo, s2
	s_cbranch_vccnz .LBB247_15
; %bb.12:
	s_cmp_lg_u64 s[8:9], 0
	s_cselect_b32 s1, -1, 0
	s_delay_alu instid0(SALU_CYCLE_1) | instskip(NEXT) | instid1(SALU_CYCLE_1)
	s_and_b32 s1, s1, s0
	s_and_saveexec_b32 s0, s1
	s_cbranch_execz .LBB247_14
; %bb.13:
	v_mov_b32_e32 v2, 0
	s_delay_alu instid0(VALU_DEP_1)
	v_mov_b32_e32 v3, v2
	global_store_b64 v2, v[2:3], s[8:9]
.LBB247_14:
	s_or_b32 exec_lo, exec_lo, s0
.LBB247_15:
	s_delay_alu instid0(SALU_CYCLE_1)
	s_mov_b32 s0, exec_lo
	v_cmpx_eq_u32_e32 0, v1
	s_cbranch_execz .LBB247_17
; %bb.16:
	v_mov_b32_e32 v0, 0
	global_store_b32 v0, v0, s[16:17]
.LBB247_17:
	s_or_b32 exec_lo, exec_lo, s0
	s_delay_alu instid0(SALU_CYCLE_1)
	s_mov_b32 s0, exec_lo
	v_cmpx_gt_u32_e64 s4, v1
	s_cbranch_execz .LBB247_19
; %bb.18:
	v_add_nc_u32_e32 v0, 32, v1
	v_mov_b32_e32 v2, 0
	global_store_b8 v0, v2, s[12:13]
.LBB247_19:
	s_or_b32 exec_lo, exec_lo, s0
	s_delay_alu instid0(SALU_CYCLE_1)
	s_mov_b32 s0, exec_lo
	v_cmpx_gt_u32_e32 32, v1
	s_cbranch_execz .LBB247_21
; %bb.20:
	v_mov_b32_e32 v0, 0xff
	global_store_b8 v1, v0, s[12:13]
.LBB247_21:
	s_nop 0
	s_sendmsg sendmsg(MSG_DEALLOC_VGPRS)
	s_endpgm
	.section	.rodata,"a",@progbits
	.p2align	6, 0x0
	.amdhsa_kernel _ZN7rocprim17ROCPRIM_400000_NS6detail25reduce_by_key_init_kernelINS1_19lookback_scan_stateINS0_5tupleIJjyEEELb1ELb0EEEyNS1_16block_id_wrapperIjLb1EEEEEvT_jbjPmPT0_T1_
		.amdhsa_group_segment_fixed_size 0
		.amdhsa_private_segment_fixed_size 0
		.amdhsa_kernarg_size 320
		.amdhsa_user_sgpr_count 15
		.amdhsa_user_sgpr_dispatch_ptr 0
		.amdhsa_user_sgpr_queue_ptr 0
		.amdhsa_user_sgpr_kernarg_segment_ptr 1
		.amdhsa_user_sgpr_dispatch_id 0
		.amdhsa_user_sgpr_private_segment_size 0
		.amdhsa_wavefront_size32 1
		.amdhsa_uses_dynamic_stack 0
		.amdhsa_enable_private_segment 0
		.amdhsa_system_sgpr_workgroup_id_x 1
		.amdhsa_system_sgpr_workgroup_id_y 0
		.amdhsa_system_sgpr_workgroup_id_z 0
		.amdhsa_system_sgpr_workgroup_info 0
		.amdhsa_system_vgpr_workitem_id 0
		.amdhsa_next_free_vgpr 7
		.amdhsa_next_free_sgpr 20
		.amdhsa_reserve_vcc 1
		.amdhsa_float_round_mode_32 0
		.amdhsa_float_round_mode_16_64 0
		.amdhsa_float_denorm_mode_32 3
		.amdhsa_float_denorm_mode_16_64 3
		.amdhsa_dx10_clamp 1
		.amdhsa_ieee_mode 1
		.amdhsa_fp16_overflow 0
		.amdhsa_workgroup_processor_mode 1
		.amdhsa_memory_ordered 1
		.amdhsa_forward_progress 0
		.amdhsa_shared_vgpr_count 0
		.amdhsa_exception_fp_ieee_invalid_op 0
		.amdhsa_exception_fp_denorm_src 0
		.amdhsa_exception_fp_ieee_div_zero 0
		.amdhsa_exception_fp_ieee_overflow 0
		.amdhsa_exception_fp_ieee_underflow 0
		.amdhsa_exception_fp_ieee_inexact 0
		.amdhsa_exception_int_div_zero 0
	.end_amdhsa_kernel
	.section	.text._ZN7rocprim17ROCPRIM_400000_NS6detail25reduce_by_key_init_kernelINS1_19lookback_scan_stateINS0_5tupleIJjyEEELb1ELb0EEEyNS1_16block_id_wrapperIjLb1EEEEEvT_jbjPmPT0_T1_,"axG",@progbits,_ZN7rocprim17ROCPRIM_400000_NS6detail25reduce_by_key_init_kernelINS1_19lookback_scan_stateINS0_5tupleIJjyEEELb1ELb0EEEyNS1_16block_id_wrapperIjLb1EEEEEvT_jbjPmPT0_T1_,comdat
.Lfunc_end247:
	.size	_ZN7rocprim17ROCPRIM_400000_NS6detail25reduce_by_key_init_kernelINS1_19lookback_scan_stateINS0_5tupleIJjyEEELb1ELb0EEEyNS1_16block_id_wrapperIjLb1EEEEEvT_jbjPmPT0_T1_, .Lfunc_end247-_ZN7rocprim17ROCPRIM_400000_NS6detail25reduce_by_key_init_kernelINS1_19lookback_scan_stateINS0_5tupleIJjyEEELb1ELb0EEEyNS1_16block_id_wrapperIjLb1EEEEEvT_jbjPmPT0_T1_
                                        ; -- End function
	.section	.AMDGPU.csdata,"",@progbits
; Kernel info:
; codeLenInByte = 572
; NumSgprs: 22
; NumVgprs: 7
; ScratchSize: 0
; MemoryBound: 0
; FloatMode: 240
; IeeeMode: 1
; LDSByteSize: 0 bytes/workgroup (compile time only)
; SGPRBlocks: 2
; VGPRBlocks: 0
; NumSGPRsForWavesPerEU: 22
; NumVGPRsForWavesPerEU: 7
; Occupancy: 16
; WaveLimiterHint : 0
; COMPUTE_PGM_RSRC2:SCRATCH_EN: 0
; COMPUTE_PGM_RSRC2:USER_SGPR: 15
; COMPUTE_PGM_RSRC2:TRAP_HANDLER: 0
; COMPUTE_PGM_RSRC2:TGID_X_EN: 1
; COMPUTE_PGM_RSRC2:TGID_Y_EN: 0
; COMPUTE_PGM_RSRC2:TGID_Z_EN: 0
; COMPUTE_PGM_RSRC2:TIDIG_COMP_CNT: 0
	.section	.text._ZN7rocprim17ROCPRIM_400000_NS6detail17trampoline_kernelINS0_14default_configENS1_29reduce_by_key_config_selectorIyyN6thrust23THRUST_200600_302600_NS4plusIyEEEEZZNS1_33reduce_by_key_impl_wrapped_configILNS1_25lookback_scan_determinismE0ES3_S9_NS6_6detail15normal_iteratorINS6_10device_ptrIyEEEESG_SG_SG_PmS8_NS6_8equal_toIyEEEE10hipError_tPvRmT2_T3_mT4_T5_T6_T7_T8_P12ihipStream_tbENKUlT_T0_E_clISt17integral_constantIbLb1EES11_EEDaSW_SX_EUlSW_E_NS1_11comp_targetILNS1_3genE0ELNS1_11target_archE4294967295ELNS1_3gpuE0ELNS1_3repE0EEENS1_30default_config_static_selectorELNS0_4arch9wavefront6targetE0EEEvT1_,"axG",@progbits,_ZN7rocprim17ROCPRIM_400000_NS6detail17trampoline_kernelINS0_14default_configENS1_29reduce_by_key_config_selectorIyyN6thrust23THRUST_200600_302600_NS4plusIyEEEEZZNS1_33reduce_by_key_impl_wrapped_configILNS1_25lookback_scan_determinismE0ES3_S9_NS6_6detail15normal_iteratorINS6_10device_ptrIyEEEESG_SG_SG_PmS8_NS6_8equal_toIyEEEE10hipError_tPvRmT2_T3_mT4_T5_T6_T7_T8_P12ihipStream_tbENKUlT_T0_E_clISt17integral_constantIbLb1EES11_EEDaSW_SX_EUlSW_E_NS1_11comp_targetILNS1_3genE0ELNS1_11target_archE4294967295ELNS1_3gpuE0ELNS1_3repE0EEENS1_30default_config_static_selectorELNS0_4arch9wavefront6targetE0EEEvT1_,comdat
	.protected	_ZN7rocprim17ROCPRIM_400000_NS6detail17trampoline_kernelINS0_14default_configENS1_29reduce_by_key_config_selectorIyyN6thrust23THRUST_200600_302600_NS4plusIyEEEEZZNS1_33reduce_by_key_impl_wrapped_configILNS1_25lookback_scan_determinismE0ES3_S9_NS6_6detail15normal_iteratorINS6_10device_ptrIyEEEESG_SG_SG_PmS8_NS6_8equal_toIyEEEE10hipError_tPvRmT2_T3_mT4_T5_T6_T7_T8_P12ihipStream_tbENKUlT_T0_E_clISt17integral_constantIbLb1EES11_EEDaSW_SX_EUlSW_E_NS1_11comp_targetILNS1_3genE0ELNS1_11target_archE4294967295ELNS1_3gpuE0ELNS1_3repE0EEENS1_30default_config_static_selectorELNS0_4arch9wavefront6targetE0EEEvT1_ ; -- Begin function _ZN7rocprim17ROCPRIM_400000_NS6detail17trampoline_kernelINS0_14default_configENS1_29reduce_by_key_config_selectorIyyN6thrust23THRUST_200600_302600_NS4plusIyEEEEZZNS1_33reduce_by_key_impl_wrapped_configILNS1_25lookback_scan_determinismE0ES3_S9_NS6_6detail15normal_iteratorINS6_10device_ptrIyEEEESG_SG_SG_PmS8_NS6_8equal_toIyEEEE10hipError_tPvRmT2_T3_mT4_T5_T6_T7_T8_P12ihipStream_tbENKUlT_T0_E_clISt17integral_constantIbLb1EES11_EEDaSW_SX_EUlSW_E_NS1_11comp_targetILNS1_3genE0ELNS1_11target_archE4294967295ELNS1_3gpuE0ELNS1_3repE0EEENS1_30default_config_static_selectorELNS0_4arch9wavefront6targetE0EEEvT1_
	.globl	_ZN7rocprim17ROCPRIM_400000_NS6detail17trampoline_kernelINS0_14default_configENS1_29reduce_by_key_config_selectorIyyN6thrust23THRUST_200600_302600_NS4plusIyEEEEZZNS1_33reduce_by_key_impl_wrapped_configILNS1_25lookback_scan_determinismE0ES3_S9_NS6_6detail15normal_iteratorINS6_10device_ptrIyEEEESG_SG_SG_PmS8_NS6_8equal_toIyEEEE10hipError_tPvRmT2_T3_mT4_T5_T6_T7_T8_P12ihipStream_tbENKUlT_T0_E_clISt17integral_constantIbLb1EES11_EEDaSW_SX_EUlSW_E_NS1_11comp_targetILNS1_3genE0ELNS1_11target_archE4294967295ELNS1_3gpuE0ELNS1_3repE0EEENS1_30default_config_static_selectorELNS0_4arch9wavefront6targetE0EEEvT1_
	.p2align	8
	.type	_ZN7rocprim17ROCPRIM_400000_NS6detail17trampoline_kernelINS0_14default_configENS1_29reduce_by_key_config_selectorIyyN6thrust23THRUST_200600_302600_NS4plusIyEEEEZZNS1_33reduce_by_key_impl_wrapped_configILNS1_25lookback_scan_determinismE0ES3_S9_NS6_6detail15normal_iteratorINS6_10device_ptrIyEEEESG_SG_SG_PmS8_NS6_8equal_toIyEEEE10hipError_tPvRmT2_T3_mT4_T5_T6_T7_T8_P12ihipStream_tbENKUlT_T0_E_clISt17integral_constantIbLb1EES11_EEDaSW_SX_EUlSW_E_NS1_11comp_targetILNS1_3genE0ELNS1_11target_archE4294967295ELNS1_3gpuE0ELNS1_3repE0EEENS1_30default_config_static_selectorELNS0_4arch9wavefront6targetE0EEEvT1_,@function
_ZN7rocprim17ROCPRIM_400000_NS6detail17trampoline_kernelINS0_14default_configENS1_29reduce_by_key_config_selectorIyyN6thrust23THRUST_200600_302600_NS4plusIyEEEEZZNS1_33reduce_by_key_impl_wrapped_configILNS1_25lookback_scan_determinismE0ES3_S9_NS6_6detail15normal_iteratorINS6_10device_ptrIyEEEESG_SG_SG_PmS8_NS6_8equal_toIyEEEE10hipError_tPvRmT2_T3_mT4_T5_T6_T7_T8_P12ihipStream_tbENKUlT_T0_E_clISt17integral_constantIbLb1EES11_EEDaSW_SX_EUlSW_E_NS1_11comp_targetILNS1_3genE0ELNS1_11target_archE4294967295ELNS1_3gpuE0ELNS1_3repE0EEENS1_30default_config_static_selectorELNS0_4arch9wavefront6targetE0EEEvT1_: ; @_ZN7rocprim17ROCPRIM_400000_NS6detail17trampoline_kernelINS0_14default_configENS1_29reduce_by_key_config_selectorIyyN6thrust23THRUST_200600_302600_NS4plusIyEEEEZZNS1_33reduce_by_key_impl_wrapped_configILNS1_25lookback_scan_determinismE0ES3_S9_NS6_6detail15normal_iteratorINS6_10device_ptrIyEEEESG_SG_SG_PmS8_NS6_8equal_toIyEEEE10hipError_tPvRmT2_T3_mT4_T5_T6_T7_T8_P12ihipStream_tbENKUlT_T0_E_clISt17integral_constantIbLb1EES11_EEDaSW_SX_EUlSW_E_NS1_11comp_targetILNS1_3genE0ELNS1_11target_archE4294967295ELNS1_3gpuE0ELNS1_3repE0EEENS1_30default_config_static_selectorELNS0_4arch9wavefront6targetE0EEEvT1_
; %bb.0:
	.section	.rodata,"a",@progbits
	.p2align	6, 0x0
	.amdhsa_kernel _ZN7rocprim17ROCPRIM_400000_NS6detail17trampoline_kernelINS0_14default_configENS1_29reduce_by_key_config_selectorIyyN6thrust23THRUST_200600_302600_NS4plusIyEEEEZZNS1_33reduce_by_key_impl_wrapped_configILNS1_25lookback_scan_determinismE0ES3_S9_NS6_6detail15normal_iteratorINS6_10device_ptrIyEEEESG_SG_SG_PmS8_NS6_8equal_toIyEEEE10hipError_tPvRmT2_T3_mT4_T5_T6_T7_T8_P12ihipStream_tbENKUlT_T0_E_clISt17integral_constantIbLb1EES11_EEDaSW_SX_EUlSW_E_NS1_11comp_targetILNS1_3genE0ELNS1_11target_archE4294967295ELNS1_3gpuE0ELNS1_3repE0EEENS1_30default_config_static_selectorELNS0_4arch9wavefront6targetE0EEEvT1_
		.amdhsa_group_segment_fixed_size 0
		.amdhsa_private_segment_fixed_size 0
		.amdhsa_kernarg_size 136
		.amdhsa_user_sgpr_count 15
		.amdhsa_user_sgpr_dispatch_ptr 0
		.amdhsa_user_sgpr_queue_ptr 0
		.amdhsa_user_sgpr_kernarg_segment_ptr 1
		.amdhsa_user_sgpr_dispatch_id 0
		.amdhsa_user_sgpr_private_segment_size 0
		.amdhsa_wavefront_size32 1
		.amdhsa_uses_dynamic_stack 0
		.amdhsa_enable_private_segment 0
		.amdhsa_system_sgpr_workgroup_id_x 1
		.amdhsa_system_sgpr_workgroup_id_y 0
		.amdhsa_system_sgpr_workgroup_id_z 0
		.amdhsa_system_sgpr_workgroup_info 0
		.amdhsa_system_vgpr_workitem_id 0
		.amdhsa_next_free_vgpr 1
		.amdhsa_next_free_sgpr 1
		.amdhsa_reserve_vcc 0
		.amdhsa_float_round_mode_32 0
		.amdhsa_float_round_mode_16_64 0
		.amdhsa_float_denorm_mode_32 3
		.amdhsa_float_denorm_mode_16_64 3
		.amdhsa_dx10_clamp 1
		.amdhsa_ieee_mode 1
		.amdhsa_fp16_overflow 0
		.amdhsa_workgroup_processor_mode 1
		.amdhsa_memory_ordered 1
		.amdhsa_forward_progress 0
		.amdhsa_shared_vgpr_count 0
		.amdhsa_exception_fp_ieee_invalid_op 0
		.amdhsa_exception_fp_denorm_src 0
		.amdhsa_exception_fp_ieee_div_zero 0
		.amdhsa_exception_fp_ieee_overflow 0
		.amdhsa_exception_fp_ieee_underflow 0
		.amdhsa_exception_fp_ieee_inexact 0
		.amdhsa_exception_int_div_zero 0
	.end_amdhsa_kernel
	.section	.text._ZN7rocprim17ROCPRIM_400000_NS6detail17trampoline_kernelINS0_14default_configENS1_29reduce_by_key_config_selectorIyyN6thrust23THRUST_200600_302600_NS4plusIyEEEEZZNS1_33reduce_by_key_impl_wrapped_configILNS1_25lookback_scan_determinismE0ES3_S9_NS6_6detail15normal_iteratorINS6_10device_ptrIyEEEESG_SG_SG_PmS8_NS6_8equal_toIyEEEE10hipError_tPvRmT2_T3_mT4_T5_T6_T7_T8_P12ihipStream_tbENKUlT_T0_E_clISt17integral_constantIbLb1EES11_EEDaSW_SX_EUlSW_E_NS1_11comp_targetILNS1_3genE0ELNS1_11target_archE4294967295ELNS1_3gpuE0ELNS1_3repE0EEENS1_30default_config_static_selectorELNS0_4arch9wavefront6targetE0EEEvT1_,"axG",@progbits,_ZN7rocprim17ROCPRIM_400000_NS6detail17trampoline_kernelINS0_14default_configENS1_29reduce_by_key_config_selectorIyyN6thrust23THRUST_200600_302600_NS4plusIyEEEEZZNS1_33reduce_by_key_impl_wrapped_configILNS1_25lookback_scan_determinismE0ES3_S9_NS6_6detail15normal_iteratorINS6_10device_ptrIyEEEESG_SG_SG_PmS8_NS6_8equal_toIyEEEE10hipError_tPvRmT2_T3_mT4_T5_T6_T7_T8_P12ihipStream_tbENKUlT_T0_E_clISt17integral_constantIbLb1EES11_EEDaSW_SX_EUlSW_E_NS1_11comp_targetILNS1_3genE0ELNS1_11target_archE4294967295ELNS1_3gpuE0ELNS1_3repE0EEENS1_30default_config_static_selectorELNS0_4arch9wavefront6targetE0EEEvT1_,comdat
.Lfunc_end248:
	.size	_ZN7rocprim17ROCPRIM_400000_NS6detail17trampoline_kernelINS0_14default_configENS1_29reduce_by_key_config_selectorIyyN6thrust23THRUST_200600_302600_NS4plusIyEEEEZZNS1_33reduce_by_key_impl_wrapped_configILNS1_25lookback_scan_determinismE0ES3_S9_NS6_6detail15normal_iteratorINS6_10device_ptrIyEEEESG_SG_SG_PmS8_NS6_8equal_toIyEEEE10hipError_tPvRmT2_T3_mT4_T5_T6_T7_T8_P12ihipStream_tbENKUlT_T0_E_clISt17integral_constantIbLb1EES11_EEDaSW_SX_EUlSW_E_NS1_11comp_targetILNS1_3genE0ELNS1_11target_archE4294967295ELNS1_3gpuE0ELNS1_3repE0EEENS1_30default_config_static_selectorELNS0_4arch9wavefront6targetE0EEEvT1_, .Lfunc_end248-_ZN7rocprim17ROCPRIM_400000_NS6detail17trampoline_kernelINS0_14default_configENS1_29reduce_by_key_config_selectorIyyN6thrust23THRUST_200600_302600_NS4plusIyEEEEZZNS1_33reduce_by_key_impl_wrapped_configILNS1_25lookback_scan_determinismE0ES3_S9_NS6_6detail15normal_iteratorINS6_10device_ptrIyEEEESG_SG_SG_PmS8_NS6_8equal_toIyEEEE10hipError_tPvRmT2_T3_mT4_T5_T6_T7_T8_P12ihipStream_tbENKUlT_T0_E_clISt17integral_constantIbLb1EES11_EEDaSW_SX_EUlSW_E_NS1_11comp_targetILNS1_3genE0ELNS1_11target_archE4294967295ELNS1_3gpuE0ELNS1_3repE0EEENS1_30default_config_static_selectorELNS0_4arch9wavefront6targetE0EEEvT1_
                                        ; -- End function
	.section	.AMDGPU.csdata,"",@progbits
; Kernel info:
; codeLenInByte = 0
; NumSgprs: 0
; NumVgprs: 0
; ScratchSize: 0
; MemoryBound: 0
; FloatMode: 240
; IeeeMode: 1
; LDSByteSize: 0 bytes/workgroup (compile time only)
; SGPRBlocks: 0
; VGPRBlocks: 0
; NumSGPRsForWavesPerEU: 1
; NumVGPRsForWavesPerEU: 1
; Occupancy: 16
; WaveLimiterHint : 0
; COMPUTE_PGM_RSRC2:SCRATCH_EN: 0
; COMPUTE_PGM_RSRC2:USER_SGPR: 15
; COMPUTE_PGM_RSRC2:TRAP_HANDLER: 0
; COMPUTE_PGM_RSRC2:TGID_X_EN: 1
; COMPUTE_PGM_RSRC2:TGID_Y_EN: 0
; COMPUTE_PGM_RSRC2:TGID_Z_EN: 0
; COMPUTE_PGM_RSRC2:TIDIG_COMP_CNT: 0
	.section	.text._ZN7rocprim17ROCPRIM_400000_NS6detail17trampoline_kernelINS0_14default_configENS1_29reduce_by_key_config_selectorIyyN6thrust23THRUST_200600_302600_NS4plusIyEEEEZZNS1_33reduce_by_key_impl_wrapped_configILNS1_25lookback_scan_determinismE0ES3_S9_NS6_6detail15normal_iteratorINS6_10device_ptrIyEEEESG_SG_SG_PmS8_NS6_8equal_toIyEEEE10hipError_tPvRmT2_T3_mT4_T5_T6_T7_T8_P12ihipStream_tbENKUlT_T0_E_clISt17integral_constantIbLb1EES11_EEDaSW_SX_EUlSW_E_NS1_11comp_targetILNS1_3genE5ELNS1_11target_archE942ELNS1_3gpuE9ELNS1_3repE0EEENS1_30default_config_static_selectorELNS0_4arch9wavefront6targetE0EEEvT1_,"axG",@progbits,_ZN7rocprim17ROCPRIM_400000_NS6detail17trampoline_kernelINS0_14default_configENS1_29reduce_by_key_config_selectorIyyN6thrust23THRUST_200600_302600_NS4plusIyEEEEZZNS1_33reduce_by_key_impl_wrapped_configILNS1_25lookback_scan_determinismE0ES3_S9_NS6_6detail15normal_iteratorINS6_10device_ptrIyEEEESG_SG_SG_PmS8_NS6_8equal_toIyEEEE10hipError_tPvRmT2_T3_mT4_T5_T6_T7_T8_P12ihipStream_tbENKUlT_T0_E_clISt17integral_constantIbLb1EES11_EEDaSW_SX_EUlSW_E_NS1_11comp_targetILNS1_3genE5ELNS1_11target_archE942ELNS1_3gpuE9ELNS1_3repE0EEENS1_30default_config_static_selectorELNS0_4arch9wavefront6targetE0EEEvT1_,comdat
	.protected	_ZN7rocprim17ROCPRIM_400000_NS6detail17trampoline_kernelINS0_14default_configENS1_29reduce_by_key_config_selectorIyyN6thrust23THRUST_200600_302600_NS4plusIyEEEEZZNS1_33reduce_by_key_impl_wrapped_configILNS1_25lookback_scan_determinismE0ES3_S9_NS6_6detail15normal_iteratorINS6_10device_ptrIyEEEESG_SG_SG_PmS8_NS6_8equal_toIyEEEE10hipError_tPvRmT2_T3_mT4_T5_T6_T7_T8_P12ihipStream_tbENKUlT_T0_E_clISt17integral_constantIbLb1EES11_EEDaSW_SX_EUlSW_E_NS1_11comp_targetILNS1_3genE5ELNS1_11target_archE942ELNS1_3gpuE9ELNS1_3repE0EEENS1_30default_config_static_selectorELNS0_4arch9wavefront6targetE0EEEvT1_ ; -- Begin function _ZN7rocprim17ROCPRIM_400000_NS6detail17trampoline_kernelINS0_14default_configENS1_29reduce_by_key_config_selectorIyyN6thrust23THRUST_200600_302600_NS4plusIyEEEEZZNS1_33reduce_by_key_impl_wrapped_configILNS1_25lookback_scan_determinismE0ES3_S9_NS6_6detail15normal_iteratorINS6_10device_ptrIyEEEESG_SG_SG_PmS8_NS6_8equal_toIyEEEE10hipError_tPvRmT2_T3_mT4_T5_T6_T7_T8_P12ihipStream_tbENKUlT_T0_E_clISt17integral_constantIbLb1EES11_EEDaSW_SX_EUlSW_E_NS1_11comp_targetILNS1_3genE5ELNS1_11target_archE942ELNS1_3gpuE9ELNS1_3repE0EEENS1_30default_config_static_selectorELNS0_4arch9wavefront6targetE0EEEvT1_
	.globl	_ZN7rocprim17ROCPRIM_400000_NS6detail17trampoline_kernelINS0_14default_configENS1_29reduce_by_key_config_selectorIyyN6thrust23THRUST_200600_302600_NS4plusIyEEEEZZNS1_33reduce_by_key_impl_wrapped_configILNS1_25lookback_scan_determinismE0ES3_S9_NS6_6detail15normal_iteratorINS6_10device_ptrIyEEEESG_SG_SG_PmS8_NS6_8equal_toIyEEEE10hipError_tPvRmT2_T3_mT4_T5_T6_T7_T8_P12ihipStream_tbENKUlT_T0_E_clISt17integral_constantIbLb1EES11_EEDaSW_SX_EUlSW_E_NS1_11comp_targetILNS1_3genE5ELNS1_11target_archE942ELNS1_3gpuE9ELNS1_3repE0EEENS1_30default_config_static_selectorELNS0_4arch9wavefront6targetE0EEEvT1_
	.p2align	8
	.type	_ZN7rocprim17ROCPRIM_400000_NS6detail17trampoline_kernelINS0_14default_configENS1_29reduce_by_key_config_selectorIyyN6thrust23THRUST_200600_302600_NS4plusIyEEEEZZNS1_33reduce_by_key_impl_wrapped_configILNS1_25lookback_scan_determinismE0ES3_S9_NS6_6detail15normal_iteratorINS6_10device_ptrIyEEEESG_SG_SG_PmS8_NS6_8equal_toIyEEEE10hipError_tPvRmT2_T3_mT4_T5_T6_T7_T8_P12ihipStream_tbENKUlT_T0_E_clISt17integral_constantIbLb1EES11_EEDaSW_SX_EUlSW_E_NS1_11comp_targetILNS1_3genE5ELNS1_11target_archE942ELNS1_3gpuE9ELNS1_3repE0EEENS1_30default_config_static_selectorELNS0_4arch9wavefront6targetE0EEEvT1_,@function
_ZN7rocprim17ROCPRIM_400000_NS6detail17trampoline_kernelINS0_14default_configENS1_29reduce_by_key_config_selectorIyyN6thrust23THRUST_200600_302600_NS4plusIyEEEEZZNS1_33reduce_by_key_impl_wrapped_configILNS1_25lookback_scan_determinismE0ES3_S9_NS6_6detail15normal_iteratorINS6_10device_ptrIyEEEESG_SG_SG_PmS8_NS6_8equal_toIyEEEE10hipError_tPvRmT2_T3_mT4_T5_T6_T7_T8_P12ihipStream_tbENKUlT_T0_E_clISt17integral_constantIbLb1EES11_EEDaSW_SX_EUlSW_E_NS1_11comp_targetILNS1_3genE5ELNS1_11target_archE942ELNS1_3gpuE9ELNS1_3repE0EEENS1_30default_config_static_selectorELNS0_4arch9wavefront6targetE0EEEvT1_: ; @_ZN7rocprim17ROCPRIM_400000_NS6detail17trampoline_kernelINS0_14default_configENS1_29reduce_by_key_config_selectorIyyN6thrust23THRUST_200600_302600_NS4plusIyEEEEZZNS1_33reduce_by_key_impl_wrapped_configILNS1_25lookback_scan_determinismE0ES3_S9_NS6_6detail15normal_iteratorINS6_10device_ptrIyEEEESG_SG_SG_PmS8_NS6_8equal_toIyEEEE10hipError_tPvRmT2_T3_mT4_T5_T6_T7_T8_P12ihipStream_tbENKUlT_T0_E_clISt17integral_constantIbLb1EES11_EEDaSW_SX_EUlSW_E_NS1_11comp_targetILNS1_3genE5ELNS1_11target_archE942ELNS1_3gpuE9ELNS1_3repE0EEENS1_30default_config_static_selectorELNS0_4arch9wavefront6targetE0EEEvT1_
; %bb.0:
	.section	.rodata,"a",@progbits
	.p2align	6, 0x0
	.amdhsa_kernel _ZN7rocprim17ROCPRIM_400000_NS6detail17trampoline_kernelINS0_14default_configENS1_29reduce_by_key_config_selectorIyyN6thrust23THRUST_200600_302600_NS4plusIyEEEEZZNS1_33reduce_by_key_impl_wrapped_configILNS1_25lookback_scan_determinismE0ES3_S9_NS6_6detail15normal_iteratorINS6_10device_ptrIyEEEESG_SG_SG_PmS8_NS6_8equal_toIyEEEE10hipError_tPvRmT2_T3_mT4_T5_T6_T7_T8_P12ihipStream_tbENKUlT_T0_E_clISt17integral_constantIbLb1EES11_EEDaSW_SX_EUlSW_E_NS1_11comp_targetILNS1_3genE5ELNS1_11target_archE942ELNS1_3gpuE9ELNS1_3repE0EEENS1_30default_config_static_selectorELNS0_4arch9wavefront6targetE0EEEvT1_
		.amdhsa_group_segment_fixed_size 0
		.amdhsa_private_segment_fixed_size 0
		.amdhsa_kernarg_size 136
		.amdhsa_user_sgpr_count 15
		.amdhsa_user_sgpr_dispatch_ptr 0
		.amdhsa_user_sgpr_queue_ptr 0
		.amdhsa_user_sgpr_kernarg_segment_ptr 1
		.amdhsa_user_sgpr_dispatch_id 0
		.amdhsa_user_sgpr_private_segment_size 0
		.amdhsa_wavefront_size32 1
		.amdhsa_uses_dynamic_stack 0
		.amdhsa_enable_private_segment 0
		.amdhsa_system_sgpr_workgroup_id_x 1
		.amdhsa_system_sgpr_workgroup_id_y 0
		.amdhsa_system_sgpr_workgroup_id_z 0
		.amdhsa_system_sgpr_workgroup_info 0
		.amdhsa_system_vgpr_workitem_id 0
		.amdhsa_next_free_vgpr 1
		.amdhsa_next_free_sgpr 1
		.amdhsa_reserve_vcc 0
		.amdhsa_float_round_mode_32 0
		.amdhsa_float_round_mode_16_64 0
		.amdhsa_float_denorm_mode_32 3
		.amdhsa_float_denorm_mode_16_64 3
		.amdhsa_dx10_clamp 1
		.amdhsa_ieee_mode 1
		.amdhsa_fp16_overflow 0
		.amdhsa_workgroup_processor_mode 1
		.amdhsa_memory_ordered 1
		.amdhsa_forward_progress 0
		.amdhsa_shared_vgpr_count 0
		.amdhsa_exception_fp_ieee_invalid_op 0
		.amdhsa_exception_fp_denorm_src 0
		.amdhsa_exception_fp_ieee_div_zero 0
		.amdhsa_exception_fp_ieee_overflow 0
		.amdhsa_exception_fp_ieee_underflow 0
		.amdhsa_exception_fp_ieee_inexact 0
		.amdhsa_exception_int_div_zero 0
	.end_amdhsa_kernel
	.section	.text._ZN7rocprim17ROCPRIM_400000_NS6detail17trampoline_kernelINS0_14default_configENS1_29reduce_by_key_config_selectorIyyN6thrust23THRUST_200600_302600_NS4plusIyEEEEZZNS1_33reduce_by_key_impl_wrapped_configILNS1_25lookback_scan_determinismE0ES3_S9_NS6_6detail15normal_iteratorINS6_10device_ptrIyEEEESG_SG_SG_PmS8_NS6_8equal_toIyEEEE10hipError_tPvRmT2_T3_mT4_T5_T6_T7_T8_P12ihipStream_tbENKUlT_T0_E_clISt17integral_constantIbLb1EES11_EEDaSW_SX_EUlSW_E_NS1_11comp_targetILNS1_3genE5ELNS1_11target_archE942ELNS1_3gpuE9ELNS1_3repE0EEENS1_30default_config_static_selectorELNS0_4arch9wavefront6targetE0EEEvT1_,"axG",@progbits,_ZN7rocprim17ROCPRIM_400000_NS6detail17trampoline_kernelINS0_14default_configENS1_29reduce_by_key_config_selectorIyyN6thrust23THRUST_200600_302600_NS4plusIyEEEEZZNS1_33reduce_by_key_impl_wrapped_configILNS1_25lookback_scan_determinismE0ES3_S9_NS6_6detail15normal_iteratorINS6_10device_ptrIyEEEESG_SG_SG_PmS8_NS6_8equal_toIyEEEE10hipError_tPvRmT2_T3_mT4_T5_T6_T7_T8_P12ihipStream_tbENKUlT_T0_E_clISt17integral_constantIbLb1EES11_EEDaSW_SX_EUlSW_E_NS1_11comp_targetILNS1_3genE5ELNS1_11target_archE942ELNS1_3gpuE9ELNS1_3repE0EEENS1_30default_config_static_selectorELNS0_4arch9wavefront6targetE0EEEvT1_,comdat
.Lfunc_end249:
	.size	_ZN7rocprim17ROCPRIM_400000_NS6detail17trampoline_kernelINS0_14default_configENS1_29reduce_by_key_config_selectorIyyN6thrust23THRUST_200600_302600_NS4plusIyEEEEZZNS1_33reduce_by_key_impl_wrapped_configILNS1_25lookback_scan_determinismE0ES3_S9_NS6_6detail15normal_iteratorINS6_10device_ptrIyEEEESG_SG_SG_PmS8_NS6_8equal_toIyEEEE10hipError_tPvRmT2_T3_mT4_T5_T6_T7_T8_P12ihipStream_tbENKUlT_T0_E_clISt17integral_constantIbLb1EES11_EEDaSW_SX_EUlSW_E_NS1_11comp_targetILNS1_3genE5ELNS1_11target_archE942ELNS1_3gpuE9ELNS1_3repE0EEENS1_30default_config_static_selectorELNS0_4arch9wavefront6targetE0EEEvT1_, .Lfunc_end249-_ZN7rocprim17ROCPRIM_400000_NS6detail17trampoline_kernelINS0_14default_configENS1_29reduce_by_key_config_selectorIyyN6thrust23THRUST_200600_302600_NS4plusIyEEEEZZNS1_33reduce_by_key_impl_wrapped_configILNS1_25lookback_scan_determinismE0ES3_S9_NS6_6detail15normal_iteratorINS6_10device_ptrIyEEEESG_SG_SG_PmS8_NS6_8equal_toIyEEEE10hipError_tPvRmT2_T3_mT4_T5_T6_T7_T8_P12ihipStream_tbENKUlT_T0_E_clISt17integral_constantIbLb1EES11_EEDaSW_SX_EUlSW_E_NS1_11comp_targetILNS1_3genE5ELNS1_11target_archE942ELNS1_3gpuE9ELNS1_3repE0EEENS1_30default_config_static_selectorELNS0_4arch9wavefront6targetE0EEEvT1_
                                        ; -- End function
	.section	.AMDGPU.csdata,"",@progbits
; Kernel info:
; codeLenInByte = 0
; NumSgprs: 0
; NumVgprs: 0
; ScratchSize: 0
; MemoryBound: 0
; FloatMode: 240
; IeeeMode: 1
; LDSByteSize: 0 bytes/workgroup (compile time only)
; SGPRBlocks: 0
; VGPRBlocks: 0
; NumSGPRsForWavesPerEU: 1
; NumVGPRsForWavesPerEU: 1
; Occupancy: 16
; WaveLimiterHint : 0
; COMPUTE_PGM_RSRC2:SCRATCH_EN: 0
; COMPUTE_PGM_RSRC2:USER_SGPR: 15
; COMPUTE_PGM_RSRC2:TRAP_HANDLER: 0
; COMPUTE_PGM_RSRC2:TGID_X_EN: 1
; COMPUTE_PGM_RSRC2:TGID_Y_EN: 0
; COMPUTE_PGM_RSRC2:TGID_Z_EN: 0
; COMPUTE_PGM_RSRC2:TIDIG_COMP_CNT: 0
	.section	.text._ZN7rocprim17ROCPRIM_400000_NS6detail17trampoline_kernelINS0_14default_configENS1_29reduce_by_key_config_selectorIyyN6thrust23THRUST_200600_302600_NS4plusIyEEEEZZNS1_33reduce_by_key_impl_wrapped_configILNS1_25lookback_scan_determinismE0ES3_S9_NS6_6detail15normal_iteratorINS6_10device_ptrIyEEEESG_SG_SG_PmS8_NS6_8equal_toIyEEEE10hipError_tPvRmT2_T3_mT4_T5_T6_T7_T8_P12ihipStream_tbENKUlT_T0_E_clISt17integral_constantIbLb1EES11_EEDaSW_SX_EUlSW_E_NS1_11comp_targetILNS1_3genE4ELNS1_11target_archE910ELNS1_3gpuE8ELNS1_3repE0EEENS1_30default_config_static_selectorELNS0_4arch9wavefront6targetE0EEEvT1_,"axG",@progbits,_ZN7rocprim17ROCPRIM_400000_NS6detail17trampoline_kernelINS0_14default_configENS1_29reduce_by_key_config_selectorIyyN6thrust23THRUST_200600_302600_NS4plusIyEEEEZZNS1_33reduce_by_key_impl_wrapped_configILNS1_25lookback_scan_determinismE0ES3_S9_NS6_6detail15normal_iteratorINS6_10device_ptrIyEEEESG_SG_SG_PmS8_NS6_8equal_toIyEEEE10hipError_tPvRmT2_T3_mT4_T5_T6_T7_T8_P12ihipStream_tbENKUlT_T0_E_clISt17integral_constantIbLb1EES11_EEDaSW_SX_EUlSW_E_NS1_11comp_targetILNS1_3genE4ELNS1_11target_archE910ELNS1_3gpuE8ELNS1_3repE0EEENS1_30default_config_static_selectorELNS0_4arch9wavefront6targetE0EEEvT1_,comdat
	.protected	_ZN7rocprim17ROCPRIM_400000_NS6detail17trampoline_kernelINS0_14default_configENS1_29reduce_by_key_config_selectorIyyN6thrust23THRUST_200600_302600_NS4plusIyEEEEZZNS1_33reduce_by_key_impl_wrapped_configILNS1_25lookback_scan_determinismE0ES3_S9_NS6_6detail15normal_iteratorINS6_10device_ptrIyEEEESG_SG_SG_PmS8_NS6_8equal_toIyEEEE10hipError_tPvRmT2_T3_mT4_T5_T6_T7_T8_P12ihipStream_tbENKUlT_T0_E_clISt17integral_constantIbLb1EES11_EEDaSW_SX_EUlSW_E_NS1_11comp_targetILNS1_3genE4ELNS1_11target_archE910ELNS1_3gpuE8ELNS1_3repE0EEENS1_30default_config_static_selectorELNS0_4arch9wavefront6targetE0EEEvT1_ ; -- Begin function _ZN7rocprim17ROCPRIM_400000_NS6detail17trampoline_kernelINS0_14default_configENS1_29reduce_by_key_config_selectorIyyN6thrust23THRUST_200600_302600_NS4plusIyEEEEZZNS1_33reduce_by_key_impl_wrapped_configILNS1_25lookback_scan_determinismE0ES3_S9_NS6_6detail15normal_iteratorINS6_10device_ptrIyEEEESG_SG_SG_PmS8_NS6_8equal_toIyEEEE10hipError_tPvRmT2_T3_mT4_T5_T6_T7_T8_P12ihipStream_tbENKUlT_T0_E_clISt17integral_constantIbLb1EES11_EEDaSW_SX_EUlSW_E_NS1_11comp_targetILNS1_3genE4ELNS1_11target_archE910ELNS1_3gpuE8ELNS1_3repE0EEENS1_30default_config_static_selectorELNS0_4arch9wavefront6targetE0EEEvT1_
	.globl	_ZN7rocprim17ROCPRIM_400000_NS6detail17trampoline_kernelINS0_14default_configENS1_29reduce_by_key_config_selectorIyyN6thrust23THRUST_200600_302600_NS4plusIyEEEEZZNS1_33reduce_by_key_impl_wrapped_configILNS1_25lookback_scan_determinismE0ES3_S9_NS6_6detail15normal_iteratorINS6_10device_ptrIyEEEESG_SG_SG_PmS8_NS6_8equal_toIyEEEE10hipError_tPvRmT2_T3_mT4_T5_T6_T7_T8_P12ihipStream_tbENKUlT_T0_E_clISt17integral_constantIbLb1EES11_EEDaSW_SX_EUlSW_E_NS1_11comp_targetILNS1_3genE4ELNS1_11target_archE910ELNS1_3gpuE8ELNS1_3repE0EEENS1_30default_config_static_selectorELNS0_4arch9wavefront6targetE0EEEvT1_
	.p2align	8
	.type	_ZN7rocprim17ROCPRIM_400000_NS6detail17trampoline_kernelINS0_14default_configENS1_29reduce_by_key_config_selectorIyyN6thrust23THRUST_200600_302600_NS4plusIyEEEEZZNS1_33reduce_by_key_impl_wrapped_configILNS1_25lookback_scan_determinismE0ES3_S9_NS6_6detail15normal_iteratorINS6_10device_ptrIyEEEESG_SG_SG_PmS8_NS6_8equal_toIyEEEE10hipError_tPvRmT2_T3_mT4_T5_T6_T7_T8_P12ihipStream_tbENKUlT_T0_E_clISt17integral_constantIbLb1EES11_EEDaSW_SX_EUlSW_E_NS1_11comp_targetILNS1_3genE4ELNS1_11target_archE910ELNS1_3gpuE8ELNS1_3repE0EEENS1_30default_config_static_selectorELNS0_4arch9wavefront6targetE0EEEvT1_,@function
_ZN7rocprim17ROCPRIM_400000_NS6detail17trampoline_kernelINS0_14default_configENS1_29reduce_by_key_config_selectorIyyN6thrust23THRUST_200600_302600_NS4plusIyEEEEZZNS1_33reduce_by_key_impl_wrapped_configILNS1_25lookback_scan_determinismE0ES3_S9_NS6_6detail15normal_iteratorINS6_10device_ptrIyEEEESG_SG_SG_PmS8_NS6_8equal_toIyEEEE10hipError_tPvRmT2_T3_mT4_T5_T6_T7_T8_P12ihipStream_tbENKUlT_T0_E_clISt17integral_constantIbLb1EES11_EEDaSW_SX_EUlSW_E_NS1_11comp_targetILNS1_3genE4ELNS1_11target_archE910ELNS1_3gpuE8ELNS1_3repE0EEENS1_30default_config_static_selectorELNS0_4arch9wavefront6targetE0EEEvT1_: ; @_ZN7rocprim17ROCPRIM_400000_NS6detail17trampoline_kernelINS0_14default_configENS1_29reduce_by_key_config_selectorIyyN6thrust23THRUST_200600_302600_NS4plusIyEEEEZZNS1_33reduce_by_key_impl_wrapped_configILNS1_25lookback_scan_determinismE0ES3_S9_NS6_6detail15normal_iteratorINS6_10device_ptrIyEEEESG_SG_SG_PmS8_NS6_8equal_toIyEEEE10hipError_tPvRmT2_T3_mT4_T5_T6_T7_T8_P12ihipStream_tbENKUlT_T0_E_clISt17integral_constantIbLb1EES11_EEDaSW_SX_EUlSW_E_NS1_11comp_targetILNS1_3genE4ELNS1_11target_archE910ELNS1_3gpuE8ELNS1_3repE0EEENS1_30default_config_static_selectorELNS0_4arch9wavefront6targetE0EEEvT1_
; %bb.0:
	.section	.rodata,"a",@progbits
	.p2align	6, 0x0
	.amdhsa_kernel _ZN7rocprim17ROCPRIM_400000_NS6detail17trampoline_kernelINS0_14default_configENS1_29reduce_by_key_config_selectorIyyN6thrust23THRUST_200600_302600_NS4plusIyEEEEZZNS1_33reduce_by_key_impl_wrapped_configILNS1_25lookback_scan_determinismE0ES3_S9_NS6_6detail15normal_iteratorINS6_10device_ptrIyEEEESG_SG_SG_PmS8_NS6_8equal_toIyEEEE10hipError_tPvRmT2_T3_mT4_T5_T6_T7_T8_P12ihipStream_tbENKUlT_T0_E_clISt17integral_constantIbLb1EES11_EEDaSW_SX_EUlSW_E_NS1_11comp_targetILNS1_3genE4ELNS1_11target_archE910ELNS1_3gpuE8ELNS1_3repE0EEENS1_30default_config_static_selectorELNS0_4arch9wavefront6targetE0EEEvT1_
		.amdhsa_group_segment_fixed_size 0
		.amdhsa_private_segment_fixed_size 0
		.amdhsa_kernarg_size 136
		.amdhsa_user_sgpr_count 15
		.amdhsa_user_sgpr_dispatch_ptr 0
		.amdhsa_user_sgpr_queue_ptr 0
		.amdhsa_user_sgpr_kernarg_segment_ptr 1
		.amdhsa_user_sgpr_dispatch_id 0
		.amdhsa_user_sgpr_private_segment_size 0
		.amdhsa_wavefront_size32 1
		.amdhsa_uses_dynamic_stack 0
		.amdhsa_enable_private_segment 0
		.amdhsa_system_sgpr_workgroup_id_x 1
		.amdhsa_system_sgpr_workgroup_id_y 0
		.amdhsa_system_sgpr_workgroup_id_z 0
		.amdhsa_system_sgpr_workgroup_info 0
		.amdhsa_system_vgpr_workitem_id 0
		.amdhsa_next_free_vgpr 1
		.amdhsa_next_free_sgpr 1
		.amdhsa_reserve_vcc 0
		.amdhsa_float_round_mode_32 0
		.amdhsa_float_round_mode_16_64 0
		.amdhsa_float_denorm_mode_32 3
		.amdhsa_float_denorm_mode_16_64 3
		.amdhsa_dx10_clamp 1
		.amdhsa_ieee_mode 1
		.amdhsa_fp16_overflow 0
		.amdhsa_workgroup_processor_mode 1
		.amdhsa_memory_ordered 1
		.amdhsa_forward_progress 0
		.amdhsa_shared_vgpr_count 0
		.amdhsa_exception_fp_ieee_invalid_op 0
		.amdhsa_exception_fp_denorm_src 0
		.amdhsa_exception_fp_ieee_div_zero 0
		.amdhsa_exception_fp_ieee_overflow 0
		.amdhsa_exception_fp_ieee_underflow 0
		.amdhsa_exception_fp_ieee_inexact 0
		.amdhsa_exception_int_div_zero 0
	.end_amdhsa_kernel
	.section	.text._ZN7rocprim17ROCPRIM_400000_NS6detail17trampoline_kernelINS0_14default_configENS1_29reduce_by_key_config_selectorIyyN6thrust23THRUST_200600_302600_NS4plusIyEEEEZZNS1_33reduce_by_key_impl_wrapped_configILNS1_25lookback_scan_determinismE0ES3_S9_NS6_6detail15normal_iteratorINS6_10device_ptrIyEEEESG_SG_SG_PmS8_NS6_8equal_toIyEEEE10hipError_tPvRmT2_T3_mT4_T5_T6_T7_T8_P12ihipStream_tbENKUlT_T0_E_clISt17integral_constantIbLb1EES11_EEDaSW_SX_EUlSW_E_NS1_11comp_targetILNS1_3genE4ELNS1_11target_archE910ELNS1_3gpuE8ELNS1_3repE0EEENS1_30default_config_static_selectorELNS0_4arch9wavefront6targetE0EEEvT1_,"axG",@progbits,_ZN7rocprim17ROCPRIM_400000_NS6detail17trampoline_kernelINS0_14default_configENS1_29reduce_by_key_config_selectorIyyN6thrust23THRUST_200600_302600_NS4plusIyEEEEZZNS1_33reduce_by_key_impl_wrapped_configILNS1_25lookback_scan_determinismE0ES3_S9_NS6_6detail15normal_iteratorINS6_10device_ptrIyEEEESG_SG_SG_PmS8_NS6_8equal_toIyEEEE10hipError_tPvRmT2_T3_mT4_T5_T6_T7_T8_P12ihipStream_tbENKUlT_T0_E_clISt17integral_constantIbLb1EES11_EEDaSW_SX_EUlSW_E_NS1_11comp_targetILNS1_3genE4ELNS1_11target_archE910ELNS1_3gpuE8ELNS1_3repE0EEENS1_30default_config_static_selectorELNS0_4arch9wavefront6targetE0EEEvT1_,comdat
.Lfunc_end250:
	.size	_ZN7rocprim17ROCPRIM_400000_NS6detail17trampoline_kernelINS0_14default_configENS1_29reduce_by_key_config_selectorIyyN6thrust23THRUST_200600_302600_NS4plusIyEEEEZZNS1_33reduce_by_key_impl_wrapped_configILNS1_25lookback_scan_determinismE0ES3_S9_NS6_6detail15normal_iteratorINS6_10device_ptrIyEEEESG_SG_SG_PmS8_NS6_8equal_toIyEEEE10hipError_tPvRmT2_T3_mT4_T5_T6_T7_T8_P12ihipStream_tbENKUlT_T0_E_clISt17integral_constantIbLb1EES11_EEDaSW_SX_EUlSW_E_NS1_11comp_targetILNS1_3genE4ELNS1_11target_archE910ELNS1_3gpuE8ELNS1_3repE0EEENS1_30default_config_static_selectorELNS0_4arch9wavefront6targetE0EEEvT1_, .Lfunc_end250-_ZN7rocprim17ROCPRIM_400000_NS6detail17trampoline_kernelINS0_14default_configENS1_29reduce_by_key_config_selectorIyyN6thrust23THRUST_200600_302600_NS4plusIyEEEEZZNS1_33reduce_by_key_impl_wrapped_configILNS1_25lookback_scan_determinismE0ES3_S9_NS6_6detail15normal_iteratorINS6_10device_ptrIyEEEESG_SG_SG_PmS8_NS6_8equal_toIyEEEE10hipError_tPvRmT2_T3_mT4_T5_T6_T7_T8_P12ihipStream_tbENKUlT_T0_E_clISt17integral_constantIbLb1EES11_EEDaSW_SX_EUlSW_E_NS1_11comp_targetILNS1_3genE4ELNS1_11target_archE910ELNS1_3gpuE8ELNS1_3repE0EEENS1_30default_config_static_selectorELNS0_4arch9wavefront6targetE0EEEvT1_
                                        ; -- End function
	.section	.AMDGPU.csdata,"",@progbits
; Kernel info:
; codeLenInByte = 0
; NumSgprs: 0
; NumVgprs: 0
; ScratchSize: 0
; MemoryBound: 0
; FloatMode: 240
; IeeeMode: 1
; LDSByteSize: 0 bytes/workgroup (compile time only)
; SGPRBlocks: 0
; VGPRBlocks: 0
; NumSGPRsForWavesPerEU: 1
; NumVGPRsForWavesPerEU: 1
; Occupancy: 16
; WaveLimiterHint : 0
; COMPUTE_PGM_RSRC2:SCRATCH_EN: 0
; COMPUTE_PGM_RSRC2:USER_SGPR: 15
; COMPUTE_PGM_RSRC2:TRAP_HANDLER: 0
; COMPUTE_PGM_RSRC2:TGID_X_EN: 1
; COMPUTE_PGM_RSRC2:TGID_Y_EN: 0
; COMPUTE_PGM_RSRC2:TGID_Z_EN: 0
; COMPUTE_PGM_RSRC2:TIDIG_COMP_CNT: 0
	.section	.text._ZN7rocprim17ROCPRIM_400000_NS6detail17trampoline_kernelINS0_14default_configENS1_29reduce_by_key_config_selectorIyyN6thrust23THRUST_200600_302600_NS4plusIyEEEEZZNS1_33reduce_by_key_impl_wrapped_configILNS1_25lookback_scan_determinismE0ES3_S9_NS6_6detail15normal_iteratorINS6_10device_ptrIyEEEESG_SG_SG_PmS8_NS6_8equal_toIyEEEE10hipError_tPvRmT2_T3_mT4_T5_T6_T7_T8_P12ihipStream_tbENKUlT_T0_E_clISt17integral_constantIbLb1EES11_EEDaSW_SX_EUlSW_E_NS1_11comp_targetILNS1_3genE3ELNS1_11target_archE908ELNS1_3gpuE7ELNS1_3repE0EEENS1_30default_config_static_selectorELNS0_4arch9wavefront6targetE0EEEvT1_,"axG",@progbits,_ZN7rocprim17ROCPRIM_400000_NS6detail17trampoline_kernelINS0_14default_configENS1_29reduce_by_key_config_selectorIyyN6thrust23THRUST_200600_302600_NS4plusIyEEEEZZNS1_33reduce_by_key_impl_wrapped_configILNS1_25lookback_scan_determinismE0ES3_S9_NS6_6detail15normal_iteratorINS6_10device_ptrIyEEEESG_SG_SG_PmS8_NS6_8equal_toIyEEEE10hipError_tPvRmT2_T3_mT4_T5_T6_T7_T8_P12ihipStream_tbENKUlT_T0_E_clISt17integral_constantIbLb1EES11_EEDaSW_SX_EUlSW_E_NS1_11comp_targetILNS1_3genE3ELNS1_11target_archE908ELNS1_3gpuE7ELNS1_3repE0EEENS1_30default_config_static_selectorELNS0_4arch9wavefront6targetE0EEEvT1_,comdat
	.protected	_ZN7rocprim17ROCPRIM_400000_NS6detail17trampoline_kernelINS0_14default_configENS1_29reduce_by_key_config_selectorIyyN6thrust23THRUST_200600_302600_NS4plusIyEEEEZZNS1_33reduce_by_key_impl_wrapped_configILNS1_25lookback_scan_determinismE0ES3_S9_NS6_6detail15normal_iteratorINS6_10device_ptrIyEEEESG_SG_SG_PmS8_NS6_8equal_toIyEEEE10hipError_tPvRmT2_T3_mT4_T5_T6_T7_T8_P12ihipStream_tbENKUlT_T0_E_clISt17integral_constantIbLb1EES11_EEDaSW_SX_EUlSW_E_NS1_11comp_targetILNS1_3genE3ELNS1_11target_archE908ELNS1_3gpuE7ELNS1_3repE0EEENS1_30default_config_static_selectorELNS0_4arch9wavefront6targetE0EEEvT1_ ; -- Begin function _ZN7rocprim17ROCPRIM_400000_NS6detail17trampoline_kernelINS0_14default_configENS1_29reduce_by_key_config_selectorIyyN6thrust23THRUST_200600_302600_NS4plusIyEEEEZZNS1_33reduce_by_key_impl_wrapped_configILNS1_25lookback_scan_determinismE0ES3_S9_NS6_6detail15normal_iteratorINS6_10device_ptrIyEEEESG_SG_SG_PmS8_NS6_8equal_toIyEEEE10hipError_tPvRmT2_T3_mT4_T5_T6_T7_T8_P12ihipStream_tbENKUlT_T0_E_clISt17integral_constantIbLb1EES11_EEDaSW_SX_EUlSW_E_NS1_11comp_targetILNS1_3genE3ELNS1_11target_archE908ELNS1_3gpuE7ELNS1_3repE0EEENS1_30default_config_static_selectorELNS0_4arch9wavefront6targetE0EEEvT1_
	.globl	_ZN7rocprim17ROCPRIM_400000_NS6detail17trampoline_kernelINS0_14default_configENS1_29reduce_by_key_config_selectorIyyN6thrust23THRUST_200600_302600_NS4plusIyEEEEZZNS1_33reduce_by_key_impl_wrapped_configILNS1_25lookback_scan_determinismE0ES3_S9_NS6_6detail15normal_iteratorINS6_10device_ptrIyEEEESG_SG_SG_PmS8_NS6_8equal_toIyEEEE10hipError_tPvRmT2_T3_mT4_T5_T6_T7_T8_P12ihipStream_tbENKUlT_T0_E_clISt17integral_constantIbLb1EES11_EEDaSW_SX_EUlSW_E_NS1_11comp_targetILNS1_3genE3ELNS1_11target_archE908ELNS1_3gpuE7ELNS1_3repE0EEENS1_30default_config_static_selectorELNS0_4arch9wavefront6targetE0EEEvT1_
	.p2align	8
	.type	_ZN7rocprim17ROCPRIM_400000_NS6detail17trampoline_kernelINS0_14default_configENS1_29reduce_by_key_config_selectorIyyN6thrust23THRUST_200600_302600_NS4plusIyEEEEZZNS1_33reduce_by_key_impl_wrapped_configILNS1_25lookback_scan_determinismE0ES3_S9_NS6_6detail15normal_iteratorINS6_10device_ptrIyEEEESG_SG_SG_PmS8_NS6_8equal_toIyEEEE10hipError_tPvRmT2_T3_mT4_T5_T6_T7_T8_P12ihipStream_tbENKUlT_T0_E_clISt17integral_constantIbLb1EES11_EEDaSW_SX_EUlSW_E_NS1_11comp_targetILNS1_3genE3ELNS1_11target_archE908ELNS1_3gpuE7ELNS1_3repE0EEENS1_30default_config_static_selectorELNS0_4arch9wavefront6targetE0EEEvT1_,@function
_ZN7rocprim17ROCPRIM_400000_NS6detail17trampoline_kernelINS0_14default_configENS1_29reduce_by_key_config_selectorIyyN6thrust23THRUST_200600_302600_NS4plusIyEEEEZZNS1_33reduce_by_key_impl_wrapped_configILNS1_25lookback_scan_determinismE0ES3_S9_NS6_6detail15normal_iteratorINS6_10device_ptrIyEEEESG_SG_SG_PmS8_NS6_8equal_toIyEEEE10hipError_tPvRmT2_T3_mT4_T5_T6_T7_T8_P12ihipStream_tbENKUlT_T0_E_clISt17integral_constantIbLb1EES11_EEDaSW_SX_EUlSW_E_NS1_11comp_targetILNS1_3genE3ELNS1_11target_archE908ELNS1_3gpuE7ELNS1_3repE0EEENS1_30default_config_static_selectorELNS0_4arch9wavefront6targetE0EEEvT1_: ; @_ZN7rocprim17ROCPRIM_400000_NS6detail17trampoline_kernelINS0_14default_configENS1_29reduce_by_key_config_selectorIyyN6thrust23THRUST_200600_302600_NS4plusIyEEEEZZNS1_33reduce_by_key_impl_wrapped_configILNS1_25lookback_scan_determinismE0ES3_S9_NS6_6detail15normal_iteratorINS6_10device_ptrIyEEEESG_SG_SG_PmS8_NS6_8equal_toIyEEEE10hipError_tPvRmT2_T3_mT4_T5_T6_T7_T8_P12ihipStream_tbENKUlT_T0_E_clISt17integral_constantIbLb1EES11_EEDaSW_SX_EUlSW_E_NS1_11comp_targetILNS1_3genE3ELNS1_11target_archE908ELNS1_3gpuE7ELNS1_3repE0EEENS1_30default_config_static_selectorELNS0_4arch9wavefront6targetE0EEEvT1_
; %bb.0:
	.section	.rodata,"a",@progbits
	.p2align	6, 0x0
	.amdhsa_kernel _ZN7rocprim17ROCPRIM_400000_NS6detail17trampoline_kernelINS0_14default_configENS1_29reduce_by_key_config_selectorIyyN6thrust23THRUST_200600_302600_NS4plusIyEEEEZZNS1_33reduce_by_key_impl_wrapped_configILNS1_25lookback_scan_determinismE0ES3_S9_NS6_6detail15normal_iteratorINS6_10device_ptrIyEEEESG_SG_SG_PmS8_NS6_8equal_toIyEEEE10hipError_tPvRmT2_T3_mT4_T5_T6_T7_T8_P12ihipStream_tbENKUlT_T0_E_clISt17integral_constantIbLb1EES11_EEDaSW_SX_EUlSW_E_NS1_11comp_targetILNS1_3genE3ELNS1_11target_archE908ELNS1_3gpuE7ELNS1_3repE0EEENS1_30default_config_static_selectorELNS0_4arch9wavefront6targetE0EEEvT1_
		.amdhsa_group_segment_fixed_size 0
		.amdhsa_private_segment_fixed_size 0
		.amdhsa_kernarg_size 136
		.amdhsa_user_sgpr_count 15
		.amdhsa_user_sgpr_dispatch_ptr 0
		.amdhsa_user_sgpr_queue_ptr 0
		.amdhsa_user_sgpr_kernarg_segment_ptr 1
		.amdhsa_user_sgpr_dispatch_id 0
		.amdhsa_user_sgpr_private_segment_size 0
		.amdhsa_wavefront_size32 1
		.amdhsa_uses_dynamic_stack 0
		.amdhsa_enable_private_segment 0
		.amdhsa_system_sgpr_workgroup_id_x 1
		.amdhsa_system_sgpr_workgroup_id_y 0
		.amdhsa_system_sgpr_workgroup_id_z 0
		.amdhsa_system_sgpr_workgroup_info 0
		.amdhsa_system_vgpr_workitem_id 0
		.amdhsa_next_free_vgpr 1
		.amdhsa_next_free_sgpr 1
		.amdhsa_reserve_vcc 0
		.amdhsa_float_round_mode_32 0
		.amdhsa_float_round_mode_16_64 0
		.amdhsa_float_denorm_mode_32 3
		.amdhsa_float_denorm_mode_16_64 3
		.amdhsa_dx10_clamp 1
		.amdhsa_ieee_mode 1
		.amdhsa_fp16_overflow 0
		.amdhsa_workgroup_processor_mode 1
		.amdhsa_memory_ordered 1
		.amdhsa_forward_progress 0
		.amdhsa_shared_vgpr_count 0
		.amdhsa_exception_fp_ieee_invalid_op 0
		.amdhsa_exception_fp_denorm_src 0
		.amdhsa_exception_fp_ieee_div_zero 0
		.amdhsa_exception_fp_ieee_overflow 0
		.amdhsa_exception_fp_ieee_underflow 0
		.amdhsa_exception_fp_ieee_inexact 0
		.amdhsa_exception_int_div_zero 0
	.end_amdhsa_kernel
	.section	.text._ZN7rocprim17ROCPRIM_400000_NS6detail17trampoline_kernelINS0_14default_configENS1_29reduce_by_key_config_selectorIyyN6thrust23THRUST_200600_302600_NS4plusIyEEEEZZNS1_33reduce_by_key_impl_wrapped_configILNS1_25lookback_scan_determinismE0ES3_S9_NS6_6detail15normal_iteratorINS6_10device_ptrIyEEEESG_SG_SG_PmS8_NS6_8equal_toIyEEEE10hipError_tPvRmT2_T3_mT4_T5_T6_T7_T8_P12ihipStream_tbENKUlT_T0_E_clISt17integral_constantIbLb1EES11_EEDaSW_SX_EUlSW_E_NS1_11comp_targetILNS1_3genE3ELNS1_11target_archE908ELNS1_3gpuE7ELNS1_3repE0EEENS1_30default_config_static_selectorELNS0_4arch9wavefront6targetE0EEEvT1_,"axG",@progbits,_ZN7rocprim17ROCPRIM_400000_NS6detail17trampoline_kernelINS0_14default_configENS1_29reduce_by_key_config_selectorIyyN6thrust23THRUST_200600_302600_NS4plusIyEEEEZZNS1_33reduce_by_key_impl_wrapped_configILNS1_25lookback_scan_determinismE0ES3_S9_NS6_6detail15normal_iteratorINS6_10device_ptrIyEEEESG_SG_SG_PmS8_NS6_8equal_toIyEEEE10hipError_tPvRmT2_T3_mT4_T5_T6_T7_T8_P12ihipStream_tbENKUlT_T0_E_clISt17integral_constantIbLb1EES11_EEDaSW_SX_EUlSW_E_NS1_11comp_targetILNS1_3genE3ELNS1_11target_archE908ELNS1_3gpuE7ELNS1_3repE0EEENS1_30default_config_static_selectorELNS0_4arch9wavefront6targetE0EEEvT1_,comdat
.Lfunc_end251:
	.size	_ZN7rocprim17ROCPRIM_400000_NS6detail17trampoline_kernelINS0_14default_configENS1_29reduce_by_key_config_selectorIyyN6thrust23THRUST_200600_302600_NS4plusIyEEEEZZNS1_33reduce_by_key_impl_wrapped_configILNS1_25lookback_scan_determinismE0ES3_S9_NS6_6detail15normal_iteratorINS6_10device_ptrIyEEEESG_SG_SG_PmS8_NS6_8equal_toIyEEEE10hipError_tPvRmT2_T3_mT4_T5_T6_T7_T8_P12ihipStream_tbENKUlT_T0_E_clISt17integral_constantIbLb1EES11_EEDaSW_SX_EUlSW_E_NS1_11comp_targetILNS1_3genE3ELNS1_11target_archE908ELNS1_3gpuE7ELNS1_3repE0EEENS1_30default_config_static_selectorELNS0_4arch9wavefront6targetE0EEEvT1_, .Lfunc_end251-_ZN7rocprim17ROCPRIM_400000_NS6detail17trampoline_kernelINS0_14default_configENS1_29reduce_by_key_config_selectorIyyN6thrust23THRUST_200600_302600_NS4plusIyEEEEZZNS1_33reduce_by_key_impl_wrapped_configILNS1_25lookback_scan_determinismE0ES3_S9_NS6_6detail15normal_iteratorINS6_10device_ptrIyEEEESG_SG_SG_PmS8_NS6_8equal_toIyEEEE10hipError_tPvRmT2_T3_mT4_T5_T6_T7_T8_P12ihipStream_tbENKUlT_T0_E_clISt17integral_constantIbLb1EES11_EEDaSW_SX_EUlSW_E_NS1_11comp_targetILNS1_3genE3ELNS1_11target_archE908ELNS1_3gpuE7ELNS1_3repE0EEENS1_30default_config_static_selectorELNS0_4arch9wavefront6targetE0EEEvT1_
                                        ; -- End function
	.section	.AMDGPU.csdata,"",@progbits
; Kernel info:
; codeLenInByte = 0
; NumSgprs: 0
; NumVgprs: 0
; ScratchSize: 0
; MemoryBound: 0
; FloatMode: 240
; IeeeMode: 1
; LDSByteSize: 0 bytes/workgroup (compile time only)
; SGPRBlocks: 0
; VGPRBlocks: 0
; NumSGPRsForWavesPerEU: 1
; NumVGPRsForWavesPerEU: 1
; Occupancy: 16
; WaveLimiterHint : 0
; COMPUTE_PGM_RSRC2:SCRATCH_EN: 0
; COMPUTE_PGM_RSRC2:USER_SGPR: 15
; COMPUTE_PGM_RSRC2:TRAP_HANDLER: 0
; COMPUTE_PGM_RSRC2:TGID_X_EN: 1
; COMPUTE_PGM_RSRC2:TGID_Y_EN: 0
; COMPUTE_PGM_RSRC2:TGID_Z_EN: 0
; COMPUTE_PGM_RSRC2:TIDIG_COMP_CNT: 0
	.section	.text._ZN7rocprim17ROCPRIM_400000_NS6detail17trampoline_kernelINS0_14default_configENS1_29reduce_by_key_config_selectorIyyN6thrust23THRUST_200600_302600_NS4plusIyEEEEZZNS1_33reduce_by_key_impl_wrapped_configILNS1_25lookback_scan_determinismE0ES3_S9_NS6_6detail15normal_iteratorINS6_10device_ptrIyEEEESG_SG_SG_PmS8_NS6_8equal_toIyEEEE10hipError_tPvRmT2_T3_mT4_T5_T6_T7_T8_P12ihipStream_tbENKUlT_T0_E_clISt17integral_constantIbLb1EES11_EEDaSW_SX_EUlSW_E_NS1_11comp_targetILNS1_3genE2ELNS1_11target_archE906ELNS1_3gpuE6ELNS1_3repE0EEENS1_30default_config_static_selectorELNS0_4arch9wavefront6targetE0EEEvT1_,"axG",@progbits,_ZN7rocprim17ROCPRIM_400000_NS6detail17trampoline_kernelINS0_14default_configENS1_29reduce_by_key_config_selectorIyyN6thrust23THRUST_200600_302600_NS4plusIyEEEEZZNS1_33reduce_by_key_impl_wrapped_configILNS1_25lookback_scan_determinismE0ES3_S9_NS6_6detail15normal_iteratorINS6_10device_ptrIyEEEESG_SG_SG_PmS8_NS6_8equal_toIyEEEE10hipError_tPvRmT2_T3_mT4_T5_T6_T7_T8_P12ihipStream_tbENKUlT_T0_E_clISt17integral_constantIbLb1EES11_EEDaSW_SX_EUlSW_E_NS1_11comp_targetILNS1_3genE2ELNS1_11target_archE906ELNS1_3gpuE6ELNS1_3repE0EEENS1_30default_config_static_selectorELNS0_4arch9wavefront6targetE0EEEvT1_,comdat
	.protected	_ZN7rocprim17ROCPRIM_400000_NS6detail17trampoline_kernelINS0_14default_configENS1_29reduce_by_key_config_selectorIyyN6thrust23THRUST_200600_302600_NS4plusIyEEEEZZNS1_33reduce_by_key_impl_wrapped_configILNS1_25lookback_scan_determinismE0ES3_S9_NS6_6detail15normal_iteratorINS6_10device_ptrIyEEEESG_SG_SG_PmS8_NS6_8equal_toIyEEEE10hipError_tPvRmT2_T3_mT4_T5_T6_T7_T8_P12ihipStream_tbENKUlT_T0_E_clISt17integral_constantIbLb1EES11_EEDaSW_SX_EUlSW_E_NS1_11comp_targetILNS1_3genE2ELNS1_11target_archE906ELNS1_3gpuE6ELNS1_3repE0EEENS1_30default_config_static_selectorELNS0_4arch9wavefront6targetE0EEEvT1_ ; -- Begin function _ZN7rocprim17ROCPRIM_400000_NS6detail17trampoline_kernelINS0_14default_configENS1_29reduce_by_key_config_selectorIyyN6thrust23THRUST_200600_302600_NS4plusIyEEEEZZNS1_33reduce_by_key_impl_wrapped_configILNS1_25lookback_scan_determinismE0ES3_S9_NS6_6detail15normal_iteratorINS6_10device_ptrIyEEEESG_SG_SG_PmS8_NS6_8equal_toIyEEEE10hipError_tPvRmT2_T3_mT4_T5_T6_T7_T8_P12ihipStream_tbENKUlT_T0_E_clISt17integral_constantIbLb1EES11_EEDaSW_SX_EUlSW_E_NS1_11comp_targetILNS1_3genE2ELNS1_11target_archE906ELNS1_3gpuE6ELNS1_3repE0EEENS1_30default_config_static_selectorELNS0_4arch9wavefront6targetE0EEEvT1_
	.globl	_ZN7rocprim17ROCPRIM_400000_NS6detail17trampoline_kernelINS0_14default_configENS1_29reduce_by_key_config_selectorIyyN6thrust23THRUST_200600_302600_NS4plusIyEEEEZZNS1_33reduce_by_key_impl_wrapped_configILNS1_25lookback_scan_determinismE0ES3_S9_NS6_6detail15normal_iteratorINS6_10device_ptrIyEEEESG_SG_SG_PmS8_NS6_8equal_toIyEEEE10hipError_tPvRmT2_T3_mT4_T5_T6_T7_T8_P12ihipStream_tbENKUlT_T0_E_clISt17integral_constantIbLb1EES11_EEDaSW_SX_EUlSW_E_NS1_11comp_targetILNS1_3genE2ELNS1_11target_archE906ELNS1_3gpuE6ELNS1_3repE0EEENS1_30default_config_static_selectorELNS0_4arch9wavefront6targetE0EEEvT1_
	.p2align	8
	.type	_ZN7rocprim17ROCPRIM_400000_NS6detail17trampoline_kernelINS0_14default_configENS1_29reduce_by_key_config_selectorIyyN6thrust23THRUST_200600_302600_NS4plusIyEEEEZZNS1_33reduce_by_key_impl_wrapped_configILNS1_25lookback_scan_determinismE0ES3_S9_NS6_6detail15normal_iteratorINS6_10device_ptrIyEEEESG_SG_SG_PmS8_NS6_8equal_toIyEEEE10hipError_tPvRmT2_T3_mT4_T5_T6_T7_T8_P12ihipStream_tbENKUlT_T0_E_clISt17integral_constantIbLb1EES11_EEDaSW_SX_EUlSW_E_NS1_11comp_targetILNS1_3genE2ELNS1_11target_archE906ELNS1_3gpuE6ELNS1_3repE0EEENS1_30default_config_static_selectorELNS0_4arch9wavefront6targetE0EEEvT1_,@function
_ZN7rocprim17ROCPRIM_400000_NS6detail17trampoline_kernelINS0_14default_configENS1_29reduce_by_key_config_selectorIyyN6thrust23THRUST_200600_302600_NS4plusIyEEEEZZNS1_33reduce_by_key_impl_wrapped_configILNS1_25lookback_scan_determinismE0ES3_S9_NS6_6detail15normal_iteratorINS6_10device_ptrIyEEEESG_SG_SG_PmS8_NS6_8equal_toIyEEEE10hipError_tPvRmT2_T3_mT4_T5_T6_T7_T8_P12ihipStream_tbENKUlT_T0_E_clISt17integral_constantIbLb1EES11_EEDaSW_SX_EUlSW_E_NS1_11comp_targetILNS1_3genE2ELNS1_11target_archE906ELNS1_3gpuE6ELNS1_3repE0EEENS1_30default_config_static_selectorELNS0_4arch9wavefront6targetE0EEEvT1_: ; @_ZN7rocprim17ROCPRIM_400000_NS6detail17trampoline_kernelINS0_14default_configENS1_29reduce_by_key_config_selectorIyyN6thrust23THRUST_200600_302600_NS4plusIyEEEEZZNS1_33reduce_by_key_impl_wrapped_configILNS1_25lookback_scan_determinismE0ES3_S9_NS6_6detail15normal_iteratorINS6_10device_ptrIyEEEESG_SG_SG_PmS8_NS6_8equal_toIyEEEE10hipError_tPvRmT2_T3_mT4_T5_T6_T7_T8_P12ihipStream_tbENKUlT_T0_E_clISt17integral_constantIbLb1EES11_EEDaSW_SX_EUlSW_E_NS1_11comp_targetILNS1_3genE2ELNS1_11target_archE906ELNS1_3gpuE6ELNS1_3repE0EEENS1_30default_config_static_selectorELNS0_4arch9wavefront6targetE0EEEvT1_
; %bb.0:
	.section	.rodata,"a",@progbits
	.p2align	6, 0x0
	.amdhsa_kernel _ZN7rocprim17ROCPRIM_400000_NS6detail17trampoline_kernelINS0_14default_configENS1_29reduce_by_key_config_selectorIyyN6thrust23THRUST_200600_302600_NS4plusIyEEEEZZNS1_33reduce_by_key_impl_wrapped_configILNS1_25lookback_scan_determinismE0ES3_S9_NS6_6detail15normal_iteratorINS6_10device_ptrIyEEEESG_SG_SG_PmS8_NS6_8equal_toIyEEEE10hipError_tPvRmT2_T3_mT4_T5_T6_T7_T8_P12ihipStream_tbENKUlT_T0_E_clISt17integral_constantIbLb1EES11_EEDaSW_SX_EUlSW_E_NS1_11comp_targetILNS1_3genE2ELNS1_11target_archE906ELNS1_3gpuE6ELNS1_3repE0EEENS1_30default_config_static_selectorELNS0_4arch9wavefront6targetE0EEEvT1_
		.amdhsa_group_segment_fixed_size 0
		.amdhsa_private_segment_fixed_size 0
		.amdhsa_kernarg_size 136
		.amdhsa_user_sgpr_count 15
		.amdhsa_user_sgpr_dispatch_ptr 0
		.amdhsa_user_sgpr_queue_ptr 0
		.amdhsa_user_sgpr_kernarg_segment_ptr 1
		.amdhsa_user_sgpr_dispatch_id 0
		.amdhsa_user_sgpr_private_segment_size 0
		.amdhsa_wavefront_size32 1
		.amdhsa_uses_dynamic_stack 0
		.amdhsa_enable_private_segment 0
		.amdhsa_system_sgpr_workgroup_id_x 1
		.amdhsa_system_sgpr_workgroup_id_y 0
		.amdhsa_system_sgpr_workgroup_id_z 0
		.amdhsa_system_sgpr_workgroup_info 0
		.amdhsa_system_vgpr_workitem_id 0
		.amdhsa_next_free_vgpr 1
		.amdhsa_next_free_sgpr 1
		.amdhsa_reserve_vcc 0
		.amdhsa_float_round_mode_32 0
		.amdhsa_float_round_mode_16_64 0
		.amdhsa_float_denorm_mode_32 3
		.amdhsa_float_denorm_mode_16_64 3
		.amdhsa_dx10_clamp 1
		.amdhsa_ieee_mode 1
		.amdhsa_fp16_overflow 0
		.amdhsa_workgroup_processor_mode 1
		.amdhsa_memory_ordered 1
		.amdhsa_forward_progress 0
		.amdhsa_shared_vgpr_count 0
		.amdhsa_exception_fp_ieee_invalid_op 0
		.amdhsa_exception_fp_denorm_src 0
		.amdhsa_exception_fp_ieee_div_zero 0
		.amdhsa_exception_fp_ieee_overflow 0
		.amdhsa_exception_fp_ieee_underflow 0
		.amdhsa_exception_fp_ieee_inexact 0
		.amdhsa_exception_int_div_zero 0
	.end_amdhsa_kernel
	.section	.text._ZN7rocprim17ROCPRIM_400000_NS6detail17trampoline_kernelINS0_14default_configENS1_29reduce_by_key_config_selectorIyyN6thrust23THRUST_200600_302600_NS4plusIyEEEEZZNS1_33reduce_by_key_impl_wrapped_configILNS1_25lookback_scan_determinismE0ES3_S9_NS6_6detail15normal_iteratorINS6_10device_ptrIyEEEESG_SG_SG_PmS8_NS6_8equal_toIyEEEE10hipError_tPvRmT2_T3_mT4_T5_T6_T7_T8_P12ihipStream_tbENKUlT_T0_E_clISt17integral_constantIbLb1EES11_EEDaSW_SX_EUlSW_E_NS1_11comp_targetILNS1_3genE2ELNS1_11target_archE906ELNS1_3gpuE6ELNS1_3repE0EEENS1_30default_config_static_selectorELNS0_4arch9wavefront6targetE0EEEvT1_,"axG",@progbits,_ZN7rocprim17ROCPRIM_400000_NS6detail17trampoline_kernelINS0_14default_configENS1_29reduce_by_key_config_selectorIyyN6thrust23THRUST_200600_302600_NS4plusIyEEEEZZNS1_33reduce_by_key_impl_wrapped_configILNS1_25lookback_scan_determinismE0ES3_S9_NS6_6detail15normal_iteratorINS6_10device_ptrIyEEEESG_SG_SG_PmS8_NS6_8equal_toIyEEEE10hipError_tPvRmT2_T3_mT4_T5_T6_T7_T8_P12ihipStream_tbENKUlT_T0_E_clISt17integral_constantIbLb1EES11_EEDaSW_SX_EUlSW_E_NS1_11comp_targetILNS1_3genE2ELNS1_11target_archE906ELNS1_3gpuE6ELNS1_3repE0EEENS1_30default_config_static_selectorELNS0_4arch9wavefront6targetE0EEEvT1_,comdat
.Lfunc_end252:
	.size	_ZN7rocprim17ROCPRIM_400000_NS6detail17trampoline_kernelINS0_14default_configENS1_29reduce_by_key_config_selectorIyyN6thrust23THRUST_200600_302600_NS4plusIyEEEEZZNS1_33reduce_by_key_impl_wrapped_configILNS1_25lookback_scan_determinismE0ES3_S9_NS6_6detail15normal_iteratorINS6_10device_ptrIyEEEESG_SG_SG_PmS8_NS6_8equal_toIyEEEE10hipError_tPvRmT2_T3_mT4_T5_T6_T7_T8_P12ihipStream_tbENKUlT_T0_E_clISt17integral_constantIbLb1EES11_EEDaSW_SX_EUlSW_E_NS1_11comp_targetILNS1_3genE2ELNS1_11target_archE906ELNS1_3gpuE6ELNS1_3repE0EEENS1_30default_config_static_selectorELNS0_4arch9wavefront6targetE0EEEvT1_, .Lfunc_end252-_ZN7rocprim17ROCPRIM_400000_NS6detail17trampoline_kernelINS0_14default_configENS1_29reduce_by_key_config_selectorIyyN6thrust23THRUST_200600_302600_NS4plusIyEEEEZZNS1_33reduce_by_key_impl_wrapped_configILNS1_25lookback_scan_determinismE0ES3_S9_NS6_6detail15normal_iteratorINS6_10device_ptrIyEEEESG_SG_SG_PmS8_NS6_8equal_toIyEEEE10hipError_tPvRmT2_T3_mT4_T5_T6_T7_T8_P12ihipStream_tbENKUlT_T0_E_clISt17integral_constantIbLb1EES11_EEDaSW_SX_EUlSW_E_NS1_11comp_targetILNS1_3genE2ELNS1_11target_archE906ELNS1_3gpuE6ELNS1_3repE0EEENS1_30default_config_static_selectorELNS0_4arch9wavefront6targetE0EEEvT1_
                                        ; -- End function
	.section	.AMDGPU.csdata,"",@progbits
; Kernel info:
; codeLenInByte = 0
; NumSgprs: 0
; NumVgprs: 0
; ScratchSize: 0
; MemoryBound: 0
; FloatMode: 240
; IeeeMode: 1
; LDSByteSize: 0 bytes/workgroup (compile time only)
; SGPRBlocks: 0
; VGPRBlocks: 0
; NumSGPRsForWavesPerEU: 1
; NumVGPRsForWavesPerEU: 1
; Occupancy: 16
; WaveLimiterHint : 0
; COMPUTE_PGM_RSRC2:SCRATCH_EN: 0
; COMPUTE_PGM_RSRC2:USER_SGPR: 15
; COMPUTE_PGM_RSRC2:TRAP_HANDLER: 0
; COMPUTE_PGM_RSRC2:TGID_X_EN: 1
; COMPUTE_PGM_RSRC2:TGID_Y_EN: 0
; COMPUTE_PGM_RSRC2:TGID_Z_EN: 0
; COMPUTE_PGM_RSRC2:TIDIG_COMP_CNT: 0
	.section	.text._ZN7rocprim17ROCPRIM_400000_NS6detail17trampoline_kernelINS0_14default_configENS1_29reduce_by_key_config_selectorIyyN6thrust23THRUST_200600_302600_NS4plusIyEEEEZZNS1_33reduce_by_key_impl_wrapped_configILNS1_25lookback_scan_determinismE0ES3_S9_NS6_6detail15normal_iteratorINS6_10device_ptrIyEEEESG_SG_SG_PmS8_NS6_8equal_toIyEEEE10hipError_tPvRmT2_T3_mT4_T5_T6_T7_T8_P12ihipStream_tbENKUlT_T0_E_clISt17integral_constantIbLb1EES11_EEDaSW_SX_EUlSW_E_NS1_11comp_targetILNS1_3genE10ELNS1_11target_archE1201ELNS1_3gpuE5ELNS1_3repE0EEENS1_30default_config_static_selectorELNS0_4arch9wavefront6targetE0EEEvT1_,"axG",@progbits,_ZN7rocprim17ROCPRIM_400000_NS6detail17trampoline_kernelINS0_14default_configENS1_29reduce_by_key_config_selectorIyyN6thrust23THRUST_200600_302600_NS4plusIyEEEEZZNS1_33reduce_by_key_impl_wrapped_configILNS1_25lookback_scan_determinismE0ES3_S9_NS6_6detail15normal_iteratorINS6_10device_ptrIyEEEESG_SG_SG_PmS8_NS6_8equal_toIyEEEE10hipError_tPvRmT2_T3_mT4_T5_T6_T7_T8_P12ihipStream_tbENKUlT_T0_E_clISt17integral_constantIbLb1EES11_EEDaSW_SX_EUlSW_E_NS1_11comp_targetILNS1_3genE10ELNS1_11target_archE1201ELNS1_3gpuE5ELNS1_3repE0EEENS1_30default_config_static_selectorELNS0_4arch9wavefront6targetE0EEEvT1_,comdat
	.protected	_ZN7rocprim17ROCPRIM_400000_NS6detail17trampoline_kernelINS0_14default_configENS1_29reduce_by_key_config_selectorIyyN6thrust23THRUST_200600_302600_NS4plusIyEEEEZZNS1_33reduce_by_key_impl_wrapped_configILNS1_25lookback_scan_determinismE0ES3_S9_NS6_6detail15normal_iteratorINS6_10device_ptrIyEEEESG_SG_SG_PmS8_NS6_8equal_toIyEEEE10hipError_tPvRmT2_T3_mT4_T5_T6_T7_T8_P12ihipStream_tbENKUlT_T0_E_clISt17integral_constantIbLb1EES11_EEDaSW_SX_EUlSW_E_NS1_11comp_targetILNS1_3genE10ELNS1_11target_archE1201ELNS1_3gpuE5ELNS1_3repE0EEENS1_30default_config_static_selectorELNS0_4arch9wavefront6targetE0EEEvT1_ ; -- Begin function _ZN7rocprim17ROCPRIM_400000_NS6detail17trampoline_kernelINS0_14default_configENS1_29reduce_by_key_config_selectorIyyN6thrust23THRUST_200600_302600_NS4plusIyEEEEZZNS1_33reduce_by_key_impl_wrapped_configILNS1_25lookback_scan_determinismE0ES3_S9_NS6_6detail15normal_iteratorINS6_10device_ptrIyEEEESG_SG_SG_PmS8_NS6_8equal_toIyEEEE10hipError_tPvRmT2_T3_mT4_T5_T6_T7_T8_P12ihipStream_tbENKUlT_T0_E_clISt17integral_constantIbLb1EES11_EEDaSW_SX_EUlSW_E_NS1_11comp_targetILNS1_3genE10ELNS1_11target_archE1201ELNS1_3gpuE5ELNS1_3repE0EEENS1_30default_config_static_selectorELNS0_4arch9wavefront6targetE0EEEvT1_
	.globl	_ZN7rocprim17ROCPRIM_400000_NS6detail17trampoline_kernelINS0_14default_configENS1_29reduce_by_key_config_selectorIyyN6thrust23THRUST_200600_302600_NS4plusIyEEEEZZNS1_33reduce_by_key_impl_wrapped_configILNS1_25lookback_scan_determinismE0ES3_S9_NS6_6detail15normal_iteratorINS6_10device_ptrIyEEEESG_SG_SG_PmS8_NS6_8equal_toIyEEEE10hipError_tPvRmT2_T3_mT4_T5_T6_T7_T8_P12ihipStream_tbENKUlT_T0_E_clISt17integral_constantIbLb1EES11_EEDaSW_SX_EUlSW_E_NS1_11comp_targetILNS1_3genE10ELNS1_11target_archE1201ELNS1_3gpuE5ELNS1_3repE0EEENS1_30default_config_static_selectorELNS0_4arch9wavefront6targetE0EEEvT1_
	.p2align	8
	.type	_ZN7rocprim17ROCPRIM_400000_NS6detail17trampoline_kernelINS0_14default_configENS1_29reduce_by_key_config_selectorIyyN6thrust23THRUST_200600_302600_NS4plusIyEEEEZZNS1_33reduce_by_key_impl_wrapped_configILNS1_25lookback_scan_determinismE0ES3_S9_NS6_6detail15normal_iteratorINS6_10device_ptrIyEEEESG_SG_SG_PmS8_NS6_8equal_toIyEEEE10hipError_tPvRmT2_T3_mT4_T5_T6_T7_T8_P12ihipStream_tbENKUlT_T0_E_clISt17integral_constantIbLb1EES11_EEDaSW_SX_EUlSW_E_NS1_11comp_targetILNS1_3genE10ELNS1_11target_archE1201ELNS1_3gpuE5ELNS1_3repE0EEENS1_30default_config_static_selectorELNS0_4arch9wavefront6targetE0EEEvT1_,@function
_ZN7rocprim17ROCPRIM_400000_NS6detail17trampoline_kernelINS0_14default_configENS1_29reduce_by_key_config_selectorIyyN6thrust23THRUST_200600_302600_NS4plusIyEEEEZZNS1_33reduce_by_key_impl_wrapped_configILNS1_25lookback_scan_determinismE0ES3_S9_NS6_6detail15normal_iteratorINS6_10device_ptrIyEEEESG_SG_SG_PmS8_NS6_8equal_toIyEEEE10hipError_tPvRmT2_T3_mT4_T5_T6_T7_T8_P12ihipStream_tbENKUlT_T0_E_clISt17integral_constantIbLb1EES11_EEDaSW_SX_EUlSW_E_NS1_11comp_targetILNS1_3genE10ELNS1_11target_archE1201ELNS1_3gpuE5ELNS1_3repE0EEENS1_30default_config_static_selectorELNS0_4arch9wavefront6targetE0EEEvT1_: ; @_ZN7rocprim17ROCPRIM_400000_NS6detail17trampoline_kernelINS0_14default_configENS1_29reduce_by_key_config_selectorIyyN6thrust23THRUST_200600_302600_NS4plusIyEEEEZZNS1_33reduce_by_key_impl_wrapped_configILNS1_25lookback_scan_determinismE0ES3_S9_NS6_6detail15normal_iteratorINS6_10device_ptrIyEEEESG_SG_SG_PmS8_NS6_8equal_toIyEEEE10hipError_tPvRmT2_T3_mT4_T5_T6_T7_T8_P12ihipStream_tbENKUlT_T0_E_clISt17integral_constantIbLb1EES11_EEDaSW_SX_EUlSW_E_NS1_11comp_targetILNS1_3genE10ELNS1_11target_archE1201ELNS1_3gpuE5ELNS1_3repE0EEENS1_30default_config_static_selectorELNS0_4arch9wavefront6targetE0EEEvT1_
; %bb.0:
	.section	.rodata,"a",@progbits
	.p2align	6, 0x0
	.amdhsa_kernel _ZN7rocprim17ROCPRIM_400000_NS6detail17trampoline_kernelINS0_14default_configENS1_29reduce_by_key_config_selectorIyyN6thrust23THRUST_200600_302600_NS4plusIyEEEEZZNS1_33reduce_by_key_impl_wrapped_configILNS1_25lookback_scan_determinismE0ES3_S9_NS6_6detail15normal_iteratorINS6_10device_ptrIyEEEESG_SG_SG_PmS8_NS6_8equal_toIyEEEE10hipError_tPvRmT2_T3_mT4_T5_T6_T7_T8_P12ihipStream_tbENKUlT_T0_E_clISt17integral_constantIbLb1EES11_EEDaSW_SX_EUlSW_E_NS1_11comp_targetILNS1_3genE10ELNS1_11target_archE1201ELNS1_3gpuE5ELNS1_3repE0EEENS1_30default_config_static_selectorELNS0_4arch9wavefront6targetE0EEEvT1_
		.amdhsa_group_segment_fixed_size 0
		.amdhsa_private_segment_fixed_size 0
		.amdhsa_kernarg_size 136
		.amdhsa_user_sgpr_count 15
		.amdhsa_user_sgpr_dispatch_ptr 0
		.amdhsa_user_sgpr_queue_ptr 0
		.amdhsa_user_sgpr_kernarg_segment_ptr 1
		.amdhsa_user_sgpr_dispatch_id 0
		.amdhsa_user_sgpr_private_segment_size 0
		.amdhsa_wavefront_size32 1
		.amdhsa_uses_dynamic_stack 0
		.amdhsa_enable_private_segment 0
		.amdhsa_system_sgpr_workgroup_id_x 1
		.amdhsa_system_sgpr_workgroup_id_y 0
		.amdhsa_system_sgpr_workgroup_id_z 0
		.amdhsa_system_sgpr_workgroup_info 0
		.amdhsa_system_vgpr_workitem_id 0
		.amdhsa_next_free_vgpr 1
		.amdhsa_next_free_sgpr 1
		.amdhsa_reserve_vcc 0
		.amdhsa_float_round_mode_32 0
		.amdhsa_float_round_mode_16_64 0
		.amdhsa_float_denorm_mode_32 3
		.amdhsa_float_denorm_mode_16_64 3
		.amdhsa_dx10_clamp 1
		.amdhsa_ieee_mode 1
		.amdhsa_fp16_overflow 0
		.amdhsa_workgroup_processor_mode 1
		.amdhsa_memory_ordered 1
		.amdhsa_forward_progress 0
		.amdhsa_shared_vgpr_count 0
		.amdhsa_exception_fp_ieee_invalid_op 0
		.amdhsa_exception_fp_denorm_src 0
		.amdhsa_exception_fp_ieee_div_zero 0
		.amdhsa_exception_fp_ieee_overflow 0
		.amdhsa_exception_fp_ieee_underflow 0
		.amdhsa_exception_fp_ieee_inexact 0
		.amdhsa_exception_int_div_zero 0
	.end_amdhsa_kernel
	.section	.text._ZN7rocprim17ROCPRIM_400000_NS6detail17trampoline_kernelINS0_14default_configENS1_29reduce_by_key_config_selectorIyyN6thrust23THRUST_200600_302600_NS4plusIyEEEEZZNS1_33reduce_by_key_impl_wrapped_configILNS1_25lookback_scan_determinismE0ES3_S9_NS6_6detail15normal_iteratorINS6_10device_ptrIyEEEESG_SG_SG_PmS8_NS6_8equal_toIyEEEE10hipError_tPvRmT2_T3_mT4_T5_T6_T7_T8_P12ihipStream_tbENKUlT_T0_E_clISt17integral_constantIbLb1EES11_EEDaSW_SX_EUlSW_E_NS1_11comp_targetILNS1_3genE10ELNS1_11target_archE1201ELNS1_3gpuE5ELNS1_3repE0EEENS1_30default_config_static_selectorELNS0_4arch9wavefront6targetE0EEEvT1_,"axG",@progbits,_ZN7rocprim17ROCPRIM_400000_NS6detail17trampoline_kernelINS0_14default_configENS1_29reduce_by_key_config_selectorIyyN6thrust23THRUST_200600_302600_NS4plusIyEEEEZZNS1_33reduce_by_key_impl_wrapped_configILNS1_25lookback_scan_determinismE0ES3_S9_NS6_6detail15normal_iteratorINS6_10device_ptrIyEEEESG_SG_SG_PmS8_NS6_8equal_toIyEEEE10hipError_tPvRmT2_T3_mT4_T5_T6_T7_T8_P12ihipStream_tbENKUlT_T0_E_clISt17integral_constantIbLb1EES11_EEDaSW_SX_EUlSW_E_NS1_11comp_targetILNS1_3genE10ELNS1_11target_archE1201ELNS1_3gpuE5ELNS1_3repE0EEENS1_30default_config_static_selectorELNS0_4arch9wavefront6targetE0EEEvT1_,comdat
.Lfunc_end253:
	.size	_ZN7rocprim17ROCPRIM_400000_NS6detail17trampoline_kernelINS0_14default_configENS1_29reduce_by_key_config_selectorIyyN6thrust23THRUST_200600_302600_NS4plusIyEEEEZZNS1_33reduce_by_key_impl_wrapped_configILNS1_25lookback_scan_determinismE0ES3_S9_NS6_6detail15normal_iteratorINS6_10device_ptrIyEEEESG_SG_SG_PmS8_NS6_8equal_toIyEEEE10hipError_tPvRmT2_T3_mT4_T5_T6_T7_T8_P12ihipStream_tbENKUlT_T0_E_clISt17integral_constantIbLb1EES11_EEDaSW_SX_EUlSW_E_NS1_11comp_targetILNS1_3genE10ELNS1_11target_archE1201ELNS1_3gpuE5ELNS1_3repE0EEENS1_30default_config_static_selectorELNS0_4arch9wavefront6targetE0EEEvT1_, .Lfunc_end253-_ZN7rocprim17ROCPRIM_400000_NS6detail17trampoline_kernelINS0_14default_configENS1_29reduce_by_key_config_selectorIyyN6thrust23THRUST_200600_302600_NS4plusIyEEEEZZNS1_33reduce_by_key_impl_wrapped_configILNS1_25lookback_scan_determinismE0ES3_S9_NS6_6detail15normal_iteratorINS6_10device_ptrIyEEEESG_SG_SG_PmS8_NS6_8equal_toIyEEEE10hipError_tPvRmT2_T3_mT4_T5_T6_T7_T8_P12ihipStream_tbENKUlT_T0_E_clISt17integral_constantIbLb1EES11_EEDaSW_SX_EUlSW_E_NS1_11comp_targetILNS1_3genE10ELNS1_11target_archE1201ELNS1_3gpuE5ELNS1_3repE0EEENS1_30default_config_static_selectorELNS0_4arch9wavefront6targetE0EEEvT1_
                                        ; -- End function
	.section	.AMDGPU.csdata,"",@progbits
; Kernel info:
; codeLenInByte = 0
; NumSgprs: 0
; NumVgprs: 0
; ScratchSize: 0
; MemoryBound: 0
; FloatMode: 240
; IeeeMode: 1
; LDSByteSize: 0 bytes/workgroup (compile time only)
; SGPRBlocks: 0
; VGPRBlocks: 0
; NumSGPRsForWavesPerEU: 1
; NumVGPRsForWavesPerEU: 1
; Occupancy: 16
; WaveLimiterHint : 0
; COMPUTE_PGM_RSRC2:SCRATCH_EN: 0
; COMPUTE_PGM_RSRC2:USER_SGPR: 15
; COMPUTE_PGM_RSRC2:TRAP_HANDLER: 0
; COMPUTE_PGM_RSRC2:TGID_X_EN: 1
; COMPUTE_PGM_RSRC2:TGID_Y_EN: 0
; COMPUTE_PGM_RSRC2:TGID_Z_EN: 0
; COMPUTE_PGM_RSRC2:TIDIG_COMP_CNT: 0
	.section	.text._ZN7rocprim17ROCPRIM_400000_NS6detail17trampoline_kernelINS0_14default_configENS1_29reduce_by_key_config_selectorIyyN6thrust23THRUST_200600_302600_NS4plusIyEEEEZZNS1_33reduce_by_key_impl_wrapped_configILNS1_25lookback_scan_determinismE0ES3_S9_NS6_6detail15normal_iteratorINS6_10device_ptrIyEEEESG_SG_SG_PmS8_NS6_8equal_toIyEEEE10hipError_tPvRmT2_T3_mT4_T5_T6_T7_T8_P12ihipStream_tbENKUlT_T0_E_clISt17integral_constantIbLb1EES11_EEDaSW_SX_EUlSW_E_NS1_11comp_targetILNS1_3genE10ELNS1_11target_archE1200ELNS1_3gpuE4ELNS1_3repE0EEENS1_30default_config_static_selectorELNS0_4arch9wavefront6targetE0EEEvT1_,"axG",@progbits,_ZN7rocprim17ROCPRIM_400000_NS6detail17trampoline_kernelINS0_14default_configENS1_29reduce_by_key_config_selectorIyyN6thrust23THRUST_200600_302600_NS4plusIyEEEEZZNS1_33reduce_by_key_impl_wrapped_configILNS1_25lookback_scan_determinismE0ES3_S9_NS6_6detail15normal_iteratorINS6_10device_ptrIyEEEESG_SG_SG_PmS8_NS6_8equal_toIyEEEE10hipError_tPvRmT2_T3_mT4_T5_T6_T7_T8_P12ihipStream_tbENKUlT_T0_E_clISt17integral_constantIbLb1EES11_EEDaSW_SX_EUlSW_E_NS1_11comp_targetILNS1_3genE10ELNS1_11target_archE1200ELNS1_3gpuE4ELNS1_3repE0EEENS1_30default_config_static_selectorELNS0_4arch9wavefront6targetE0EEEvT1_,comdat
	.protected	_ZN7rocprim17ROCPRIM_400000_NS6detail17trampoline_kernelINS0_14default_configENS1_29reduce_by_key_config_selectorIyyN6thrust23THRUST_200600_302600_NS4plusIyEEEEZZNS1_33reduce_by_key_impl_wrapped_configILNS1_25lookback_scan_determinismE0ES3_S9_NS6_6detail15normal_iteratorINS6_10device_ptrIyEEEESG_SG_SG_PmS8_NS6_8equal_toIyEEEE10hipError_tPvRmT2_T3_mT4_T5_T6_T7_T8_P12ihipStream_tbENKUlT_T0_E_clISt17integral_constantIbLb1EES11_EEDaSW_SX_EUlSW_E_NS1_11comp_targetILNS1_3genE10ELNS1_11target_archE1200ELNS1_3gpuE4ELNS1_3repE0EEENS1_30default_config_static_selectorELNS0_4arch9wavefront6targetE0EEEvT1_ ; -- Begin function _ZN7rocprim17ROCPRIM_400000_NS6detail17trampoline_kernelINS0_14default_configENS1_29reduce_by_key_config_selectorIyyN6thrust23THRUST_200600_302600_NS4plusIyEEEEZZNS1_33reduce_by_key_impl_wrapped_configILNS1_25lookback_scan_determinismE0ES3_S9_NS6_6detail15normal_iteratorINS6_10device_ptrIyEEEESG_SG_SG_PmS8_NS6_8equal_toIyEEEE10hipError_tPvRmT2_T3_mT4_T5_T6_T7_T8_P12ihipStream_tbENKUlT_T0_E_clISt17integral_constantIbLb1EES11_EEDaSW_SX_EUlSW_E_NS1_11comp_targetILNS1_3genE10ELNS1_11target_archE1200ELNS1_3gpuE4ELNS1_3repE0EEENS1_30default_config_static_selectorELNS0_4arch9wavefront6targetE0EEEvT1_
	.globl	_ZN7rocprim17ROCPRIM_400000_NS6detail17trampoline_kernelINS0_14default_configENS1_29reduce_by_key_config_selectorIyyN6thrust23THRUST_200600_302600_NS4plusIyEEEEZZNS1_33reduce_by_key_impl_wrapped_configILNS1_25lookback_scan_determinismE0ES3_S9_NS6_6detail15normal_iteratorINS6_10device_ptrIyEEEESG_SG_SG_PmS8_NS6_8equal_toIyEEEE10hipError_tPvRmT2_T3_mT4_T5_T6_T7_T8_P12ihipStream_tbENKUlT_T0_E_clISt17integral_constantIbLb1EES11_EEDaSW_SX_EUlSW_E_NS1_11comp_targetILNS1_3genE10ELNS1_11target_archE1200ELNS1_3gpuE4ELNS1_3repE0EEENS1_30default_config_static_selectorELNS0_4arch9wavefront6targetE0EEEvT1_
	.p2align	8
	.type	_ZN7rocprim17ROCPRIM_400000_NS6detail17trampoline_kernelINS0_14default_configENS1_29reduce_by_key_config_selectorIyyN6thrust23THRUST_200600_302600_NS4plusIyEEEEZZNS1_33reduce_by_key_impl_wrapped_configILNS1_25lookback_scan_determinismE0ES3_S9_NS6_6detail15normal_iteratorINS6_10device_ptrIyEEEESG_SG_SG_PmS8_NS6_8equal_toIyEEEE10hipError_tPvRmT2_T3_mT4_T5_T6_T7_T8_P12ihipStream_tbENKUlT_T0_E_clISt17integral_constantIbLb1EES11_EEDaSW_SX_EUlSW_E_NS1_11comp_targetILNS1_3genE10ELNS1_11target_archE1200ELNS1_3gpuE4ELNS1_3repE0EEENS1_30default_config_static_selectorELNS0_4arch9wavefront6targetE0EEEvT1_,@function
_ZN7rocprim17ROCPRIM_400000_NS6detail17trampoline_kernelINS0_14default_configENS1_29reduce_by_key_config_selectorIyyN6thrust23THRUST_200600_302600_NS4plusIyEEEEZZNS1_33reduce_by_key_impl_wrapped_configILNS1_25lookback_scan_determinismE0ES3_S9_NS6_6detail15normal_iteratorINS6_10device_ptrIyEEEESG_SG_SG_PmS8_NS6_8equal_toIyEEEE10hipError_tPvRmT2_T3_mT4_T5_T6_T7_T8_P12ihipStream_tbENKUlT_T0_E_clISt17integral_constantIbLb1EES11_EEDaSW_SX_EUlSW_E_NS1_11comp_targetILNS1_3genE10ELNS1_11target_archE1200ELNS1_3gpuE4ELNS1_3repE0EEENS1_30default_config_static_selectorELNS0_4arch9wavefront6targetE0EEEvT1_: ; @_ZN7rocprim17ROCPRIM_400000_NS6detail17trampoline_kernelINS0_14default_configENS1_29reduce_by_key_config_selectorIyyN6thrust23THRUST_200600_302600_NS4plusIyEEEEZZNS1_33reduce_by_key_impl_wrapped_configILNS1_25lookback_scan_determinismE0ES3_S9_NS6_6detail15normal_iteratorINS6_10device_ptrIyEEEESG_SG_SG_PmS8_NS6_8equal_toIyEEEE10hipError_tPvRmT2_T3_mT4_T5_T6_T7_T8_P12ihipStream_tbENKUlT_T0_E_clISt17integral_constantIbLb1EES11_EEDaSW_SX_EUlSW_E_NS1_11comp_targetILNS1_3genE10ELNS1_11target_archE1200ELNS1_3gpuE4ELNS1_3repE0EEENS1_30default_config_static_selectorELNS0_4arch9wavefront6targetE0EEEvT1_
; %bb.0:
	.section	.rodata,"a",@progbits
	.p2align	6, 0x0
	.amdhsa_kernel _ZN7rocprim17ROCPRIM_400000_NS6detail17trampoline_kernelINS0_14default_configENS1_29reduce_by_key_config_selectorIyyN6thrust23THRUST_200600_302600_NS4plusIyEEEEZZNS1_33reduce_by_key_impl_wrapped_configILNS1_25lookback_scan_determinismE0ES3_S9_NS6_6detail15normal_iteratorINS6_10device_ptrIyEEEESG_SG_SG_PmS8_NS6_8equal_toIyEEEE10hipError_tPvRmT2_T3_mT4_T5_T6_T7_T8_P12ihipStream_tbENKUlT_T0_E_clISt17integral_constantIbLb1EES11_EEDaSW_SX_EUlSW_E_NS1_11comp_targetILNS1_3genE10ELNS1_11target_archE1200ELNS1_3gpuE4ELNS1_3repE0EEENS1_30default_config_static_selectorELNS0_4arch9wavefront6targetE0EEEvT1_
		.amdhsa_group_segment_fixed_size 0
		.amdhsa_private_segment_fixed_size 0
		.amdhsa_kernarg_size 136
		.amdhsa_user_sgpr_count 15
		.amdhsa_user_sgpr_dispatch_ptr 0
		.amdhsa_user_sgpr_queue_ptr 0
		.amdhsa_user_sgpr_kernarg_segment_ptr 1
		.amdhsa_user_sgpr_dispatch_id 0
		.amdhsa_user_sgpr_private_segment_size 0
		.amdhsa_wavefront_size32 1
		.amdhsa_uses_dynamic_stack 0
		.amdhsa_enable_private_segment 0
		.amdhsa_system_sgpr_workgroup_id_x 1
		.amdhsa_system_sgpr_workgroup_id_y 0
		.amdhsa_system_sgpr_workgroup_id_z 0
		.amdhsa_system_sgpr_workgroup_info 0
		.amdhsa_system_vgpr_workitem_id 0
		.amdhsa_next_free_vgpr 1
		.amdhsa_next_free_sgpr 1
		.amdhsa_reserve_vcc 0
		.amdhsa_float_round_mode_32 0
		.amdhsa_float_round_mode_16_64 0
		.amdhsa_float_denorm_mode_32 3
		.amdhsa_float_denorm_mode_16_64 3
		.amdhsa_dx10_clamp 1
		.amdhsa_ieee_mode 1
		.amdhsa_fp16_overflow 0
		.amdhsa_workgroup_processor_mode 1
		.amdhsa_memory_ordered 1
		.amdhsa_forward_progress 0
		.amdhsa_shared_vgpr_count 0
		.amdhsa_exception_fp_ieee_invalid_op 0
		.amdhsa_exception_fp_denorm_src 0
		.amdhsa_exception_fp_ieee_div_zero 0
		.amdhsa_exception_fp_ieee_overflow 0
		.amdhsa_exception_fp_ieee_underflow 0
		.amdhsa_exception_fp_ieee_inexact 0
		.amdhsa_exception_int_div_zero 0
	.end_amdhsa_kernel
	.section	.text._ZN7rocprim17ROCPRIM_400000_NS6detail17trampoline_kernelINS0_14default_configENS1_29reduce_by_key_config_selectorIyyN6thrust23THRUST_200600_302600_NS4plusIyEEEEZZNS1_33reduce_by_key_impl_wrapped_configILNS1_25lookback_scan_determinismE0ES3_S9_NS6_6detail15normal_iteratorINS6_10device_ptrIyEEEESG_SG_SG_PmS8_NS6_8equal_toIyEEEE10hipError_tPvRmT2_T3_mT4_T5_T6_T7_T8_P12ihipStream_tbENKUlT_T0_E_clISt17integral_constantIbLb1EES11_EEDaSW_SX_EUlSW_E_NS1_11comp_targetILNS1_3genE10ELNS1_11target_archE1200ELNS1_3gpuE4ELNS1_3repE0EEENS1_30default_config_static_selectorELNS0_4arch9wavefront6targetE0EEEvT1_,"axG",@progbits,_ZN7rocprim17ROCPRIM_400000_NS6detail17trampoline_kernelINS0_14default_configENS1_29reduce_by_key_config_selectorIyyN6thrust23THRUST_200600_302600_NS4plusIyEEEEZZNS1_33reduce_by_key_impl_wrapped_configILNS1_25lookback_scan_determinismE0ES3_S9_NS6_6detail15normal_iteratorINS6_10device_ptrIyEEEESG_SG_SG_PmS8_NS6_8equal_toIyEEEE10hipError_tPvRmT2_T3_mT4_T5_T6_T7_T8_P12ihipStream_tbENKUlT_T0_E_clISt17integral_constantIbLb1EES11_EEDaSW_SX_EUlSW_E_NS1_11comp_targetILNS1_3genE10ELNS1_11target_archE1200ELNS1_3gpuE4ELNS1_3repE0EEENS1_30default_config_static_selectorELNS0_4arch9wavefront6targetE0EEEvT1_,comdat
.Lfunc_end254:
	.size	_ZN7rocprim17ROCPRIM_400000_NS6detail17trampoline_kernelINS0_14default_configENS1_29reduce_by_key_config_selectorIyyN6thrust23THRUST_200600_302600_NS4plusIyEEEEZZNS1_33reduce_by_key_impl_wrapped_configILNS1_25lookback_scan_determinismE0ES3_S9_NS6_6detail15normal_iteratorINS6_10device_ptrIyEEEESG_SG_SG_PmS8_NS6_8equal_toIyEEEE10hipError_tPvRmT2_T3_mT4_T5_T6_T7_T8_P12ihipStream_tbENKUlT_T0_E_clISt17integral_constantIbLb1EES11_EEDaSW_SX_EUlSW_E_NS1_11comp_targetILNS1_3genE10ELNS1_11target_archE1200ELNS1_3gpuE4ELNS1_3repE0EEENS1_30default_config_static_selectorELNS0_4arch9wavefront6targetE0EEEvT1_, .Lfunc_end254-_ZN7rocprim17ROCPRIM_400000_NS6detail17trampoline_kernelINS0_14default_configENS1_29reduce_by_key_config_selectorIyyN6thrust23THRUST_200600_302600_NS4plusIyEEEEZZNS1_33reduce_by_key_impl_wrapped_configILNS1_25lookback_scan_determinismE0ES3_S9_NS6_6detail15normal_iteratorINS6_10device_ptrIyEEEESG_SG_SG_PmS8_NS6_8equal_toIyEEEE10hipError_tPvRmT2_T3_mT4_T5_T6_T7_T8_P12ihipStream_tbENKUlT_T0_E_clISt17integral_constantIbLb1EES11_EEDaSW_SX_EUlSW_E_NS1_11comp_targetILNS1_3genE10ELNS1_11target_archE1200ELNS1_3gpuE4ELNS1_3repE0EEENS1_30default_config_static_selectorELNS0_4arch9wavefront6targetE0EEEvT1_
                                        ; -- End function
	.section	.AMDGPU.csdata,"",@progbits
; Kernel info:
; codeLenInByte = 0
; NumSgprs: 0
; NumVgprs: 0
; ScratchSize: 0
; MemoryBound: 0
; FloatMode: 240
; IeeeMode: 1
; LDSByteSize: 0 bytes/workgroup (compile time only)
; SGPRBlocks: 0
; VGPRBlocks: 0
; NumSGPRsForWavesPerEU: 1
; NumVGPRsForWavesPerEU: 1
; Occupancy: 16
; WaveLimiterHint : 0
; COMPUTE_PGM_RSRC2:SCRATCH_EN: 0
; COMPUTE_PGM_RSRC2:USER_SGPR: 15
; COMPUTE_PGM_RSRC2:TRAP_HANDLER: 0
; COMPUTE_PGM_RSRC2:TGID_X_EN: 1
; COMPUTE_PGM_RSRC2:TGID_Y_EN: 0
; COMPUTE_PGM_RSRC2:TGID_Z_EN: 0
; COMPUTE_PGM_RSRC2:TIDIG_COMP_CNT: 0
	.section	.text._ZN7rocprim17ROCPRIM_400000_NS6detail17trampoline_kernelINS0_14default_configENS1_29reduce_by_key_config_selectorIyyN6thrust23THRUST_200600_302600_NS4plusIyEEEEZZNS1_33reduce_by_key_impl_wrapped_configILNS1_25lookback_scan_determinismE0ES3_S9_NS6_6detail15normal_iteratorINS6_10device_ptrIyEEEESG_SG_SG_PmS8_NS6_8equal_toIyEEEE10hipError_tPvRmT2_T3_mT4_T5_T6_T7_T8_P12ihipStream_tbENKUlT_T0_E_clISt17integral_constantIbLb1EES11_EEDaSW_SX_EUlSW_E_NS1_11comp_targetILNS1_3genE9ELNS1_11target_archE1100ELNS1_3gpuE3ELNS1_3repE0EEENS1_30default_config_static_selectorELNS0_4arch9wavefront6targetE0EEEvT1_,"axG",@progbits,_ZN7rocprim17ROCPRIM_400000_NS6detail17trampoline_kernelINS0_14default_configENS1_29reduce_by_key_config_selectorIyyN6thrust23THRUST_200600_302600_NS4plusIyEEEEZZNS1_33reduce_by_key_impl_wrapped_configILNS1_25lookback_scan_determinismE0ES3_S9_NS6_6detail15normal_iteratorINS6_10device_ptrIyEEEESG_SG_SG_PmS8_NS6_8equal_toIyEEEE10hipError_tPvRmT2_T3_mT4_T5_T6_T7_T8_P12ihipStream_tbENKUlT_T0_E_clISt17integral_constantIbLb1EES11_EEDaSW_SX_EUlSW_E_NS1_11comp_targetILNS1_3genE9ELNS1_11target_archE1100ELNS1_3gpuE3ELNS1_3repE0EEENS1_30default_config_static_selectorELNS0_4arch9wavefront6targetE0EEEvT1_,comdat
	.protected	_ZN7rocprim17ROCPRIM_400000_NS6detail17trampoline_kernelINS0_14default_configENS1_29reduce_by_key_config_selectorIyyN6thrust23THRUST_200600_302600_NS4plusIyEEEEZZNS1_33reduce_by_key_impl_wrapped_configILNS1_25lookback_scan_determinismE0ES3_S9_NS6_6detail15normal_iteratorINS6_10device_ptrIyEEEESG_SG_SG_PmS8_NS6_8equal_toIyEEEE10hipError_tPvRmT2_T3_mT4_T5_T6_T7_T8_P12ihipStream_tbENKUlT_T0_E_clISt17integral_constantIbLb1EES11_EEDaSW_SX_EUlSW_E_NS1_11comp_targetILNS1_3genE9ELNS1_11target_archE1100ELNS1_3gpuE3ELNS1_3repE0EEENS1_30default_config_static_selectorELNS0_4arch9wavefront6targetE0EEEvT1_ ; -- Begin function _ZN7rocprim17ROCPRIM_400000_NS6detail17trampoline_kernelINS0_14default_configENS1_29reduce_by_key_config_selectorIyyN6thrust23THRUST_200600_302600_NS4plusIyEEEEZZNS1_33reduce_by_key_impl_wrapped_configILNS1_25lookback_scan_determinismE0ES3_S9_NS6_6detail15normal_iteratorINS6_10device_ptrIyEEEESG_SG_SG_PmS8_NS6_8equal_toIyEEEE10hipError_tPvRmT2_T3_mT4_T5_T6_T7_T8_P12ihipStream_tbENKUlT_T0_E_clISt17integral_constantIbLb1EES11_EEDaSW_SX_EUlSW_E_NS1_11comp_targetILNS1_3genE9ELNS1_11target_archE1100ELNS1_3gpuE3ELNS1_3repE0EEENS1_30default_config_static_selectorELNS0_4arch9wavefront6targetE0EEEvT1_
	.globl	_ZN7rocprim17ROCPRIM_400000_NS6detail17trampoline_kernelINS0_14default_configENS1_29reduce_by_key_config_selectorIyyN6thrust23THRUST_200600_302600_NS4plusIyEEEEZZNS1_33reduce_by_key_impl_wrapped_configILNS1_25lookback_scan_determinismE0ES3_S9_NS6_6detail15normal_iteratorINS6_10device_ptrIyEEEESG_SG_SG_PmS8_NS6_8equal_toIyEEEE10hipError_tPvRmT2_T3_mT4_T5_T6_T7_T8_P12ihipStream_tbENKUlT_T0_E_clISt17integral_constantIbLb1EES11_EEDaSW_SX_EUlSW_E_NS1_11comp_targetILNS1_3genE9ELNS1_11target_archE1100ELNS1_3gpuE3ELNS1_3repE0EEENS1_30default_config_static_selectorELNS0_4arch9wavefront6targetE0EEEvT1_
	.p2align	8
	.type	_ZN7rocprim17ROCPRIM_400000_NS6detail17trampoline_kernelINS0_14default_configENS1_29reduce_by_key_config_selectorIyyN6thrust23THRUST_200600_302600_NS4plusIyEEEEZZNS1_33reduce_by_key_impl_wrapped_configILNS1_25lookback_scan_determinismE0ES3_S9_NS6_6detail15normal_iteratorINS6_10device_ptrIyEEEESG_SG_SG_PmS8_NS6_8equal_toIyEEEE10hipError_tPvRmT2_T3_mT4_T5_T6_T7_T8_P12ihipStream_tbENKUlT_T0_E_clISt17integral_constantIbLb1EES11_EEDaSW_SX_EUlSW_E_NS1_11comp_targetILNS1_3genE9ELNS1_11target_archE1100ELNS1_3gpuE3ELNS1_3repE0EEENS1_30default_config_static_selectorELNS0_4arch9wavefront6targetE0EEEvT1_,@function
_ZN7rocprim17ROCPRIM_400000_NS6detail17trampoline_kernelINS0_14default_configENS1_29reduce_by_key_config_selectorIyyN6thrust23THRUST_200600_302600_NS4plusIyEEEEZZNS1_33reduce_by_key_impl_wrapped_configILNS1_25lookback_scan_determinismE0ES3_S9_NS6_6detail15normal_iteratorINS6_10device_ptrIyEEEESG_SG_SG_PmS8_NS6_8equal_toIyEEEE10hipError_tPvRmT2_T3_mT4_T5_T6_T7_T8_P12ihipStream_tbENKUlT_T0_E_clISt17integral_constantIbLb1EES11_EEDaSW_SX_EUlSW_E_NS1_11comp_targetILNS1_3genE9ELNS1_11target_archE1100ELNS1_3gpuE3ELNS1_3repE0EEENS1_30default_config_static_selectorELNS0_4arch9wavefront6targetE0EEEvT1_: ; @_ZN7rocprim17ROCPRIM_400000_NS6detail17trampoline_kernelINS0_14default_configENS1_29reduce_by_key_config_selectorIyyN6thrust23THRUST_200600_302600_NS4plusIyEEEEZZNS1_33reduce_by_key_impl_wrapped_configILNS1_25lookback_scan_determinismE0ES3_S9_NS6_6detail15normal_iteratorINS6_10device_ptrIyEEEESG_SG_SG_PmS8_NS6_8equal_toIyEEEE10hipError_tPvRmT2_T3_mT4_T5_T6_T7_T8_P12ihipStream_tbENKUlT_T0_E_clISt17integral_constantIbLb1EES11_EEDaSW_SX_EUlSW_E_NS1_11comp_targetILNS1_3genE9ELNS1_11target_archE1100ELNS1_3gpuE3ELNS1_3repE0EEENS1_30default_config_static_selectorELNS0_4arch9wavefront6targetE0EEEvT1_
; %bb.0:
	s_clause 0x2
	s_load_b256 s[20:27], s[0:1], 0x0
	s_load_b128 s[28:31], s[0:1], 0x20
	s_load_b64 s[34:35], s[0:1], 0x78
	v_cmp_ne_u32_e64 s3, 0, v0
	v_cmp_eq_u32_e64 s2, 0, v0
	s_delay_alu instid0(VALU_DEP_1)
	s_and_saveexec_b32 s4, s2
	s_cbranch_execz .LBB255_4
; %bb.1:
	s_mov_b32 s6, exec_lo
	s_mov_b32 s5, exec_lo
	v_mbcnt_lo_u32_b32 v1, s6, 0
                                        ; implicit-def: $vgpr2
	s_delay_alu instid0(VALU_DEP_1)
	v_cmpx_eq_u32_e32 0, v1
	s_cbranch_execz .LBB255_3
; %bb.2:
	s_load_b64 s[8:9], s[0:1], 0x80
	s_bcnt1_i32_b32 s6, s6
	s_delay_alu instid0(SALU_CYCLE_1)
	v_dual_mov_b32 v2, 0 :: v_dual_mov_b32 v3, s6
	s_waitcnt lgkmcnt(0)
	global_atomic_add_u32 v2, v2, v3, s[8:9] glc
.LBB255_3:
	s_or_b32 exec_lo, exec_lo, s5
	s_waitcnt vmcnt(0)
	v_readfirstlane_b32 s5, v2
	s_delay_alu instid0(VALU_DEP_1)
	v_dual_mov_b32 v2, 0 :: v_dual_add_nc_u32 v1, s5, v1
	ds_store_b32 v2, v1
.LBB255_4:
	s_or_b32 exec_lo, exec_lo, s4
	v_mov_b32_e32 v2, 0
	s_waitcnt lgkmcnt(0)
	s_barrier
	buffer_gl0_inv
	s_load_b512 s[36:51], s[0:1], 0x38
	ds_load_b32 v1, v2
	s_lshl_b64 s[4:5], s[22:23], 3
	s_mov_b32 s0, 0
	s_add_u32 s9, s20, s4
	s_addc_u32 s10, s21, s5
	s_add_u32 s11, s24, s4
	s_addc_u32 s12, s25, s5
	s_waitcnt lgkmcnt(0)
	s_barrier
	buffer_gl0_inv
	s_mul_i32 s1, s44, s43
	v_readfirstlane_b32 s52, v1
	v_mul_lo_u32 v1, 0xf00, v1
	s_mul_hi_u32 s6, s44, s42
	s_mul_i32 s7, s45, s42
	s_add_i32 s1, s6, s1
	s_mul_i32 s8, s44, s42
	s_add_i32 s1, s1, s7
	s_add_u32 s18, s8, s52
	s_addc_u32 s19, s1, 0
	v_lshlrev_b64 v[1:2], 3, v[1:2]
	s_add_u32 s4, s46, -1
	s_addc_u32 s5, s47, -1
	s_mul_i32 s44, s4, 0xfffff100
	s_cmp_eq_u64 s[18:19], s[4:5]
	s_delay_alu instid0(VALU_DEP_1)
	v_add_co_u32 v64, vcc_lo, s9, v1
	v_add_co_ci_u32_e32 v63, vcc_lo, s10, v2, vcc_lo
	v_add_co_u32 v61, vcc_lo, s11, v1
	v_add_co_ci_u32_e32 v62, vcc_lo, s12, v2, vcc_lo
	s_cselect_b32 s33, -1, 0
	s_cmp_lg_u64 s[18:19], s[4:5]
	s_cselect_b32 s17, -1, 0
	s_and_b32 vcc_lo, exec_lo, s33
	s_cbranch_vccnz .LBB255_6
; %bb.5:
	v_lshlrev_b32_e32 v66, 3, v0
	s_delay_alu instid0(VALU_DEP_1) | instskip(SKIP_2) | instid1(VALU_DEP_3)
	v_add_co_u32 v1, vcc_lo, v64, v66
	v_add_co_ci_u32_e32 v2, vcc_lo, 0, v63, vcc_lo
	v_mad_u32_u24 v65, 0x70, v0, v66
	v_add_co_u32 v3, vcc_lo, 0x1000, v1
	s_delay_alu instid0(VALU_DEP_3)
	v_add_co_ci_u32_e32 v4, vcc_lo, 0, v2, vcc_lo
	v_add_co_u32 v5, vcc_lo, 0x2000, v1
	v_add_co_ci_u32_e32 v6, vcc_lo, 0, v2, vcc_lo
	v_add_co_u32 v7, vcc_lo, 0x3000, v1
	;; [unrolled: 2-line block ×5, first 2 shown]
	v_add_co_ci_u32_e32 v24, vcc_lo, 0, v2, vcc_lo
	s_clause 0x7
	flat_load_b64 v[9:10], v[1:2]
	flat_load_b64 v[11:12], v[1:2] offset:2048
	flat_load_b64 v[13:14], v[3:4]
	flat_load_b64 v[3:4], v[3:4] offset:2048
	flat_load_b64 v[15:16], v[5:6]
	flat_load_b64 v[5:6], v[5:6] offset:2048
	flat_load_b64 v[17:18], v[7:8]
	flat_load_b64 v[7:8], v[7:8] offset:2048
	v_add_co_u32 v1, vcc_lo, 0x7000, v1
	v_add_co_ci_u32_e32 v2, vcc_lo, 0, v2, vcc_lo
	s_clause 0x6
	flat_load_b64 v[25:26], v[19:20]
	flat_load_b64 v[19:20], v[19:20] offset:2048
	flat_load_b64 v[27:28], v[21:22]
	flat_load_b64 v[21:22], v[21:22] offset:2048
	flat_load_b64 v[29:30], v[23:24]
	flat_load_b64 v[23:24], v[23:24] offset:2048
	flat_load_b64 v[1:2], v[1:2]
	v_add_co_u32 v31, vcc_lo, v61, v66
	v_add_co_ci_u32_e32 v32, vcc_lo, 0, v62, vcc_lo
	s_waitcnt vmcnt(13) lgkmcnt(13)
	ds_store_2addr_stride64_b64 v66, v[9:10], v[11:12] offset1:4
	s_waitcnt vmcnt(11) lgkmcnt(12)
	ds_store_2addr_stride64_b64 v66, v[13:14], v[3:4] offset0:8 offset1:12
	s_waitcnt vmcnt(9) lgkmcnt(11)
	ds_store_2addr_stride64_b64 v66, v[15:16], v[5:6] offset0:16 offset1:20
	;; [unrolled: 2-line block ×6, first 2 shown]
	s_waitcnt vmcnt(0) lgkmcnt(7)
	ds_store_b64 v66, v[1:2] offset:28672
	v_add_co_u32 v33, vcc_lo, 0x1000, v31
	v_add_co_ci_u32_e32 v34, vcc_lo, 0, v32, vcc_lo
	v_add_co_u32 v35, vcc_lo, 0x2000, v31
	v_add_co_ci_u32_e32 v36, vcc_lo, 0, v32, vcc_lo
	;; [unrolled: 2-line block ×7, first 2 shown]
	s_waitcnt lgkmcnt(0)
	s_barrier
	buffer_gl0_inv
	ds_load_2addr_b64 v[25:28], v65 offset1:1
	ds_load_2addr_b64 v[21:24], v65 offset0:2 offset1:3
	ds_load_2addr_b64 v[17:20], v65 offset0:4 offset1:5
	;; [unrolled: 1-line block ×6, first 2 shown]
	ds_load_b64 v[57:58], v65 offset:112
	s_waitcnt lgkmcnt(0)
	s_barrier
	buffer_gl0_inv
	s_clause 0xe
	flat_load_b64 v[29:30], v[31:32]
	flat_load_b64 v[31:32], v[31:32] offset:2048
	flat_load_b64 v[47:48], v[33:34]
	flat_load_b64 v[33:34], v[33:34] offset:2048
	flat_load_b64 v[49:50], v[35:36]
	flat_load_b64 v[35:36], v[35:36] offset:2048
	flat_load_b64 v[51:52], v[37:38]
	flat_load_b64 v[37:38], v[37:38] offset:2048
	flat_load_b64 v[53:54], v[39:40]
	flat_load_b64 v[39:40], v[39:40] offset:2048
	flat_load_b64 v[55:56], v[41:42]
	flat_load_b64 v[41:42], v[41:42] offset:2048
	flat_load_b64 v[59:60], v[43:44]
	flat_load_b64 v[43:44], v[43:44] offset:2048
	flat_load_b64 v[45:46], v[45:46]
	s_waitcnt vmcnt(13) lgkmcnt(13)
	ds_store_2addr_stride64_b64 v66, v[29:30], v[31:32] offset1:4
	s_waitcnt vmcnt(11) lgkmcnt(12)
	ds_store_2addr_stride64_b64 v66, v[47:48], v[33:34] offset0:8 offset1:12
	s_waitcnt vmcnt(9) lgkmcnt(11)
	ds_store_2addr_stride64_b64 v66, v[49:50], v[35:36] offset0:16 offset1:20
	;; [unrolled: 2-line block ×6, first 2 shown]
	s_waitcnt vmcnt(0) lgkmcnt(7)
	ds_store_b64 v66, v[45:46] offset:28672
	s_waitcnt lgkmcnt(0)
	s_barrier
	s_and_not1_b32 vcc_lo, exec_lo, s0
	s_add_i32 s44, s44, s48
	s_cbranch_vccz .LBB255_7
	s_branch .LBB255_54
.LBB255_6:
                                        ; implicit-def: $vgpr65
                                        ; implicit-def: $vgpr25_vgpr26
                                        ; implicit-def: $vgpr21_vgpr22
                                        ; implicit-def: $vgpr17_vgpr18
                                        ; implicit-def: $vgpr13_vgpr14
                                        ; implicit-def: $vgpr9_vgpr10
                                        ; implicit-def: $vgpr5_vgpr6
                                        ; implicit-def: $vgpr1_vgpr2
                                        ; implicit-def: $vgpr57_vgpr58
	s_add_i32 s44, s44, s48
.LBB255_7:
	s_delay_alu instid0(SALU_CYCLE_1)
	v_cmp_gt_u32_e32 vcc_lo, s44, v0
                                        ; implicit-def: $vgpr1_vgpr2
	s_and_saveexec_b32 s1, vcc_lo
	s_cbranch_execz .LBB255_9
; %bb.8:
	v_lshlrev_b32_e32 v1, 3, v0
	s_delay_alu instid0(VALU_DEP_1) | instskip(NEXT) | instid1(VALU_DEP_1)
	v_add_co_u32 v1, s0, v64, v1
	v_add_co_ci_u32_e64 v2, s0, 0, v63, s0
	flat_load_b64 v[1:2], v[1:2]
.LBB255_9:
	s_or_b32 exec_lo, exec_lo, s1
	v_or_b32_e32 v3, 0x100, v0
	s_delay_alu instid0(VALU_DEP_1) | instskip(NEXT) | instid1(VALU_DEP_1)
	v_cmp_gt_u32_e64 s0, s44, v3
                                        ; implicit-def: $vgpr3_vgpr4
	s_and_saveexec_b32 s4, s0
	s_cbranch_execz .LBB255_11
; %bb.10:
	v_lshlrev_b32_e32 v3, 3, v0
	s_delay_alu instid0(VALU_DEP_1) | instskip(NEXT) | instid1(VALU_DEP_1)
	v_add_co_u32 v3, s1, v64, v3
	v_add_co_ci_u32_e64 v4, s1, 0, v63, s1
	flat_load_b64 v[3:4], v[3:4] offset:2048
.LBB255_11:
	s_or_b32 exec_lo, exec_lo, s4
	v_or_b32_e32 v35, 0x200, v0
                                        ; implicit-def: $vgpr5_vgpr6
	s_delay_alu instid0(VALU_DEP_1) | instskip(NEXT) | instid1(VALU_DEP_1)
	v_cmp_gt_u32_e64 s1, s44, v35
	s_and_saveexec_b32 s5, s1
	s_cbranch_execz .LBB255_13
; %bb.12:
	v_lshlrev_b32_e32 v5, 3, v35
	s_delay_alu instid0(VALU_DEP_1) | instskip(NEXT) | instid1(VALU_DEP_1)
	v_add_co_u32 v5, s4, v64, v5
	v_add_co_ci_u32_e64 v6, s4, 0, v63, s4
	flat_load_b64 v[5:6], v[5:6]
.LBB255_13:
	s_or_b32 exec_lo, exec_lo, s5
	v_or_b32_e32 v37, 0x300, v0
                                        ; implicit-def: $vgpr7_vgpr8
	s_delay_alu instid0(VALU_DEP_1) | instskip(NEXT) | instid1(VALU_DEP_1)
	v_cmp_gt_u32_e64 s4, s44, v37
	s_and_saveexec_b32 s6, s4
	s_cbranch_execz .LBB255_15
; %bb.14:
	v_lshlrev_b32_e32 v7, 3, v37
	s_delay_alu instid0(VALU_DEP_1) | instskip(NEXT) | instid1(VALU_DEP_1)
	v_add_co_u32 v7, s5, v64, v7
	v_add_co_ci_u32_e64 v8, s5, 0, v63, s5
	flat_load_b64 v[7:8], v[7:8]
.LBB255_15:
	s_or_b32 exec_lo, exec_lo, s6
	v_or_b32_e32 v39, 0x400, v0
                                        ; implicit-def: $vgpr9_vgpr10
	s_delay_alu instid0(VALU_DEP_1) | instskip(NEXT) | instid1(VALU_DEP_1)
	v_cmp_gt_u32_e64 s5, s44, v39
	s_and_saveexec_b32 s7, s5
	s_cbranch_execz .LBB255_17
; %bb.16:
	v_lshlrev_b32_e32 v9, 3, v39
	s_delay_alu instid0(VALU_DEP_1) | instskip(NEXT) | instid1(VALU_DEP_1)
	v_add_co_u32 v9, s6, v64, v9
	v_add_co_ci_u32_e64 v10, s6, 0, v63, s6
	flat_load_b64 v[9:10], v[9:10]
.LBB255_17:
	s_or_b32 exec_lo, exec_lo, s7
	v_or_b32_e32 v41, 0x500, v0
                                        ; implicit-def: $vgpr11_vgpr12
	s_delay_alu instid0(VALU_DEP_1) | instskip(NEXT) | instid1(VALU_DEP_1)
	v_cmp_gt_u32_e64 s6, s44, v41
	s_and_saveexec_b32 s8, s6
	s_cbranch_execz .LBB255_19
; %bb.18:
	v_lshlrev_b32_e32 v11, 3, v41
	s_delay_alu instid0(VALU_DEP_1) | instskip(NEXT) | instid1(VALU_DEP_1)
	v_add_co_u32 v11, s7, v64, v11
	v_add_co_ci_u32_e64 v12, s7, 0, v63, s7
	flat_load_b64 v[11:12], v[11:12]
.LBB255_19:
	s_or_b32 exec_lo, exec_lo, s8
	v_or_b32_e32 v43, 0x600, v0
                                        ; implicit-def: $vgpr13_vgpr14
	s_delay_alu instid0(VALU_DEP_1) | instskip(NEXT) | instid1(VALU_DEP_1)
	v_cmp_gt_u32_e64 s7, s44, v43
	s_and_saveexec_b32 s9, s7
	s_cbranch_execz .LBB255_21
; %bb.20:
	v_lshlrev_b32_e32 v13, 3, v43
	s_delay_alu instid0(VALU_DEP_1) | instskip(NEXT) | instid1(VALU_DEP_1)
	v_add_co_u32 v13, s8, v64, v13
	v_add_co_ci_u32_e64 v14, s8, 0, v63, s8
	flat_load_b64 v[13:14], v[13:14]
.LBB255_21:
	s_or_b32 exec_lo, exec_lo, s9
	v_or_b32_e32 v45, 0x700, v0
                                        ; implicit-def: $vgpr15_vgpr16
	s_delay_alu instid0(VALU_DEP_1) | instskip(NEXT) | instid1(VALU_DEP_1)
	v_cmp_gt_u32_e64 s8, s44, v45
	s_and_saveexec_b32 s10, s8
	s_cbranch_execz .LBB255_23
; %bb.22:
	v_lshlrev_b32_e32 v15, 3, v45
	s_delay_alu instid0(VALU_DEP_1) | instskip(NEXT) | instid1(VALU_DEP_1)
	v_add_co_u32 v15, s9, v64, v15
	v_add_co_ci_u32_e64 v16, s9, 0, v63, s9
	flat_load_b64 v[15:16], v[15:16]
.LBB255_23:
	s_or_b32 exec_lo, exec_lo, s10
	v_or_b32_e32 v47, 0x800, v0
                                        ; implicit-def: $vgpr17_vgpr18
	s_delay_alu instid0(VALU_DEP_1) | instskip(NEXT) | instid1(VALU_DEP_1)
	v_cmp_gt_u32_e64 s9, s44, v47
	s_and_saveexec_b32 s11, s9
	s_cbranch_execz .LBB255_25
; %bb.24:
	v_lshlrev_b32_e32 v17, 3, v47
	s_delay_alu instid0(VALU_DEP_1) | instskip(NEXT) | instid1(VALU_DEP_1)
	v_add_co_u32 v17, s10, v64, v17
	v_add_co_ci_u32_e64 v18, s10, 0, v63, s10
	flat_load_b64 v[17:18], v[17:18]
.LBB255_25:
	s_or_b32 exec_lo, exec_lo, s11
	v_or_b32_e32 v49, 0x900, v0
                                        ; implicit-def: $vgpr19_vgpr20
	s_delay_alu instid0(VALU_DEP_1) | instskip(NEXT) | instid1(VALU_DEP_1)
	v_cmp_gt_u32_e64 s10, s44, v49
	s_and_saveexec_b32 s12, s10
	s_cbranch_execz .LBB255_27
; %bb.26:
	v_lshlrev_b32_e32 v19, 3, v49
	s_delay_alu instid0(VALU_DEP_1) | instskip(NEXT) | instid1(VALU_DEP_1)
	v_add_co_u32 v19, s11, v64, v19
	v_add_co_ci_u32_e64 v20, s11, 0, v63, s11
	flat_load_b64 v[19:20], v[19:20]
.LBB255_27:
	s_or_b32 exec_lo, exec_lo, s12
	v_or_b32_e32 v51, 0xa00, v0
                                        ; implicit-def: $vgpr21_vgpr22
	s_delay_alu instid0(VALU_DEP_1) | instskip(NEXT) | instid1(VALU_DEP_1)
	v_cmp_gt_u32_e64 s11, s44, v51
	s_and_saveexec_b32 s13, s11
	s_cbranch_execz .LBB255_29
; %bb.28:
	v_lshlrev_b32_e32 v21, 3, v51
	s_delay_alu instid0(VALU_DEP_1) | instskip(NEXT) | instid1(VALU_DEP_1)
	v_add_co_u32 v21, s12, v64, v21
	v_add_co_ci_u32_e64 v22, s12, 0, v63, s12
	flat_load_b64 v[21:22], v[21:22]
.LBB255_29:
	s_or_b32 exec_lo, exec_lo, s13
	v_or_b32_e32 v53, 0xb00, v0
                                        ; implicit-def: $vgpr23_vgpr24
	s_delay_alu instid0(VALU_DEP_1) | instskip(NEXT) | instid1(VALU_DEP_1)
	v_cmp_gt_u32_e64 s12, s44, v53
	s_and_saveexec_b32 s14, s12
	s_cbranch_execz .LBB255_31
; %bb.30:
	v_lshlrev_b32_e32 v23, 3, v53
	s_delay_alu instid0(VALU_DEP_1) | instskip(NEXT) | instid1(VALU_DEP_1)
	v_add_co_u32 v23, s13, v64, v23
	v_add_co_ci_u32_e64 v24, s13, 0, v63, s13
	flat_load_b64 v[23:24], v[23:24]
.LBB255_31:
	s_or_b32 exec_lo, exec_lo, s14
	v_or_b32_e32 v55, 0xc00, v0
                                        ; implicit-def: $vgpr25_vgpr26
	s_delay_alu instid0(VALU_DEP_1) | instskip(NEXT) | instid1(VALU_DEP_1)
	v_cmp_gt_u32_e64 s13, s44, v55
	s_and_saveexec_b32 s15, s13
	s_cbranch_execz .LBB255_33
; %bb.32:
	v_lshlrev_b32_e32 v25, 3, v55
	s_delay_alu instid0(VALU_DEP_1) | instskip(NEXT) | instid1(VALU_DEP_1)
	v_add_co_u32 v25, s14, v64, v25
	v_add_co_ci_u32_e64 v26, s14, 0, v63, s14
	flat_load_b64 v[25:26], v[25:26]
.LBB255_33:
	s_or_b32 exec_lo, exec_lo, s15
	v_or_b32_e32 v59, 0xd00, v0
                                        ; implicit-def: $vgpr27_vgpr28
	s_delay_alu instid0(VALU_DEP_1) | instskip(NEXT) | instid1(VALU_DEP_1)
	v_cmp_gt_u32_e64 s14, s44, v59
	s_and_saveexec_b32 s16, s14
	s_cbranch_execz .LBB255_35
; %bb.34:
	v_lshlrev_b32_e32 v27, 3, v59
	s_delay_alu instid0(VALU_DEP_1) | instskip(NEXT) | instid1(VALU_DEP_1)
	v_add_co_u32 v27, s15, v64, v27
	v_add_co_ci_u32_e64 v28, s15, 0, v63, s15
	flat_load_b64 v[27:28], v[27:28]
.LBB255_35:
	s_or_b32 exec_lo, exec_lo, s16
	v_or_b32_e32 v67, 0xe00, v0
                                        ; implicit-def: $vgpr29_vgpr30
	s_delay_alu instid0(VALU_DEP_1) | instskip(NEXT) | instid1(VALU_DEP_1)
	v_cmp_gt_u32_e64 s15, s44, v67
	s_and_saveexec_b32 s20, s15
	s_cbranch_execz .LBB255_37
; %bb.36:
	v_lshlrev_b32_e32 v29, 3, v67
	s_delay_alu instid0(VALU_DEP_1) | instskip(NEXT) | instid1(VALU_DEP_1)
	v_add_co_u32 v29, s16, v64, v29
	v_add_co_ci_u32_e64 v30, s16, 0, v63, s16
	flat_load_b64 v[29:30], v[29:30]
.LBB255_37:
	s_or_b32 exec_lo, exec_lo, s20
	v_lshlrev_b32_e32 v66, 3, v0
	s_waitcnt vmcnt(0) lgkmcnt(0)
	ds_store_2addr_stride64_b64 v66, v[1:2], v[3:4] offset1:4
	ds_store_2addr_stride64_b64 v66, v[5:6], v[7:8] offset0:8 offset1:12
	ds_store_2addr_stride64_b64 v66, v[9:10], v[11:12] offset0:16 offset1:20
	;; [unrolled: 1-line block ×6, first 2 shown]
	v_mad_u32_u24 v65, 0x70, v0, v66
	ds_store_b64 v66, v[29:30] offset:28672
	s_waitcnt lgkmcnt(0)
	s_barrier
	buffer_gl0_inv
	ds_load_2addr_b64 v[25:28], v65 offset1:1
	ds_load_2addr_b64 v[21:24], v65 offset0:2 offset1:3
	ds_load_2addr_b64 v[17:20], v65 offset0:4 offset1:5
	;; [unrolled: 1-line block ×6, first 2 shown]
	ds_load_b64 v[57:58], v65 offset:112
	s_waitcnt lgkmcnt(0)
	s_barrier
	buffer_gl0_inv
                                        ; implicit-def: $vgpr29_vgpr30
	s_and_saveexec_b32 s16, vcc_lo
	s_cbranch_execnz .LBB255_61
; %bb.38:
	s_or_b32 exec_lo, exec_lo, s16
                                        ; implicit-def: $vgpr31_vgpr32
	s_and_saveexec_b32 s16, s0
	s_cbranch_execnz .LBB255_62
.LBB255_39:
	s_or_b32 exec_lo, exec_lo, s16
                                        ; implicit-def: $vgpr33_vgpr34
	s_and_saveexec_b32 s0, s1
	s_cbranch_execnz .LBB255_63
.LBB255_40:
	s_or_b32 exec_lo, exec_lo, s0
                                        ; implicit-def: $vgpr35_vgpr36
	s_and_saveexec_b32 s0, s4
	s_cbranch_execnz .LBB255_64
.LBB255_41:
	s_or_b32 exec_lo, exec_lo, s0
                                        ; implicit-def: $vgpr37_vgpr38
	s_and_saveexec_b32 s0, s5
	s_cbranch_execnz .LBB255_65
.LBB255_42:
	s_or_b32 exec_lo, exec_lo, s0
                                        ; implicit-def: $vgpr39_vgpr40
	s_and_saveexec_b32 s0, s6
	s_cbranch_execnz .LBB255_66
.LBB255_43:
	s_or_b32 exec_lo, exec_lo, s0
                                        ; implicit-def: $vgpr41_vgpr42
	s_and_saveexec_b32 s0, s7
	s_cbranch_execnz .LBB255_67
.LBB255_44:
	s_or_b32 exec_lo, exec_lo, s0
                                        ; implicit-def: $vgpr43_vgpr44
	s_and_saveexec_b32 s0, s8
	s_cbranch_execnz .LBB255_68
.LBB255_45:
	s_or_b32 exec_lo, exec_lo, s0
                                        ; implicit-def: $vgpr45_vgpr46
	s_and_saveexec_b32 s0, s9
	s_cbranch_execnz .LBB255_69
.LBB255_46:
	s_or_b32 exec_lo, exec_lo, s0
                                        ; implicit-def: $vgpr47_vgpr48
	s_and_saveexec_b32 s0, s10
	s_cbranch_execnz .LBB255_70
.LBB255_47:
	s_or_b32 exec_lo, exec_lo, s0
                                        ; implicit-def: $vgpr49_vgpr50
	s_and_saveexec_b32 s0, s11
	s_cbranch_execnz .LBB255_71
.LBB255_48:
	s_or_b32 exec_lo, exec_lo, s0
                                        ; implicit-def: $vgpr51_vgpr52
	s_and_saveexec_b32 s0, s12
	s_cbranch_execnz .LBB255_72
.LBB255_49:
	s_or_b32 exec_lo, exec_lo, s0
                                        ; implicit-def: $vgpr53_vgpr54
	s_and_saveexec_b32 s0, s13
	s_cbranch_execnz .LBB255_73
.LBB255_50:
	s_or_b32 exec_lo, exec_lo, s0
                                        ; implicit-def: $vgpr55_vgpr56
	s_and_saveexec_b32 s0, s14
	s_cbranch_execnz .LBB255_74
.LBB255_51:
	s_or_b32 exec_lo, exec_lo, s0
                                        ; implicit-def: $vgpr59_vgpr60
	s_and_saveexec_b32 s0, s15
	s_cbranch_execz .LBB255_53
.LBB255_52:
	v_lshlrev_b32_e32 v59, 3, v67
	s_delay_alu instid0(VALU_DEP_1)
	v_add_co_u32 v59, vcc_lo, v61, v59
	v_add_co_ci_u32_e32 v60, vcc_lo, 0, v62, vcc_lo
	flat_load_b64 v[59:60], v[59:60]
.LBB255_53:
	s_or_b32 exec_lo, exec_lo, s0
	s_waitcnt vmcnt(0) lgkmcnt(0)
	ds_store_2addr_stride64_b64 v66, v[29:30], v[31:32] offset1:4
	ds_store_2addr_stride64_b64 v66, v[33:34], v[35:36] offset0:8 offset1:12
	ds_store_2addr_stride64_b64 v66, v[37:38], v[39:40] offset0:16 offset1:20
	;; [unrolled: 1-line block ×6, first 2 shown]
	ds_store_b64 v66, v[59:60] offset:28672
	s_waitcnt lgkmcnt(0)
	s_barrier
.LBB255_54:
	buffer_gl0_inv
	ds_load_2addr_b64 v[53:56], v65 offset1:1
	ds_load_2addr_b64 v[49:52], v65 offset0:2 offset1:3
	ds_load_2addr_b64 v[45:48], v65 offset0:4 offset1:5
	;; [unrolled: 1-line block ×6, first 2 shown]
	ds_load_b64 v[59:60], v65 offset:112
	s_cmp_eq_u64 s[18:19], 0
	s_waitcnt lgkmcnt(0)
	s_cselect_b32 s45, -1, 0
	s_cmp_lg_u64 s[18:19], 0
	s_barrier
	s_cselect_b32 s15, -1, 0
	s_and_b32 vcc_lo, exec_lo, s17
	buffer_gl0_inv
	s_cbranch_vccz .LBB255_60
; %bb.55:
	s_and_b32 vcc_lo, exec_lo, s15
	s_cbranch_vccz .LBB255_75
; %bb.56:
	v_add_co_u32 v61, vcc_lo, -8, v64
	v_add_co_ci_u32_e32 v62, vcc_lo, -1, v63, vcc_lo
	v_cmp_ne_u64_e64 s0, v[3:4], v[57:58]
	v_cmp_ne_u64_e64 s1, v[1:2], v[3:4]
	;; [unrolled: 1-line block ×3, first 2 shown]
	flat_load_b64 v[61:62], v[61:62]
	v_cmp_ne_u64_e64 s5, v[5:6], v[7:8]
	v_cmp_ne_u64_e64 s6, v[11:12], v[5:6]
	v_cmp_ne_u64_e64 s7, v[9:10], v[11:12]
	v_cmp_ne_u64_e64 s8, v[15:16], v[9:10]
	v_cmp_ne_u64_e64 s9, v[13:14], v[15:16]
	v_cmp_ne_u64_e64 s10, v[19:20], v[13:14]
	v_cmp_ne_u64_e64 s11, v[17:18], v[19:20]
	v_cmp_ne_u64_e64 s12, v[23:24], v[17:18]
	v_cmp_ne_u64_e64 s13, v[21:22], v[23:24]
	v_cmp_ne_u64_e64 s14, v[27:28], v[21:22]
	v_cmp_ne_u64_e32 vcc_lo, v[25:26], v[27:28]
	v_lshlrev_b32_e32 v65, 3, v0
	s_mov_b32 s46, -1
	ds_store_b64 v65, v[57:58]
	s_waitcnt vmcnt(0) lgkmcnt(0)
	s_barrier
	buffer_gl0_inv
	s_and_saveexec_b32 s16, s3
	s_cbranch_execz .LBB255_58
; %bb.57:
	v_add_nc_u32_e32 v61, -8, v65
	ds_load_b64 v[61:62], v61
.LBB255_58:
	s_or_b32 exec_lo, exec_lo, s16
	v_cndmask_b32_e64 v105, 0, 1, s0
	v_cndmask_b32_e64 v99, 0, 1, s1
	;; [unrolled: 1-line block ×13, first 2 shown]
	s_waitcnt lgkmcnt(0)
	v_cmp_ne_u64_e64 s0, v[61:62], v[25:26]
	v_cndmask_b32_e64 v112, 0, 1, vcc_lo
.LBB255_59:
                                        ; implicit-def: $sgpr1
	s_branch .LBB255_87
.LBB255_60:
	s_mov_b32 s46, 0
                                        ; implicit-def: $sgpr0
                                        ; implicit-def: $vgpr105
                                        ; implicit-def: $vgpr99
                                        ; implicit-def: $vgpr100
                                        ; implicit-def: $vgpr101
                                        ; implicit-def: $vgpr102
                                        ; implicit-def: $vgpr103
                                        ; implicit-def: $vgpr104
                                        ; implicit-def: $vgpr106
                                        ; implicit-def: $vgpr107
                                        ; implicit-def: $vgpr108
                                        ; implicit-def: $vgpr109
                                        ; implicit-def: $vgpr110
                                        ; implicit-def: $vgpr111
                                        ; implicit-def: $vgpr112
                                        ; implicit-def: $sgpr1
	s_cbranch_execnz .LBB255_79
	s_branch .LBB255_87
.LBB255_61:
	v_add_co_u32 v29, vcc_lo, v61, v66
	v_add_co_ci_u32_e32 v30, vcc_lo, 0, v62, vcc_lo
	flat_load_b64 v[29:30], v[29:30]
	s_or_b32 exec_lo, exec_lo, s16
                                        ; implicit-def: $vgpr31_vgpr32
	s_and_saveexec_b32 s16, s0
	s_cbranch_execz .LBB255_39
.LBB255_62:
	v_add_co_u32 v31, vcc_lo, v61, v66
	v_add_co_ci_u32_e32 v32, vcc_lo, 0, v62, vcc_lo
	flat_load_b64 v[31:32], v[31:32] offset:2048
	s_or_b32 exec_lo, exec_lo, s16
                                        ; implicit-def: $vgpr33_vgpr34
	s_and_saveexec_b32 s0, s1
	s_cbranch_execz .LBB255_40
.LBB255_63:
	v_lshlrev_b32_e32 v33, 3, v35
	s_delay_alu instid0(VALU_DEP_1)
	v_add_co_u32 v33, vcc_lo, v61, v33
	v_add_co_ci_u32_e32 v34, vcc_lo, 0, v62, vcc_lo
	flat_load_b64 v[33:34], v[33:34]
	s_or_b32 exec_lo, exec_lo, s0
                                        ; implicit-def: $vgpr35_vgpr36
	s_and_saveexec_b32 s0, s4
	s_cbranch_execz .LBB255_41
.LBB255_64:
	v_lshlrev_b32_e32 v35, 3, v37
	s_delay_alu instid0(VALU_DEP_1)
	v_add_co_u32 v35, vcc_lo, v61, v35
	v_add_co_ci_u32_e32 v36, vcc_lo, 0, v62, vcc_lo
	flat_load_b64 v[35:36], v[35:36]
	s_or_b32 exec_lo, exec_lo, s0
                                        ; implicit-def: $vgpr37_vgpr38
	s_and_saveexec_b32 s0, s5
	s_cbranch_execz .LBB255_42
.LBB255_65:
	v_lshlrev_b32_e32 v37, 3, v39
	s_delay_alu instid0(VALU_DEP_1)
	v_add_co_u32 v37, vcc_lo, v61, v37
	v_add_co_ci_u32_e32 v38, vcc_lo, 0, v62, vcc_lo
	flat_load_b64 v[37:38], v[37:38]
	s_or_b32 exec_lo, exec_lo, s0
                                        ; implicit-def: $vgpr39_vgpr40
	s_and_saveexec_b32 s0, s6
	s_cbranch_execz .LBB255_43
.LBB255_66:
	v_lshlrev_b32_e32 v39, 3, v41
	s_delay_alu instid0(VALU_DEP_1)
	v_add_co_u32 v39, vcc_lo, v61, v39
	v_add_co_ci_u32_e32 v40, vcc_lo, 0, v62, vcc_lo
	flat_load_b64 v[39:40], v[39:40]
	s_or_b32 exec_lo, exec_lo, s0
                                        ; implicit-def: $vgpr41_vgpr42
	s_and_saveexec_b32 s0, s7
	s_cbranch_execz .LBB255_44
.LBB255_67:
	v_lshlrev_b32_e32 v41, 3, v43
	s_delay_alu instid0(VALU_DEP_1)
	v_add_co_u32 v41, vcc_lo, v61, v41
	v_add_co_ci_u32_e32 v42, vcc_lo, 0, v62, vcc_lo
	flat_load_b64 v[41:42], v[41:42]
	s_or_b32 exec_lo, exec_lo, s0
                                        ; implicit-def: $vgpr43_vgpr44
	s_and_saveexec_b32 s0, s8
	s_cbranch_execz .LBB255_45
.LBB255_68:
	v_lshlrev_b32_e32 v43, 3, v45
	s_delay_alu instid0(VALU_DEP_1)
	v_add_co_u32 v43, vcc_lo, v61, v43
	v_add_co_ci_u32_e32 v44, vcc_lo, 0, v62, vcc_lo
	flat_load_b64 v[43:44], v[43:44]
	s_or_b32 exec_lo, exec_lo, s0
                                        ; implicit-def: $vgpr45_vgpr46
	s_and_saveexec_b32 s0, s9
	s_cbranch_execz .LBB255_46
.LBB255_69:
	v_lshlrev_b32_e32 v45, 3, v47
	s_delay_alu instid0(VALU_DEP_1)
	v_add_co_u32 v45, vcc_lo, v61, v45
	v_add_co_ci_u32_e32 v46, vcc_lo, 0, v62, vcc_lo
	flat_load_b64 v[45:46], v[45:46]
	s_or_b32 exec_lo, exec_lo, s0
                                        ; implicit-def: $vgpr47_vgpr48
	s_and_saveexec_b32 s0, s10
	s_cbranch_execz .LBB255_47
.LBB255_70:
	v_lshlrev_b32_e32 v47, 3, v49
	s_delay_alu instid0(VALU_DEP_1)
	v_add_co_u32 v47, vcc_lo, v61, v47
	v_add_co_ci_u32_e32 v48, vcc_lo, 0, v62, vcc_lo
	flat_load_b64 v[47:48], v[47:48]
	s_or_b32 exec_lo, exec_lo, s0
                                        ; implicit-def: $vgpr49_vgpr50
	s_and_saveexec_b32 s0, s11
	s_cbranch_execz .LBB255_48
.LBB255_71:
	v_lshlrev_b32_e32 v49, 3, v51
	s_delay_alu instid0(VALU_DEP_1)
	v_add_co_u32 v49, vcc_lo, v61, v49
	v_add_co_ci_u32_e32 v50, vcc_lo, 0, v62, vcc_lo
	flat_load_b64 v[49:50], v[49:50]
	s_or_b32 exec_lo, exec_lo, s0
                                        ; implicit-def: $vgpr51_vgpr52
	s_and_saveexec_b32 s0, s12
	s_cbranch_execz .LBB255_49
.LBB255_72:
	v_lshlrev_b32_e32 v51, 3, v53
	s_delay_alu instid0(VALU_DEP_1)
	v_add_co_u32 v51, vcc_lo, v61, v51
	v_add_co_ci_u32_e32 v52, vcc_lo, 0, v62, vcc_lo
	flat_load_b64 v[51:52], v[51:52]
	s_or_b32 exec_lo, exec_lo, s0
                                        ; implicit-def: $vgpr53_vgpr54
	s_and_saveexec_b32 s0, s13
	s_cbranch_execz .LBB255_50
.LBB255_73:
	v_lshlrev_b32_e32 v53, 3, v55
	s_delay_alu instid0(VALU_DEP_1)
	v_add_co_u32 v53, vcc_lo, v61, v53
	v_add_co_ci_u32_e32 v54, vcc_lo, 0, v62, vcc_lo
	flat_load_b64 v[53:54], v[53:54]
	s_or_b32 exec_lo, exec_lo, s0
                                        ; implicit-def: $vgpr55_vgpr56
	s_and_saveexec_b32 s0, s14
	s_cbranch_execz .LBB255_51
.LBB255_74:
	v_lshlrev_b32_e32 v55, 3, v59
	s_delay_alu instid0(VALU_DEP_1)
	v_add_co_u32 v55, vcc_lo, v61, v55
	v_add_co_ci_u32_e32 v56, vcc_lo, 0, v62, vcc_lo
	flat_load_b64 v[55:56], v[55:56]
	s_or_b32 exec_lo, exec_lo, s0
                                        ; implicit-def: $vgpr59_vgpr60
	s_and_saveexec_b32 s0, s15
	s_cbranch_execnz .LBB255_52
	s_branch .LBB255_53
.LBB255_75:
	s_mov_b32 s46, 0
                                        ; implicit-def: $sgpr0
                                        ; implicit-def: $vgpr105
                                        ; implicit-def: $vgpr99
                                        ; implicit-def: $vgpr100
                                        ; implicit-def: $vgpr101
                                        ; implicit-def: $vgpr102
                                        ; implicit-def: $vgpr103
                                        ; implicit-def: $vgpr104
                                        ; implicit-def: $vgpr106
                                        ; implicit-def: $vgpr107
                                        ; implicit-def: $vgpr108
                                        ; implicit-def: $vgpr109
                                        ; implicit-def: $vgpr110
                                        ; implicit-def: $vgpr111
                                        ; implicit-def: $vgpr112
	s_cbranch_execz .LBB255_59
; %bb.76:
	v_cmp_ne_u64_e32 vcc_lo, v[3:4], v[57:58]
	v_lshlrev_b32_e32 v61, 3, v0
                                        ; implicit-def: $sgpr0
	ds_store_b64 v61, v[57:58]
	v_cndmask_b32_e64 v105, 0, 1, vcc_lo
	v_cmp_ne_u64_e32 vcc_lo, v[1:2], v[3:4]
	s_waitcnt lgkmcnt(0)
	s_barrier
	buffer_gl0_inv
	v_cndmask_b32_e64 v99, 0, 1, vcc_lo
	v_cmp_ne_u64_e32 vcc_lo, v[7:8], v[1:2]
	v_cndmask_b32_e64 v100, 0, 1, vcc_lo
	v_cmp_ne_u64_e32 vcc_lo, v[5:6], v[7:8]
	v_cndmask_b32_e64 v101, 0, 1, vcc_lo
	v_cmp_ne_u64_e32 vcc_lo, v[11:12], v[5:6]
	v_cndmask_b32_e64 v102, 0, 1, vcc_lo
	v_cmp_ne_u64_e32 vcc_lo, v[9:10], v[11:12]
	v_cndmask_b32_e64 v103, 0, 1, vcc_lo
	v_cmp_ne_u64_e32 vcc_lo, v[15:16], v[9:10]
	v_cndmask_b32_e64 v104, 0, 1, vcc_lo
	v_cmp_ne_u64_e32 vcc_lo, v[13:14], v[15:16]
	v_cndmask_b32_e64 v106, 0, 1, vcc_lo
	v_cmp_ne_u64_e32 vcc_lo, v[19:20], v[13:14]
	v_cndmask_b32_e64 v107, 0, 1, vcc_lo
	v_cmp_ne_u64_e32 vcc_lo, v[17:18], v[19:20]
	v_cndmask_b32_e64 v108, 0, 1, vcc_lo
	v_cmp_ne_u64_e32 vcc_lo, v[23:24], v[17:18]
	v_cndmask_b32_e64 v109, 0, 1, vcc_lo
	v_cmp_ne_u64_e32 vcc_lo, v[21:22], v[23:24]
	v_cndmask_b32_e64 v110, 0, 1, vcc_lo
	v_cmp_ne_u64_e32 vcc_lo, v[27:28], v[21:22]
	v_cndmask_b32_e64 v111, 0, 1, vcc_lo
	v_cmp_ne_u64_e32 vcc_lo, v[25:26], v[27:28]
	v_cndmask_b32_e64 v112, 0, 1, vcc_lo
	s_and_saveexec_b32 s1, s3
	s_delay_alu instid0(SALU_CYCLE_1)
	s_xor_b32 s1, exec_lo, s1
	s_cbranch_execz .LBB255_78
; %bb.77:
	v_add_nc_u32_e32 v61, -8, v61
	s_or_b32 s46, s46, exec_lo
	ds_load_b64 v[61:62], v61
	s_waitcnt lgkmcnt(0)
	v_cmp_ne_u64_e32 vcc_lo, v[61:62], v[25:26]
	s_and_b32 s0, vcc_lo, exec_lo
.LBB255_78:
	s_or_b32 exec_lo, exec_lo, s1
	s_mov_b32 s1, 1
	s_branch .LBB255_87
.LBB255_79:
	s_mul_hi_u32 s0, s18, 0xfffff100
	s_mul_i32 s1, s19, 0xfffff100
	s_sub_i32 s0, s0, s18
	s_mul_i32 s4, s18, 0xfffff100
	s_add_i32 s0, s0, s1
	s_add_u32 s24, s4, s48
	s_addc_u32 s25, s0, s49
	s_and_b32 vcc_lo, exec_lo, s15
	s_cbranch_vccz .LBB255_84
; %bb.80:
	v_add_co_u32 v61, vcc_lo, -8, v64
	v_add_co_ci_u32_e32 v62, vcc_lo, -1, v63, vcc_lo
	v_mad_u32_u24 v63, v0, 15, 14
	v_mov_b32_e32 v64, 0
	v_cmp_ne_u64_e64 s9, v[3:4], v[57:58]
	flat_load_b64 v[61:62], v[61:62]
	v_cmp_ne_u64_e64 s11, v[1:2], v[3:4]
	v_cmp_ne_u64_e64 s12, v[7:8], v[1:2]
	v_cmp_gt_u64_e32 vcc_lo, s[24:25], v[63:64]
	v_mad_u32_u24 v63, v0, 15, 13
	v_cmp_ne_u64_e64 s13, v[5:6], v[7:8]
	v_lshlrev_b32_e32 v66, 3, v0
	v_mul_u32_u24_e32 v65, 15, v0
	s_mov_b32 s46, -1
	v_cmp_gt_u64_e64 s0, s[24:25], v[63:64]
	v_mad_u32_u24 v63, v0, 15, 12
	s_and_b32 s15, vcc_lo, s9
	v_cmp_ne_u64_e64 s9, v[15:16], v[9:10]
	s_mov_b32 s14, 0
	ds_store_b64 v66, v[57:58]
	v_cmp_gt_u64_e64 s1, s[24:25], v[63:64]
	v_mad_u32_u24 v63, v0, 15, 11
	s_and_b32 s16, s0, s11
	v_cmp_ne_u64_e64 s0, v[11:12], v[5:6]
	v_cmp_ne_u64_e64 s11, v[13:14], v[15:16]
	s_waitcnt vmcnt(0) lgkmcnt(0)
	v_cmp_gt_u64_e64 s4, s[24:25], v[63:64]
	v_mad_u32_u24 v63, v0, 15, 10
	s_and_b32 s17, s1, s12
	v_cmp_ne_u64_e64 s12, v[25:26], v[27:28]
	s_barrier
	buffer_gl0_inv
	v_cmp_gt_u64_e64 s5, s[24:25], v[63:64]
	v_mad_u32_u24 v63, v0, 15, 9
	s_and_b32 s13, s4, s13
	v_cmp_ne_u64_e64 s4, v[9:10], v[11:12]
	s_delay_alu instid0(VALU_DEP_2) | instskip(SKIP_2) | instid1(VALU_DEP_1)
	v_cmp_gt_u64_e64 s6, s[24:25], v[63:64]
	v_mad_u32_u24 v63, v0, 15, 8
	s_and_b32 s19, s5, s0
	v_cmp_gt_u64_e64 s7, s[24:25], v[63:64]
	v_mad_u32_u24 v63, v0, 15, 7
	s_delay_alu instid0(VALU_DEP_4) | instskip(SKIP_2) | instid1(VALU_DEP_3)
	s_and_b32 s20, s6, s4
	v_cmp_ne_u64_e64 s4, v[19:20], v[13:14]
	v_cmp_ne_u64_e64 s6, v[17:18], v[19:20]
	v_cmp_gt_u64_e64 s8, s[24:25], v[63:64]
	v_mad_u32_u24 v63, v0, 15, 6
	s_and_b32 s21, s7, s9
	v_cmp_ne_u64_e64 s7, v[23:24], v[17:18]
	v_cmp_ne_u64_e64 s9, v[27:28], v[21:22]
	s_delay_alu instid0(VALU_DEP_3) | instskip(SKIP_3) | instid1(VALU_DEP_2)
	v_cmp_gt_u64_e64 s10, s[24:25], v[63:64]
	v_mad_u32_u24 v63, v0, 15, 5
	s_and_b32 s18, s8, s11
	v_cmp_ne_u64_e64 s8, v[21:22], v[23:24]
	v_cmp_gt_u64_e32 vcc_lo, s[24:25], v[63:64]
	v_mad_u32_u24 v63, v0, 15, 4
	s_and_b32 s10, s10, s4
	s_delay_alu instid0(VALU_DEP_1) | instskip(SKIP_2) | instid1(VALU_DEP_1)
	v_cmp_gt_u64_e64 s1, s[24:25], v[63:64]
	v_mad_u32_u24 v63, v0, 15, 3
	s_and_b32 s6, vcc_lo, s6
	v_cmp_gt_u64_e64 s0, s[24:25], v[63:64]
	v_mad_u32_u24 v63, v0, 15, 2
	s_delay_alu instid0(VALU_DEP_4) | instskip(NEXT) | instid1(VALU_DEP_1)
	s_and_b32 s7, s1, s7
	v_cmp_gt_u64_e64 s5, s[24:25], v[63:64]
	v_mad_u32_u24 v63, v0, 15, 1
	s_delay_alu instid0(VALU_DEP_4) | instskip(NEXT) | instid1(VALU_DEP_1)
	s_and_b32 s1, s0, s8
	v_cmp_gt_u64_e64 s11, s[24:25], v[63:64]
	s_delay_alu instid0(VALU_DEP_3) | instskip(NEXT) | instid1(VALU_DEP_1)
	s_and_b32 s4, s5, s9
	s_and_b32 s5, s11, s12
	s_and_saveexec_b32 s0, s3
	s_cbranch_execz .LBB255_82
; %bb.81:
	v_add_nc_u32_e32 v61, -8, v66
	ds_load_b64 v[61:62], v61
.LBB255_82:
	s_or_b32 exec_lo, exec_lo, s0
	v_mov_b32_e32 v66, v64
	s_waitcnt lgkmcnt(0)
	v_cmp_ne_u64_e64 s0, v[61:62], v[25:26]
	v_cndmask_b32_e64 v105, 0, 1, s15
	v_cndmask_b32_e64 v99, 0, 1, s16
	;; [unrolled: 1-line block ×3, first 2 shown]
	v_cmp_gt_u64_e32 vcc_lo, s[24:25], v[65:66]
	v_cndmask_b32_e64 v101, 0, 1, s13
	v_cndmask_b32_e64 v102, 0, 1, s19
	;; [unrolled: 1-line block ×11, first 2 shown]
	s_and_b32 s0, vcc_lo, s0
	s_and_b32 vcc_lo, exec_lo, s14
	s_cbranch_vccnz .LBB255_85
.LBB255_83:
                                        ; implicit-def: $sgpr1
	v_mov_b32_e32 v113, s1
	s_and_saveexec_b32 s1, s46
	s_cbranch_execnz .LBB255_88
	s_branch .LBB255_89
.LBB255_84:
                                        ; implicit-def: $sgpr0
                                        ; implicit-def: $vgpr105
                                        ; implicit-def: $vgpr99
                                        ; implicit-def: $vgpr100
                                        ; implicit-def: $vgpr101
                                        ; implicit-def: $vgpr102
                                        ; implicit-def: $vgpr103
                                        ; implicit-def: $vgpr104
                                        ; implicit-def: $vgpr106
                                        ; implicit-def: $vgpr107
                                        ; implicit-def: $vgpr108
                                        ; implicit-def: $vgpr109
                                        ; implicit-def: $vgpr110
                                        ; implicit-def: $vgpr111
                                        ; implicit-def: $vgpr112
	s_cbranch_execz .LBB255_83
.LBB255_85:
	v_mad_u32_u24 v61, v0, 15, 14
	v_dual_mov_b32 v62, 0 :: v_dual_lshlrev_b32 v63, 3, v0
	v_cmp_ne_u64_e64 s7, v[1:2], v[3:4]
	v_cmp_ne_u64_e64 s6, v[3:4], v[57:58]
	;; [unrolled: 1-line block ×3, first 2 shown]
	s_delay_alu instid0(VALU_DEP_4)
	v_cmp_gt_u64_e32 vcc_lo, s[24:25], v[61:62]
	v_mad_u32_u24 v61, v0, 15, 13
	v_cmp_ne_u64_e64 s10, v[5:6], v[7:8]
	v_cmp_ne_u64_e64 s11, v[11:12], v[5:6]
	;; [unrolled: 1-line block ×4, first 2 shown]
	v_cmp_gt_u64_e64 s0, s[24:25], v[61:62]
	v_mad_u32_u24 v61, v0, 15, 12
	s_and_b32 s6, vcc_lo, s6
	v_cmp_ne_u64_e64 s15, v[13:14], v[15:16]
	v_cmp_ne_u64_e64 s16, v[19:20], v[13:14]
	;; [unrolled: 1-line block ×3, first 2 shown]
	v_cmp_gt_u64_e64 s1, s[24:25], v[61:62]
	v_mad_u32_u24 v61, v0, 15, 11
	s_and_b32 s0, s0, s7
	v_cmp_ne_u64_e64 s18, v[23:24], v[17:18]
	v_cndmask_b32_e64 v99, 0, 1, s0
	v_cmp_ne_u64_e64 s20, v[21:22], v[23:24]
	v_cmp_gt_u64_e64 s4, s[24:25], v[61:62]
	v_mad_u32_u24 v61, v0, 15, 10
	s_and_b32 s0, s1, s8
	v_cmp_ne_u64_e64 s21, v[27:28], v[21:22]
	v_cndmask_b32_e64 v100, 0, 1, s0
	v_cmp_ne_u64_e64 s22, v[25:26], v[27:28]
	v_cmp_gt_u64_e64 s5, s[24:25], v[61:62]
	v_mad_u32_u24 v61, v0, 15, 9
	s_and_b32 s0, s4, s10
	v_cndmask_b32_e64 v105, 0, 1, s6
	v_cndmask_b32_e64 v101, 0, 1, s0
	ds_store_b64 v63, v[57:58]
	v_cmp_gt_u64_e64 s9, s[24:25], v[61:62]
	v_mad_u32_u24 v61, v0, 15, 8
	s_and_b32 s1, s5, s11
	s_waitcnt lgkmcnt(0)
	v_cndmask_b32_e64 v102, 0, 1, s1
	s_barrier
	v_cmp_gt_u64_e64 s14, s[24:25], v[61:62]
	v_mad_u32_u24 v61, v0, 15, 7
	s_and_b32 s1, s9, s12
	buffer_gl0_inv
	v_cndmask_b32_e64 v103, 0, 1, s1
	v_cmp_gt_u64_e64 s19, s[24:25], v[61:62]
	v_mad_u32_u24 v61, v0, 15, 6
	s_and_b32 s4, s14, s13
	s_delay_alu instid0(SALU_CYCLE_1) | instskip(NEXT) | instid1(VALU_DEP_2)
	v_cndmask_b32_e64 v104, 0, 1, s4
	v_cmp_gt_u64_e64 s23, s[24:25], v[61:62]
	v_mad_u32_u24 v61, v0, 15, 5
	s_and_b32 s4, s19, s15
	s_delay_alu instid0(SALU_CYCLE_1) | instskip(NEXT) | instid1(VALU_DEP_2)
	v_cndmask_b32_e64 v106, 0, 1, s4
	v_cmp_gt_u64_e32 vcc_lo, s[24:25], v[61:62]
	v_mad_u32_u24 v61, v0, 15, 4
	s_and_b32 s5, s23, s16
	s_delay_alu instid0(SALU_CYCLE_1) | instskip(NEXT) | instid1(VALU_DEP_2)
	v_cndmask_b32_e64 v107, 0, 1, s5
	v_cmp_gt_u64_e64 s0, s[24:25], v[61:62]
	v_mad_u32_u24 v61, v0, 15, 3
	s_and_b32 s5, vcc_lo, s17
	s_delay_alu instid0(SALU_CYCLE_1) | instskip(NEXT) | instid1(VALU_DEP_2)
	v_cndmask_b32_e64 v108, 0, 1, s5
	v_cmp_gt_u64_e64 s1, s[24:25], v[61:62]
	v_mad_u32_u24 v61, v0, 15, 2
	s_and_b32 s0, s0, s18
	s_delay_alu instid0(SALU_CYCLE_1) | instskip(NEXT) | instid1(VALU_DEP_2)
	v_cndmask_b32_e64 v109, 0, 1, s0
	v_cmp_gt_u64_e64 s4, s[24:25], v[61:62]
	v_mad_u32_u24 v61, v0, 15, 1
	s_and_b32 s0, s1, s20
	s_mov_b32 s1, 1
	v_cndmask_b32_e64 v110, 0, 1, s0
	s_delay_alu instid0(VALU_DEP_2) | instskip(SKIP_1) | instid1(SALU_CYCLE_1)
	v_cmp_gt_u64_e32 vcc_lo, s[24:25], v[61:62]
	s_and_b32 s0, s4, s21
	v_cndmask_b32_e64 v111, 0, 1, s0
	s_and_b32 s0, vcc_lo, s22
	s_delay_alu instid0(SALU_CYCLE_1)
	v_cndmask_b32_e64 v112, 0, 1, s0
                                        ; implicit-def: $sgpr0
	s_and_saveexec_b32 s4, s3
	s_cbranch_execz .LBB255_224
; %bb.86:
	v_add_nc_u32_e32 v61, -8, v63
	s_or_b32 s46, s46, exec_lo
	ds_load_b64 v[63:64], v61
	v_mul_u32_u24_e32 v61, 15, v0
	s_delay_alu instid0(VALU_DEP_1) | instskip(SKIP_2) | instid1(VALU_DEP_1)
	v_cmp_gt_u64_e32 vcc_lo, s[24:25], v[61:62]
	s_waitcnt lgkmcnt(0)
	v_cmp_ne_u64_e64 s0, v[63:64], v[25:26]
	s_and_b32 s0, vcc_lo, s0
	s_delay_alu instid0(SALU_CYCLE_1)
	s_and_b32 s0, s0, exec_lo
	s_or_b32 exec_lo, exec_lo, s4
.LBB255_87:
	v_mov_b32_e32 v113, s1
	s_and_saveexec_b32 s1, s46
.LBB255_88:
	s_delay_alu instid0(VALU_DEP_3)
	v_cndmask_b32_e64 v113, 0, 1, s0
.LBB255_89:
	s_or_b32 exec_lo, exec_lo, s1
	s_delay_alu instid0(VALU_DEP_1)
	v_add3_u32 v61, v112, v113, v111
	v_dual_mov_b32 v95, v53 :: v_dual_mov_b32 v96, v54
	v_cmp_eq_u32_e64 s13, 0, v112
	v_cmp_eq_u32_e64 s12, 0, v111
	;; [unrolled: 1-line block ×3, first 2 shown]
	v_add3_u32 v116, v61, v110, v109
	v_cmp_eq_u32_e64 s10, 0, v109
	v_cmp_eq_u32_e64 s9, 0, v108
	;; [unrolled: 1-line block ×10, first 2 shown]
	v_cmp_eq_u32_e32 vcc_lo, 0, v105
	v_mbcnt_lo_u32_b32 v115, -1, 0
	s_cmp_eq_u64 s[42:43], 0
	s_cselect_b32 s15, -1, 0
	s_cmp_lg_u32 s52, 0
	s_cbranch_scc0 .LBB255_156
; %bb.90:
	v_cndmask_b32_e64 v61, 0, v53, s13
	v_cndmask_b32_e64 v62, 0, v54, s13
	v_add3_u32 v63, v116, v108, v107
	s_delay_alu instid0(VALU_DEP_3) | instskip(NEXT) | instid1(VALU_DEP_1)
	v_add_co_u32 v61, s14, v61, v55
	v_add_co_ci_u32_e64 v62, s14, v62, v56, s14
	s_delay_alu instid0(VALU_DEP_3) | instskip(NEXT) | instid1(VALU_DEP_3)
	v_add3_u32 v63, v63, v106, v104
	v_cndmask_b32_e64 v61, 0, v61, s12
	s_delay_alu instid0(VALU_DEP_3) | instskip(NEXT) | instid1(VALU_DEP_3)
	v_cndmask_b32_e64 v62, 0, v62, s12
	v_add3_u32 v63, v63, v103, v102
	s_delay_alu instid0(VALU_DEP_3) | instskip(NEXT) | instid1(VALU_DEP_1)
	v_add_co_u32 v61, s14, v61, v49
	v_add_co_ci_u32_e64 v62, s14, v62, v50, s14
	s_delay_alu instid0(VALU_DEP_3) | instskip(NEXT) | instid1(VALU_DEP_3)
	v_add3_u32 v63, v63, v101, v100
	v_cndmask_b32_e64 v61, 0, v61, s11
	s_delay_alu instid0(VALU_DEP_3) | instskip(NEXT) | instid1(VALU_DEP_3)
	v_cndmask_b32_e64 v62, 0, v62, s11
	v_add3_u32 v65, v63, v99, v105
	s_delay_alu instid0(VALU_DEP_3) | instskip(NEXT) | instid1(VALU_DEP_1)
	v_add_co_u32 v61, s14, v61, v51
	v_add_co_ci_u32_e64 v62, s14, v62, v52, s14
	s_delay_alu instid0(VALU_DEP_2) | instskip(NEXT) | instid1(VALU_DEP_2)
	v_cndmask_b32_e64 v61, 0, v61, s10
	v_cndmask_b32_e64 v62, 0, v62, s10
	s_delay_alu instid0(VALU_DEP_2) | instskip(NEXT) | instid1(VALU_DEP_1)
	v_add_co_u32 v61, s14, v61, v45
	v_add_co_ci_u32_e64 v62, s14, v62, v46, s14
	s_delay_alu instid0(VALU_DEP_2) | instskip(NEXT) | instid1(VALU_DEP_2)
	v_cndmask_b32_e64 v61, 0, v61, s9
	v_cndmask_b32_e64 v62, 0, v62, s9
	s_delay_alu instid0(VALU_DEP_2) | instskip(NEXT) | instid1(VALU_DEP_1)
	;; [unrolled: 6-line block ×10, first 2 shown]
	v_add_co_u32 v61, s14, v61, v31
	v_add_co_ci_u32_e64 v62, s14, v62, v32, s14
	s_mov_b32 s14, exec_lo
	s_delay_alu instid0(VALU_DEP_1) | instskip(NEXT) | instid1(VALU_DEP_1)
	v_dual_cndmask_b32 v61, 0, v61 :: v_dual_cndmask_b32 v62, 0, v62
	v_add_co_u32 v63, vcc_lo, v61, v59
	s_delay_alu instid0(VALU_DEP_2) | instskip(SKIP_2) | instid1(VALU_DEP_4)
	v_add_co_ci_u32_e32 v64, vcc_lo, v62, v60, vcc_lo
	v_and_b32_e32 v61, 15, v115
	v_mov_b32_dpp v62, v65 row_shr:1 row_mask:0xf bank_mask:0xf
	v_mov_b32_dpp v66, v63 row_shr:1 row_mask:0xf bank_mask:0xf
	s_delay_alu instid0(VALU_DEP_4) | instskip(NEXT) | instid1(VALU_DEP_4)
	v_mov_b32_dpp v67, v64 row_shr:1 row_mask:0xf bank_mask:0xf
	v_cmpx_ne_u32_e32 0, v61
; %bb.91:
	v_cmp_eq_u32_e32 vcc_lo, 0, v65
	v_add_nc_u32_e32 v65, v62, v65
	s_delay_alu instid0(VALU_DEP_4) | instskip(NEXT) | instid1(VALU_DEP_1)
	v_dual_cndmask_b32 v67, 0, v67 :: v_dual_cndmask_b32 v66, 0, v66
	v_add_co_u32 v63, vcc_lo, v66, v63
	s_delay_alu instid0(VALU_DEP_2)
	v_add_co_ci_u32_e32 v64, vcc_lo, v67, v64, vcc_lo
; %bb.92:
	s_or_b32 exec_lo, exec_lo, s14
	v_mov_b32_dpp v62, v65 row_shr:2 row_mask:0xf bank_mask:0xf
	s_delay_alu instid0(VALU_DEP_3) | instskip(NEXT) | instid1(VALU_DEP_3)
	v_mov_b32_dpp v66, v63 row_shr:2 row_mask:0xf bank_mask:0xf
	v_mov_b32_dpp v67, v64 row_shr:2 row_mask:0xf bank_mask:0xf
	s_mov_b32 s14, exec_lo
	v_cmpx_lt_u32_e32 1, v61
; %bb.93:
	v_cmp_eq_u32_e32 vcc_lo, 0, v65
	v_add_nc_u32_e32 v65, v62, v65
	v_dual_cndmask_b32 v67, 0, v67 :: v_dual_cndmask_b32 v66, 0, v66
	s_delay_alu instid0(VALU_DEP_1) | instskip(NEXT) | instid1(VALU_DEP_2)
	v_add_co_u32 v63, vcc_lo, v66, v63
	v_add_co_ci_u32_e32 v64, vcc_lo, v67, v64, vcc_lo
; %bb.94:
	s_or_b32 exec_lo, exec_lo, s14
	v_mov_b32_dpp v62, v65 row_shr:4 row_mask:0xf bank_mask:0xf
	s_delay_alu instid0(VALU_DEP_3) | instskip(NEXT) | instid1(VALU_DEP_3)
	v_mov_b32_dpp v66, v63 row_shr:4 row_mask:0xf bank_mask:0xf
	v_mov_b32_dpp v67, v64 row_shr:4 row_mask:0xf bank_mask:0xf
	s_mov_b32 s14, exec_lo
	v_cmpx_lt_u32_e32 3, v61
; %bb.95:
	v_cmp_eq_u32_e32 vcc_lo, 0, v65
	v_add_nc_u32_e32 v65, v62, v65
	v_dual_cndmask_b32 v67, 0, v67 :: v_dual_cndmask_b32 v66, 0, v66
	s_delay_alu instid0(VALU_DEP_1) | instskip(NEXT) | instid1(VALU_DEP_2)
	v_add_co_u32 v63, vcc_lo, v66, v63
	;; [unrolled: 15-line block ×3, first 2 shown]
	v_add_co_ci_u32_e32 v64, vcc_lo, v61, v64, vcc_lo
; %bb.98:
	s_or_b32 exec_lo, exec_lo, s14
	ds_swizzle_b32 v61, v65 offset:swizzle(BROADCAST,32,15)
	ds_swizzle_b32 v62, v63 offset:swizzle(BROADCAST,32,15)
	;; [unrolled: 1-line block ×3, first 2 shown]
	v_and_b32_e32 v67, 16, v115
	s_mov_b32 s14, exec_lo
	s_delay_alu instid0(VALU_DEP_1)
	v_cmpx_ne_u32_e32 0, v67
	s_cbranch_execz .LBB255_100
; %bb.99:
	v_cmp_eq_u32_e32 vcc_lo, 0, v65
	s_waitcnt lgkmcnt(1)
	v_dual_cndmask_b32 v62, 0, v62 :: v_dual_add_nc_u32 v65, v61, v65
	s_waitcnt lgkmcnt(0)
	v_cndmask_b32_e32 v66, 0, v66, vcc_lo
	s_delay_alu instid0(VALU_DEP_2) | instskip(NEXT) | instid1(VALU_DEP_2)
	v_add_co_u32 v63, vcc_lo, v62, v63
	v_add_co_ci_u32_e32 v64, vcc_lo, v66, v64, vcc_lo
.LBB255_100:
	s_or_b32 exec_lo, exec_lo, s14
	s_waitcnt lgkmcnt(1)
	v_lshrrev_b32_e32 v62, 5, v0
	v_or_b32_e32 v61, 31, v0
	s_mov_b32 s14, exec_lo
	s_waitcnt lgkmcnt(0)
	s_delay_alu instid0(VALU_DEP_2) | instskip(NEXT) | instid1(VALU_DEP_2)
	v_lshlrev_b32_e32 v66, 4, v62
	v_cmpx_eq_u32_e64 v61, v0
	s_cbranch_execz .LBB255_102
; %bb.101:
	ds_store_b32 v66, v65 offset:4128
	ds_store_b64 v66, v[63:64] offset:4136
.LBB255_102:
	s_or_b32 exec_lo, exec_lo, s14
	s_delay_alu instid0(SALU_CYCLE_1)
	s_mov_b32 s14, exec_lo
	s_waitcnt lgkmcnt(0)
	s_barrier
	buffer_gl0_inv
	v_cmpx_gt_u32_e32 8, v0
	s_cbranch_execz .LBB255_110
; %bb.103:
	v_lshlrev_b32_e32 v67, 4, v0
	v_and_b32_e32 v69, 7, v115
	s_mov_b32 s16, exec_lo
	ds_load_b32 v68, v67 offset:4128
	ds_load_b64 v[61:62], v67 offset:4136
	s_waitcnt lgkmcnt(1)
	v_mov_b32_dpp v70, v68 row_shr:1 row_mask:0xf bank_mask:0xf
	s_waitcnt lgkmcnt(0)
	v_mov_b32_dpp v71, v61 row_shr:1 row_mask:0xf bank_mask:0xf
	v_mov_b32_dpp v72, v62 row_shr:1 row_mask:0xf bank_mask:0xf
	v_cmpx_ne_u32_e32 0, v69
; %bb.104:
	v_cmp_eq_u32_e32 vcc_lo, 0, v68
	v_add_nc_u32_e32 v68, v70, v68
	s_delay_alu instid0(VALU_DEP_4) | instskip(NEXT) | instid1(VALU_DEP_1)
	v_dual_cndmask_b32 v72, 0, v72 :: v_dual_cndmask_b32 v71, 0, v71
	v_add_co_u32 v61, vcc_lo, v71, v61
	s_delay_alu instid0(VALU_DEP_2)
	v_add_co_ci_u32_e32 v62, vcc_lo, v72, v62, vcc_lo
; %bb.105:
	s_or_b32 exec_lo, exec_lo, s16
	v_mov_b32_dpp v70, v68 row_shr:2 row_mask:0xf bank_mask:0xf
	s_delay_alu instid0(VALU_DEP_3) | instskip(NEXT) | instid1(VALU_DEP_3)
	v_mov_b32_dpp v71, v61 row_shr:2 row_mask:0xf bank_mask:0xf
	v_mov_b32_dpp v72, v62 row_shr:2 row_mask:0xf bank_mask:0xf
	s_mov_b32 s16, exec_lo
	v_cmpx_lt_u32_e32 1, v69
; %bb.106:
	v_cmp_eq_u32_e32 vcc_lo, 0, v68
	v_add_nc_u32_e32 v68, v70, v68
	v_dual_cndmask_b32 v72, 0, v72 :: v_dual_cndmask_b32 v71, 0, v71
	s_delay_alu instid0(VALU_DEP_1) | instskip(NEXT) | instid1(VALU_DEP_2)
	v_add_co_u32 v61, vcc_lo, v71, v61
	v_add_co_ci_u32_e32 v62, vcc_lo, v72, v62, vcc_lo
; %bb.107:
	s_or_b32 exec_lo, exec_lo, s16
	v_mov_b32_dpp v70, v68 row_shr:4 row_mask:0xf bank_mask:0xf
	s_delay_alu instid0(VALU_DEP_3) | instskip(NEXT) | instid1(VALU_DEP_3)
	v_mov_b32_dpp v71, v61 row_shr:4 row_mask:0xf bank_mask:0xf
	v_mov_b32_dpp v72, v62 row_shr:4 row_mask:0xf bank_mask:0xf
	s_mov_b32 s16, exec_lo
	v_cmpx_lt_u32_e32 3, v69
; %bb.108:
	v_cmp_eq_u32_e32 vcc_lo, 0, v68
	v_dual_cndmask_b32 v71, 0, v71 :: v_dual_add_nc_u32 v68, v70, v68
	v_cndmask_b32_e32 v69, 0, v72, vcc_lo
	s_delay_alu instid0(VALU_DEP_2) | instskip(NEXT) | instid1(VALU_DEP_2)
	v_add_co_u32 v61, vcc_lo, v71, v61
	v_add_co_ci_u32_e32 v62, vcc_lo, v69, v62, vcc_lo
; %bb.109:
	s_or_b32 exec_lo, exec_lo, s16
	ds_store_b32 v67, v68 offset:4128
	ds_store_b64 v67, v[61:62] offset:4136
.LBB255_110:
	s_or_b32 exec_lo, exec_lo, s14
	v_mov_b32_e32 v61, 0
	v_cmp_gt_u32_e32 vcc_lo, 32, v0
	v_dual_mov_b32 v62, 0 :: v_dual_mov_b32 v71, 0
	s_mov_b32 s16, exec_lo
	s_waitcnt lgkmcnt(0)
	s_barrier
	buffer_gl0_inv
	v_cmpx_lt_u32_e32 31, v0
	s_cbranch_execz .LBB255_112
; %bb.111:
	ds_load_b64 v[61:62], v66 offset:4120
	ds_load_b32 v71, v66 offset:4112
	v_cmp_eq_u32_e64 s14, 0, v65
	s_waitcnt lgkmcnt(1)
	s_delay_alu instid0(VALU_DEP_1) | instskip(SKIP_3) | instid1(VALU_DEP_3)
	v_cndmask_b32_e64 v67, 0, v61, s14
	v_cndmask_b32_e64 v66, 0, v62, s14
	s_waitcnt lgkmcnt(0)
	v_add_nc_u32_e32 v65, v71, v65
	v_add_co_u32 v63, s14, v67, v63
	s_delay_alu instid0(VALU_DEP_1)
	v_add_co_ci_u32_e64 v64, s14, v66, v64, s14
.LBB255_112:
	s_or_b32 exec_lo, exec_lo, s16
	v_add_nc_u32_e32 v66, -1, v115
	s_delay_alu instid0(VALU_DEP_1) | instskip(NEXT) | instid1(VALU_DEP_1)
	v_cmp_gt_i32_e64 s14, 0, v66
	v_cndmask_b32_e64 v66, v66, v115, s14
	v_cmp_eq_u32_e64 s14, 0, v115
	s_delay_alu instid0(VALU_DEP_2)
	v_lshlrev_b32_e32 v66, 2, v66
	ds_bpermute_b32 v74, v66, v65
	ds_bpermute_b32 v73, v66, v63
	;; [unrolled: 1-line block ×3, first 2 shown]
	s_and_saveexec_b32 s16, vcc_lo
	s_cbranch_execz .LBB255_155
; %bb.113:
	v_mov_b32_e32 v67, 0
	ds_load_b32 v75, v67 offset:4240
	ds_load_b64 v[63:64], v67 offset:4248
	s_and_saveexec_b32 s17, s14
	s_cbranch_execz .LBB255_115
; %bb.114:
	s_add_i32 s18, s52, 32
	s_mov_b32 s19, 0
	v_dual_mov_b32 v65, s18 :: v_dual_mov_b32 v66, 1
	s_lshl_b64 s[20:21], s[18:19], 4
	s_delay_alu instid0(SALU_CYCLE_1)
	s_add_u32 s18, s36, s20
	s_addc_u32 s19, s37, s21
	s_waitcnt lgkmcnt(1)
	global_store_b32 v67, v75, s[18:19]
	s_waitcnt lgkmcnt(0)
	global_store_b64 v67, v[63:64], s[18:19] offset:8
	s_waitcnt_vscnt null, 0x0
	buffer_gl1_inv
	buffer_gl0_inv
	global_store_b8 v65, v66, s[40:41]
.LBB255_115:
	s_or_b32 exec_lo, exec_lo, s17
	v_xad_u32 v65, v115, -1, s52
	s_mov_b32 s18, 0
	s_mov_b32 s17, exec_lo
	s_delay_alu instid0(VALU_DEP_1)
	v_add_nc_u32_e32 v66, 32, v65
	global_load_u8 v76, v66, s[40:41] glc
	s_waitcnt vmcnt(0)
	v_cmpx_eq_u16_e32 0, v76
	s_cbranch_execz .LBB255_121
; %bb.116:
	v_add_co_u32 v68, s19, s40, v66
	s_delay_alu instid0(VALU_DEP_1)
	v_add_co_ci_u32_e64 v69, null, s41, 0, s19
	s_mov_b32 s19, 1
.LBB255_117:                            ; =>This Loop Header: Depth=1
                                        ;     Child Loop BB255_118 Depth 2
	s_delay_alu instid0(SALU_CYCLE_1)
	s_max_u32 s20, s19, 1
.LBB255_118:                            ;   Parent Loop BB255_117 Depth=1
                                        ; =>  This Inner Loop Header: Depth=2
	s_delay_alu instid0(SALU_CYCLE_1)
	s_add_i32 s20, s20, -1
	s_sleep 1
	s_cmp_eq_u32 s20, 0
	s_cbranch_scc0 .LBB255_118
; %bb.119:                              ;   in Loop: Header=BB255_117 Depth=1
	global_load_u8 v76, v[68:69], off glc
	s_cmp_lt_u32 s19, 32
	s_cselect_b32 s20, -1, 0
	s_delay_alu instid0(SALU_CYCLE_1) | instskip(SKIP_4) | instid1(SALU_CYCLE_1)
	s_cmp_lg_u32 s20, 0
	s_addc_u32 s19, s19, 0
	s_waitcnt vmcnt(0)
	v_cmp_ne_u16_e32 vcc_lo, 0, v76
	s_or_b32 s18, vcc_lo, s18
	s_and_not1_b32 exec_lo, exec_lo, s18
	s_cbranch_execnz .LBB255_117
; %bb.120:
	s_or_b32 exec_lo, exec_lo, s18
.LBB255_121:
	s_delay_alu instid0(SALU_CYCLE_1)
	s_or_b32 exec_lo, exec_lo, s17
	v_dual_mov_b32 v68, s37 :: v_dual_mov_b32 v69, s36
	v_cmp_eq_u16_e32 vcc_lo, 1, v76
	v_lshlrev_b64 v[66:67], 4, v[66:67]
	s_waitcnt lgkmcnt(0)
	s_waitcnt_vscnt null, 0x0
	buffer_gl1_inv
	buffer_gl0_inv
	v_lshlrev_b32_e64 v78, v115, -1
	s_mov_b32 s17, exec_lo
	v_cndmask_b32_e32 v69, s38, v69, vcc_lo
	v_cndmask_b32_e32 v68, s39, v68, vcc_lo
	s_delay_alu instid0(VALU_DEP_2) | instskip(NEXT) | instid1(VALU_DEP_2)
	v_add_co_u32 v66, vcc_lo, v69, v66
	v_add_co_ci_u32_e32 v67, vcc_lo, v68, v67, vcc_lo
	v_cmp_ne_u32_e32 vcc_lo, 31, v115
	s_clause 0x1
	global_load_b32 v88, v[66:67], off
	global_load_b64 v[69:70], v[66:67], off offset:8
	v_add_co_ci_u32_e32 v66, vcc_lo, 0, v115, vcc_lo
	v_cmp_eq_u16_e32 vcc_lo, 2, v76
	s_delay_alu instid0(VALU_DEP_2) | instskip(SKIP_1) | instid1(VALU_DEP_1)
	v_lshlrev_b32_e32 v77, 2, v66
	v_and_or_b32 v66, vcc_lo, v78, 0x80000000
	v_ctz_i32_b32_e32 v66, v66
	s_waitcnt vmcnt(1)
	ds_bpermute_b32 v67, v77, v88
	s_waitcnt vmcnt(0)
	ds_bpermute_b32 v68, v77, v69
	ds_bpermute_b32 v79, v77, v70
	v_cmpx_lt_u32_e64 v115, v66
	s_cbranch_execz .LBB255_123
; %bb.122:
	v_cmp_eq_u32_e32 vcc_lo, 0, v88
	s_waitcnt lgkmcnt(0)
	v_dual_cndmask_b32 v79, 0, v79 :: v_dual_add_nc_u32 v88, v67, v88
	v_cndmask_b32_e32 v68, 0, v68, vcc_lo
	s_delay_alu instid0(VALU_DEP_1) | instskip(NEXT) | instid1(VALU_DEP_3)
	v_add_co_u32 v69, vcc_lo, v68, v69
	v_add_co_ci_u32_e32 v70, vcc_lo, v79, v70, vcc_lo
.LBB255_123:
	s_or_b32 exec_lo, exec_lo, s17
	v_cmp_gt_u32_e32 vcc_lo, 30, v115
	v_add_nc_u32_e32 v80, 2, v115
	s_mov_b32 s17, exec_lo
	s_waitcnt lgkmcnt(2)
	v_cndmask_b32_e64 v67, 0, 1, vcc_lo
	s_delay_alu instid0(VALU_DEP_1) | instskip(SKIP_1) | instid1(VALU_DEP_1)
	v_lshlrev_b32_e32 v67, 1, v67
	s_waitcnt lgkmcnt(0)
	v_add_lshl_u32 v79, v67, v115, 2
	ds_bpermute_b32 v67, v79, v88
	ds_bpermute_b32 v68, v79, v69
	ds_bpermute_b32 v81, v79, v70
	v_cmpx_le_u32_e64 v80, v66
	s_cbranch_execz .LBB255_125
; %bb.124:
	v_cmp_eq_u32_e32 vcc_lo, 0, v88
	s_waitcnt lgkmcnt(0)
	v_dual_cndmask_b32 v81, 0, v81 :: v_dual_add_nc_u32 v88, v67, v88
	v_cndmask_b32_e32 v68, 0, v68, vcc_lo
	s_delay_alu instid0(VALU_DEP_1) | instskip(NEXT) | instid1(VALU_DEP_3)
	v_add_co_u32 v69, vcc_lo, v68, v69
	v_add_co_ci_u32_e32 v70, vcc_lo, v81, v70, vcc_lo
.LBB255_125:
	s_or_b32 exec_lo, exec_lo, s17
	v_cmp_gt_u32_e32 vcc_lo, 28, v115
	v_add_nc_u32_e32 v82, 4, v115
	s_mov_b32 s17, exec_lo
	s_waitcnt lgkmcnt(2)
	v_cndmask_b32_e64 v67, 0, 1, vcc_lo
	s_delay_alu instid0(VALU_DEP_1) | instskip(SKIP_1) | instid1(VALU_DEP_1)
	v_lshlrev_b32_e32 v67, 2, v67
	s_waitcnt lgkmcnt(0)
	v_add_lshl_u32 v81, v67, v115, 2
	ds_bpermute_b32 v67, v81, v88
	ds_bpermute_b32 v68, v81, v69
	ds_bpermute_b32 v83, v81, v70
	v_cmpx_le_u32_e64 v82, v66
	;; [unrolled: 24-line block ×3, first 2 shown]
	s_cbranch_execz .LBB255_129
; %bb.128:
	v_cmp_eq_u32_e32 vcc_lo, 0, v88
	s_waitcnt lgkmcnt(0)
	v_dual_cndmask_b32 v85, 0, v85 :: v_dual_add_nc_u32 v88, v67, v88
	v_cndmask_b32_e32 v68, 0, v68, vcc_lo
	s_delay_alu instid0(VALU_DEP_1) | instskip(NEXT) | instid1(VALU_DEP_3)
	v_add_co_u32 v69, vcc_lo, v68, v69
	v_add_co_ci_u32_e32 v70, vcc_lo, v85, v70, vcc_lo
.LBB255_129:
	s_or_b32 exec_lo, exec_lo, s17
	v_cmp_gt_u32_e32 vcc_lo, 16, v115
	v_add_nc_u32_e32 v87, 16, v115
	s_mov_b32 s17, exec_lo
	s_waitcnt lgkmcnt(2)
	v_cndmask_b32_e64 v67, 0, 1, vcc_lo
	s_delay_alu instid0(VALU_DEP_1) | instskip(NEXT) | instid1(VALU_DEP_1)
	v_lshlrev_b32_e32 v67, 4, v67
	v_add_lshl_u32 v86, v67, v115, 2
	ds_bpermute_b32 v67, v86, v88
	s_waitcnt lgkmcnt(2)
	ds_bpermute_b32 v68, v86, v69
	s_waitcnt lgkmcnt(2)
	ds_bpermute_b32 v85, v86, v70
	v_cmpx_le_u32_e64 v87, v66
	s_cbranch_execz .LBB255_131
; %bb.130:
	v_cmp_eq_u32_e32 vcc_lo, 0, v88
	s_waitcnt lgkmcnt(2)
	v_add_nc_u32_e32 v88, v67, v88
	s_waitcnt lgkmcnt(1)
	v_cndmask_b32_e32 v68, 0, v68, vcc_lo
	s_waitcnt lgkmcnt(0)
	v_cndmask_b32_e32 v66, 0, v85, vcc_lo
	s_delay_alu instid0(VALU_DEP_2) | instskip(NEXT) | instid1(VALU_DEP_2)
	v_add_co_u32 v69, vcc_lo, v68, v69
	v_add_co_ci_u32_e32 v70, vcc_lo, v66, v70, vcc_lo
.LBB255_131:
	s_or_b32 exec_lo, exec_lo, s17
	v_mov_b32_e32 v66, 0
	s_branch .LBB255_133
.LBB255_132:                            ;   in Loop: Header=BB255_133 Depth=1
	s_or_b32 exec_lo, exec_lo, s17
	v_cmp_eq_u32_e32 vcc_lo, 0, v85
	v_subrev_nc_u32_e32 v65, 32, v65
	v_add_nc_u32_e32 v88, v88, v85
	v_dual_cndmask_b32 v70, 0, v70 :: v_dual_cndmask_b32 v69, 0, v69
	s_delay_alu instid0(VALU_DEP_1) | instskip(NEXT) | instid1(VALU_DEP_2)
	v_add_co_u32 v69, vcc_lo, v69, v67
	v_add_co_ci_u32_e32 v70, vcc_lo, v70, v68, vcc_lo
.LBB255_133:                            ; =>This Loop Header: Depth=1
                                        ;     Child Loop BB255_136 Depth 2
                                        ;       Child Loop BB255_137 Depth 3
	s_waitcnt lgkmcnt(2)
	v_and_b32_e32 v67, 0xff, v76
	s_waitcnt lgkmcnt(0)
	v_mov_b32_e32 v85, v88
	s_delay_alu instid0(VALU_DEP_2) | instskip(SKIP_2) | instid1(VALU_DEP_1)
	v_cmp_ne_u16_e32 vcc_lo, 2, v67
	v_cndmask_b32_e64 v67, 0, 1, vcc_lo
	;;#ASMSTART
	;;#ASMEND
	v_cmp_ne_u32_e32 vcc_lo, 0, v67
	v_dual_mov_b32 v67, v69 :: v_dual_mov_b32 v68, v70
	s_cmp_lg_u32 vcc_lo, exec_lo
	s_cbranch_scc1 .LBB255_150
; %bb.134:                              ;   in Loop: Header=BB255_133 Depth=1
	global_load_u8 v76, v65, s[40:41] glc
	s_mov_b32 s17, exec_lo
	s_waitcnt vmcnt(0)
	v_cmpx_eq_u16_e32 0, v76
	s_cbranch_execz .LBB255_140
; %bb.135:                              ;   in Loop: Header=BB255_133 Depth=1
	v_add_co_u32 v69, s18, s40, v65
	s_delay_alu instid0(VALU_DEP_1)
	v_add_co_ci_u32_e64 v70, null, s41, 0, s18
	s_mov_b32 s19, 1
	s_mov_b32 s18, 0
.LBB255_136:                            ;   Parent Loop BB255_133 Depth=1
                                        ; =>  This Loop Header: Depth=2
                                        ;       Child Loop BB255_137 Depth 3
	s_max_u32 s20, s19, 1
.LBB255_137:                            ;   Parent Loop BB255_133 Depth=1
                                        ;     Parent Loop BB255_136 Depth=2
                                        ; =>    This Inner Loop Header: Depth=3
	s_delay_alu instid0(SALU_CYCLE_1)
	s_add_i32 s20, s20, -1
	s_sleep 1
	s_cmp_eq_u32 s20, 0
	s_cbranch_scc0 .LBB255_137
; %bb.138:                              ;   in Loop: Header=BB255_136 Depth=2
	global_load_u8 v76, v[69:70], off glc
	s_cmp_lt_u32 s19, 32
	s_cselect_b32 s20, -1, 0
	s_delay_alu instid0(SALU_CYCLE_1) | instskip(SKIP_4) | instid1(SALU_CYCLE_1)
	s_cmp_lg_u32 s20, 0
	s_addc_u32 s19, s19, 0
	s_waitcnt vmcnt(0)
	v_cmp_ne_u16_e32 vcc_lo, 0, v76
	s_or_b32 s18, vcc_lo, s18
	s_and_not1_b32 exec_lo, exec_lo, s18
	s_cbranch_execnz .LBB255_136
; %bb.139:                              ;   in Loop: Header=BB255_133 Depth=1
	s_or_b32 exec_lo, exec_lo, s18
.LBB255_140:                            ;   in Loop: Header=BB255_133 Depth=1
	s_delay_alu instid0(SALU_CYCLE_1)
	s_or_b32 exec_lo, exec_lo, s17
	v_dual_mov_b32 v88, s37 :: v_dual_mov_b32 v89, s36
	v_cmp_eq_u16_e32 vcc_lo, 1, v76
	v_lshlrev_b64 v[69:70], 4, v[65:66]
	buffer_gl1_inv
	buffer_gl0_inv
	s_mov_b32 s17, exec_lo
	v_cndmask_b32_e32 v89, s38, v89, vcc_lo
	v_cndmask_b32_e32 v88, s39, v88, vcc_lo
	s_delay_alu instid0(VALU_DEP_2) | instskip(NEXT) | instid1(VALU_DEP_2)
	v_add_co_u32 v69, vcc_lo, v89, v69
	v_add_co_ci_u32_e32 v70, vcc_lo, v88, v70, vcc_lo
	v_cmp_eq_u16_e32 vcc_lo, 2, v76
	s_clause 0x1
	global_load_b32 v88, v[69:70], off
	global_load_b64 v[69:70], v[69:70], off offset:8
	v_and_or_b32 v89, vcc_lo, v78, 0x80000000
	s_delay_alu instid0(VALU_DEP_1)
	v_ctz_i32_b32_e32 v89, v89
	s_waitcnt vmcnt(1)
	ds_bpermute_b32 v90, v77, v88
	s_waitcnt vmcnt(0)
	ds_bpermute_b32 v91, v77, v69
	ds_bpermute_b32 v92, v77, v70
	v_cmpx_lt_u32_e64 v115, v89
	s_cbranch_execz .LBB255_142
; %bb.141:                              ;   in Loop: Header=BB255_133 Depth=1
	v_cmp_eq_u32_e32 vcc_lo, 0, v88
	s_waitcnt lgkmcnt(2)
	v_add_nc_u32_e32 v88, v90, v88
	s_waitcnt lgkmcnt(0)
	v_dual_cndmask_b32 v92, 0, v92 :: v_dual_cndmask_b32 v91, 0, v91
	s_delay_alu instid0(VALU_DEP_1) | instskip(NEXT) | instid1(VALU_DEP_2)
	v_add_co_u32 v69, vcc_lo, v91, v69
	v_add_co_ci_u32_e32 v70, vcc_lo, v92, v70, vcc_lo
.LBB255_142:                            ;   in Loop: Header=BB255_133 Depth=1
	s_or_b32 exec_lo, exec_lo, s17
	s_waitcnt lgkmcnt(2)
	ds_bpermute_b32 v90, v79, v88
	s_waitcnt lgkmcnt(2)
	ds_bpermute_b32 v91, v79, v69
	s_waitcnt lgkmcnt(2)
	ds_bpermute_b32 v92, v79, v70
	s_mov_b32 s17, exec_lo
	v_cmpx_le_u32_e64 v80, v89
	s_cbranch_execz .LBB255_144
; %bb.143:                              ;   in Loop: Header=BB255_133 Depth=1
	v_cmp_eq_u32_e32 vcc_lo, 0, v88
	s_waitcnt lgkmcnt(2)
	v_add_nc_u32_e32 v88, v90, v88
	s_waitcnt lgkmcnt(0)
	v_dual_cndmask_b32 v92, 0, v92 :: v_dual_cndmask_b32 v91, 0, v91
	s_delay_alu instid0(VALU_DEP_1) | instskip(NEXT) | instid1(VALU_DEP_2)
	v_add_co_u32 v69, vcc_lo, v91, v69
	v_add_co_ci_u32_e32 v70, vcc_lo, v92, v70, vcc_lo
.LBB255_144:                            ;   in Loop: Header=BB255_133 Depth=1
	s_or_b32 exec_lo, exec_lo, s17
	s_waitcnt lgkmcnt(2)
	ds_bpermute_b32 v90, v81, v88
	s_waitcnt lgkmcnt(2)
	ds_bpermute_b32 v91, v81, v69
	s_waitcnt lgkmcnt(2)
	ds_bpermute_b32 v92, v81, v70
	s_mov_b32 s17, exec_lo
	v_cmpx_le_u32_e64 v82, v89
	;; [unrolled: 20-line block ×4, first 2 shown]
	s_cbranch_execz .LBB255_132
; %bb.149:                              ;   in Loop: Header=BB255_133 Depth=1
	v_cmp_eq_u32_e32 vcc_lo, 0, v88
	s_waitcnt lgkmcnt(1)
	v_dual_cndmask_b32 v91, 0, v91 :: v_dual_add_nc_u32 v88, v90, v88
	s_waitcnt lgkmcnt(0)
	v_cndmask_b32_e32 v89, 0, v92, vcc_lo
	s_delay_alu instid0(VALU_DEP_2) | instskip(NEXT) | instid1(VALU_DEP_2)
	v_add_co_u32 v69, vcc_lo, v91, v69
	v_add_co_ci_u32_e32 v70, vcc_lo, v89, v70, vcc_lo
	s_branch .LBB255_132
.LBB255_150:                            ;   in Loop: Header=BB255_133 Depth=1
                                        ; implicit-def: $vgpr69_vgpr70
                                        ; implicit-def: $vgpr88
                                        ; implicit-def: $vgpr76
	s_cbranch_execz .LBB255_133
; %bb.151:
	s_and_saveexec_b32 s17, s14
	s_cbranch_execz .LBB255_153
; %bb.152:
	v_cmp_eq_u32_e32 vcc_lo, 0, v75
	s_mov_b32 s19, 0
	s_add_i32 s18, s52, 32
	v_dual_mov_b32 v70, 0 :: v_dual_add_nc_u32 v69, v85, v75
	v_dual_cndmask_b32 v66, 0, v68 :: v_dual_cndmask_b32 v65, 0, v67
	s_lshl_b64 s[20:21], s[18:19], 4
	v_dual_mov_b32 v76, s18 :: v_dual_mov_b32 v77, 2
	s_add_u32 s20, s38, s20
	s_delay_alu instid0(VALU_DEP_2)
	v_add_co_u32 v65, vcc_lo, v65, v63
	v_add_co_ci_u32_e32 v66, vcc_lo, v66, v64, vcc_lo
	s_addc_u32 s21, s39, s21
	s_clause 0x1
	global_store_b32 v70, v69, s[20:21]
	global_store_b64 v70, v[65:66], s[20:21] offset:8
	s_waitcnt lgkmcnt(0)
	s_waitcnt_vscnt null, 0x0
	buffer_gl1_inv
	buffer_gl0_inv
	global_store_b8 v76, v77, s[40:41]
	ds_store_b32 v70, v75 offset:4096
	ds_store_b64 v70, v[63:64] offset:4104
	ds_store_b32 v70, v85 offset:4112
	ds_store_b64 v70, v[67:68] offset:4120
.LBB255_153:
	s_or_b32 exec_lo, exec_lo, s17
	s_delay_alu instid0(SALU_CYCLE_1)
	s_and_b32 exec_lo, exec_lo, s2
	s_cbranch_execz .LBB255_155
; %bb.154:
	v_mov_b32_e32 v63, 0
	ds_store_b32 v63, v85 offset:4240
	ds_store_b64 v63, v[67:68] offset:4248
.LBB255_155:
	s_or_b32 exec_lo, exec_lo, s16
	s_waitcnt lgkmcnt(2)
	v_cndmask_b32_e64 v66, v74, v71, s14
	s_waitcnt lgkmcnt(0)
	s_waitcnt_vscnt null, 0x0
	s_barrier
	buffer_gl0_inv
	v_cndmask_b32_e64 v61, v73, v61, s14
	v_cmp_eq_u32_e32 vcc_lo, 0, v66
	v_mov_b32_e32 v65, 0
	v_cndmask_b32_e64 v62, v72, v62, s14
	v_cndmask_b32_e64 v66, v66, 0, s2
	ds_load_b64 v[63:64], v65 offset:4248
	s_waitcnt lgkmcnt(0)
	v_dual_cndmask_b32 v68, 0, v63 :: v_dual_cndmask_b32 v67, 0, v64
	s_delay_alu instid0(VALU_DEP_1) | instskip(NEXT) | instid1(VALU_DEP_2)
	v_add_co_u32 v61, vcc_lo, v68, v61
	v_add_co_ci_u32_e32 v62, vcc_lo, v67, v62, vcc_lo
	v_cmp_eq_u32_e32 vcc_lo, 0, v113
	s_delay_alu instid0(VALU_DEP_3) | instskip(NEXT) | instid1(VALU_DEP_3)
	v_cndmask_b32_e64 v79, v61, v63, s2
	v_cndmask_b32_e64 v80, v62, v64, s2
	ds_load_b32 v64, v65 offset:4240
	s_waitcnt lgkmcnt(0)
	v_cndmask_b32_e32 v62, 0, v79, vcc_lo
	s_barrier
	v_cndmask_b32_e32 v61, 0, v80, vcc_lo
	buffer_gl0_inv
	ds_load_b64 v[117:118], v65 offset:4104
	v_add_co_u32 v75, vcc_lo, v62, v53
	v_add_co_ci_u32_e32 v76, vcc_lo, v61, v54, vcc_lo
	s_delay_alu instid0(VALU_DEP_2) | instskip(NEXT) | instid1(VALU_DEP_2)
	v_cndmask_b32_e64 v61, 0, v75, s13
	v_cndmask_b32_e64 v62, 0, v76, s13
	s_delay_alu instid0(VALU_DEP_2) | instskip(NEXT) | instid1(VALU_DEP_2)
	v_add_co_u32 v81, vcc_lo, v61, v55
	v_add_co_ci_u32_e32 v82, vcc_lo, v62, v56, vcc_lo
	v_add_nc_u32_e32 v114, v64, v66
	s_delay_alu instid0(VALU_DEP_3) | instskip(NEXT) | instid1(VALU_DEP_3)
	v_cndmask_b32_e64 v61, 0, v81, s12
	v_cndmask_b32_e64 v62, 0, v82, s12
	s_delay_alu instid0(VALU_DEP_2) | instskip(NEXT) | instid1(VALU_DEP_2)
	v_add_co_u32 v85, vcc_lo, v61, v49
	v_add_co_ci_u32_e32 v86, vcc_lo, v62, v50, vcc_lo
	s_delay_alu instid0(VALU_DEP_2) | instskip(NEXT) | instid1(VALU_DEP_2)
	v_cndmask_b32_e64 v61, 0, v85, s11
	v_cndmask_b32_e64 v62, 0, v86, s11
	s_delay_alu instid0(VALU_DEP_2) | instskip(NEXT) | instid1(VALU_DEP_2)
	v_add_co_u32 v67, vcc_lo, v61, v51
	v_add_co_ci_u32_e32 v68, vcc_lo, v62, v52, vcc_lo
	s_delay_alu instid0(VALU_DEP_2) | instskip(NEXT) | instid1(VALU_DEP_2)
	;; [unrolled: 6-line block ×7, first 2 shown]
	v_cndmask_b32_e64 v61, 0, v69, s5
	v_cndmask_b32_e64 v62, 0, v70, s5
	s_delay_alu instid0(VALU_DEP_2) | instskip(NEXT) | instid1(VALU_DEP_2)
	v_add_co_u32 v73, vcc_lo, v61, v39
	v_add_co_ci_u32_e32 v74, vcc_lo, v62, v40, vcc_lo
	ds_load_b32 v61, v65 offset:4096
	v_cndmask_b32_e64 v62, 0, v73, s4
	v_cndmask_b32_e64 v63, 0, v74, s4
	s_delay_alu instid0(VALU_DEP_2) | instskip(NEXT) | instid1(VALU_DEP_2)
	v_add_co_u32 v89, vcc_lo, v62, v33
	v_add_co_ci_u32_e32 v90, vcc_lo, v63, v34, vcc_lo
	ds_load_b64 v[62:63], v65 offset:4120
	v_cndmask_b32_e64 v91, 0, v89, s3
	ds_load_b32 v65, v65 offset:4112
	v_cndmask_b32_e64 v92, 0, v90, s3
	v_add_co_u32 v91, vcc_lo, v91, v35
	s_delay_alu instid0(VALU_DEP_2) | instskip(SKIP_2) | instid1(VALU_DEP_3)
	v_add_co_ci_u32_e32 v92, vcc_lo, v92, v36, vcc_lo
	s_waitcnt lgkmcnt(2)
	v_cmp_eq_u32_e32 vcc_lo, 0, v61
	v_cndmask_b32_e64 v93, 0, v91, s1
	s_delay_alu instid0(VALU_DEP_3) | instskip(NEXT) | instid1(VALU_DEP_2)
	v_cndmask_b32_e64 v94, 0, v92, s1
	v_add_co_u32 v93, s1, v93, v29
	s_delay_alu instid0(VALU_DEP_1) | instskip(SKIP_2) | instid1(VALU_DEP_3)
	v_add_co_ci_u32_e64 v94, s1, v94, v30, s1
	s_waitcnt lgkmcnt(1)
	v_dual_cndmask_b32 v62, 0, v62 :: v_dual_cndmask_b32 v119, 0, v63
	v_cndmask_b32_e64 v97, 0, v93, s0
	s_delay_alu instid0(VALU_DEP_3) | instskip(NEXT) | instid1(VALU_DEP_3)
	v_cndmask_b32_e64 v98, 0, v94, s0
	v_add_co_u32 v63, vcc_lo, v62, v117
	s_delay_alu instid0(VALU_DEP_4)
	v_add_co_ci_u32_e32 v64, vcc_lo, v119, v118, vcc_lo
	s_branch .LBB255_184
.LBB255_156:
                                        ; implicit-def: $vgpr61
                                        ; implicit-def: $vgpr63_vgpr64
                                        ; implicit-def: $vgpr65
                                        ; implicit-def: $vgpr79_vgpr80
                                        ; implicit-def: $vgpr75_vgpr76
                                        ; implicit-def: $vgpr81_vgpr82
                                        ; implicit-def: $vgpr85_vgpr86
                                        ; implicit-def: $vgpr67_vgpr68
                                        ; implicit-def: $vgpr71_vgpr72
                                        ; implicit-def: $vgpr77_vgpr78
                                        ; implicit-def: $vgpr83_vgpr84
                                        ; implicit-def: $vgpr87_vgpr88
                                        ; implicit-def: $vgpr69_vgpr70
                                        ; implicit-def: $vgpr73_vgpr74
                                        ; implicit-def: $vgpr89_vgpr90
                                        ; implicit-def: $vgpr91_vgpr92
                                        ; implicit-def: $vgpr93_vgpr94
                                        ; implicit-def: $vgpr97_vgpr98
                                        ; implicit-def: $vgpr114
	s_cbranch_execz .LBB255_184
; %bb.157:
	s_and_b32 s0, s15, exec_lo
	s_cselect_b32 s1, 0, s35
	s_cselect_b32 s0, 0, s34
	s_delay_alu instid0(SALU_CYCLE_1)
	s_cmp_eq_u64 s[0:1], 0
	s_cbranch_scc1 .LBB255_159
; %bb.158:
	v_mov_b32_e32 v61, 0
	global_load_b64 v[95:96], v61, s[0:1]
.LBB255_159:
	v_cmp_eq_u32_e64 s12, 0, v112
	v_cmp_eq_u32_e64 s11, 0, v111
	;; [unrolled: 1-line block ×5, first 2 shown]
	v_cndmask_b32_e64 v62, 0, v53, s12
	v_cndmask_b32_e64 v61, 0, v54, s12
	v_cmp_eq_u32_e64 s7, 0, v107
	v_cmp_eq_u32_e64 s6, 0, v106
	;; [unrolled: 1-line block ×3, first 2 shown]
	v_add_co_u32 v62, vcc_lo, v62, v55
	v_add_co_ci_u32_e32 v61, vcc_lo, v61, v56, vcc_lo
	v_cmp_eq_u32_e64 s4, 0, v103
	s_delay_alu instid0(VALU_DEP_3) | instskip(SKIP_1) | instid1(VALU_DEP_4)
	v_cndmask_b32_e64 v62, 0, v62, s11
	v_cmp_eq_u32_e64 s3, 0, v102
	v_cndmask_b32_e64 v61, 0, v61, s11
	v_cmp_eq_u32_e64 s1, 0, v100
	v_add3_u32 v63, v116, v108, v107
	v_add_co_u32 v62, vcc_lo, v62, v49
	s_delay_alu instid0(VALU_DEP_4) | instskip(NEXT) | instid1(VALU_DEP_3)
	v_add_co_ci_u32_e32 v61, vcc_lo, v61, v50, vcc_lo
	v_add3_u32 v63, v63, v106, v104
	s_delay_alu instid0(VALU_DEP_3) | instskip(SKIP_1) | instid1(VALU_DEP_3)
	v_cndmask_b32_e64 v62, 0, v62, s10
	s_mov_b32 s14, exec_lo
	v_cndmask_b32_e64 v61, 0, v61, s10
	s_delay_alu instid0(VALU_DEP_3) | instskip(NEXT) | instid1(VALU_DEP_3)
	v_add3_u32 v63, v63, v103, v102
	v_add_co_u32 v62, vcc_lo, v62, v51
	s_delay_alu instid0(VALU_DEP_3) | instskip(NEXT) | instid1(VALU_DEP_3)
	v_add_co_ci_u32_e32 v61, vcc_lo, v61, v52, vcc_lo
	v_add3_u32 v63, v63, v101, v100
	s_delay_alu instid0(VALU_DEP_3) | instskip(NEXT) | instid1(VALU_DEP_3)
	v_cndmask_b32_e64 v62, 0, v62, s9
	v_cndmask_b32_e64 v61, 0, v61, s9
	s_delay_alu instid0(VALU_DEP_3) | instskip(NEXT) | instid1(VALU_DEP_3)
	v_add3_u32 v63, v63, v99, v105
	v_add_co_u32 v62, vcc_lo, v62, v45
	s_delay_alu instid0(VALU_DEP_3) | instskip(NEXT) | instid1(VALU_DEP_2)
	v_add_co_ci_u32_e32 v61, vcc_lo, v61, v46, vcc_lo
	v_cndmask_b32_e64 v62, 0, v62, s8
	s_delay_alu instid0(VALU_DEP_2) | instskip(NEXT) | instid1(VALU_DEP_2)
	v_cndmask_b32_e64 v61, 0, v61, s8
	v_add_co_u32 v62, vcc_lo, v62, v47
	s_delay_alu instid0(VALU_DEP_2) | instskip(NEXT) | instid1(VALU_DEP_2)
	v_add_co_ci_u32_e32 v61, vcc_lo, v61, v48, vcc_lo
	v_cndmask_b32_e64 v62, 0, v62, s7
	s_delay_alu instid0(VALU_DEP_2) | instskip(NEXT) | instid1(VALU_DEP_2)
	v_cndmask_b32_e64 v61, 0, v61, s7
	v_add_co_u32 v62, vcc_lo, v62, v41
	s_delay_alu instid0(VALU_DEP_2) | instskip(NEXT) | instid1(VALU_DEP_2)
	;; [unrolled: 6-line block ×5, first 2 shown]
	v_add_co_ci_u32_e32 v61, vcc_lo, v61, v40, vcc_lo
	v_cndmask_b32_e64 v62, 0, v62, s3
	s_delay_alu instid0(VALU_DEP_2) | instskip(NEXT) | instid1(VALU_DEP_2)
	v_cndmask_b32_e64 v61, 0, v61, s3
	v_add_co_u32 v62, vcc_lo, v62, v33
	s_delay_alu instid0(VALU_DEP_2) | instskip(SKIP_1) | instid1(VALU_DEP_2)
	v_add_co_ci_u32_e32 v61, vcc_lo, v61, v34, vcc_lo
	v_cmp_eq_u32_e32 vcc_lo, 0, v101
	v_dual_cndmask_b32 v61, 0, v61 :: v_dual_cndmask_b32 v62, 0, v62
	s_delay_alu instid0(VALU_DEP_1) | instskip(NEXT) | instid1(VALU_DEP_1)
	v_add_co_u32 v62, s0, v62, v35
	v_add_co_ci_u32_e64 v61, s0, v61, v36, s0
	s_delay_alu instid0(VALU_DEP_2) | instskip(NEXT) | instid1(VALU_DEP_2)
	v_cndmask_b32_e64 v62, 0, v62, s1
	v_cndmask_b32_e64 v61, 0, v61, s1
	s_delay_alu instid0(VALU_DEP_2) | instskip(NEXT) | instid1(VALU_DEP_1)
	v_add_co_u32 v62, s0, v62, v29
	v_add_co_ci_u32_e64 v61, s0, v61, v30, s0
	v_cmp_eq_u32_e64 s0, 0, v99
	s_delay_alu instid0(VALU_DEP_1) | instskip(NEXT) | instid1(VALU_DEP_3)
	v_cndmask_b32_e64 v62, 0, v62, s0
	v_cndmask_b32_e64 v61, 0, v61, s0
	s_delay_alu instid0(VALU_DEP_2) | instskip(NEXT) | instid1(VALU_DEP_1)
	v_add_co_u32 v62, s13, v62, v31
	v_add_co_ci_u32_e64 v61, s13, v61, v32, s13
	v_cmp_eq_u32_e64 s13, 0, v105
	s_delay_alu instid0(VALU_DEP_1) | instskip(NEXT) | instid1(VALU_DEP_3)
	v_cndmask_b32_e64 v62, 0, v62, s13
	v_cndmask_b32_e64 v61, 0, v61, s13
	s_delay_alu instid0(VALU_DEP_2) | instskip(NEXT) | instid1(VALU_DEP_1)
	v_add_co_u32 v59, s13, v62, v59
	v_add_co_ci_u32_e64 v60, s13, v61, v60, s13
	v_and_b32_e32 v61, 15, v115
	v_mov_b32_dpp v62, v63 row_shr:1 row_mask:0xf bank_mask:0xf
	s_delay_alu instid0(VALU_DEP_4)
	v_mov_b32_dpp v64, v59 row_shr:1 row_mask:0xf bank_mask:0xf
	s_waitcnt lgkmcnt(0)
	v_mov_b32_dpp v65, v60 row_shr:1 row_mask:0xf bank_mask:0xf
	v_cmpx_ne_u32_e32 0, v61
; %bb.160:
	v_cmp_eq_u32_e64 s13, 0, v63
	v_add_nc_u32_e32 v63, v62, v63
	s_delay_alu instid0(VALU_DEP_2) | instskip(SKIP_1) | instid1(VALU_DEP_2)
	v_cndmask_b32_e64 v64, 0, v64, s13
	v_cndmask_b32_e64 v65, 0, v65, s13
	v_add_co_u32 v59, s13, v64, v59
	s_delay_alu instid0(VALU_DEP_1)
	v_add_co_ci_u32_e64 v60, s13, v65, v60, s13
; %bb.161:
	s_or_b32 exec_lo, exec_lo, s14
	v_mov_b32_dpp v62, v63 row_shr:2 row_mask:0xf bank_mask:0xf
	s_delay_alu instid0(VALU_DEP_3) | instskip(NEXT) | instid1(VALU_DEP_3)
	v_mov_b32_dpp v64, v59 row_shr:2 row_mask:0xf bank_mask:0xf
	v_mov_b32_dpp v65, v60 row_shr:2 row_mask:0xf bank_mask:0xf
	s_mov_b32 s14, exec_lo
	v_cmpx_lt_u32_e32 1, v61
; %bb.162:
	v_cmp_eq_u32_e64 s13, 0, v63
	v_add_nc_u32_e32 v63, v62, v63
	s_delay_alu instid0(VALU_DEP_2) | instskip(SKIP_1) | instid1(VALU_DEP_2)
	v_cndmask_b32_e64 v64, 0, v64, s13
	v_cndmask_b32_e64 v65, 0, v65, s13
	v_add_co_u32 v59, s13, v64, v59
	s_delay_alu instid0(VALU_DEP_1)
	v_add_co_ci_u32_e64 v60, s13, v65, v60, s13
; %bb.163:
	s_or_b32 exec_lo, exec_lo, s14
	v_mov_b32_dpp v62, v63 row_shr:4 row_mask:0xf bank_mask:0xf
	s_delay_alu instid0(VALU_DEP_3) | instskip(NEXT) | instid1(VALU_DEP_3)
	v_mov_b32_dpp v64, v59 row_shr:4 row_mask:0xf bank_mask:0xf
	v_mov_b32_dpp v65, v60 row_shr:4 row_mask:0xf bank_mask:0xf
	s_mov_b32 s14, exec_lo
	v_cmpx_lt_u32_e32 3, v61
	;; [unrolled: 17-line block ×3, first 2 shown]
; %bb.166:
	v_cmp_eq_u32_e64 s13, 0, v63
	v_add_nc_u32_e32 v63, v62, v63
	s_delay_alu instid0(VALU_DEP_2) | instskip(SKIP_1) | instid1(VALU_DEP_2)
	v_cndmask_b32_e64 v64, 0, v64, s13
	v_cndmask_b32_e64 v61, 0, v65, s13
	v_add_co_u32 v59, s13, v64, v59
	s_delay_alu instid0(VALU_DEP_1)
	v_add_co_ci_u32_e64 v60, s13, v61, v60, s13
; %bb.167:
	s_or_b32 exec_lo, exec_lo, s14
	ds_swizzle_b32 v61, v63 offset:swizzle(BROADCAST,32,15)
	ds_swizzle_b32 v62, v59 offset:swizzle(BROADCAST,32,15)
	;; [unrolled: 1-line block ×3, first 2 shown]
	v_and_b32_e32 v65, 16, v115
	s_mov_b32 s14, exec_lo
	s_delay_alu instid0(VALU_DEP_1)
	v_cmpx_ne_u32_e32 0, v65
	s_cbranch_execz .LBB255_169
; %bb.168:
	v_cmp_eq_u32_e64 s13, 0, v63
	s_waitcnt lgkmcnt(2)
	v_add_nc_u32_e32 v63, v61, v63
	s_waitcnt lgkmcnt(1)
	s_delay_alu instid0(VALU_DEP_2) | instskip(SKIP_2) | instid1(VALU_DEP_2)
	v_cndmask_b32_e64 v62, 0, v62, s13
	s_waitcnt lgkmcnt(0)
	v_cndmask_b32_e64 v64, 0, v64, s13
	v_add_co_u32 v59, s13, v62, v59
	s_delay_alu instid0(VALU_DEP_1)
	v_add_co_ci_u32_e64 v60, s13, v64, v60, s13
.LBB255_169:
	s_or_b32 exec_lo, exec_lo, s14
	s_waitcnt lgkmcnt(2)
	v_or_b32_e32 v61, 31, v0
	s_waitcnt lgkmcnt(0)
	v_lshrrev_b32_e32 v64, 5, v0
	s_mov_b32 s14, exec_lo
	s_delay_alu instid0(VALU_DEP_2)
	v_cmpx_eq_u32_e64 v61, v0
	s_cbranch_execz .LBB255_171
; %bb.170:
	s_delay_alu instid0(VALU_DEP_2)
	v_lshlrev_b32_e32 v61, 4, v64
	ds_store_b32 v61, v63 offset:4128
	ds_store_b64 v61, v[59:60] offset:4136
.LBB255_171:
	s_or_b32 exec_lo, exec_lo, s14
	s_delay_alu instid0(SALU_CYCLE_1)
	s_mov_b32 s14, exec_lo
	s_waitcnt vmcnt(0) lgkmcnt(0)
	s_barrier
	buffer_gl0_inv
	v_cmpx_gt_u32_e32 8, v0
	s_cbranch_execz .LBB255_179
; %bb.172:
	v_lshlrev_b32_e32 v65, 4, v0
	v_and_b32_e32 v67, 7, v115
	s_mov_b32 s16, exec_lo
	ds_load_b32 v66, v65 offset:4128
	ds_load_b64 v[61:62], v65 offset:4136
	s_waitcnt lgkmcnt(1)
	v_mov_b32_dpp v68, v66 row_shr:1 row_mask:0xf bank_mask:0xf
	s_waitcnt lgkmcnt(0)
	v_mov_b32_dpp v69, v61 row_shr:1 row_mask:0xf bank_mask:0xf
	v_mov_b32_dpp v70, v62 row_shr:1 row_mask:0xf bank_mask:0xf
	v_cmpx_ne_u32_e32 0, v67
; %bb.173:
	v_cmp_eq_u32_e64 s13, 0, v66
	v_add_nc_u32_e32 v66, v68, v66
	s_delay_alu instid0(VALU_DEP_2) | instskip(SKIP_1) | instid1(VALU_DEP_2)
	v_cndmask_b32_e64 v69, 0, v69, s13
	v_cndmask_b32_e64 v70, 0, v70, s13
	v_add_co_u32 v61, s13, v69, v61
	s_delay_alu instid0(VALU_DEP_1)
	v_add_co_ci_u32_e64 v62, s13, v70, v62, s13
; %bb.174:
	s_or_b32 exec_lo, exec_lo, s16
	v_mov_b32_dpp v68, v66 row_shr:2 row_mask:0xf bank_mask:0xf
	s_delay_alu instid0(VALU_DEP_3) | instskip(NEXT) | instid1(VALU_DEP_3)
	v_mov_b32_dpp v69, v61 row_shr:2 row_mask:0xf bank_mask:0xf
	v_mov_b32_dpp v70, v62 row_shr:2 row_mask:0xf bank_mask:0xf
	s_mov_b32 s16, exec_lo
	v_cmpx_lt_u32_e32 1, v67
; %bb.175:
	v_cmp_eq_u32_e64 s13, 0, v66
	v_add_nc_u32_e32 v66, v68, v66
	s_delay_alu instid0(VALU_DEP_2) | instskip(SKIP_1) | instid1(VALU_DEP_2)
	v_cndmask_b32_e64 v69, 0, v69, s13
	v_cndmask_b32_e64 v70, 0, v70, s13
	v_add_co_u32 v61, s13, v69, v61
	s_delay_alu instid0(VALU_DEP_1)
	v_add_co_ci_u32_e64 v62, s13, v70, v62, s13
; %bb.176:
	s_or_b32 exec_lo, exec_lo, s16
	v_mov_b32_dpp v68, v66 row_shr:4 row_mask:0xf bank_mask:0xf
	s_delay_alu instid0(VALU_DEP_3) | instskip(NEXT) | instid1(VALU_DEP_3)
	v_mov_b32_dpp v69, v61 row_shr:4 row_mask:0xf bank_mask:0xf
	v_mov_b32_dpp v70, v62 row_shr:4 row_mask:0xf bank_mask:0xf
	s_mov_b32 s16, exec_lo
	v_cmpx_lt_u32_e32 3, v67
; %bb.177:
	v_cmp_eq_u32_e64 s13, 0, v66
	v_add_nc_u32_e32 v66, v68, v66
	s_delay_alu instid0(VALU_DEP_2) | instskip(SKIP_1) | instid1(VALU_DEP_2)
	v_cndmask_b32_e64 v69, 0, v69, s13
	v_cndmask_b32_e64 v67, 0, v70, s13
	v_add_co_u32 v61, s13, v69, v61
	s_delay_alu instid0(VALU_DEP_1)
	v_add_co_ci_u32_e64 v62, s13, v67, v62, s13
; %bb.178:
	s_or_b32 exec_lo, exec_lo, s16
	ds_store_b32 v65, v66 offset:4128
	ds_store_b64 v65, v[61:62] offset:4136
.LBB255_179:
	s_or_b32 exec_lo, exec_lo, s14
	v_dual_mov_b32 v65, 0 :: v_dual_mov_b32 v66, 0
	v_dual_mov_b32 v61, v95 :: v_dual_mov_b32 v62, v96
	s_mov_b32 s14, exec_lo
	s_waitcnt lgkmcnt(0)
	s_barrier
	buffer_gl0_inv
	v_cmpx_lt_u32_e32 31, v0
	s_cbranch_execz .LBB255_181
; %bb.180:
	v_lshlrev_b32_e32 v61, 4, v64
	ds_load_b32 v66, v61 offset:4112
	ds_load_b64 v[61:62], v61 offset:4120
	s_waitcnt lgkmcnt(1)
	v_cmp_eq_u32_e64 s13, 0, v66
	s_delay_alu instid0(VALU_DEP_1) | instskip(SKIP_2) | instid1(VALU_DEP_2)
	v_cndmask_b32_e64 v67, 0, v95, s13
	v_cndmask_b32_e64 v64, 0, v96, s13
	s_waitcnt lgkmcnt(0)
	v_add_co_u32 v61, s13, v67, v61
	s_delay_alu instid0(VALU_DEP_1)
	v_add_co_ci_u32_e64 v62, s13, v64, v62, s13
.LBB255_181:
	s_or_b32 exec_lo, exec_lo, s14
	v_add_nc_u32_e32 v64, -1, v115
	v_cmp_eq_u32_e64 s13, 0, v63
	v_add_nc_u32_e32 v63, v66, v63
	s_delay_alu instid0(VALU_DEP_3) | instskip(NEXT) | instid1(VALU_DEP_3)
	v_cmp_gt_i32_e64 s14, 0, v64
	v_cndmask_b32_e64 v68, 0, v61, s13
	v_cndmask_b32_e64 v67, 0, v62, s13
	s_delay_alu instid0(VALU_DEP_3) | instskip(NEXT) | instid1(VALU_DEP_3)
	v_cndmask_b32_e64 v64, v64, v115, s14
	v_add_co_u32 v59, s13, v68, v59
	s_delay_alu instid0(VALU_DEP_1) | instskip(NEXT) | instid1(VALU_DEP_3)
	v_add_co_ci_u32_e64 v60, s13, v67, v60, s13
	v_lshlrev_b32_e32 v64, 2, v64
	v_cmp_eq_u32_e64 s13, 0, v115
	ds_bpermute_b32 v59, v64, v59
	ds_bpermute_b32 v60, v64, v60
	;; [unrolled: 1-line block ×3, first 2 shown]
	s_waitcnt lgkmcnt(2)
	v_cndmask_b32_e64 v79, v59, v61, s13
	s_waitcnt lgkmcnt(1)
	v_cndmask_b32_e64 v80, v60, v62, s13
	;; [unrolled: 2-line block ×3, first 2 shown]
	v_cmp_eq_u32_e64 s13, 0, v113
	ds_load_b32 v61, v65 offset:4240
	v_cndmask_b32_e64 v59, v79, v95, s2
	v_cndmask_b32_e64 v60, v80, v96, s2
	s_delay_alu instid0(VALU_DEP_2) | instskip(NEXT) | instid1(VALU_DEP_2)
	v_cndmask_b32_e64 v59, 0, v59, s13
	v_cndmask_b32_e64 v60, 0, v60, s13
	s_delay_alu instid0(VALU_DEP_2) | instskip(NEXT) | instid1(VALU_DEP_1)
	v_add_co_u32 v75, s13, v59, v53
	v_add_co_ci_u32_e64 v76, s13, v60, v54, s13
	s_delay_alu instid0(VALU_DEP_2) | instskip(NEXT) | instid1(VALU_DEP_2)
	v_cndmask_b32_e64 v53, 0, v75, s12
	v_cndmask_b32_e64 v54, 0, v76, s12
	s_delay_alu instid0(VALU_DEP_2) | instskip(NEXT) | instid1(VALU_DEP_1)
	v_add_co_u32 v81, s12, v53, v55
	v_add_co_ci_u32_e64 v82, s12, v54, v56, s12
	s_delay_alu instid0(VALU_DEP_2) | instskip(NEXT) | instid1(VALU_DEP_2)
	v_cndmask_b32_e64 v53, 0, v81, s11
	v_cndmask_b32_e64 v54, 0, v82, s11
	s_delay_alu instid0(VALU_DEP_2) | instskip(NEXT) | instid1(VALU_DEP_1)
	v_add_co_u32 v85, s11, v53, v49
	v_add_co_ci_u32_e64 v86, s11, v54, v50, s11
	s_delay_alu instid0(VALU_DEP_2) | instskip(NEXT) | instid1(VALU_DEP_2)
	v_cndmask_b32_e64 v49, 0, v85, s10
	v_cndmask_b32_e64 v50, 0, v86, s10
	s_delay_alu instid0(VALU_DEP_2) | instskip(NEXT) | instid1(VALU_DEP_1)
	v_add_co_u32 v67, s10, v49, v51
	v_add_co_ci_u32_e64 v68, s10, v50, v52, s10
	s_delay_alu instid0(VALU_DEP_2) | instskip(NEXT) | instid1(VALU_DEP_2)
	v_cndmask_b32_e64 v49, 0, v67, s9
	v_cndmask_b32_e64 v50, 0, v68, s9
	s_delay_alu instid0(VALU_DEP_2) | instskip(NEXT) | instid1(VALU_DEP_1)
	v_add_co_u32 v71, s9, v49, v45
	v_add_co_ci_u32_e64 v72, s9, v50, v46, s9
	s_delay_alu instid0(VALU_DEP_2) | instskip(NEXT) | instid1(VALU_DEP_2)
	v_cndmask_b32_e64 v45, 0, v71, s8
	v_cndmask_b32_e64 v46, 0, v72, s8
	s_delay_alu instid0(VALU_DEP_2) | instskip(NEXT) | instid1(VALU_DEP_1)
	v_add_co_u32 v77, s8, v45, v47
	v_add_co_ci_u32_e64 v78, s8, v46, v48, s8
	s_delay_alu instid0(VALU_DEP_2) | instskip(NEXT) | instid1(VALU_DEP_2)
	v_cndmask_b32_e64 v45, 0, v77, s7
	v_cndmask_b32_e64 v46, 0, v78, s7
	s_delay_alu instid0(VALU_DEP_2) | instskip(NEXT) | instid1(VALU_DEP_1)
	v_add_co_u32 v83, s7, v45, v41
	v_add_co_ci_u32_e64 v84, s7, v46, v42, s7
	s_delay_alu instid0(VALU_DEP_2) | instskip(NEXT) | instid1(VALU_DEP_2)
	v_cndmask_b32_e64 v41, 0, v83, s6
	v_cndmask_b32_e64 v42, 0, v84, s6
	s_delay_alu instid0(VALU_DEP_2) | instskip(NEXT) | instid1(VALU_DEP_1)
	v_add_co_u32 v87, s6, v41, v43
	v_add_co_ci_u32_e64 v88, s6, v42, v44, s6
	s_delay_alu instid0(VALU_DEP_2) | instskip(NEXT) | instid1(VALU_DEP_2)
	v_cndmask_b32_e64 v41, 0, v87, s5
	v_cndmask_b32_e64 v42, 0, v88, s5
	s_delay_alu instid0(VALU_DEP_2) | instskip(NEXT) | instid1(VALU_DEP_1)
	v_add_co_u32 v69, s5, v41, v37
	v_add_co_ci_u32_e64 v70, s5, v42, v38, s5
	s_delay_alu instid0(VALU_DEP_2) | instskip(NEXT) | instid1(VALU_DEP_2)
	v_cndmask_b32_e64 v37, 0, v69, s4
	v_cndmask_b32_e64 v38, 0, v70, s4
	s_delay_alu instid0(VALU_DEP_2) | instskip(NEXT) | instid1(VALU_DEP_1)
	v_add_co_u32 v73, s4, v37, v39
	v_add_co_ci_u32_e64 v74, s4, v38, v40, s4
	s_delay_alu instid0(VALU_DEP_2) | instskip(NEXT) | instid1(VALU_DEP_2)
	v_cndmask_b32_e64 v37, 0, v73, s3
	v_cndmask_b32_e64 v38, 0, v74, s3
	s_delay_alu instid0(VALU_DEP_2) | instskip(NEXT) | instid1(VALU_DEP_1)
	v_add_co_u32 v89, s3, v37, v33
	v_add_co_ci_u32_e64 v90, s3, v38, v34, s3
	ds_load_b64 v[33:34], v65 offset:4248
	v_dual_cndmask_b32 v37, 0, v89 :: v_dual_cndmask_b32 v38, 0, v90
	s_delay_alu instid0(VALU_DEP_1) | instskip(NEXT) | instid1(VALU_DEP_2)
	v_add_co_u32 v91, vcc_lo, v37, v35
	v_add_co_ci_u32_e32 v92, vcc_lo, v38, v36, vcc_lo
	s_waitcnt lgkmcnt(1)
	v_cmp_eq_u32_e32 vcc_lo, 0, v61
	s_delay_alu instid0(VALU_DEP_3) | instskip(NEXT) | instid1(VALU_DEP_3)
	v_cndmask_b32_e64 v35, 0, v91, s1
	v_cndmask_b32_e64 v36, 0, v92, s1
	s_delay_alu instid0(VALU_DEP_2) | instskip(NEXT) | instid1(VALU_DEP_1)
	v_add_co_u32 v93, s1, v35, v29
	v_add_co_ci_u32_e64 v94, s1, v36, v30, s1
	v_dual_cndmask_b32 v29, 0, v96 :: v_dual_cndmask_b32 v30, 0, v95
	s_delay_alu instid0(VALU_DEP_3) | instskip(NEXT) | instid1(VALU_DEP_3)
	v_cndmask_b32_e64 v97, 0, v93, s0
	v_cndmask_b32_e64 v98, 0, v94, s0
	s_waitcnt lgkmcnt(0)
	s_delay_alu instid0(VALU_DEP_3)
	v_add_co_u32 v63, vcc_lo, v30, v33
	v_add_co_ci_u32_e32 v64, vcc_lo, v29, v34, vcc_lo
	s_and_saveexec_b32 s0, s2
	s_cbranch_execz .LBB255_183
; %bb.182:
	v_dual_mov_b32 v114, 0 :: v_dual_mov_b32 v29, 2
	v_dual_mov_b32 v79, v95 :: v_dual_mov_b32 v80, v96
	s_clause 0x1
	global_store_b32 v114, v61, s[38:39] offset:512
	global_store_b64 v114, v[63:64], s[38:39] offset:520
	s_waitcnt_vscnt null, 0x0
	buffer_gl1_inv
	buffer_gl0_inv
	global_store_b8 v114, v29, s[40:41] offset:32
.LBB255_183:
	s_or_b32 exec_lo, exec_lo, s0
	v_mov_b32_e32 v65, 0
.LBB255_184:
	v_mov_b32_e32 v29, 0
	s_and_b32 s0, s15, exec_lo
	v_mov_b32_e32 v30, 0
	s_cselect_b32 s1, 0, s51
	s_cselect_b32 s0, 0, s50
	s_waitcnt lgkmcnt(0)
	s_waitcnt_vscnt null, 0x0
	s_cmp_eq_u64 s[0:1], 0
	s_barrier
	buffer_gl0_inv
	s_cbranch_scc1 .LBB255_186
; %bb.185:
	v_mov_b32_e32 v29, 0
	global_load_b64 v[29:30], v29, s[0:1]
.LBB255_186:
	v_cmp_eq_u32_e32 vcc_lo, 0, v113
	v_add_nc_u32_e32 v48, v114, v113
	v_cmp_ne_u32_e64 s13, 0, v113
	v_cmp_ne_u32_e64 s12, 0, v112
	;; [unrolled: 1-line block ×3, first 2 shown]
	v_cndmask_b32_e64 v33, 1, 2, vcc_lo
	v_cmp_eq_u32_e32 vcc_lo, 0, v112
	v_add_nc_u32_e32 v50, v48, v112
	v_cmp_ne_u32_e64 s9, 0, v110
	v_cmp_ne_u32_e64 s15, 0, v109
	;; [unrolled: 1-line block ×3, first 2 shown]
	v_cndmask_b32_e64 v34, 1, 2, vcc_lo
	v_cmp_eq_u32_e32 vcc_lo, 0, v111
	v_add_nc_u32_e32 v49, v50, v111
	v_cmp_ne_u32_e64 s11, 0, v107
	s_delay_alu instid0(VALU_DEP_4)
	v_dual_mov_b32 v66, 0 :: v_dual_and_b32 v33, v34, v33
	v_cndmask_b32_e64 v35, 1, 2, vcc_lo
	v_cmp_eq_u32_e32 vcc_lo, 0, v110
	v_add_nc_u32_e32 v47, v49, v110
	v_cmp_ne_u32_e64 s8, 0, v106
	v_cmp_ne_u32_e64 s7, 0, v104
	v_and_b32_e32 v35, v33, v35
	v_cndmask_b32_e64 v36, 1, 2, vcc_lo
	v_cmp_eq_u32_e32 vcc_lo, 0, v109
	v_add_nc_u32_e32 v46, v47, v109
	s_waitcnt vmcnt(0)
	v_lshlrev_b64 v[33:34], 3, v[29:30]
	v_cmp_ne_u32_e64 s6, 0, v103
	v_and_b32_e32 v35, v35, v36
	v_cndmask_b32_e64 v37, 1, 2, vcc_lo
	v_cmp_eq_u32_e32 vcc_lo, 0, v108
	v_add_nc_u32_e32 v45, v46, v108
	v_cmp_ne_u32_e64 s5, 0, v102
	v_cmp_ne_u32_e64 s4, 0, v101
	v_and_b32_e32 v35, v35, v37
	v_cndmask_b32_e64 v36, 1, 2, vcc_lo
	v_cmp_eq_u32_e32 vcc_lo, 0, v107
	v_add_nc_u32_e32 v44, v45, v107
	v_cmp_ne_u32_e64 s3, 0, v100
	;; [unrolled: 6-line block ×3, first 2 shown]
	s_mov_b32 s17, -1
	v_and_b32_e32 v35, v35, v37
	v_cndmask_b32_e64 v36, 1, 2, vcc_lo
	v_cmp_eq_u32_e32 vcc_lo, 0, v104
	v_add_nc_u32_e32 v42, v43, v104
	s_delay_alu instid0(VALU_DEP_3) | instskip(SKIP_2) | instid1(VALU_DEP_4)
	v_and_b32_e32 v35, v35, v36
	v_cndmask_b32_e64 v37, 1, 2, vcc_lo
	v_cmp_eq_u32_e32 vcc_lo, 0, v103
	v_add_nc_u32_e32 v41, v42, v103
	s_delay_alu instid0(VALU_DEP_3) | instskip(SKIP_2) | instid1(VALU_DEP_4)
	v_and_b32_e32 v35, v35, v37
	v_cndmask_b32_e64 v36, 1, 2, vcc_lo
	v_cmp_eq_u32_e32 vcc_lo, 0, v102
	v_add_nc_u32_e32 v40, v41, v102
	s_delay_alu instid0(VALU_DEP_3) | instskip(SKIP_3) | instid1(VALU_DEP_3)
	v_and_b32_e32 v39, v35, v36
	v_cndmask_b32_e64 v37, 1, 2, vcc_lo
	v_cmp_eq_u32_e32 vcc_lo, 0, v101
	v_lshlrev_b64 v[35:36], 3, v[65:66]
	v_and_b32_e32 v37, v39, v37
	v_cndmask_b32_e64 v38, 1, 2, vcc_lo
	v_cmp_eq_u32_e32 vcc_lo, 0, v100
	v_add_nc_u32_e32 v39, v40, v101
	s_delay_alu instid0(VALU_DEP_3) | instskip(SKIP_3) | instid1(VALU_DEP_3)
	v_and_b32_e32 v54, v37, v38
	v_cndmask_b32_e64 v53, 1, 2, vcc_lo
	v_add_co_u32 v51, vcc_lo, s26, v33
	v_add_co_ci_u32_e32 v52, vcc_lo, s27, v34, vcc_lo
	v_and_b32_e32 v53, v54, v53
	s_delay_alu instid0(VALU_DEP_3) | instskip(NEXT) | instid1(VALU_DEP_3)
	v_add_co_u32 v51, vcc_lo, v51, v35
	v_add_co_ci_u32_e32 v52, vcc_lo, v52, v36, vcc_lo
	v_cmp_eq_u32_e32 vcc_lo, 0, v99
	v_add_nc_u32_e32 v38, v39, v100
	v_cndmask_b32_e64 v54, 1, 2, vcc_lo
	v_cmp_eq_u32_e32 vcc_lo, 0, v105
	s_delay_alu instid0(VALU_DEP_3) | instskip(NEXT) | instid1(VALU_DEP_3)
	v_add_nc_u32_e32 v37, v38, v99
	v_and_b32_e32 v53, v53, v54
	v_cndmask_b32_e64 v54, 1, 2, vcc_lo
	v_cmp_gt_u32_e32 vcc_lo, 0x100, v61
	s_delay_alu instid0(VALU_DEP_2) | instskip(NEXT) | instid1(VALU_DEP_1)
	v_and_b32_e32 v53, v53, v54
	v_cmp_gt_i16_e64 s16, 2, v53
	s_cbranch_vccz .LBB255_193
; %bb.187:
	s_delay_alu instid0(VALU_DEP_1)
	s_and_saveexec_b32 s17, s16
	s_cbranch_execz .LBB255_192
; %bb.188:
	s_mov_b32 s18, 0
	s_mov_b32 s16, exec_lo
	v_cmpx_ne_u16_e32 1, v53
	s_xor_b32 s16, exec_lo, s16
	s_cbranch_execnz .LBB255_225
; %bb.189:
	s_and_not1_saveexec_b32 s16, s16
	s_cbranch_execnz .LBB255_241
.LBB255_190:
	s_or_b32 exec_lo, exec_lo, s16
	s_delay_alu instid0(SALU_CYCLE_1)
	s_and_b32 exec_lo, exec_lo, s18
	s_cbranch_execz .LBB255_192
.LBB255_191:
	v_sub_nc_u32_e32 v54, v37, v65
	v_mov_b32_e32 v55, 0
	s_delay_alu instid0(VALU_DEP_1) | instskip(NEXT) | instid1(VALU_DEP_1)
	v_lshlrev_b64 v[54:55], 3, v[54:55]
	v_add_co_u32 v54, vcc_lo, v51, v54
	s_delay_alu instid0(VALU_DEP_2)
	v_add_co_ci_u32_e32 v55, vcc_lo, v52, v55, vcc_lo
	global_store_b64 v[54:55], v[57:58], off
.LBB255_192:
	s_or_b32 exec_lo, exec_lo, s17
	s_mov_b32 s17, 0
.LBB255_193:
	s_delay_alu instid0(SALU_CYCLE_1)
	s_and_b32 vcc_lo, exec_lo, s17
	s_cbranch_vccz .LBB255_203
; %bb.194:
	s_mov_b32 s16, exec_lo
	v_cmpx_gt_i16_e32 2, v53
	s_cbranch_execz .LBB255_199
; %bb.195:
	s_mov_b32 s18, 0
	s_mov_b32 s17, exec_lo
	v_cmpx_ne_u16_e32 1, v53
	s_xor_b32 s17, exec_lo, s17
	s_cbranch_execnz .LBB255_242
; %bb.196:
	s_and_not1_saveexec_b32 s0, s17
	s_cbranch_execnz .LBB255_258
.LBB255_197:
	s_or_b32 exec_lo, exec_lo, s0
	s_delay_alu instid0(SALU_CYCLE_1)
	s_and_b32 exec_lo, exec_lo, s18
	s_cbranch_execz .LBB255_199
.LBB255_198:
	v_sub_nc_u32_e32 v1, v37, v65
	s_delay_alu instid0(VALU_DEP_1)
	v_lshlrev_b32_e32 v1, 3, v1
	ds_store_b64 v1, v[57:58]
.LBB255_199:
	s_or_b32 exec_lo, exec_lo, s16
	s_delay_alu instid0(SALU_CYCLE_1)
	s_mov_b32 s1, exec_lo
	s_waitcnt lgkmcnt(0)
	s_waitcnt_vscnt null, 0x0
	s_barrier
	buffer_gl0_inv
	v_cmpx_lt_u32_e64 v0, v61
	s_cbranch_execz .LBB255_202
; %bb.200:
	v_dual_mov_b32 v2, 0 :: v_dual_lshlrev_b32 v3, 3, v0
	v_mov_b32_e32 v1, v0
	s_mov_b32 s3, 0
	.p2align	6
.LBB255_201:                            ; =>This Inner Loop Header: Depth=1
	ds_load_b64 v[4:5], v3
	v_lshlrev_b64 v[6:7], 3, v[1:2]
	v_add_nc_u32_e32 v1, 0x100, v1
	v_add_nc_u32_e32 v3, 0x800, v3
	s_delay_alu instid0(VALU_DEP_2) | instskip(NEXT) | instid1(VALU_DEP_4)
	v_cmp_ge_u32_e32 vcc_lo, v1, v61
	v_add_co_u32 v6, s0, v51, v6
	s_delay_alu instid0(VALU_DEP_1)
	v_add_co_ci_u32_e64 v7, s0, v52, v7, s0
	s_or_b32 s3, vcc_lo, s3
	s_waitcnt lgkmcnt(0)
	global_store_b64 v[6:7], v[4:5], off
	s_and_not1_b32 exec_lo, exec_lo, s3
	s_cbranch_execnz .LBB255_201
.LBB255_202:
	s_or_b32 exec_lo, exec_lo, s1
.LBB255_203:
	s_cmpk_lg_i32 s44, 0xf00
	v_cndmask_b32_e64 v8, 0, 1, s45
	s_cselect_b32 s0, -1, 0
	v_mad_i32_i24 v5, v0, -15, s44
	s_and_b32 s0, s0, s33
	v_add_co_u32 v1, vcc_lo, v97, v31
	v_cndmask_b32_e64 v4, 0, 1, s0
	s_mul_hi_u32 s0, s44, 0x88888889
	s_and_b32 s1, s2, s45
	s_lshr_b32 s0, s0, 3
	v_add_co_ci_u32_e32 v2, vcc_lo, v98, v32, vcc_lo
	v_sub_nc_u32_e32 v3, v61, v8
	v_cndmask_b32_e64 v6, v113, 0, s1
	v_cmp_eq_u32_e32 vcc_lo, s0, v0
	v_cmp_ne_u32_e64 s0, 0, v5
	s_mov_b32 s16, -1
	s_waitcnt_vscnt null, 0x0
	s_barrier
	s_and_b32 vcc_lo, vcc_lo, s33
	v_add_nc_u32_e32 v3, v3, v4
	v_cndmask_b32_e64 v4, 1, v6, s0
	v_cmp_ne_u32_e64 s0, 1, v5
	buffer_gl0_inv
	v_cndmask_b32_e64 v7, 1, v112, s0
	v_cmp_ne_u32_e64 s0, 14, v5
	s_delay_alu instid0(VALU_DEP_1) | instskip(SKIP_1) | instid1(VALU_DEP_2)
	v_cndmask_b32_e64 v9, 1, v105, s0
	v_cmp_ne_u32_e64 s0, 2, v5
	v_cndmask_b32_e32 v12, v105, v9, vcc_lo
	s_delay_alu instid0(VALU_DEP_2) | instskip(SKIP_1) | instid1(VALU_DEP_2)
	v_cndmask_b32_e64 v10, 1, v111, s0
	v_cmp_ne_u32_e64 s0, 3, v5
	v_dual_cndmask_b32 v9, v6, v4 :: v_dual_cndmask_b32 v10, v111, v10
	s_delay_alu instid0(VALU_DEP_2) | instskip(SKIP_1) | instid1(VALU_DEP_3)
	v_cndmask_b32_e64 v11, 1, v110, s0
	v_cmp_ne_u32_e64 s0, 4, v5
	v_cmp_ne_u32_e64 s14, 0, v9
	s_delay_alu instid0(VALU_DEP_4) | instskip(NEXT) | instid1(VALU_DEP_3)
	v_cmp_ne_u32_e64 s12, 0, v10
	v_cndmask_b32_e64 v4, 1, v109, s0
	v_cmp_ne_u32_e64 s0, 5, v5
	s_delay_alu instid0(VALU_DEP_2) | instskip(NEXT) | instid1(VALU_DEP_2)
	v_dual_cndmask_b32 v13, v112, v7 :: v_dual_cndmask_b32 v18, v109, v4
	v_cndmask_b32_e64 v6, 1, v108, s0
	v_cmp_eq_u32_e64 s0, 0, v9
	s_delay_alu instid0(VALU_DEP_3) | instskip(NEXT) | instid1(VALU_DEP_4)
	v_cmp_ne_u32_e64 s13, 0, v13
	v_cmp_ne_u32_e64 s10, 0, v18
	s_delay_alu instid0(VALU_DEP_4) | instskip(NEXT) | instid1(VALU_DEP_4)
	v_cndmask_b32_e32 v19, v108, v6, vcc_lo
	v_cndmask_b32_e64 v7, 1, 2, s0
	v_cmp_eq_u32_e64 s0, 0, v13
	s_delay_alu instid0(VALU_DEP_1) | instskip(SKIP_1) | instid1(VALU_DEP_2)
	v_cndmask_b32_e64 v14, 1, 2, s0
	v_cmp_ne_u32_e64 s0, 6, v5
	v_and_b32_e32 v7, v14, v7
	s_delay_alu instid0(VALU_DEP_2) | instskip(SKIP_1) | instid1(VALU_DEP_2)
	v_cndmask_b32_e64 v15, 1, v107, s0
	v_cmp_eq_u32_e64 s0, 0, v10
	v_cndmask_b32_e32 v15, v107, v15, vcc_lo
	s_delay_alu instid0(VALU_DEP_2) | instskip(SKIP_1) | instid1(VALU_DEP_1)
	v_cndmask_b32_e64 v14, 1, 2, s0
	v_cmp_ne_u32_e64 s0, 7, v5
	v_cndmask_b32_e64 v16, 1, v106, s0
	v_cmp_ne_u32_e64 s0, 8, v5
	s_delay_alu instid0(VALU_DEP_2) | instskip(SKIP_1) | instid1(VALU_DEP_3)
	v_dual_cndmask_b32 v16, v106, v16 :: v_dual_and_b32 v7, v7, v14
	v_cndmask_b32_e32 v11, v110, v11, vcc_lo
	v_cndmask_b32_e64 v17, 1, v104, s0
	s_delay_alu instid0(VALU_DEP_3) | instskip(NEXT) | instid1(VALU_DEP_3)
	v_cmp_ne_u32_e64 s7, 0, v16
	v_cmp_eq_u32_e64 s0, 0, v11
	s_delay_alu instid0(VALU_DEP_3) | instskip(NEXT) | instid1(VALU_DEP_2)
	v_cndmask_b32_e32 v17, v104, v17, vcc_lo
	v_cndmask_b32_e64 v14, 1, 2, s0
	v_cmp_ne_u32_e64 s0, 9, v5
	s_delay_alu instid0(VALU_DEP_3) | instskip(NEXT) | instid1(VALU_DEP_3)
	v_cmp_ne_u32_e64 s6, 0, v17
	v_and_b32_e32 v6, v7, v14
	s_delay_alu instid0(VALU_DEP_3) | instskip(SKIP_2) | instid1(VALU_DEP_3)
	v_cndmask_b32_e64 v4, 1, v103, s0
	v_cmp_eq_u32_e64 s0, 0, v18
	v_cmp_ne_u32_e64 s11, 0, v11
	v_cndmask_b32_e32 v23, v103, v4, vcc_lo
	s_delay_alu instid0(VALU_DEP_3) | instskip(SKIP_1) | instid1(VALU_DEP_3)
	v_cndmask_b32_e64 v7, 1, 2, s0
	v_cmp_ne_u32_e64 s0, 10, v5
	v_cmp_ne_u32_e64 s5, 0, v23
	s_delay_alu instid0(VALU_DEP_3) | instskip(NEXT) | instid1(VALU_DEP_3)
	v_and_b32_e32 v6, v6, v7
	v_cndmask_b32_e64 v14, 1, v102, s0
	v_cmp_ne_u32_e64 s0, 12, v5
	v_cmp_ne_u32_e64 s9, 0, v19
	s_delay_alu instid0(VALU_DEP_3) | instskip(NEXT) | instid1(VALU_DEP_3)
	v_cndmask_b32_e32 v14, v102, v14, vcc_lo
	v_cndmask_b32_e64 v20, 1, v100, s0
	v_cmp_eq_u32_e64 s0, 0, v19
	s_delay_alu instid0(VALU_DEP_3) | instskip(NEXT) | instid1(VALU_DEP_3)
	v_cmp_ne_u32_e64 s4, 0, v14
	v_cndmask_b32_e32 v20, v100, v20, vcc_lo
	s_delay_alu instid0(VALU_DEP_3) | instskip(SKIP_1) | instid1(VALU_DEP_3)
	v_cndmask_b32_e64 v7, 1, 2, s0
	v_cmp_ne_u32_e64 s0, 13, v5
	v_cmp_ne_u32_e64 s2, 0, v20
	s_delay_alu instid0(VALU_DEP_2) | instskip(SKIP_1) | instid1(VALU_DEP_2)
	v_cndmask_b32_e64 v21, 1, v99, s0
	v_cmp_eq_u32_e64 s0, 0, v15
	v_dual_cndmask_b32 v21, v99, v21 :: v_dual_and_b32 v6, v6, v7
	s_delay_alu instid0(VALU_DEP_2) | instskip(SKIP_1) | instid1(VALU_DEP_3)
	v_cndmask_b32_e64 v7, 1, 2, s0
	v_cmp_ne_u32_e64 s0, 11, v5
	v_cmp_ne_u32_e64 s1, 0, v21
	s_delay_alu instid0(VALU_DEP_3) | instskip(NEXT) | instid1(VALU_DEP_3)
	v_and_b32_e32 v6, v6, v7
	v_cndmask_b32_e64 v5, 1, v101, s0
	v_cmp_eq_u32_e64 s0, 0, v16
	s_delay_alu instid0(VALU_DEP_2) | instskip(NEXT) | instid1(VALU_DEP_2)
	v_cndmask_b32_e32 v22, v101, v5, vcc_lo
	v_cndmask_b32_e64 v7, 1, 2, s0
	v_cmp_eq_u32_e32 vcc_lo, 0, v17
	v_cmp_ne_u32_e64 s8, 0, v15
	v_cmp_ne_u32_e64 s0, 0, v12
	;; [unrolled: 1-line block ×3, first 2 shown]
	v_and_b32_e32 v4, v6, v7
	v_cndmask_b32_e64 v5, 1, 2, vcc_lo
	v_add_co_u32 v6, vcc_lo, s28, v33
	v_add_co_ci_u32_e32 v7, vcc_lo, s29, v34, vcc_lo
	v_cmp_eq_u32_e32 vcc_lo, 0, v23
	s_delay_alu instid0(VALU_DEP_4)
	v_and_b32_e32 v24, v4, v5
	v_cndmask_b32_e64 v25, 1, 2, vcc_lo
	v_add_co_u32 v4, vcc_lo, v6, v35
	v_add_co_ci_u32_e32 v5, vcc_lo, v7, v36, vcc_lo
	v_lshlrev_b32_e32 v6, 3, v8
	v_cmp_eq_u32_e32 vcc_lo, 0, v14
	v_and_b32_e32 v7, v24, v25
	v_add_nc_u32_e32 v8, v65, v8
	v_cndmask_b32_e64 v24, 1, 2, vcc_lo
	v_add_co_u32 v6, vcc_lo, v6, v4
	v_add_co_ci_u32_e32 v25, vcc_lo, 0, v5, vcc_lo
	v_cmp_eq_u32_e32 vcc_lo, 0, v22
	s_delay_alu instid0(VALU_DEP_4) | instskip(SKIP_4) | instid1(VALU_DEP_4)
	v_and_b32_e32 v24, v7, v24
	v_cndmask_b32_e64 v26, 1, 2, vcc_lo
	v_add_co_u32 v6, vcc_lo, v6, -8
	v_add_co_ci_u32_e32 v7, vcc_lo, -1, v25, vcc_lo
	v_cmp_eq_u32_e32 vcc_lo, 0, v20
	v_and_b32_e32 v24, v24, v26
	v_cndmask_b32_e64 v25, 1, 2, vcc_lo
	v_cmp_eq_u32_e32 vcc_lo, 0, v21
	s_delay_alu instid0(VALU_DEP_2) | instskip(SKIP_2) | instid1(VALU_DEP_2)
	v_and_b32_e32 v9, v24, v25
	v_cndmask_b32_e64 v10, 1, 2, vcc_lo
	v_cmp_eq_u32_e32 vcc_lo, 0, v12
	v_and_b32_e32 v9, v9, v10
	v_cndmask_b32_e64 v10, 1, 2, vcc_lo
	v_cmp_gt_u32_e32 vcc_lo, 0x100, v3
	s_delay_alu instid0(VALU_DEP_2) | instskip(NEXT) | instid1(VALU_DEP_1)
	v_and_b32_e32 v9, v9, v10
	v_cmp_gt_i16_e64 s15, 2, v9
	s_cbranch_vccnz .LBB255_207
; %bb.204:
	s_and_b32 vcc_lo, exec_lo, s16
	s_cbranch_vccnz .LBB255_213
.LBB255_205:
	v_cmp_eq_u32_e32 vcc_lo, 0xff, v0
	s_and_b32 s0, vcc_lo, s33
	s_delay_alu instid0(SALU_CYCLE_1)
	s_and_saveexec_b32 s1, s0
	s_cbranch_execnz .LBB255_222
.LBB255_206:
	s_nop 0
	s_sendmsg sendmsg(MSG_DEALLOC_VGPRS)
	s_endpgm
.LBB255_207:
	s_delay_alu instid0(VALU_DEP_1)
	s_and_saveexec_b32 s16, s15
	s_cbranch_execz .LBB255_212
; %bb.208:
	s_mov_b32 s17, 0
	s_mov_b32 s15, exec_lo
	v_cmpx_ne_u16_e32 1, v9
	s_xor_b32 s15, exec_lo, s15
	s_cbranch_execnz .LBB255_259
; %bb.209:
	s_and_not1_saveexec_b32 s15, s15
	s_cbranch_execnz .LBB255_275
.LBB255_210:
	s_or_b32 exec_lo, exec_lo, s15
	s_delay_alu instid0(SALU_CYCLE_1)
	s_and_b32 exec_lo, exec_lo, s17
	s_cbranch_execz .LBB255_212
.LBB255_211:
	v_sub_nc_u32_e32 v10, v37, v8
	v_mov_b32_e32 v11, 0
	s_delay_alu instid0(VALU_DEP_1) | instskip(NEXT) | instid1(VALU_DEP_1)
	v_lshlrev_b64 v[10:11], 3, v[10:11]
	v_add_co_u32 v10, vcc_lo, v6, v10
	s_delay_alu instid0(VALU_DEP_2)
	v_add_co_ci_u32_e32 v11, vcc_lo, v7, v11, vcc_lo
	global_store_b64 v[10:11], v[1:2], off
.LBB255_212:
	s_or_b32 exec_lo, exec_lo, s16
	s_branch .LBB255_205
.LBB255_213:
	s_mov_b32 s15, exec_lo
	v_cmpx_gt_i16_e32 2, v9
	s_cbranch_execz .LBB255_218
; %bb.214:
	s_mov_b32 s17, 0
	s_mov_b32 s16, exec_lo
	v_cmpx_ne_u16_e32 1, v9
	s_xor_b32 s16, exec_lo, s16
	s_cbranch_execnz .LBB255_276
; %bb.215:
	s_and_not1_saveexec_b32 s0, s16
	s_cbranch_execnz .LBB255_292
.LBB255_216:
	s_or_b32 exec_lo, exec_lo, s0
	s_delay_alu instid0(SALU_CYCLE_1)
	s_and_b32 exec_lo, exec_lo, s17
	s_cbranch_execz .LBB255_218
.LBB255_217:
	v_sub_nc_u32_e32 v8, v37, v8
	s_delay_alu instid0(VALU_DEP_1)
	v_lshlrev_b32_e32 v8, 3, v8
	ds_store_b64 v8, v[1:2]
.LBB255_218:
	s_or_b32 exec_lo, exec_lo, s15
	s_delay_alu instid0(SALU_CYCLE_1)
	s_mov_b32 s1, exec_lo
	s_waitcnt lgkmcnt(0)
	s_waitcnt_vscnt null, 0x0
	s_barrier
	buffer_gl0_inv
	v_cmpx_lt_u32_e64 v0, v3
	s_cbranch_execz .LBB255_221
; %bb.219:
	v_dual_mov_b32 v1, v0 :: v_dual_lshlrev_b32 v8, 3, v0
	v_mov_b32_e32 v2, 0
	s_mov_b32 s2, 0
	.p2align	6
.LBB255_220:                            ; =>This Inner Loop Header: Depth=1
	ds_load_b64 v[9:10], v8
	v_lshlrev_b64 v[11:12], 3, v[1:2]
	v_add_nc_u32_e32 v1, 0x100, v1
	v_add_nc_u32_e32 v8, 0x800, v8
	s_delay_alu instid0(VALU_DEP_2) | instskip(NEXT) | instid1(VALU_DEP_4)
	v_cmp_ge_u32_e32 vcc_lo, v1, v3
	v_add_co_u32 v11, s0, v6, v11
	s_delay_alu instid0(VALU_DEP_1)
	v_add_co_ci_u32_e64 v12, s0, v7, v12, s0
	s_or_b32 s2, vcc_lo, s2
	s_waitcnt lgkmcnt(0)
	global_store_b64 v[11:12], v[9:10], off
	s_and_not1_b32 exec_lo, exec_lo, s2
	s_cbranch_execnz .LBB255_220
.LBB255_221:
	s_or_b32 exec_lo, exec_lo, s1
	v_cmp_eq_u32_e32 vcc_lo, 0xff, v0
	s_and_b32 s0, vcc_lo, s33
	s_delay_alu instid0(SALU_CYCLE_1)
	s_and_saveexec_b32 s1, s0
	s_cbranch_execz .LBB255_206
.LBB255_222:
	v_add_co_u32 v0, s0, v61, v65
	s_delay_alu instid0(VALU_DEP_1) | instskip(SKIP_1) | instid1(VALU_DEP_3)
	v_add_co_ci_u32_e64 v1, null, 0, 0, s0
	v_mov_b32_e32 v62, 0
	v_add_co_u32 v0, vcc_lo, v0, v29
	s_delay_alu instid0(VALU_DEP_3)
	v_add_co_ci_u32_e32 v1, vcc_lo, v1, v30, vcc_lo
	s_cmpk_lg_i32 s44, 0xf00
	global_store_b64 v62, v[0:1], s[30:31]
	s_cbranch_scc1 .LBB255_206
; %bb.223:
	v_lshlrev_b64 v[0:1], 3, v[61:62]
	s_delay_alu instid0(VALU_DEP_1) | instskip(NEXT) | instid1(VALU_DEP_2)
	v_add_co_u32 v0, vcc_lo, v4, v0
	v_add_co_ci_u32_e32 v1, vcc_lo, v5, v1, vcc_lo
	global_store_b64 v[0:1], v[63:64], off offset:-8
	s_nop 0
	s_sendmsg sendmsg(MSG_DEALLOC_VGPRS)
	s_endpgm
.LBB255_224:
	s_or_b32 exec_lo, exec_lo, s4
	v_mov_b32_e32 v113, s1
	s_and_saveexec_b32 s1, s46
	s_cbranch_execnz .LBB255_88
	s_branch .LBB255_89
.LBB255_225:
	s_and_saveexec_b32 s18, s13
	s_cbranch_execnz .LBB255_293
; %bb.226:
	s_or_b32 exec_lo, exec_lo, s18
	s_and_saveexec_b32 s18, s12
	s_cbranch_execnz .LBB255_294
.LBB255_227:
	s_or_b32 exec_lo, exec_lo, s18
	s_and_saveexec_b32 s18, s10
	s_cbranch_execnz .LBB255_295
.LBB255_228:
	s_or_b32 exec_lo, exec_lo, s18
	s_and_saveexec_b32 s18, s9
	s_cbranch_execnz .LBB255_296
.LBB255_229:
	s_or_b32 exec_lo, exec_lo, s18
	s_and_saveexec_b32 s18, s15
	s_cbranch_execnz .LBB255_297
.LBB255_230:
	s_or_b32 exec_lo, exec_lo, s18
	s_and_saveexec_b32 s18, s14
	s_cbranch_execnz .LBB255_298
.LBB255_231:
	s_or_b32 exec_lo, exec_lo, s18
	s_and_saveexec_b32 s18, s11
	s_cbranch_execnz .LBB255_299
.LBB255_232:
	s_or_b32 exec_lo, exec_lo, s18
	s_and_saveexec_b32 s18, s8
	s_cbranch_execnz .LBB255_300
.LBB255_233:
	s_or_b32 exec_lo, exec_lo, s18
	s_and_saveexec_b32 s18, s7
	s_cbranch_execnz .LBB255_301
.LBB255_234:
	s_or_b32 exec_lo, exec_lo, s18
	s_and_saveexec_b32 s18, s6
	s_cbranch_execnz .LBB255_302
.LBB255_235:
	s_or_b32 exec_lo, exec_lo, s18
	s_and_saveexec_b32 s18, s5
	s_cbranch_execnz .LBB255_303
.LBB255_236:
	s_or_b32 exec_lo, exec_lo, s18
	s_and_saveexec_b32 s18, s4
	s_cbranch_execnz .LBB255_304
.LBB255_237:
	s_or_b32 exec_lo, exec_lo, s18
	s_and_saveexec_b32 s18, s3
	s_cbranch_execnz .LBB255_305
.LBB255_238:
	s_or_b32 exec_lo, exec_lo, s18
	s_and_saveexec_b32 s18, s1
	s_cbranch_execz .LBB255_240
.LBB255_239:
	v_sub_nc_u32_e32 v54, v38, v65
	v_mov_b32_e32 v55, 0
	s_delay_alu instid0(VALU_DEP_1) | instskip(NEXT) | instid1(VALU_DEP_1)
	v_lshlrev_b64 v[54:55], 3, v[54:55]
	v_add_co_u32 v54, vcc_lo, v51, v54
	s_delay_alu instid0(VALU_DEP_2)
	v_add_co_ci_u32_e32 v55, vcc_lo, v52, v55, vcc_lo
	global_store_b64 v[54:55], v[3:4], off
.LBB255_240:
	s_or_b32 exec_lo, exec_lo, s18
	s_delay_alu instid0(SALU_CYCLE_1)
	s_and_b32 s18, s0, exec_lo
	s_and_not1_saveexec_b32 s16, s16
	s_cbranch_execz .LBB255_190
.LBB255_241:
	v_sub_nc_u32_e32 v54, v114, v65
	v_mov_b32_e32 v55, 0
	s_or_b32 s18, s18, exec_lo
	s_delay_alu instid0(VALU_DEP_1) | instskip(SKIP_1) | instid1(VALU_DEP_1)
	v_lshlrev_b64 v[59:60], 3, v[54:55]
	v_sub_nc_u32_e32 v54, v48, v65
	v_lshlrev_b64 v[95:96], 3, v[54:55]
	v_sub_nc_u32_e32 v54, v50, v65
	s_delay_alu instid0(VALU_DEP_4) | instskip(SKIP_1) | instid1(VALU_DEP_3)
	v_add_co_u32 v59, vcc_lo, v51, v59
	v_add_co_ci_u32_e32 v60, vcc_lo, v52, v60, vcc_lo
	v_lshlrev_b64 v[115:116], 3, v[54:55]
	v_sub_nc_u32_e32 v54, v49, v65
	v_add_co_u32 v95, vcc_lo, v51, v95
	v_add_co_ci_u32_e32 v96, vcc_lo, v52, v96, vcc_lo
	global_store_b64 v[59:60], v[25:26], off
	v_lshlrev_b64 v[59:60], 3, v[54:55]
	v_sub_nc_u32_e32 v54, v47, v65
	global_store_b64 v[95:96], v[27:28], off
	v_add_co_u32 v95, vcc_lo, v51, v115
	v_add_co_ci_u32_e32 v96, vcc_lo, v52, v116, vcc_lo
	v_lshlrev_b64 v[115:116], 3, v[54:55]
	v_sub_nc_u32_e32 v54, v46, v65
	v_add_co_u32 v59, vcc_lo, v51, v59
	v_add_co_ci_u32_e32 v60, vcc_lo, v52, v60, vcc_lo
	s_delay_alu instid0(VALU_DEP_3) | instskip(SKIP_3) | instid1(VALU_DEP_3)
	v_lshlrev_b64 v[117:118], 3, v[54:55]
	v_sub_nc_u32_e32 v54, v45, v65
	v_add_co_u32 v115, vcc_lo, v51, v115
	v_add_co_ci_u32_e32 v116, vcc_lo, v52, v116, vcc_lo
	v_lshlrev_b64 v[119:120], 3, v[54:55]
	v_sub_nc_u32_e32 v54, v44, v65
	v_add_co_u32 v117, vcc_lo, v51, v117
	v_add_co_ci_u32_e32 v118, vcc_lo, v52, v118, vcc_lo
	s_clause 0x3
	global_store_b64 v[95:96], v[21:22], off
	global_store_b64 v[59:60], v[23:24], off
	global_store_b64 v[115:116], v[17:18], off
	global_store_b64 v[117:118], v[19:20], off
	v_lshlrev_b64 v[59:60], 3, v[54:55]
	v_sub_nc_u32_e32 v54, v43, v65
	v_add_co_u32 v95, vcc_lo, v51, v119
	v_add_co_ci_u32_e32 v96, vcc_lo, v52, v120, vcc_lo
	s_delay_alu instid0(VALU_DEP_3) | instskip(SKIP_3) | instid1(VALU_DEP_3)
	v_lshlrev_b64 v[115:116], 3, v[54:55]
	v_sub_nc_u32_e32 v54, v42, v65
	v_add_co_u32 v59, vcc_lo, v51, v59
	v_add_co_ci_u32_e32 v60, vcc_lo, v52, v60, vcc_lo
	v_lshlrev_b64 v[117:118], 3, v[54:55]
	v_sub_nc_u32_e32 v54, v41, v65
	v_add_co_u32 v115, vcc_lo, v51, v115
	v_add_co_ci_u32_e32 v116, vcc_lo, v52, v116, vcc_lo
	s_delay_alu instid0(VALU_DEP_3)
	v_lshlrev_b64 v[119:120], 3, v[54:55]
	v_sub_nc_u32_e32 v54, v40, v65
	v_add_co_u32 v117, vcc_lo, v51, v117
	v_add_co_ci_u32_e32 v118, vcc_lo, v52, v118, vcc_lo
	s_clause 0x3
	global_store_b64 v[95:96], v[13:14], off
	global_store_b64 v[59:60], v[15:16], off
	;; [unrolled: 1-line block ×4, first 2 shown]
	v_lshlrev_b64 v[59:60], 3, v[54:55]
	v_sub_nc_u32_e32 v54, v39, v65
	v_add_co_u32 v95, vcc_lo, v51, v119
	v_add_co_ci_u32_e32 v96, vcc_lo, v52, v120, vcc_lo
	s_delay_alu instid0(VALU_DEP_3) | instskip(SKIP_3) | instid1(VALU_DEP_3)
	v_lshlrev_b64 v[115:116], 3, v[54:55]
	v_sub_nc_u32_e32 v54, v38, v65
	v_add_co_u32 v59, vcc_lo, v51, v59
	v_add_co_ci_u32_e32 v60, vcc_lo, v52, v60, vcc_lo
	v_lshlrev_b64 v[54:55], 3, v[54:55]
	v_add_co_u32 v115, vcc_lo, v51, v115
	v_add_co_ci_u32_e32 v116, vcc_lo, v52, v116, vcc_lo
	s_clause 0x2
	global_store_b64 v[95:96], v[5:6], off
	global_store_b64 v[59:60], v[7:8], off
	;; [unrolled: 1-line block ×3, first 2 shown]
	v_add_co_u32 v54, vcc_lo, v51, v54
	v_add_co_ci_u32_e32 v55, vcc_lo, v52, v55, vcc_lo
	global_store_b64 v[54:55], v[3:4], off
	s_or_b32 exec_lo, exec_lo, s16
	s_delay_alu instid0(SALU_CYCLE_1)
	s_and_b32 exec_lo, exec_lo, s18
	s_cbranch_execnz .LBB255_191
	s_branch .LBB255_192
.LBB255_242:
	s_and_saveexec_b32 s18, s13
	s_cbranch_execnz .LBB255_306
; %bb.243:
	s_or_b32 exec_lo, exec_lo, s18
	s_and_saveexec_b32 s13, s12
	s_cbranch_execnz .LBB255_307
.LBB255_244:
	s_or_b32 exec_lo, exec_lo, s13
	s_and_saveexec_b32 s12, s10
	s_cbranch_execnz .LBB255_308
.LBB255_245:
	s_or_b32 exec_lo, exec_lo, s12
	s_and_saveexec_b32 s10, s9
	s_cbranch_execnz .LBB255_309
.LBB255_246:
	s_or_b32 exec_lo, exec_lo, s10
	s_and_saveexec_b32 s9, s15
	s_cbranch_execnz .LBB255_310
.LBB255_247:
	s_or_b32 exec_lo, exec_lo, s9
	s_and_saveexec_b32 s9, s14
	s_cbranch_execnz .LBB255_311
.LBB255_248:
	s_or_b32 exec_lo, exec_lo, s9
	s_and_saveexec_b32 s9, s11
	s_cbranch_execnz .LBB255_312
.LBB255_249:
	s_or_b32 exec_lo, exec_lo, s9
	s_and_saveexec_b32 s9, s8
	s_cbranch_execnz .LBB255_313
.LBB255_250:
	s_or_b32 exec_lo, exec_lo, s9
	s_and_saveexec_b32 s8, s7
	s_cbranch_execnz .LBB255_314
.LBB255_251:
	s_or_b32 exec_lo, exec_lo, s8
	s_and_saveexec_b32 s7, s6
	s_cbranch_execnz .LBB255_315
.LBB255_252:
	s_or_b32 exec_lo, exec_lo, s7
	s_and_saveexec_b32 s6, s5
	s_cbranch_execnz .LBB255_316
.LBB255_253:
	s_or_b32 exec_lo, exec_lo, s6
	s_and_saveexec_b32 s5, s4
	s_cbranch_execnz .LBB255_317
.LBB255_254:
	s_or_b32 exec_lo, exec_lo, s5
	s_and_saveexec_b32 s4, s3
	s_cbranch_execnz .LBB255_318
.LBB255_255:
	s_or_b32 exec_lo, exec_lo, s4
	s_and_saveexec_b32 s3, s1
	s_cbranch_execz .LBB255_257
.LBB255_256:
	v_sub_nc_u32_e32 v1, v38, v65
	s_delay_alu instid0(VALU_DEP_1)
	v_lshlrev_b32_e32 v1, 3, v1
	ds_store_b64 v1, v[3:4]
.LBB255_257:
	s_or_b32 exec_lo, exec_lo, s3
	s_delay_alu instid0(SALU_CYCLE_1)
	s_and_b32 s18, s0, exec_lo
                                        ; implicit-def: $vgpr25_vgpr26
                                        ; implicit-def: $vgpr21_vgpr22
                                        ; implicit-def: $vgpr17_vgpr18
                                        ; implicit-def: $vgpr13_vgpr14
                                        ; implicit-def: $vgpr9_vgpr10
                                        ; implicit-def: $vgpr5_vgpr6
                                        ; implicit-def: $vgpr1_vgpr2
	s_and_not1_saveexec_b32 s0, s17
	s_cbranch_execz .LBB255_197
.LBB255_258:
	v_sub_nc_u32_e32 v53, v114, v65
	v_sub_nc_u32_e32 v54, v48, v65
	;; [unrolled: 1-line block ×4, first 2 shown]
	s_or_b32 s18, s18, exec_lo
	v_lshlrev_b32_e32 v53, 3, v53
	v_lshlrev_b32_e32 v54, 3, v54
	;; [unrolled: 1-line block ×4, first 2 shown]
	ds_store_b64 v53, v[25:26]
	ds_store_b64 v54, v[27:28]
	;; [unrolled: 1-line block ×3, first 2 shown]
	v_sub_nc_u32_e32 v21, v47, v65
	v_sub_nc_u32_e32 v22, v46, v65
	ds_store_b64 v56, v[23:24]
	v_sub_nc_u32_e32 v23, v45, v65
	v_sub_nc_u32_e32 v24, v44, v65
	v_lshlrev_b32_e32 v21, 3, v21
	v_sub_nc_u32_e32 v25, v43, v65
	v_lshlrev_b32_e32 v22, 3, v22
	v_lshlrev_b32_e32 v23, 3, v23
	;; [unrolled: 1-line block ×3, first 2 shown]
	ds_store_b64 v21, v[17:18]
	v_lshlrev_b32_e32 v17, 3, v25
	ds_store_b64 v22, v[19:20]
	ds_store_b64 v23, v[13:14]
	;; [unrolled: 1-line block ×3, first 2 shown]
	v_sub_nc_u32_e32 v13, v42, v65
	v_sub_nc_u32_e32 v15, v38, v65
	v_sub_nc_u32_e32 v14, v39, v65
	ds_store_b64 v17, v[9:10]
	v_sub_nc_u32_e32 v9, v41, v65
	v_lshlrev_b32_e32 v13, 3, v13
	v_sub_nc_u32_e32 v10, v40, v65
	v_lshlrev_b32_e32 v14, 3, v14
	s_delay_alu instid0(VALU_DEP_4)
	v_lshlrev_b32_e32 v9, 3, v9
	ds_store_b64 v13, v[11:12]
	v_lshlrev_b32_e32 v11, 3, v15
	v_lshlrev_b32_e32 v10, 3, v10
	ds_store_b64 v9, v[5:6]
	ds_store_b64 v10, v[7:8]
	;; [unrolled: 1-line block ×4, first 2 shown]
	s_or_b32 exec_lo, exec_lo, s0
	s_delay_alu instid0(SALU_CYCLE_1)
	s_and_b32 exec_lo, exec_lo, s18
	s_cbranch_execnz .LBB255_198
	s_branch .LBB255_199
.LBB255_259:
	s_and_saveexec_b32 s17, s14
	s_cbranch_execnz .LBB255_319
; %bb.260:
	s_or_b32 exec_lo, exec_lo, s17
	s_and_saveexec_b32 s17, s13
	s_cbranch_execnz .LBB255_320
.LBB255_261:
	s_or_b32 exec_lo, exec_lo, s17
	s_and_saveexec_b32 s17, s12
	s_cbranch_execnz .LBB255_321
.LBB255_262:
	s_or_b32 exec_lo, exec_lo, s17
	s_and_saveexec_b32 s17, s11
	s_cbranch_execnz .LBB255_322
.LBB255_263:
	s_or_b32 exec_lo, exec_lo, s17
	s_and_saveexec_b32 s17, s10
	s_cbranch_execnz .LBB255_323
.LBB255_264:
	s_or_b32 exec_lo, exec_lo, s17
	s_and_saveexec_b32 s17, s9
	s_cbranch_execnz .LBB255_324
.LBB255_265:
	s_or_b32 exec_lo, exec_lo, s17
	s_and_saveexec_b32 s17, s8
	s_cbranch_execnz .LBB255_325
.LBB255_266:
	s_or_b32 exec_lo, exec_lo, s17
	s_and_saveexec_b32 s17, s7
	s_cbranch_execnz .LBB255_326
.LBB255_267:
	s_or_b32 exec_lo, exec_lo, s17
	s_and_saveexec_b32 s17, s6
	s_cbranch_execnz .LBB255_327
.LBB255_268:
	s_or_b32 exec_lo, exec_lo, s17
	s_and_saveexec_b32 s17, s5
	s_cbranch_execnz .LBB255_328
.LBB255_269:
	s_or_b32 exec_lo, exec_lo, s17
	s_and_saveexec_b32 s17, s4
	s_cbranch_execnz .LBB255_329
.LBB255_270:
	s_or_b32 exec_lo, exec_lo, s17
	s_and_saveexec_b32 s17, s3
	s_cbranch_execnz .LBB255_330
.LBB255_271:
	s_or_b32 exec_lo, exec_lo, s17
	s_and_saveexec_b32 s17, s2
	s_cbranch_execnz .LBB255_331
.LBB255_272:
	s_or_b32 exec_lo, exec_lo, s17
	s_and_saveexec_b32 s17, s1
	s_cbranch_execz .LBB255_274
.LBB255_273:
	v_sub_nc_u32_e32 v10, v38, v8
	v_mov_b32_e32 v11, 0
	s_delay_alu instid0(VALU_DEP_1) | instskip(NEXT) | instid1(VALU_DEP_1)
	v_lshlrev_b64 v[10:11], 3, v[10:11]
	v_add_co_u32 v10, vcc_lo, v6, v10
	s_delay_alu instid0(VALU_DEP_2)
	v_add_co_ci_u32_e32 v11, vcc_lo, v7, v11, vcc_lo
	global_store_b64 v[10:11], v[93:94], off
.LBB255_274:
	s_or_b32 exec_lo, exec_lo, s17
	s_delay_alu instid0(SALU_CYCLE_1)
	s_and_b32 s17, s0, exec_lo
	s_and_not1_saveexec_b32 s15, s15
	s_cbranch_execz .LBB255_210
.LBB255_275:
	v_sub_nc_u32_e32 v10, v114, v8
	v_mov_b32_e32 v11, 0
	s_or_b32 s17, s17, exec_lo
	s_delay_alu instid0(VALU_DEP_1) | instskip(SKIP_1) | instid1(VALU_DEP_1)
	v_lshlrev_b64 v[12:13], 3, v[10:11]
	v_sub_nc_u32_e32 v10, v48, v8
	v_lshlrev_b64 v[14:15], 3, v[10:11]
	v_sub_nc_u32_e32 v10, v50, v8
	s_delay_alu instid0(VALU_DEP_4) | instskip(SKIP_1) | instid1(VALU_DEP_3)
	v_add_co_u32 v12, vcc_lo, v6, v12
	v_add_co_ci_u32_e32 v13, vcc_lo, v7, v13, vcc_lo
	v_lshlrev_b64 v[16:17], 3, v[10:11]
	v_sub_nc_u32_e32 v10, v49, v8
	v_add_co_u32 v14, vcc_lo, v6, v14
	v_add_co_ci_u32_e32 v15, vcc_lo, v7, v15, vcc_lo
	global_store_b64 v[12:13], v[79:80], off
	v_lshlrev_b64 v[12:13], 3, v[10:11]
	v_sub_nc_u32_e32 v10, v47, v8
	global_store_b64 v[14:15], v[75:76], off
	v_add_co_u32 v14, vcc_lo, v6, v16
	v_add_co_ci_u32_e32 v15, vcc_lo, v7, v17, vcc_lo
	v_lshlrev_b64 v[16:17], 3, v[10:11]
	v_sub_nc_u32_e32 v10, v46, v8
	v_add_co_u32 v12, vcc_lo, v6, v12
	v_add_co_ci_u32_e32 v13, vcc_lo, v7, v13, vcc_lo
	s_delay_alu instid0(VALU_DEP_3) | instskip(SKIP_3) | instid1(VALU_DEP_3)
	v_lshlrev_b64 v[18:19], 3, v[10:11]
	v_sub_nc_u32_e32 v10, v45, v8
	v_add_co_u32 v16, vcc_lo, v6, v16
	v_add_co_ci_u32_e32 v17, vcc_lo, v7, v17, vcc_lo
	v_lshlrev_b64 v[20:21], 3, v[10:11]
	v_sub_nc_u32_e32 v10, v44, v8
	v_add_co_u32 v18, vcc_lo, v6, v18
	v_add_co_ci_u32_e32 v19, vcc_lo, v7, v19, vcc_lo
	s_clause 0x3
	global_store_b64 v[14:15], v[81:82], off
	global_store_b64 v[12:13], v[85:86], off
	global_store_b64 v[16:17], v[67:68], off
	global_store_b64 v[18:19], v[71:72], off
	v_lshlrev_b64 v[12:13], 3, v[10:11]
	v_sub_nc_u32_e32 v10, v43, v8
	v_add_co_u32 v14, vcc_lo, v6, v20
	v_add_co_ci_u32_e32 v15, vcc_lo, v7, v21, vcc_lo
	s_delay_alu instid0(VALU_DEP_3) | instskip(SKIP_3) | instid1(VALU_DEP_3)
	v_lshlrev_b64 v[16:17], 3, v[10:11]
	v_sub_nc_u32_e32 v10, v42, v8
	v_add_co_u32 v12, vcc_lo, v6, v12
	v_add_co_ci_u32_e32 v13, vcc_lo, v7, v13, vcc_lo
	v_lshlrev_b64 v[18:19], 3, v[10:11]
	v_sub_nc_u32_e32 v10, v41, v8
	v_add_co_u32 v16, vcc_lo, v6, v16
	v_add_co_ci_u32_e32 v17, vcc_lo, v7, v17, vcc_lo
	s_delay_alu instid0(VALU_DEP_3)
	v_lshlrev_b64 v[20:21], 3, v[10:11]
	v_sub_nc_u32_e32 v10, v40, v8
	v_add_co_u32 v18, vcc_lo, v6, v18
	v_add_co_ci_u32_e32 v19, vcc_lo, v7, v19, vcc_lo
	s_clause 0x3
	global_store_b64 v[14:15], v[77:78], off
	global_store_b64 v[12:13], v[83:84], off
	;; [unrolled: 1-line block ×4, first 2 shown]
	v_lshlrev_b64 v[12:13], 3, v[10:11]
	v_sub_nc_u32_e32 v10, v39, v8
	v_add_co_u32 v14, vcc_lo, v6, v20
	v_add_co_ci_u32_e32 v15, vcc_lo, v7, v21, vcc_lo
	s_delay_alu instid0(VALU_DEP_3) | instskip(SKIP_3) | instid1(VALU_DEP_3)
	v_lshlrev_b64 v[16:17], 3, v[10:11]
	v_sub_nc_u32_e32 v10, v38, v8
	v_add_co_u32 v12, vcc_lo, v6, v12
	v_add_co_ci_u32_e32 v13, vcc_lo, v7, v13, vcc_lo
	v_lshlrev_b64 v[10:11], 3, v[10:11]
	v_add_co_u32 v16, vcc_lo, v6, v16
	v_add_co_ci_u32_e32 v17, vcc_lo, v7, v17, vcc_lo
	s_clause 0x2
	global_store_b64 v[14:15], v[73:74], off
	global_store_b64 v[12:13], v[89:90], off
	;; [unrolled: 1-line block ×3, first 2 shown]
	v_add_co_u32 v10, vcc_lo, v6, v10
	v_add_co_ci_u32_e32 v11, vcc_lo, v7, v11, vcc_lo
	global_store_b64 v[10:11], v[93:94], off
	s_or_b32 exec_lo, exec_lo, s15
	s_delay_alu instid0(SALU_CYCLE_1)
	s_and_b32 exec_lo, exec_lo, s17
	s_cbranch_execnz .LBB255_211
	s_branch .LBB255_212
.LBB255_276:
	s_and_saveexec_b32 s17, s14
	s_cbranch_execnz .LBB255_332
; %bb.277:
	s_or_b32 exec_lo, exec_lo, s17
	s_and_saveexec_b32 s14, s13
	s_cbranch_execnz .LBB255_333
.LBB255_278:
	s_or_b32 exec_lo, exec_lo, s14
	s_and_saveexec_b32 s13, s12
	s_cbranch_execnz .LBB255_334
.LBB255_279:
	s_or_b32 exec_lo, exec_lo, s13
	s_and_saveexec_b32 s12, s11
	s_cbranch_execnz .LBB255_335
.LBB255_280:
	s_or_b32 exec_lo, exec_lo, s12
	s_and_saveexec_b32 s11, s10
	s_cbranch_execnz .LBB255_336
.LBB255_281:
	s_or_b32 exec_lo, exec_lo, s11
	s_and_saveexec_b32 s10, s9
	s_cbranch_execnz .LBB255_337
.LBB255_282:
	s_or_b32 exec_lo, exec_lo, s10
	s_and_saveexec_b32 s9, s8
	s_cbranch_execnz .LBB255_338
.LBB255_283:
	s_or_b32 exec_lo, exec_lo, s9
	s_and_saveexec_b32 s8, s7
	s_cbranch_execnz .LBB255_339
.LBB255_284:
	s_or_b32 exec_lo, exec_lo, s8
	s_and_saveexec_b32 s7, s6
	s_cbranch_execnz .LBB255_340
.LBB255_285:
	s_or_b32 exec_lo, exec_lo, s7
	s_and_saveexec_b32 s6, s5
	s_cbranch_execnz .LBB255_341
.LBB255_286:
	s_or_b32 exec_lo, exec_lo, s6
	s_and_saveexec_b32 s5, s4
	s_cbranch_execnz .LBB255_342
.LBB255_287:
	s_or_b32 exec_lo, exec_lo, s5
	s_and_saveexec_b32 s4, s3
	s_cbranch_execnz .LBB255_343
.LBB255_288:
	s_or_b32 exec_lo, exec_lo, s4
	s_and_saveexec_b32 s3, s2
	s_cbranch_execnz .LBB255_344
.LBB255_289:
	s_or_b32 exec_lo, exec_lo, s3
	s_and_saveexec_b32 s2, s1
	s_cbranch_execz .LBB255_291
.LBB255_290:
	v_sub_nc_u32_e32 v9, v38, v8
	s_delay_alu instid0(VALU_DEP_1)
	v_lshlrev_b32_e32 v9, 3, v9
	ds_store_b64 v9, v[93:94]
.LBB255_291:
	s_or_b32 exec_lo, exec_lo, s2
	s_delay_alu instid0(SALU_CYCLE_1)
	s_and_b32 s17, s0, exec_lo
                                        ; implicit-def: $vgpr79_vgpr80
                                        ; implicit-def: $vgpr75_vgpr76
                                        ; implicit-def: $vgpr81_vgpr82
                                        ; implicit-def: $vgpr85_vgpr86
                                        ; implicit-def: $vgpr67_vgpr68
                                        ; implicit-def: $vgpr71_vgpr72
                                        ; implicit-def: $vgpr77_vgpr78
                                        ; implicit-def: $vgpr83_vgpr84
                                        ; implicit-def: $vgpr87_vgpr88
                                        ; implicit-def: $vgpr69_vgpr70
                                        ; implicit-def: $vgpr73_vgpr74
                                        ; implicit-def: $vgpr89_vgpr90
                                        ; implicit-def: $vgpr91_vgpr92
                                        ; implicit-def: $vgpr93_vgpr94
                                        ; implicit-def: $vgpr114
                                        ; implicit-def: $vgpr48
                                        ; implicit-def: $vgpr50
                                        ; implicit-def: $vgpr49
                                        ; implicit-def: $vgpr47
                                        ; implicit-def: $vgpr46
                                        ; implicit-def: $vgpr45
                                        ; implicit-def: $vgpr44
                                        ; implicit-def: $vgpr43
                                        ; implicit-def: $vgpr42
                                        ; implicit-def: $vgpr41
                                        ; implicit-def: $vgpr40
                                        ; implicit-def: $vgpr39
                                        ; implicit-def: $vgpr38
	s_and_not1_saveexec_b32 s0, s16
	s_cbranch_execz .LBB255_216
.LBB255_292:
	v_sub_nc_u32_e32 v9, v114, v8
	v_sub_nc_u32_e32 v10, v48, v8
	;; [unrolled: 1-line block ×5, first 2 shown]
	v_lshlrev_b32_e32 v9, 3, v9
	v_lshlrev_b32_e32 v10, 3, v10
	;; [unrolled: 1-line block ×4, first 2 shown]
	s_or_b32 s17, s17, exec_lo
	ds_store_b64 v9, v[79:80]
	ds_store_b64 v10, v[75:76]
	;; [unrolled: 1-line block ×3, first 2 shown]
	v_sub_nc_u32_e32 v9, v47, v8
	v_sub_nc_u32_e32 v10, v46, v8
	;; [unrolled: 1-line block ×3, first 2 shown]
	ds_store_b64 v12, v[85:86]
	v_sub_nc_u32_e32 v12, v44, v8
	v_lshlrev_b32_e32 v9, 3, v9
	v_lshlrev_b32_e32 v10, 3, v10
	;; [unrolled: 1-line block ×3, first 2 shown]
	s_delay_alu instid0(VALU_DEP_4)
	v_lshlrev_b32_e32 v12, 3, v12
	ds_store_b64 v9, v[67:68]
	v_lshlrev_b32_e32 v9, 3, v13
	ds_store_b64 v10, v[71:72]
	ds_store_b64 v11, v[77:78]
	;; [unrolled: 1-line block ×3, first 2 shown]
	v_sub_nc_u32_e32 v10, v42, v8
	v_sub_nc_u32_e32 v13, v38, v8
	v_sub_nc_u32_e32 v11, v40, v8
	ds_store_b64 v9, v[87:88]
	v_sub_nc_u32_e32 v9, v41, v8
	v_lshlrev_b32_e32 v10, 3, v10
	v_sub_nc_u32_e32 v12, v39, v8
	v_lshlrev_b32_e32 v11, 3, v11
	s_delay_alu instid0(VALU_DEP_4)
	v_lshlrev_b32_e32 v9, 3, v9
	ds_store_b64 v10, v[69:70]
	v_lshlrev_b32_e32 v10, 3, v13
	v_lshlrev_b32_e32 v12, 3, v12
	ds_store_b64 v9, v[73:74]
	ds_store_b64 v11, v[89:90]
	;; [unrolled: 1-line block ×4, first 2 shown]
	s_or_b32 exec_lo, exec_lo, s0
	s_delay_alu instid0(SALU_CYCLE_1)
	s_and_b32 exec_lo, exec_lo, s17
	s_cbranch_execnz .LBB255_217
	s_branch .LBB255_218
.LBB255_293:
	v_sub_nc_u32_e32 v54, v114, v65
	v_mov_b32_e32 v55, 0
	s_delay_alu instid0(VALU_DEP_1) | instskip(NEXT) | instid1(VALU_DEP_1)
	v_lshlrev_b64 v[54:55], 3, v[54:55]
	v_add_co_u32 v54, vcc_lo, v51, v54
	s_delay_alu instid0(VALU_DEP_2)
	v_add_co_ci_u32_e32 v55, vcc_lo, v52, v55, vcc_lo
	global_store_b64 v[54:55], v[25:26], off
	s_or_b32 exec_lo, exec_lo, s18
	s_and_saveexec_b32 s18, s12
	s_cbranch_execz .LBB255_227
.LBB255_294:
	v_sub_nc_u32_e32 v54, v48, v65
	v_mov_b32_e32 v55, 0
	s_delay_alu instid0(VALU_DEP_1) | instskip(NEXT) | instid1(VALU_DEP_1)
	v_lshlrev_b64 v[54:55], 3, v[54:55]
	v_add_co_u32 v54, vcc_lo, v51, v54
	s_delay_alu instid0(VALU_DEP_2)
	v_add_co_ci_u32_e32 v55, vcc_lo, v52, v55, vcc_lo
	global_store_b64 v[54:55], v[27:28], off
	s_or_b32 exec_lo, exec_lo, s18
	s_and_saveexec_b32 s18, s10
	s_cbranch_execz .LBB255_228
.LBB255_295:
	v_sub_nc_u32_e32 v54, v50, v65
	v_mov_b32_e32 v55, 0
	s_delay_alu instid0(VALU_DEP_1) | instskip(NEXT) | instid1(VALU_DEP_1)
	v_lshlrev_b64 v[54:55], 3, v[54:55]
	v_add_co_u32 v54, vcc_lo, v51, v54
	s_delay_alu instid0(VALU_DEP_2)
	v_add_co_ci_u32_e32 v55, vcc_lo, v52, v55, vcc_lo
	global_store_b64 v[54:55], v[21:22], off
	s_or_b32 exec_lo, exec_lo, s18
	s_and_saveexec_b32 s18, s9
	s_cbranch_execz .LBB255_229
.LBB255_296:
	v_sub_nc_u32_e32 v54, v49, v65
	v_mov_b32_e32 v55, 0
	s_delay_alu instid0(VALU_DEP_1) | instskip(NEXT) | instid1(VALU_DEP_1)
	v_lshlrev_b64 v[54:55], 3, v[54:55]
	v_add_co_u32 v54, vcc_lo, v51, v54
	s_delay_alu instid0(VALU_DEP_2)
	v_add_co_ci_u32_e32 v55, vcc_lo, v52, v55, vcc_lo
	global_store_b64 v[54:55], v[23:24], off
	s_or_b32 exec_lo, exec_lo, s18
	s_and_saveexec_b32 s18, s15
	s_cbranch_execz .LBB255_230
.LBB255_297:
	v_sub_nc_u32_e32 v54, v47, v65
	v_mov_b32_e32 v55, 0
	s_delay_alu instid0(VALU_DEP_1) | instskip(NEXT) | instid1(VALU_DEP_1)
	v_lshlrev_b64 v[54:55], 3, v[54:55]
	v_add_co_u32 v54, vcc_lo, v51, v54
	s_delay_alu instid0(VALU_DEP_2)
	v_add_co_ci_u32_e32 v55, vcc_lo, v52, v55, vcc_lo
	global_store_b64 v[54:55], v[17:18], off
	s_or_b32 exec_lo, exec_lo, s18
	s_and_saveexec_b32 s18, s14
	s_cbranch_execz .LBB255_231
.LBB255_298:
	v_sub_nc_u32_e32 v54, v46, v65
	v_mov_b32_e32 v55, 0
	s_delay_alu instid0(VALU_DEP_1) | instskip(NEXT) | instid1(VALU_DEP_1)
	v_lshlrev_b64 v[54:55], 3, v[54:55]
	v_add_co_u32 v54, vcc_lo, v51, v54
	s_delay_alu instid0(VALU_DEP_2)
	v_add_co_ci_u32_e32 v55, vcc_lo, v52, v55, vcc_lo
	global_store_b64 v[54:55], v[19:20], off
	s_or_b32 exec_lo, exec_lo, s18
	s_and_saveexec_b32 s18, s11
	s_cbranch_execz .LBB255_232
.LBB255_299:
	v_sub_nc_u32_e32 v54, v45, v65
	v_mov_b32_e32 v55, 0
	s_delay_alu instid0(VALU_DEP_1) | instskip(NEXT) | instid1(VALU_DEP_1)
	v_lshlrev_b64 v[54:55], 3, v[54:55]
	v_add_co_u32 v54, vcc_lo, v51, v54
	s_delay_alu instid0(VALU_DEP_2)
	v_add_co_ci_u32_e32 v55, vcc_lo, v52, v55, vcc_lo
	global_store_b64 v[54:55], v[13:14], off
	s_or_b32 exec_lo, exec_lo, s18
	s_and_saveexec_b32 s18, s8
	s_cbranch_execz .LBB255_233
.LBB255_300:
	v_sub_nc_u32_e32 v54, v44, v65
	v_mov_b32_e32 v55, 0
	s_delay_alu instid0(VALU_DEP_1) | instskip(NEXT) | instid1(VALU_DEP_1)
	v_lshlrev_b64 v[54:55], 3, v[54:55]
	v_add_co_u32 v54, vcc_lo, v51, v54
	s_delay_alu instid0(VALU_DEP_2)
	v_add_co_ci_u32_e32 v55, vcc_lo, v52, v55, vcc_lo
	global_store_b64 v[54:55], v[15:16], off
	s_or_b32 exec_lo, exec_lo, s18
	s_and_saveexec_b32 s18, s7
	s_cbranch_execz .LBB255_234
.LBB255_301:
	v_sub_nc_u32_e32 v54, v43, v65
	v_mov_b32_e32 v55, 0
	s_delay_alu instid0(VALU_DEP_1) | instskip(NEXT) | instid1(VALU_DEP_1)
	v_lshlrev_b64 v[54:55], 3, v[54:55]
	v_add_co_u32 v54, vcc_lo, v51, v54
	s_delay_alu instid0(VALU_DEP_2)
	v_add_co_ci_u32_e32 v55, vcc_lo, v52, v55, vcc_lo
	global_store_b64 v[54:55], v[9:10], off
	s_or_b32 exec_lo, exec_lo, s18
	s_and_saveexec_b32 s18, s6
	s_cbranch_execz .LBB255_235
.LBB255_302:
	v_sub_nc_u32_e32 v54, v42, v65
	v_mov_b32_e32 v55, 0
	s_delay_alu instid0(VALU_DEP_1) | instskip(NEXT) | instid1(VALU_DEP_1)
	v_lshlrev_b64 v[54:55], 3, v[54:55]
	v_add_co_u32 v54, vcc_lo, v51, v54
	s_delay_alu instid0(VALU_DEP_2)
	v_add_co_ci_u32_e32 v55, vcc_lo, v52, v55, vcc_lo
	global_store_b64 v[54:55], v[11:12], off
	s_or_b32 exec_lo, exec_lo, s18
	s_and_saveexec_b32 s18, s5
	s_cbranch_execz .LBB255_236
.LBB255_303:
	v_sub_nc_u32_e32 v54, v41, v65
	v_mov_b32_e32 v55, 0
	s_delay_alu instid0(VALU_DEP_1) | instskip(NEXT) | instid1(VALU_DEP_1)
	v_lshlrev_b64 v[54:55], 3, v[54:55]
	v_add_co_u32 v54, vcc_lo, v51, v54
	s_delay_alu instid0(VALU_DEP_2)
	v_add_co_ci_u32_e32 v55, vcc_lo, v52, v55, vcc_lo
	global_store_b64 v[54:55], v[5:6], off
	s_or_b32 exec_lo, exec_lo, s18
	s_and_saveexec_b32 s18, s4
	s_cbranch_execz .LBB255_237
.LBB255_304:
	v_sub_nc_u32_e32 v54, v40, v65
	v_mov_b32_e32 v55, 0
	s_delay_alu instid0(VALU_DEP_1) | instskip(NEXT) | instid1(VALU_DEP_1)
	v_lshlrev_b64 v[54:55], 3, v[54:55]
	v_add_co_u32 v54, vcc_lo, v51, v54
	s_delay_alu instid0(VALU_DEP_2)
	v_add_co_ci_u32_e32 v55, vcc_lo, v52, v55, vcc_lo
	global_store_b64 v[54:55], v[7:8], off
	s_or_b32 exec_lo, exec_lo, s18
	s_and_saveexec_b32 s18, s3
	s_cbranch_execz .LBB255_238
.LBB255_305:
	v_sub_nc_u32_e32 v54, v39, v65
	v_mov_b32_e32 v55, 0
	s_delay_alu instid0(VALU_DEP_1) | instskip(NEXT) | instid1(VALU_DEP_1)
	v_lshlrev_b64 v[54:55], 3, v[54:55]
	v_add_co_u32 v54, vcc_lo, v51, v54
	s_delay_alu instid0(VALU_DEP_2)
	v_add_co_ci_u32_e32 v55, vcc_lo, v52, v55, vcc_lo
	global_store_b64 v[54:55], v[1:2], off
	s_or_b32 exec_lo, exec_lo, s18
	s_and_saveexec_b32 s18, s1
	s_cbranch_execnz .LBB255_239
	s_branch .LBB255_240
.LBB255_306:
	v_sub_nc_u32_e32 v53, v114, v65
	s_delay_alu instid0(VALU_DEP_1)
	v_lshlrev_b32_e32 v53, 3, v53
	ds_store_b64 v53, v[25:26]
	s_or_b32 exec_lo, exec_lo, s18
	s_and_saveexec_b32 s13, s12
	s_cbranch_execz .LBB255_244
.LBB255_307:
	v_sub_nc_u32_e32 v25, v48, v65
	s_delay_alu instid0(VALU_DEP_1)
	v_lshlrev_b32_e32 v25, 3, v25
	ds_store_b64 v25, v[27:28]
	s_or_b32 exec_lo, exec_lo, s13
	s_and_saveexec_b32 s12, s10
	s_cbranch_execz .LBB255_245
.LBB255_308:
	v_sub_nc_u32_e32 v25, v50, v65
	s_delay_alu instid0(VALU_DEP_1)
	v_lshlrev_b32_e32 v25, 3, v25
	ds_store_b64 v25, v[21:22]
	s_or_b32 exec_lo, exec_lo, s12
	s_and_saveexec_b32 s10, s9
	s_cbranch_execz .LBB255_246
.LBB255_309:
	v_sub_nc_u32_e32 v21, v49, v65
	s_delay_alu instid0(VALU_DEP_1)
	v_lshlrev_b32_e32 v21, 3, v21
	ds_store_b64 v21, v[23:24]
	s_or_b32 exec_lo, exec_lo, s10
	s_and_saveexec_b32 s9, s15
	s_cbranch_execz .LBB255_247
.LBB255_310:
	v_sub_nc_u32_e32 v21, v47, v65
	s_delay_alu instid0(VALU_DEP_1)
	v_lshlrev_b32_e32 v21, 3, v21
	ds_store_b64 v21, v[17:18]
	s_or_b32 exec_lo, exec_lo, s9
	s_and_saveexec_b32 s9, s14
	s_cbranch_execz .LBB255_248
.LBB255_311:
	v_sub_nc_u32_e32 v17, v46, v65
	s_delay_alu instid0(VALU_DEP_1)
	v_lshlrev_b32_e32 v17, 3, v17
	ds_store_b64 v17, v[19:20]
	s_or_b32 exec_lo, exec_lo, s9
	s_and_saveexec_b32 s9, s11
	s_cbranch_execz .LBB255_249
.LBB255_312:
	v_sub_nc_u32_e32 v17, v45, v65
	s_delay_alu instid0(VALU_DEP_1)
	v_lshlrev_b32_e32 v17, 3, v17
	ds_store_b64 v17, v[13:14]
	s_or_b32 exec_lo, exec_lo, s9
	s_and_saveexec_b32 s9, s8
	s_cbranch_execz .LBB255_250
.LBB255_313:
	v_sub_nc_u32_e32 v13, v44, v65
	s_delay_alu instid0(VALU_DEP_1)
	v_lshlrev_b32_e32 v13, 3, v13
	ds_store_b64 v13, v[15:16]
	s_or_b32 exec_lo, exec_lo, s9
	s_and_saveexec_b32 s8, s7
	s_cbranch_execz .LBB255_251
.LBB255_314:
	v_sub_nc_u32_e32 v13, v43, v65
	s_delay_alu instid0(VALU_DEP_1)
	v_lshlrev_b32_e32 v13, 3, v13
	ds_store_b64 v13, v[9:10]
	s_or_b32 exec_lo, exec_lo, s8
	s_and_saveexec_b32 s7, s6
	s_cbranch_execz .LBB255_252
.LBB255_315:
	v_sub_nc_u32_e32 v9, v42, v65
	s_delay_alu instid0(VALU_DEP_1)
	v_lshlrev_b32_e32 v9, 3, v9
	ds_store_b64 v9, v[11:12]
	s_or_b32 exec_lo, exec_lo, s7
	s_and_saveexec_b32 s6, s5
	s_cbranch_execz .LBB255_253
.LBB255_316:
	v_sub_nc_u32_e32 v9, v41, v65
	s_delay_alu instid0(VALU_DEP_1)
	v_lshlrev_b32_e32 v9, 3, v9
	ds_store_b64 v9, v[5:6]
	s_or_b32 exec_lo, exec_lo, s6
	s_and_saveexec_b32 s5, s4
	s_cbranch_execz .LBB255_254
.LBB255_317:
	v_sub_nc_u32_e32 v5, v40, v65
	s_delay_alu instid0(VALU_DEP_1)
	v_lshlrev_b32_e32 v5, 3, v5
	ds_store_b64 v5, v[7:8]
	s_or_b32 exec_lo, exec_lo, s5
	s_and_saveexec_b32 s4, s3
	s_cbranch_execz .LBB255_255
.LBB255_318:
	v_sub_nc_u32_e32 v5, v39, v65
	s_delay_alu instid0(VALU_DEP_1)
	v_lshlrev_b32_e32 v5, 3, v5
	ds_store_b64 v5, v[1:2]
	s_or_b32 exec_lo, exec_lo, s4
	s_and_saveexec_b32 s3, s1
	s_cbranch_execnz .LBB255_256
	s_branch .LBB255_257
.LBB255_319:
	v_sub_nc_u32_e32 v10, v114, v8
	v_mov_b32_e32 v11, 0
	s_delay_alu instid0(VALU_DEP_1) | instskip(NEXT) | instid1(VALU_DEP_1)
	v_lshlrev_b64 v[10:11], 3, v[10:11]
	v_add_co_u32 v10, vcc_lo, v6, v10
	s_delay_alu instid0(VALU_DEP_2)
	v_add_co_ci_u32_e32 v11, vcc_lo, v7, v11, vcc_lo
	global_store_b64 v[10:11], v[79:80], off
	s_or_b32 exec_lo, exec_lo, s17
	s_and_saveexec_b32 s17, s13
	s_cbranch_execz .LBB255_261
.LBB255_320:
	v_sub_nc_u32_e32 v10, v48, v8
	v_mov_b32_e32 v11, 0
	s_delay_alu instid0(VALU_DEP_1) | instskip(NEXT) | instid1(VALU_DEP_1)
	v_lshlrev_b64 v[10:11], 3, v[10:11]
	v_add_co_u32 v10, vcc_lo, v6, v10
	s_delay_alu instid0(VALU_DEP_2)
	v_add_co_ci_u32_e32 v11, vcc_lo, v7, v11, vcc_lo
	global_store_b64 v[10:11], v[75:76], off
	s_or_b32 exec_lo, exec_lo, s17
	s_and_saveexec_b32 s17, s12
	s_cbranch_execz .LBB255_262
.LBB255_321:
	v_sub_nc_u32_e32 v10, v50, v8
	v_mov_b32_e32 v11, 0
	s_delay_alu instid0(VALU_DEP_1) | instskip(NEXT) | instid1(VALU_DEP_1)
	v_lshlrev_b64 v[10:11], 3, v[10:11]
	v_add_co_u32 v10, vcc_lo, v6, v10
	s_delay_alu instid0(VALU_DEP_2)
	v_add_co_ci_u32_e32 v11, vcc_lo, v7, v11, vcc_lo
	global_store_b64 v[10:11], v[81:82], off
	s_or_b32 exec_lo, exec_lo, s17
	s_and_saveexec_b32 s17, s11
	s_cbranch_execz .LBB255_263
.LBB255_322:
	v_sub_nc_u32_e32 v10, v49, v8
	v_mov_b32_e32 v11, 0
	s_delay_alu instid0(VALU_DEP_1) | instskip(NEXT) | instid1(VALU_DEP_1)
	v_lshlrev_b64 v[10:11], 3, v[10:11]
	v_add_co_u32 v10, vcc_lo, v6, v10
	s_delay_alu instid0(VALU_DEP_2)
	v_add_co_ci_u32_e32 v11, vcc_lo, v7, v11, vcc_lo
	global_store_b64 v[10:11], v[85:86], off
	s_or_b32 exec_lo, exec_lo, s17
	s_and_saveexec_b32 s17, s10
	s_cbranch_execz .LBB255_264
.LBB255_323:
	v_sub_nc_u32_e32 v10, v47, v8
	v_mov_b32_e32 v11, 0
	s_delay_alu instid0(VALU_DEP_1) | instskip(NEXT) | instid1(VALU_DEP_1)
	v_lshlrev_b64 v[10:11], 3, v[10:11]
	v_add_co_u32 v10, vcc_lo, v6, v10
	s_delay_alu instid0(VALU_DEP_2)
	v_add_co_ci_u32_e32 v11, vcc_lo, v7, v11, vcc_lo
	global_store_b64 v[10:11], v[67:68], off
	s_or_b32 exec_lo, exec_lo, s17
	s_and_saveexec_b32 s17, s9
	s_cbranch_execz .LBB255_265
.LBB255_324:
	v_sub_nc_u32_e32 v10, v46, v8
	v_mov_b32_e32 v11, 0
	s_delay_alu instid0(VALU_DEP_1) | instskip(NEXT) | instid1(VALU_DEP_1)
	v_lshlrev_b64 v[10:11], 3, v[10:11]
	v_add_co_u32 v10, vcc_lo, v6, v10
	s_delay_alu instid0(VALU_DEP_2)
	v_add_co_ci_u32_e32 v11, vcc_lo, v7, v11, vcc_lo
	global_store_b64 v[10:11], v[71:72], off
	s_or_b32 exec_lo, exec_lo, s17
	s_and_saveexec_b32 s17, s8
	s_cbranch_execz .LBB255_266
.LBB255_325:
	v_sub_nc_u32_e32 v10, v45, v8
	v_mov_b32_e32 v11, 0
	s_delay_alu instid0(VALU_DEP_1) | instskip(NEXT) | instid1(VALU_DEP_1)
	v_lshlrev_b64 v[10:11], 3, v[10:11]
	v_add_co_u32 v10, vcc_lo, v6, v10
	s_delay_alu instid0(VALU_DEP_2)
	v_add_co_ci_u32_e32 v11, vcc_lo, v7, v11, vcc_lo
	global_store_b64 v[10:11], v[77:78], off
	s_or_b32 exec_lo, exec_lo, s17
	s_and_saveexec_b32 s17, s7
	s_cbranch_execz .LBB255_267
.LBB255_326:
	v_sub_nc_u32_e32 v10, v44, v8
	v_mov_b32_e32 v11, 0
	s_delay_alu instid0(VALU_DEP_1) | instskip(NEXT) | instid1(VALU_DEP_1)
	v_lshlrev_b64 v[10:11], 3, v[10:11]
	v_add_co_u32 v10, vcc_lo, v6, v10
	s_delay_alu instid0(VALU_DEP_2)
	v_add_co_ci_u32_e32 v11, vcc_lo, v7, v11, vcc_lo
	global_store_b64 v[10:11], v[83:84], off
	s_or_b32 exec_lo, exec_lo, s17
	s_and_saveexec_b32 s17, s6
	s_cbranch_execz .LBB255_268
.LBB255_327:
	v_sub_nc_u32_e32 v10, v43, v8
	v_mov_b32_e32 v11, 0
	s_delay_alu instid0(VALU_DEP_1) | instskip(NEXT) | instid1(VALU_DEP_1)
	v_lshlrev_b64 v[10:11], 3, v[10:11]
	v_add_co_u32 v10, vcc_lo, v6, v10
	s_delay_alu instid0(VALU_DEP_2)
	v_add_co_ci_u32_e32 v11, vcc_lo, v7, v11, vcc_lo
	global_store_b64 v[10:11], v[87:88], off
	s_or_b32 exec_lo, exec_lo, s17
	s_and_saveexec_b32 s17, s5
	s_cbranch_execz .LBB255_269
.LBB255_328:
	v_sub_nc_u32_e32 v10, v42, v8
	v_mov_b32_e32 v11, 0
	s_delay_alu instid0(VALU_DEP_1) | instskip(NEXT) | instid1(VALU_DEP_1)
	v_lshlrev_b64 v[10:11], 3, v[10:11]
	v_add_co_u32 v10, vcc_lo, v6, v10
	s_delay_alu instid0(VALU_DEP_2)
	v_add_co_ci_u32_e32 v11, vcc_lo, v7, v11, vcc_lo
	global_store_b64 v[10:11], v[69:70], off
	s_or_b32 exec_lo, exec_lo, s17
	s_and_saveexec_b32 s17, s4
	s_cbranch_execz .LBB255_270
.LBB255_329:
	v_sub_nc_u32_e32 v10, v41, v8
	v_mov_b32_e32 v11, 0
	s_delay_alu instid0(VALU_DEP_1) | instskip(NEXT) | instid1(VALU_DEP_1)
	v_lshlrev_b64 v[10:11], 3, v[10:11]
	v_add_co_u32 v10, vcc_lo, v6, v10
	s_delay_alu instid0(VALU_DEP_2)
	v_add_co_ci_u32_e32 v11, vcc_lo, v7, v11, vcc_lo
	global_store_b64 v[10:11], v[73:74], off
	s_or_b32 exec_lo, exec_lo, s17
	s_and_saveexec_b32 s17, s3
	s_cbranch_execz .LBB255_271
.LBB255_330:
	v_sub_nc_u32_e32 v10, v40, v8
	v_mov_b32_e32 v11, 0
	s_delay_alu instid0(VALU_DEP_1) | instskip(NEXT) | instid1(VALU_DEP_1)
	v_lshlrev_b64 v[10:11], 3, v[10:11]
	v_add_co_u32 v10, vcc_lo, v6, v10
	s_delay_alu instid0(VALU_DEP_2)
	v_add_co_ci_u32_e32 v11, vcc_lo, v7, v11, vcc_lo
	global_store_b64 v[10:11], v[89:90], off
	s_or_b32 exec_lo, exec_lo, s17
	s_and_saveexec_b32 s17, s2
	s_cbranch_execz .LBB255_272
.LBB255_331:
	v_sub_nc_u32_e32 v10, v39, v8
	v_mov_b32_e32 v11, 0
	s_delay_alu instid0(VALU_DEP_1) | instskip(NEXT) | instid1(VALU_DEP_1)
	v_lshlrev_b64 v[10:11], 3, v[10:11]
	v_add_co_u32 v10, vcc_lo, v6, v10
	s_delay_alu instid0(VALU_DEP_2)
	v_add_co_ci_u32_e32 v11, vcc_lo, v7, v11, vcc_lo
	global_store_b64 v[10:11], v[91:92], off
	s_or_b32 exec_lo, exec_lo, s17
	s_and_saveexec_b32 s17, s1
	s_cbranch_execnz .LBB255_273
	s_branch .LBB255_274
.LBB255_332:
	v_sub_nc_u32_e32 v9, v114, v8
	s_delay_alu instid0(VALU_DEP_1)
	v_lshlrev_b32_e32 v9, 3, v9
	ds_store_b64 v9, v[79:80]
	s_or_b32 exec_lo, exec_lo, s17
	s_and_saveexec_b32 s14, s13
	s_cbranch_execz .LBB255_278
.LBB255_333:
	v_sub_nc_u32_e32 v9, v48, v8
	s_delay_alu instid0(VALU_DEP_1)
	v_lshlrev_b32_e32 v9, 3, v9
	ds_store_b64 v9, v[75:76]
	s_or_b32 exec_lo, exec_lo, s14
	s_and_saveexec_b32 s13, s12
	s_cbranch_execz .LBB255_279
.LBB255_334:
	v_sub_nc_u32_e32 v9, v50, v8
	s_delay_alu instid0(VALU_DEP_1)
	v_lshlrev_b32_e32 v9, 3, v9
	ds_store_b64 v9, v[81:82]
	s_or_b32 exec_lo, exec_lo, s13
	s_and_saveexec_b32 s12, s11
	s_cbranch_execz .LBB255_280
.LBB255_335:
	v_sub_nc_u32_e32 v9, v49, v8
	s_delay_alu instid0(VALU_DEP_1)
	v_lshlrev_b32_e32 v9, 3, v9
	ds_store_b64 v9, v[85:86]
	s_or_b32 exec_lo, exec_lo, s12
	s_and_saveexec_b32 s11, s10
	s_cbranch_execz .LBB255_281
.LBB255_336:
	v_sub_nc_u32_e32 v9, v47, v8
	s_delay_alu instid0(VALU_DEP_1)
	v_lshlrev_b32_e32 v9, 3, v9
	ds_store_b64 v9, v[67:68]
	s_or_b32 exec_lo, exec_lo, s11
	s_and_saveexec_b32 s10, s9
	s_cbranch_execz .LBB255_282
.LBB255_337:
	v_sub_nc_u32_e32 v9, v46, v8
	s_delay_alu instid0(VALU_DEP_1)
	v_lshlrev_b32_e32 v9, 3, v9
	ds_store_b64 v9, v[71:72]
	s_or_b32 exec_lo, exec_lo, s10
	s_and_saveexec_b32 s9, s8
	s_cbranch_execz .LBB255_283
.LBB255_338:
	v_sub_nc_u32_e32 v9, v45, v8
	s_delay_alu instid0(VALU_DEP_1)
	v_lshlrev_b32_e32 v9, 3, v9
	ds_store_b64 v9, v[77:78]
	s_or_b32 exec_lo, exec_lo, s9
	s_and_saveexec_b32 s8, s7
	s_cbranch_execz .LBB255_284
.LBB255_339:
	v_sub_nc_u32_e32 v9, v44, v8
	s_delay_alu instid0(VALU_DEP_1)
	v_lshlrev_b32_e32 v9, 3, v9
	ds_store_b64 v9, v[83:84]
	s_or_b32 exec_lo, exec_lo, s8
	s_and_saveexec_b32 s7, s6
	s_cbranch_execz .LBB255_285
.LBB255_340:
	v_sub_nc_u32_e32 v9, v43, v8
	s_delay_alu instid0(VALU_DEP_1)
	v_lshlrev_b32_e32 v9, 3, v9
	ds_store_b64 v9, v[87:88]
	s_or_b32 exec_lo, exec_lo, s7
	s_and_saveexec_b32 s6, s5
	s_cbranch_execz .LBB255_286
.LBB255_341:
	v_sub_nc_u32_e32 v9, v42, v8
	s_delay_alu instid0(VALU_DEP_1)
	v_lshlrev_b32_e32 v9, 3, v9
	ds_store_b64 v9, v[69:70]
	s_or_b32 exec_lo, exec_lo, s6
	s_and_saveexec_b32 s5, s4
	s_cbranch_execz .LBB255_287
.LBB255_342:
	v_sub_nc_u32_e32 v9, v41, v8
	s_delay_alu instid0(VALU_DEP_1)
	v_lshlrev_b32_e32 v9, 3, v9
	ds_store_b64 v9, v[73:74]
	s_or_b32 exec_lo, exec_lo, s5
	s_and_saveexec_b32 s4, s3
	s_cbranch_execz .LBB255_288
.LBB255_343:
	v_sub_nc_u32_e32 v9, v40, v8
	s_delay_alu instid0(VALU_DEP_1)
	v_lshlrev_b32_e32 v9, 3, v9
	ds_store_b64 v9, v[89:90]
	s_or_b32 exec_lo, exec_lo, s4
	s_and_saveexec_b32 s3, s2
	s_cbranch_execz .LBB255_289
.LBB255_344:
	v_sub_nc_u32_e32 v9, v39, v8
	s_delay_alu instid0(VALU_DEP_1)
	v_lshlrev_b32_e32 v9, 3, v9
	ds_store_b64 v9, v[91:92]
	s_or_b32 exec_lo, exec_lo, s3
	s_and_saveexec_b32 s2, s1
	s_cbranch_execnz .LBB255_290
	s_branch .LBB255_291
	.section	.rodata,"a",@progbits
	.p2align	6, 0x0
	.amdhsa_kernel _ZN7rocprim17ROCPRIM_400000_NS6detail17trampoline_kernelINS0_14default_configENS1_29reduce_by_key_config_selectorIyyN6thrust23THRUST_200600_302600_NS4plusIyEEEEZZNS1_33reduce_by_key_impl_wrapped_configILNS1_25lookback_scan_determinismE0ES3_S9_NS6_6detail15normal_iteratorINS6_10device_ptrIyEEEESG_SG_SG_PmS8_NS6_8equal_toIyEEEE10hipError_tPvRmT2_T3_mT4_T5_T6_T7_T8_P12ihipStream_tbENKUlT_T0_E_clISt17integral_constantIbLb1EES11_EEDaSW_SX_EUlSW_E_NS1_11comp_targetILNS1_3genE9ELNS1_11target_archE1100ELNS1_3gpuE3ELNS1_3repE0EEENS1_30default_config_static_selectorELNS0_4arch9wavefront6targetE0EEEvT1_
		.amdhsa_group_segment_fixed_size 30720
		.amdhsa_private_segment_fixed_size 0
		.amdhsa_kernarg_size 136
		.amdhsa_user_sgpr_count 15
		.amdhsa_user_sgpr_dispatch_ptr 0
		.amdhsa_user_sgpr_queue_ptr 0
		.amdhsa_user_sgpr_kernarg_segment_ptr 1
		.amdhsa_user_sgpr_dispatch_id 0
		.amdhsa_user_sgpr_private_segment_size 0
		.amdhsa_wavefront_size32 1
		.amdhsa_uses_dynamic_stack 0
		.amdhsa_enable_private_segment 0
		.amdhsa_system_sgpr_workgroup_id_x 1
		.amdhsa_system_sgpr_workgroup_id_y 0
		.amdhsa_system_sgpr_workgroup_id_z 0
		.amdhsa_system_sgpr_workgroup_info 0
		.amdhsa_system_vgpr_workitem_id 0
		.amdhsa_next_free_vgpr 121
		.amdhsa_next_free_sgpr 53
		.amdhsa_reserve_vcc 1
		.amdhsa_float_round_mode_32 0
		.amdhsa_float_round_mode_16_64 0
		.amdhsa_float_denorm_mode_32 3
		.amdhsa_float_denorm_mode_16_64 3
		.amdhsa_dx10_clamp 1
		.amdhsa_ieee_mode 1
		.amdhsa_fp16_overflow 0
		.amdhsa_workgroup_processor_mode 1
		.amdhsa_memory_ordered 1
		.amdhsa_forward_progress 0
		.amdhsa_shared_vgpr_count 0
		.amdhsa_exception_fp_ieee_invalid_op 0
		.amdhsa_exception_fp_denorm_src 0
		.amdhsa_exception_fp_ieee_div_zero 0
		.amdhsa_exception_fp_ieee_overflow 0
		.amdhsa_exception_fp_ieee_underflow 0
		.amdhsa_exception_fp_ieee_inexact 0
		.amdhsa_exception_int_div_zero 0
	.end_amdhsa_kernel
	.section	.text._ZN7rocprim17ROCPRIM_400000_NS6detail17trampoline_kernelINS0_14default_configENS1_29reduce_by_key_config_selectorIyyN6thrust23THRUST_200600_302600_NS4plusIyEEEEZZNS1_33reduce_by_key_impl_wrapped_configILNS1_25lookback_scan_determinismE0ES3_S9_NS6_6detail15normal_iteratorINS6_10device_ptrIyEEEESG_SG_SG_PmS8_NS6_8equal_toIyEEEE10hipError_tPvRmT2_T3_mT4_T5_T6_T7_T8_P12ihipStream_tbENKUlT_T0_E_clISt17integral_constantIbLb1EES11_EEDaSW_SX_EUlSW_E_NS1_11comp_targetILNS1_3genE9ELNS1_11target_archE1100ELNS1_3gpuE3ELNS1_3repE0EEENS1_30default_config_static_selectorELNS0_4arch9wavefront6targetE0EEEvT1_,"axG",@progbits,_ZN7rocprim17ROCPRIM_400000_NS6detail17trampoline_kernelINS0_14default_configENS1_29reduce_by_key_config_selectorIyyN6thrust23THRUST_200600_302600_NS4plusIyEEEEZZNS1_33reduce_by_key_impl_wrapped_configILNS1_25lookback_scan_determinismE0ES3_S9_NS6_6detail15normal_iteratorINS6_10device_ptrIyEEEESG_SG_SG_PmS8_NS6_8equal_toIyEEEE10hipError_tPvRmT2_T3_mT4_T5_T6_T7_T8_P12ihipStream_tbENKUlT_T0_E_clISt17integral_constantIbLb1EES11_EEDaSW_SX_EUlSW_E_NS1_11comp_targetILNS1_3genE9ELNS1_11target_archE1100ELNS1_3gpuE3ELNS1_3repE0EEENS1_30default_config_static_selectorELNS0_4arch9wavefront6targetE0EEEvT1_,comdat
.Lfunc_end255:
	.size	_ZN7rocprim17ROCPRIM_400000_NS6detail17trampoline_kernelINS0_14default_configENS1_29reduce_by_key_config_selectorIyyN6thrust23THRUST_200600_302600_NS4plusIyEEEEZZNS1_33reduce_by_key_impl_wrapped_configILNS1_25lookback_scan_determinismE0ES3_S9_NS6_6detail15normal_iteratorINS6_10device_ptrIyEEEESG_SG_SG_PmS8_NS6_8equal_toIyEEEE10hipError_tPvRmT2_T3_mT4_T5_T6_T7_T8_P12ihipStream_tbENKUlT_T0_E_clISt17integral_constantIbLb1EES11_EEDaSW_SX_EUlSW_E_NS1_11comp_targetILNS1_3genE9ELNS1_11target_archE1100ELNS1_3gpuE3ELNS1_3repE0EEENS1_30default_config_static_selectorELNS0_4arch9wavefront6targetE0EEEvT1_, .Lfunc_end255-_ZN7rocprim17ROCPRIM_400000_NS6detail17trampoline_kernelINS0_14default_configENS1_29reduce_by_key_config_selectorIyyN6thrust23THRUST_200600_302600_NS4plusIyEEEEZZNS1_33reduce_by_key_impl_wrapped_configILNS1_25lookback_scan_determinismE0ES3_S9_NS6_6detail15normal_iteratorINS6_10device_ptrIyEEEESG_SG_SG_PmS8_NS6_8equal_toIyEEEE10hipError_tPvRmT2_T3_mT4_T5_T6_T7_T8_P12ihipStream_tbENKUlT_T0_E_clISt17integral_constantIbLb1EES11_EEDaSW_SX_EUlSW_E_NS1_11comp_targetILNS1_3genE9ELNS1_11target_archE1100ELNS1_3gpuE3ELNS1_3repE0EEENS1_30default_config_static_selectorELNS0_4arch9wavefront6targetE0EEEvT1_
                                        ; -- End function
	.section	.AMDGPU.csdata,"",@progbits
; Kernel info:
; codeLenInByte = 19288
; NumSgprs: 55
; NumVgprs: 121
; ScratchSize: 0
; MemoryBound: 0
; FloatMode: 240
; IeeeMode: 1
; LDSByteSize: 30720 bytes/workgroup (compile time only)
; SGPRBlocks: 6
; VGPRBlocks: 15
; NumSGPRsForWavesPerEU: 55
; NumVGPRsForWavesPerEU: 121
; Occupancy: 8
; WaveLimiterHint : 1
; COMPUTE_PGM_RSRC2:SCRATCH_EN: 0
; COMPUTE_PGM_RSRC2:USER_SGPR: 15
; COMPUTE_PGM_RSRC2:TRAP_HANDLER: 0
; COMPUTE_PGM_RSRC2:TGID_X_EN: 1
; COMPUTE_PGM_RSRC2:TGID_Y_EN: 0
; COMPUTE_PGM_RSRC2:TGID_Z_EN: 0
; COMPUTE_PGM_RSRC2:TIDIG_COMP_CNT: 0
	.section	.text._ZN7rocprim17ROCPRIM_400000_NS6detail17trampoline_kernelINS0_14default_configENS1_29reduce_by_key_config_selectorIyyN6thrust23THRUST_200600_302600_NS4plusIyEEEEZZNS1_33reduce_by_key_impl_wrapped_configILNS1_25lookback_scan_determinismE0ES3_S9_NS6_6detail15normal_iteratorINS6_10device_ptrIyEEEESG_SG_SG_PmS8_NS6_8equal_toIyEEEE10hipError_tPvRmT2_T3_mT4_T5_T6_T7_T8_P12ihipStream_tbENKUlT_T0_E_clISt17integral_constantIbLb1EES11_EEDaSW_SX_EUlSW_E_NS1_11comp_targetILNS1_3genE8ELNS1_11target_archE1030ELNS1_3gpuE2ELNS1_3repE0EEENS1_30default_config_static_selectorELNS0_4arch9wavefront6targetE0EEEvT1_,"axG",@progbits,_ZN7rocprim17ROCPRIM_400000_NS6detail17trampoline_kernelINS0_14default_configENS1_29reduce_by_key_config_selectorIyyN6thrust23THRUST_200600_302600_NS4plusIyEEEEZZNS1_33reduce_by_key_impl_wrapped_configILNS1_25lookback_scan_determinismE0ES3_S9_NS6_6detail15normal_iteratorINS6_10device_ptrIyEEEESG_SG_SG_PmS8_NS6_8equal_toIyEEEE10hipError_tPvRmT2_T3_mT4_T5_T6_T7_T8_P12ihipStream_tbENKUlT_T0_E_clISt17integral_constantIbLb1EES11_EEDaSW_SX_EUlSW_E_NS1_11comp_targetILNS1_3genE8ELNS1_11target_archE1030ELNS1_3gpuE2ELNS1_3repE0EEENS1_30default_config_static_selectorELNS0_4arch9wavefront6targetE0EEEvT1_,comdat
	.protected	_ZN7rocprim17ROCPRIM_400000_NS6detail17trampoline_kernelINS0_14default_configENS1_29reduce_by_key_config_selectorIyyN6thrust23THRUST_200600_302600_NS4plusIyEEEEZZNS1_33reduce_by_key_impl_wrapped_configILNS1_25lookback_scan_determinismE0ES3_S9_NS6_6detail15normal_iteratorINS6_10device_ptrIyEEEESG_SG_SG_PmS8_NS6_8equal_toIyEEEE10hipError_tPvRmT2_T3_mT4_T5_T6_T7_T8_P12ihipStream_tbENKUlT_T0_E_clISt17integral_constantIbLb1EES11_EEDaSW_SX_EUlSW_E_NS1_11comp_targetILNS1_3genE8ELNS1_11target_archE1030ELNS1_3gpuE2ELNS1_3repE0EEENS1_30default_config_static_selectorELNS0_4arch9wavefront6targetE0EEEvT1_ ; -- Begin function _ZN7rocprim17ROCPRIM_400000_NS6detail17trampoline_kernelINS0_14default_configENS1_29reduce_by_key_config_selectorIyyN6thrust23THRUST_200600_302600_NS4plusIyEEEEZZNS1_33reduce_by_key_impl_wrapped_configILNS1_25lookback_scan_determinismE0ES3_S9_NS6_6detail15normal_iteratorINS6_10device_ptrIyEEEESG_SG_SG_PmS8_NS6_8equal_toIyEEEE10hipError_tPvRmT2_T3_mT4_T5_T6_T7_T8_P12ihipStream_tbENKUlT_T0_E_clISt17integral_constantIbLb1EES11_EEDaSW_SX_EUlSW_E_NS1_11comp_targetILNS1_3genE8ELNS1_11target_archE1030ELNS1_3gpuE2ELNS1_3repE0EEENS1_30default_config_static_selectorELNS0_4arch9wavefront6targetE0EEEvT1_
	.globl	_ZN7rocprim17ROCPRIM_400000_NS6detail17trampoline_kernelINS0_14default_configENS1_29reduce_by_key_config_selectorIyyN6thrust23THRUST_200600_302600_NS4plusIyEEEEZZNS1_33reduce_by_key_impl_wrapped_configILNS1_25lookback_scan_determinismE0ES3_S9_NS6_6detail15normal_iteratorINS6_10device_ptrIyEEEESG_SG_SG_PmS8_NS6_8equal_toIyEEEE10hipError_tPvRmT2_T3_mT4_T5_T6_T7_T8_P12ihipStream_tbENKUlT_T0_E_clISt17integral_constantIbLb1EES11_EEDaSW_SX_EUlSW_E_NS1_11comp_targetILNS1_3genE8ELNS1_11target_archE1030ELNS1_3gpuE2ELNS1_3repE0EEENS1_30default_config_static_selectorELNS0_4arch9wavefront6targetE0EEEvT1_
	.p2align	8
	.type	_ZN7rocprim17ROCPRIM_400000_NS6detail17trampoline_kernelINS0_14default_configENS1_29reduce_by_key_config_selectorIyyN6thrust23THRUST_200600_302600_NS4plusIyEEEEZZNS1_33reduce_by_key_impl_wrapped_configILNS1_25lookback_scan_determinismE0ES3_S9_NS6_6detail15normal_iteratorINS6_10device_ptrIyEEEESG_SG_SG_PmS8_NS6_8equal_toIyEEEE10hipError_tPvRmT2_T3_mT4_T5_T6_T7_T8_P12ihipStream_tbENKUlT_T0_E_clISt17integral_constantIbLb1EES11_EEDaSW_SX_EUlSW_E_NS1_11comp_targetILNS1_3genE8ELNS1_11target_archE1030ELNS1_3gpuE2ELNS1_3repE0EEENS1_30default_config_static_selectorELNS0_4arch9wavefront6targetE0EEEvT1_,@function
_ZN7rocprim17ROCPRIM_400000_NS6detail17trampoline_kernelINS0_14default_configENS1_29reduce_by_key_config_selectorIyyN6thrust23THRUST_200600_302600_NS4plusIyEEEEZZNS1_33reduce_by_key_impl_wrapped_configILNS1_25lookback_scan_determinismE0ES3_S9_NS6_6detail15normal_iteratorINS6_10device_ptrIyEEEESG_SG_SG_PmS8_NS6_8equal_toIyEEEE10hipError_tPvRmT2_T3_mT4_T5_T6_T7_T8_P12ihipStream_tbENKUlT_T0_E_clISt17integral_constantIbLb1EES11_EEDaSW_SX_EUlSW_E_NS1_11comp_targetILNS1_3genE8ELNS1_11target_archE1030ELNS1_3gpuE2ELNS1_3repE0EEENS1_30default_config_static_selectorELNS0_4arch9wavefront6targetE0EEEvT1_: ; @_ZN7rocprim17ROCPRIM_400000_NS6detail17trampoline_kernelINS0_14default_configENS1_29reduce_by_key_config_selectorIyyN6thrust23THRUST_200600_302600_NS4plusIyEEEEZZNS1_33reduce_by_key_impl_wrapped_configILNS1_25lookback_scan_determinismE0ES3_S9_NS6_6detail15normal_iteratorINS6_10device_ptrIyEEEESG_SG_SG_PmS8_NS6_8equal_toIyEEEE10hipError_tPvRmT2_T3_mT4_T5_T6_T7_T8_P12ihipStream_tbENKUlT_T0_E_clISt17integral_constantIbLb1EES11_EEDaSW_SX_EUlSW_E_NS1_11comp_targetILNS1_3genE8ELNS1_11target_archE1030ELNS1_3gpuE2ELNS1_3repE0EEENS1_30default_config_static_selectorELNS0_4arch9wavefront6targetE0EEEvT1_
; %bb.0:
	.section	.rodata,"a",@progbits
	.p2align	6, 0x0
	.amdhsa_kernel _ZN7rocprim17ROCPRIM_400000_NS6detail17trampoline_kernelINS0_14default_configENS1_29reduce_by_key_config_selectorIyyN6thrust23THRUST_200600_302600_NS4plusIyEEEEZZNS1_33reduce_by_key_impl_wrapped_configILNS1_25lookback_scan_determinismE0ES3_S9_NS6_6detail15normal_iteratorINS6_10device_ptrIyEEEESG_SG_SG_PmS8_NS6_8equal_toIyEEEE10hipError_tPvRmT2_T3_mT4_T5_T6_T7_T8_P12ihipStream_tbENKUlT_T0_E_clISt17integral_constantIbLb1EES11_EEDaSW_SX_EUlSW_E_NS1_11comp_targetILNS1_3genE8ELNS1_11target_archE1030ELNS1_3gpuE2ELNS1_3repE0EEENS1_30default_config_static_selectorELNS0_4arch9wavefront6targetE0EEEvT1_
		.amdhsa_group_segment_fixed_size 0
		.amdhsa_private_segment_fixed_size 0
		.amdhsa_kernarg_size 136
		.amdhsa_user_sgpr_count 15
		.amdhsa_user_sgpr_dispatch_ptr 0
		.amdhsa_user_sgpr_queue_ptr 0
		.amdhsa_user_sgpr_kernarg_segment_ptr 1
		.amdhsa_user_sgpr_dispatch_id 0
		.amdhsa_user_sgpr_private_segment_size 0
		.amdhsa_wavefront_size32 1
		.amdhsa_uses_dynamic_stack 0
		.amdhsa_enable_private_segment 0
		.amdhsa_system_sgpr_workgroup_id_x 1
		.amdhsa_system_sgpr_workgroup_id_y 0
		.amdhsa_system_sgpr_workgroup_id_z 0
		.amdhsa_system_sgpr_workgroup_info 0
		.amdhsa_system_vgpr_workitem_id 0
		.amdhsa_next_free_vgpr 1
		.amdhsa_next_free_sgpr 1
		.amdhsa_reserve_vcc 0
		.amdhsa_float_round_mode_32 0
		.amdhsa_float_round_mode_16_64 0
		.amdhsa_float_denorm_mode_32 3
		.amdhsa_float_denorm_mode_16_64 3
		.amdhsa_dx10_clamp 1
		.amdhsa_ieee_mode 1
		.amdhsa_fp16_overflow 0
		.amdhsa_workgroup_processor_mode 1
		.amdhsa_memory_ordered 1
		.amdhsa_forward_progress 0
		.amdhsa_shared_vgpr_count 0
		.amdhsa_exception_fp_ieee_invalid_op 0
		.amdhsa_exception_fp_denorm_src 0
		.amdhsa_exception_fp_ieee_div_zero 0
		.amdhsa_exception_fp_ieee_overflow 0
		.amdhsa_exception_fp_ieee_underflow 0
		.amdhsa_exception_fp_ieee_inexact 0
		.amdhsa_exception_int_div_zero 0
	.end_amdhsa_kernel
	.section	.text._ZN7rocprim17ROCPRIM_400000_NS6detail17trampoline_kernelINS0_14default_configENS1_29reduce_by_key_config_selectorIyyN6thrust23THRUST_200600_302600_NS4plusIyEEEEZZNS1_33reduce_by_key_impl_wrapped_configILNS1_25lookback_scan_determinismE0ES3_S9_NS6_6detail15normal_iteratorINS6_10device_ptrIyEEEESG_SG_SG_PmS8_NS6_8equal_toIyEEEE10hipError_tPvRmT2_T3_mT4_T5_T6_T7_T8_P12ihipStream_tbENKUlT_T0_E_clISt17integral_constantIbLb1EES11_EEDaSW_SX_EUlSW_E_NS1_11comp_targetILNS1_3genE8ELNS1_11target_archE1030ELNS1_3gpuE2ELNS1_3repE0EEENS1_30default_config_static_selectorELNS0_4arch9wavefront6targetE0EEEvT1_,"axG",@progbits,_ZN7rocprim17ROCPRIM_400000_NS6detail17trampoline_kernelINS0_14default_configENS1_29reduce_by_key_config_selectorIyyN6thrust23THRUST_200600_302600_NS4plusIyEEEEZZNS1_33reduce_by_key_impl_wrapped_configILNS1_25lookback_scan_determinismE0ES3_S9_NS6_6detail15normal_iteratorINS6_10device_ptrIyEEEESG_SG_SG_PmS8_NS6_8equal_toIyEEEE10hipError_tPvRmT2_T3_mT4_T5_T6_T7_T8_P12ihipStream_tbENKUlT_T0_E_clISt17integral_constantIbLb1EES11_EEDaSW_SX_EUlSW_E_NS1_11comp_targetILNS1_3genE8ELNS1_11target_archE1030ELNS1_3gpuE2ELNS1_3repE0EEENS1_30default_config_static_selectorELNS0_4arch9wavefront6targetE0EEEvT1_,comdat
.Lfunc_end256:
	.size	_ZN7rocprim17ROCPRIM_400000_NS6detail17trampoline_kernelINS0_14default_configENS1_29reduce_by_key_config_selectorIyyN6thrust23THRUST_200600_302600_NS4plusIyEEEEZZNS1_33reduce_by_key_impl_wrapped_configILNS1_25lookback_scan_determinismE0ES3_S9_NS6_6detail15normal_iteratorINS6_10device_ptrIyEEEESG_SG_SG_PmS8_NS6_8equal_toIyEEEE10hipError_tPvRmT2_T3_mT4_T5_T6_T7_T8_P12ihipStream_tbENKUlT_T0_E_clISt17integral_constantIbLb1EES11_EEDaSW_SX_EUlSW_E_NS1_11comp_targetILNS1_3genE8ELNS1_11target_archE1030ELNS1_3gpuE2ELNS1_3repE0EEENS1_30default_config_static_selectorELNS0_4arch9wavefront6targetE0EEEvT1_, .Lfunc_end256-_ZN7rocprim17ROCPRIM_400000_NS6detail17trampoline_kernelINS0_14default_configENS1_29reduce_by_key_config_selectorIyyN6thrust23THRUST_200600_302600_NS4plusIyEEEEZZNS1_33reduce_by_key_impl_wrapped_configILNS1_25lookback_scan_determinismE0ES3_S9_NS6_6detail15normal_iteratorINS6_10device_ptrIyEEEESG_SG_SG_PmS8_NS6_8equal_toIyEEEE10hipError_tPvRmT2_T3_mT4_T5_T6_T7_T8_P12ihipStream_tbENKUlT_T0_E_clISt17integral_constantIbLb1EES11_EEDaSW_SX_EUlSW_E_NS1_11comp_targetILNS1_3genE8ELNS1_11target_archE1030ELNS1_3gpuE2ELNS1_3repE0EEENS1_30default_config_static_selectorELNS0_4arch9wavefront6targetE0EEEvT1_
                                        ; -- End function
	.section	.AMDGPU.csdata,"",@progbits
; Kernel info:
; codeLenInByte = 0
; NumSgprs: 0
; NumVgprs: 0
; ScratchSize: 0
; MemoryBound: 0
; FloatMode: 240
; IeeeMode: 1
; LDSByteSize: 0 bytes/workgroup (compile time only)
; SGPRBlocks: 0
; VGPRBlocks: 0
; NumSGPRsForWavesPerEU: 1
; NumVGPRsForWavesPerEU: 1
; Occupancy: 16
; WaveLimiterHint : 0
; COMPUTE_PGM_RSRC2:SCRATCH_EN: 0
; COMPUTE_PGM_RSRC2:USER_SGPR: 15
; COMPUTE_PGM_RSRC2:TRAP_HANDLER: 0
; COMPUTE_PGM_RSRC2:TGID_X_EN: 1
; COMPUTE_PGM_RSRC2:TGID_Y_EN: 0
; COMPUTE_PGM_RSRC2:TGID_Z_EN: 0
; COMPUTE_PGM_RSRC2:TIDIG_COMP_CNT: 0
	.section	.text._ZN7rocprim17ROCPRIM_400000_NS6detail25reduce_by_key_init_kernelINS1_19lookback_scan_stateINS0_5tupleIJjyEEELb1ELb0EEEyNS1_16block_id_wrapperIjLb0EEEEEvT_jbjPmPT0_T1_,"axG",@progbits,_ZN7rocprim17ROCPRIM_400000_NS6detail25reduce_by_key_init_kernelINS1_19lookback_scan_stateINS0_5tupleIJjyEEELb1ELb0EEEyNS1_16block_id_wrapperIjLb0EEEEEvT_jbjPmPT0_T1_,comdat
	.protected	_ZN7rocprim17ROCPRIM_400000_NS6detail25reduce_by_key_init_kernelINS1_19lookback_scan_stateINS0_5tupleIJjyEEELb1ELb0EEEyNS1_16block_id_wrapperIjLb0EEEEEvT_jbjPmPT0_T1_ ; -- Begin function _ZN7rocprim17ROCPRIM_400000_NS6detail25reduce_by_key_init_kernelINS1_19lookback_scan_stateINS0_5tupleIJjyEEELb1ELb0EEEyNS1_16block_id_wrapperIjLb0EEEEEvT_jbjPmPT0_T1_
	.globl	_ZN7rocprim17ROCPRIM_400000_NS6detail25reduce_by_key_init_kernelINS1_19lookback_scan_stateINS0_5tupleIJjyEEELb1ELb0EEEyNS1_16block_id_wrapperIjLb0EEEEEvT_jbjPmPT0_T1_
	.p2align	8
	.type	_ZN7rocprim17ROCPRIM_400000_NS6detail25reduce_by_key_init_kernelINS1_19lookback_scan_stateINS0_5tupleIJjyEEELb1ELb0EEEyNS1_16block_id_wrapperIjLb0EEEEEvT_jbjPmPT0_T1_,@function
_ZN7rocprim17ROCPRIM_400000_NS6detail25reduce_by_key_init_kernelINS1_19lookback_scan_stateINS0_5tupleIJjyEEELb1ELb0EEEyNS1_16block_id_wrapperIjLb0EEEEEvT_jbjPmPT0_T1_: ; @_ZN7rocprim17ROCPRIM_400000_NS6detail25reduce_by_key_init_kernelINS1_19lookback_scan_stateINS0_5tupleIJjyEEELb1ELb0EEEyNS1_16block_id_wrapperIjLb0EEEEEvT_jbjPmPT0_T1_
; %bb.0:
	s_clause 0x2
	s_load_b32 s2, s[0:1], 0x4c
	s_load_b256 s[4:11], s[0:1], 0x18
	s_load_b64 s[12:13], s[0:1], 0x10
	s_waitcnt lgkmcnt(0)
	s_and_b32 s2, s2, 0xffff
	s_delay_alu instid0(SALU_CYCLE_1) | instskip(SKIP_1) | instid1(SALU_CYCLE_1)
	v_mad_u64_u32 v[1:2], null, s15, s2, v[0:1]
	s_and_b32 s2, s5, 1
	s_cmp_eq_u32 s2, 0
	s_mov_b32 s2, -1
	s_cbranch_scc1 .LBB257_7
; %bb.1:
	s_and_not1_b32 vcc_lo, exec_lo, s2
	s_cbranch_vccz .LBB257_17
.LBB257_2:
	s_mov_b32 s0, exec_lo
	v_cmpx_gt_u32_e64 s4, v1
	s_cbranch_execz .LBB257_4
.LBB257_3:
	v_add_nc_u32_e32 v0, 32, v1
	v_mov_b32_e32 v2, 0
	global_store_b8 v0, v2, s[12:13]
.LBB257_4:
	s_or_b32 exec_lo, exec_lo, s0
	s_delay_alu instid0(SALU_CYCLE_1)
	s_mov_b32 s0, exec_lo
	v_cmpx_gt_u32_e32 32, v1
	s_cbranch_execz .LBB257_6
; %bb.5:
	v_mov_b32_e32 v0, 0xff
	global_store_b8 v1, v0, s[12:13]
.LBB257_6:
	s_nop 0
	s_sendmsg sendmsg(MSG_DEALLOC_VGPRS)
	s_endpgm
.LBB257_7:
	s_cmp_lt_u32 s6, s4
	s_mov_b32 s5, exec_lo
	s_cselect_b32 s2, s6, 0
	s_delay_alu instid0(SALU_CYCLE_1)
	v_cmpx_eq_u32_e64 s2, v1
	s_cbranch_execz .LBB257_16
; %bb.8:
	s_add_i32 s6, s6, 32
	s_load_b128 s[0:3], s[0:1], 0x0
	v_mov_b32_e32 v0, s6
	s_add_u32 s14, s12, s6
	s_addc_u32 s15, s13, 0
	s_mov_b32 s7, 0
	global_load_u8 v0, v0, s[12:13] glc
	s_waitcnt vmcnt(0)
	v_cmp_ne_u16_e32 vcc_lo, 0, v0
	v_readfirstlane_b32 s16, v0
	s_cbranch_vccz .LBB257_10
; %bb.9:
	s_delay_alu instid0(VALU_DEP_1)
	s_and_b32 s14, 0xffff, s16
	s_branch .LBB257_15
.LBB257_10:
	v_mov_b32_e32 v0, 0
	s_mov_b32 s16, 1
.LBB257_11:                             ; =>This Loop Header: Depth=1
                                        ;     Child Loop BB257_12 Depth 2
	s_delay_alu instid0(SALU_CYCLE_1)
	s_max_u32 s17, s16, 1
.LBB257_12:                             ;   Parent Loop BB257_11 Depth=1
                                        ; =>  This Inner Loop Header: Depth=2
	s_delay_alu instid0(SALU_CYCLE_1)
	s_add_i32 s17, s17, -1
	s_sleep 1
	s_cmp_eq_u32 s17, 0
	s_cbranch_scc0 .LBB257_12
; %bb.13:                               ;   in Loop: Header=BB257_11 Depth=1
	global_load_u8 v2, v0, s[14:15] glc
	s_cmp_lt_u32 s16, 32
	s_cselect_b32 s17, -1, 0
	s_delay_alu instid0(SALU_CYCLE_1)
	s_cmp_lg_u32 s17, 0
	s_addc_u32 s16, s16, 0
	s_waitcnt vmcnt(0)
	v_cmp_ne_u16_e32 vcc_lo, 0, v2
	v_readfirstlane_b32 s17, v2
	s_cbranch_vccz .LBB257_11
; %bb.14:
	s_delay_alu instid0(VALU_DEP_1)
	s_and_b32 s14, 0xffff, s17
.LBB257_15:
	s_delay_alu instid0(SALU_CYCLE_1)
	s_cmp_eq_u32 s14, 1
	v_mov_b32_e32 v0, 0
	s_waitcnt lgkmcnt(0)
	s_cselect_b32 s3, s1, s3
	s_cselect_b32 s2, s0, s2
	s_lshl_b64 s[0:1], s[6:7], 4
	buffer_gl1_inv
	buffer_gl0_inv
	s_add_u32 s0, s2, s0
	s_addc_u32 s1, s3, s1
	s_clause 0x2
	global_load_b64 v[2:3], v0, s[8:9]
	global_load_b32 v6, v0, s[0:1]
	global_load_b64 v[4:5], v0, s[0:1] offset:8
	s_waitcnt vmcnt(1)
	v_add_co_u32 v2, vcc_lo, v2, v6
	v_add_co_ci_u32_e32 v3, vcc_lo, 0, v3, vcc_lo
	global_store_b64 v0, v[2:3], s[8:9]
	s_waitcnt vmcnt(0)
	global_store_b64 v0, v[4:5], s[10:11]
.LBB257_16:
	s_or_b32 exec_lo, exec_lo, s5
	s_cbranch_execnz .LBB257_2
.LBB257_17:
	s_delay_alu instid0(VALU_DEP_1) | instskip(SKIP_2) | instid1(SALU_CYCLE_1)
	v_cmp_eq_u32_e32 vcc_lo, 0, v1
	s_cmp_lg_u64 s[8:9], 0
	s_cselect_b32 s0, -1, 0
	s_and_b32 s1, s0, vcc_lo
	s_delay_alu instid0(SALU_CYCLE_1)
	s_and_saveexec_b32 s0, s1
	s_cbranch_execz .LBB257_19
; %bb.18:
	v_mov_b32_e32 v2, 0
	s_delay_alu instid0(VALU_DEP_1)
	v_mov_b32_e32 v3, v2
	global_store_b64 v2, v[2:3], s[8:9]
.LBB257_19:
	s_or_b32 exec_lo, exec_lo, s0
	s_delay_alu instid0(SALU_CYCLE_1)
	s_mov_b32 s0, exec_lo
	v_cmpx_gt_u32_e64 s4, v1
	s_cbranch_execnz .LBB257_3
	s_branch .LBB257_4
	.section	.rodata,"a",@progbits
	.p2align	6, 0x0
	.amdhsa_kernel _ZN7rocprim17ROCPRIM_400000_NS6detail25reduce_by_key_init_kernelINS1_19lookback_scan_stateINS0_5tupleIJjyEEELb1ELb0EEEyNS1_16block_id_wrapperIjLb0EEEEEvT_jbjPmPT0_T1_
		.amdhsa_group_segment_fixed_size 0
		.amdhsa_private_segment_fixed_size 0
		.amdhsa_kernarg_size 320
		.amdhsa_user_sgpr_count 15
		.amdhsa_user_sgpr_dispatch_ptr 0
		.amdhsa_user_sgpr_queue_ptr 0
		.amdhsa_user_sgpr_kernarg_segment_ptr 1
		.amdhsa_user_sgpr_dispatch_id 0
		.amdhsa_user_sgpr_private_segment_size 0
		.amdhsa_wavefront_size32 1
		.amdhsa_uses_dynamic_stack 0
		.amdhsa_enable_private_segment 0
		.amdhsa_system_sgpr_workgroup_id_x 1
		.amdhsa_system_sgpr_workgroup_id_y 0
		.amdhsa_system_sgpr_workgroup_id_z 0
		.amdhsa_system_sgpr_workgroup_info 0
		.amdhsa_system_vgpr_workitem_id 0
		.amdhsa_next_free_vgpr 7
		.amdhsa_next_free_sgpr 18
		.amdhsa_reserve_vcc 1
		.amdhsa_float_round_mode_32 0
		.amdhsa_float_round_mode_16_64 0
		.amdhsa_float_denorm_mode_32 3
		.amdhsa_float_denorm_mode_16_64 3
		.amdhsa_dx10_clamp 1
		.amdhsa_ieee_mode 1
		.amdhsa_fp16_overflow 0
		.amdhsa_workgroup_processor_mode 1
		.amdhsa_memory_ordered 1
		.amdhsa_forward_progress 0
		.amdhsa_shared_vgpr_count 0
		.amdhsa_exception_fp_ieee_invalid_op 0
		.amdhsa_exception_fp_denorm_src 0
		.amdhsa_exception_fp_ieee_div_zero 0
		.amdhsa_exception_fp_ieee_overflow 0
		.amdhsa_exception_fp_ieee_underflow 0
		.amdhsa_exception_fp_ieee_inexact 0
		.amdhsa_exception_int_div_zero 0
	.end_amdhsa_kernel
	.section	.text._ZN7rocprim17ROCPRIM_400000_NS6detail25reduce_by_key_init_kernelINS1_19lookback_scan_stateINS0_5tupleIJjyEEELb1ELb0EEEyNS1_16block_id_wrapperIjLb0EEEEEvT_jbjPmPT0_T1_,"axG",@progbits,_ZN7rocprim17ROCPRIM_400000_NS6detail25reduce_by_key_init_kernelINS1_19lookback_scan_stateINS0_5tupleIJjyEEELb1ELb0EEEyNS1_16block_id_wrapperIjLb0EEEEEvT_jbjPmPT0_T1_,comdat
.Lfunc_end257:
	.size	_ZN7rocprim17ROCPRIM_400000_NS6detail25reduce_by_key_init_kernelINS1_19lookback_scan_stateINS0_5tupleIJjyEEELb1ELb0EEEyNS1_16block_id_wrapperIjLb0EEEEEvT_jbjPmPT0_T1_, .Lfunc_end257-_ZN7rocprim17ROCPRIM_400000_NS6detail25reduce_by_key_init_kernelINS1_19lookback_scan_stateINS0_5tupleIJjyEEELb1ELb0EEEyNS1_16block_id_wrapperIjLb0EEEEEvT_jbjPmPT0_T1_
                                        ; -- End function
	.section	.AMDGPU.csdata,"",@progbits
; Kernel info:
; codeLenInByte = 548
; NumSgprs: 20
; NumVgprs: 7
; ScratchSize: 0
; MemoryBound: 0
; FloatMode: 240
; IeeeMode: 1
; LDSByteSize: 0 bytes/workgroup (compile time only)
; SGPRBlocks: 2
; VGPRBlocks: 0
; NumSGPRsForWavesPerEU: 20
; NumVGPRsForWavesPerEU: 7
; Occupancy: 16
; WaveLimiterHint : 0
; COMPUTE_PGM_RSRC2:SCRATCH_EN: 0
; COMPUTE_PGM_RSRC2:USER_SGPR: 15
; COMPUTE_PGM_RSRC2:TRAP_HANDLER: 0
; COMPUTE_PGM_RSRC2:TGID_X_EN: 1
; COMPUTE_PGM_RSRC2:TGID_Y_EN: 0
; COMPUTE_PGM_RSRC2:TGID_Z_EN: 0
; COMPUTE_PGM_RSRC2:TIDIG_COMP_CNT: 0
	.section	.text._ZN7rocprim17ROCPRIM_400000_NS6detail17trampoline_kernelINS0_14default_configENS1_29reduce_by_key_config_selectorIyyN6thrust23THRUST_200600_302600_NS4plusIyEEEEZZNS1_33reduce_by_key_impl_wrapped_configILNS1_25lookback_scan_determinismE0ES3_S9_NS6_6detail15normal_iteratorINS6_10device_ptrIyEEEESG_SG_SG_PmS8_NS6_8equal_toIyEEEE10hipError_tPvRmT2_T3_mT4_T5_T6_T7_T8_P12ihipStream_tbENKUlT_T0_E_clISt17integral_constantIbLb1EES10_IbLb0EEEEDaSW_SX_EUlSW_E_NS1_11comp_targetILNS1_3genE0ELNS1_11target_archE4294967295ELNS1_3gpuE0ELNS1_3repE0EEENS1_30default_config_static_selectorELNS0_4arch9wavefront6targetE0EEEvT1_,"axG",@progbits,_ZN7rocprim17ROCPRIM_400000_NS6detail17trampoline_kernelINS0_14default_configENS1_29reduce_by_key_config_selectorIyyN6thrust23THRUST_200600_302600_NS4plusIyEEEEZZNS1_33reduce_by_key_impl_wrapped_configILNS1_25lookback_scan_determinismE0ES3_S9_NS6_6detail15normal_iteratorINS6_10device_ptrIyEEEESG_SG_SG_PmS8_NS6_8equal_toIyEEEE10hipError_tPvRmT2_T3_mT4_T5_T6_T7_T8_P12ihipStream_tbENKUlT_T0_E_clISt17integral_constantIbLb1EES10_IbLb0EEEEDaSW_SX_EUlSW_E_NS1_11comp_targetILNS1_3genE0ELNS1_11target_archE4294967295ELNS1_3gpuE0ELNS1_3repE0EEENS1_30default_config_static_selectorELNS0_4arch9wavefront6targetE0EEEvT1_,comdat
	.protected	_ZN7rocprim17ROCPRIM_400000_NS6detail17trampoline_kernelINS0_14default_configENS1_29reduce_by_key_config_selectorIyyN6thrust23THRUST_200600_302600_NS4plusIyEEEEZZNS1_33reduce_by_key_impl_wrapped_configILNS1_25lookback_scan_determinismE0ES3_S9_NS6_6detail15normal_iteratorINS6_10device_ptrIyEEEESG_SG_SG_PmS8_NS6_8equal_toIyEEEE10hipError_tPvRmT2_T3_mT4_T5_T6_T7_T8_P12ihipStream_tbENKUlT_T0_E_clISt17integral_constantIbLb1EES10_IbLb0EEEEDaSW_SX_EUlSW_E_NS1_11comp_targetILNS1_3genE0ELNS1_11target_archE4294967295ELNS1_3gpuE0ELNS1_3repE0EEENS1_30default_config_static_selectorELNS0_4arch9wavefront6targetE0EEEvT1_ ; -- Begin function _ZN7rocprim17ROCPRIM_400000_NS6detail17trampoline_kernelINS0_14default_configENS1_29reduce_by_key_config_selectorIyyN6thrust23THRUST_200600_302600_NS4plusIyEEEEZZNS1_33reduce_by_key_impl_wrapped_configILNS1_25lookback_scan_determinismE0ES3_S9_NS6_6detail15normal_iteratorINS6_10device_ptrIyEEEESG_SG_SG_PmS8_NS6_8equal_toIyEEEE10hipError_tPvRmT2_T3_mT4_T5_T6_T7_T8_P12ihipStream_tbENKUlT_T0_E_clISt17integral_constantIbLb1EES10_IbLb0EEEEDaSW_SX_EUlSW_E_NS1_11comp_targetILNS1_3genE0ELNS1_11target_archE4294967295ELNS1_3gpuE0ELNS1_3repE0EEENS1_30default_config_static_selectorELNS0_4arch9wavefront6targetE0EEEvT1_
	.globl	_ZN7rocprim17ROCPRIM_400000_NS6detail17trampoline_kernelINS0_14default_configENS1_29reduce_by_key_config_selectorIyyN6thrust23THRUST_200600_302600_NS4plusIyEEEEZZNS1_33reduce_by_key_impl_wrapped_configILNS1_25lookback_scan_determinismE0ES3_S9_NS6_6detail15normal_iteratorINS6_10device_ptrIyEEEESG_SG_SG_PmS8_NS6_8equal_toIyEEEE10hipError_tPvRmT2_T3_mT4_T5_T6_T7_T8_P12ihipStream_tbENKUlT_T0_E_clISt17integral_constantIbLb1EES10_IbLb0EEEEDaSW_SX_EUlSW_E_NS1_11comp_targetILNS1_3genE0ELNS1_11target_archE4294967295ELNS1_3gpuE0ELNS1_3repE0EEENS1_30default_config_static_selectorELNS0_4arch9wavefront6targetE0EEEvT1_
	.p2align	8
	.type	_ZN7rocprim17ROCPRIM_400000_NS6detail17trampoline_kernelINS0_14default_configENS1_29reduce_by_key_config_selectorIyyN6thrust23THRUST_200600_302600_NS4plusIyEEEEZZNS1_33reduce_by_key_impl_wrapped_configILNS1_25lookback_scan_determinismE0ES3_S9_NS6_6detail15normal_iteratorINS6_10device_ptrIyEEEESG_SG_SG_PmS8_NS6_8equal_toIyEEEE10hipError_tPvRmT2_T3_mT4_T5_T6_T7_T8_P12ihipStream_tbENKUlT_T0_E_clISt17integral_constantIbLb1EES10_IbLb0EEEEDaSW_SX_EUlSW_E_NS1_11comp_targetILNS1_3genE0ELNS1_11target_archE4294967295ELNS1_3gpuE0ELNS1_3repE0EEENS1_30default_config_static_selectorELNS0_4arch9wavefront6targetE0EEEvT1_,@function
_ZN7rocprim17ROCPRIM_400000_NS6detail17trampoline_kernelINS0_14default_configENS1_29reduce_by_key_config_selectorIyyN6thrust23THRUST_200600_302600_NS4plusIyEEEEZZNS1_33reduce_by_key_impl_wrapped_configILNS1_25lookback_scan_determinismE0ES3_S9_NS6_6detail15normal_iteratorINS6_10device_ptrIyEEEESG_SG_SG_PmS8_NS6_8equal_toIyEEEE10hipError_tPvRmT2_T3_mT4_T5_T6_T7_T8_P12ihipStream_tbENKUlT_T0_E_clISt17integral_constantIbLb1EES10_IbLb0EEEEDaSW_SX_EUlSW_E_NS1_11comp_targetILNS1_3genE0ELNS1_11target_archE4294967295ELNS1_3gpuE0ELNS1_3repE0EEENS1_30default_config_static_selectorELNS0_4arch9wavefront6targetE0EEEvT1_: ; @_ZN7rocprim17ROCPRIM_400000_NS6detail17trampoline_kernelINS0_14default_configENS1_29reduce_by_key_config_selectorIyyN6thrust23THRUST_200600_302600_NS4plusIyEEEEZZNS1_33reduce_by_key_impl_wrapped_configILNS1_25lookback_scan_determinismE0ES3_S9_NS6_6detail15normal_iteratorINS6_10device_ptrIyEEEESG_SG_SG_PmS8_NS6_8equal_toIyEEEE10hipError_tPvRmT2_T3_mT4_T5_T6_T7_T8_P12ihipStream_tbENKUlT_T0_E_clISt17integral_constantIbLb1EES10_IbLb0EEEEDaSW_SX_EUlSW_E_NS1_11comp_targetILNS1_3genE0ELNS1_11target_archE4294967295ELNS1_3gpuE0ELNS1_3repE0EEENS1_30default_config_static_selectorELNS0_4arch9wavefront6targetE0EEEvT1_
; %bb.0:
	.section	.rodata,"a",@progbits
	.p2align	6, 0x0
	.amdhsa_kernel _ZN7rocprim17ROCPRIM_400000_NS6detail17trampoline_kernelINS0_14default_configENS1_29reduce_by_key_config_selectorIyyN6thrust23THRUST_200600_302600_NS4plusIyEEEEZZNS1_33reduce_by_key_impl_wrapped_configILNS1_25lookback_scan_determinismE0ES3_S9_NS6_6detail15normal_iteratorINS6_10device_ptrIyEEEESG_SG_SG_PmS8_NS6_8equal_toIyEEEE10hipError_tPvRmT2_T3_mT4_T5_T6_T7_T8_P12ihipStream_tbENKUlT_T0_E_clISt17integral_constantIbLb1EES10_IbLb0EEEEDaSW_SX_EUlSW_E_NS1_11comp_targetILNS1_3genE0ELNS1_11target_archE4294967295ELNS1_3gpuE0ELNS1_3repE0EEENS1_30default_config_static_selectorELNS0_4arch9wavefront6targetE0EEEvT1_
		.amdhsa_group_segment_fixed_size 0
		.amdhsa_private_segment_fixed_size 0
		.amdhsa_kernarg_size 136
		.amdhsa_user_sgpr_count 15
		.amdhsa_user_sgpr_dispatch_ptr 0
		.amdhsa_user_sgpr_queue_ptr 0
		.amdhsa_user_sgpr_kernarg_segment_ptr 1
		.amdhsa_user_sgpr_dispatch_id 0
		.amdhsa_user_sgpr_private_segment_size 0
		.amdhsa_wavefront_size32 1
		.amdhsa_uses_dynamic_stack 0
		.amdhsa_enable_private_segment 0
		.amdhsa_system_sgpr_workgroup_id_x 1
		.amdhsa_system_sgpr_workgroup_id_y 0
		.amdhsa_system_sgpr_workgroup_id_z 0
		.amdhsa_system_sgpr_workgroup_info 0
		.amdhsa_system_vgpr_workitem_id 0
		.amdhsa_next_free_vgpr 1
		.amdhsa_next_free_sgpr 1
		.amdhsa_reserve_vcc 0
		.amdhsa_float_round_mode_32 0
		.amdhsa_float_round_mode_16_64 0
		.amdhsa_float_denorm_mode_32 3
		.amdhsa_float_denorm_mode_16_64 3
		.amdhsa_dx10_clamp 1
		.amdhsa_ieee_mode 1
		.amdhsa_fp16_overflow 0
		.amdhsa_workgroup_processor_mode 1
		.amdhsa_memory_ordered 1
		.amdhsa_forward_progress 0
		.amdhsa_shared_vgpr_count 0
		.amdhsa_exception_fp_ieee_invalid_op 0
		.amdhsa_exception_fp_denorm_src 0
		.amdhsa_exception_fp_ieee_div_zero 0
		.amdhsa_exception_fp_ieee_overflow 0
		.amdhsa_exception_fp_ieee_underflow 0
		.amdhsa_exception_fp_ieee_inexact 0
		.amdhsa_exception_int_div_zero 0
	.end_amdhsa_kernel
	.section	.text._ZN7rocprim17ROCPRIM_400000_NS6detail17trampoline_kernelINS0_14default_configENS1_29reduce_by_key_config_selectorIyyN6thrust23THRUST_200600_302600_NS4plusIyEEEEZZNS1_33reduce_by_key_impl_wrapped_configILNS1_25lookback_scan_determinismE0ES3_S9_NS6_6detail15normal_iteratorINS6_10device_ptrIyEEEESG_SG_SG_PmS8_NS6_8equal_toIyEEEE10hipError_tPvRmT2_T3_mT4_T5_T6_T7_T8_P12ihipStream_tbENKUlT_T0_E_clISt17integral_constantIbLb1EES10_IbLb0EEEEDaSW_SX_EUlSW_E_NS1_11comp_targetILNS1_3genE0ELNS1_11target_archE4294967295ELNS1_3gpuE0ELNS1_3repE0EEENS1_30default_config_static_selectorELNS0_4arch9wavefront6targetE0EEEvT1_,"axG",@progbits,_ZN7rocprim17ROCPRIM_400000_NS6detail17trampoline_kernelINS0_14default_configENS1_29reduce_by_key_config_selectorIyyN6thrust23THRUST_200600_302600_NS4plusIyEEEEZZNS1_33reduce_by_key_impl_wrapped_configILNS1_25lookback_scan_determinismE0ES3_S9_NS6_6detail15normal_iteratorINS6_10device_ptrIyEEEESG_SG_SG_PmS8_NS6_8equal_toIyEEEE10hipError_tPvRmT2_T3_mT4_T5_T6_T7_T8_P12ihipStream_tbENKUlT_T0_E_clISt17integral_constantIbLb1EES10_IbLb0EEEEDaSW_SX_EUlSW_E_NS1_11comp_targetILNS1_3genE0ELNS1_11target_archE4294967295ELNS1_3gpuE0ELNS1_3repE0EEENS1_30default_config_static_selectorELNS0_4arch9wavefront6targetE0EEEvT1_,comdat
.Lfunc_end258:
	.size	_ZN7rocprim17ROCPRIM_400000_NS6detail17trampoline_kernelINS0_14default_configENS1_29reduce_by_key_config_selectorIyyN6thrust23THRUST_200600_302600_NS4plusIyEEEEZZNS1_33reduce_by_key_impl_wrapped_configILNS1_25lookback_scan_determinismE0ES3_S9_NS6_6detail15normal_iteratorINS6_10device_ptrIyEEEESG_SG_SG_PmS8_NS6_8equal_toIyEEEE10hipError_tPvRmT2_T3_mT4_T5_T6_T7_T8_P12ihipStream_tbENKUlT_T0_E_clISt17integral_constantIbLb1EES10_IbLb0EEEEDaSW_SX_EUlSW_E_NS1_11comp_targetILNS1_3genE0ELNS1_11target_archE4294967295ELNS1_3gpuE0ELNS1_3repE0EEENS1_30default_config_static_selectorELNS0_4arch9wavefront6targetE0EEEvT1_, .Lfunc_end258-_ZN7rocprim17ROCPRIM_400000_NS6detail17trampoline_kernelINS0_14default_configENS1_29reduce_by_key_config_selectorIyyN6thrust23THRUST_200600_302600_NS4plusIyEEEEZZNS1_33reduce_by_key_impl_wrapped_configILNS1_25lookback_scan_determinismE0ES3_S9_NS6_6detail15normal_iteratorINS6_10device_ptrIyEEEESG_SG_SG_PmS8_NS6_8equal_toIyEEEE10hipError_tPvRmT2_T3_mT4_T5_T6_T7_T8_P12ihipStream_tbENKUlT_T0_E_clISt17integral_constantIbLb1EES10_IbLb0EEEEDaSW_SX_EUlSW_E_NS1_11comp_targetILNS1_3genE0ELNS1_11target_archE4294967295ELNS1_3gpuE0ELNS1_3repE0EEENS1_30default_config_static_selectorELNS0_4arch9wavefront6targetE0EEEvT1_
                                        ; -- End function
	.section	.AMDGPU.csdata,"",@progbits
; Kernel info:
; codeLenInByte = 0
; NumSgprs: 0
; NumVgprs: 0
; ScratchSize: 0
; MemoryBound: 0
; FloatMode: 240
; IeeeMode: 1
; LDSByteSize: 0 bytes/workgroup (compile time only)
; SGPRBlocks: 0
; VGPRBlocks: 0
; NumSGPRsForWavesPerEU: 1
; NumVGPRsForWavesPerEU: 1
; Occupancy: 16
; WaveLimiterHint : 0
; COMPUTE_PGM_RSRC2:SCRATCH_EN: 0
; COMPUTE_PGM_RSRC2:USER_SGPR: 15
; COMPUTE_PGM_RSRC2:TRAP_HANDLER: 0
; COMPUTE_PGM_RSRC2:TGID_X_EN: 1
; COMPUTE_PGM_RSRC2:TGID_Y_EN: 0
; COMPUTE_PGM_RSRC2:TGID_Z_EN: 0
; COMPUTE_PGM_RSRC2:TIDIG_COMP_CNT: 0
	.section	.text._ZN7rocprim17ROCPRIM_400000_NS6detail17trampoline_kernelINS0_14default_configENS1_29reduce_by_key_config_selectorIyyN6thrust23THRUST_200600_302600_NS4plusIyEEEEZZNS1_33reduce_by_key_impl_wrapped_configILNS1_25lookback_scan_determinismE0ES3_S9_NS6_6detail15normal_iteratorINS6_10device_ptrIyEEEESG_SG_SG_PmS8_NS6_8equal_toIyEEEE10hipError_tPvRmT2_T3_mT4_T5_T6_T7_T8_P12ihipStream_tbENKUlT_T0_E_clISt17integral_constantIbLb1EES10_IbLb0EEEEDaSW_SX_EUlSW_E_NS1_11comp_targetILNS1_3genE5ELNS1_11target_archE942ELNS1_3gpuE9ELNS1_3repE0EEENS1_30default_config_static_selectorELNS0_4arch9wavefront6targetE0EEEvT1_,"axG",@progbits,_ZN7rocprim17ROCPRIM_400000_NS6detail17trampoline_kernelINS0_14default_configENS1_29reduce_by_key_config_selectorIyyN6thrust23THRUST_200600_302600_NS4plusIyEEEEZZNS1_33reduce_by_key_impl_wrapped_configILNS1_25lookback_scan_determinismE0ES3_S9_NS6_6detail15normal_iteratorINS6_10device_ptrIyEEEESG_SG_SG_PmS8_NS6_8equal_toIyEEEE10hipError_tPvRmT2_T3_mT4_T5_T6_T7_T8_P12ihipStream_tbENKUlT_T0_E_clISt17integral_constantIbLb1EES10_IbLb0EEEEDaSW_SX_EUlSW_E_NS1_11comp_targetILNS1_3genE5ELNS1_11target_archE942ELNS1_3gpuE9ELNS1_3repE0EEENS1_30default_config_static_selectorELNS0_4arch9wavefront6targetE0EEEvT1_,comdat
	.protected	_ZN7rocprim17ROCPRIM_400000_NS6detail17trampoline_kernelINS0_14default_configENS1_29reduce_by_key_config_selectorIyyN6thrust23THRUST_200600_302600_NS4plusIyEEEEZZNS1_33reduce_by_key_impl_wrapped_configILNS1_25lookback_scan_determinismE0ES3_S9_NS6_6detail15normal_iteratorINS6_10device_ptrIyEEEESG_SG_SG_PmS8_NS6_8equal_toIyEEEE10hipError_tPvRmT2_T3_mT4_T5_T6_T7_T8_P12ihipStream_tbENKUlT_T0_E_clISt17integral_constantIbLb1EES10_IbLb0EEEEDaSW_SX_EUlSW_E_NS1_11comp_targetILNS1_3genE5ELNS1_11target_archE942ELNS1_3gpuE9ELNS1_3repE0EEENS1_30default_config_static_selectorELNS0_4arch9wavefront6targetE0EEEvT1_ ; -- Begin function _ZN7rocprim17ROCPRIM_400000_NS6detail17trampoline_kernelINS0_14default_configENS1_29reduce_by_key_config_selectorIyyN6thrust23THRUST_200600_302600_NS4plusIyEEEEZZNS1_33reduce_by_key_impl_wrapped_configILNS1_25lookback_scan_determinismE0ES3_S9_NS6_6detail15normal_iteratorINS6_10device_ptrIyEEEESG_SG_SG_PmS8_NS6_8equal_toIyEEEE10hipError_tPvRmT2_T3_mT4_T5_T6_T7_T8_P12ihipStream_tbENKUlT_T0_E_clISt17integral_constantIbLb1EES10_IbLb0EEEEDaSW_SX_EUlSW_E_NS1_11comp_targetILNS1_3genE5ELNS1_11target_archE942ELNS1_3gpuE9ELNS1_3repE0EEENS1_30default_config_static_selectorELNS0_4arch9wavefront6targetE0EEEvT1_
	.globl	_ZN7rocprim17ROCPRIM_400000_NS6detail17trampoline_kernelINS0_14default_configENS1_29reduce_by_key_config_selectorIyyN6thrust23THRUST_200600_302600_NS4plusIyEEEEZZNS1_33reduce_by_key_impl_wrapped_configILNS1_25lookback_scan_determinismE0ES3_S9_NS6_6detail15normal_iteratorINS6_10device_ptrIyEEEESG_SG_SG_PmS8_NS6_8equal_toIyEEEE10hipError_tPvRmT2_T3_mT4_T5_T6_T7_T8_P12ihipStream_tbENKUlT_T0_E_clISt17integral_constantIbLb1EES10_IbLb0EEEEDaSW_SX_EUlSW_E_NS1_11comp_targetILNS1_3genE5ELNS1_11target_archE942ELNS1_3gpuE9ELNS1_3repE0EEENS1_30default_config_static_selectorELNS0_4arch9wavefront6targetE0EEEvT1_
	.p2align	8
	.type	_ZN7rocprim17ROCPRIM_400000_NS6detail17trampoline_kernelINS0_14default_configENS1_29reduce_by_key_config_selectorIyyN6thrust23THRUST_200600_302600_NS4plusIyEEEEZZNS1_33reduce_by_key_impl_wrapped_configILNS1_25lookback_scan_determinismE0ES3_S9_NS6_6detail15normal_iteratorINS6_10device_ptrIyEEEESG_SG_SG_PmS8_NS6_8equal_toIyEEEE10hipError_tPvRmT2_T3_mT4_T5_T6_T7_T8_P12ihipStream_tbENKUlT_T0_E_clISt17integral_constantIbLb1EES10_IbLb0EEEEDaSW_SX_EUlSW_E_NS1_11comp_targetILNS1_3genE5ELNS1_11target_archE942ELNS1_3gpuE9ELNS1_3repE0EEENS1_30default_config_static_selectorELNS0_4arch9wavefront6targetE0EEEvT1_,@function
_ZN7rocprim17ROCPRIM_400000_NS6detail17trampoline_kernelINS0_14default_configENS1_29reduce_by_key_config_selectorIyyN6thrust23THRUST_200600_302600_NS4plusIyEEEEZZNS1_33reduce_by_key_impl_wrapped_configILNS1_25lookback_scan_determinismE0ES3_S9_NS6_6detail15normal_iteratorINS6_10device_ptrIyEEEESG_SG_SG_PmS8_NS6_8equal_toIyEEEE10hipError_tPvRmT2_T3_mT4_T5_T6_T7_T8_P12ihipStream_tbENKUlT_T0_E_clISt17integral_constantIbLb1EES10_IbLb0EEEEDaSW_SX_EUlSW_E_NS1_11comp_targetILNS1_3genE5ELNS1_11target_archE942ELNS1_3gpuE9ELNS1_3repE0EEENS1_30default_config_static_selectorELNS0_4arch9wavefront6targetE0EEEvT1_: ; @_ZN7rocprim17ROCPRIM_400000_NS6detail17trampoline_kernelINS0_14default_configENS1_29reduce_by_key_config_selectorIyyN6thrust23THRUST_200600_302600_NS4plusIyEEEEZZNS1_33reduce_by_key_impl_wrapped_configILNS1_25lookback_scan_determinismE0ES3_S9_NS6_6detail15normal_iteratorINS6_10device_ptrIyEEEESG_SG_SG_PmS8_NS6_8equal_toIyEEEE10hipError_tPvRmT2_T3_mT4_T5_T6_T7_T8_P12ihipStream_tbENKUlT_T0_E_clISt17integral_constantIbLb1EES10_IbLb0EEEEDaSW_SX_EUlSW_E_NS1_11comp_targetILNS1_3genE5ELNS1_11target_archE942ELNS1_3gpuE9ELNS1_3repE0EEENS1_30default_config_static_selectorELNS0_4arch9wavefront6targetE0EEEvT1_
; %bb.0:
	.section	.rodata,"a",@progbits
	.p2align	6, 0x0
	.amdhsa_kernel _ZN7rocprim17ROCPRIM_400000_NS6detail17trampoline_kernelINS0_14default_configENS1_29reduce_by_key_config_selectorIyyN6thrust23THRUST_200600_302600_NS4plusIyEEEEZZNS1_33reduce_by_key_impl_wrapped_configILNS1_25lookback_scan_determinismE0ES3_S9_NS6_6detail15normal_iteratorINS6_10device_ptrIyEEEESG_SG_SG_PmS8_NS6_8equal_toIyEEEE10hipError_tPvRmT2_T3_mT4_T5_T6_T7_T8_P12ihipStream_tbENKUlT_T0_E_clISt17integral_constantIbLb1EES10_IbLb0EEEEDaSW_SX_EUlSW_E_NS1_11comp_targetILNS1_3genE5ELNS1_11target_archE942ELNS1_3gpuE9ELNS1_3repE0EEENS1_30default_config_static_selectorELNS0_4arch9wavefront6targetE0EEEvT1_
		.amdhsa_group_segment_fixed_size 0
		.amdhsa_private_segment_fixed_size 0
		.amdhsa_kernarg_size 136
		.amdhsa_user_sgpr_count 15
		.amdhsa_user_sgpr_dispatch_ptr 0
		.amdhsa_user_sgpr_queue_ptr 0
		.amdhsa_user_sgpr_kernarg_segment_ptr 1
		.amdhsa_user_sgpr_dispatch_id 0
		.amdhsa_user_sgpr_private_segment_size 0
		.amdhsa_wavefront_size32 1
		.amdhsa_uses_dynamic_stack 0
		.amdhsa_enable_private_segment 0
		.amdhsa_system_sgpr_workgroup_id_x 1
		.amdhsa_system_sgpr_workgroup_id_y 0
		.amdhsa_system_sgpr_workgroup_id_z 0
		.amdhsa_system_sgpr_workgroup_info 0
		.amdhsa_system_vgpr_workitem_id 0
		.amdhsa_next_free_vgpr 1
		.amdhsa_next_free_sgpr 1
		.amdhsa_reserve_vcc 0
		.amdhsa_float_round_mode_32 0
		.amdhsa_float_round_mode_16_64 0
		.amdhsa_float_denorm_mode_32 3
		.amdhsa_float_denorm_mode_16_64 3
		.amdhsa_dx10_clamp 1
		.amdhsa_ieee_mode 1
		.amdhsa_fp16_overflow 0
		.amdhsa_workgroup_processor_mode 1
		.amdhsa_memory_ordered 1
		.amdhsa_forward_progress 0
		.amdhsa_shared_vgpr_count 0
		.amdhsa_exception_fp_ieee_invalid_op 0
		.amdhsa_exception_fp_denorm_src 0
		.amdhsa_exception_fp_ieee_div_zero 0
		.amdhsa_exception_fp_ieee_overflow 0
		.amdhsa_exception_fp_ieee_underflow 0
		.amdhsa_exception_fp_ieee_inexact 0
		.amdhsa_exception_int_div_zero 0
	.end_amdhsa_kernel
	.section	.text._ZN7rocprim17ROCPRIM_400000_NS6detail17trampoline_kernelINS0_14default_configENS1_29reduce_by_key_config_selectorIyyN6thrust23THRUST_200600_302600_NS4plusIyEEEEZZNS1_33reduce_by_key_impl_wrapped_configILNS1_25lookback_scan_determinismE0ES3_S9_NS6_6detail15normal_iteratorINS6_10device_ptrIyEEEESG_SG_SG_PmS8_NS6_8equal_toIyEEEE10hipError_tPvRmT2_T3_mT4_T5_T6_T7_T8_P12ihipStream_tbENKUlT_T0_E_clISt17integral_constantIbLb1EES10_IbLb0EEEEDaSW_SX_EUlSW_E_NS1_11comp_targetILNS1_3genE5ELNS1_11target_archE942ELNS1_3gpuE9ELNS1_3repE0EEENS1_30default_config_static_selectorELNS0_4arch9wavefront6targetE0EEEvT1_,"axG",@progbits,_ZN7rocprim17ROCPRIM_400000_NS6detail17trampoline_kernelINS0_14default_configENS1_29reduce_by_key_config_selectorIyyN6thrust23THRUST_200600_302600_NS4plusIyEEEEZZNS1_33reduce_by_key_impl_wrapped_configILNS1_25lookback_scan_determinismE0ES3_S9_NS6_6detail15normal_iteratorINS6_10device_ptrIyEEEESG_SG_SG_PmS8_NS6_8equal_toIyEEEE10hipError_tPvRmT2_T3_mT4_T5_T6_T7_T8_P12ihipStream_tbENKUlT_T0_E_clISt17integral_constantIbLb1EES10_IbLb0EEEEDaSW_SX_EUlSW_E_NS1_11comp_targetILNS1_3genE5ELNS1_11target_archE942ELNS1_3gpuE9ELNS1_3repE0EEENS1_30default_config_static_selectorELNS0_4arch9wavefront6targetE0EEEvT1_,comdat
.Lfunc_end259:
	.size	_ZN7rocprim17ROCPRIM_400000_NS6detail17trampoline_kernelINS0_14default_configENS1_29reduce_by_key_config_selectorIyyN6thrust23THRUST_200600_302600_NS4plusIyEEEEZZNS1_33reduce_by_key_impl_wrapped_configILNS1_25lookback_scan_determinismE0ES3_S9_NS6_6detail15normal_iteratorINS6_10device_ptrIyEEEESG_SG_SG_PmS8_NS6_8equal_toIyEEEE10hipError_tPvRmT2_T3_mT4_T5_T6_T7_T8_P12ihipStream_tbENKUlT_T0_E_clISt17integral_constantIbLb1EES10_IbLb0EEEEDaSW_SX_EUlSW_E_NS1_11comp_targetILNS1_3genE5ELNS1_11target_archE942ELNS1_3gpuE9ELNS1_3repE0EEENS1_30default_config_static_selectorELNS0_4arch9wavefront6targetE0EEEvT1_, .Lfunc_end259-_ZN7rocprim17ROCPRIM_400000_NS6detail17trampoline_kernelINS0_14default_configENS1_29reduce_by_key_config_selectorIyyN6thrust23THRUST_200600_302600_NS4plusIyEEEEZZNS1_33reduce_by_key_impl_wrapped_configILNS1_25lookback_scan_determinismE0ES3_S9_NS6_6detail15normal_iteratorINS6_10device_ptrIyEEEESG_SG_SG_PmS8_NS6_8equal_toIyEEEE10hipError_tPvRmT2_T3_mT4_T5_T6_T7_T8_P12ihipStream_tbENKUlT_T0_E_clISt17integral_constantIbLb1EES10_IbLb0EEEEDaSW_SX_EUlSW_E_NS1_11comp_targetILNS1_3genE5ELNS1_11target_archE942ELNS1_3gpuE9ELNS1_3repE0EEENS1_30default_config_static_selectorELNS0_4arch9wavefront6targetE0EEEvT1_
                                        ; -- End function
	.section	.AMDGPU.csdata,"",@progbits
; Kernel info:
; codeLenInByte = 0
; NumSgprs: 0
; NumVgprs: 0
; ScratchSize: 0
; MemoryBound: 0
; FloatMode: 240
; IeeeMode: 1
; LDSByteSize: 0 bytes/workgroup (compile time only)
; SGPRBlocks: 0
; VGPRBlocks: 0
; NumSGPRsForWavesPerEU: 1
; NumVGPRsForWavesPerEU: 1
; Occupancy: 16
; WaveLimiterHint : 0
; COMPUTE_PGM_RSRC2:SCRATCH_EN: 0
; COMPUTE_PGM_RSRC2:USER_SGPR: 15
; COMPUTE_PGM_RSRC2:TRAP_HANDLER: 0
; COMPUTE_PGM_RSRC2:TGID_X_EN: 1
; COMPUTE_PGM_RSRC2:TGID_Y_EN: 0
; COMPUTE_PGM_RSRC2:TGID_Z_EN: 0
; COMPUTE_PGM_RSRC2:TIDIG_COMP_CNT: 0
	.section	.text._ZN7rocprim17ROCPRIM_400000_NS6detail17trampoline_kernelINS0_14default_configENS1_29reduce_by_key_config_selectorIyyN6thrust23THRUST_200600_302600_NS4plusIyEEEEZZNS1_33reduce_by_key_impl_wrapped_configILNS1_25lookback_scan_determinismE0ES3_S9_NS6_6detail15normal_iteratorINS6_10device_ptrIyEEEESG_SG_SG_PmS8_NS6_8equal_toIyEEEE10hipError_tPvRmT2_T3_mT4_T5_T6_T7_T8_P12ihipStream_tbENKUlT_T0_E_clISt17integral_constantIbLb1EES10_IbLb0EEEEDaSW_SX_EUlSW_E_NS1_11comp_targetILNS1_3genE4ELNS1_11target_archE910ELNS1_3gpuE8ELNS1_3repE0EEENS1_30default_config_static_selectorELNS0_4arch9wavefront6targetE0EEEvT1_,"axG",@progbits,_ZN7rocprim17ROCPRIM_400000_NS6detail17trampoline_kernelINS0_14default_configENS1_29reduce_by_key_config_selectorIyyN6thrust23THRUST_200600_302600_NS4plusIyEEEEZZNS1_33reduce_by_key_impl_wrapped_configILNS1_25lookback_scan_determinismE0ES3_S9_NS6_6detail15normal_iteratorINS6_10device_ptrIyEEEESG_SG_SG_PmS8_NS6_8equal_toIyEEEE10hipError_tPvRmT2_T3_mT4_T5_T6_T7_T8_P12ihipStream_tbENKUlT_T0_E_clISt17integral_constantIbLb1EES10_IbLb0EEEEDaSW_SX_EUlSW_E_NS1_11comp_targetILNS1_3genE4ELNS1_11target_archE910ELNS1_3gpuE8ELNS1_3repE0EEENS1_30default_config_static_selectorELNS0_4arch9wavefront6targetE0EEEvT1_,comdat
	.protected	_ZN7rocprim17ROCPRIM_400000_NS6detail17trampoline_kernelINS0_14default_configENS1_29reduce_by_key_config_selectorIyyN6thrust23THRUST_200600_302600_NS4plusIyEEEEZZNS1_33reduce_by_key_impl_wrapped_configILNS1_25lookback_scan_determinismE0ES3_S9_NS6_6detail15normal_iteratorINS6_10device_ptrIyEEEESG_SG_SG_PmS8_NS6_8equal_toIyEEEE10hipError_tPvRmT2_T3_mT4_T5_T6_T7_T8_P12ihipStream_tbENKUlT_T0_E_clISt17integral_constantIbLb1EES10_IbLb0EEEEDaSW_SX_EUlSW_E_NS1_11comp_targetILNS1_3genE4ELNS1_11target_archE910ELNS1_3gpuE8ELNS1_3repE0EEENS1_30default_config_static_selectorELNS0_4arch9wavefront6targetE0EEEvT1_ ; -- Begin function _ZN7rocprim17ROCPRIM_400000_NS6detail17trampoline_kernelINS0_14default_configENS1_29reduce_by_key_config_selectorIyyN6thrust23THRUST_200600_302600_NS4plusIyEEEEZZNS1_33reduce_by_key_impl_wrapped_configILNS1_25lookback_scan_determinismE0ES3_S9_NS6_6detail15normal_iteratorINS6_10device_ptrIyEEEESG_SG_SG_PmS8_NS6_8equal_toIyEEEE10hipError_tPvRmT2_T3_mT4_T5_T6_T7_T8_P12ihipStream_tbENKUlT_T0_E_clISt17integral_constantIbLb1EES10_IbLb0EEEEDaSW_SX_EUlSW_E_NS1_11comp_targetILNS1_3genE4ELNS1_11target_archE910ELNS1_3gpuE8ELNS1_3repE0EEENS1_30default_config_static_selectorELNS0_4arch9wavefront6targetE0EEEvT1_
	.globl	_ZN7rocprim17ROCPRIM_400000_NS6detail17trampoline_kernelINS0_14default_configENS1_29reduce_by_key_config_selectorIyyN6thrust23THRUST_200600_302600_NS4plusIyEEEEZZNS1_33reduce_by_key_impl_wrapped_configILNS1_25lookback_scan_determinismE0ES3_S9_NS6_6detail15normal_iteratorINS6_10device_ptrIyEEEESG_SG_SG_PmS8_NS6_8equal_toIyEEEE10hipError_tPvRmT2_T3_mT4_T5_T6_T7_T8_P12ihipStream_tbENKUlT_T0_E_clISt17integral_constantIbLb1EES10_IbLb0EEEEDaSW_SX_EUlSW_E_NS1_11comp_targetILNS1_3genE4ELNS1_11target_archE910ELNS1_3gpuE8ELNS1_3repE0EEENS1_30default_config_static_selectorELNS0_4arch9wavefront6targetE0EEEvT1_
	.p2align	8
	.type	_ZN7rocprim17ROCPRIM_400000_NS6detail17trampoline_kernelINS0_14default_configENS1_29reduce_by_key_config_selectorIyyN6thrust23THRUST_200600_302600_NS4plusIyEEEEZZNS1_33reduce_by_key_impl_wrapped_configILNS1_25lookback_scan_determinismE0ES3_S9_NS6_6detail15normal_iteratorINS6_10device_ptrIyEEEESG_SG_SG_PmS8_NS6_8equal_toIyEEEE10hipError_tPvRmT2_T3_mT4_T5_T6_T7_T8_P12ihipStream_tbENKUlT_T0_E_clISt17integral_constantIbLb1EES10_IbLb0EEEEDaSW_SX_EUlSW_E_NS1_11comp_targetILNS1_3genE4ELNS1_11target_archE910ELNS1_3gpuE8ELNS1_3repE0EEENS1_30default_config_static_selectorELNS0_4arch9wavefront6targetE0EEEvT1_,@function
_ZN7rocprim17ROCPRIM_400000_NS6detail17trampoline_kernelINS0_14default_configENS1_29reduce_by_key_config_selectorIyyN6thrust23THRUST_200600_302600_NS4plusIyEEEEZZNS1_33reduce_by_key_impl_wrapped_configILNS1_25lookback_scan_determinismE0ES3_S9_NS6_6detail15normal_iteratorINS6_10device_ptrIyEEEESG_SG_SG_PmS8_NS6_8equal_toIyEEEE10hipError_tPvRmT2_T3_mT4_T5_T6_T7_T8_P12ihipStream_tbENKUlT_T0_E_clISt17integral_constantIbLb1EES10_IbLb0EEEEDaSW_SX_EUlSW_E_NS1_11comp_targetILNS1_3genE4ELNS1_11target_archE910ELNS1_3gpuE8ELNS1_3repE0EEENS1_30default_config_static_selectorELNS0_4arch9wavefront6targetE0EEEvT1_: ; @_ZN7rocprim17ROCPRIM_400000_NS6detail17trampoline_kernelINS0_14default_configENS1_29reduce_by_key_config_selectorIyyN6thrust23THRUST_200600_302600_NS4plusIyEEEEZZNS1_33reduce_by_key_impl_wrapped_configILNS1_25lookback_scan_determinismE0ES3_S9_NS6_6detail15normal_iteratorINS6_10device_ptrIyEEEESG_SG_SG_PmS8_NS6_8equal_toIyEEEE10hipError_tPvRmT2_T3_mT4_T5_T6_T7_T8_P12ihipStream_tbENKUlT_T0_E_clISt17integral_constantIbLb1EES10_IbLb0EEEEDaSW_SX_EUlSW_E_NS1_11comp_targetILNS1_3genE4ELNS1_11target_archE910ELNS1_3gpuE8ELNS1_3repE0EEENS1_30default_config_static_selectorELNS0_4arch9wavefront6targetE0EEEvT1_
; %bb.0:
	.section	.rodata,"a",@progbits
	.p2align	6, 0x0
	.amdhsa_kernel _ZN7rocprim17ROCPRIM_400000_NS6detail17trampoline_kernelINS0_14default_configENS1_29reduce_by_key_config_selectorIyyN6thrust23THRUST_200600_302600_NS4plusIyEEEEZZNS1_33reduce_by_key_impl_wrapped_configILNS1_25lookback_scan_determinismE0ES3_S9_NS6_6detail15normal_iteratorINS6_10device_ptrIyEEEESG_SG_SG_PmS8_NS6_8equal_toIyEEEE10hipError_tPvRmT2_T3_mT4_T5_T6_T7_T8_P12ihipStream_tbENKUlT_T0_E_clISt17integral_constantIbLb1EES10_IbLb0EEEEDaSW_SX_EUlSW_E_NS1_11comp_targetILNS1_3genE4ELNS1_11target_archE910ELNS1_3gpuE8ELNS1_3repE0EEENS1_30default_config_static_selectorELNS0_4arch9wavefront6targetE0EEEvT1_
		.amdhsa_group_segment_fixed_size 0
		.amdhsa_private_segment_fixed_size 0
		.amdhsa_kernarg_size 136
		.amdhsa_user_sgpr_count 15
		.amdhsa_user_sgpr_dispatch_ptr 0
		.amdhsa_user_sgpr_queue_ptr 0
		.amdhsa_user_sgpr_kernarg_segment_ptr 1
		.amdhsa_user_sgpr_dispatch_id 0
		.amdhsa_user_sgpr_private_segment_size 0
		.amdhsa_wavefront_size32 1
		.amdhsa_uses_dynamic_stack 0
		.amdhsa_enable_private_segment 0
		.amdhsa_system_sgpr_workgroup_id_x 1
		.amdhsa_system_sgpr_workgroup_id_y 0
		.amdhsa_system_sgpr_workgroup_id_z 0
		.amdhsa_system_sgpr_workgroup_info 0
		.amdhsa_system_vgpr_workitem_id 0
		.amdhsa_next_free_vgpr 1
		.amdhsa_next_free_sgpr 1
		.amdhsa_reserve_vcc 0
		.amdhsa_float_round_mode_32 0
		.amdhsa_float_round_mode_16_64 0
		.amdhsa_float_denorm_mode_32 3
		.amdhsa_float_denorm_mode_16_64 3
		.amdhsa_dx10_clamp 1
		.amdhsa_ieee_mode 1
		.amdhsa_fp16_overflow 0
		.amdhsa_workgroup_processor_mode 1
		.amdhsa_memory_ordered 1
		.amdhsa_forward_progress 0
		.amdhsa_shared_vgpr_count 0
		.amdhsa_exception_fp_ieee_invalid_op 0
		.amdhsa_exception_fp_denorm_src 0
		.amdhsa_exception_fp_ieee_div_zero 0
		.amdhsa_exception_fp_ieee_overflow 0
		.amdhsa_exception_fp_ieee_underflow 0
		.amdhsa_exception_fp_ieee_inexact 0
		.amdhsa_exception_int_div_zero 0
	.end_amdhsa_kernel
	.section	.text._ZN7rocprim17ROCPRIM_400000_NS6detail17trampoline_kernelINS0_14default_configENS1_29reduce_by_key_config_selectorIyyN6thrust23THRUST_200600_302600_NS4plusIyEEEEZZNS1_33reduce_by_key_impl_wrapped_configILNS1_25lookback_scan_determinismE0ES3_S9_NS6_6detail15normal_iteratorINS6_10device_ptrIyEEEESG_SG_SG_PmS8_NS6_8equal_toIyEEEE10hipError_tPvRmT2_T3_mT4_T5_T6_T7_T8_P12ihipStream_tbENKUlT_T0_E_clISt17integral_constantIbLb1EES10_IbLb0EEEEDaSW_SX_EUlSW_E_NS1_11comp_targetILNS1_3genE4ELNS1_11target_archE910ELNS1_3gpuE8ELNS1_3repE0EEENS1_30default_config_static_selectorELNS0_4arch9wavefront6targetE0EEEvT1_,"axG",@progbits,_ZN7rocprim17ROCPRIM_400000_NS6detail17trampoline_kernelINS0_14default_configENS1_29reduce_by_key_config_selectorIyyN6thrust23THRUST_200600_302600_NS4plusIyEEEEZZNS1_33reduce_by_key_impl_wrapped_configILNS1_25lookback_scan_determinismE0ES3_S9_NS6_6detail15normal_iteratorINS6_10device_ptrIyEEEESG_SG_SG_PmS8_NS6_8equal_toIyEEEE10hipError_tPvRmT2_T3_mT4_T5_T6_T7_T8_P12ihipStream_tbENKUlT_T0_E_clISt17integral_constantIbLb1EES10_IbLb0EEEEDaSW_SX_EUlSW_E_NS1_11comp_targetILNS1_3genE4ELNS1_11target_archE910ELNS1_3gpuE8ELNS1_3repE0EEENS1_30default_config_static_selectorELNS0_4arch9wavefront6targetE0EEEvT1_,comdat
.Lfunc_end260:
	.size	_ZN7rocprim17ROCPRIM_400000_NS6detail17trampoline_kernelINS0_14default_configENS1_29reduce_by_key_config_selectorIyyN6thrust23THRUST_200600_302600_NS4plusIyEEEEZZNS1_33reduce_by_key_impl_wrapped_configILNS1_25lookback_scan_determinismE0ES3_S9_NS6_6detail15normal_iteratorINS6_10device_ptrIyEEEESG_SG_SG_PmS8_NS6_8equal_toIyEEEE10hipError_tPvRmT2_T3_mT4_T5_T6_T7_T8_P12ihipStream_tbENKUlT_T0_E_clISt17integral_constantIbLb1EES10_IbLb0EEEEDaSW_SX_EUlSW_E_NS1_11comp_targetILNS1_3genE4ELNS1_11target_archE910ELNS1_3gpuE8ELNS1_3repE0EEENS1_30default_config_static_selectorELNS0_4arch9wavefront6targetE0EEEvT1_, .Lfunc_end260-_ZN7rocprim17ROCPRIM_400000_NS6detail17trampoline_kernelINS0_14default_configENS1_29reduce_by_key_config_selectorIyyN6thrust23THRUST_200600_302600_NS4plusIyEEEEZZNS1_33reduce_by_key_impl_wrapped_configILNS1_25lookback_scan_determinismE0ES3_S9_NS6_6detail15normal_iteratorINS6_10device_ptrIyEEEESG_SG_SG_PmS8_NS6_8equal_toIyEEEE10hipError_tPvRmT2_T3_mT4_T5_T6_T7_T8_P12ihipStream_tbENKUlT_T0_E_clISt17integral_constantIbLb1EES10_IbLb0EEEEDaSW_SX_EUlSW_E_NS1_11comp_targetILNS1_3genE4ELNS1_11target_archE910ELNS1_3gpuE8ELNS1_3repE0EEENS1_30default_config_static_selectorELNS0_4arch9wavefront6targetE0EEEvT1_
                                        ; -- End function
	.section	.AMDGPU.csdata,"",@progbits
; Kernel info:
; codeLenInByte = 0
; NumSgprs: 0
; NumVgprs: 0
; ScratchSize: 0
; MemoryBound: 0
; FloatMode: 240
; IeeeMode: 1
; LDSByteSize: 0 bytes/workgroup (compile time only)
; SGPRBlocks: 0
; VGPRBlocks: 0
; NumSGPRsForWavesPerEU: 1
; NumVGPRsForWavesPerEU: 1
; Occupancy: 16
; WaveLimiterHint : 0
; COMPUTE_PGM_RSRC2:SCRATCH_EN: 0
; COMPUTE_PGM_RSRC2:USER_SGPR: 15
; COMPUTE_PGM_RSRC2:TRAP_HANDLER: 0
; COMPUTE_PGM_RSRC2:TGID_X_EN: 1
; COMPUTE_PGM_RSRC2:TGID_Y_EN: 0
; COMPUTE_PGM_RSRC2:TGID_Z_EN: 0
; COMPUTE_PGM_RSRC2:TIDIG_COMP_CNT: 0
	.section	.text._ZN7rocprim17ROCPRIM_400000_NS6detail17trampoline_kernelINS0_14default_configENS1_29reduce_by_key_config_selectorIyyN6thrust23THRUST_200600_302600_NS4plusIyEEEEZZNS1_33reduce_by_key_impl_wrapped_configILNS1_25lookback_scan_determinismE0ES3_S9_NS6_6detail15normal_iteratorINS6_10device_ptrIyEEEESG_SG_SG_PmS8_NS6_8equal_toIyEEEE10hipError_tPvRmT2_T3_mT4_T5_T6_T7_T8_P12ihipStream_tbENKUlT_T0_E_clISt17integral_constantIbLb1EES10_IbLb0EEEEDaSW_SX_EUlSW_E_NS1_11comp_targetILNS1_3genE3ELNS1_11target_archE908ELNS1_3gpuE7ELNS1_3repE0EEENS1_30default_config_static_selectorELNS0_4arch9wavefront6targetE0EEEvT1_,"axG",@progbits,_ZN7rocprim17ROCPRIM_400000_NS6detail17trampoline_kernelINS0_14default_configENS1_29reduce_by_key_config_selectorIyyN6thrust23THRUST_200600_302600_NS4plusIyEEEEZZNS1_33reduce_by_key_impl_wrapped_configILNS1_25lookback_scan_determinismE0ES3_S9_NS6_6detail15normal_iteratorINS6_10device_ptrIyEEEESG_SG_SG_PmS8_NS6_8equal_toIyEEEE10hipError_tPvRmT2_T3_mT4_T5_T6_T7_T8_P12ihipStream_tbENKUlT_T0_E_clISt17integral_constantIbLb1EES10_IbLb0EEEEDaSW_SX_EUlSW_E_NS1_11comp_targetILNS1_3genE3ELNS1_11target_archE908ELNS1_3gpuE7ELNS1_3repE0EEENS1_30default_config_static_selectorELNS0_4arch9wavefront6targetE0EEEvT1_,comdat
	.protected	_ZN7rocprim17ROCPRIM_400000_NS6detail17trampoline_kernelINS0_14default_configENS1_29reduce_by_key_config_selectorIyyN6thrust23THRUST_200600_302600_NS4plusIyEEEEZZNS1_33reduce_by_key_impl_wrapped_configILNS1_25lookback_scan_determinismE0ES3_S9_NS6_6detail15normal_iteratorINS6_10device_ptrIyEEEESG_SG_SG_PmS8_NS6_8equal_toIyEEEE10hipError_tPvRmT2_T3_mT4_T5_T6_T7_T8_P12ihipStream_tbENKUlT_T0_E_clISt17integral_constantIbLb1EES10_IbLb0EEEEDaSW_SX_EUlSW_E_NS1_11comp_targetILNS1_3genE3ELNS1_11target_archE908ELNS1_3gpuE7ELNS1_3repE0EEENS1_30default_config_static_selectorELNS0_4arch9wavefront6targetE0EEEvT1_ ; -- Begin function _ZN7rocprim17ROCPRIM_400000_NS6detail17trampoline_kernelINS0_14default_configENS1_29reduce_by_key_config_selectorIyyN6thrust23THRUST_200600_302600_NS4plusIyEEEEZZNS1_33reduce_by_key_impl_wrapped_configILNS1_25lookback_scan_determinismE0ES3_S9_NS6_6detail15normal_iteratorINS6_10device_ptrIyEEEESG_SG_SG_PmS8_NS6_8equal_toIyEEEE10hipError_tPvRmT2_T3_mT4_T5_T6_T7_T8_P12ihipStream_tbENKUlT_T0_E_clISt17integral_constantIbLb1EES10_IbLb0EEEEDaSW_SX_EUlSW_E_NS1_11comp_targetILNS1_3genE3ELNS1_11target_archE908ELNS1_3gpuE7ELNS1_3repE0EEENS1_30default_config_static_selectorELNS0_4arch9wavefront6targetE0EEEvT1_
	.globl	_ZN7rocprim17ROCPRIM_400000_NS6detail17trampoline_kernelINS0_14default_configENS1_29reduce_by_key_config_selectorIyyN6thrust23THRUST_200600_302600_NS4plusIyEEEEZZNS1_33reduce_by_key_impl_wrapped_configILNS1_25lookback_scan_determinismE0ES3_S9_NS6_6detail15normal_iteratorINS6_10device_ptrIyEEEESG_SG_SG_PmS8_NS6_8equal_toIyEEEE10hipError_tPvRmT2_T3_mT4_T5_T6_T7_T8_P12ihipStream_tbENKUlT_T0_E_clISt17integral_constantIbLb1EES10_IbLb0EEEEDaSW_SX_EUlSW_E_NS1_11comp_targetILNS1_3genE3ELNS1_11target_archE908ELNS1_3gpuE7ELNS1_3repE0EEENS1_30default_config_static_selectorELNS0_4arch9wavefront6targetE0EEEvT1_
	.p2align	8
	.type	_ZN7rocprim17ROCPRIM_400000_NS6detail17trampoline_kernelINS0_14default_configENS1_29reduce_by_key_config_selectorIyyN6thrust23THRUST_200600_302600_NS4plusIyEEEEZZNS1_33reduce_by_key_impl_wrapped_configILNS1_25lookback_scan_determinismE0ES3_S9_NS6_6detail15normal_iteratorINS6_10device_ptrIyEEEESG_SG_SG_PmS8_NS6_8equal_toIyEEEE10hipError_tPvRmT2_T3_mT4_T5_T6_T7_T8_P12ihipStream_tbENKUlT_T0_E_clISt17integral_constantIbLb1EES10_IbLb0EEEEDaSW_SX_EUlSW_E_NS1_11comp_targetILNS1_3genE3ELNS1_11target_archE908ELNS1_3gpuE7ELNS1_3repE0EEENS1_30default_config_static_selectorELNS0_4arch9wavefront6targetE0EEEvT1_,@function
_ZN7rocprim17ROCPRIM_400000_NS6detail17trampoline_kernelINS0_14default_configENS1_29reduce_by_key_config_selectorIyyN6thrust23THRUST_200600_302600_NS4plusIyEEEEZZNS1_33reduce_by_key_impl_wrapped_configILNS1_25lookback_scan_determinismE0ES3_S9_NS6_6detail15normal_iteratorINS6_10device_ptrIyEEEESG_SG_SG_PmS8_NS6_8equal_toIyEEEE10hipError_tPvRmT2_T3_mT4_T5_T6_T7_T8_P12ihipStream_tbENKUlT_T0_E_clISt17integral_constantIbLb1EES10_IbLb0EEEEDaSW_SX_EUlSW_E_NS1_11comp_targetILNS1_3genE3ELNS1_11target_archE908ELNS1_3gpuE7ELNS1_3repE0EEENS1_30default_config_static_selectorELNS0_4arch9wavefront6targetE0EEEvT1_: ; @_ZN7rocprim17ROCPRIM_400000_NS6detail17trampoline_kernelINS0_14default_configENS1_29reduce_by_key_config_selectorIyyN6thrust23THRUST_200600_302600_NS4plusIyEEEEZZNS1_33reduce_by_key_impl_wrapped_configILNS1_25lookback_scan_determinismE0ES3_S9_NS6_6detail15normal_iteratorINS6_10device_ptrIyEEEESG_SG_SG_PmS8_NS6_8equal_toIyEEEE10hipError_tPvRmT2_T3_mT4_T5_T6_T7_T8_P12ihipStream_tbENKUlT_T0_E_clISt17integral_constantIbLb1EES10_IbLb0EEEEDaSW_SX_EUlSW_E_NS1_11comp_targetILNS1_3genE3ELNS1_11target_archE908ELNS1_3gpuE7ELNS1_3repE0EEENS1_30default_config_static_selectorELNS0_4arch9wavefront6targetE0EEEvT1_
; %bb.0:
	.section	.rodata,"a",@progbits
	.p2align	6, 0x0
	.amdhsa_kernel _ZN7rocprim17ROCPRIM_400000_NS6detail17trampoline_kernelINS0_14default_configENS1_29reduce_by_key_config_selectorIyyN6thrust23THRUST_200600_302600_NS4plusIyEEEEZZNS1_33reduce_by_key_impl_wrapped_configILNS1_25lookback_scan_determinismE0ES3_S9_NS6_6detail15normal_iteratorINS6_10device_ptrIyEEEESG_SG_SG_PmS8_NS6_8equal_toIyEEEE10hipError_tPvRmT2_T3_mT4_T5_T6_T7_T8_P12ihipStream_tbENKUlT_T0_E_clISt17integral_constantIbLb1EES10_IbLb0EEEEDaSW_SX_EUlSW_E_NS1_11comp_targetILNS1_3genE3ELNS1_11target_archE908ELNS1_3gpuE7ELNS1_3repE0EEENS1_30default_config_static_selectorELNS0_4arch9wavefront6targetE0EEEvT1_
		.amdhsa_group_segment_fixed_size 0
		.amdhsa_private_segment_fixed_size 0
		.amdhsa_kernarg_size 136
		.amdhsa_user_sgpr_count 15
		.amdhsa_user_sgpr_dispatch_ptr 0
		.amdhsa_user_sgpr_queue_ptr 0
		.amdhsa_user_sgpr_kernarg_segment_ptr 1
		.amdhsa_user_sgpr_dispatch_id 0
		.amdhsa_user_sgpr_private_segment_size 0
		.amdhsa_wavefront_size32 1
		.amdhsa_uses_dynamic_stack 0
		.amdhsa_enable_private_segment 0
		.amdhsa_system_sgpr_workgroup_id_x 1
		.amdhsa_system_sgpr_workgroup_id_y 0
		.amdhsa_system_sgpr_workgroup_id_z 0
		.amdhsa_system_sgpr_workgroup_info 0
		.amdhsa_system_vgpr_workitem_id 0
		.amdhsa_next_free_vgpr 1
		.amdhsa_next_free_sgpr 1
		.amdhsa_reserve_vcc 0
		.amdhsa_float_round_mode_32 0
		.amdhsa_float_round_mode_16_64 0
		.amdhsa_float_denorm_mode_32 3
		.amdhsa_float_denorm_mode_16_64 3
		.amdhsa_dx10_clamp 1
		.amdhsa_ieee_mode 1
		.amdhsa_fp16_overflow 0
		.amdhsa_workgroup_processor_mode 1
		.amdhsa_memory_ordered 1
		.amdhsa_forward_progress 0
		.amdhsa_shared_vgpr_count 0
		.amdhsa_exception_fp_ieee_invalid_op 0
		.amdhsa_exception_fp_denorm_src 0
		.amdhsa_exception_fp_ieee_div_zero 0
		.amdhsa_exception_fp_ieee_overflow 0
		.amdhsa_exception_fp_ieee_underflow 0
		.amdhsa_exception_fp_ieee_inexact 0
		.amdhsa_exception_int_div_zero 0
	.end_amdhsa_kernel
	.section	.text._ZN7rocprim17ROCPRIM_400000_NS6detail17trampoline_kernelINS0_14default_configENS1_29reduce_by_key_config_selectorIyyN6thrust23THRUST_200600_302600_NS4plusIyEEEEZZNS1_33reduce_by_key_impl_wrapped_configILNS1_25lookback_scan_determinismE0ES3_S9_NS6_6detail15normal_iteratorINS6_10device_ptrIyEEEESG_SG_SG_PmS8_NS6_8equal_toIyEEEE10hipError_tPvRmT2_T3_mT4_T5_T6_T7_T8_P12ihipStream_tbENKUlT_T0_E_clISt17integral_constantIbLb1EES10_IbLb0EEEEDaSW_SX_EUlSW_E_NS1_11comp_targetILNS1_3genE3ELNS1_11target_archE908ELNS1_3gpuE7ELNS1_3repE0EEENS1_30default_config_static_selectorELNS0_4arch9wavefront6targetE0EEEvT1_,"axG",@progbits,_ZN7rocprim17ROCPRIM_400000_NS6detail17trampoline_kernelINS0_14default_configENS1_29reduce_by_key_config_selectorIyyN6thrust23THRUST_200600_302600_NS4plusIyEEEEZZNS1_33reduce_by_key_impl_wrapped_configILNS1_25lookback_scan_determinismE0ES3_S9_NS6_6detail15normal_iteratorINS6_10device_ptrIyEEEESG_SG_SG_PmS8_NS6_8equal_toIyEEEE10hipError_tPvRmT2_T3_mT4_T5_T6_T7_T8_P12ihipStream_tbENKUlT_T0_E_clISt17integral_constantIbLb1EES10_IbLb0EEEEDaSW_SX_EUlSW_E_NS1_11comp_targetILNS1_3genE3ELNS1_11target_archE908ELNS1_3gpuE7ELNS1_3repE0EEENS1_30default_config_static_selectorELNS0_4arch9wavefront6targetE0EEEvT1_,comdat
.Lfunc_end261:
	.size	_ZN7rocprim17ROCPRIM_400000_NS6detail17trampoline_kernelINS0_14default_configENS1_29reduce_by_key_config_selectorIyyN6thrust23THRUST_200600_302600_NS4plusIyEEEEZZNS1_33reduce_by_key_impl_wrapped_configILNS1_25lookback_scan_determinismE0ES3_S9_NS6_6detail15normal_iteratorINS6_10device_ptrIyEEEESG_SG_SG_PmS8_NS6_8equal_toIyEEEE10hipError_tPvRmT2_T3_mT4_T5_T6_T7_T8_P12ihipStream_tbENKUlT_T0_E_clISt17integral_constantIbLb1EES10_IbLb0EEEEDaSW_SX_EUlSW_E_NS1_11comp_targetILNS1_3genE3ELNS1_11target_archE908ELNS1_3gpuE7ELNS1_3repE0EEENS1_30default_config_static_selectorELNS0_4arch9wavefront6targetE0EEEvT1_, .Lfunc_end261-_ZN7rocprim17ROCPRIM_400000_NS6detail17trampoline_kernelINS0_14default_configENS1_29reduce_by_key_config_selectorIyyN6thrust23THRUST_200600_302600_NS4plusIyEEEEZZNS1_33reduce_by_key_impl_wrapped_configILNS1_25lookback_scan_determinismE0ES3_S9_NS6_6detail15normal_iteratorINS6_10device_ptrIyEEEESG_SG_SG_PmS8_NS6_8equal_toIyEEEE10hipError_tPvRmT2_T3_mT4_T5_T6_T7_T8_P12ihipStream_tbENKUlT_T0_E_clISt17integral_constantIbLb1EES10_IbLb0EEEEDaSW_SX_EUlSW_E_NS1_11comp_targetILNS1_3genE3ELNS1_11target_archE908ELNS1_3gpuE7ELNS1_3repE0EEENS1_30default_config_static_selectorELNS0_4arch9wavefront6targetE0EEEvT1_
                                        ; -- End function
	.section	.AMDGPU.csdata,"",@progbits
; Kernel info:
; codeLenInByte = 0
; NumSgprs: 0
; NumVgprs: 0
; ScratchSize: 0
; MemoryBound: 0
; FloatMode: 240
; IeeeMode: 1
; LDSByteSize: 0 bytes/workgroup (compile time only)
; SGPRBlocks: 0
; VGPRBlocks: 0
; NumSGPRsForWavesPerEU: 1
; NumVGPRsForWavesPerEU: 1
; Occupancy: 16
; WaveLimiterHint : 0
; COMPUTE_PGM_RSRC2:SCRATCH_EN: 0
; COMPUTE_PGM_RSRC2:USER_SGPR: 15
; COMPUTE_PGM_RSRC2:TRAP_HANDLER: 0
; COMPUTE_PGM_RSRC2:TGID_X_EN: 1
; COMPUTE_PGM_RSRC2:TGID_Y_EN: 0
; COMPUTE_PGM_RSRC2:TGID_Z_EN: 0
; COMPUTE_PGM_RSRC2:TIDIG_COMP_CNT: 0
	.section	.text._ZN7rocprim17ROCPRIM_400000_NS6detail17trampoline_kernelINS0_14default_configENS1_29reduce_by_key_config_selectorIyyN6thrust23THRUST_200600_302600_NS4plusIyEEEEZZNS1_33reduce_by_key_impl_wrapped_configILNS1_25lookback_scan_determinismE0ES3_S9_NS6_6detail15normal_iteratorINS6_10device_ptrIyEEEESG_SG_SG_PmS8_NS6_8equal_toIyEEEE10hipError_tPvRmT2_T3_mT4_T5_T6_T7_T8_P12ihipStream_tbENKUlT_T0_E_clISt17integral_constantIbLb1EES10_IbLb0EEEEDaSW_SX_EUlSW_E_NS1_11comp_targetILNS1_3genE2ELNS1_11target_archE906ELNS1_3gpuE6ELNS1_3repE0EEENS1_30default_config_static_selectorELNS0_4arch9wavefront6targetE0EEEvT1_,"axG",@progbits,_ZN7rocprim17ROCPRIM_400000_NS6detail17trampoline_kernelINS0_14default_configENS1_29reduce_by_key_config_selectorIyyN6thrust23THRUST_200600_302600_NS4plusIyEEEEZZNS1_33reduce_by_key_impl_wrapped_configILNS1_25lookback_scan_determinismE0ES3_S9_NS6_6detail15normal_iteratorINS6_10device_ptrIyEEEESG_SG_SG_PmS8_NS6_8equal_toIyEEEE10hipError_tPvRmT2_T3_mT4_T5_T6_T7_T8_P12ihipStream_tbENKUlT_T0_E_clISt17integral_constantIbLb1EES10_IbLb0EEEEDaSW_SX_EUlSW_E_NS1_11comp_targetILNS1_3genE2ELNS1_11target_archE906ELNS1_3gpuE6ELNS1_3repE0EEENS1_30default_config_static_selectorELNS0_4arch9wavefront6targetE0EEEvT1_,comdat
	.protected	_ZN7rocprim17ROCPRIM_400000_NS6detail17trampoline_kernelINS0_14default_configENS1_29reduce_by_key_config_selectorIyyN6thrust23THRUST_200600_302600_NS4plusIyEEEEZZNS1_33reduce_by_key_impl_wrapped_configILNS1_25lookback_scan_determinismE0ES3_S9_NS6_6detail15normal_iteratorINS6_10device_ptrIyEEEESG_SG_SG_PmS8_NS6_8equal_toIyEEEE10hipError_tPvRmT2_T3_mT4_T5_T6_T7_T8_P12ihipStream_tbENKUlT_T0_E_clISt17integral_constantIbLb1EES10_IbLb0EEEEDaSW_SX_EUlSW_E_NS1_11comp_targetILNS1_3genE2ELNS1_11target_archE906ELNS1_3gpuE6ELNS1_3repE0EEENS1_30default_config_static_selectorELNS0_4arch9wavefront6targetE0EEEvT1_ ; -- Begin function _ZN7rocprim17ROCPRIM_400000_NS6detail17trampoline_kernelINS0_14default_configENS1_29reduce_by_key_config_selectorIyyN6thrust23THRUST_200600_302600_NS4plusIyEEEEZZNS1_33reduce_by_key_impl_wrapped_configILNS1_25lookback_scan_determinismE0ES3_S9_NS6_6detail15normal_iteratorINS6_10device_ptrIyEEEESG_SG_SG_PmS8_NS6_8equal_toIyEEEE10hipError_tPvRmT2_T3_mT4_T5_T6_T7_T8_P12ihipStream_tbENKUlT_T0_E_clISt17integral_constantIbLb1EES10_IbLb0EEEEDaSW_SX_EUlSW_E_NS1_11comp_targetILNS1_3genE2ELNS1_11target_archE906ELNS1_3gpuE6ELNS1_3repE0EEENS1_30default_config_static_selectorELNS0_4arch9wavefront6targetE0EEEvT1_
	.globl	_ZN7rocprim17ROCPRIM_400000_NS6detail17trampoline_kernelINS0_14default_configENS1_29reduce_by_key_config_selectorIyyN6thrust23THRUST_200600_302600_NS4plusIyEEEEZZNS1_33reduce_by_key_impl_wrapped_configILNS1_25lookback_scan_determinismE0ES3_S9_NS6_6detail15normal_iteratorINS6_10device_ptrIyEEEESG_SG_SG_PmS8_NS6_8equal_toIyEEEE10hipError_tPvRmT2_T3_mT4_T5_T6_T7_T8_P12ihipStream_tbENKUlT_T0_E_clISt17integral_constantIbLb1EES10_IbLb0EEEEDaSW_SX_EUlSW_E_NS1_11comp_targetILNS1_3genE2ELNS1_11target_archE906ELNS1_3gpuE6ELNS1_3repE0EEENS1_30default_config_static_selectorELNS0_4arch9wavefront6targetE0EEEvT1_
	.p2align	8
	.type	_ZN7rocprim17ROCPRIM_400000_NS6detail17trampoline_kernelINS0_14default_configENS1_29reduce_by_key_config_selectorIyyN6thrust23THRUST_200600_302600_NS4plusIyEEEEZZNS1_33reduce_by_key_impl_wrapped_configILNS1_25lookback_scan_determinismE0ES3_S9_NS6_6detail15normal_iteratorINS6_10device_ptrIyEEEESG_SG_SG_PmS8_NS6_8equal_toIyEEEE10hipError_tPvRmT2_T3_mT4_T5_T6_T7_T8_P12ihipStream_tbENKUlT_T0_E_clISt17integral_constantIbLb1EES10_IbLb0EEEEDaSW_SX_EUlSW_E_NS1_11comp_targetILNS1_3genE2ELNS1_11target_archE906ELNS1_3gpuE6ELNS1_3repE0EEENS1_30default_config_static_selectorELNS0_4arch9wavefront6targetE0EEEvT1_,@function
_ZN7rocprim17ROCPRIM_400000_NS6detail17trampoline_kernelINS0_14default_configENS1_29reduce_by_key_config_selectorIyyN6thrust23THRUST_200600_302600_NS4plusIyEEEEZZNS1_33reduce_by_key_impl_wrapped_configILNS1_25lookback_scan_determinismE0ES3_S9_NS6_6detail15normal_iteratorINS6_10device_ptrIyEEEESG_SG_SG_PmS8_NS6_8equal_toIyEEEE10hipError_tPvRmT2_T3_mT4_T5_T6_T7_T8_P12ihipStream_tbENKUlT_T0_E_clISt17integral_constantIbLb1EES10_IbLb0EEEEDaSW_SX_EUlSW_E_NS1_11comp_targetILNS1_3genE2ELNS1_11target_archE906ELNS1_3gpuE6ELNS1_3repE0EEENS1_30default_config_static_selectorELNS0_4arch9wavefront6targetE0EEEvT1_: ; @_ZN7rocprim17ROCPRIM_400000_NS6detail17trampoline_kernelINS0_14default_configENS1_29reduce_by_key_config_selectorIyyN6thrust23THRUST_200600_302600_NS4plusIyEEEEZZNS1_33reduce_by_key_impl_wrapped_configILNS1_25lookback_scan_determinismE0ES3_S9_NS6_6detail15normal_iteratorINS6_10device_ptrIyEEEESG_SG_SG_PmS8_NS6_8equal_toIyEEEE10hipError_tPvRmT2_T3_mT4_T5_T6_T7_T8_P12ihipStream_tbENKUlT_T0_E_clISt17integral_constantIbLb1EES10_IbLb0EEEEDaSW_SX_EUlSW_E_NS1_11comp_targetILNS1_3genE2ELNS1_11target_archE906ELNS1_3gpuE6ELNS1_3repE0EEENS1_30default_config_static_selectorELNS0_4arch9wavefront6targetE0EEEvT1_
; %bb.0:
	.section	.rodata,"a",@progbits
	.p2align	6, 0x0
	.amdhsa_kernel _ZN7rocprim17ROCPRIM_400000_NS6detail17trampoline_kernelINS0_14default_configENS1_29reduce_by_key_config_selectorIyyN6thrust23THRUST_200600_302600_NS4plusIyEEEEZZNS1_33reduce_by_key_impl_wrapped_configILNS1_25lookback_scan_determinismE0ES3_S9_NS6_6detail15normal_iteratorINS6_10device_ptrIyEEEESG_SG_SG_PmS8_NS6_8equal_toIyEEEE10hipError_tPvRmT2_T3_mT4_T5_T6_T7_T8_P12ihipStream_tbENKUlT_T0_E_clISt17integral_constantIbLb1EES10_IbLb0EEEEDaSW_SX_EUlSW_E_NS1_11comp_targetILNS1_3genE2ELNS1_11target_archE906ELNS1_3gpuE6ELNS1_3repE0EEENS1_30default_config_static_selectorELNS0_4arch9wavefront6targetE0EEEvT1_
		.amdhsa_group_segment_fixed_size 0
		.amdhsa_private_segment_fixed_size 0
		.amdhsa_kernarg_size 136
		.amdhsa_user_sgpr_count 15
		.amdhsa_user_sgpr_dispatch_ptr 0
		.amdhsa_user_sgpr_queue_ptr 0
		.amdhsa_user_sgpr_kernarg_segment_ptr 1
		.amdhsa_user_sgpr_dispatch_id 0
		.amdhsa_user_sgpr_private_segment_size 0
		.amdhsa_wavefront_size32 1
		.amdhsa_uses_dynamic_stack 0
		.amdhsa_enable_private_segment 0
		.amdhsa_system_sgpr_workgroup_id_x 1
		.amdhsa_system_sgpr_workgroup_id_y 0
		.amdhsa_system_sgpr_workgroup_id_z 0
		.amdhsa_system_sgpr_workgroup_info 0
		.amdhsa_system_vgpr_workitem_id 0
		.amdhsa_next_free_vgpr 1
		.amdhsa_next_free_sgpr 1
		.amdhsa_reserve_vcc 0
		.amdhsa_float_round_mode_32 0
		.amdhsa_float_round_mode_16_64 0
		.amdhsa_float_denorm_mode_32 3
		.amdhsa_float_denorm_mode_16_64 3
		.amdhsa_dx10_clamp 1
		.amdhsa_ieee_mode 1
		.amdhsa_fp16_overflow 0
		.amdhsa_workgroup_processor_mode 1
		.amdhsa_memory_ordered 1
		.amdhsa_forward_progress 0
		.amdhsa_shared_vgpr_count 0
		.amdhsa_exception_fp_ieee_invalid_op 0
		.amdhsa_exception_fp_denorm_src 0
		.amdhsa_exception_fp_ieee_div_zero 0
		.amdhsa_exception_fp_ieee_overflow 0
		.amdhsa_exception_fp_ieee_underflow 0
		.amdhsa_exception_fp_ieee_inexact 0
		.amdhsa_exception_int_div_zero 0
	.end_amdhsa_kernel
	.section	.text._ZN7rocprim17ROCPRIM_400000_NS6detail17trampoline_kernelINS0_14default_configENS1_29reduce_by_key_config_selectorIyyN6thrust23THRUST_200600_302600_NS4plusIyEEEEZZNS1_33reduce_by_key_impl_wrapped_configILNS1_25lookback_scan_determinismE0ES3_S9_NS6_6detail15normal_iteratorINS6_10device_ptrIyEEEESG_SG_SG_PmS8_NS6_8equal_toIyEEEE10hipError_tPvRmT2_T3_mT4_T5_T6_T7_T8_P12ihipStream_tbENKUlT_T0_E_clISt17integral_constantIbLb1EES10_IbLb0EEEEDaSW_SX_EUlSW_E_NS1_11comp_targetILNS1_3genE2ELNS1_11target_archE906ELNS1_3gpuE6ELNS1_3repE0EEENS1_30default_config_static_selectorELNS0_4arch9wavefront6targetE0EEEvT1_,"axG",@progbits,_ZN7rocprim17ROCPRIM_400000_NS6detail17trampoline_kernelINS0_14default_configENS1_29reduce_by_key_config_selectorIyyN6thrust23THRUST_200600_302600_NS4plusIyEEEEZZNS1_33reduce_by_key_impl_wrapped_configILNS1_25lookback_scan_determinismE0ES3_S9_NS6_6detail15normal_iteratorINS6_10device_ptrIyEEEESG_SG_SG_PmS8_NS6_8equal_toIyEEEE10hipError_tPvRmT2_T3_mT4_T5_T6_T7_T8_P12ihipStream_tbENKUlT_T0_E_clISt17integral_constantIbLb1EES10_IbLb0EEEEDaSW_SX_EUlSW_E_NS1_11comp_targetILNS1_3genE2ELNS1_11target_archE906ELNS1_3gpuE6ELNS1_3repE0EEENS1_30default_config_static_selectorELNS0_4arch9wavefront6targetE0EEEvT1_,comdat
.Lfunc_end262:
	.size	_ZN7rocprim17ROCPRIM_400000_NS6detail17trampoline_kernelINS0_14default_configENS1_29reduce_by_key_config_selectorIyyN6thrust23THRUST_200600_302600_NS4plusIyEEEEZZNS1_33reduce_by_key_impl_wrapped_configILNS1_25lookback_scan_determinismE0ES3_S9_NS6_6detail15normal_iteratorINS6_10device_ptrIyEEEESG_SG_SG_PmS8_NS6_8equal_toIyEEEE10hipError_tPvRmT2_T3_mT4_T5_T6_T7_T8_P12ihipStream_tbENKUlT_T0_E_clISt17integral_constantIbLb1EES10_IbLb0EEEEDaSW_SX_EUlSW_E_NS1_11comp_targetILNS1_3genE2ELNS1_11target_archE906ELNS1_3gpuE6ELNS1_3repE0EEENS1_30default_config_static_selectorELNS0_4arch9wavefront6targetE0EEEvT1_, .Lfunc_end262-_ZN7rocprim17ROCPRIM_400000_NS6detail17trampoline_kernelINS0_14default_configENS1_29reduce_by_key_config_selectorIyyN6thrust23THRUST_200600_302600_NS4plusIyEEEEZZNS1_33reduce_by_key_impl_wrapped_configILNS1_25lookback_scan_determinismE0ES3_S9_NS6_6detail15normal_iteratorINS6_10device_ptrIyEEEESG_SG_SG_PmS8_NS6_8equal_toIyEEEE10hipError_tPvRmT2_T3_mT4_T5_T6_T7_T8_P12ihipStream_tbENKUlT_T0_E_clISt17integral_constantIbLb1EES10_IbLb0EEEEDaSW_SX_EUlSW_E_NS1_11comp_targetILNS1_3genE2ELNS1_11target_archE906ELNS1_3gpuE6ELNS1_3repE0EEENS1_30default_config_static_selectorELNS0_4arch9wavefront6targetE0EEEvT1_
                                        ; -- End function
	.section	.AMDGPU.csdata,"",@progbits
; Kernel info:
; codeLenInByte = 0
; NumSgprs: 0
; NumVgprs: 0
; ScratchSize: 0
; MemoryBound: 0
; FloatMode: 240
; IeeeMode: 1
; LDSByteSize: 0 bytes/workgroup (compile time only)
; SGPRBlocks: 0
; VGPRBlocks: 0
; NumSGPRsForWavesPerEU: 1
; NumVGPRsForWavesPerEU: 1
; Occupancy: 16
; WaveLimiterHint : 0
; COMPUTE_PGM_RSRC2:SCRATCH_EN: 0
; COMPUTE_PGM_RSRC2:USER_SGPR: 15
; COMPUTE_PGM_RSRC2:TRAP_HANDLER: 0
; COMPUTE_PGM_RSRC2:TGID_X_EN: 1
; COMPUTE_PGM_RSRC2:TGID_Y_EN: 0
; COMPUTE_PGM_RSRC2:TGID_Z_EN: 0
; COMPUTE_PGM_RSRC2:TIDIG_COMP_CNT: 0
	.section	.text._ZN7rocprim17ROCPRIM_400000_NS6detail17trampoline_kernelINS0_14default_configENS1_29reduce_by_key_config_selectorIyyN6thrust23THRUST_200600_302600_NS4plusIyEEEEZZNS1_33reduce_by_key_impl_wrapped_configILNS1_25lookback_scan_determinismE0ES3_S9_NS6_6detail15normal_iteratorINS6_10device_ptrIyEEEESG_SG_SG_PmS8_NS6_8equal_toIyEEEE10hipError_tPvRmT2_T3_mT4_T5_T6_T7_T8_P12ihipStream_tbENKUlT_T0_E_clISt17integral_constantIbLb1EES10_IbLb0EEEEDaSW_SX_EUlSW_E_NS1_11comp_targetILNS1_3genE10ELNS1_11target_archE1201ELNS1_3gpuE5ELNS1_3repE0EEENS1_30default_config_static_selectorELNS0_4arch9wavefront6targetE0EEEvT1_,"axG",@progbits,_ZN7rocprim17ROCPRIM_400000_NS6detail17trampoline_kernelINS0_14default_configENS1_29reduce_by_key_config_selectorIyyN6thrust23THRUST_200600_302600_NS4plusIyEEEEZZNS1_33reduce_by_key_impl_wrapped_configILNS1_25lookback_scan_determinismE0ES3_S9_NS6_6detail15normal_iteratorINS6_10device_ptrIyEEEESG_SG_SG_PmS8_NS6_8equal_toIyEEEE10hipError_tPvRmT2_T3_mT4_T5_T6_T7_T8_P12ihipStream_tbENKUlT_T0_E_clISt17integral_constantIbLb1EES10_IbLb0EEEEDaSW_SX_EUlSW_E_NS1_11comp_targetILNS1_3genE10ELNS1_11target_archE1201ELNS1_3gpuE5ELNS1_3repE0EEENS1_30default_config_static_selectorELNS0_4arch9wavefront6targetE0EEEvT1_,comdat
	.protected	_ZN7rocprim17ROCPRIM_400000_NS6detail17trampoline_kernelINS0_14default_configENS1_29reduce_by_key_config_selectorIyyN6thrust23THRUST_200600_302600_NS4plusIyEEEEZZNS1_33reduce_by_key_impl_wrapped_configILNS1_25lookback_scan_determinismE0ES3_S9_NS6_6detail15normal_iteratorINS6_10device_ptrIyEEEESG_SG_SG_PmS8_NS6_8equal_toIyEEEE10hipError_tPvRmT2_T3_mT4_T5_T6_T7_T8_P12ihipStream_tbENKUlT_T0_E_clISt17integral_constantIbLb1EES10_IbLb0EEEEDaSW_SX_EUlSW_E_NS1_11comp_targetILNS1_3genE10ELNS1_11target_archE1201ELNS1_3gpuE5ELNS1_3repE0EEENS1_30default_config_static_selectorELNS0_4arch9wavefront6targetE0EEEvT1_ ; -- Begin function _ZN7rocprim17ROCPRIM_400000_NS6detail17trampoline_kernelINS0_14default_configENS1_29reduce_by_key_config_selectorIyyN6thrust23THRUST_200600_302600_NS4plusIyEEEEZZNS1_33reduce_by_key_impl_wrapped_configILNS1_25lookback_scan_determinismE0ES3_S9_NS6_6detail15normal_iteratorINS6_10device_ptrIyEEEESG_SG_SG_PmS8_NS6_8equal_toIyEEEE10hipError_tPvRmT2_T3_mT4_T5_T6_T7_T8_P12ihipStream_tbENKUlT_T0_E_clISt17integral_constantIbLb1EES10_IbLb0EEEEDaSW_SX_EUlSW_E_NS1_11comp_targetILNS1_3genE10ELNS1_11target_archE1201ELNS1_3gpuE5ELNS1_3repE0EEENS1_30default_config_static_selectorELNS0_4arch9wavefront6targetE0EEEvT1_
	.globl	_ZN7rocprim17ROCPRIM_400000_NS6detail17trampoline_kernelINS0_14default_configENS1_29reduce_by_key_config_selectorIyyN6thrust23THRUST_200600_302600_NS4plusIyEEEEZZNS1_33reduce_by_key_impl_wrapped_configILNS1_25lookback_scan_determinismE0ES3_S9_NS6_6detail15normal_iteratorINS6_10device_ptrIyEEEESG_SG_SG_PmS8_NS6_8equal_toIyEEEE10hipError_tPvRmT2_T3_mT4_T5_T6_T7_T8_P12ihipStream_tbENKUlT_T0_E_clISt17integral_constantIbLb1EES10_IbLb0EEEEDaSW_SX_EUlSW_E_NS1_11comp_targetILNS1_3genE10ELNS1_11target_archE1201ELNS1_3gpuE5ELNS1_3repE0EEENS1_30default_config_static_selectorELNS0_4arch9wavefront6targetE0EEEvT1_
	.p2align	8
	.type	_ZN7rocprim17ROCPRIM_400000_NS6detail17trampoline_kernelINS0_14default_configENS1_29reduce_by_key_config_selectorIyyN6thrust23THRUST_200600_302600_NS4plusIyEEEEZZNS1_33reduce_by_key_impl_wrapped_configILNS1_25lookback_scan_determinismE0ES3_S9_NS6_6detail15normal_iteratorINS6_10device_ptrIyEEEESG_SG_SG_PmS8_NS6_8equal_toIyEEEE10hipError_tPvRmT2_T3_mT4_T5_T6_T7_T8_P12ihipStream_tbENKUlT_T0_E_clISt17integral_constantIbLb1EES10_IbLb0EEEEDaSW_SX_EUlSW_E_NS1_11comp_targetILNS1_3genE10ELNS1_11target_archE1201ELNS1_3gpuE5ELNS1_3repE0EEENS1_30default_config_static_selectorELNS0_4arch9wavefront6targetE0EEEvT1_,@function
_ZN7rocprim17ROCPRIM_400000_NS6detail17trampoline_kernelINS0_14default_configENS1_29reduce_by_key_config_selectorIyyN6thrust23THRUST_200600_302600_NS4plusIyEEEEZZNS1_33reduce_by_key_impl_wrapped_configILNS1_25lookback_scan_determinismE0ES3_S9_NS6_6detail15normal_iteratorINS6_10device_ptrIyEEEESG_SG_SG_PmS8_NS6_8equal_toIyEEEE10hipError_tPvRmT2_T3_mT4_T5_T6_T7_T8_P12ihipStream_tbENKUlT_T0_E_clISt17integral_constantIbLb1EES10_IbLb0EEEEDaSW_SX_EUlSW_E_NS1_11comp_targetILNS1_3genE10ELNS1_11target_archE1201ELNS1_3gpuE5ELNS1_3repE0EEENS1_30default_config_static_selectorELNS0_4arch9wavefront6targetE0EEEvT1_: ; @_ZN7rocprim17ROCPRIM_400000_NS6detail17trampoline_kernelINS0_14default_configENS1_29reduce_by_key_config_selectorIyyN6thrust23THRUST_200600_302600_NS4plusIyEEEEZZNS1_33reduce_by_key_impl_wrapped_configILNS1_25lookback_scan_determinismE0ES3_S9_NS6_6detail15normal_iteratorINS6_10device_ptrIyEEEESG_SG_SG_PmS8_NS6_8equal_toIyEEEE10hipError_tPvRmT2_T3_mT4_T5_T6_T7_T8_P12ihipStream_tbENKUlT_T0_E_clISt17integral_constantIbLb1EES10_IbLb0EEEEDaSW_SX_EUlSW_E_NS1_11comp_targetILNS1_3genE10ELNS1_11target_archE1201ELNS1_3gpuE5ELNS1_3repE0EEENS1_30default_config_static_selectorELNS0_4arch9wavefront6targetE0EEEvT1_
; %bb.0:
	.section	.rodata,"a",@progbits
	.p2align	6, 0x0
	.amdhsa_kernel _ZN7rocprim17ROCPRIM_400000_NS6detail17trampoline_kernelINS0_14default_configENS1_29reduce_by_key_config_selectorIyyN6thrust23THRUST_200600_302600_NS4plusIyEEEEZZNS1_33reduce_by_key_impl_wrapped_configILNS1_25lookback_scan_determinismE0ES3_S9_NS6_6detail15normal_iteratorINS6_10device_ptrIyEEEESG_SG_SG_PmS8_NS6_8equal_toIyEEEE10hipError_tPvRmT2_T3_mT4_T5_T6_T7_T8_P12ihipStream_tbENKUlT_T0_E_clISt17integral_constantIbLb1EES10_IbLb0EEEEDaSW_SX_EUlSW_E_NS1_11comp_targetILNS1_3genE10ELNS1_11target_archE1201ELNS1_3gpuE5ELNS1_3repE0EEENS1_30default_config_static_selectorELNS0_4arch9wavefront6targetE0EEEvT1_
		.amdhsa_group_segment_fixed_size 0
		.amdhsa_private_segment_fixed_size 0
		.amdhsa_kernarg_size 136
		.amdhsa_user_sgpr_count 15
		.amdhsa_user_sgpr_dispatch_ptr 0
		.amdhsa_user_sgpr_queue_ptr 0
		.amdhsa_user_sgpr_kernarg_segment_ptr 1
		.amdhsa_user_sgpr_dispatch_id 0
		.amdhsa_user_sgpr_private_segment_size 0
		.amdhsa_wavefront_size32 1
		.amdhsa_uses_dynamic_stack 0
		.amdhsa_enable_private_segment 0
		.amdhsa_system_sgpr_workgroup_id_x 1
		.amdhsa_system_sgpr_workgroup_id_y 0
		.amdhsa_system_sgpr_workgroup_id_z 0
		.amdhsa_system_sgpr_workgroup_info 0
		.amdhsa_system_vgpr_workitem_id 0
		.amdhsa_next_free_vgpr 1
		.amdhsa_next_free_sgpr 1
		.amdhsa_reserve_vcc 0
		.amdhsa_float_round_mode_32 0
		.amdhsa_float_round_mode_16_64 0
		.amdhsa_float_denorm_mode_32 3
		.amdhsa_float_denorm_mode_16_64 3
		.amdhsa_dx10_clamp 1
		.amdhsa_ieee_mode 1
		.amdhsa_fp16_overflow 0
		.amdhsa_workgroup_processor_mode 1
		.amdhsa_memory_ordered 1
		.amdhsa_forward_progress 0
		.amdhsa_shared_vgpr_count 0
		.amdhsa_exception_fp_ieee_invalid_op 0
		.amdhsa_exception_fp_denorm_src 0
		.amdhsa_exception_fp_ieee_div_zero 0
		.amdhsa_exception_fp_ieee_overflow 0
		.amdhsa_exception_fp_ieee_underflow 0
		.amdhsa_exception_fp_ieee_inexact 0
		.amdhsa_exception_int_div_zero 0
	.end_amdhsa_kernel
	.section	.text._ZN7rocprim17ROCPRIM_400000_NS6detail17trampoline_kernelINS0_14default_configENS1_29reduce_by_key_config_selectorIyyN6thrust23THRUST_200600_302600_NS4plusIyEEEEZZNS1_33reduce_by_key_impl_wrapped_configILNS1_25lookback_scan_determinismE0ES3_S9_NS6_6detail15normal_iteratorINS6_10device_ptrIyEEEESG_SG_SG_PmS8_NS6_8equal_toIyEEEE10hipError_tPvRmT2_T3_mT4_T5_T6_T7_T8_P12ihipStream_tbENKUlT_T0_E_clISt17integral_constantIbLb1EES10_IbLb0EEEEDaSW_SX_EUlSW_E_NS1_11comp_targetILNS1_3genE10ELNS1_11target_archE1201ELNS1_3gpuE5ELNS1_3repE0EEENS1_30default_config_static_selectorELNS0_4arch9wavefront6targetE0EEEvT1_,"axG",@progbits,_ZN7rocprim17ROCPRIM_400000_NS6detail17trampoline_kernelINS0_14default_configENS1_29reduce_by_key_config_selectorIyyN6thrust23THRUST_200600_302600_NS4plusIyEEEEZZNS1_33reduce_by_key_impl_wrapped_configILNS1_25lookback_scan_determinismE0ES3_S9_NS6_6detail15normal_iteratorINS6_10device_ptrIyEEEESG_SG_SG_PmS8_NS6_8equal_toIyEEEE10hipError_tPvRmT2_T3_mT4_T5_T6_T7_T8_P12ihipStream_tbENKUlT_T0_E_clISt17integral_constantIbLb1EES10_IbLb0EEEEDaSW_SX_EUlSW_E_NS1_11comp_targetILNS1_3genE10ELNS1_11target_archE1201ELNS1_3gpuE5ELNS1_3repE0EEENS1_30default_config_static_selectorELNS0_4arch9wavefront6targetE0EEEvT1_,comdat
.Lfunc_end263:
	.size	_ZN7rocprim17ROCPRIM_400000_NS6detail17trampoline_kernelINS0_14default_configENS1_29reduce_by_key_config_selectorIyyN6thrust23THRUST_200600_302600_NS4plusIyEEEEZZNS1_33reduce_by_key_impl_wrapped_configILNS1_25lookback_scan_determinismE0ES3_S9_NS6_6detail15normal_iteratorINS6_10device_ptrIyEEEESG_SG_SG_PmS8_NS6_8equal_toIyEEEE10hipError_tPvRmT2_T3_mT4_T5_T6_T7_T8_P12ihipStream_tbENKUlT_T0_E_clISt17integral_constantIbLb1EES10_IbLb0EEEEDaSW_SX_EUlSW_E_NS1_11comp_targetILNS1_3genE10ELNS1_11target_archE1201ELNS1_3gpuE5ELNS1_3repE0EEENS1_30default_config_static_selectorELNS0_4arch9wavefront6targetE0EEEvT1_, .Lfunc_end263-_ZN7rocprim17ROCPRIM_400000_NS6detail17trampoline_kernelINS0_14default_configENS1_29reduce_by_key_config_selectorIyyN6thrust23THRUST_200600_302600_NS4plusIyEEEEZZNS1_33reduce_by_key_impl_wrapped_configILNS1_25lookback_scan_determinismE0ES3_S9_NS6_6detail15normal_iteratorINS6_10device_ptrIyEEEESG_SG_SG_PmS8_NS6_8equal_toIyEEEE10hipError_tPvRmT2_T3_mT4_T5_T6_T7_T8_P12ihipStream_tbENKUlT_T0_E_clISt17integral_constantIbLb1EES10_IbLb0EEEEDaSW_SX_EUlSW_E_NS1_11comp_targetILNS1_3genE10ELNS1_11target_archE1201ELNS1_3gpuE5ELNS1_3repE0EEENS1_30default_config_static_selectorELNS0_4arch9wavefront6targetE0EEEvT1_
                                        ; -- End function
	.section	.AMDGPU.csdata,"",@progbits
; Kernel info:
; codeLenInByte = 0
; NumSgprs: 0
; NumVgprs: 0
; ScratchSize: 0
; MemoryBound: 0
; FloatMode: 240
; IeeeMode: 1
; LDSByteSize: 0 bytes/workgroup (compile time only)
; SGPRBlocks: 0
; VGPRBlocks: 0
; NumSGPRsForWavesPerEU: 1
; NumVGPRsForWavesPerEU: 1
; Occupancy: 16
; WaveLimiterHint : 0
; COMPUTE_PGM_RSRC2:SCRATCH_EN: 0
; COMPUTE_PGM_RSRC2:USER_SGPR: 15
; COMPUTE_PGM_RSRC2:TRAP_HANDLER: 0
; COMPUTE_PGM_RSRC2:TGID_X_EN: 1
; COMPUTE_PGM_RSRC2:TGID_Y_EN: 0
; COMPUTE_PGM_RSRC2:TGID_Z_EN: 0
; COMPUTE_PGM_RSRC2:TIDIG_COMP_CNT: 0
	.section	.text._ZN7rocprim17ROCPRIM_400000_NS6detail17trampoline_kernelINS0_14default_configENS1_29reduce_by_key_config_selectorIyyN6thrust23THRUST_200600_302600_NS4plusIyEEEEZZNS1_33reduce_by_key_impl_wrapped_configILNS1_25lookback_scan_determinismE0ES3_S9_NS6_6detail15normal_iteratorINS6_10device_ptrIyEEEESG_SG_SG_PmS8_NS6_8equal_toIyEEEE10hipError_tPvRmT2_T3_mT4_T5_T6_T7_T8_P12ihipStream_tbENKUlT_T0_E_clISt17integral_constantIbLb1EES10_IbLb0EEEEDaSW_SX_EUlSW_E_NS1_11comp_targetILNS1_3genE10ELNS1_11target_archE1200ELNS1_3gpuE4ELNS1_3repE0EEENS1_30default_config_static_selectorELNS0_4arch9wavefront6targetE0EEEvT1_,"axG",@progbits,_ZN7rocprim17ROCPRIM_400000_NS6detail17trampoline_kernelINS0_14default_configENS1_29reduce_by_key_config_selectorIyyN6thrust23THRUST_200600_302600_NS4plusIyEEEEZZNS1_33reduce_by_key_impl_wrapped_configILNS1_25lookback_scan_determinismE0ES3_S9_NS6_6detail15normal_iteratorINS6_10device_ptrIyEEEESG_SG_SG_PmS8_NS6_8equal_toIyEEEE10hipError_tPvRmT2_T3_mT4_T5_T6_T7_T8_P12ihipStream_tbENKUlT_T0_E_clISt17integral_constantIbLb1EES10_IbLb0EEEEDaSW_SX_EUlSW_E_NS1_11comp_targetILNS1_3genE10ELNS1_11target_archE1200ELNS1_3gpuE4ELNS1_3repE0EEENS1_30default_config_static_selectorELNS0_4arch9wavefront6targetE0EEEvT1_,comdat
	.protected	_ZN7rocprim17ROCPRIM_400000_NS6detail17trampoline_kernelINS0_14default_configENS1_29reduce_by_key_config_selectorIyyN6thrust23THRUST_200600_302600_NS4plusIyEEEEZZNS1_33reduce_by_key_impl_wrapped_configILNS1_25lookback_scan_determinismE0ES3_S9_NS6_6detail15normal_iteratorINS6_10device_ptrIyEEEESG_SG_SG_PmS8_NS6_8equal_toIyEEEE10hipError_tPvRmT2_T3_mT4_T5_T6_T7_T8_P12ihipStream_tbENKUlT_T0_E_clISt17integral_constantIbLb1EES10_IbLb0EEEEDaSW_SX_EUlSW_E_NS1_11comp_targetILNS1_3genE10ELNS1_11target_archE1200ELNS1_3gpuE4ELNS1_3repE0EEENS1_30default_config_static_selectorELNS0_4arch9wavefront6targetE0EEEvT1_ ; -- Begin function _ZN7rocprim17ROCPRIM_400000_NS6detail17trampoline_kernelINS0_14default_configENS1_29reduce_by_key_config_selectorIyyN6thrust23THRUST_200600_302600_NS4plusIyEEEEZZNS1_33reduce_by_key_impl_wrapped_configILNS1_25lookback_scan_determinismE0ES3_S9_NS6_6detail15normal_iteratorINS6_10device_ptrIyEEEESG_SG_SG_PmS8_NS6_8equal_toIyEEEE10hipError_tPvRmT2_T3_mT4_T5_T6_T7_T8_P12ihipStream_tbENKUlT_T0_E_clISt17integral_constantIbLb1EES10_IbLb0EEEEDaSW_SX_EUlSW_E_NS1_11comp_targetILNS1_3genE10ELNS1_11target_archE1200ELNS1_3gpuE4ELNS1_3repE0EEENS1_30default_config_static_selectorELNS0_4arch9wavefront6targetE0EEEvT1_
	.globl	_ZN7rocprim17ROCPRIM_400000_NS6detail17trampoline_kernelINS0_14default_configENS1_29reduce_by_key_config_selectorIyyN6thrust23THRUST_200600_302600_NS4plusIyEEEEZZNS1_33reduce_by_key_impl_wrapped_configILNS1_25lookback_scan_determinismE0ES3_S9_NS6_6detail15normal_iteratorINS6_10device_ptrIyEEEESG_SG_SG_PmS8_NS6_8equal_toIyEEEE10hipError_tPvRmT2_T3_mT4_T5_T6_T7_T8_P12ihipStream_tbENKUlT_T0_E_clISt17integral_constantIbLb1EES10_IbLb0EEEEDaSW_SX_EUlSW_E_NS1_11comp_targetILNS1_3genE10ELNS1_11target_archE1200ELNS1_3gpuE4ELNS1_3repE0EEENS1_30default_config_static_selectorELNS0_4arch9wavefront6targetE0EEEvT1_
	.p2align	8
	.type	_ZN7rocprim17ROCPRIM_400000_NS6detail17trampoline_kernelINS0_14default_configENS1_29reduce_by_key_config_selectorIyyN6thrust23THRUST_200600_302600_NS4plusIyEEEEZZNS1_33reduce_by_key_impl_wrapped_configILNS1_25lookback_scan_determinismE0ES3_S9_NS6_6detail15normal_iteratorINS6_10device_ptrIyEEEESG_SG_SG_PmS8_NS6_8equal_toIyEEEE10hipError_tPvRmT2_T3_mT4_T5_T6_T7_T8_P12ihipStream_tbENKUlT_T0_E_clISt17integral_constantIbLb1EES10_IbLb0EEEEDaSW_SX_EUlSW_E_NS1_11comp_targetILNS1_3genE10ELNS1_11target_archE1200ELNS1_3gpuE4ELNS1_3repE0EEENS1_30default_config_static_selectorELNS0_4arch9wavefront6targetE0EEEvT1_,@function
_ZN7rocprim17ROCPRIM_400000_NS6detail17trampoline_kernelINS0_14default_configENS1_29reduce_by_key_config_selectorIyyN6thrust23THRUST_200600_302600_NS4plusIyEEEEZZNS1_33reduce_by_key_impl_wrapped_configILNS1_25lookback_scan_determinismE0ES3_S9_NS6_6detail15normal_iteratorINS6_10device_ptrIyEEEESG_SG_SG_PmS8_NS6_8equal_toIyEEEE10hipError_tPvRmT2_T3_mT4_T5_T6_T7_T8_P12ihipStream_tbENKUlT_T0_E_clISt17integral_constantIbLb1EES10_IbLb0EEEEDaSW_SX_EUlSW_E_NS1_11comp_targetILNS1_3genE10ELNS1_11target_archE1200ELNS1_3gpuE4ELNS1_3repE0EEENS1_30default_config_static_selectorELNS0_4arch9wavefront6targetE0EEEvT1_: ; @_ZN7rocprim17ROCPRIM_400000_NS6detail17trampoline_kernelINS0_14default_configENS1_29reduce_by_key_config_selectorIyyN6thrust23THRUST_200600_302600_NS4plusIyEEEEZZNS1_33reduce_by_key_impl_wrapped_configILNS1_25lookback_scan_determinismE0ES3_S9_NS6_6detail15normal_iteratorINS6_10device_ptrIyEEEESG_SG_SG_PmS8_NS6_8equal_toIyEEEE10hipError_tPvRmT2_T3_mT4_T5_T6_T7_T8_P12ihipStream_tbENKUlT_T0_E_clISt17integral_constantIbLb1EES10_IbLb0EEEEDaSW_SX_EUlSW_E_NS1_11comp_targetILNS1_3genE10ELNS1_11target_archE1200ELNS1_3gpuE4ELNS1_3repE0EEENS1_30default_config_static_selectorELNS0_4arch9wavefront6targetE0EEEvT1_
; %bb.0:
	.section	.rodata,"a",@progbits
	.p2align	6, 0x0
	.amdhsa_kernel _ZN7rocprim17ROCPRIM_400000_NS6detail17trampoline_kernelINS0_14default_configENS1_29reduce_by_key_config_selectorIyyN6thrust23THRUST_200600_302600_NS4plusIyEEEEZZNS1_33reduce_by_key_impl_wrapped_configILNS1_25lookback_scan_determinismE0ES3_S9_NS6_6detail15normal_iteratorINS6_10device_ptrIyEEEESG_SG_SG_PmS8_NS6_8equal_toIyEEEE10hipError_tPvRmT2_T3_mT4_T5_T6_T7_T8_P12ihipStream_tbENKUlT_T0_E_clISt17integral_constantIbLb1EES10_IbLb0EEEEDaSW_SX_EUlSW_E_NS1_11comp_targetILNS1_3genE10ELNS1_11target_archE1200ELNS1_3gpuE4ELNS1_3repE0EEENS1_30default_config_static_selectorELNS0_4arch9wavefront6targetE0EEEvT1_
		.amdhsa_group_segment_fixed_size 0
		.amdhsa_private_segment_fixed_size 0
		.amdhsa_kernarg_size 136
		.amdhsa_user_sgpr_count 15
		.amdhsa_user_sgpr_dispatch_ptr 0
		.amdhsa_user_sgpr_queue_ptr 0
		.amdhsa_user_sgpr_kernarg_segment_ptr 1
		.amdhsa_user_sgpr_dispatch_id 0
		.amdhsa_user_sgpr_private_segment_size 0
		.amdhsa_wavefront_size32 1
		.amdhsa_uses_dynamic_stack 0
		.amdhsa_enable_private_segment 0
		.amdhsa_system_sgpr_workgroup_id_x 1
		.amdhsa_system_sgpr_workgroup_id_y 0
		.amdhsa_system_sgpr_workgroup_id_z 0
		.amdhsa_system_sgpr_workgroup_info 0
		.amdhsa_system_vgpr_workitem_id 0
		.amdhsa_next_free_vgpr 1
		.amdhsa_next_free_sgpr 1
		.amdhsa_reserve_vcc 0
		.amdhsa_float_round_mode_32 0
		.amdhsa_float_round_mode_16_64 0
		.amdhsa_float_denorm_mode_32 3
		.amdhsa_float_denorm_mode_16_64 3
		.amdhsa_dx10_clamp 1
		.amdhsa_ieee_mode 1
		.amdhsa_fp16_overflow 0
		.amdhsa_workgroup_processor_mode 1
		.amdhsa_memory_ordered 1
		.amdhsa_forward_progress 0
		.amdhsa_shared_vgpr_count 0
		.amdhsa_exception_fp_ieee_invalid_op 0
		.amdhsa_exception_fp_denorm_src 0
		.amdhsa_exception_fp_ieee_div_zero 0
		.amdhsa_exception_fp_ieee_overflow 0
		.amdhsa_exception_fp_ieee_underflow 0
		.amdhsa_exception_fp_ieee_inexact 0
		.amdhsa_exception_int_div_zero 0
	.end_amdhsa_kernel
	.section	.text._ZN7rocprim17ROCPRIM_400000_NS6detail17trampoline_kernelINS0_14default_configENS1_29reduce_by_key_config_selectorIyyN6thrust23THRUST_200600_302600_NS4plusIyEEEEZZNS1_33reduce_by_key_impl_wrapped_configILNS1_25lookback_scan_determinismE0ES3_S9_NS6_6detail15normal_iteratorINS6_10device_ptrIyEEEESG_SG_SG_PmS8_NS6_8equal_toIyEEEE10hipError_tPvRmT2_T3_mT4_T5_T6_T7_T8_P12ihipStream_tbENKUlT_T0_E_clISt17integral_constantIbLb1EES10_IbLb0EEEEDaSW_SX_EUlSW_E_NS1_11comp_targetILNS1_3genE10ELNS1_11target_archE1200ELNS1_3gpuE4ELNS1_3repE0EEENS1_30default_config_static_selectorELNS0_4arch9wavefront6targetE0EEEvT1_,"axG",@progbits,_ZN7rocprim17ROCPRIM_400000_NS6detail17trampoline_kernelINS0_14default_configENS1_29reduce_by_key_config_selectorIyyN6thrust23THRUST_200600_302600_NS4plusIyEEEEZZNS1_33reduce_by_key_impl_wrapped_configILNS1_25lookback_scan_determinismE0ES3_S9_NS6_6detail15normal_iteratorINS6_10device_ptrIyEEEESG_SG_SG_PmS8_NS6_8equal_toIyEEEE10hipError_tPvRmT2_T3_mT4_T5_T6_T7_T8_P12ihipStream_tbENKUlT_T0_E_clISt17integral_constantIbLb1EES10_IbLb0EEEEDaSW_SX_EUlSW_E_NS1_11comp_targetILNS1_3genE10ELNS1_11target_archE1200ELNS1_3gpuE4ELNS1_3repE0EEENS1_30default_config_static_selectorELNS0_4arch9wavefront6targetE0EEEvT1_,comdat
.Lfunc_end264:
	.size	_ZN7rocprim17ROCPRIM_400000_NS6detail17trampoline_kernelINS0_14default_configENS1_29reduce_by_key_config_selectorIyyN6thrust23THRUST_200600_302600_NS4plusIyEEEEZZNS1_33reduce_by_key_impl_wrapped_configILNS1_25lookback_scan_determinismE0ES3_S9_NS6_6detail15normal_iteratorINS6_10device_ptrIyEEEESG_SG_SG_PmS8_NS6_8equal_toIyEEEE10hipError_tPvRmT2_T3_mT4_T5_T6_T7_T8_P12ihipStream_tbENKUlT_T0_E_clISt17integral_constantIbLb1EES10_IbLb0EEEEDaSW_SX_EUlSW_E_NS1_11comp_targetILNS1_3genE10ELNS1_11target_archE1200ELNS1_3gpuE4ELNS1_3repE0EEENS1_30default_config_static_selectorELNS0_4arch9wavefront6targetE0EEEvT1_, .Lfunc_end264-_ZN7rocprim17ROCPRIM_400000_NS6detail17trampoline_kernelINS0_14default_configENS1_29reduce_by_key_config_selectorIyyN6thrust23THRUST_200600_302600_NS4plusIyEEEEZZNS1_33reduce_by_key_impl_wrapped_configILNS1_25lookback_scan_determinismE0ES3_S9_NS6_6detail15normal_iteratorINS6_10device_ptrIyEEEESG_SG_SG_PmS8_NS6_8equal_toIyEEEE10hipError_tPvRmT2_T3_mT4_T5_T6_T7_T8_P12ihipStream_tbENKUlT_T0_E_clISt17integral_constantIbLb1EES10_IbLb0EEEEDaSW_SX_EUlSW_E_NS1_11comp_targetILNS1_3genE10ELNS1_11target_archE1200ELNS1_3gpuE4ELNS1_3repE0EEENS1_30default_config_static_selectorELNS0_4arch9wavefront6targetE0EEEvT1_
                                        ; -- End function
	.section	.AMDGPU.csdata,"",@progbits
; Kernel info:
; codeLenInByte = 0
; NumSgprs: 0
; NumVgprs: 0
; ScratchSize: 0
; MemoryBound: 0
; FloatMode: 240
; IeeeMode: 1
; LDSByteSize: 0 bytes/workgroup (compile time only)
; SGPRBlocks: 0
; VGPRBlocks: 0
; NumSGPRsForWavesPerEU: 1
; NumVGPRsForWavesPerEU: 1
; Occupancy: 16
; WaveLimiterHint : 0
; COMPUTE_PGM_RSRC2:SCRATCH_EN: 0
; COMPUTE_PGM_RSRC2:USER_SGPR: 15
; COMPUTE_PGM_RSRC2:TRAP_HANDLER: 0
; COMPUTE_PGM_RSRC2:TGID_X_EN: 1
; COMPUTE_PGM_RSRC2:TGID_Y_EN: 0
; COMPUTE_PGM_RSRC2:TGID_Z_EN: 0
; COMPUTE_PGM_RSRC2:TIDIG_COMP_CNT: 0
	.section	.text._ZN7rocprim17ROCPRIM_400000_NS6detail17trampoline_kernelINS0_14default_configENS1_29reduce_by_key_config_selectorIyyN6thrust23THRUST_200600_302600_NS4plusIyEEEEZZNS1_33reduce_by_key_impl_wrapped_configILNS1_25lookback_scan_determinismE0ES3_S9_NS6_6detail15normal_iteratorINS6_10device_ptrIyEEEESG_SG_SG_PmS8_NS6_8equal_toIyEEEE10hipError_tPvRmT2_T3_mT4_T5_T6_T7_T8_P12ihipStream_tbENKUlT_T0_E_clISt17integral_constantIbLb1EES10_IbLb0EEEEDaSW_SX_EUlSW_E_NS1_11comp_targetILNS1_3genE9ELNS1_11target_archE1100ELNS1_3gpuE3ELNS1_3repE0EEENS1_30default_config_static_selectorELNS0_4arch9wavefront6targetE0EEEvT1_,"axG",@progbits,_ZN7rocprim17ROCPRIM_400000_NS6detail17trampoline_kernelINS0_14default_configENS1_29reduce_by_key_config_selectorIyyN6thrust23THRUST_200600_302600_NS4plusIyEEEEZZNS1_33reduce_by_key_impl_wrapped_configILNS1_25lookback_scan_determinismE0ES3_S9_NS6_6detail15normal_iteratorINS6_10device_ptrIyEEEESG_SG_SG_PmS8_NS6_8equal_toIyEEEE10hipError_tPvRmT2_T3_mT4_T5_T6_T7_T8_P12ihipStream_tbENKUlT_T0_E_clISt17integral_constantIbLb1EES10_IbLb0EEEEDaSW_SX_EUlSW_E_NS1_11comp_targetILNS1_3genE9ELNS1_11target_archE1100ELNS1_3gpuE3ELNS1_3repE0EEENS1_30default_config_static_selectorELNS0_4arch9wavefront6targetE0EEEvT1_,comdat
	.protected	_ZN7rocprim17ROCPRIM_400000_NS6detail17trampoline_kernelINS0_14default_configENS1_29reduce_by_key_config_selectorIyyN6thrust23THRUST_200600_302600_NS4plusIyEEEEZZNS1_33reduce_by_key_impl_wrapped_configILNS1_25lookback_scan_determinismE0ES3_S9_NS6_6detail15normal_iteratorINS6_10device_ptrIyEEEESG_SG_SG_PmS8_NS6_8equal_toIyEEEE10hipError_tPvRmT2_T3_mT4_T5_T6_T7_T8_P12ihipStream_tbENKUlT_T0_E_clISt17integral_constantIbLb1EES10_IbLb0EEEEDaSW_SX_EUlSW_E_NS1_11comp_targetILNS1_3genE9ELNS1_11target_archE1100ELNS1_3gpuE3ELNS1_3repE0EEENS1_30default_config_static_selectorELNS0_4arch9wavefront6targetE0EEEvT1_ ; -- Begin function _ZN7rocprim17ROCPRIM_400000_NS6detail17trampoline_kernelINS0_14default_configENS1_29reduce_by_key_config_selectorIyyN6thrust23THRUST_200600_302600_NS4plusIyEEEEZZNS1_33reduce_by_key_impl_wrapped_configILNS1_25lookback_scan_determinismE0ES3_S9_NS6_6detail15normal_iteratorINS6_10device_ptrIyEEEESG_SG_SG_PmS8_NS6_8equal_toIyEEEE10hipError_tPvRmT2_T3_mT4_T5_T6_T7_T8_P12ihipStream_tbENKUlT_T0_E_clISt17integral_constantIbLb1EES10_IbLb0EEEEDaSW_SX_EUlSW_E_NS1_11comp_targetILNS1_3genE9ELNS1_11target_archE1100ELNS1_3gpuE3ELNS1_3repE0EEENS1_30default_config_static_selectorELNS0_4arch9wavefront6targetE0EEEvT1_
	.globl	_ZN7rocprim17ROCPRIM_400000_NS6detail17trampoline_kernelINS0_14default_configENS1_29reduce_by_key_config_selectorIyyN6thrust23THRUST_200600_302600_NS4plusIyEEEEZZNS1_33reduce_by_key_impl_wrapped_configILNS1_25lookback_scan_determinismE0ES3_S9_NS6_6detail15normal_iteratorINS6_10device_ptrIyEEEESG_SG_SG_PmS8_NS6_8equal_toIyEEEE10hipError_tPvRmT2_T3_mT4_T5_T6_T7_T8_P12ihipStream_tbENKUlT_T0_E_clISt17integral_constantIbLb1EES10_IbLb0EEEEDaSW_SX_EUlSW_E_NS1_11comp_targetILNS1_3genE9ELNS1_11target_archE1100ELNS1_3gpuE3ELNS1_3repE0EEENS1_30default_config_static_selectorELNS0_4arch9wavefront6targetE0EEEvT1_
	.p2align	8
	.type	_ZN7rocprim17ROCPRIM_400000_NS6detail17trampoline_kernelINS0_14default_configENS1_29reduce_by_key_config_selectorIyyN6thrust23THRUST_200600_302600_NS4plusIyEEEEZZNS1_33reduce_by_key_impl_wrapped_configILNS1_25lookback_scan_determinismE0ES3_S9_NS6_6detail15normal_iteratorINS6_10device_ptrIyEEEESG_SG_SG_PmS8_NS6_8equal_toIyEEEE10hipError_tPvRmT2_T3_mT4_T5_T6_T7_T8_P12ihipStream_tbENKUlT_T0_E_clISt17integral_constantIbLb1EES10_IbLb0EEEEDaSW_SX_EUlSW_E_NS1_11comp_targetILNS1_3genE9ELNS1_11target_archE1100ELNS1_3gpuE3ELNS1_3repE0EEENS1_30default_config_static_selectorELNS0_4arch9wavefront6targetE0EEEvT1_,@function
_ZN7rocprim17ROCPRIM_400000_NS6detail17trampoline_kernelINS0_14default_configENS1_29reduce_by_key_config_selectorIyyN6thrust23THRUST_200600_302600_NS4plusIyEEEEZZNS1_33reduce_by_key_impl_wrapped_configILNS1_25lookback_scan_determinismE0ES3_S9_NS6_6detail15normal_iteratorINS6_10device_ptrIyEEEESG_SG_SG_PmS8_NS6_8equal_toIyEEEE10hipError_tPvRmT2_T3_mT4_T5_T6_T7_T8_P12ihipStream_tbENKUlT_T0_E_clISt17integral_constantIbLb1EES10_IbLb0EEEEDaSW_SX_EUlSW_E_NS1_11comp_targetILNS1_3genE9ELNS1_11target_archE1100ELNS1_3gpuE3ELNS1_3repE0EEENS1_30default_config_static_selectorELNS0_4arch9wavefront6targetE0EEEvT1_: ; @_ZN7rocprim17ROCPRIM_400000_NS6detail17trampoline_kernelINS0_14default_configENS1_29reduce_by_key_config_selectorIyyN6thrust23THRUST_200600_302600_NS4plusIyEEEEZZNS1_33reduce_by_key_impl_wrapped_configILNS1_25lookback_scan_determinismE0ES3_S9_NS6_6detail15normal_iteratorINS6_10device_ptrIyEEEESG_SG_SG_PmS8_NS6_8equal_toIyEEEE10hipError_tPvRmT2_T3_mT4_T5_T6_T7_T8_P12ihipStream_tbENKUlT_T0_E_clISt17integral_constantIbLb1EES10_IbLb0EEEEDaSW_SX_EUlSW_E_NS1_11comp_targetILNS1_3genE9ELNS1_11target_archE1100ELNS1_3gpuE3ELNS1_3repE0EEENS1_30default_config_static_selectorELNS0_4arch9wavefront6targetE0EEEvT1_
; %bb.0:
	s_clause 0x2
	s_load_b256 s[20:27], s[0:1], 0x0
	s_load_b512 s[36:51], s[0:1], 0x38
	s_load_b128 s[28:31], s[0:1], 0x20
	s_mov_b32 s3, 0
	s_mul_i32 s2, s15, 0xf00
	s_waitcnt lgkmcnt(0)
	s_lshl_b64 s[4:5], s[22:23], 3
	s_mul_i32 s6, s44, s43
	s_add_u32 s10, s20, s4
	s_mul_hi_u32 s7, s44, s42
	s_addc_u32 s11, s21, s5
	s_add_u32 s12, s24, s4
	s_mul_i32 s8, s45, s42
	s_addc_u32 s13, s25, s5
	s_add_i32 s6, s7, s6
	s_lshl_b64 s[4:5], s[2:3], 3
	s_add_i32 s6, s6, s8
	s_add_u32 s18, s10, s4
	s_addc_u32 s14, s11, s5
	s_mul_i32 s9, s44, s42
	s_add_u32 s20, s12, s4
	s_addc_u32 s21, s13, s5
	s_add_u32 s16, s9, s15
	s_addc_u32 s17, s6, 0
	s_add_u32 s4, s46, -1
	s_addc_u32 s5, s47, -1
	s_mul_i32 s33, s4, 0xfffff100
	s_cmp_eq_u64 s[16:17], s[4:5]
	s_cselect_b32 s23, -1, 0
	s_cmp_lg_u64 s[16:17], s[4:5]
	s_cselect_b32 s19, -1, 0
	s_and_b32 vcc_lo, exec_lo, s23
	s_cbranch_vccnz .LBB265_2
; %bb.1:
	v_lshlrev_b32_e32 v62, 3, v0
	s_delay_alu instid0(VALU_DEP_1) | instskip(NEXT) | instid1(VALU_DEP_1)
	v_add_co_u32 v1, s2, s18, v62
	v_add_co_ci_u32_e64 v2, null, s14, 0, s2
	v_add_co_u32 v31, s2, s20, v62
	s_delay_alu instid0(VALU_DEP_3) | instskip(NEXT) | instid1(VALU_DEP_3)
	v_add_co_u32 v3, vcc_lo, 0x1000, v1
	v_add_co_ci_u32_e32 v4, vcc_lo, 0, v2, vcc_lo
	v_add_co_u32 v5, vcc_lo, 0x2000, v1
	v_add_co_ci_u32_e32 v6, vcc_lo, 0, v2, vcc_lo
	v_add_co_u32 v7, vcc_lo, 0x3000, v1
	v_add_co_ci_u32_e32 v8, vcc_lo, 0, v2, vcc_lo
	v_add_co_u32 v19, vcc_lo, 0x4000, v1
	v_add_co_ci_u32_e32 v20, vcc_lo, 0, v2, vcc_lo
	v_add_co_u32 v21, vcc_lo, 0x5000, v1
	v_add_co_ci_u32_e32 v22, vcc_lo, 0, v2, vcc_lo
	v_add_co_u32 v23, vcc_lo, 0x6000, v1
	v_add_co_ci_u32_e32 v24, vcc_lo, 0, v2, vcc_lo
	s_clause 0x7
	flat_load_b64 v[9:10], v[1:2]
	flat_load_b64 v[11:12], v[1:2] offset:2048
	flat_load_b64 v[13:14], v[3:4]
	flat_load_b64 v[3:4], v[3:4] offset:2048
	;; [unrolled: 2-line block ×4, first 2 shown]
	v_add_co_u32 v1, vcc_lo, 0x7000, v1
	v_add_co_ci_u32_e32 v2, vcc_lo, 0, v2, vcc_lo
	s_clause 0x6
	flat_load_b64 v[25:26], v[19:20]
	flat_load_b64 v[19:20], v[19:20] offset:2048
	flat_load_b64 v[27:28], v[21:22]
	flat_load_b64 v[21:22], v[21:22] offset:2048
	;; [unrolled: 2-line block ×3, first 2 shown]
	flat_load_b64 v[1:2], v[1:2]
	v_add_co_ci_u32_e64 v32, null, s21, 0, s2
	v_add_co_u32 v33, vcc_lo, 0x1000, v31
	v_mad_u32_u24 v61, 0x70, v0, v62
	s_delay_alu instid0(VALU_DEP_3)
	v_add_co_ci_u32_e32 v34, vcc_lo, 0, v32, vcc_lo
	v_add_co_u32 v35, vcc_lo, 0x2000, v31
	v_add_co_ci_u32_e32 v36, vcc_lo, 0, v32, vcc_lo
	v_add_co_u32 v37, vcc_lo, 0x3000, v31
	;; [unrolled: 2-line block ×6, first 2 shown]
	v_add_co_ci_u32_e32 v46, vcc_lo, 0, v32, vcc_lo
	s_waitcnt vmcnt(13) lgkmcnt(13)
	ds_store_2addr_stride64_b64 v62, v[9:10], v[11:12] offset1:4
	s_waitcnt vmcnt(11) lgkmcnt(12)
	ds_store_2addr_stride64_b64 v62, v[13:14], v[3:4] offset0:8 offset1:12
	s_waitcnt vmcnt(9) lgkmcnt(11)
	ds_store_2addr_stride64_b64 v62, v[15:16], v[5:6] offset0:16 offset1:20
	;; [unrolled: 2-line block ×6, first 2 shown]
	s_waitcnt vmcnt(0) lgkmcnt(7)
	ds_store_b64 v62, v[1:2] offset:28672
	s_waitcnt lgkmcnt(0)
	s_barrier
	buffer_gl0_inv
	ds_load_2addr_b64 v[25:28], v61 offset1:1
	ds_load_2addr_b64 v[21:24], v61 offset0:2 offset1:3
	ds_load_2addr_b64 v[17:20], v61 offset0:4 offset1:5
	;; [unrolled: 1-line block ×6, first 2 shown]
	ds_load_b64 v[57:58], v61 offset:112
	s_waitcnt lgkmcnt(0)
	s_barrier
	buffer_gl0_inv
	s_clause 0xe
	flat_load_b64 v[29:30], v[31:32]
	flat_load_b64 v[31:32], v[31:32] offset:2048
	flat_load_b64 v[47:48], v[33:34]
	flat_load_b64 v[33:34], v[33:34] offset:2048
	;; [unrolled: 2-line block ×7, first 2 shown]
	flat_load_b64 v[45:46], v[45:46]
	s_waitcnt vmcnt(13) lgkmcnt(13)
	ds_store_2addr_stride64_b64 v62, v[29:30], v[31:32] offset1:4
	s_waitcnt vmcnt(11) lgkmcnt(12)
	ds_store_2addr_stride64_b64 v62, v[47:48], v[33:34] offset0:8 offset1:12
	s_waitcnt vmcnt(9) lgkmcnt(11)
	ds_store_2addr_stride64_b64 v62, v[49:50], v[35:36] offset0:16 offset1:20
	s_waitcnt vmcnt(7) lgkmcnt(10)
	ds_store_2addr_stride64_b64 v62, v[51:52], v[37:38] offset0:24 offset1:28
	s_waitcnt vmcnt(5) lgkmcnt(9)
	ds_store_2addr_stride64_b64 v62, v[53:54], v[39:40] offset0:32 offset1:36
	s_waitcnt vmcnt(3) lgkmcnt(8)
	ds_store_2addr_stride64_b64 v62, v[55:56], v[41:42] offset0:40 offset1:44
	s_waitcnt vmcnt(1) lgkmcnt(7)
	ds_store_2addr_stride64_b64 v62, v[59:60], v[43:44] offset0:48 offset1:52
	s_waitcnt vmcnt(0) lgkmcnt(7)
	ds_store_b64 v62, v[45:46] offset:28672
	s_waitcnt lgkmcnt(0)
	s_barrier
	s_load_b64 s[24:25], s[0:1], 0x78
	s_and_not1_b32 vcc_lo, exec_lo, s3
	s_add_i32 s33, s33, s48
	s_cbranch_vccz .LBB265_3
	s_branch .LBB265_50
.LBB265_2:
                                        ; implicit-def: $vgpr61
                                        ; implicit-def: $vgpr25_vgpr26
                                        ; implicit-def: $vgpr21_vgpr22
                                        ; implicit-def: $vgpr17_vgpr18
                                        ; implicit-def: $vgpr13_vgpr14
                                        ; implicit-def: $vgpr9_vgpr10
                                        ; implicit-def: $vgpr5_vgpr6
                                        ; implicit-def: $vgpr1_vgpr2
                                        ; implicit-def: $vgpr57_vgpr58
	s_load_b64 s[24:25], s[0:1], 0x78
	s_add_i32 s33, s33, s48
.LBB265_3:
	s_delay_alu instid0(SALU_CYCLE_1)
	v_cmp_gt_u32_e32 vcc_lo, s33, v0
                                        ; implicit-def: $vgpr1_vgpr2
	s_and_saveexec_b32 s0, vcc_lo
	s_cbranch_execz .LBB265_5
; %bb.4:
	v_lshlrev_b32_e32 v1, 3, v0
	s_delay_alu instid0(VALU_DEP_1) | instskip(NEXT) | instid1(VALU_DEP_1)
	v_add_co_u32 v1, s1, s18, v1
	v_add_co_ci_u32_e64 v2, null, s14, 0, s1
	flat_load_b64 v[1:2], v[1:2]
.LBB265_5:
	s_or_b32 exec_lo, exec_lo, s0
	v_or_b32_e32 v3, 0x100, v0
	s_delay_alu instid0(VALU_DEP_1) | instskip(NEXT) | instid1(VALU_DEP_1)
	v_cmp_gt_u32_e64 s0, s33, v3
                                        ; implicit-def: $vgpr3_vgpr4
	s_and_saveexec_b32 s1, s0
	s_cbranch_execz .LBB265_7
; %bb.6:
	v_lshlrev_b32_e32 v3, 3, v0
	s_delay_alu instid0(VALU_DEP_1) | instskip(NEXT) | instid1(VALU_DEP_1)
	v_add_co_u32 v3, s2, s18, v3
	v_add_co_ci_u32_e64 v4, null, s14, 0, s2
	flat_load_b64 v[3:4], v[3:4] offset:2048
.LBB265_7:
	s_or_b32 exec_lo, exec_lo, s1
	v_or_b32_e32 v35, 0x200, v0
                                        ; implicit-def: $vgpr5_vgpr6
	s_delay_alu instid0(VALU_DEP_1) | instskip(NEXT) | instid1(VALU_DEP_1)
	v_cmp_gt_u32_e64 s1, s33, v35
	s_and_saveexec_b32 s2, s1
	s_cbranch_execz .LBB265_9
; %bb.8:
	v_lshlrev_b32_e32 v5, 3, v35
	s_delay_alu instid0(VALU_DEP_1) | instskip(NEXT) | instid1(VALU_DEP_1)
	v_add_co_u32 v5, s3, s18, v5
	v_add_co_ci_u32_e64 v6, null, s14, 0, s3
	flat_load_b64 v[5:6], v[5:6]
.LBB265_9:
	s_or_b32 exec_lo, exec_lo, s2
	v_or_b32_e32 v37, 0x300, v0
                                        ; implicit-def: $vgpr7_vgpr8
	s_delay_alu instid0(VALU_DEP_1) | instskip(NEXT) | instid1(VALU_DEP_1)
	v_cmp_gt_u32_e64 s2, s33, v37
	s_and_saveexec_b32 s3, s2
	s_cbranch_execz .LBB265_11
; %bb.10:
	v_lshlrev_b32_e32 v7, 3, v37
	s_delay_alu instid0(VALU_DEP_1) | instskip(NEXT) | instid1(VALU_DEP_1)
	v_add_co_u32 v7, s4, s18, v7
	v_add_co_ci_u32_e64 v8, null, s14, 0, s4
	flat_load_b64 v[7:8], v[7:8]
.LBB265_11:
	s_or_b32 exec_lo, exec_lo, s3
	v_or_b32_e32 v39, 0x400, v0
                                        ; implicit-def: $vgpr9_vgpr10
	s_delay_alu instid0(VALU_DEP_1) | instskip(NEXT) | instid1(VALU_DEP_1)
	v_cmp_gt_u32_e64 s3, s33, v39
	s_and_saveexec_b32 s4, s3
	s_cbranch_execz .LBB265_13
; %bb.12:
	v_lshlrev_b32_e32 v9, 3, v39
	s_delay_alu instid0(VALU_DEP_1) | instskip(NEXT) | instid1(VALU_DEP_1)
	v_add_co_u32 v9, s5, s18, v9
	v_add_co_ci_u32_e64 v10, null, s14, 0, s5
	flat_load_b64 v[9:10], v[9:10]
.LBB265_13:
	s_or_b32 exec_lo, exec_lo, s4
	v_or_b32_e32 v41, 0x500, v0
                                        ; implicit-def: $vgpr11_vgpr12
	s_delay_alu instid0(VALU_DEP_1) | instskip(NEXT) | instid1(VALU_DEP_1)
	v_cmp_gt_u32_e64 s4, s33, v41
	s_and_saveexec_b32 s5, s4
	s_cbranch_execz .LBB265_15
; %bb.14:
	v_lshlrev_b32_e32 v11, 3, v41
	s_delay_alu instid0(VALU_DEP_1) | instskip(NEXT) | instid1(VALU_DEP_1)
	v_add_co_u32 v11, s6, s18, v11
	v_add_co_ci_u32_e64 v12, null, s14, 0, s6
	flat_load_b64 v[11:12], v[11:12]
.LBB265_15:
	s_or_b32 exec_lo, exec_lo, s5
	v_or_b32_e32 v43, 0x600, v0
                                        ; implicit-def: $vgpr13_vgpr14
	s_delay_alu instid0(VALU_DEP_1) | instskip(NEXT) | instid1(VALU_DEP_1)
	v_cmp_gt_u32_e64 s5, s33, v43
	s_and_saveexec_b32 s6, s5
	s_cbranch_execz .LBB265_17
; %bb.16:
	v_lshlrev_b32_e32 v13, 3, v43
	s_delay_alu instid0(VALU_DEP_1) | instskip(NEXT) | instid1(VALU_DEP_1)
	v_add_co_u32 v13, s7, s18, v13
	v_add_co_ci_u32_e64 v14, null, s14, 0, s7
	flat_load_b64 v[13:14], v[13:14]
.LBB265_17:
	s_or_b32 exec_lo, exec_lo, s6
	v_or_b32_e32 v45, 0x700, v0
                                        ; implicit-def: $vgpr15_vgpr16
	s_delay_alu instid0(VALU_DEP_1) | instskip(NEXT) | instid1(VALU_DEP_1)
	v_cmp_gt_u32_e64 s6, s33, v45
	s_and_saveexec_b32 s7, s6
	s_cbranch_execz .LBB265_19
; %bb.18:
	v_lshlrev_b32_e32 v15, 3, v45
	s_delay_alu instid0(VALU_DEP_1) | instskip(NEXT) | instid1(VALU_DEP_1)
	v_add_co_u32 v15, s8, s18, v15
	v_add_co_ci_u32_e64 v16, null, s14, 0, s8
	flat_load_b64 v[15:16], v[15:16]
.LBB265_19:
	s_or_b32 exec_lo, exec_lo, s7
	v_or_b32_e32 v47, 0x800, v0
                                        ; implicit-def: $vgpr17_vgpr18
	s_delay_alu instid0(VALU_DEP_1) | instskip(NEXT) | instid1(VALU_DEP_1)
	v_cmp_gt_u32_e64 s7, s33, v47
	s_and_saveexec_b32 s8, s7
	s_cbranch_execz .LBB265_21
; %bb.20:
	v_lshlrev_b32_e32 v17, 3, v47
	s_delay_alu instid0(VALU_DEP_1) | instskip(NEXT) | instid1(VALU_DEP_1)
	v_add_co_u32 v17, s9, s18, v17
	v_add_co_ci_u32_e64 v18, null, s14, 0, s9
	flat_load_b64 v[17:18], v[17:18]
.LBB265_21:
	s_or_b32 exec_lo, exec_lo, s8
	v_or_b32_e32 v49, 0x900, v0
                                        ; implicit-def: $vgpr19_vgpr20
	s_delay_alu instid0(VALU_DEP_1) | instskip(NEXT) | instid1(VALU_DEP_1)
	v_cmp_gt_u32_e64 s8, s33, v49
	s_and_saveexec_b32 s9, s8
	s_cbranch_execz .LBB265_23
; %bb.22:
	v_lshlrev_b32_e32 v19, 3, v49
	s_delay_alu instid0(VALU_DEP_1) | instskip(NEXT) | instid1(VALU_DEP_1)
	v_add_co_u32 v19, s10, s18, v19
	v_add_co_ci_u32_e64 v20, null, s14, 0, s10
	flat_load_b64 v[19:20], v[19:20]
.LBB265_23:
	s_or_b32 exec_lo, exec_lo, s9
	v_or_b32_e32 v51, 0xa00, v0
                                        ; implicit-def: $vgpr21_vgpr22
	s_delay_alu instid0(VALU_DEP_1) | instskip(NEXT) | instid1(VALU_DEP_1)
	v_cmp_gt_u32_e64 s9, s33, v51
	s_and_saveexec_b32 s10, s9
	s_cbranch_execz .LBB265_25
; %bb.24:
	v_lshlrev_b32_e32 v21, 3, v51
	s_delay_alu instid0(VALU_DEP_1) | instskip(NEXT) | instid1(VALU_DEP_1)
	v_add_co_u32 v21, s11, s18, v21
	v_add_co_ci_u32_e64 v22, null, s14, 0, s11
	flat_load_b64 v[21:22], v[21:22]
.LBB265_25:
	s_or_b32 exec_lo, exec_lo, s10
	v_or_b32_e32 v53, 0xb00, v0
                                        ; implicit-def: $vgpr23_vgpr24
	s_delay_alu instid0(VALU_DEP_1) | instskip(NEXT) | instid1(VALU_DEP_1)
	v_cmp_gt_u32_e64 s10, s33, v53
	s_and_saveexec_b32 s11, s10
	s_cbranch_execz .LBB265_27
; %bb.26:
	v_lshlrev_b32_e32 v23, 3, v53
	s_delay_alu instid0(VALU_DEP_1) | instskip(NEXT) | instid1(VALU_DEP_1)
	v_add_co_u32 v23, s12, s18, v23
	v_add_co_ci_u32_e64 v24, null, s14, 0, s12
	flat_load_b64 v[23:24], v[23:24]
.LBB265_27:
	s_or_b32 exec_lo, exec_lo, s11
	v_or_b32_e32 v55, 0xc00, v0
                                        ; implicit-def: $vgpr25_vgpr26
	s_delay_alu instid0(VALU_DEP_1) | instskip(NEXT) | instid1(VALU_DEP_1)
	v_cmp_gt_u32_e64 s11, s33, v55
	s_and_saveexec_b32 s12, s11
	s_cbranch_execz .LBB265_29
; %bb.28:
	v_lshlrev_b32_e32 v25, 3, v55
	s_delay_alu instid0(VALU_DEP_1) | instskip(NEXT) | instid1(VALU_DEP_1)
	v_add_co_u32 v25, s13, s18, v25
	v_add_co_ci_u32_e64 v26, null, s14, 0, s13
	flat_load_b64 v[25:26], v[25:26]
.LBB265_29:
	s_or_b32 exec_lo, exec_lo, s12
	v_or_b32_e32 v59, 0xd00, v0
                                        ; implicit-def: $vgpr27_vgpr28
	s_delay_alu instid0(VALU_DEP_1) | instskip(NEXT) | instid1(VALU_DEP_1)
	v_cmp_gt_u32_e64 s12, s33, v59
	s_and_saveexec_b32 s13, s12
	s_cbranch_execz .LBB265_31
; %bb.30:
	v_lshlrev_b32_e32 v27, 3, v59
	s_delay_alu instid0(VALU_DEP_1) | instskip(NEXT) | instid1(VALU_DEP_1)
	v_add_co_u32 v27, s22, s18, v27
	v_add_co_ci_u32_e64 v28, null, s14, 0, s22
	flat_load_b64 v[27:28], v[27:28]
.LBB265_31:
	s_or_b32 exec_lo, exec_lo, s13
	v_or_b32_e32 v63, 0xe00, v0
                                        ; implicit-def: $vgpr29_vgpr30
	s_delay_alu instid0(VALU_DEP_1) | instskip(NEXT) | instid1(VALU_DEP_1)
	v_cmp_gt_u32_e64 s13, s33, v63
	s_and_saveexec_b32 s22, s13
	s_cbranch_execz .LBB265_33
; %bb.32:
	v_lshlrev_b32_e32 v29, 3, v63
	s_delay_alu instid0(VALU_DEP_1) | instskip(NEXT) | instid1(VALU_DEP_1)
	v_add_co_u32 v29, s34, s18, v29
	v_add_co_ci_u32_e64 v30, null, s14, 0, s34
	flat_load_b64 v[29:30], v[29:30]
.LBB265_33:
	s_or_b32 exec_lo, exec_lo, s22
	v_lshlrev_b32_e32 v62, 3, v0
	s_waitcnt vmcnt(0) lgkmcnt(0)
	ds_store_2addr_stride64_b64 v62, v[1:2], v[3:4] offset1:4
	ds_store_2addr_stride64_b64 v62, v[5:6], v[7:8] offset0:8 offset1:12
	ds_store_2addr_stride64_b64 v62, v[9:10], v[11:12] offset0:16 offset1:20
	;; [unrolled: 1-line block ×6, first 2 shown]
	v_mad_u32_u24 v61, 0x70, v0, v62
	ds_store_b64 v62, v[29:30] offset:28672
	s_waitcnt lgkmcnt(0)
	s_barrier
	buffer_gl0_inv
	ds_load_2addr_b64 v[25:28], v61 offset1:1
	ds_load_2addr_b64 v[21:24], v61 offset0:2 offset1:3
	ds_load_2addr_b64 v[17:20], v61 offset0:4 offset1:5
	;; [unrolled: 1-line block ×6, first 2 shown]
	ds_load_b64 v[57:58], v61 offset:112
	s_waitcnt lgkmcnt(0)
	s_barrier
	buffer_gl0_inv
                                        ; implicit-def: $vgpr29_vgpr30
	s_and_saveexec_b32 s22, vcc_lo
	s_cbranch_execnz .LBB265_57
; %bb.34:
	s_or_b32 exec_lo, exec_lo, s22
                                        ; implicit-def: $vgpr31_vgpr32
	s_and_saveexec_b32 s22, s0
	s_cbranch_execnz .LBB265_58
.LBB265_35:
	s_or_b32 exec_lo, exec_lo, s22
                                        ; implicit-def: $vgpr33_vgpr34
	s_and_saveexec_b32 s0, s1
	s_cbranch_execnz .LBB265_59
.LBB265_36:
	s_or_b32 exec_lo, exec_lo, s0
                                        ; implicit-def: $vgpr35_vgpr36
	s_and_saveexec_b32 s0, s2
	s_cbranch_execnz .LBB265_60
.LBB265_37:
	s_or_b32 exec_lo, exec_lo, s0
                                        ; implicit-def: $vgpr37_vgpr38
	s_and_saveexec_b32 s0, s3
	s_cbranch_execnz .LBB265_61
.LBB265_38:
	s_or_b32 exec_lo, exec_lo, s0
                                        ; implicit-def: $vgpr39_vgpr40
	s_and_saveexec_b32 s0, s4
	s_cbranch_execnz .LBB265_62
.LBB265_39:
	s_or_b32 exec_lo, exec_lo, s0
                                        ; implicit-def: $vgpr41_vgpr42
	s_and_saveexec_b32 s0, s5
	s_cbranch_execnz .LBB265_63
.LBB265_40:
	s_or_b32 exec_lo, exec_lo, s0
                                        ; implicit-def: $vgpr43_vgpr44
	s_and_saveexec_b32 s0, s6
	s_cbranch_execnz .LBB265_64
.LBB265_41:
	s_or_b32 exec_lo, exec_lo, s0
                                        ; implicit-def: $vgpr45_vgpr46
	s_and_saveexec_b32 s0, s7
	s_cbranch_execnz .LBB265_65
.LBB265_42:
	s_or_b32 exec_lo, exec_lo, s0
                                        ; implicit-def: $vgpr47_vgpr48
	s_and_saveexec_b32 s0, s8
	s_cbranch_execnz .LBB265_66
.LBB265_43:
	s_or_b32 exec_lo, exec_lo, s0
                                        ; implicit-def: $vgpr49_vgpr50
	s_and_saveexec_b32 s0, s9
	s_cbranch_execnz .LBB265_67
.LBB265_44:
	s_or_b32 exec_lo, exec_lo, s0
                                        ; implicit-def: $vgpr51_vgpr52
	s_and_saveexec_b32 s0, s10
	s_cbranch_execnz .LBB265_68
.LBB265_45:
	s_or_b32 exec_lo, exec_lo, s0
                                        ; implicit-def: $vgpr53_vgpr54
	s_and_saveexec_b32 s0, s11
	s_cbranch_execnz .LBB265_69
.LBB265_46:
	s_or_b32 exec_lo, exec_lo, s0
                                        ; implicit-def: $vgpr55_vgpr56
	s_and_saveexec_b32 s0, s12
	s_cbranch_execnz .LBB265_70
.LBB265_47:
	s_or_b32 exec_lo, exec_lo, s0
                                        ; implicit-def: $vgpr59_vgpr60
	s_and_saveexec_b32 s0, s13
	s_cbranch_execz .LBB265_49
.LBB265_48:
	v_lshlrev_b32_e32 v59, 3, v63
	s_delay_alu instid0(VALU_DEP_1) | instskip(NEXT) | instid1(VALU_DEP_1)
	v_add_co_u32 v59, s1, s20, v59
	v_add_co_ci_u32_e64 v60, null, s21, 0, s1
	flat_load_b64 v[59:60], v[59:60]
.LBB265_49:
	s_or_b32 exec_lo, exec_lo, s0
	s_waitcnt vmcnt(0) lgkmcnt(0)
	ds_store_2addr_stride64_b64 v62, v[29:30], v[31:32] offset1:4
	ds_store_2addr_stride64_b64 v62, v[33:34], v[35:36] offset0:8 offset1:12
	ds_store_2addr_stride64_b64 v62, v[37:38], v[39:40] offset0:16 offset1:20
	;; [unrolled: 1-line block ×6, first 2 shown]
	ds_store_b64 v62, v[59:60] offset:28672
	s_waitcnt lgkmcnt(0)
	s_barrier
.LBB265_50:
	s_waitcnt lgkmcnt(0)
	buffer_gl0_inv
	ds_load_2addr_b64 v[53:56], v61 offset1:1
	ds_load_2addr_b64 v[49:52], v61 offset0:2 offset1:3
	ds_load_2addr_b64 v[45:48], v61 offset0:4 offset1:5
	;; [unrolled: 1-line block ×6, first 2 shown]
	ds_load_b64 v[59:60], v61 offset:112
	s_cmp_eq_u64 s[16:17], 0
	s_waitcnt lgkmcnt(0)
	s_cselect_b32 s44, -1, 0
	s_cmp_lg_u64 s[16:17], 0
	s_barrier
	s_cselect_b32 s20, -1, 0
	s_and_b32 vcc_lo, exec_lo, s19
	buffer_gl0_inv
	s_cbranch_vccz .LBB265_56
; %bb.51:
	s_and_b32 vcc_lo, exec_lo, s20
	s_cbranch_vccz .LBB265_71
; %bb.52:
	v_add_co_u32 v61, s0, -8, s18
	s_delay_alu instid0(VALU_DEP_1)
	v_add_co_ci_u32_e64 v62, null, -1, s14, s0
	v_cmp_ne_u64_e64 s0, v[3:4], v[57:58]
	v_cmp_ne_u64_e64 s1, v[1:2], v[3:4]
	;; [unrolled: 1-line block ×3, first 2 shown]
	flat_load_b64 v[61:62], v[61:62]
	v_cmp_ne_u64_e64 s3, v[5:6], v[7:8]
	v_cmp_ne_u64_e64 s4, v[11:12], v[5:6]
	v_cmp_ne_u64_e64 s5, v[9:10], v[11:12]
	v_cmp_ne_u64_e64 s6, v[15:16], v[9:10]
	v_cmp_ne_u64_e64 s7, v[13:14], v[15:16]
	v_cmp_ne_u64_e64 s8, v[19:20], v[13:14]
	v_cmp_ne_u64_e64 s9, v[17:18], v[19:20]
	v_cmp_ne_u64_e64 s10, v[23:24], v[17:18]
	v_cmp_ne_u64_e64 s11, v[21:22], v[23:24]
	v_cmp_ne_u64_e64 s12, v[27:28], v[21:22]
	v_cmp_ne_u64_e32 vcc_lo, v[25:26], v[27:28]
	v_lshlrev_b32_e32 v63, 3, v0
	s_mov_b32 s45, -1
	s_mov_b32 s19, 0
	s_mov_b32 s21, exec_lo
	ds_store_b64 v63, v[57:58]
	s_waitcnt vmcnt(0) lgkmcnt(0)
	s_barrier
	buffer_gl0_inv
	v_cmpx_ne_u32_e32 0, v0
	s_cbranch_execz .LBB265_54
; %bb.53:
	v_add_nc_u32_e32 v61, -8, v63
	ds_load_b64 v[61:62], v61
.LBB265_54:
	s_or_b32 exec_lo, exec_lo, s21
	v_cndmask_b32_e64 v105, 0, 1, s0
	v_cndmask_b32_e64 v99, 0, 1, s1
	;; [unrolled: 1-line block ×13, first 2 shown]
	s_waitcnt lgkmcnt(0)
	v_cmp_ne_u64_e64 s0, v[61:62], v[25:26]
	v_cndmask_b32_e64 v112, 0, 1, vcc_lo
	s_and_b32 vcc_lo, exec_lo, s19
	s_cbranch_vccnz .LBB265_72
.LBB265_55:
                                        ; implicit-def: $sgpr1
	s_branch .LBB265_83
.LBB265_56:
	s_mov_b32 s45, 0
                                        ; implicit-def: $sgpr0
                                        ; implicit-def: $vgpr105
                                        ; implicit-def: $vgpr99
                                        ; implicit-def: $vgpr100
                                        ; implicit-def: $vgpr101
                                        ; implicit-def: $vgpr102
                                        ; implicit-def: $vgpr103
                                        ; implicit-def: $vgpr104
                                        ; implicit-def: $vgpr106
                                        ; implicit-def: $vgpr107
                                        ; implicit-def: $vgpr108
                                        ; implicit-def: $vgpr109
                                        ; implicit-def: $vgpr110
                                        ; implicit-def: $vgpr111
                                        ; implicit-def: $vgpr112
                                        ; implicit-def: $sgpr1
	s_cbranch_execnz .LBB265_75
	s_branch .LBB265_83
.LBB265_57:
	v_add_co_u32 v29, s34, s20, v62
	s_delay_alu instid0(VALU_DEP_1)
	v_add_co_ci_u32_e64 v30, null, s21, 0, s34
	flat_load_b64 v[29:30], v[29:30]
	s_or_b32 exec_lo, exec_lo, s22
                                        ; implicit-def: $vgpr31_vgpr32
	s_and_saveexec_b32 s22, s0
	s_cbranch_execz .LBB265_35
.LBB265_58:
	v_add_co_u32 v31, s0, s20, v62
	s_delay_alu instid0(VALU_DEP_1)
	v_add_co_ci_u32_e64 v32, null, s21, 0, s0
	flat_load_b64 v[31:32], v[31:32] offset:2048
	s_or_b32 exec_lo, exec_lo, s22
                                        ; implicit-def: $vgpr33_vgpr34
	s_and_saveexec_b32 s0, s1
	s_cbranch_execz .LBB265_36
.LBB265_59:
	v_lshlrev_b32_e32 v33, 3, v35
	s_delay_alu instid0(VALU_DEP_1) | instskip(NEXT) | instid1(VALU_DEP_1)
	v_add_co_u32 v33, s1, s20, v33
	v_add_co_ci_u32_e64 v34, null, s21, 0, s1
	flat_load_b64 v[33:34], v[33:34]
	s_or_b32 exec_lo, exec_lo, s0
                                        ; implicit-def: $vgpr35_vgpr36
	s_and_saveexec_b32 s0, s2
	s_cbranch_execz .LBB265_37
.LBB265_60:
	v_lshlrev_b32_e32 v35, 3, v37
	s_delay_alu instid0(VALU_DEP_1) | instskip(NEXT) | instid1(VALU_DEP_1)
	v_add_co_u32 v35, s1, s20, v35
	v_add_co_ci_u32_e64 v36, null, s21, 0, s1
	flat_load_b64 v[35:36], v[35:36]
	s_or_b32 exec_lo, exec_lo, s0
                                        ; implicit-def: $vgpr37_vgpr38
	s_and_saveexec_b32 s0, s3
	s_cbranch_execz .LBB265_38
.LBB265_61:
	v_lshlrev_b32_e32 v37, 3, v39
	s_delay_alu instid0(VALU_DEP_1) | instskip(NEXT) | instid1(VALU_DEP_1)
	v_add_co_u32 v37, s1, s20, v37
	v_add_co_ci_u32_e64 v38, null, s21, 0, s1
	flat_load_b64 v[37:38], v[37:38]
	s_or_b32 exec_lo, exec_lo, s0
                                        ; implicit-def: $vgpr39_vgpr40
	s_and_saveexec_b32 s0, s4
	s_cbranch_execz .LBB265_39
.LBB265_62:
	v_lshlrev_b32_e32 v39, 3, v41
	s_delay_alu instid0(VALU_DEP_1) | instskip(NEXT) | instid1(VALU_DEP_1)
	v_add_co_u32 v39, s1, s20, v39
	v_add_co_ci_u32_e64 v40, null, s21, 0, s1
	flat_load_b64 v[39:40], v[39:40]
	s_or_b32 exec_lo, exec_lo, s0
                                        ; implicit-def: $vgpr41_vgpr42
	s_and_saveexec_b32 s0, s5
	s_cbranch_execz .LBB265_40
.LBB265_63:
	v_lshlrev_b32_e32 v41, 3, v43
	s_delay_alu instid0(VALU_DEP_1) | instskip(NEXT) | instid1(VALU_DEP_1)
	v_add_co_u32 v41, s1, s20, v41
	v_add_co_ci_u32_e64 v42, null, s21, 0, s1
	flat_load_b64 v[41:42], v[41:42]
	s_or_b32 exec_lo, exec_lo, s0
                                        ; implicit-def: $vgpr43_vgpr44
	s_and_saveexec_b32 s0, s6
	s_cbranch_execz .LBB265_41
.LBB265_64:
	v_lshlrev_b32_e32 v43, 3, v45
	s_delay_alu instid0(VALU_DEP_1) | instskip(NEXT) | instid1(VALU_DEP_1)
	v_add_co_u32 v43, s1, s20, v43
	v_add_co_ci_u32_e64 v44, null, s21, 0, s1
	flat_load_b64 v[43:44], v[43:44]
	s_or_b32 exec_lo, exec_lo, s0
                                        ; implicit-def: $vgpr45_vgpr46
	s_and_saveexec_b32 s0, s7
	s_cbranch_execz .LBB265_42
.LBB265_65:
	v_lshlrev_b32_e32 v45, 3, v47
	s_delay_alu instid0(VALU_DEP_1) | instskip(NEXT) | instid1(VALU_DEP_1)
	v_add_co_u32 v45, s1, s20, v45
	v_add_co_ci_u32_e64 v46, null, s21, 0, s1
	flat_load_b64 v[45:46], v[45:46]
	s_or_b32 exec_lo, exec_lo, s0
                                        ; implicit-def: $vgpr47_vgpr48
	s_and_saveexec_b32 s0, s8
	s_cbranch_execz .LBB265_43
.LBB265_66:
	v_lshlrev_b32_e32 v47, 3, v49
	s_delay_alu instid0(VALU_DEP_1) | instskip(NEXT) | instid1(VALU_DEP_1)
	v_add_co_u32 v47, s1, s20, v47
	v_add_co_ci_u32_e64 v48, null, s21, 0, s1
	flat_load_b64 v[47:48], v[47:48]
	s_or_b32 exec_lo, exec_lo, s0
                                        ; implicit-def: $vgpr49_vgpr50
	s_and_saveexec_b32 s0, s9
	s_cbranch_execz .LBB265_44
.LBB265_67:
	v_lshlrev_b32_e32 v49, 3, v51
	s_delay_alu instid0(VALU_DEP_1) | instskip(NEXT) | instid1(VALU_DEP_1)
	v_add_co_u32 v49, s1, s20, v49
	v_add_co_ci_u32_e64 v50, null, s21, 0, s1
	flat_load_b64 v[49:50], v[49:50]
	s_or_b32 exec_lo, exec_lo, s0
                                        ; implicit-def: $vgpr51_vgpr52
	s_and_saveexec_b32 s0, s10
	s_cbranch_execz .LBB265_45
.LBB265_68:
	v_lshlrev_b32_e32 v51, 3, v53
	s_delay_alu instid0(VALU_DEP_1) | instskip(NEXT) | instid1(VALU_DEP_1)
	v_add_co_u32 v51, s1, s20, v51
	v_add_co_ci_u32_e64 v52, null, s21, 0, s1
	flat_load_b64 v[51:52], v[51:52]
	s_or_b32 exec_lo, exec_lo, s0
                                        ; implicit-def: $vgpr53_vgpr54
	s_and_saveexec_b32 s0, s11
	s_cbranch_execz .LBB265_46
.LBB265_69:
	v_lshlrev_b32_e32 v53, 3, v55
	s_delay_alu instid0(VALU_DEP_1) | instskip(NEXT) | instid1(VALU_DEP_1)
	v_add_co_u32 v53, s1, s20, v53
	v_add_co_ci_u32_e64 v54, null, s21, 0, s1
	flat_load_b64 v[53:54], v[53:54]
	s_or_b32 exec_lo, exec_lo, s0
                                        ; implicit-def: $vgpr55_vgpr56
	s_and_saveexec_b32 s0, s12
	s_cbranch_execz .LBB265_47
.LBB265_70:
	v_lshlrev_b32_e32 v55, 3, v59
	s_delay_alu instid0(VALU_DEP_1) | instskip(NEXT) | instid1(VALU_DEP_1)
	v_add_co_u32 v55, s1, s20, v55
	v_add_co_ci_u32_e64 v56, null, s21, 0, s1
	flat_load_b64 v[55:56], v[55:56]
	s_or_b32 exec_lo, exec_lo, s0
                                        ; implicit-def: $vgpr59_vgpr60
	s_and_saveexec_b32 s0, s13
	s_cbranch_execnz .LBB265_48
	s_branch .LBB265_49
.LBB265_71:
	s_mov_b32 s45, 0
                                        ; implicit-def: $sgpr0
                                        ; implicit-def: $vgpr105
                                        ; implicit-def: $vgpr99
                                        ; implicit-def: $vgpr100
                                        ; implicit-def: $vgpr101
                                        ; implicit-def: $vgpr102
                                        ; implicit-def: $vgpr103
                                        ; implicit-def: $vgpr104
                                        ; implicit-def: $vgpr106
                                        ; implicit-def: $vgpr107
                                        ; implicit-def: $vgpr108
                                        ; implicit-def: $vgpr109
                                        ; implicit-def: $vgpr110
                                        ; implicit-def: $vgpr111
                                        ; implicit-def: $vgpr112
	s_cbranch_execz .LBB265_55
.LBB265_72:
	v_cmp_ne_u64_e32 vcc_lo, v[3:4], v[57:58]
	v_lshlrev_b32_e32 v61, 3, v0
	s_mov_b32 s1, exec_lo
                                        ; implicit-def: $sgpr0
	ds_store_b64 v61, v[57:58]
	v_cndmask_b32_e64 v105, 0, 1, vcc_lo
	v_cmp_ne_u64_e32 vcc_lo, v[1:2], v[3:4]
	s_waitcnt lgkmcnt(0)
	s_barrier
	buffer_gl0_inv
	v_cndmask_b32_e64 v99, 0, 1, vcc_lo
	v_cmp_ne_u64_e32 vcc_lo, v[7:8], v[1:2]
	v_cndmask_b32_e64 v100, 0, 1, vcc_lo
	v_cmp_ne_u64_e32 vcc_lo, v[5:6], v[7:8]
	;; [unrolled: 2-line block ×12, first 2 shown]
	v_cndmask_b32_e64 v112, 0, 1, vcc_lo
	v_cmpx_ne_u32_e32 0, v0
	s_xor_b32 s1, exec_lo, s1
	s_cbranch_execz .LBB265_74
; %bb.73:
	v_add_nc_u32_e32 v61, -8, v61
	s_or_b32 s45, s45, exec_lo
	ds_load_b64 v[61:62], v61
	s_waitcnt lgkmcnt(0)
	v_cmp_ne_u64_e32 vcc_lo, v[61:62], v[25:26]
	s_and_b32 s0, vcc_lo, exec_lo
.LBB265_74:
	s_or_b32 exec_lo, exec_lo, s1
	s_mov_b32 s1, 1
	s_branch .LBB265_83
.LBB265_75:
	s_mul_hi_u32 s0, s16, 0xfffff100
	s_mul_i32 s1, s17, 0xfffff100
	s_sub_i32 s0, s0, s16
	s_mul_i32 s2, s16, 0xfffff100
	s_add_i32 s0, s0, s1
	s_add_u32 s34, s2, s48
	s_addc_u32 s35, s0, s49
	s_and_b32 vcc_lo, exec_lo, s20
	s_cbranch_vccz .LBB265_80
; %bb.76:
	v_add_co_u32 v61, s0, -8, s18
	s_delay_alu instid0(VALU_DEP_1)
	v_add_co_ci_u32_e64 v62, null, -1, s14, s0
	v_mad_u32_u24 v63, v0, 15, 14
	v_mov_b32_e32 v64, 0
	v_cmp_ne_u64_e64 s6, v[3:4], v[57:58]
	flat_load_b64 v[61:62], v[61:62]
	v_cmp_ne_u64_e64 s8, v[7:8], v[1:2]
	v_cmp_ne_u64_e64 s9, v[5:6], v[7:8]
	v_cmp_gt_u64_e32 vcc_lo, s[34:35], v[63:64]
	v_mad_u32_u24 v63, v0, 15, 13
	v_cmp_ne_u64_e64 s10, v[11:12], v[5:6]
	v_lshlrev_b32_e32 v66, 3, v0
	v_mul_u32_u24_e32 v65, 15, v0
	s_mov_b32 s45, -1
	v_cmp_gt_u64_e64 s0, s[34:35], v[63:64]
	v_mad_u32_u24 v63, v0, 15, 12
	s_and_b32 s13, vcc_lo, s6
	v_cmp_ne_u64_e64 s6, v[1:2], v[3:4]
	s_mov_b32 s12, 0
	ds_store_b64 v66, v[57:58]
	v_cmp_gt_u64_e64 s1, s[34:35], v[63:64]
	v_mad_u32_u24 v63, v0, 15, 11
	s_waitcnt vmcnt(0) lgkmcnt(0)
	s_and_b32 s14, s0, s6
	v_cmp_ne_u64_e64 s6, v[19:20], v[13:14]
	s_barrier
	v_cmp_gt_u64_e64 s2, s[34:35], v[63:64]
	v_mad_u32_u24 v63, v0, 15, 10
	s_and_b32 s16, s1, s8
	v_cmp_ne_u64_e64 s1, v[9:10], v[11:12]
	buffer_gl0_inv
	v_cmp_gt_u64_e64 s3, s[34:35], v[63:64]
	v_mad_u32_u24 v63, v0, 15, 9
	s_and_b32 s9, s2, s9
	v_cmp_ne_u64_e64 s2, v[15:16], v[9:10]
	s_delay_alu instid0(VALU_DEP_2) | instskip(SKIP_3) | instid1(VALU_DEP_2)
	v_cmp_gt_u64_e64 s4, s[34:35], v[63:64]
	v_mad_u32_u24 v63, v0, 15, 8
	s_and_b32 s10, s3, s10
	v_cmp_ne_u64_e64 s3, v[13:14], v[15:16]
	v_cmp_gt_u64_e64 s5, s[34:35], v[63:64]
	v_mad_u32_u24 v63, v0, 15, 7
	s_and_b32 s18, s4, s1
	v_cmp_ne_u64_e64 s1, v[17:18], v[19:20]
	v_cmp_ne_u64_e64 s4, v[27:28], v[21:22]
	s_delay_alu instid0(VALU_DEP_3) | instskip(SKIP_3) | instid1(VALU_DEP_2)
	v_cmp_gt_u64_e64 s7, s[34:35], v[63:64]
	v_mad_u32_u24 v63, v0, 15, 6
	s_and_b32 s19, s5, s2
	v_cmp_ne_u64_e64 s2, v[23:24], v[17:18]
	v_cmp_gt_u64_e32 vcc_lo, s[34:35], v[63:64]
	v_mad_u32_u24 v63, v0, 15, 5
	s_and_b32 s7, s7, s3
	v_cmp_ne_u64_e64 s3, v[21:22], v[23:24]
	s_delay_alu instid0(VALU_DEP_2) | instskip(SKIP_3) | instid1(VALU_DEP_2)
	v_cmp_gt_u64_e64 s11, s[34:35], v[63:64]
	v_mad_u32_u24 v63, v0, 15, 4
	s_and_b32 s17, vcc_lo, s6
	v_cmp_ne_u64_e64 s6, v[25:26], v[27:28]
	v_cmp_gt_u64_e64 s0, s[34:35], v[63:64]
	v_mad_u32_u24 v63, v0, 15, 3
	s_and_b32 s11, s11, s1
	s_delay_alu instid0(VALU_DEP_1) | instskip(SKIP_1) | instid1(VALU_DEP_4)
	v_cmp_gt_u64_e64 s8, s[34:35], v[63:64]
	v_mad_u32_u24 v63, v0, 15, 2
	s_and_b32 s0, s0, s2
	s_delay_alu instid0(VALU_DEP_1) | instskip(SKIP_1) | instid1(VALU_DEP_4)
	v_cmp_gt_u64_e32 vcc_lo, s[34:35], v[63:64]
	v_mad_u32_u24 v63, v0, 15, 1
	s_and_b32 s1, s8, s3
	s_delay_alu instid0(VALU_DEP_1) | instskip(SKIP_2) | instid1(VALU_DEP_1)
	v_cmp_gt_u64_e64 s5, s[34:35], v[63:64]
	s_and_b32 s2, vcc_lo, s4
	s_mov_b32 s4, exec_lo
	s_and_b32 s3, s5, s6
	v_cmpx_ne_u32_e32 0, v0
	s_cbranch_execz .LBB265_78
; %bb.77:
	v_add_nc_u32_e32 v61, -8, v66
	ds_load_b64 v[61:62], v61
.LBB265_78:
	s_or_b32 exec_lo, exec_lo, s4
	v_mov_b32_e32 v66, v64
	v_cndmask_b32_e64 v109, 0, 1, s0
	s_waitcnt lgkmcnt(0)
	v_cmp_ne_u64_e64 s0, v[61:62], v[25:26]
	v_cndmask_b32_e64 v105, 0, 1, s13
	v_cndmask_b32_e64 v99, 0, 1, s14
	v_cmp_gt_u64_e32 vcc_lo, s[34:35], v[65:66]
	v_cndmask_b32_e64 v100, 0, 1, s16
	v_cndmask_b32_e64 v101, 0, 1, s9
	;; [unrolled: 1-line block ×11, first 2 shown]
	s_and_b32 s0, vcc_lo, s0
	s_and_b32 vcc_lo, exec_lo, s12
	s_cbranch_vccnz .LBB265_81
.LBB265_79:
                                        ; implicit-def: $sgpr1
	v_mov_b32_e32 v113, s1
	s_and_saveexec_b32 s1, s45
	s_cbranch_execnz .LBB265_84
	s_branch .LBB265_85
.LBB265_80:
                                        ; implicit-def: $sgpr0
                                        ; implicit-def: $vgpr105
                                        ; implicit-def: $vgpr99
                                        ; implicit-def: $vgpr100
                                        ; implicit-def: $vgpr101
                                        ; implicit-def: $vgpr102
                                        ; implicit-def: $vgpr103
                                        ; implicit-def: $vgpr104
                                        ; implicit-def: $vgpr106
                                        ; implicit-def: $vgpr107
                                        ; implicit-def: $vgpr108
                                        ; implicit-def: $vgpr109
                                        ; implicit-def: $vgpr110
                                        ; implicit-def: $vgpr111
                                        ; implicit-def: $vgpr112
	s_cbranch_execz .LBB265_79
.LBB265_81:
	v_mad_u32_u24 v61, v0, 15, 14
	v_dual_mov_b32 v62, 0 :: v_dual_lshlrev_b32 v63, 3, v0
	v_cmp_ne_u64_e64 s5, v[1:2], v[3:4]
	v_cmp_ne_u64_e64 s4, v[3:4], v[57:58]
	;; [unrolled: 1-line block ×3, first 2 shown]
	s_delay_alu instid0(VALU_DEP_4)
	v_cmp_gt_u64_e32 vcc_lo, s[34:35], v[61:62]
	v_mad_u32_u24 v61, v0, 15, 13
	v_cmp_ne_u64_e64 s8, v[5:6], v[7:8]
	v_cmp_ne_u64_e64 s9, v[11:12], v[5:6]
	;; [unrolled: 1-line block ×4, first 2 shown]
	v_cmp_gt_u64_e64 s0, s[34:35], v[61:62]
	v_mad_u32_u24 v61, v0, 15, 12
	s_and_b32 s4, vcc_lo, s4
	v_cmp_ne_u64_e64 s13, v[13:14], v[15:16]
	v_cmp_ne_u64_e64 s14, v[19:20], v[13:14]
	;; [unrolled: 1-line block ×3, first 2 shown]
	v_cmp_gt_u64_e64 s1, s[34:35], v[61:62]
	v_mad_u32_u24 v61, v0, 15, 11
	s_and_b32 s0, s0, s5
	v_cmp_ne_u64_e64 s17, v[23:24], v[17:18]
	v_cndmask_b32_e64 v99, 0, 1, s0
	v_cmp_ne_u64_e64 s19, v[21:22], v[23:24]
	v_cmp_gt_u64_e64 s2, s[34:35], v[61:62]
	v_mad_u32_u24 v61, v0, 15, 10
	s_and_b32 s0, s1, s6
	v_cmp_ne_u64_e64 s20, v[27:28], v[21:22]
	v_cndmask_b32_e64 v100, 0, 1, s0
	v_cmp_ne_u64_e64 s21, v[25:26], v[27:28]
	v_cmp_gt_u64_e64 s3, s[34:35], v[61:62]
	v_mad_u32_u24 v61, v0, 15, 9
	s_and_b32 s0, s2, s8
	v_cndmask_b32_e64 v105, 0, 1, s4
	v_cndmask_b32_e64 v101, 0, 1, s0
	ds_store_b64 v63, v[57:58]
	v_cmp_gt_u64_e64 s7, s[34:35], v[61:62]
	v_mad_u32_u24 v61, v0, 15, 8
	s_and_b32 s1, s3, s9
	s_waitcnt lgkmcnt(0)
	v_cndmask_b32_e64 v102, 0, 1, s1
	s_barrier
	v_cmp_gt_u64_e64 s12, s[34:35], v[61:62]
	v_mad_u32_u24 v61, v0, 15, 7
	s_and_b32 s1, s7, s10
	buffer_gl0_inv
	v_cndmask_b32_e64 v103, 0, 1, s1
	v_cmp_gt_u64_e64 s18, s[34:35], v[61:62]
	v_mad_u32_u24 v61, v0, 15, 6
	s_and_b32 s2, s12, s11
	s_delay_alu instid0(SALU_CYCLE_1) | instskip(NEXT) | instid1(VALU_DEP_2)
	v_cndmask_b32_e64 v104, 0, 1, s2
	v_cmp_gt_u64_e64 s22, s[34:35], v[61:62]
	v_mad_u32_u24 v61, v0, 15, 5
	s_and_b32 s2, s18, s13
	s_delay_alu instid0(SALU_CYCLE_1) | instskip(NEXT) | instid1(VALU_DEP_2)
	v_cndmask_b32_e64 v106, 0, 1, s2
	v_cmp_gt_u64_e32 vcc_lo, s[34:35], v[61:62]
	v_mad_u32_u24 v61, v0, 15, 4
	s_and_b32 s3, s22, s14
	s_delay_alu instid0(SALU_CYCLE_1) | instskip(NEXT) | instid1(VALU_DEP_2)
	v_cndmask_b32_e64 v107, 0, 1, s3
	v_cmp_gt_u64_e64 s0, s[34:35], v[61:62]
	v_mad_u32_u24 v61, v0, 15, 3
	s_and_b32 s3, vcc_lo, s16
	s_delay_alu instid0(SALU_CYCLE_1) | instskip(NEXT) | instid1(VALU_DEP_2)
	v_cndmask_b32_e64 v108, 0, 1, s3
	v_cmp_gt_u64_e64 s1, s[34:35], v[61:62]
	v_mad_u32_u24 v61, v0, 15, 2
	s_and_b32 s0, s0, s17
	s_delay_alu instid0(SALU_CYCLE_1) | instskip(NEXT) | instid1(VALU_DEP_2)
	v_cndmask_b32_e64 v109, 0, 1, s0
	v_cmp_gt_u64_e64 s2, s[34:35], v[61:62]
	v_mad_u32_u24 v61, v0, 15, 1
	s_and_b32 s0, s1, s19
	s_mov_b32 s1, 1
	v_cndmask_b32_e64 v110, 0, 1, s0
	s_delay_alu instid0(VALU_DEP_2) | instskip(SKIP_4) | instid1(SALU_CYCLE_1)
	v_cmp_gt_u64_e32 vcc_lo, s[34:35], v[61:62]
	s_and_b32 s0, s2, s20
	s_mov_b32 s2, exec_lo
	v_cndmask_b32_e64 v111, 0, 1, s0
	s_and_b32 s0, vcc_lo, s21
	v_cndmask_b32_e64 v112, 0, 1, s0
                                        ; implicit-def: $sgpr0
	v_cmpx_ne_u32_e32 0, v0
	s_cbranch_execz .LBB265_220
; %bb.82:
	v_add_nc_u32_e32 v61, -8, v63
	s_or_b32 s45, s45, exec_lo
	ds_load_b64 v[63:64], v61
	v_mul_u32_u24_e32 v61, 15, v0
	s_delay_alu instid0(VALU_DEP_1) | instskip(SKIP_2) | instid1(VALU_DEP_1)
	v_cmp_gt_u64_e32 vcc_lo, s[34:35], v[61:62]
	s_waitcnt lgkmcnt(0)
	v_cmp_ne_u64_e64 s0, v[63:64], v[25:26]
	s_and_b32 s0, vcc_lo, s0
	s_delay_alu instid0(SALU_CYCLE_1)
	s_and_b32 s0, s0, exec_lo
	s_or_b32 exec_lo, exec_lo, s2
.LBB265_83:
	v_mov_b32_e32 v113, s1
	s_and_saveexec_b32 s1, s45
.LBB265_84:
	v_cndmask_b32_e64 v113, 0, 1, s0
.LBB265_85:
	s_or_b32 exec_lo, exec_lo, s1
	s_delay_alu instid0(VALU_DEP_1)
	v_add3_u32 v61, v112, v113, v111
	v_dual_mov_b32 v95, v53 :: v_dual_mov_b32 v96, v54
	v_cmp_eq_u32_e64 s12, 0, v112
	v_cmp_eq_u32_e64 s11, 0, v111
	;; [unrolled: 1-line block ×3, first 2 shown]
	v_add3_u32 v116, v61, v110, v109
	v_cmp_eq_u32_e64 s9, 0, v109
	v_cmp_eq_u32_e64 s8, 0, v108
	;; [unrolled: 1-line block ×10, first 2 shown]
	v_cmp_eq_u32_e32 vcc_lo, 0, v105
	v_mbcnt_lo_u32_b32 v115, -1, 0
	s_cmp_eq_u64 s[42:43], 0
	s_cselect_b32 s14, -1, 0
	s_cmp_lg_u32 s15, 0
	s_cbranch_scc0 .LBB265_152
; %bb.86:
	v_cndmask_b32_e64 v61, 0, v53, s12
	v_cndmask_b32_e64 v62, 0, v54, s12
	v_add3_u32 v63, v116, v108, v107
	s_delay_alu instid0(VALU_DEP_3) | instskip(NEXT) | instid1(VALU_DEP_1)
	v_add_co_u32 v61, s13, v61, v55
	v_add_co_ci_u32_e64 v62, s13, v62, v56, s13
	s_delay_alu instid0(VALU_DEP_3) | instskip(NEXT) | instid1(VALU_DEP_3)
	v_add3_u32 v63, v63, v106, v104
	v_cndmask_b32_e64 v61, 0, v61, s11
	s_delay_alu instid0(VALU_DEP_3) | instskip(NEXT) | instid1(VALU_DEP_3)
	v_cndmask_b32_e64 v62, 0, v62, s11
	v_add3_u32 v63, v63, v103, v102
	s_delay_alu instid0(VALU_DEP_3) | instskip(NEXT) | instid1(VALU_DEP_1)
	v_add_co_u32 v61, s13, v61, v49
	v_add_co_ci_u32_e64 v62, s13, v62, v50, s13
	s_delay_alu instid0(VALU_DEP_3) | instskip(NEXT) | instid1(VALU_DEP_3)
	v_add3_u32 v63, v63, v101, v100
	v_cndmask_b32_e64 v61, 0, v61, s10
	s_delay_alu instid0(VALU_DEP_3) | instskip(NEXT) | instid1(VALU_DEP_3)
	v_cndmask_b32_e64 v62, 0, v62, s10
	v_add3_u32 v65, v63, v99, v105
	s_delay_alu instid0(VALU_DEP_3) | instskip(NEXT) | instid1(VALU_DEP_1)
	v_add_co_u32 v61, s13, v61, v51
	v_add_co_ci_u32_e64 v62, s13, v62, v52, s13
	s_delay_alu instid0(VALU_DEP_2) | instskip(NEXT) | instid1(VALU_DEP_2)
	v_cndmask_b32_e64 v61, 0, v61, s9
	v_cndmask_b32_e64 v62, 0, v62, s9
	s_delay_alu instid0(VALU_DEP_2) | instskip(NEXT) | instid1(VALU_DEP_1)
	v_add_co_u32 v61, s13, v61, v45
	v_add_co_ci_u32_e64 v62, s13, v62, v46, s13
	s_delay_alu instid0(VALU_DEP_2) | instskip(NEXT) | instid1(VALU_DEP_2)
	v_cndmask_b32_e64 v61, 0, v61, s8
	v_cndmask_b32_e64 v62, 0, v62, s8
	s_delay_alu instid0(VALU_DEP_2) | instskip(NEXT) | instid1(VALU_DEP_1)
	;; [unrolled: 6-line block ×10, first 2 shown]
	v_add_co_u32 v61, s13, v61, v31
	v_add_co_ci_u32_e64 v62, s13, v62, v32, s13
	s_mov_b32 s13, exec_lo
	s_delay_alu instid0(VALU_DEP_1) | instskip(NEXT) | instid1(VALU_DEP_1)
	v_dual_cndmask_b32 v61, 0, v61 :: v_dual_cndmask_b32 v62, 0, v62
	v_add_co_u32 v63, vcc_lo, v61, v59
	s_delay_alu instid0(VALU_DEP_2) | instskip(SKIP_2) | instid1(VALU_DEP_4)
	v_add_co_ci_u32_e32 v64, vcc_lo, v62, v60, vcc_lo
	v_and_b32_e32 v61, 15, v115
	v_mov_b32_dpp v62, v65 row_shr:1 row_mask:0xf bank_mask:0xf
	v_mov_b32_dpp v66, v63 row_shr:1 row_mask:0xf bank_mask:0xf
	s_delay_alu instid0(VALU_DEP_4) | instskip(NEXT) | instid1(VALU_DEP_4)
	v_mov_b32_dpp v67, v64 row_shr:1 row_mask:0xf bank_mask:0xf
	v_cmpx_ne_u32_e32 0, v61
; %bb.87:
	v_cmp_eq_u32_e32 vcc_lo, 0, v65
	v_add_nc_u32_e32 v65, v62, v65
	s_delay_alu instid0(VALU_DEP_4) | instskip(NEXT) | instid1(VALU_DEP_1)
	v_dual_cndmask_b32 v67, 0, v67 :: v_dual_cndmask_b32 v66, 0, v66
	v_add_co_u32 v63, vcc_lo, v66, v63
	s_delay_alu instid0(VALU_DEP_2)
	v_add_co_ci_u32_e32 v64, vcc_lo, v67, v64, vcc_lo
; %bb.88:
	s_or_b32 exec_lo, exec_lo, s13
	v_mov_b32_dpp v62, v65 row_shr:2 row_mask:0xf bank_mask:0xf
	s_delay_alu instid0(VALU_DEP_3) | instskip(NEXT) | instid1(VALU_DEP_3)
	v_mov_b32_dpp v66, v63 row_shr:2 row_mask:0xf bank_mask:0xf
	v_mov_b32_dpp v67, v64 row_shr:2 row_mask:0xf bank_mask:0xf
	s_mov_b32 s13, exec_lo
	v_cmpx_lt_u32_e32 1, v61
; %bb.89:
	v_cmp_eq_u32_e32 vcc_lo, 0, v65
	v_add_nc_u32_e32 v65, v62, v65
	v_dual_cndmask_b32 v67, 0, v67 :: v_dual_cndmask_b32 v66, 0, v66
	s_delay_alu instid0(VALU_DEP_1) | instskip(NEXT) | instid1(VALU_DEP_2)
	v_add_co_u32 v63, vcc_lo, v66, v63
	v_add_co_ci_u32_e32 v64, vcc_lo, v67, v64, vcc_lo
; %bb.90:
	s_or_b32 exec_lo, exec_lo, s13
	v_mov_b32_dpp v62, v65 row_shr:4 row_mask:0xf bank_mask:0xf
	s_delay_alu instid0(VALU_DEP_3) | instskip(NEXT) | instid1(VALU_DEP_3)
	v_mov_b32_dpp v66, v63 row_shr:4 row_mask:0xf bank_mask:0xf
	v_mov_b32_dpp v67, v64 row_shr:4 row_mask:0xf bank_mask:0xf
	s_mov_b32 s13, exec_lo
	v_cmpx_lt_u32_e32 3, v61
; %bb.91:
	v_cmp_eq_u32_e32 vcc_lo, 0, v65
	v_add_nc_u32_e32 v65, v62, v65
	v_dual_cndmask_b32 v67, 0, v67 :: v_dual_cndmask_b32 v66, 0, v66
	s_delay_alu instid0(VALU_DEP_1) | instskip(NEXT) | instid1(VALU_DEP_2)
	v_add_co_u32 v63, vcc_lo, v66, v63
	v_add_co_ci_u32_e32 v64, vcc_lo, v67, v64, vcc_lo
; %bb.92:
	s_or_b32 exec_lo, exec_lo, s13
	v_mov_b32_dpp v62, v65 row_shr:8 row_mask:0xf bank_mask:0xf
	s_delay_alu instid0(VALU_DEP_3) | instskip(NEXT) | instid1(VALU_DEP_3)
	v_mov_b32_dpp v66, v63 row_shr:8 row_mask:0xf bank_mask:0xf
	v_mov_b32_dpp v67, v64 row_shr:8 row_mask:0xf bank_mask:0xf
	s_mov_b32 s13, exec_lo
	v_cmpx_lt_u32_e32 7, v61
; %bb.93:
	v_cmp_eq_u32_e32 vcc_lo, 0, v65
	v_add_nc_u32_e32 v65, v62, v65
	v_dual_cndmask_b32 v61, 0, v67 :: v_dual_cndmask_b32 v66, 0, v66
	s_delay_alu instid0(VALU_DEP_1) | instskip(NEXT) | instid1(VALU_DEP_2)
	v_add_co_u32 v63, vcc_lo, v66, v63
	v_add_co_ci_u32_e32 v64, vcc_lo, v61, v64, vcc_lo
; %bb.94:
	s_or_b32 exec_lo, exec_lo, s13
	ds_swizzle_b32 v61, v65 offset:swizzle(BROADCAST,32,15)
	ds_swizzle_b32 v62, v63 offset:swizzle(BROADCAST,32,15)
	;; [unrolled: 1-line block ×3, first 2 shown]
	v_and_b32_e32 v67, 16, v115
	s_mov_b32 s13, exec_lo
	s_delay_alu instid0(VALU_DEP_1)
	v_cmpx_ne_u32_e32 0, v67
	s_cbranch_execz .LBB265_96
; %bb.95:
	v_cmp_eq_u32_e32 vcc_lo, 0, v65
	s_waitcnt lgkmcnt(1)
	v_dual_cndmask_b32 v62, 0, v62 :: v_dual_add_nc_u32 v65, v61, v65
	s_waitcnt lgkmcnt(0)
	v_cndmask_b32_e32 v66, 0, v66, vcc_lo
	s_delay_alu instid0(VALU_DEP_2) | instskip(NEXT) | instid1(VALU_DEP_2)
	v_add_co_u32 v63, vcc_lo, v62, v63
	v_add_co_ci_u32_e32 v64, vcc_lo, v66, v64, vcc_lo
.LBB265_96:
	s_or_b32 exec_lo, exec_lo, s13
	s_waitcnt lgkmcnt(1)
	v_lshrrev_b32_e32 v62, 5, v0
	v_or_b32_e32 v61, 31, v0
	s_mov_b32 s13, exec_lo
	s_waitcnt lgkmcnt(0)
	s_delay_alu instid0(VALU_DEP_2) | instskip(NEXT) | instid1(VALU_DEP_2)
	v_lshlrev_b32_e32 v66, 4, v62
	v_cmpx_eq_u32_e64 v61, v0
	s_cbranch_execz .LBB265_98
; %bb.97:
	ds_store_b32 v66, v65 offset:4128
	ds_store_b64 v66, v[63:64] offset:4136
.LBB265_98:
	s_or_b32 exec_lo, exec_lo, s13
	s_delay_alu instid0(SALU_CYCLE_1)
	s_mov_b32 s13, exec_lo
	s_waitcnt lgkmcnt(0)
	s_barrier
	buffer_gl0_inv
	v_cmpx_gt_u32_e32 8, v0
	s_cbranch_execz .LBB265_106
; %bb.99:
	v_lshlrev_b32_e32 v67, 4, v0
	v_and_b32_e32 v69, 7, v115
	s_mov_b32 s16, exec_lo
	ds_load_b32 v68, v67 offset:4128
	ds_load_b64 v[61:62], v67 offset:4136
	s_waitcnt lgkmcnt(1)
	v_mov_b32_dpp v70, v68 row_shr:1 row_mask:0xf bank_mask:0xf
	s_waitcnt lgkmcnt(0)
	v_mov_b32_dpp v71, v61 row_shr:1 row_mask:0xf bank_mask:0xf
	v_mov_b32_dpp v72, v62 row_shr:1 row_mask:0xf bank_mask:0xf
	v_cmpx_ne_u32_e32 0, v69
; %bb.100:
	v_cmp_eq_u32_e32 vcc_lo, 0, v68
	v_add_nc_u32_e32 v68, v70, v68
	s_delay_alu instid0(VALU_DEP_4) | instskip(NEXT) | instid1(VALU_DEP_1)
	v_dual_cndmask_b32 v72, 0, v72 :: v_dual_cndmask_b32 v71, 0, v71
	v_add_co_u32 v61, vcc_lo, v71, v61
	s_delay_alu instid0(VALU_DEP_2)
	v_add_co_ci_u32_e32 v62, vcc_lo, v72, v62, vcc_lo
; %bb.101:
	s_or_b32 exec_lo, exec_lo, s16
	v_mov_b32_dpp v70, v68 row_shr:2 row_mask:0xf bank_mask:0xf
	s_delay_alu instid0(VALU_DEP_3) | instskip(NEXT) | instid1(VALU_DEP_3)
	v_mov_b32_dpp v71, v61 row_shr:2 row_mask:0xf bank_mask:0xf
	v_mov_b32_dpp v72, v62 row_shr:2 row_mask:0xf bank_mask:0xf
	s_mov_b32 s16, exec_lo
	v_cmpx_lt_u32_e32 1, v69
; %bb.102:
	v_cmp_eq_u32_e32 vcc_lo, 0, v68
	v_add_nc_u32_e32 v68, v70, v68
	v_dual_cndmask_b32 v72, 0, v72 :: v_dual_cndmask_b32 v71, 0, v71
	s_delay_alu instid0(VALU_DEP_1) | instskip(NEXT) | instid1(VALU_DEP_2)
	v_add_co_u32 v61, vcc_lo, v71, v61
	v_add_co_ci_u32_e32 v62, vcc_lo, v72, v62, vcc_lo
; %bb.103:
	s_or_b32 exec_lo, exec_lo, s16
	v_mov_b32_dpp v70, v68 row_shr:4 row_mask:0xf bank_mask:0xf
	s_delay_alu instid0(VALU_DEP_3) | instskip(NEXT) | instid1(VALU_DEP_3)
	v_mov_b32_dpp v71, v61 row_shr:4 row_mask:0xf bank_mask:0xf
	v_mov_b32_dpp v72, v62 row_shr:4 row_mask:0xf bank_mask:0xf
	s_mov_b32 s16, exec_lo
	v_cmpx_lt_u32_e32 3, v69
; %bb.104:
	v_cmp_eq_u32_e32 vcc_lo, 0, v68
	v_dual_cndmask_b32 v71, 0, v71 :: v_dual_add_nc_u32 v68, v70, v68
	v_cndmask_b32_e32 v69, 0, v72, vcc_lo
	s_delay_alu instid0(VALU_DEP_2) | instskip(NEXT) | instid1(VALU_DEP_2)
	v_add_co_u32 v61, vcc_lo, v71, v61
	v_add_co_ci_u32_e32 v62, vcc_lo, v69, v62, vcc_lo
; %bb.105:
	s_or_b32 exec_lo, exec_lo, s16
	ds_store_b32 v67, v68 offset:4128
	ds_store_b64 v67, v[61:62] offset:4136
.LBB265_106:
	s_or_b32 exec_lo, exec_lo, s13
	v_mov_b32_e32 v61, 0
	v_cmp_gt_u32_e32 vcc_lo, 32, v0
	v_dual_mov_b32 v62, 0 :: v_dual_mov_b32 v71, 0
	s_mov_b32 s16, exec_lo
	s_waitcnt lgkmcnt(0)
	s_barrier
	buffer_gl0_inv
	v_cmpx_lt_u32_e32 31, v0
	s_cbranch_execz .LBB265_108
; %bb.107:
	ds_load_b64 v[61:62], v66 offset:4120
	ds_load_b32 v71, v66 offset:4112
	v_cmp_eq_u32_e64 s13, 0, v65
	s_waitcnt lgkmcnt(1)
	s_delay_alu instid0(VALU_DEP_1) | instskip(SKIP_3) | instid1(VALU_DEP_3)
	v_cndmask_b32_e64 v67, 0, v61, s13
	v_cndmask_b32_e64 v66, 0, v62, s13
	s_waitcnt lgkmcnt(0)
	v_add_nc_u32_e32 v65, v71, v65
	v_add_co_u32 v63, s13, v67, v63
	s_delay_alu instid0(VALU_DEP_1)
	v_add_co_ci_u32_e64 v64, s13, v66, v64, s13
.LBB265_108:
	s_or_b32 exec_lo, exec_lo, s16
	v_add_nc_u32_e32 v66, -1, v115
	s_delay_alu instid0(VALU_DEP_1) | instskip(NEXT) | instid1(VALU_DEP_1)
	v_cmp_gt_i32_e64 s13, 0, v66
	v_cndmask_b32_e64 v66, v66, v115, s13
	v_cmp_eq_u32_e64 s13, 0, v115
	s_delay_alu instid0(VALU_DEP_2)
	v_lshlrev_b32_e32 v66, 2, v66
	ds_bpermute_b32 v74, v66, v65
	ds_bpermute_b32 v73, v66, v63
	;; [unrolled: 1-line block ×3, first 2 shown]
	s_and_saveexec_b32 s16, vcc_lo
	s_cbranch_execz .LBB265_151
; %bb.109:
	v_mov_b32_e32 v67, 0
	ds_load_b32 v75, v67 offset:4240
	ds_load_b64 v[63:64], v67 offset:4248
	s_and_saveexec_b32 s17, s13
	s_cbranch_execz .LBB265_111
; %bb.110:
	s_add_i32 s18, s15, 32
	s_mov_b32 s19, 0
	v_dual_mov_b32 v65, s18 :: v_dual_mov_b32 v66, 1
	s_lshl_b64 s[20:21], s[18:19], 4
	s_delay_alu instid0(SALU_CYCLE_1)
	s_add_u32 s18, s36, s20
	s_addc_u32 s19, s37, s21
	s_waitcnt lgkmcnt(1)
	global_store_b32 v67, v75, s[18:19]
	s_waitcnt lgkmcnt(0)
	global_store_b64 v67, v[63:64], s[18:19] offset:8
	s_waitcnt_vscnt null, 0x0
	buffer_gl1_inv
	buffer_gl0_inv
	global_store_b8 v65, v66, s[40:41]
.LBB265_111:
	s_or_b32 exec_lo, exec_lo, s17
	v_xad_u32 v65, v115, -1, s15
	s_mov_b32 s18, 0
	s_mov_b32 s17, exec_lo
	s_delay_alu instid0(VALU_DEP_1)
	v_add_nc_u32_e32 v66, 32, v65
	global_load_u8 v76, v66, s[40:41] glc
	s_waitcnt vmcnt(0)
	v_cmpx_eq_u16_e32 0, v76
	s_cbranch_execz .LBB265_117
; %bb.112:
	v_add_co_u32 v68, s19, s40, v66
	s_delay_alu instid0(VALU_DEP_1)
	v_add_co_ci_u32_e64 v69, null, s41, 0, s19
	s_mov_b32 s19, 1
.LBB265_113:                            ; =>This Loop Header: Depth=1
                                        ;     Child Loop BB265_114 Depth 2
	s_delay_alu instid0(SALU_CYCLE_1)
	s_max_u32 s20, s19, 1
.LBB265_114:                            ;   Parent Loop BB265_113 Depth=1
                                        ; =>  This Inner Loop Header: Depth=2
	s_delay_alu instid0(SALU_CYCLE_1)
	s_add_i32 s20, s20, -1
	s_sleep 1
	s_cmp_eq_u32 s20, 0
	s_cbranch_scc0 .LBB265_114
; %bb.115:                              ;   in Loop: Header=BB265_113 Depth=1
	global_load_u8 v76, v[68:69], off glc
	s_cmp_lt_u32 s19, 32
	s_cselect_b32 s20, -1, 0
	s_delay_alu instid0(SALU_CYCLE_1) | instskip(SKIP_4) | instid1(SALU_CYCLE_1)
	s_cmp_lg_u32 s20, 0
	s_addc_u32 s19, s19, 0
	s_waitcnt vmcnt(0)
	v_cmp_ne_u16_e32 vcc_lo, 0, v76
	s_or_b32 s18, vcc_lo, s18
	s_and_not1_b32 exec_lo, exec_lo, s18
	s_cbranch_execnz .LBB265_113
; %bb.116:
	s_or_b32 exec_lo, exec_lo, s18
.LBB265_117:
	s_delay_alu instid0(SALU_CYCLE_1)
	s_or_b32 exec_lo, exec_lo, s17
	v_dual_mov_b32 v68, s37 :: v_dual_mov_b32 v69, s36
	v_cmp_eq_u16_e32 vcc_lo, 1, v76
	v_lshlrev_b64 v[66:67], 4, v[66:67]
	s_waitcnt lgkmcnt(0)
	s_waitcnt_vscnt null, 0x0
	buffer_gl1_inv
	buffer_gl0_inv
	v_lshlrev_b32_e64 v78, v115, -1
	s_mov_b32 s17, exec_lo
	v_cndmask_b32_e32 v69, s38, v69, vcc_lo
	v_cndmask_b32_e32 v68, s39, v68, vcc_lo
	s_delay_alu instid0(VALU_DEP_2) | instskip(NEXT) | instid1(VALU_DEP_2)
	v_add_co_u32 v66, vcc_lo, v69, v66
	v_add_co_ci_u32_e32 v67, vcc_lo, v68, v67, vcc_lo
	v_cmp_ne_u32_e32 vcc_lo, 31, v115
	s_clause 0x1
	global_load_b32 v88, v[66:67], off
	global_load_b64 v[69:70], v[66:67], off offset:8
	v_add_co_ci_u32_e32 v66, vcc_lo, 0, v115, vcc_lo
	v_cmp_eq_u16_e32 vcc_lo, 2, v76
	s_delay_alu instid0(VALU_DEP_2) | instskip(SKIP_1) | instid1(VALU_DEP_1)
	v_lshlrev_b32_e32 v77, 2, v66
	v_and_or_b32 v66, vcc_lo, v78, 0x80000000
	v_ctz_i32_b32_e32 v66, v66
	s_waitcnt vmcnt(1)
	ds_bpermute_b32 v67, v77, v88
	s_waitcnt vmcnt(0)
	ds_bpermute_b32 v68, v77, v69
	ds_bpermute_b32 v79, v77, v70
	v_cmpx_lt_u32_e64 v115, v66
	s_cbranch_execz .LBB265_119
; %bb.118:
	v_cmp_eq_u32_e32 vcc_lo, 0, v88
	s_waitcnt lgkmcnt(0)
	v_dual_cndmask_b32 v79, 0, v79 :: v_dual_add_nc_u32 v88, v67, v88
	v_cndmask_b32_e32 v68, 0, v68, vcc_lo
	s_delay_alu instid0(VALU_DEP_1) | instskip(NEXT) | instid1(VALU_DEP_3)
	v_add_co_u32 v69, vcc_lo, v68, v69
	v_add_co_ci_u32_e32 v70, vcc_lo, v79, v70, vcc_lo
.LBB265_119:
	s_or_b32 exec_lo, exec_lo, s17
	v_cmp_gt_u32_e32 vcc_lo, 30, v115
	v_add_nc_u32_e32 v80, 2, v115
	s_mov_b32 s17, exec_lo
	s_waitcnt lgkmcnt(2)
	v_cndmask_b32_e64 v67, 0, 1, vcc_lo
	s_delay_alu instid0(VALU_DEP_1) | instskip(SKIP_1) | instid1(VALU_DEP_1)
	v_lshlrev_b32_e32 v67, 1, v67
	s_waitcnt lgkmcnt(0)
	v_add_lshl_u32 v79, v67, v115, 2
	ds_bpermute_b32 v67, v79, v88
	ds_bpermute_b32 v68, v79, v69
	ds_bpermute_b32 v81, v79, v70
	v_cmpx_le_u32_e64 v80, v66
	s_cbranch_execz .LBB265_121
; %bb.120:
	v_cmp_eq_u32_e32 vcc_lo, 0, v88
	s_waitcnt lgkmcnt(0)
	v_dual_cndmask_b32 v81, 0, v81 :: v_dual_add_nc_u32 v88, v67, v88
	v_cndmask_b32_e32 v68, 0, v68, vcc_lo
	s_delay_alu instid0(VALU_DEP_1) | instskip(NEXT) | instid1(VALU_DEP_3)
	v_add_co_u32 v69, vcc_lo, v68, v69
	v_add_co_ci_u32_e32 v70, vcc_lo, v81, v70, vcc_lo
.LBB265_121:
	s_or_b32 exec_lo, exec_lo, s17
	v_cmp_gt_u32_e32 vcc_lo, 28, v115
	v_add_nc_u32_e32 v82, 4, v115
	s_mov_b32 s17, exec_lo
	s_waitcnt lgkmcnt(2)
	v_cndmask_b32_e64 v67, 0, 1, vcc_lo
	s_delay_alu instid0(VALU_DEP_1) | instskip(SKIP_1) | instid1(VALU_DEP_1)
	v_lshlrev_b32_e32 v67, 2, v67
	s_waitcnt lgkmcnt(0)
	v_add_lshl_u32 v81, v67, v115, 2
	ds_bpermute_b32 v67, v81, v88
	ds_bpermute_b32 v68, v81, v69
	ds_bpermute_b32 v83, v81, v70
	v_cmpx_le_u32_e64 v82, v66
	;; [unrolled: 24-line block ×3, first 2 shown]
	s_cbranch_execz .LBB265_125
; %bb.124:
	v_cmp_eq_u32_e32 vcc_lo, 0, v88
	s_waitcnt lgkmcnt(0)
	v_dual_cndmask_b32 v85, 0, v85 :: v_dual_add_nc_u32 v88, v67, v88
	v_cndmask_b32_e32 v68, 0, v68, vcc_lo
	s_delay_alu instid0(VALU_DEP_1) | instskip(NEXT) | instid1(VALU_DEP_3)
	v_add_co_u32 v69, vcc_lo, v68, v69
	v_add_co_ci_u32_e32 v70, vcc_lo, v85, v70, vcc_lo
.LBB265_125:
	s_or_b32 exec_lo, exec_lo, s17
	v_cmp_gt_u32_e32 vcc_lo, 16, v115
	v_add_nc_u32_e32 v87, 16, v115
	s_mov_b32 s17, exec_lo
	s_waitcnt lgkmcnt(2)
	v_cndmask_b32_e64 v67, 0, 1, vcc_lo
	s_delay_alu instid0(VALU_DEP_1) | instskip(NEXT) | instid1(VALU_DEP_1)
	v_lshlrev_b32_e32 v67, 4, v67
	v_add_lshl_u32 v86, v67, v115, 2
	ds_bpermute_b32 v67, v86, v88
	s_waitcnt lgkmcnt(2)
	ds_bpermute_b32 v68, v86, v69
	s_waitcnt lgkmcnt(2)
	ds_bpermute_b32 v85, v86, v70
	v_cmpx_le_u32_e64 v87, v66
	s_cbranch_execz .LBB265_127
; %bb.126:
	v_cmp_eq_u32_e32 vcc_lo, 0, v88
	s_waitcnt lgkmcnt(2)
	v_add_nc_u32_e32 v88, v67, v88
	s_waitcnt lgkmcnt(1)
	v_cndmask_b32_e32 v68, 0, v68, vcc_lo
	s_waitcnt lgkmcnt(0)
	v_cndmask_b32_e32 v66, 0, v85, vcc_lo
	s_delay_alu instid0(VALU_DEP_2) | instskip(NEXT) | instid1(VALU_DEP_2)
	v_add_co_u32 v69, vcc_lo, v68, v69
	v_add_co_ci_u32_e32 v70, vcc_lo, v66, v70, vcc_lo
.LBB265_127:
	s_or_b32 exec_lo, exec_lo, s17
	v_mov_b32_e32 v66, 0
	s_branch .LBB265_129
.LBB265_128:                            ;   in Loop: Header=BB265_129 Depth=1
	s_or_b32 exec_lo, exec_lo, s17
	v_cmp_eq_u32_e32 vcc_lo, 0, v85
	v_subrev_nc_u32_e32 v65, 32, v65
	v_add_nc_u32_e32 v88, v88, v85
	v_dual_cndmask_b32 v70, 0, v70 :: v_dual_cndmask_b32 v69, 0, v69
	s_delay_alu instid0(VALU_DEP_1) | instskip(NEXT) | instid1(VALU_DEP_2)
	v_add_co_u32 v69, vcc_lo, v69, v67
	v_add_co_ci_u32_e32 v70, vcc_lo, v70, v68, vcc_lo
.LBB265_129:                            ; =>This Loop Header: Depth=1
                                        ;     Child Loop BB265_132 Depth 2
                                        ;       Child Loop BB265_133 Depth 3
	s_waitcnt lgkmcnt(2)
	v_and_b32_e32 v67, 0xff, v76
	s_waitcnt lgkmcnt(0)
	v_mov_b32_e32 v85, v88
	s_delay_alu instid0(VALU_DEP_2) | instskip(SKIP_2) | instid1(VALU_DEP_1)
	v_cmp_ne_u16_e32 vcc_lo, 2, v67
	v_cndmask_b32_e64 v67, 0, 1, vcc_lo
	;;#ASMSTART
	;;#ASMEND
	v_cmp_ne_u32_e32 vcc_lo, 0, v67
	v_dual_mov_b32 v67, v69 :: v_dual_mov_b32 v68, v70
	s_cmp_lg_u32 vcc_lo, exec_lo
	s_cbranch_scc1 .LBB265_146
; %bb.130:                              ;   in Loop: Header=BB265_129 Depth=1
	global_load_u8 v76, v65, s[40:41] glc
	s_mov_b32 s17, exec_lo
	s_waitcnt vmcnt(0)
	v_cmpx_eq_u16_e32 0, v76
	s_cbranch_execz .LBB265_136
; %bb.131:                              ;   in Loop: Header=BB265_129 Depth=1
	v_add_co_u32 v69, s18, s40, v65
	s_delay_alu instid0(VALU_DEP_1)
	v_add_co_ci_u32_e64 v70, null, s41, 0, s18
	s_mov_b32 s19, 1
	s_mov_b32 s18, 0
.LBB265_132:                            ;   Parent Loop BB265_129 Depth=1
                                        ; =>  This Loop Header: Depth=2
                                        ;       Child Loop BB265_133 Depth 3
	s_max_u32 s20, s19, 1
.LBB265_133:                            ;   Parent Loop BB265_129 Depth=1
                                        ;     Parent Loop BB265_132 Depth=2
                                        ; =>    This Inner Loop Header: Depth=3
	s_delay_alu instid0(SALU_CYCLE_1)
	s_add_i32 s20, s20, -1
	s_sleep 1
	s_cmp_eq_u32 s20, 0
	s_cbranch_scc0 .LBB265_133
; %bb.134:                              ;   in Loop: Header=BB265_132 Depth=2
	global_load_u8 v76, v[69:70], off glc
	s_cmp_lt_u32 s19, 32
	s_cselect_b32 s20, -1, 0
	s_delay_alu instid0(SALU_CYCLE_1) | instskip(SKIP_4) | instid1(SALU_CYCLE_1)
	s_cmp_lg_u32 s20, 0
	s_addc_u32 s19, s19, 0
	s_waitcnt vmcnt(0)
	v_cmp_ne_u16_e32 vcc_lo, 0, v76
	s_or_b32 s18, vcc_lo, s18
	s_and_not1_b32 exec_lo, exec_lo, s18
	s_cbranch_execnz .LBB265_132
; %bb.135:                              ;   in Loop: Header=BB265_129 Depth=1
	s_or_b32 exec_lo, exec_lo, s18
.LBB265_136:                            ;   in Loop: Header=BB265_129 Depth=1
	s_delay_alu instid0(SALU_CYCLE_1)
	s_or_b32 exec_lo, exec_lo, s17
	v_dual_mov_b32 v88, s37 :: v_dual_mov_b32 v89, s36
	v_cmp_eq_u16_e32 vcc_lo, 1, v76
	v_lshlrev_b64 v[69:70], 4, v[65:66]
	buffer_gl1_inv
	buffer_gl0_inv
	s_mov_b32 s17, exec_lo
	v_cndmask_b32_e32 v89, s38, v89, vcc_lo
	v_cndmask_b32_e32 v88, s39, v88, vcc_lo
	s_delay_alu instid0(VALU_DEP_2) | instskip(NEXT) | instid1(VALU_DEP_2)
	v_add_co_u32 v69, vcc_lo, v89, v69
	v_add_co_ci_u32_e32 v70, vcc_lo, v88, v70, vcc_lo
	v_cmp_eq_u16_e32 vcc_lo, 2, v76
	s_clause 0x1
	global_load_b32 v88, v[69:70], off
	global_load_b64 v[69:70], v[69:70], off offset:8
	v_and_or_b32 v89, vcc_lo, v78, 0x80000000
	s_delay_alu instid0(VALU_DEP_1)
	v_ctz_i32_b32_e32 v89, v89
	s_waitcnt vmcnt(1)
	ds_bpermute_b32 v90, v77, v88
	s_waitcnt vmcnt(0)
	ds_bpermute_b32 v91, v77, v69
	ds_bpermute_b32 v92, v77, v70
	v_cmpx_lt_u32_e64 v115, v89
	s_cbranch_execz .LBB265_138
; %bb.137:                              ;   in Loop: Header=BB265_129 Depth=1
	v_cmp_eq_u32_e32 vcc_lo, 0, v88
	s_waitcnt lgkmcnt(2)
	v_add_nc_u32_e32 v88, v90, v88
	s_waitcnt lgkmcnt(0)
	v_dual_cndmask_b32 v92, 0, v92 :: v_dual_cndmask_b32 v91, 0, v91
	s_delay_alu instid0(VALU_DEP_1) | instskip(NEXT) | instid1(VALU_DEP_2)
	v_add_co_u32 v69, vcc_lo, v91, v69
	v_add_co_ci_u32_e32 v70, vcc_lo, v92, v70, vcc_lo
.LBB265_138:                            ;   in Loop: Header=BB265_129 Depth=1
	s_or_b32 exec_lo, exec_lo, s17
	s_waitcnt lgkmcnt(2)
	ds_bpermute_b32 v90, v79, v88
	s_waitcnt lgkmcnt(2)
	ds_bpermute_b32 v91, v79, v69
	s_waitcnt lgkmcnt(2)
	ds_bpermute_b32 v92, v79, v70
	s_mov_b32 s17, exec_lo
	v_cmpx_le_u32_e64 v80, v89
	s_cbranch_execz .LBB265_140
; %bb.139:                              ;   in Loop: Header=BB265_129 Depth=1
	v_cmp_eq_u32_e32 vcc_lo, 0, v88
	s_waitcnt lgkmcnt(2)
	v_add_nc_u32_e32 v88, v90, v88
	s_waitcnt lgkmcnt(0)
	v_dual_cndmask_b32 v92, 0, v92 :: v_dual_cndmask_b32 v91, 0, v91
	s_delay_alu instid0(VALU_DEP_1) | instskip(NEXT) | instid1(VALU_DEP_2)
	v_add_co_u32 v69, vcc_lo, v91, v69
	v_add_co_ci_u32_e32 v70, vcc_lo, v92, v70, vcc_lo
.LBB265_140:                            ;   in Loop: Header=BB265_129 Depth=1
	s_or_b32 exec_lo, exec_lo, s17
	s_waitcnt lgkmcnt(2)
	ds_bpermute_b32 v90, v81, v88
	s_waitcnt lgkmcnt(2)
	ds_bpermute_b32 v91, v81, v69
	s_waitcnt lgkmcnt(2)
	ds_bpermute_b32 v92, v81, v70
	s_mov_b32 s17, exec_lo
	v_cmpx_le_u32_e64 v82, v89
	;; [unrolled: 20-line block ×4, first 2 shown]
	s_cbranch_execz .LBB265_128
; %bb.145:                              ;   in Loop: Header=BB265_129 Depth=1
	v_cmp_eq_u32_e32 vcc_lo, 0, v88
	s_waitcnt lgkmcnt(1)
	v_dual_cndmask_b32 v91, 0, v91 :: v_dual_add_nc_u32 v88, v90, v88
	s_waitcnt lgkmcnt(0)
	v_cndmask_b32_e32 v89, 0, v92, vcc_lo
	s_delay_alu instid0(VALU_DEP_2) | instskip(NEXT) | instid1(VALU_DEP_2)
	v_add_co_u32 v69, vcc_lo, v91, v69
	v_add_co_ci_u32_e32 v70, vcc_lo, v89, v70, vcc_lo
	s_branch .LBB265_128
.LBB265_146:                            ;   in Loop: Header=BB265_129 Depth=1
                                        ; implicit-def: $vgpr69_vgpr70
                                        ; implicit-def: $vgpr88
                                        ; implicit-def: $vgpr76
	s_cbranch_execz .LBB265_129
; %bb.147:
	s_and_saveexec_b32 s17, s13
	s_cbranch_execz .LBB265_149
; %bb.148:
	v_cmp_eq_u32_e32 vcc_lo, 0, v75
	s_mov_b32 s19, 0
	s_add_i32 s18, s15, 32
	v_dual_mov_b32 v70, 0 :: v_dual_add_nc_u32 v69, v85, v75
	v_dual_cndmask_b32 v66, 0, v68 :: v_dual_cndmask_b32 v65, 0, v67
	s_lshl_b64 s[20:21], s[18:19], 4
	v_dual_mov_b32 v76, s18 :: v_dual_mov_b32 v77, 2
	s_add_u32 s20, s38, s20
	s_delay_alu instid0(VALU_DEP_2)
	v_add_co_u32 v65, vcc_lo, v65, v63
	v_add_co_ci_u32_e32 v66, vcc_lo, v66, v64, vcc_lo
	s_addc_u32 s21, s39, s21
	s_clause 0x1
	global_store_b32 v70, v69, s[20:21]
	global_store_b64 v70, v[65:66], s[20:21] offset:8
	s_waitcnt lgkmcnt(0)
	s_waitcnt_vscnt null, 0x0
	buffer_gl1_inv
	buffer_gl0_inv
	global_store_b8 v76, v77, s[40:41]
	ds_store_b32 v70, v75 offset:4096
	ds_store_b64 v70, v[63:64] offset:4104
	ds_store_b32 v70, v85 offset:4112
	ds_store_b64 v70, v[67:68] offset:4120
.LBB265_149:
	s_or_b32 exec_lo, exec_lo, s17
	v_cmp_eq_u32_e32 vcc_lo, 0, v0
	s_and_b32 exec_lo, exec_lo, vcc_lo
	s_cbranch_execz .LBB265_151
; %bb.150:
	v_mov_b32_e32 v63, 0
	ds_store_b32 v63, v85 offset:4240
	ds_store_b64 v63, v[67:68] offset:4248
.LBB265_151:
	s_or_b32 exec_lo, exec_lo, s16
	s_waitcnt lgkmcnt(2)
	v_cndmask_b32_e64 v66, v74, v71, s13
	s_waitcnt lgkmcnt(0)
	s_waitcnt_vscnt null, 0x0
	s_barrier
	buffer_gl0_inv
	v_cndmask_b32_e64 v61, v73, v61, s13
	v_cmp_eq_u32_e32 vcc_lo, 0, v66
	v_mov_b32_e32 v65, 0
	v_cndmask_b32_e64 v62, v72, v62, s13
	ds_load_b64 v[63:64], v65 offset:4248
	s_waitcnt lgkmcnt(0)
	v_dual_cndmask_b32 v68, 0, v63 :: v_dual_cndmask_b32 v67, 0, v64
	s_delay_alu instid0(VALU_DEP_1) | instskip(NEXT) | instid1(VALU_DEP_2)
	v_add_co_u32 v61, vcc_lo, v68, v61
	v_add_co_ci_u32_e32 v62, vcc_lo, v67, v62, vcc_lo
	v_cmp_eq_u32_e32 vcc_lo, 0, v0
	v_cndmask_b32_e64 v66, v66, 0, vcc_lo
	s_delay_alu instid0(VALU_DEP_3)
	v_dual_cndmask_b32 v78, v62, v64 :: v_dual_cndmask_b32 v77, v61, v63
	v_cmp_eq_u32_e32 vcc_lo, 0, v113
	ds_load_b32 v64, v65 offset:4240
	s_waitcnt lgkmcnt(0)
	s_barrier
	buffer_gl0_inv
	v_dual_cndmask_b32 v62, 0, v77 :: v_dual_cndmask_b32 v61, 0, v78
	ds_load_b64 v[117:118], v65 offset:4104
	v_add_co_u32 v75, vcc_lo, v62, v53
	v_add_co_ci_u32_e32 v76, vcc_lo, v61, v54, vcc_lo
	s_delay_alu instid0(VALU_DEP_2) | instskip(NEXT) | instid1(VALU_DEP_2)
	v_cndmask_b32_e64 v61, 0, v75, s12
	v_cndmask_b32_e64 v62, 0, v76, s12
	s_delay_alu instid0(VALU_DEP_2) | instskip(NEXT) | instid1(VALU_DEP_2)
	v_add_co_u32 v81, vcc_lo, v61, v55
	v_add_co_ci_u32_e32 v82, vcc_lo, v62, v56, vcc_lo
	v_add_nc_u32_e32 v114, v64, v66
	s_delay_alu instid0(VALU_DEP_3) | instskip(NEXT) | instid1(VALU_DEP_3)
	v_cndmask_b32_e64 v61, 0, v81, s11
	v_cndmask_b32_e64 v62, 0, v82, s11
	s_delay_alu instid0(VALU_DEP_2) | instskip(NEXT) | instid1(VALU_DEP_2)
	v_add_co_u32 v85, vcc_lo, v61, v49
	v_add_co_ci_u32_e32 v86, vcc_lo, v62, v50, vcc_lo
	s_delay_alu instid0(VALU_DEP_2) | instskip(NEXT) | instid1(VALU_DEP_2)
	v_cndmask_b32_e64 v61, 0, v85, s10
	v_cndmask_b32_e64 v62, 0, v86, s10
	s_delay_alu instid0(VALU_DEP_2) | instskip(NEXT) | instid1(VALU_DEP_2)
	v_add_co_u32 v67, vcc_lo, v61, v51
	v_add_co_ci_u32_e32 v68, vcc_lo, v62, v52, vcc_lo
	s_delay_alu instid0(VALU_DEP_2) | instskip(NEXT) | instid1(VALU_DEP_2)
	;; [unrolled: 6-line block ×7, first 2 shown]
	v_cndmask_b32_e64 v61, 0, v69, s4
	v_cndmask_b32_e64 v62, 0, v70, s4
	s_delay_alu instid0(VALU_DEP_2) | instskip(NEXT) | instid1(VALU_DEP_2)
	v_add_co_u32 v73, vcc_lo, v61, v39
	v_add_co_ci_u32_e32 v74, vcc_lo, v62, v40, vcc_lo
	ds_load_b32 v61, v65 offset:4096
	v_cndmask_b32_e64 v62, 0, v73, s3
	v_cndmask_b32_e64 v63, 0, v74, s3
	s_delay_alu instid0(VALU_DEP_2) | instskip(NEXT) | instid1(VALU_DEP_2)
	v_add_co_u32 v89, vcc_lo, v62, v33
	v_add_co_ci_u32_e32 v90, vcc_lo, v63, v34, vcc_lo
	ds_load_b64 v[62:63], v65 offset:4120
	v_cndmask_b32_e64 v91, 0, v89, s2
	ds_load_b32 v65, v65 offset:4112
	v_cndmask_b32_e64 v92, 0, v90, s2
	v_add_co_u32 v93, vcc_lo, v91, v35
	s_delay_alu instid0(VALU_DEP_2) | instskip(SKIP_2) | instid1(VALU_DEP_3)
	v_add_co_ci_u32_e32 v94, vcc_lo, v92, v36, vcc_lo
	s_waitcnt lgkmcnt(2)
	v_cmp_eq_u32_e32 vcc_lo, 0, v61
	v_cndmask_b32_e64 v91, 0, v93, s1
	s_delay_alu instid0(VALU_DEP_3) | instskip(NEXT) | instid1(VALU_DEP_2)
	v_cndmask_b32_e64 v92, 0, v94, s1
	v_add_co_u32 v91, s1, v91, v29
	s_delay_alu instid0(VALU_DEP_1) | instskip(SKIP_2) | instid1(VALU_DEP_3)
	v_add_co_ci_u32_e64 v92, s1, v92, v30, s1
	s_waitcnt lgkmcnt(1)
	v_dual_cndmask_b32 v119, 0, v63 :: v_dual_cndmask_b32 v62, 0, v62
	v_cndmask_b32_e64 v97, 0, v91, s0
	s_delay_alu instid0(VALU_DEP_3) | instskip(NEXT) | instid1(VALU_DEP_3)
	v_cndmask_b32_e64 v98, 0, v92, s0
	v_add_co_u32 v63, vcc_lo, v62, v117
	s_delay_alu instid0(VALU_DEP_4)
	v_add_co_ci_u32_e32 v64, vcc_lo, v119, v118, vcc_lo
	s_branch .LBB265_180
.LBB265_152:
                                        ; implicit-def: $vgpr61
                                        ; implicit-def: $vgpr63_vgpr64
                                        ; implicit-def: $vgpr65
                                        ; implicit-def: $vgpr77_vgpr78
                                        ; implicit-def: $vgpr75_vgpr76
                                        ; implicit-def: $vgpr81_vgpr82
                                        ; implicit-def: $vgpr85_vgpr86
                                        ; implicit-def: $vgpr67_vgpr68
                                        ; implicit-def: $vgpr71_vgpr72
                                        ; implicit-def: $vgpr79_vgpr80
                                        ; implicit-def: $vgpr83_vgpr84
                                        ; implicit-def: $vgpr87_vgpr88
                                        ; implicit-def: $vgpr69_vgpr70
                                        ; implicit-def: $vgpr73_vgpr74
                                        ; implicit-def: $vgpr89_vgpr90
                                        ; implicit-def: $vgpr93_vgpr94
                                        ; implicit-def: $vgpr91_vgpr92
                                        ; implicit-def: $vgpr97_vgpr98
                                        ; implicit-def: $vgpr114
	s_cbranch_execz .LBB265_180
; %bb.153:
	s_and_b32 s0, s14, exec_lo
	s_cselect_b32 s1, 0, s25
	s_cselect_b32 s0, 0, s24
	s_delay_alu instid0(SALU_CYCLE_1)
	s_cmp_eq_u64 s[0:1], 0
	s_cbranch_scc1 .LBB265_155
; %bb.154:
	v_mov_b32_e32 v61, 0
	global_load_b64 v[95:96], v61, s[0:1]
.LBB265_155:
	v_cmp_eq_u32_e64 s11, 0, v112
	v_cmp_eq_u32_e64 s10, 0, v111
	;; [unrolled: 1-line block ×5, first 2 shown]
	v_cndmask_b32_e64 v62, 0, v53, s11
	v_cndmask_b32_e64 v61, 0, v54, s11
	v_cmp_eq_u32_e64 s6, 0, v107
	v_cmp_eq_u32_e64 s5, 0, v106
	;; [unrolled: 1-line block ×3, first 2 shown]
	v_add_co_u32 v62, vcc_lo, v62, v55
	v_add_co_ci_u32_e32 v61, vcc_lo, v61, v56, vcc_lo
	v_cmp_eq_u32_e64 s3, 0, v103
	s_delay_alu instid0(VALU_DEP_3) | instskip(SKIP_1) | instid1(VALU_DEP_4)
	v_cndmask_b32_e64 v62, 0, v62, s10
	v_cmp_eq_u32_e64 s2, 0, v102
	v_cndmask_b32_e64 v61, 0, v61, s10
	v_cmp_eq_u32_e64 s1, 0, v100
	v_add3_u32 v63, v116, v108, v107
	v_add_co_u32 v62, vcc_lo, v62, v49
	s_delay_alu instid0(VALU_DEP_4) | instskip(NEXT) | instid1(VALU_DEP_3)
	v_add_co_ci_u32_e32 v61, vcc_lo, v61, v50, vcc_lo
	v_add3_u32 v63, v63, v106, v104
	s_delay_alu instid0(VALU_DEP_3) | instskip(SKIP_1) | instid1(VALU_DEP_3)
	v_cndmask_b32_e64 v62, 0, v62, s9
	s_mov_b32 s13, exec_lo
	v_cndmask_b32_e64 v61, 0, v61, s9
	s_delay_alu instid0(VALU_DEP_3) | instskip(NEXT) | instid1(VALU_DEP_3)
	v_add3_u32 v63, v63, v103, v102
	v_add_co_u32 v62, vcc_lo, v62, v51
	s_delay_alu instid0(VALU_DEP_3) | instskip(NEXT) | instid1(VALU_DEP_3)
	v_add_co_ci_u32_e32 v61, vcc_lo, v61, v52, vcc_lo
	v_add3_u32 v63, v63, v101, v100
	s_delay_alu instid0(VALU_DEP_3) | instskip(NEXT) | instid1(VALU_DEP_3)
	v_cndmask_b32_e64 v62, 0, v62, s8
	v_cndmask_b32_e64 v61, 0, v61, s8
	s_delay_alu instid0(VALU_DEP_3) | instskip(NEXT) | instid1(VALU_DEP_3)
	v_add3_u32 v63, v63, v99, v105
	v_add_co_u32 v62, vcc_lo, v62, v45
	s_delay_alu instid0(VALU_DEP_3) | instskip(NEXT) | instid1(VALU_DEP_2)
	v_add_co_ci_u32_e32 v61, vcc_lo, v61, v46, vcc_lo
	v_cndmask_b32_e64 v62, 0, v62, s7
	s_delay_alu instid0(VALU_DEP_2) | instskip(NEXT) | instid1(VALU_DEP_2)
	v_cndmask_b32_e64 v61, 0, v61, s7
	v_add_co_u32 v62, vcc_lo, v62, v47
	s_delay_alu instid0(VALU_DEP_2) | instskip(NEXT) | instid1(VALU_DEP_2)
	v_add_co_ci_u32_e32 v61, vcc_lo, v61, v48, vcc_lo
	v_cndmask_b32_e64 v62, 0, v62, s6
	s_delay_alu instid0(VALU_DEP_2) | instskip(NEXT) | instid1(VALU_DEP_2)
	v_cndmask_b32_e64 v61, 0, v61, s6
	v_add_co_u32 v62, vcc_lo, v62, v41
	s_delay_alu instid0(VALU_DEP_2) | instskip(NEXT) | instid1(VALU_DEP_2)
	v_add_co_ci_u32_e32 v61, vcc_lo, v61, v42, vcc_lo
	v_cndmask_b32_e64 v62, 0, v62, s5
	s_delay_alu instid0(VALU_DEP_2) | instskip(NEXT) | instid1(VALU_DEP_2)
	v_cndmask_b32_e64 v61, 0, v61, s5
	v_add_co_u32 v62, vcc_lo, v62, v43
	s_delay_alu instid0(VALU_DEP_2) | instskip(NEXT) | instid1(VALU_DEP_2)
	v_add_co_ci_u32_e32 v61, vcc_lo, v61, v44, vcc_lo
	v_cndmask_b32_e64 v62, 0, v62, s4
	s_delay_alu instid0(VALU_DEP_2) | instskip(NEXT) | instid1(VALU_DEP_2)
	v_cndmask_b32_e64 v61, 0, v61, s4
	v_add_co_u32 v62, vcc_lo, v62, v37
	s_delay_alu instid0(VALU_DEP_2) | instskip(NEXT) | instid1(VALU_DEP_2)
	v_add_co_ci_u32_e32 v61, vcc_lo, v61, v38, vcc_lo
	v_cndmask_b32_e64 v62, 0, v62, s3
	s_delay_alu instid0(VALU_DEP_2) | instskip(NEXT) | instid1(VALU_DEP_2)
	v_cndmask_b32_e64 v61, 0, v61, s3
	v_add_co_u32 v62, vcc_lo, v62, v39
	s_delay_alu instid0(VALU_DEP_2) | instskip(NEXT) | instid1(VALU_DEP_2)
	v_add_co_ci_u32_e32 v61, vcc_lo, v61, v40, vcc_lo
	v_cndmask_b32_e64 v62, 0, v62, s2
	s_delay_alu instid0(VALU_DEP_2) | instskip(NEXT) | instid1(VALU_DEP_2)
	v_cndmask_b32_e64 v61, 0, v61, s2
	v_add_co_u32 v62, vcc_lo, v62, v33
	s_delay_alu instid0(VALU_DEP_2) | instskip(SKIP_1) | instid1(VALU_DEP_2)
	v_add_co_ci_u32_e32 v61, vcc_lo, v61, v34, vcc_lo
	v_cmp_eq_u32_e32 vcc_lo, 0, v101
	v_dual_cndmask_b32 v61, 0, v61 :: v_dual_cndmask_b32 v62, 0, v62
	s_delay_alu instid0(VALU_DEP_1) | instskip(NEXT) | instid1(VALU_DEP_1)
	v_add_co_u32 v62, s0, v62, v35
	v_add_co_ci_u32_e64 v61, s0, v61, v36, s0
	s_delay_alu instid0(VALU_DEP_2) | instskip(NEXT) | instid1(VALU_DEP_2)
	v_cndmask_b32_e64 v62, 0, v62, s1
	v_cndmask_b32_e64 v61, 0, v61, s1
	s_delay_alu instid0(VALU_DEP_2) | instskip(NEXT) | instid1(VALU_DEP_1)
	v_add_co_u32 v62, s0, v62, v29
	v_add_co_ci_u32_e64 v61, s0, v61, v30, s0
	v_cmp_eq_u32_e64 s0, 0, v99
	s_delay_alu instid0(VALU_DEP_1) | instskip(NEXT) | instid1(VALU_DEP_3)
	v_cndmask_b32_e64 v62, 0, v62, s0
	v_cndmask_b32_e64 v61, 0, v61, s0
	s_delay_alu instid0(VALU_DEP_2) | instskip(NEXT) | instid1(VALU_DEP_1)
	v_add_co_u32 v62, s12, v62, v31
	v_add_co_ci_u32_e64 v61, s12, v61, v32, s12
	v_cmp_eq_u32_e64 s12, 0, v105
	s_delay_alu instid0(VALU_DEP_1) | instskip(NEXT) | instid1(VALU_DEP_3)
	v_cndmask_b32_e64 v62, 0, v62, s12
	v_cndmask_b32_e64 v61, 0, v61, s12
	s_delay_alu instid0(VALU_DEP_2) | instskip(NEXT) | instid1(VALU_DEP_1)
	v_add_co_u32 v59, s12, v62, v59
	v_add_co_ci_u32_e64 v60, s12, v61, v60, s12
	v_and_b32_e32 v61, 15, v115
	v_mov_b32_dpp v62, v63 row_shr:1 row_mask:0xf bank_mask:0xf
	s_delay_alu instid0(VALU_DEP_4)
	v_mov_b32_dpp v64, v59 row_shr:1 row_mask:0xf bank_mask:0xf
	s_waitcnt lgkmcnt(0)
	v_mov_b32_dpp v65, v60 row_shr:1 row_mask:0xf bank_mask:0xf
	v_cmpx_ne_u32_e32 0, v61
; %bb.156:
	v_cmp_eq_u32_e64 s12, 0, v63
	v_add_nc_u32_e32 v63, v62, v63
	s_delay_alu instid0(VALU_DEP_2) | instskip(SKIP_1) | instid1(VALU_DEP_2)
	v_cndmask_b32_e64 v64, 0, v64, s12
	v_cndmask_b32_e64 v65, 0, v65, s12
	v_add_co_u32 v59, s12, v64, v59
	s_delay_alu instid0(VALU_DEP_1)
	v_add_co_ci_u32_e64 v60, s12, v65, v60, s12
; %bb.157:
	s_or_b32 exec_lo, exec_lo, s13
	v_mov_b32_dpp v62, v63 row_shr:2 row_mask:0xf bank_mask:0xf
	s_delay_alu instid0(VALU_DEP_3) | instskip(NEXT) | instid1(VALU_DEP_3)
	v_mov_b32_dpp v64, v59 row_shr:2 row_mask:0xf bank_mask:0xf
	v_mov_b32_dpp v65, v60 row_shr:2 row_mask:0xf bank_mask:0xf
	s_mov_b32 s13, exec_lo
	v_cmpx_lt_u32_e32 1, v61
; %bb.158:
	v_cmp_eq_u32_e64 s12, 0, v63
	v_add_nc_u32_e32 v63, v62, v63
	s_delay_alu instid0(VALU_DEP_2) | instskip(SKIP_1) | instid1(VALU_DEP_2)
	v_cndmask_b32_e64 v64, 0, v64, s12
	v_cndmask_b32_e64 v65, 0, v65, s12
	v_add_co_u32 v59, s12, v64, v59
	s_delay_alu instid0(VALU_DEP_1)
	v_add_co_ci_u32_e64 v60, s12, v65, v60, s12
; %bb.159:
	s_or_b32 exec_lo, exec_lo, s13
	v_mov_b32_dpp v62, v63 row_shr:4 row_mask:0xf bank_mask:0xf
	s_delay_alu instid0(VALU_DEP_3) | instskip(NEXT) | instid1(VALU_DEP_3)
	v_mov_b32_dpp v64, v59 row_shr:4 row_mask:0xf bank_mask:0xf
	v_mov_b32_dpp v65, v60 row_shr:4 row_mask:0xf bank_mask:0xf
	s_mov_b32 s13, exec_lo
	v_cmpx_lt_u32_e32 3, v61
	;; [unrolled: 17-line block ×3, first 2 shown]
; %bb.162:
	v_cmp_eq_u32_e64 s12, 0, v63
	v_add_nc_u32_e32 v63, v62, v63
	s_delay_alu instid0(VALU_DEP_2) | instskip(SKIP_1) | instid1(VALU_DEP_2)
	v_cndmask_b32_e64 v64, 0, v64, s12
	v_cndmask_b32_e64 v61, 0, v65, s12
	v_add_co_u32 v59, s12, v64, v59
	s_delay_alu instid0(VALU_DEP_1)
	v_add_co_ci_u32_e64 v60, s12, v61, v60, s12
; %bb.163:
	s_or_b32 exec_lo, exec_lo, s13
	ds_swizzle_b32 v61, v63 offset:swizzle(BROADCAST,32,15)
	ds_swizzle_b32 v62, v59 offset:swizzle(BROADCAST,32,15)
	;; [unrolled: 1-line block ×3, first 2 shown]
	v_and_b32_e32 v65, 16, v115
	s_mov_b32 s13, exec_lo
	s_delay_alu instid0(VALU_DEP_1)
	v_cmpx_ne_u32_e32 0, v65
	s_cbranch_execz .LBB265_165
; %bb.164:
	v_cmp_eq_u32_e64 s12, 0, v63
	s_waitcnt lgkmcnt(2)
	v_add_nc_u32_e32 v63, v61, v63
	s_waitcnt lgkmcnt(1)
	s_delay_alu instid0(VALU_DEP_2) | instskip(SKIP_2) | instid1(VALU_DEP_2)
	v_cndmask_b32_e64 v62, 0, v62, s12
	s_waitcnt lgkmcnt(0)
	v_cndmask_b32_e64 v64, 0, v64, s12
	v_add_co_u32 v59, s12, v62, v59
	s_delay_alu instid0(VALU_DEP_1)
	v_add_co_ci_u32_e64 v60, s12, v64, v60, s12
.LBB265_165:
	s_or_b32 exec_lo, exec_lo, s13
	s_waitcnt lgkmcnt(2)
	v_or_b32_e32 v61, 31, v0
	s_waitcnt lgkmcnt(0)
	v_lshrrev_b32_e32 v64, 5, v0
	s_mov_b32 s13, exec_lo
	s_delay_alu instid0(VALU_DEP_2)
	v_cmpx_eq_u32_e64 v61, v0
	s_cbranch_execz .LBB265_167
; %bb.166:
	s_delay_alu instid0(VALU_DEP_2)
	v_lshlrev_b32_e32 v61, 4, v64
	ds_store_b32 v61, v63 offset:4128
	ds_store_b64 v61, v[59:60] offset:4136
.LBB265_167:
	s_or_b32 exec_lo, exec_lo, s13
	s_delay_alu instid0(SALU_CYCLE_1)
	s_mov_b32 s13, exec_lo
	s_waitcnt vmcnt(0) lgkmcnt(0)
	s_barrier
	buffer_gl0_inv
	v_cmpx_gt_u32_e32 8, v0
	s_cbranch_execz .LBB265_175
; %bb.168:
	v_lshlrev_b32_e32 v65, 4, v0
	v_and_b32_e32 v67, 7, v115
	s_mov_b32 s15, exec_lo
	ds_load_b32 v66, v65 offset:4128
	ds_load_b64 v[61:62], v65 offset:4136
	s_waitcnt lgkmcnt(1)
	v_mov_b32_dpp v68, v66 row_shr:1 row_mask:0xf bank_mask:0xf
	s_waitcnt lgkmcnt(0)
	v_mov_b32_dpp v69, v61 row_shr:1 row_mask:0xf bank_mask:0xf
	v_mov_b32_dpp v70, v62 row_shr:1 row_mask:0xf bank_mask:0xf
	v_cmpx_ne_u32_e32 0, v67
; %bb.169:
	v_cmp_eq_u32_e64 s12, 0, v66
	v_add_nc_u32_e32 v66, v68, v66
	s_delay_alu instid0(VALU_DEP_2) | instskip(SKIP_1) | instid1(VALU_DEP_2)
	v_cndmask_b32_e64 v69, 0, v69, s12
	v_cndmask_b32_e64 v70, 0, v70, s12
	v_add_co_u32 v61, s12, v69, v61
	s_delay_alu instid0(VALU_DEP_1)
	v_add_co_ci_u32_e64 v62, s12, v70, v62, s12
; %bb.170:
	s_or_b32 exec_lo, exec_lo, s15
	v_mov_b32_dpp v68, v66 row_shr:2 row_mask:0xf bank_mask:0xf
	s_delay_alu instid0(VALU_DEP_3) | instskip(NEXT) | instid1(VALU_DEP_3)
	v_mov_b32_dpp v69, v61 row_shr:2 row_mask:0xf bank_mask:0xf
	v_mov_b32_dpp v70, v62 row_shr:2 row_mask:0xf bank_mask:0xf
	s_mov_b32 s15, exec_lo
	v_cmpx_lt_u32_e32 1, v67
; %bb.171:
	v_cmp_eq_u32_e64 s12, 0, v66
	v_add_nc_u32_e32 v66, v68, v66
	s_delay_alu instid0(VALU_DEP_2) | instskip(SKIP_1) | instid1(VALU_DEP_2)
	v_cndmask_b32_e64 v69, 0, v69, s12
	v_cndmask_b32_e64 v70, 0, v70, s12
	v_add_co_u32 v61, s12, v69, v61
	s_delay_alu instid0(VALU_DEP_1)
	v_add_co_ci_u32_e64 v62, s12, v70, v62, s12
; %bb.172:
	s_or_b32 exec_lo, exec_lo, s15
	v_mov_b32_dpp v68, v66 row_shr:4 row_mask:0xf bank_mask:0xf
	s_delay_alu instid0(VALU_DEP_3) | instskip(NEXT) | instid1(VALU_DEP_3)
	v_mov_b32_dpp v69, v61 row_shr:4 row_mask:0xf bank_mask:0xf
	v_mov_b32_dpp v70, v62 row_shr:4 row_mask:0xf bank_mask:0xf
	s_mov_b32 s15, exec_lo
	v_cmpx_lt_u32_e32 3, v67
; %bb.173:
	v_cmp_eq_u32_e64 s12, 0, v66
	v_add_nc_u32_e32 v66, v68, v66
	s_delay_alu instid0(VALU_DEP_2) | instskip(SKIP_1) | instid1(VALU_DEP_2)
	v_cndmask_b32_e64 v69, 0, v69, s12
	v_cndmask_b32_e64 v67, 0, v70, s12
	v_add_co_u32 v61, s12, v69, v61
	s_delay_alu instid0(VALU_DEP_1)
	v_add_co_ci_u32_e64 v62, s12, v67, v62, s12
; %bb.174:
	s_or_b32 exec_lo, exec_lo, s15
	ds_store_b32 v65, v66 offset:4128
	ds_store_b64 v65, v[61:62] offset:4136
.LBB265_175:
	s_or_b32 exec_lo, exec_lo, s13
	v_dual_mov_b32 v65, 0 :: v_dual_mov_b32 v66, 0
	v_dual_mov_b32 v61, v95 :: v_dual_mov_b32 v62, v96
	s_mov_b32 s13, exec_lo
	s_waitcnt lgkmcnt(0)
	s_barrier
	buffer_gl0_inv
	v_cmpx_lt_u32_e32 31, v0
	s_cbranch_execz .LBB265_177
; %bb.176:
	v_lshlrev_b32_e32 v61, 4, v64
	ds_load_b32 v66, v61 offset:4112
	ds_load_b64 v[61:62], v61 offset:4120
	s_waitcnt lgkmcnt(1)
	v_cmp_eq_u32_e64 s12, 0, v66
	s_delay_alu instid0(VALU_DEP_1) | instskip(SKIP_2) | instid1(VALU_DEP_2)
	v_cndmask_b32_e64 v67, 0, v95, s12
	v_cndmask_b32_e64 v64, 0, v96, s12
	s_waitcnt lgkmcnt(0)
	v_add_co_u32 v61, s12, v67, v61
	s_delay_alu instid0(VALU_DEP_1)
	v_add_co_ci_u32_e64 v62, s12, v64, v62, s12
.LBB265_177:
	s_or_b32 exec_lo, exec_lo, s13
	v_add_nc_u32_e32 v64, -1, v115
	v_cmp_eq_u32_e64 s12, 0, v63
	v_add_nc_u32_e32 v63, v66, v63
	s_delay_alu instid0(VALU_DEP_3) | instskip(NEXT) | instid1(VALU_DEP_3)
	v_cmp_gt_i32_e64 s13, 0, v64
	v_cndmask_b32_e64 v68, 0, v61, s12
	v_cndmask_b32_e64 v67, 0, v62, s12
	s_delay_alu instid0(VALU_DEP_3) | instskip(NEXT) | instid1(VALU_DEP_3)
	v_cndmask_b32_e64 v64, v64, v115, s13
	v_add_co_u32 v59, s12, v68, v59
	s_delay_alu instid0(VALU_DEP_1) | instskip(NEXT) | instid1(VALU_DEP_3)
	v_add_co_ci_u32_e64 v60, s12, v67, v60, s12
	v_lshlrev_b32_e32 v64, 2, v64
	v_cmp_eq_u32_e64 s12, 0, v115
	v_cmp_eq_u32_e64 s13, 0, v113
	ds_bpermute_b32 v63, v64, v63
	ds_bpermute_b32 v60, v64, v60
	;; [unrolled: 1-line block ×3, first 2 shown]
	s_waitcnt lgkmcnt(2)
	v_cndmask_b32_e64 v114, v63, v66, s12
	s_waitcnt lgkmcnt(1)
	v_cndmask_b32_e64 v78, v60, v62, s12
	s_waitcnt lgkmcnt(0)
	v_cndmask_b32_e64 v77, v59, v61, s12
	v_cmp_eq_u32_e64 s12, 0, v0
	ds_load_b32 v61, v65 offset:4240
	v_cndmask_b32_e64 v59, v77, v95, s12
	v_cndmask_b32_e64 v60, v78, v96, s12
	s_delay_alu instid0(VALU_DEP_2) | instskip(NEXT) | instid1(VALU_DEP_2)
	v_cndmask_b32_e64 v59, 0, v59, s13
	v_cndmask_b32_e64 v60, 0, v60, s13
	s_delay_alu instid0(VALU_DEP_2) | instskip(NEXT) | instid1(VALU_DEP_1)
	v_add_co_u32 v75, s13, v59, v53
	v_add_co_ci_u32_e64 v76, s13, v60, v54, s13
	s_delay_alu instid0(VALU_DEP_2) | instskip(NEXT) | instid1(VALU_DEP_2)
	v_cndmask_b32_e64 v53, 0, v75, s11
	v_cndmask_b32_e64 v54, 0, v76, s11
	s_delay_alu instid0(VALU_DEP_2) | instskip(NEXT) | instid1(VALU_DEP_1)
	v_add_co_u32 v81, s11, v53, v55
	v_add_co_ci_u32_e64 v82, s11, v54, v56, s11
	;; [unrolled: 6-line block ×11, first 2 shown]
	ds_load_b64 v[33:34], v65 offset:4248
	v_dual_cndmask_b32 v37, 0, v89 :: v_dual_cndmask_b32 v38, 0, v90
	s_delay_alu instid0(VALU_DEP_1) | instskip(NEXT) | instid1(VALU_DEP_2)
	v_add_co_u32 v93, vcc_lo, v37, v35
	v_add_co_ci_u32_e32 v94, vcc_lo, v38, v36, vcc_lo
	s_waitcnt lgkmcnt(1)
	v_cmp_eq_u32_e32 vcc_lo, 0, v61
	s_delay_alu instid0(VALU_DEP_3) | instskip(NEXT) | instid1(VALU_DEP_3)
	v_cndmask_b32_e64 v35, 0, v93, s1
	v_cndmask_b32_e64 v36, 0, v94, s1
	s_delay_alu instid0(VALU_DEP_2) | instskip(NEXT) | instid1(VALU_DEP_1)
	v_add_co_u32 v91, s1, v35, v29
	v_add_co_ci_u32_e64 v92, s1, v36, v30, s1
	v_dual_cndmask_b32 v29, 0, v96 :: v_dual_cndmask_b32 v30, 0, v95
	s_delay_alu instid0(VALU_DEP_3) | instskip(NEXT) | instid1(VALU_DEP_3)
	v_cndmask_b32_e64 v97, 0, v91, s0
	v_cndmask_b32_e64 v98, 0, v92, s0
	s_waitcnt lgkmcnt(0)
	s_delay_alu instid0(VALU_DEP_3)
	v_add_co_u32 v63, vcc_lo, v30, v33
	v_add_co_ci_u32_e32 v64, vcc_lo, v29, v34, vcc_lo
	s_and_saveexec_b32 s0, s12
	s_cbranch_execz .LBB265_179
; %bb.178:
	v_dual_mov_b32 v114, 0 :: v_dual_mov_b32 v29, 2
	v_dual_mov_b32 v77, v95 :: v_dual_mov_b32 v78, v96
	s_clause 0x1
	global_store_b32 v114, v61, s[38:39] offset:512
	global_store_b64 v114, v[63:64], s[38:39] offset:520
	s_waitcnt_vscnt null, 0x0
	buffer_gl1_inv
	buffer_gl0_inv
	global_store_b8 v114, v29, s[40:41] offset:32
.LBB265_179:
	s_or_b32 exec_lo, exec_lo, s0
	v_mov_b32_e32 v65, 0
.LBB265_180:
	v_mov_b32_e32 v29, 0
	s_and_b32 s0, s14, exec_lo
	v_mov_b32_e32 v30, 0
	s_cselect_b32 s1, 0, s51
	s_cselect_b32 s0, 0, s50
	s_waitcnt lgkmcnt(0)
	s_waitcnt_vscnt null, 0x0
	s_cmp_eq_u64 s[0:1], 0
	s_barrier
	buffer_gl0_inv
	s_cbranch_scc1 .LBB265_182
; %bb.181:
	v_mov_b32_e32 v29, 0
	global_load_b64 v[29:30], v29, s[0:1]
.LBB265_182:
	v_cmp_eq_u32_e32 vcc_lo, 0, v113
	v_add_nc_u32_e32 v48, v114, v113
	v_cmp_ne_u32_e64 s12, 0, v113
	v_cmp_ne_u32_e64 s11, 0, v112
	;; [unrolled: 1-line block ×3, first 2 shown]
	v_cndmask_b32_e64 v33, 1, 2, vcc_lo
	v_cmp_eq_u32_e32 vcc_lo, 0, v112
	v_add_nc_u32_e32 v50, v48, v112
	v_cmp_ne_u32_e64 s8, 0, v110
	v_cmp_ne_u32_e64 s14, 0, v109
	;; [unrolled: 1-line block ×3, first 2 shown]
	v_cndmask_b32_e64 v34, 1, 2, vcc_lo
	v_cmp_eq_u32_e32 vcc_lo, 0, v111
	v_add_nc_u32_e32 v49, v50, v111
	v_cmp_ne_u32_e64 s10, 0, v107
	s_delay_alu instid0(VALU_DEP_4)
	v_dual_mov_b32 v66, 0 :: v_dual_and_b32 v33, v34, v33
	v_cndmask_b32_e64 v35, 1, 2, vcc_lo
	v_cmp_eq_u32_e32 vcc_lo, 0, v110
	v_add_nc_u32_e32 v47, v49, v110
	v_cmp_ne_u32_e64 s7, 0, v106
	v_cmp_ne_u32_e64 s6, 0, v104
	v_and_b32_e32 v35, v33, v35
	v_cndmask_b32_e64 v36, 1, 2, vcc_lo
	v_cmp_eq_u32_e32 vcc_lo, 0, v109
	v_add_nc_u32_e32 v46, v47, v109
	s_waitcnt vmcnt(0)
	v_lshlrev_b64 v[33:34], 3, v[29:30]
	v_cmp_ne_u32_e64 s5, 0, v103
	v_and_b32_e32 v35, v35, v36
	v_cndmask_b32_e64 v37, 1, 2, vcc_lo
	v_cmp_eq_u32_e32 vcc_lo, 0, v108
	v_add_nc_u32_e32 v45, v46, v108
	v_cmp_ne_u32_e64 s4, 0, v102
	v_cmp_ne_u32_e64 s3, 0, v101
	v_and_b32_e32 v35, v35, v37
	v_cndmask_b32_e64 v36, 1, 2, vcc_lo
	v_cmp_eq_u32_e32 vcc_lo, 0, v107
	v_add_nc_u32_e32 v44, v45, v107
	v_cmp_ne_u32_e64 s2, 0, v100
	;; [unrolled: 6-line block ×3, first 2 shown]
	s_mov_b32 s16, -1
	v_and_b32_e32 v35, v35, v37
	v_cndmask_b32_e64 v36, 1, 2, vcc_lo
	v_cmp_eq_u32_e32 vcc_lo, 0, v104
	v_add_nc_u32_e32 v42, v43, v104
	s_delay_alu instid0(VALU_DEP_3) | instskip(SKIP_2) | instid1(VALU_DEP_4)
	v_and_b32_e32 v35, v35, v36
	v_cndmask_b32_e64 v37, 1, 2, vcc_lo
	v_cmp_eq_u32_e32 vcc_lo, 0, v103
	v_add_nc_u32_e32 v41, v42, v103
	s_delay_alu instid0(VALU_DEP_3) | instskip(SKIP_2) | instid1(VALU_DEP_4)
	v_and_b32_e32 v35, v35, v37
	v_cndmask_b32_e64 v36, 1, 2, vcc_lo
	v_cmp_eq_u32_e32 vcc_lo, 0, v102
	v_add_nc_u32_e32 v40, v41, v102
	s_delay_alu instid0(VALU_DEP_3) | instskip(SKIP_3) | instid1(VALU_DEP_3)
	v_and_b32_e32 v39, v35, v36
	v_cndmask_b32_e64 v37, 1, 2, vcc_lo
	v_cmp_eq_u32_e32 vcc_lo, 0, v101
	v_lshlrev_b64 v[35:36], 3, v[65:66]
	v_and_b32_e32 v37, v39, v37
	v_cndmask_b32_e64 v38, 1, 2, vcc_lo
	v_cmp_eq_u32_e32 vcc_lo, 0, v100
	v_add_nc_u32_e32 v39, v40, v101
	s_delay_alu instid0(VALU_DEP_3) | instskip(SKIP_3) | instid1(VALU_DEP_3)
	v_and_b32_e32 v54, v37, v38
	v_cndmask_b32_e64 v53, 1, 2, vcc_lo
	v_add_co_u32 v51, vcc_lo, s26, v33
	v_add_co_ci_u32_e32 v52, vcc_lo, s27, v34, vcc_lo
	v_and_b32_e32 v53, v54, v53
	s_delay_alu instid0(VALU_DEP_3) | instskip(NEXT) | instid1(VALU_DEP_3)
	v_add_co_u32 v51, vcc_lo, v51, v35
	v_add_co_ci_u32_e32 v52, vcc_lo, v52, v36, vcc_lo
	v_cmp_eq_u32_e32 vcc_lo, 0, v99
	v_add_nc_u32_e32 v38, v39, v100
	v_cndmask_b32_e64 v54, 1, 2, vcc_lo
	v_cmp_eq_u32_e32 vcc_lo, 0, v105
	s_delay_alu instid0(VALU_DEP_3) | instskip(NEXT) | instid1(VALU_DEP_3)
	v_add_nc_u32_e32 v37, v38, v99
	v_and_b32_e32 v53, v53, v54
	v_cndmask_b32_e64 v54, 1, 2, vcc_lo
	v_cmp_gt_u32_e32 vcc_lo, 0x100, v61
	s_delay_alu instid0(VALU_DEP_2) | instskip(NEXT) | instid1(VALU_DEP_1)
	v_and_b32_e32 v53, v53, v54
	v_cmp_gt_i16_e64 s15, 2, v53
	s_cbranch_vccz .LBB265_189
; %bb.183:
	s_delay_alu instid0(VALU_DEP_1)
	s_and_saveexec_b32 s16, s15
	s_cbranch_execz .LBB265_188
; %bb.184:
	s_mov_b32 s17, 0
	s_mov_b32 s15, exec_lo
	v_cmpx_ne_u16_e32 1, v53
	s_xor_b32 s15, exec_lo, s15
	s_cbranch_execnz .LBB265_221
; %bb.185:
	s_and_not1_saveexec_b32 s15, s15
	s_cbranch_execnz .LBB265_237
.LBB265_186:
	s_or_b32 exec_lo, exec_lo, s15
	s_delay_alu instid0(SALU_CYCLE_1)
	s_and_b32 exec_lo, exec_lo, s17
	s_cbranch_execz .LBB265_188
.LBB265_187:
	v_sub_nc_u32_e32 v54, v37, v65
	v_mov_b32_e32 v55, 0
	s_delay_alu instid0(VALU_DEP_1) | instskip(NEXT) | instid1(VALU_DEP_1)
	v_lshlrev_b64 v[54:55], 3, v[54:55]
	v_add_co_u32 v54, vcc_lo, v51, v54
	s_delay_alu instid0(VALU_DEP_2)
	v_add_co_ci_u32_e32 v55, vcc_lo, v52, v55, vcc_lo
	global_store_b64 v[54:55], v[57:58], off
.LBB265_188:
	s_or_b32 exec_lo, exec_lo, s16
	s_mov_b32 s16, 0
.LBB265_189:
	s_delay_alu instid0(SALU_CYCLE_1)
	s_and_b32 vcc_lo, exec_lo, s16
	s_cbranch_vccz .LBB265_199
; %bb.190:
	s_mov_b32 s15, exec_lo
	v_cmpx_gt_i16_e32 2, v53
	s_cbranch_execz .LBB265_195
; %bb.191:
	s_mov_b32 s17, 0
	s_mov_b32 s16, exec_lo
	v_cmpx_ne_u16_e32 1, v53
	s_xor_b32 s16, exec_lo, s16
	s_cbranch_execnz .LBB265_238
; %bb.192:
	s_and_not1_saveexec_b32 s0, s16
	s_cbranch_execnz .LBB265_254
.LBB265_193:
	s_or_b32 exec_lo, exec_lo, s0
	s_delay_alu instid0(SALU_CYCLE_1)
	s_and_b32 exec_lo, exec_lo, s17
	s_cbranch_execz .LBB265_195
.LBB265_194:
	v_sub_nc_u32_e32 v1, v37, v65
	s_delay_alu instid0(VALU_DEP_1)
	v_lshlrev_b32_e32 v1, 3, v1
	ds_store_b64 v1, v[57:58]
.LBB265_195:
	s_or_b32 exec_lo, exec_lo, s15
	s_delay_alu instid0(SALU_CYCLE_1)
	s_mov_b32 s1, exec_lo
	s_waitcnt lgkmcnt(0)
	s_waitcnt_vscnt null, 0x0
	s_barrier
	buffer_gl0_inv
	v_cmpx_lt_u32_e64 v0, v61
	s_cbranch_execz .LBB265_198
; %bb.196:
	v_dual_mov_b32 v2, 0 :: v_dual_lshlrev_b32 v3, 3, v0
	v_mov_b32_e32 v1, v0
	s_mov_b32 s2, 0
	.p2align	6
.LBB265_197:                            ; =>This Inner Loop Header: Depth=1
	ds_load_b64 v[4:5], v3
	v_lshlrev_b64 v[6:7], 3, v[1:2]
	v_add_nc_u32_e32 v1, 0x100, v1
	v_add_nc_u32_e32 v3, 0x800, v3
	s_delay_alu instid0(VALU_DEP_2) | instskip(NEXT) | instid1(VALU_DEP_4)
	v_cmp_ge_u32_e32 vcc_lo, v1, v61
	v_add_co_u32 v6, s0, v51, v6
	s_delay_alu instid0(VALU_DEP_1)
	v_add_co_ci_u32_e64 v7, s0, v52, v7, s0
	s_or_b32 s2, vcc_lo, s2
	s_waitcnt lgkmcnt(0)
	global_store_b64 v[6:7], v[4:5], off
	s_and_not1_b32 exec_lo, exec_lo, s2
	s_cbranch_execnz .LBB265_197
.LBB265_198:
	s_or_b32 exec_lo, exec_lo, s1
.LBB265_199:
	v_add_co_u32 v1, vcc_lo, v97, v31
	s_cmpk_lg_i32 s33, 0xf00
	v_add_co_ci_u32_e32 v2, vcc_lo, v98, v32, vcc_lo
	s_cselect_b32 s0, -1, 0
	v_cmp_eq_u32_e32 vcc_lo, 0, v0
	s_and_b32 s0, s23, s0
	v_cndmask_b32_e64 v8, 0, 1, s44
	v_mad_i32_i24 v5, v0, -15, s33
	v_cndmask_b32_e64 v4, 0, 1, s0
	s_mul_hi_u32 s0, s33, 0x88888889
	s_and_b32 s1, vcc_lo, s44
	s_lshr_b32 s0, s0, 3
	v_sub_nc_u32_e32 v3, v61, v8
	v_cndmask_b32_e64 v6, v113, 0, s1
	v_cmp_eq_u32_e32 vcc_lo, s0, v0
	v_cmp_ne_u32_e64 s0, 0, v5
	s_mov_b32 s16, -1
	s_waitcnt_vscnt null, 0x0
	s_barrier
	s_and_b32 vcc_lo, s23, vcc_lo
	v_add_nc_u32_e32 v3, v3, v4
	v_cndmask_b32_e64 v4, 1, v6, s0
	v_cmp_ne_u32_e64 s0, 1, v5
	buffer_gl0_inv
	v_cndmask_b32_e64 v7, 1, v112, s0
	v_cmp_ne_u32_e64 s0, 14, v5
	s_delay_alu instid0(VALU_DEP_1) | instskip(SKIP_1) | instid1(VALU_DEP_2)
	v_cndmask_b32_e64 v9, 1, v105, s0
	v_cmp_ne_u32_e64 s0, 2, v5
	v_cndmask_b32_e32 v12, v105, v9, vcc_lo
	s_delay_alu instid0(VALU_DEP_2) | instskip(SKIP_1) | instid1(VALU_DEP_2)
	v_cndmask_b32_e64 v10, 1, v111, s0
	v_cmp_ne_u32_e64 s0, 3, v5
	v_dual_cndmask_b32 v9, v6, v4 :: v_dual_cndmask_b32 v10, v111, v10
	s_delay_alu instid0(VALU_DEP_2) | instskip(SKIP_1) | instid1(VALU_DEP_3)
	v_cndmask_b32_e64 v11, 1, v110, s0
	v_cmp_ne_u32_e64 s0, 4, v5
	v_cmp_ne_u32_e64 s14, 0, v9
	s_delay_alu instid0(VALU_DEP_4) | instskip(NEXT) | instid1(VALU_DEP_3)
	v_cmp_ne_u32_e64 s12, 0, v10
	v_cndmask_b32_e64 v4, 1, v109, s0
	v_cmp_ne_u32_e64 s0, 5, v5
	s_delay_alu instid0(VALU_DEP_2) | instskip(NEXT) | instid1(VALU_DEP_2)
	v_dual_cndmask_b32 v13, v112, v7 :: v_dual_cndmask_b32 v18, v109, v4
	v_cndmask_b32_e64 v6, 1, v108, s0
	v_cmp_eq_u32_e64 s0, 0, v9
	s_delay_alu instid0(VALU_DEP_3) | instskip(NEXT) | instid1(VALU_DEP_4)
	v_cmp_ne_u32_e64 s13, 0, v13
	v_cmp_ne_u32_e64 s10, 0, v18
	s_delay_alu instid0(VALU_DEP_4) | instskip(NEXT) | instid1(VALU_DEP_4)
	v_cndmask_b32_e32 v19, v108, v6, vcc_lo
	v_cndmask_b32_e64 v7, 1, 2, s0
	v_cmp_eq_u32_e64 s0, 0, v13
	s_delay_alu instid0(VALU_DEP_1) | instskip(SKIP_1) | instid1(VALU_DEP_2)
	v_cndmask_b32_e64 v14, 1, 2, s0
	v_cmp_ne_u32_e64 s0, 6, v5
	v_and_b32_e32 v7, v14, v7
	s_delay_alu instid0(VALU_DEP_2) | instskip(SKIP_1) | instid1(VALU_DEP_2)
	v_cndmask_b32_e64 v15, 1, v107, s0
	v_cmp_eq_u32_e64 s0, 0, v10
	v_cndmask_b32_e32 v15, v107, v15, vcc_lo
	s_delay_alu instid0(VALU_DEP_2) | instskip(SKIP_1) | instid1(VALU_DEP_1)
	v_cndmask_b32_e64 v14, 1, 2, s0
	v_cmp_ne_u32_e64 s0, 7, v5
	v_cndmask_b32_e64 v16, 1, v106, s0
	v_cmp_ne_u32_e64 s0, 8, v5
	s_delay_alu instid0(VALU_DEP_2) | instskip(SKIP_1) | instid1(VALU_DEP_3)
	v_dual_cndmask_b32 v16, v106, v16 :: v_dual_and_b32 v7, v7, v14
	v_cndmask_b32_e32 v11, v110, v11, vcc_lo
	v_cndmask_b32_e64 v17, 1, v104, s0
	s_delay_alu instid0(VALU_DEP_3) | instskip(NEXT) | instid1(VALU_DEP_3)
	v_cmp_ne_u32_e64 s7, 0, v16
	v_cmp_eq_u32_e64 s0, 0, v11
	s_delay_alu instid0(VALU_DEP_3) | instskip(NEXT) | instid1(VALU_DEP_2)
	v_cndmask_b32_e32 v17, v104, v17, vcc_lo
	v_cndmask_b32_e64 v14, 1, 2, s0
	v_cmp_ne_u32_e64 s0, 9, v5
	s_delay_alu instid0(VALU_DEP_3) | instskip(NEXT) | instid1(VALU_DEP_3)
	v_cmp_ne_u32_e64 s6, 0, v17
	v_and_b32_e32 v6, v7, v14
	s_delay_alu instid0(VALU_DEP_3) | instskip(SKIP_2) | instid1(VALU_DEP_3)
	v_cndmask_b32_e64 v4, 1, v103, s0
	v_cmp_eq_u32_e64 s0, 0, v18
	v_cmp_ne_u32_e64 s11, 0, v11
	v_cndmask_b32_e32 v23, v103, v4, vcc_lo
	s_delay_alu instid0(VALU_DEP_3) | instskip(SKIP_1) | instid1(VALU_DEP_3)
	v_cndmask_b32_e64 v7, 1, 2, s0
	v_cmp_ne_u32_e64 s0, 10, v5
	v_cmp_ne_u32_e64 s5, 0, v23
	s_delay_alu instid0(VALU_DEP_3) | instskip(NEXT) | instid1(VALU_DEP_3)
	v_and_b32_e32 v6, v6, v7
	v_cndmask_b32_e64 v14, 1, v102, s0
	v_cmp_ne_u32_e64 s0, 12, v5
	v_cmp_ne_u32_e64 s9, 0, v19
	s_delay_alu instid0(VALU_DEP_3) | instskip(NEXT) | instid1(VALU_DEP_3)
	v_cndmask_b32_e32 v14, v102, v14, vcc_lo
	v_cndmask_b32_e64 v20, 1, v100, s0
	v_cmp_eq_u32_e64 s0, 0, v19
	s_delay_alu instid0(VALU_DEP_3) | instskip(NEXT) | instid1(VALU_DEP_3)
	v_cmp_ne_u32_e64 s4, 0, v14
	v_cndmask_b32_e32 v20, v100, v20, vcc_lo
	s_delay_alu instid0(VALU_DEP_3) | instskip(SKIP_1) | instid1(VALU_DEP_3)
	v_cndmask_b32_e64 v7, 1, 2, s0
	v_cmp_ne_u32_e64 s0, 13, v5
	v_cmp_ne_u32_e64 s2, 0, v20
	s_delay_alu instid0(VALU_DEP_2) | instskip(SKIP_1) | instid1(VALU_DEP_2)
	v_cndmask_b32_e64 v21, 1, v99, s0
	v_cmp_eq_u32_e64 s0, 0, v15
	v_dual_cndmask_b32 v21, v99, v21 :: v_dual_and_b32 v6, v6, v7
	s_delay_alu instid0(VALU_DEP_2) | instskip(SKIP_1) | instid1(VALU_DEP_3)
	v_cndmask_b32_e64 v7, 1, 2, s0
	v_cmp_ne_u32_e64 s0, 11, v5
	v_cmp_ne_u32_e64 s1, 0, v21
	s_delay_alu instid0(VALU_DEP_3) | instskip(NEXT) | instid1(VALU_DEP_3)
	v_and_b32_e32 v6, v6, v7
	v_cndmask_b32_e64 v5, 1, v101, s0
	v_cmp_eq_u32_e64 s0, 0, v16
	s_delay_alu instid0(VALU_DEP_2) | instskip(NEXT) | instid1(VALU_DEP_2)
	v_cndmask_b32_e32 v22, v101, v5, vcc_lo
	v_cndmask_b32_e64 v7, 1, 2, s0
	v_cmp_eq_u32_e32 vcc_lo, 0, v17
	v_cmp_ne_u32_e64 s8, 0, v15
	v_cmp_ne_u32_e64 s0, 0, v12
	;; [unrolled: 1-line block ×3, first 2 shown]
	v_and_b32_e32 v4, v6, v7
	v_cndmask_b32_e64 v5, 1, 2, vcc_lo
	v_add_co_u32 v6, vcc_lo, s28, v33
	v_add_co_ci_u32_e32 v7, vcc_lo, s29, v34, vcc_lo
	v_cmp_eq_u32_e32 vcc_lo, 0, v23
	s_delay_alu instid0(VALU_DEP_4)
	v_and_b32_e32 v24, v4, v5
	v_cndmask_b32_e64 v25, 1, 2, vcc_lo
	v_add_co_u32 v4, vcc_lo, v6, v35
	v_add_co_ci_u32_e32 v5, vcc_lo, v7, v36, vcc_lo
	v_lshlrev_b32_e32 v6, 3, v8
	v_cmp_eq_u32_e32 vcc_lo, 0, v14
	v_and_b32_e32 v7, v24, v25
	v_add_nc_u32_e32 v8, v65, v8
	v_cndmask_b32_e64 v24, 1, 2, vcc_lo
	v_add_co_u32 v6, vcc_lo, v6, v4
	v_add_co_ci_u32_e32 v25, vcc_lo, 0, v5, vcc_lo
	v_cmp_eq_u32_e32 vcc_lo, 0, v22
	s_delay_alu instid0(VALU_DEP_4) | instskip(SKIP_4) | instid1(VALU_DEP_4)
	v_and_b32_e32 v24, v7, v24
	v_cndmask_b32_e64 v26, 1, 2, vcc_lo
	v_add_co_u32 v6, vcc_lo, v6, -8
	v_add_co_ci_u32_e32 v7, vcc_lo, -1, v25, vcc_lo
	v_cmp_eq_u32_e32 vcc_lo, 0, v20
	v_and_b32_e32 v24, v24, v26
	v_cndmask_b32_e64 v25, 1, 2, vcc_lo
	v_cmp_eq_u32_e32 vcc_lo, 0, v21
	s_delay_alu instid0(VALU_DEP_2) | instskip(SKIP_2) | instid1(VALU_DEP_2)
	v_and_b32_e32 v9, v24, v25
	v_cndmask_b32_e64 v10, 1, 2, vcc_lo
	v_cmp_eq_u32_e32 vcc_lo, 0, v12
	v_and_b32_e32 v9, v9, v10
	v_cndmask_b32_e64 v10, 1, 2, vcc_lo
	v_cmp_gt_u32_e32 vcc_lo, 0x100, v3
	s_delay_alu instid0(VALU_DEP_2) | instskip(NEXT) | instid1(VALU_DEP_1)
	v_and_b32_e32 v9, v9, v10
	v_cmp_gt_i16_e64 s15, 2, v9
	s_cbranch_vccnz .LBB265_203
; %bb.200:
	s_and_b32 vcc_lo, exec_lo, s16
	s_cbranch_vccnz .LBB265_209
.LBB265_201:
	v_cmp_eq_u32_e32 vcc_lo, 0xff, v0
	s_and_b32 s0, vcc_lo, s23
	s_delay_alu instid0(SALU_CYCLE_1)
	s_and_saveexec_b32 s1, s0
	s_cbranch_execnz .LBB265_218
.LBB265_202:
	s_nop 0
	s_sendmsg sendmsg(MSG_DEALLOC_VGPRS)
	s_endpgm
.LBB265_203:
	s_delay_alu instid0(VALU_DEP_1)
	s_and_saveexec_b32 s16, s15
	s_cbranch_execz .LBB265_208
; %bb.204:
	s_mov_b32 s17, 0
	s_mov_b32 s15, exec_lo
	v_cmpx_ne_u16_e32 1, v9
	s_xor_b32 s15, exec_lo, s15
	s_cbranch_execnz .LBB265_255
; %bb.205:
	s_and_not1_saveexec_b32 s15, s15
	s_cbranch_execnz .LBB265_271
.LBB265_206:
	s_or_b32 exec_lo, exec_lo, s15
	s_delay_alu instid0(SALU_CYCLE_1)
	s_and_b32 exec_lo, exec_lo, s17
	s_cbranch_execz .LBB265_208
.LBB265_207:
	v_sub_nc_u32_e32 v10, v37, v8
	v_mov_b32_e32 v11, 0
	s_delay_alu instid0(VALU_DEP_1) | instskip(NEXT) | instid1(VALU_DEP_1)
	v_lshlrev_b64 v[10:11], 3, v[10:11]
	v_add_co_u32 v10, vcc_lo, v6, v10
	s_delay_alu instid0(VALU_DEP_2)
	v_add_co_ci_u32_e32 v11, vcc_lo, v7, v11, vcc_lo
	global_store_b64 v[10:11], v[1:2], off
.LBB265_208:
	s_or_b32 exec_lo, exec_lo, s16
	s_branch .LBB265_201
.LBB265_209:
	s_mov_b32 s15, exec_lo
	v_cmpx_gt_i16_e32 2, v9
	s_cbranch_execz .LBB265_214
; %bb.210:
	s_mov_b32 s17, 0
	s_mov_b32 s16, exec_lo
	v_cmpx_ne_u16_e32 1, v9
	s_xor_b32 s16, exec_lo, s16
	s_cbranch_execnz .LBB265_272
; %bb.211:
	s_and_not1_saveexec_b32 s0, s16
	s_cbranch_execnz .LBB265_288
.LBB265_212:
	s_or_b32 exec_lo, exec_lo, s0
	s_delay_alu instid0(SALU_CYCLE_1)
	s_and_b32 exec_lo, exec_lo, s17
	s_cbranch_execz .LBB265_214
.LBB265_213:
	v_sub_nc_u32_e32 v8, v37, v8
	s_delay_alu instid0(VALU_DEP_1)
	v_lshlrev_b32_e32 v8, 3, v8
	ds_store_b64 v8, v[1:2]
.LBB265_214:
	s_or_b32 exec_lo, exec_lo, s15
	s_delay_alu instid0(SALU_CYCLE_1)
	s_mov_b32 s1, exec_lo
	s_waitcnt lgkmcnt(0)
	s_waitcnt_vscnt null, 0x0
	s_barrier
	buffer_gl0_inv
	v_cmpx_lt_u32_e64 v0, v3
	s_cbranch_execz .LBB265_217
; %bb.215:
	v_dual_mov_b32 v1, v0 :: v_dual_lshlrev_b32 v8, 3, v0
	v_mov_b32_e32 v2, 0
	s_mov_b32 s2, 0
	.p2align	6
.LBB265_216:                            ; =>This Inner Loop Header: Depth=1
	ds_load_b64 v[9:10], v8
	v_lshlrev_b64 v[11:12], 3, v[1:2]
	v_add_nc_u32_e32 v1, 0x100, v1
	v_add_nc_u32_e32 v8, 0x800, v8
	s_delay_alu instid0(VALU_DEP_2) | instskip(NEXT) | instid1(VALU_DEP_4)
	v_cmp_ge_u32_e32 vcc_lo, v1, v3
	v_add_co_u32 v11, s0, v6, v11
	s_delay_alu instid0(VALU_DEP_1)
	v_add_co_ci_u32_e64 v12, s0, v7, v12, s0
	s_or_b32 s2, vcc_lo, s2
	s_waitcnt lgkmcnt(0)
	global_store_b64 v[11:12], v[9:10], off
	s_and_not1_b32 exec_lo, exec_lo, s2
	s_cbranch_execnz .LBB265_216
.LBB265_217:
	s_or_b32 exec_lo, exec_lo, s1
	v_cmp_eq_u32_e32 vcc_lo, 0xff, v0
	s_and_b32 s0, vcc_lo, s23
	s_delay_alu instid0(SALU_CYCLE_1)
	s_and_saveexec_b32 s1, s0
	s_cbranch_execz .LBB265_202
.LBB265_218:
	v_add_co_u32 v0, s0, v61, v65
	s_delay_alu instid0(VALU_DEP_1) | instskip(SKIP_1) | instid1(VALU_DEP_3)
	v_add_co_ci_u32_e64 v1, null, 0, 0, s0
	v_mov_b32_e32 v62, 0
	v_add_co_u32 v0, vcc_lo, v0, v29
	s_delay_alu instid0(VALU_DEP_3)
	v_add_co_ci_u32_e32 v1, vcc_lo, v1, v30, vcc_lo
	s_cmpk_lg_i32 s33, 0xf00
	global_store_b64 v62, v[0:1], s[30:31]
	s_cbranch_scc1 .LBB265_202
; %bb.219:
	v_lshlrev_b64 v[0:1], 3, v[61:62]
	s_delay_alu instid0(VALU_DEP_1) | instskip(NEXT) | instid1(VALU_DEP_2)
	v_add_co_u32 v0, vcc_lo, v4, v0
	v_add_co_ci_u32_e32 v1, vcc_lo, v5, v1, vcc_lo
	global_store_b64 v[0:1], v[63:64], off offset:-8
	s_nop 0
	s_sendmsg sendmsg(MSG_DEALLOC_VGPRS)
	s_endpgm
.LBB265_220:
	s_or_b32 exec_lo, exec_lo, s2
	v_mov_b32_e32 v113, s1
	s_and_saveexec_b32 s1, s45
	s_cbranch_execnz .LBB265_84
	s_branch .LBB265_85
.LBB265_221:
	s_and_saveexec_b32 s17, s12
	s_cbranch_execnz .LBB265_289
; %bb.222:
	s_or_b32 exec_lo, exec_lo, s17
	s_and_saveexec_b32 s17, s11
	s_cbranch_execnz .LBB265_290
.LBB265_223:
	s_or_b32 exec_lo, exec_lo, s17
	s_and_saveexec_b32 s17, s9
	s_cbranch_execnz .LBB265_291
.LBB265_224:
	s_or_b32 exec_lo, exec_lo, s17
	s_and_saveexec_b32 s17, s8
	s_cbranch_execnz .LBB265_292
.LBB265_225:
	s_or_b32 exec_lo, exec_lo, s17
	s_and_saveexec_b32 s17, s14
	s_cbranch_execnz .LBB265_293
.LBB265_226:
	s_or_b32 exec_lo, exec_lo, s17
	s_and_saveexec_b32 s17, s13
	s_cbranch_execnz .LBB265_294
.LBB265_227:
	s_or_b32 exec_lo, exec_lo, s17
	s_and_saveexec_b32 s17, s10
	s_cbranch_execnz .LBB265_295
.LBB265_228:
	s_or_b32 exec_lo, exec_lo, s17
	s_and_saveexec_b32 s17, s7
	s_cbranch_execnz .LBB265_296
.LBB265_229:
	s_or_b32 exec_lo, exec_lo, s17
	s_and_saveexec_b32 s17, s6
	s_cbranch_execnz .LBB265_297
.LBB265_230:
	s_or_b32 exec_lo, exec_lo, s17
	s_and_saveexec_b32 s17, s5
	s_cbranch_execnz .LBB265_298
.LBB265_231:
	s_or_b32 exec_lo, exec_lo, s17
	s_and_saveexec_b32 s17, s4
	s_cbranch_execnz .LBB265_299
.LBB265_232:
	s_or_b32 exec_lo, exec_lo, s17
	s_and_saveexec_b32 s17, s3
	s_cbranch_execnz .LBB265_300
.LBB265_233:
	s_or_b32 exec_lo, exec_lo, s17
	s_and_saveexec_b32 s17, s2
	s_cbranch_execnz .LBB265_301
.LBB265_234:
	s_or_b32 exec_lo, exec_lo, s17
	s_and_saveexec_b32 s17, s1
	s_cbranch_execz .LBB265_236
.LBB265_235:
	v_sub_nc_u32_e32 v54, v38, v65
	v_mov_b32_e32 v55, 0
	s_delay_alu instid0(VALU_DEP_1) | instskip(NEXT) | instid1(VALU_DEP_1)
	v_lshlrev_b64 v[54:55], 3, v[54:55]
	v_add_co_u32 v54, vcc_lo, v51, v54
	s_delay_alu instid0(VALU_DEP_2)
	v_add_co_ci_u32_e32 v55, vcc_lo, v52, v55, vcc_lo
	global_store_b64 v[54:55], v[3:4], off
.LBB265_236:
	s_or_b32 exec_lo, exec_lo, s17
	s_delay_alu instid0(SALU_CYCLE_1)
	s_and_b32 s17, s0, exec_lo
	s_and_not1_saveexec_b32 s15, s15
	s_cbranch_execz .LBB265_186
.LBB265_237:
	v_sub_nc_u32_e32 v54, v114, v65
	v_mov_b32_e32 v55, 0
	s_or_b32 s17, s17, exec_lo
	s_delay_alu instid0(VALU_DEP_1) | instskip(SKIP_1) | instid1(VALU_DEP_1)
	v_lshlrev_b64 v[59:60], 3, v[54:55]
	v_sub_nc_u32_e32 v54, v48, v65
	v_lshlrev_b64 v[95:96], 3, v[54:55]
	v_sub_nc_u32_e32 v54, v50, v65
	s_delay_alu instid0(VALU_DEP_4) | instskip(SKIP_1) | instid1(VALU_DEP_3)
	v_add_co_u32 v59, vcc_lo, v51, v59
	v_add_co_ci_u32_e32 v60, vcc_lo, v52, v60, vcc_lo
	v_lshlrev_b64 v[115:116], 3, v[54:55]
	v_sub_nc_u32_e32 v54, v49, v65
	v_add_co_u32 v95, vcc_lo, v51, v95
	v_add_co_ci_u32_e32 v96, vcc_lo, v52, v96, vcc_lo
	global_store_b64 v[59:60], v[25:26], off
	v_lshlrev_b64 v[59:60], 3, v[54:55]
	v_sub_nc_u32_e32 v54, v47, v65
	global_store_b64 v[95:96], v[27:28], off
	v_add_co_u32 v95, vcc_lo, v51, v115
	v_add_co_ci_u32_e32 v96, vcc_lo, v52, v116, vcc_lo
	v_lshlrev_b64 v[115:116], 3, v[54:55]
	v_sub_nc_u32_e32 v54, v46, v65
	v_add_co_u32 v59, vcc_lo, v51, v59
	v_add_co_ci_u32_e32 v60, vcc_lo, v52, v60, vcc_lo
	s_delay_alu instid0(VALU_DEP_3) | instskip(SKIP_3) | instid1(VALU_DEP_3)
	v_lshlrev_b64 v[117:118], 3, v[54:55]
	v_sub_nc_u32_e32 v54, v45, v65
	v_add_co_u32 v115, vcc_lo, v51, v115
	v_add_co_ci_u32_e32 v116, vcc_lo, v52, v116, vcc_lo
	v_lshlrev_b64 v[119:120], 3, v[54:55]
	v_sub_nc_u32_e32 v54, v44, v65
	v_add_co_u32 v117, vcc_lo, v51, v117
	v_add_co_ci_u32_e32 v118, vcc_lo, v52, v118, vcc_lo
	s_clause 0x3
	global_store_b64 v[95:96], v[21:22], off
	global_store_b64 v[59:60], v[23:24], off
	;; [unrolled: 1-line block ×4, first 2 shown]
	v_lshlrev_b64 v[59:60], 3, v[54:55]
	v_sub_nc_u32_e32 v54, v43, v65
	v_add_co_u32 v95, vcc_lo, v51, v119
	v_add_co_ci_u32_e32 v96, vcc_lo, v52, v120, vcc_lo
	s_delay_alu instid0(VALU_DEP_3) | instskip(SKIP_3) | instid1(VALU_DEP_3)
	v_lshlrev_b64 v[115:116], 3, v[54:55]
	v_sub_nc_u32_e32 v54, v42, v65
	v_add_co_u32 v59, vcc_lo, v51, v59
	v_add_co_ci_u32_e32 v60, vcc_lo, v52, v60, vcc_lo
	v_lshlrev_b64 v[117:118], 3, v[54:55]
	v_sub_nc_u32_e32 v54, v41, v65
	v_add_co_u32 v115, vcc_lo, v51, v115
	v_add_co_ci_u32_e32 v116, vcc_lo, v52, v116, vcc_lo
	s_delay_alu instid0(VALU_DEP_3)
	v_lshlrev_b64 v[119:120], 3, v[54:55]
	v_sub_nc_u32_e32 v54, v40, v65
	v_add_co_u32 v117, vcc_lo, v51, v117
	v_add_co_ci_u32_e32 v118, vcc_lo, v52, v118, vcc_lo
	s_clause 0x3
	global_store_b64 v[95:96], v[13:14], off
	global_store_b64 v[59:60], v[15:16], off
	;; [unrolled: 1-line block ×4, first 2 shown]
	v_lshlrev_b64 v[59:60], 3, v[54:55]
	v_sub_nc_u32_e32 v54, v39, v65
	v_add_co_u32 v95, vcc_lo, v51, v119
	v_add_co_ci_u32_e32 v96, vcc_lo, v52, v120, vcc_lo
	s_delay_alu instid0(VALU_DEP_3) | instskip(SKIP_3) | instid1(VALU_DEP_3)
	v_lshlrev_b64 v[115:116], 3, v[54:55]
	v_sub_nc_u32_e32 v54, v38, v65
	v_add_co_u32 v59, vcc_lo, v51, v59
	v_add_co_ci_u32_e32 v60, vcc_lo, v52, v60, vcc_lo
	v_lshlrev_b64 v[54:55], 3, v[54:55]
	v_add_co_u32 v115, vcc_lo, v51, v115
	v_add_co_ci_u32_e32 v116, vcc_lo, v52, v116, vcc_lo
	s_clause 0x2
	global_store_b64 v[95:96], v[5:6], off
	global_store_b64 v[59:60], v[7:8], off
	;; [unrolled: 1-line block ×3, first 2 shown]
	v_add_co_u32 v54, vcc_lo, v51, v54
	v_add_co_ci_u32_e32 v55, vcc_lo, v52, v55, vcc_lo
	global_store_b64 v[54:55], v[3:4], off
	s_or_b32 exec_lo, exec_lo, s15
	s_delay_alu instid0(SALU_CYCLE_1)
	s_and_b32 exec_lo, exec_lo, s17
	s_cbranch_execnz .LBB265_187
	s_branch .LBB265_188
.LBB265_238:
	s_and_saveexec_b32 s17, s12
	s_cbranch_execnz .LBB265_302
; %bb.239:
	s_or_b32 exec_lo, exec_lo, s17
	s_and_saveexec_b32 s12, s11
	s_cbranch_execnz .LBB265_303
.LBB265_240:
	s_or_b32 exec_lo, exec_lo, s12
	s_and_saveexec_b32 s11, s9
	s_cbranch_execnz .LBB265_304
.LBB265_241:
	s_or_b32 exec_lo, exec_lo, s11
	s_and_saveexec_b32 s9, s8
	s_cbranch_execnz .LBB265_305
.LBB265_242:
	s_or_b32 exec_lo, exec_lo, s9
	s_and_saveexec_b32 s8, s14
	s_cbranch_execnz .LBB265_306
.LBB265_243:
	s_or_b32 exec_lo, exec_lo, s8
	s_and_saveexec_b32 s8, s13
	s_cbranch_execnz .LBB265_307
.LBB265_244:
	s_or_b32 exec_lo, exec_lo, s8
	s_and_saveexec_b32 s8, s10
	s_cbranch_execnz .LBB265_308
.LBB265_245:
	s_or_b32 exec_lo, exec_lo, s8
	s_and_saveexec_b32 s8, s7
	s_cbranch_execnz .LBB265_309
.LBB265_246:
	s_or_b32 exec_lo, exec_lo, s8
	s_and_saveexec_b32 s7, s6
	s_cbranch_execnz .LBB265_310
.LBB265_247:
	s_or_b32 exec_lo, exec_lo, s7
	s_and_saveexec_b32 s6, s5
	s_cbranch_execnz .LBB265_311
.LBB265_248:
	s_or_b32 exec_lo, exec_lo, s6
	s_and_saveexec_b32 s5, s4
	s_cbranch_execnz .LBB265_312
.LBB265_249:
	s_or_b32 exec_lo, exec_lo, s5
	s_and_saveexec_b32 s4, s3
	s_cbranch_execnz .LBB265_313
.LBB265_250:
	s_or_b32 exec_lo, exec_lo, s4
	s_and_saveexec_b32 s3, s2
	s_cbranch_execnz .LBB265_314
.LBB265_251:
	s_or_b32 exec_lo, exec_lo, s3
	s_and_saveexec_b32 s2, s1
	s_cbranch_execz .LBB265_253
.LBB265_252:
	v_sub_nc_u32_e32 v1, v38, v65
	s_delay_alu instid0(VALU_DEP_1)
	v_lshlrev_b32_e32 v1, 3, v1
	ds_store_b64 v1, v[3:4]
.LBB265_253:
	s_or_b32 exec_lo, exec_lo, s2
	s_delay_alu instid0(SALU_CYCLE_1)
	s_and_b32 s17, s0, exec_lo
                                        ; implicit-def: $vgpr25_vgpr26
                                        ; implicit-def: $vgpr21_vgpr22
                                        ; implicit-def: $vgpr17_vgpr18
                                        ; implicit-def: $vgpr13_vgpr14
                                        ; implicit-def: $vgpr9_vgpr10
                                        ; implicit-def: $vgpr5_vgpr6
                                        ; implicit-def: $vgpr1_vgpr2
	s_and_not1_saveexec_b32 s0, s16
	s_cbranch_execz .LBB265_193
.LBB265_254:
	v_sub_nc_u32_e32 v53, v114, v65
	v_sub_nc_u32_e32 v54, v48, v65
	;; [unrolled: 1-line block ×4, first 2 shown]
	s_or_b32 s17, s17, exec_lo
	v_lshlrev_b32_e32 v53, 3, v53
	v_lshlrev_b32_e32 v54, 3, v54
	;; [unrolled: 1-line block ×4, first 2 shown]
	ds_store_b64 v53, v[25:26]
	ds_store_b64 v54, v[27:28]
	;; [unrolled: 1-line block ×3, first 2 shown]
	v_sub_nc_u32_e32 v21, v47, v65
	v_sub_nc_u32_e32 v22, v46, v65
	ds_store_b64 v56, v[23:24]
	v_sub_nc_u32_e32 v23, v45, v65
	v_sub_nc_u32_e32 v24, v44, v65
	v_lshlrev_b32_e32 v21, 3, v21
	v_sub_nc_u32_e32 v25, v43, v65
	v_lshlrev_b32_e32 v22, 3, v22
	v_lshlrev_b32_e32 v23, 3, v23
	;; [unrolled: 1-line block ×3, first 2 shown]
	ds_store_b64 v21, v[17:18]
	v_lshlrev_b32_e32 v17, 3, v25
	ds_store_b64 v22, v[19:20]
	ds_store_b64 v23, v[13:14]
	;; [unrolled: 1-line block ×3, first 2 shown]
	v_sub_nc_u32_e32 v13, v42, v65
	v_sub_nc_u32_e32 v15, v38, v65
	;; [unrolled: 1-line block ×3, first 2 shown]
	ds_store_b64 v17, v[9:10]
	v_sub_nc_u32_e32 v9, v41, v65
	v_lshlrev_b32_e32 v13, 3, v13
	v_sub_nc_u32_e32 v10, v40, v65
	v_lshlrev_b32_e32 v14, 3, v14
	s_delay_alu instid0(VALU_DEP_4)
	v_lshlrev_b32_e32 v9, 3, v9
	ds_store_b64 v13, v[11:12]
	v_lshlrev_b32_e32 v11, 3, v15
	v_lshlrev_b32_e32 v10, 3, v10
	ds_store_b64 v9, v[5:6]
	ds_store_b64 v10, v[7:8]
	;; [unrolled: 1-line block ×4, first 2 shown]
	s_or_b32 exec_lo, exec_lo, s0
	s_delay_alu instid0(SALU_CYCLE_1)
	s_and_b32 exec_lo, exec_lo, s17
	s_cbranch_execnz .LBB265_194
	s_branch .LBB265_195
.LBB265_255:
	s_and_saveexec_b32 s17, s14
	s_cbranch_execnz .LBB265_315
; %bb.256:
	s_or_b32 exec_lo, exec_lo, s17
	s_and_saveexec_b32 s17, s13
	s_cbranch_execnz .LBB265_316
.LBB265_257:
	s_or_b32 exec_lo, exec_lo, s17
	s_and_saveexec_b32 s17, s12
	s_cbranch_execnz .LBB265_317
.LBB265_258:
	s_or_b32 exec_lo, exec_lo, s17
	s_and_saveexec_b32 s17, s11
	s_cbranch_execnz .LBB265_318
.LBB265_259:
	s_or_b32 exec_lo, exec_lo, s17
	s_and_saveexec_b32 s17, s10
	s_cbranch_execnz .LBB265_319
.LBB265_260:
	s_or_b32 exec_lo, exec_lo, s17
	s_and_saveexec_b32 s17, s9
	s_cbranch_execnz .LBB265_320
.LBB265_261:
	s_or_b32 exec_lo, exec_lo, s17
	s_and_saveexec_b32 s17, s8
	s_cbranch_execnz .LBB265_321
.LBB265_262:
	s_or_b32 exec_lo, exec_lo, s17
	s_and_saveexec_b32 s17, s7
	s_cbranch_execnz .LBB265_322
.LBB265_263:
	s_or_b32 exec_lo, exec_lo, s17
	s_and_saveexec_b32 s17, s6
	s_cbranch_execnz .LBB265_323
.LBB265_264:
	s_or_b32 exec_lo, exec_lo, s17
	s_and_saveexec_b32 s17, s5
	s_cbranch_execnz .LBB265_324
.LBB265_265:
	s_or_b32 exec_lo, exec_lo, s17
	s_and_saveexec_b32 s17, s4
	s_cbranch_execnz .LBB265_325
.LBB265_266:
	s_or_b32 exec_lo, exec_lo, s17
	s_and_saveexec_b32 s17, s3
	s_cbranch_execnz .LBB265_326
.LBB265_267:
	s_or_b32 exec_lo, exec_lo, s17
	s_and_saveexec_b32 s17, s2
	s_cbranch_execnz .LBB265_327
.LBB265_268:
	s_or_b32 exec_lo, exec_lo, s17
	s_and_saveexec_b32 s17, s1
	s_cbranch_execz .LBB265_270
.LBB265_269:
	v_sub_nc_u32_e32 v10, v38, v8
	v_mov_b32_e32 v11, 0
	s_delay_alu instid0(VALU_DEP_1) | instskip(NEXT) | instid1(VALU_DEP_1)
	v_lshlrev_b64 v[10:11], 3, v[10:11]
	v_add_co_u32 v10, vcc_lo, v6, v10
	s_delay_alu instid0(VALU_DEP_2)
	v_add_co_ci_u32_e32 v11, vcc_lo, v7, v11, vcc_lo
	global_store_b64 v[10:11], v[91:92], off
.LBB265_270:
	s_or_b32 exec_lo, exec_lo, s17
	s_delay_alu instid0(SALU_CYCLE_1)
	s_and_b32 s17, s0, exec_lo
	s_and_not1_saveexec_b32 s15, s15
	s_cbranch_execz .LBB265_206
.LBB265_271:
	v_sub_nc_u32_e32 v10, v114, v8
	v_mov_b32_e32 v11, 0
	s_or_b32 s17, s17, exec_lo
	s_delay_alu instid0(VALU_DEP_1) | instskip(SKIP_1) | instid1(VALU_DEP_1)
	v_lshlrev_b64 v[12:13], 3, v[10:11]
	v_sub_nc_u32_e32 v10, v48, v8
	v_lshlrev_b64 v[14:15], 3, v[10:11]
	v_sub_nc_u32_e32 v10, v50, v8
	s_delay_alu instid0(VALU_DEP_4) | instskip(SKIP_1) | instid1(VALU_DEP_3)
	v_add_co_u32 v12, vcc_lo, v6, v12
	v_add_co_ci_u32_e32 v13, vcc_lo, v7, v13, vcc_lo
	v_lshlrev_b64 v[16:17], 3, v[10:11]
	v_sub_nc_u32_e32 v10, v49, v8
	v_add_co_u32 v14, vcc_lo, v6, v14
	v_add_co_ci_u32_e32 v15, vcc_lo, v7, v15, vcc_lo
	global_store_b64 v[12:13], v[77:78], off
	v_lshlrev_b64 v[12:13], 3, v[10:11]
	v_sub_nc_u32_e32 v10, v47, v8
	global_store_b64 v[14:15], v[75:76], off
	v_add_co_u32 v14, vcc_lo, v6, v16
	v_add_co_ci_u32_e32 v15, vcc_lo, v7, v17, vcc_lo
	v_lshlrev_b64 v[16:17], 3, v[10:11]
	v_sub_nc_u32_e32 v10, v46, v8
	v_add_co_u32 v12, vcc_lo, v6, v12
	v_add_co_ci_u32_e32 v13, vcc_lo, v7, v13, vcc_lo
	s_delay_alu instid0(VALU_DEP_3) | instskip(SKIP_3) | instid1(VALU_DEP_3)
	v_lshlrev_b64 v[18:19], 3, v[10:11]
	v_sub_nc_u32_e32 v10, v45, v8
	v_add_co_u32 v16, vcc_lo, v6, v16
	v_add_co_ci_u32_e32 v17, vcc_lo, v7, v17, vcc_lo
	v_lshlrev_b64 v[20:21], 3, v[10:11]
	v_sub_nc_u32_e32 v10, v44, v8
	v_add_co_u32 v18, vcc_lo, v6, v18
	v_add_co_ci_u32_e32 v19, vcc_lo, v7, v19, vcc_lo
	s_clause 0x3
	global_store_b64 v[14:15], v[81:82], off
	global_store_b64 v[12:13], v[85:86], off
	;; [unrolled: 1-line block ×4, first 2 shown]
	v_lshlrev_b64 v[12:13], 3, v[10:11]
	v_sub_nc_u32_e32 v10, v43, v8
	v_add_co_u32 v14, vcc_lo, v6, v20
	v_add_co_ci_u32_e32 v15, vcc_lo, v7, v21, vcc_lo
	s_delay_alu instid0(VALU_DEP_3) | instskip(SKIP_3) | instid1(VALU_DEP_3)
	v_lshlrev_b64 v[16:17], 3, v[10:11]
	v_sub_nc_u32_e32 v10, v42, v8
	v_add_co_u32 v12, vcc_lo, v6, v12
	v_add_co_ci_u32_e32 v13, vcc_lo, v7, v13, vcc_lo
	v_lshlrev_b64 v[18:19], 3, v[10:11]
	v_sub_nc_u32_e32 v10, v41, v8
	v_add_co_u32 v16, vcc_lo, v6, v16
	v_add_co_ci_u32_e32 v17, vcc_lo, v7, v17, vcc_lo
	s_delay_alu instid0(VALU_DEP_3)
	v_lshlrev_b64 v[20:21], 3, v[10:11]
	v_sub_nc_u32_e32 v10, v40, v8
	v_add_co_u32 v18, vcc_lo, v6, v18
	v_add_co_ci_u32_e32 v19, vcc_lo, v7, v19, vcc_lo
	s_clause 0x3
	global_store_b64 v[14:15], v[79:80], off
	global_store_b64 v[12:13], v[83:84], off
	;; [unrolled: 1-line block ×4, first 2 shown]
	v_lshlrev_b64 v[12:13], 3, v[10:11]
	v_sub_nc_u32_e32 v10, v39, v8
	v_add_co_u32 v14, vcc_lo, v6, v20
	v_add_co_ci_u32_e32 v15, vcc_lo, v7, v21, vcc_lo
	s_delay_alu instid0(VALU_DEP_3) | instskip(SKIP_3) | instid1(VALU_DEP_3)
	v_lshlrev_b64 v[16:17], 3, v[10:11]
	v_sub_nc_u32_e32 v10, v38, v8
	v_add_co_u32 v12, vcc_lo, v6, v12
	v_add_co_ci_u32_e32 v13, vcc_lo, v7, v13, vcc_lo
	v_lshlrev_b64 v[10:11], 3, v[10:11]
	v_add_co_u32 v16, vcc_lo, v6, v16
	v_add_co_ci_u32_e32 v17, vcc_lo, v7, v17, vcc_lo
	s_clause 0x2
	global_store_b64 v[14:15], v[73:74], off
	global_store_b64 v[12:13], v[89:90], off
	;; [unrolled: 1-line block ×3, first 2 shown]
	v_add_co_u32 v10, vcc_lo, v6, v10
	v_add_co_ci_u32_e32 v11, vcc_lo, v7, v11, vcc_lo
	global_store_b64 v[10:11], v[91:92], off
	s_or_b32 exec_lo, exec_lo, s15
	s_delay_alu instid0(SALU_CYCLE_1)
	s_and_b32 exec_lo, exec_lo, s17
	s_cbranch_execnz .LBB265_207
	s_branch .LBB265_208
.LBB265_272:
	s_and_saveexec_b32 s17, s14
	s_cbranch_execnz .LBB265_328
; %bb.273:
	s_or_b32 exec_lo, exec_lo, s17
	s_and_saveexec_b32 s14, s13
	s_cbranch_execnz .LBB265_329
.LBB265_274:
	s_or_b32 exec_lo, exec_lo, s14
	s_and_saveexec_b32 s13, s12
	s_cbranch_execnz .LBB265_330
.LBB265_275:
	s_or_b32 exec_lo, exec_lo, s13
	s_and_saveexec_b32 s12, s11
	s_cbranch_execnz .LBB265_331
.LBB265_276:
	s_or_b32 exec_lo, exec_lo, s12
	s_and_saveexec_b32 s11, s10
	s_cbranch_execnz .LBB265_332
.LBB265_277:
	s_or_b32 exec_lo, exec_lo, s11
	s_and_saveexec_b32 s10, s9
	s_cbranch_execnz .LBB265_333
.LBB265_278:
	s_or_b32 exec_lo, exec_lo, s10
	s_and_saveexec_b32 s9, s8
	s_cbranch_execnz .LBB265_334
.LBB265_279:
	s_or_b32 exec_lo, exec_lo, s9
	s_and_saveexec_b32 s8, s7
	s_cbranch_execnz .LBB265_335
.LBB265_280:
	s_or_b32 exec_lo, exec_lo, s8
	s_and_saveexec_b32 s7, s6
	s_cbranch_execnz .LBB265_336
.LBB265_281:
	s_or_b32 exec_lo, exec_lo, s7
	s_and_saveexec_b32 s6, s5
	s_cbranch_execnz .LBB265_337
.LBB265_282:
	s_or_b32 exec_lo, exec_lo, s6
	s_and_saveexec_b32 s5, s4
	s_cbranch_execnz .LBB265_338
.LBB265_283:
	s_or_b32 exec_lo, exec_lo, s5
	s_and_saveexec_b32 s4, s3
	s_cbranch_execnz .LBB265_339
.LBB265_284:
	s_or_b32 exec_lo, exec_lo, s4
	s_and_saveexec_b32 s3, s2
	s_cbranch_execnz .LBB265_340
.LBB265_285:
	s_or_b32 exec_lo, exec_lo, s3
	s_and_saveexec_b32 s2, s1
	s_cbranch_execz .LBB265_287
.LBB265_286:
	v_sub_nc_u32_e32 v9, v38, v8
	s_delay_alu instid0(VALU_DEP_1)
	v_lshlrev_b32_e32 v9, 3, v9
	ds_store_b64 v9, v[91:92]
.LBB265_287:
	s_or_b32 exec_lo, exec_lo, s2
	s_delay_alu instid0(SALU_CYCLE_1)
	s_and_b32 s17, s0, exec_lo
                                        ; implicit-def: $vgpr77_vgpr78
                                        ; implicit-def: $vgpr75_vgpr76
                                        ; implicit-def: $vgpr81_vgpr82
                                        ; implicit-def: $vgpr85_vgpr86
                                        ; implicit-def: $vgpr67_vgpr68
                                        ; implicit-def: $vgpr71_vgpr72
                                        ; implicit-def: $vgpr79_vgpr80
                                        ; implicit-def: $vgpr83_vgpr84
                                        ; implicit-def: $vgpr87_vgpr88
                                        ; implicit-def: $vgpr69_vgpr70
                                        ; implicit-def: $vgpr73_vgpr74
                                        ; implicit-def: $vgpr89_vgpr90
                                        ; implicit-def: $vgpr93_vgpr94
                                        ; implicit-def: $vgpr91_vgpr92
                                        ; implicit-def: $vgpr114
                                        ; implicit-def: $vgpr48
                                        ; implicit-def: $vgpr50
                                        ; implicit-def: $vgpr49
                                        ; implicit-def: $vgpr47
                                        ; implicit-def: $vgpr46
                                        ; implicit-def: $vgpr45
                                        ; implicit-def: $vgpr44
                                        ; implicit-def: $vgpr43
                                        ; implicit-def: $vgpr42
                                        ; implicit-def: $vgpr41
                                        ; implicit-def: $vgpr40
                                        ; implicit-def: $vgpr39
                                        ; implicit-def: $vgpr38
	s_and_not1_saveexec_b32 s0, s16
	s_cbranch_execz .LBB265_212
.LBB265_288:
	v_sub_nc_u32_e32 v9, v114, v8
	v_sub_nc_u32_e32 v10, v48, v8
	;; [unrolled: 1-line block ×5, first 2 shown]
	v_lshlrev_b32_e32 v9, 3, v9
	v_lshlrev_b32_e32 v10, 3, v10
	;; [unrolled: 1-line block ×4, first 2 shown]
	s_or_b32 s17, s17, exec_lo
	ds_store_b64 v9, v[77:78]
	ds_store_b64 v10, v[75:76]
	;; [unrolled: 1-line block ×3, first 2 shown]
	v_sub_nc_u32_e32 v9, v47, v8
	v_sub_nc_u32_e32 v10, v46, v8
	;; [unrolled: 1-line block ×3, first 2 shown]
	ds_store_b64 v12, v[85:86]
	v_sub_nc_u32_e32 v12, v44, v8
	v_lshlrev_b32_e32 v9, 3, v9
	v_lshlrev_b32_e32 v10, 3, v10
	;; [unrolled: 1-line block ×3, first 2 shown]
	s_delay_alu instid0(VALU_DEP_4)
	v_lshlrev_b32_e32 v12, 3, v12
	ds_store_b64 v9, v[67:68]
	v_lshlrev_b32_e32 v9, 3, v13
	ds_store_b64 v10, v[71:72]
	ds_store_b64 v11, v[79:80]
	;; [unrolled: 1-line block ×3, first 2 shown]
	v_sub_nc_u32_e32 v10, v42, v8
	v_sub_nc_u32_e32 v13, v38, v8
	;; [unrolled: 1-line block ×3, first 2 shown]
	ds_store_b64 v9, v[87:88]
	v_sub_nc_u32_e32 v9, v41, v8
	v_lshlrev_b32_e32 v10, 3, v10
	v_sub_nc_u32_e32 v12, v39, v8
	v_lshlrev_b32_e32 v11, 3, v11
	s_delay_alu instid0(VALU_DEP_4)
	v_lshlrev_b32_e32 v9, 3, v9
	ds_store_b64 v10, v[69:70]
	v_lshlrev_b32_e32 v10, 3, v13
	v_lshlrev_b32_e32 v12, 3, v12
	ds_store_b64 v9, v[73:74]
	ds_store_b64 v11, v[89:90]
	;; [unrolled: 1-line block ×4, first 2 shown]
	s_or_b32 exec_lo, exec_lo, s0
	s_delay_alu instid0(SALU_CYCLE_1)
	s_and_b32 exec_lo, exec_lo, s17
	s_cbranch_execnz .LBB265_213
	s_branch .LBB265_214
.LBB265_289:
	v_sub_nc_u32_e32 v54, v114, v65
	v_mov_b32_e32 v55, 0
	s_delay_alu instid0(VALU_DEP_1) | instskip(NEXT) | instid1(VALU_DEP_1)
	v_lshlrev_b64 v[54:55], 3, v[54:55]
	v_add_co_u32 v54, vcc_lo, v51, v54
	s_delay_alu instid0(VALU_DEP_2)
	v_add_co_ci_u32_e32 v55, vcc_lo, v52, v55, vcc_lo
	global_store_b64 v[54:55], v[25:26], off
	s_or_b32 exec_lo, exec_lo, s17
	s_and_saveexec_b32 s17, s11
	s_cbranch_execz .LBB265_223
.LBB265_290:
	v_sub_nc_u32_e32 v54, v48, v65
	v_mov_b32_e32 v55, 0
	s_delay_alu instid0(VALU_DEP_1) | instskip(NEXT) | instid1(VALU_DEP_1)
	v_lshlrev_b64 v[54:55], 3, v[54:55]
	v_add_co_u32 v54, vcc_lo, v51, v54
	s_delay_alu instid0(VALU_DEP_2)
	v_add_co_ci_u32_e32 v55, vcc_lo, v52, v55, vcc_lo
	global_store_b64 v[54:55], v[27:28], off
	s_or_b32 exec_lo, exec_lo, s17
	s_and_saveexec_b32 s17, s9
	s_cbranch_execz .LBB265_224
.LBB265_291:
	v_sub_nc_u32_e32 v54, v50, v65
	v_mov_b32_e32 v55, 0
	s_delay_alu instid0(VALU_DEP_1) | instskip(NEXT) | instid1(VALU_DEP_1)
	v_lshlrev_b64 v[54:55], 3, v[54:55]
	v_add_co_u32 v54, vcc_lo, v51, v54
	s_delay_alu instid0(VALU_DEP_2)
	v_add_co_ci_u32_e32 v55, vcc_lo, v52, v55, vcc_lo
	global_store_b64 v[54:55], v[21:22], off
	s_or_b32 exec_lo, exec_lo, s17
	s_and_saveexec_b32 s17, s8
	s_cbranch_execz .LBB265_225
.LBB265_292:
	v_sub_nc_u32_e32 v54, v49, v65
	v_mov_b32_e32 v55, 0
	s_delay_alu instid0(VALU_DEP_1) | instskip(NEXT) | instid1(VALU_DEP_1)
	v_lshlrev_b64 v[54:55], 3, v[54:55]
	v_add_co_u32 v54, vcc_lo, v51, v54
	s_delay_alu instid0(VALU_DEP_2)
	v_add_co_ci_u32_e32 v55, vcc_lo, v52, v55, vcc_lo
	global_store_b64 v[54:55], v[23:24], off
	s_or_b32 exec_lo, exec_lo, s17
	s_and_saveexec_b32 s17, s14
	s_cbranch_execz .LBB265_226
.LBB265_293:
	v_sub_nc_u32_e32 v54, v47, v65
	v_mov_b32_e32 v55, 0
	s_delay_alu instid0(VALU_DEP_1) | instskip(NEXT) | instid1(VALU_DEP_1)
	v_lshlrev_b64 v[54:55], 3, v[54:55]
	v_add_co_u32 v54, vcc_lo, v51, v54
	s_delay_alu instid0(VALU_DEP_2)
	v_add_co_ci_u32_e32 v55, vcc_lo, v52, v55, vcc_lo
	global_store_b64 v[54:55], v[17:18], off
	s_or_b32 exec_lo, exec_lo, s17
	s_and_saveexec_b32 s17, s13
	s_cbranch_execz .LBB265_227
.LBB265_294:
	v_sub_nc_u32_e32 v54, v46, v65
	v_mov_b32_e32 v55, 0
	s_delay_alu instid0(VALU_DEP_1) | instskip(NEXT) | instid1(VALU_DEP_1)
	v_lshlrev_b64 v[54:55], 3, v[54:55]
	v_add_co_u32 v54, vcc_lo, v51, v54
	s_delay_alu instid0(VALU_DEP_2)
	v_add_co_ci_u32_e32 v55, vcc_lo, v52, v55, vcc_lo
	global_store_b64 v[54:55], v[19:20], off
	s_or_b32 exec_lo, exec_lo, s17
	s_and_saveexec_b32 s17, s10
	s_cbranch_execz .LBB265_228
.LBB265_295:
	v_sub_nc_u32_e32 v54, v45, v65
	v_mov_b32_e32 v55, 0
	s_delay_alu instid0(VALU_DEP_1) | instskip(NEXT) | instid1(VALU_DEP_1)
	v_lshlrev_b64 v[54:55], 3, v[54:55]
	v_add_co_u32 v54, vcc_lo, v51, v54
	s_delay_alu instid0(VALU_DEP_2)
	v_add_co_ci_u32_e32 v55, vcc_lo, v52, v55, vcc_lo
	global_store_b64 v[54:55], v[13:14], off
	s_or_b32 exec_lo, exec_lo, s17
	s_and_saveexec_b32 s17, s7
	s_cbranch_execz .LBB265_229
.LBB265_296:
	v_sub_nc_u32_e32 v54, v44, v65
	v_mov_b32_e32 v55, 0
	s_delay_alu instid0(VALU_DEP_1) | instskip(NEXT) | instid1(VALU_DEP_1)
	v_lshlrev_b64 v[54:55], 3, v[54:55]
	v_add_co_u32 v54, vcc_lo, v51, v54
	s_delay_alu instid0(VALU_DEP_2)
	v_add_co_ci_u32_e32 v55, vcc_lo, v52, v55, vcc_lo
	global_store_b64 v[54:55], v[15:16], off
	s_or_b32 exec_lo, exec_lo, s17
	s_and_saveexec_b32 s17, s6
	s_cbranch_execz .LBB265_230
.LBB265_297:
	v_sub_nc_u32_e32 v54, v43, v65
	v_mov_b32_e32 v55, 0
	s_delay_alu instid0(VALU_DEP_1) | instskip(NEXT) | instid1(VALU_DEP_1)
	v_lshlrev_b64 v[54:55], 3, v[54:55]
	v_add_co_u32 v54, vcc_lo, v51, v54
	s_delay_alu instid0(VALU_DEP_2)
	v_add_co_ci_u32_e32 v55, vcc_lo, v52, v55, vcc_lo
	global_store_b64 v[54:55], v[9:10], off
	s_or_b32 exec_lo, exec_lo, s17
	s_and_saveexec_b32 s17, s5
	s_cbranch_execz .LBB265_231
.LBB265_298:
	v_sub_nc_u32_e32 v54, v42, v65
	v_mov_b32_e32 v55, 0
	s_delay_alu instid0(VALU_DEP_1) | instskip(NEXT) | instid1(VALU_DEP_1)
	v_lshlrev_b64 v[54:55], 3, v[54:55]
	v_add_co_u32 v54, vcc_lo, v51, v54
	s_delay_alu instid0(VALU_DEP_2)
	v_add_co_ci_u32_e32 v55, vcc_lo, v52, v55, vcc_lo
	global_store_b64 v[54:55], v[11:12], off
	s_or_b32 exec_lo, exec_lo, s17
	s_and_saveexec_b32 s17, s4
	s_cbranch_execz .LBB265_232
.LBB265_299:
	v_sub_nc_u32_e32 v54, v41, v65
	v_mov_b32_e32 v55, 0
	s_delay_alu instid0(VALU_DEP_1) | instskip(NEXT) | instid1(VALU_DEP_1)
	v_lshlrev_b64 v[54:55], 3, v[54:55]
	v_add_co_u32 v54, vcc_lo, v51, v54
	s_delay_alu instid0(VALU_DEP_2)
	v_add_co_ci_u32_e32 v55, vcc_lo, v52, v55, vcc_lo
	global_store_b64 v[54:55], v[5:6], off
	s_or_b32 exec_lo, exec_lo, s17
	s_and_saveexec_b32 s17, s3
	s_cbranch_execz .LBB265_233
.LBB265_300:
	v_sub_nc_u32_e32 v54, v40, v65
	v_mov_b32_e32 v55, 0
	s_delay_alu instid0(VALU_DEP_1) | instskip(NEXT) | instid1(VALU_DEP_1)
	v_lshlrev_b64 v[54:55], 3, v[54:55]
	v_add_co_u32 v54, vcc_lo, v51, v54
	s_delay_alu instid0(VALU_DEP_2)
	v_add_co_ci_u32_e32 v55, vcc_lo, v52, v55, vcc_lo
	global_store_b64 v[54:55], v[7:8], off
	s_or_b32 exec_lo, exec_lo, s17
	s_and_saveexec_b32 s17, s2
	s_cbranch_execz .LBB265_234
.LBB265_301:
	v_sub_nc_u32_e32 v54, v39, v65
	v_mov_b32_e32 v55, 0
	s_delay_alu instid0(VALU_DEP_1) | instskip(NEXT) | instid1(VALU_DEP_1)
	v_lshlrev_b64 v[54:55], 3, v[54:55]
	v_add_co_u32 v54, vcc_lo, v51, v54
	s_delay_alu instid0(VALU_DEP_2)
	v_add_co_ci_u32_e32 v55, vcc_lo, v52, v55, vcc_lo
	global_store_b64 v[54:55], v[1:2], off
	s_or_b32 exec_lo, exec_lo, s17
	s_and_saveexec_b32 s17, s1
	s_cbranch_execnz .LBB265_235
	s_branch .LBB265_236
.LBB265_302:
	v_sub_nc_u32_e32 v53, v114, v65
	s_delay_alu instid0(VALU_DEP_1)
	v_lshlrev_b32_e32 v53, 3, v53
	ds_store_b64 v53, v[25:26]
	s_or_b32 exec_lo, exec_lo, s17
	s_and_saveexec_b32 s12, s11
	s_cbranch_execz .LBB265_240
.LBB265_303:
	v_sub_nc_u32_e32 v25, v48, v65
	s_delay_alu instid0(VALU_DEP_1)
	v_lshlrev_b32_e32 v25, 3, v25
	ds_store_b64 v25, v[27:28]
	s_or_b32 exec_lo, exec_lo, s12
	s_and_saveexec_b32 s11, s9
	s_cbranch_execz .LBB265_241
.LBB265_304:
	v_sub_nc_u32_e32 v25, v50, v65
	s_delay_alu instid0(VALU_DEP_1)
	v_lshlrev_b32_e32 v25, 3, v25
	ds_store_b64 v25, v[21:22]
	s_or_b32 exec_lo, exec_lo, s11
	s_and_saveexec_b32 s9, s8
	s_cbranch_execz .LBB265_242
.LBB265_305:
	v_sub_nc_u32_e32 v21, v49, v65
	s_delay_alu instid0(VALU_DEP_1)
	v_lshlrev_b32_e32 v21, 3, v21
	ds_store_b64 v21, v[23:24]
	s_or_b32 exec_lo, exec_lo, s9
	s_and_saveexec_b32 s8, s14
	s_cbranch_execz .LBB265_243
.LBB265_306:
	v_sub_nc_u32_e32 v21, v47, v65
	s_delay_alu instid0(VALU_DEP_1)
	v_lshlrev_b32_e32 v21, 3, v21
	ds_store_b64 v21, v[17:18]
	s_or_b32 exec_lo, exec_lo, s8
	s_and_saveexec_b32 s8, s13
	s_cbranch_execz .LBB265_244
.LBB265_307:
	v_sub_nc_u32_e32 v17, v46, v65
	s_delay_alu instid0(VALU_DEP_1)
	v_lshlrev_b32_e32 v17, 3, v17
	ds_store_b64 v17, v[19:20]
	s_or_b32 exec_lo, exec_lo, s8
	s_and_saveexec_b32 s8, s10
	s_cbranch_execz .LBB265_245
.LBB265_308:
	v_sub_nc_u32_e32 v17, v45, v65
	s_delay_alu instid0(VALU_DEP_1)
	v_lshlrev_b32_e32 v17, 3, v17
	ds_store_b64 v17, v[13:14]
	s_or_b32 exec_lo, exec_lo, s8
	s_and_saveexec_b32 s8, s7
	s_cbranch_execz .LBB265_246
.LBB265_309:
	v_sub_nc_u32_e32 v13, v44, v65
	s_delay_alu instid0(VALU_DEP_1)
	v_lshlrev_b32_e32 v13, 3, v13
	ds_store_b64 v13, v[15:16]
	s_or_b32 exec_lo, exec_lo, s8
	s_and_saveexec_b32 s7, s6
	s_cbranch_execz .LBB265_247
.LBB265_310:
	v_sub_nc_u32_e32 v13, v43, v65
	s_delay_alu instid0(VALU_DEP_1)
	v_lshlrev_b32_e32 v13, 3, v13
	ds_store_b64 v13, v[9:10]
	s_or_b32 exec_lo, exec_lo, s7
	s_and_saveexec_b32 s6, s5
	s_cbranch_execz .LBB265_248
.LBB265_311:
	v_sub_nc_u32_e32 v9, v42, v65
	s_delay_alu instid0(VALU_DEP_1)
	v_lshlrev_b32_e32 v9, 3, v9
	ds_store_b64 v9, v[11:12]
	s_or_b32 exec_lo, exec_lo, s6
	s_and_saveexec_b32 s5, s4
	s_cbranch_execz .LBB265_249
.LBB265_312:
	v_sub_nc_u32_e32 v9, v41, v65
	s_delay_alu instid0(VALU_DEP_1)
	v_lshlrev_b32_e32 v9, 3, v9
	ds_store_b64 v9, v[5:6]
	s_or_b32 exec_lo, exec_lo, s5
	s_and_saveexec_b32 s4, s3
	s_cbranch_execz .LBB265_250
.LBB265_313:
	v_sub_nc_u32_e32 v5, v40, v65
	s_delay_alu instid0(VALU_DEP_1)
	v_lshlrev_b32_e32 v5, 3, v5
	ds_store_b64 v5, v[7:8]
	s_or_b32 exec_lo, exec_lo, s4
	s_and_saveexec_b32 s3, s2
	s_cbranch_execz .LBB265_251
.LBB265_314:
	v_sub_nc_u32_e32 v5, v39, v65
	s_delay_alu instid0(VALU_DEP_1)
	v_lshlrev_b32_e32 v5, 3, v5
	ds_store_b64 v5, v[1:2]
	s_or_b32 exec_lo, exec_lo, s3
	s_and_saveexec_b32 s2, s1
	s_cbranch_execnz .LBB265_252
	s_branch .LBB265_253
.LBB265_315:
	v_sub_nc_u32_e32 v10, v114, v8
	v_mov_b32_e32 v11, 0
	s_delay_alu instid0(VALU_DEP_1) | instskip(NEXT) | instid1(VALU_DEP_1)
	v_lshlrev_b64 v[10:11], 3, v[10:11]
	v_add_co_u32 v10, vcc_lo, v6, v10
	s_delay_alu instid0(VALU_DEP_2)
	v_add_co_ci_u32_e32 v11, vcc_lo, v7, v11, vcc_lo
	global_store_b64 v[10:11], v[77:78], off
	s_or_b32 exec_lo, exec_lo, s17
	s_and_saveexec_b32 s17, s13
	s_cbranch_execz .LBB265_257
.LBB265_316:
	v_sub_nc_u32_e32 v10, v48, v8
	v_mov_b32_e32 v11, 0
	s_delay_alu instid0(VALU_DEP_1) | instskip(NEXT) | instid1(VALU_DEP_1)
	v_lshlrev_b64 v[10:11], 3, v[10:11]
	v_add_co_u32 v10, vcc_lo, v6, v10
	s_delay_alu instid0(VALU_DEP_2)
	v_add_co_ci_u32_e32 v11, vcc_lo, v7, v11, vcc_lo
	global_store_b64 v[10:11], v[75:76], off
	s_or_b32 exec_lo, exec_lo, s17
	s_and_saveexec_b32 s17, s12
	s_cbranch_execz .LBB265_258
.LBB265_317:
	v_sub_nc_u32_e32 v10, v50, v8
	v_mov_b32_e32 v11, 0
	s_delay_alu instid0(VALU_DEP_1) | instskip(NEXT) | instid1(VALU_DEP_1)
	v_lshlrev_b64 v[10:11], 3, v[10:11]
	v_add_co_u32 v10, vcc_lo, v6, v10
	s_delay_alu instid0(VALU_DEP_2)
	v_add_co_ci_u32_e32 v11, vcc_lo, v7, v11, vcc_lo
	global_store_b64 v[10:11], v[81:82], off
	s_or_b32 exec_lo, exec_lo, s17
	s_and_saveexec_b32 s17, s11
	s_cbranch_execz .LBB265_259
.LBB265_318:
	v_sub_nc_u32_e32 v10, v49, v8
	v_mov_b32_e32 v11, 0
	s_delay_alu instid0(VALU_DEP_1) | instskip(NEXT) | instid1(VALU_DEP_1)
	v_lshlrev_b64 v[10:11], 3, v[10:11]
	v_add_co_u32 v10, vcc_lo, v6, v10
	s_delay_alu instid0(VALU_DEP_2)
	v_add_co_ci_u32_e32 v11, vcc_lo, v7, v11, vcc_lo
	global_store_b64 v[10:11], v[85:86], off
	s_or_b32 exec_lo, exec_lo, s17
	s_and_saveexec_b32 s17, s10
	s_cbranch_execz .LBB265_260
.LBB265_319:
	v_sub_nc_u32_e32 v10, v47, v8
	v_mov_b32_e32 v11, 0
	s_delay_alu instid0(VALU_DEP_1) | instskip(NEXT) | instid1(VALU_DEP_1)
	v_lshlrev_b64 v[10:11], 3, v[10:11]
	v_add_co_u32 v10, vcc_lo, v6, v10
	s_delay_alu instid0(VALU_DEP_2)
	v_add_co_ci_u32_e32 v11, vcc_lo, v7, v11, vcc_lo
	global_store_b64 v[10:11], v[67:68], off
	s_or_b32 exec_lo, exec_lo, s17
	s_and_saveexec_b32 s17, s9
	s_cbranch_execz .LBB265_261
.LBB265_320:
	v_sub_nc_u32_e32 v10, v46, v8
	v_mov_b32_e32 v11, 0
	s_delay_alu instid0(VALU_DEP_1) | instskip(NEXT) | instid1(VALU_DEP_1)
	v_lshlrev_b64 v[10:11], 3, v[10:11]
	v_add_co_u32 v10, vcc_lo, v6, v10
	s_delay_alu instid0(VALU_DEP_2)
	v_add_co_ci_u32_e32 v11, vcc_lo, v7, v11, vcc_lo
	global_store_b64 v[10:11], v[71:72], off
	s_or_b32 exec_lo, exec_lo, s17
	s_and_saveexec_b32 s17, s8
	s_cbranch_execz .LBB265_262
.LBB265_321:
	v_sub_nc_u32_e32 v10, v45, v8
	v_mov_b32_e32 v11, 0
	s_delay_alu instid0(VALU_DEP_1) | instskip(NEXT) | instid1(VALU_DEP_1)
	v_lshlrev_b64 v[10:11], 3, v[10:11]
	v_add_co_u32 v10, vcc_lo, v6, v10
	s_delay_alu instid0(VALU_DEP_2)
	v_add_co_ci_u32_e32 v11, vcc_lo, v7, v11, vcc_lo
	global_store_b64 v[10:11], v[79:80], off
	s_or_b32 exec_lo, exec_lo, s17
	s_and_saveexec_b32 s17, s7
	s_cbranch_execz .LBB265_263
.LBB265_322:
	v_sub_nc_u32_e32 v10, v44, v8
	v_mov_b32_e32 v11, 0
	s_delay_alu instid0(VALU_DEP_1) | instskip(NEXT) | instid1(VALU_DEP_1)
	v_lshlrev_b64 v[10:11], 3, v[10:11]
	v_add_co_u32 v10, vcc_lo, v6, v10
	s_delay_alu instid0(VALU_DEP_2)
	v_add_co_ci_u32_e32 v11, vcc_lo, v7, v11, vcc_lo
	global_store_b64 v[10:11], v[83:84], off
	s_or_b32 exec_lo, exec_lo, s17
	s_and_saveexec_b32 s17, s6
	s_cbranch_execz .LBB265_264
.LBB265_323:
	v_sub_nc_u32_e32 v10, v43, v8
	v_mov_b32_e32 v11, 0
	s_delay_alu instid0(VALU_DEP_1) | instskip(NEXT) | instid1(VALU_DEP_1)
	v_lshlrev_b64 v[10:11], 3, v[10:11]
	v_add_co_u32 v10, vcc_lo, v6, v10
	s_delay_alu instid0(VALU_DEP_2)
	v_add_co_ci_u32_e32 v11, vcc_lo, v7, v11, vcc_lo
	global_store_b64 v[10:11], v[87:88], off
	s_or_b32 exec_lo, exec_lo, s17
	s_and_saveexec_b32 s17, s5
	s_cbranch_execz .LBB265_265
.LBB265_324:
	v_sub_nc_u32_e32 v10, v42, v8
	v_mov_b32_e32 v11, 0
	s_delay_alu instid0(VALU_DEP_1) | instskip(NEXT) | instid1(VALU_DEP_1)
	v_lshlrev_b64 v[10:11], 3, v[10:11]
	v_add_co_u32 v10, vcc_lo, v6, v10
	s_delay_alu instid0(VALU_DEP_2)
	v_add_co_ci_u32_e32 v11, vcc_lo, v7, v11, vcc_lo
	global_store_b64 v[10:11], v[69:70], off
	s_or_b32 exec_lo, exec_lo, s17
	s_and_saveexec_b32 s17, s4
	s_cbranch_execz .LBB265_266
.LBB265_325:
	v_sub_nc_u32_e32 v10, v41, v8
	v_mov_b32_e32 v11, 0
	s_delay_alu instid0(VALU_DEP_1) | instskip(NEXT) | instid1(VALU_DEP_1)
	v_lshlrev_b64 v[10:11], 3, v[10:11]
	v_add_co_u32 v10, vcc_lo, v6, v10
	s_delay_alu instid0(VALU_DEP_2)
	v_add_co_ci_u32_e32 v11, vcc_lo, v7, v11, vcc_lo
	global_store_b64 v[10:11], v[73:74], off
	s_or_b32 exec_lo, exec_lo, s17
	s_and_saveexec_b32 s17, s3
	s_cbranch_execz .LBB265_267
.LBB265_326:
	v_sub_nc_u32_e32 v10, v40, v8
	v_mov_b32_e32 v11, 0
	s_delay_alu instid0(VALU_DEP_1) | instskip(NEXT) | instid1(VALU_DEP_1)
	v_lshlrev_b64 v[10:11], 3, v[10:11]
	v_add_co_u32 v10, vcc_lo, v6, v10
	s_delay_alu instid0(VALU_DEP_2)
	v_add_co_ci_u32_e32 v11, vcc_lo, v7, v11, vcc_lo
	global_store_b64 v[10:11], v[89:90], off
	s_or_b32 exec_lo, exec_lo, s17
	s_and_saveexec_b32 s17, s2
	s_cbranch_execz .LBB265_268
.LBB265_327:
	v_sub_nc_u32_e32 v10, v39, v8
	v_mov_b32_e32 v11, 0
	s_delay_alu instid0(VALU_DEP_1) | instskip(NEXT) | instid1(VALU_DEP_1)
	v_lshlrev_b64 v[10:11], 3, v[10:11]
	v_add_co_u32 v10, vcc_lo, v6, v10
	s_delay_alu instid0(VALU_DEP_2)
	v_add_co_ci_u32_e32 v11, vcc_lo, v7, v11, vcc_lo
	global_store_b64 v[10:11], v[93:94], off
	s_or_b32 exec_lo, exec_lo, s17
	s_and_saveexec_b32 s17, s1
	s_cbranch_execnz .LBB265_269
	s_branch .LBB265_270
.LBB265_328:
	v_sub_nc_u32_e32 v9, v114, v8
	s_delay_alu instid0(VALU_DEP_1)
	v_lshlrev_b32_e32 v9, 3, v9
	ds_store_b64 v9, v[77:78]
	s_or_b32 exec_lo, exec_lo, s17
	s_and_saveexec_b32 s14, s13
	s_cbranch_execz .LBB265_274
.LBB265_329:
	v_sub_nc_u32_e32 v9, v48, v8
	s_delay_alu instid0(VALU_DEP_1)
	v_lshlrev_b32_e32 v9, 3, v9
	ds_store_b64 v9, v[75:76]
	s_or_b32 exec_lo, exec_lo, s14
	s_and_saveexec_b32 s13, s12
	s_cbranch_execz .LBB265_275
.LBB265_330:
	v_sub_nc_u32_e32 v9, v50, v8
	s_delay_alu instid0(VALU_DEP_1)
	v_lshlrev_b32_e32 v9, 3, v9
	ds_store_b64 v9, v[81:82]
	s_or_b32 exec_lo, exec_lo, s13
	s_and_saveexec_b32 s12, s11
	s_cbranch_execz .LBB265_276
.LBB265_331:
	v_sub_nc_u32_e32 v9, v49, v8
	s_delay_alu instid0(VALU_DEP_1)
	v_lshlrev_b32_e32 v9, 3, v9
	ds_store_b64 v9, v[85:86]
	s_or_b32 exec_lo, exec_lo, s12
	s_and_saveexec_b32 s11, s10
	s_cbranch_execz .LBB265_277
.LBB265_332:
	v_sub_nc_u32_e32 v9, v47, v8
	s_delay_alu instid0(VALU_DEP_1)
	v_lshlrev_b32_e32 v9, 3, v9
	ds_store_b64 v9, v[67:68]
	s_or_b32 exec_lo, exec_lo, s11
	s_and_saveexec_b32 s10, s9
	s_cbranch_execz .LBB265_278
.LBB265_333:
	v_sub_nc_u32_e32 v9, v46, v8
	s_delay_alu instid0(VALU_DEP_1)
	v_lshlrev_b32_e32 v9, 3, v9
	ds_store_b64 v9, v[71:72]
	s_or_b32 exec_lo, exec_lo, s10
	s_and_saveexec_b32 s9, s8
	s_cbranch_execz .LBB265_279
.LBB265_334:
	v_sub_nc_u32_e32 v9, v45, v8
	s_delay_alu instid0(VALU_DEP_1)
	v_lshlrev_b32_e32 v9, 3, v9
	ds_store_b64 v9, v[79:80]
	s_or_b32 exec_lo, exec_lo, s9
	s_and_saveexec_b32 s8, s7
	s_cbranch_execz .LBB265_280
.LBB265_335:
	v_sub_nc_u32_e32 v9, v44, v8
	s_delay_alu instid0(VALU_DEP_1)
	v_lshlrev_b32_e32 v9, 3, v9
	ds_store_b64 v9, v[83:84]
	s_or_b32 exec_lo, exec_lo, s8
	s_and_saveexec_b32 s7, s6
	s_cbranch_execz .LBB265_281
.LBB265_336:
	v_sub_nc_u32_e32 v9, v43, v8
	s_delay_alu instid0(VALU_DEP_1)
	v_lshlrev_b32_e32 v9, 3, v9
	ds_store_b64 v9, v[87:88]
	s_or_b32 exec_lo, exec_lo, s7
	s_and_saveexec_b32 s6, s5
	s_cbranch_execz .LBB265_282
.LBB265_337:
	v_sub_nc_u32_e32 v9, v42, v8
	s_delay_alu instid0(VALU_DEP_1)
	v_lshlrev_b32_e32 v9, 3, v9
	ds_store_b64 v9, v[69:70]
	s_or_b32 exec_lo, exec_lo, s6
	s_and_saveexec_b32 s5, s4
	s_cbranch_execz .LBB265_283
.LBB265_338:
	v_sub_nc_u32_e32 v9, v41, v8
	s_delay_alu instid0(VALU_DEP_1)
	v_lshlrev_b32_e32 v9, 3, v9
	ds_store_b64 v9, v[73:74]
	s_or_b32 exec_lo, exec_lo, s5
	s_and_saveexec_b32 s4, s3
	s_cbranch_execz .LBB265_284
.LBB265_339:
	v_sub_nc_u32_e32 v9, v40, v8
	s_delay_alu instid0(VALU_DEP_1)
	v_lshlrev_b32_e32 v9, 3, v9
	ds_store_b64 v9, v[89:90]
	s_or_b32 exec_lo, exec_lo, s4
	s_and_saveexec_b32 s3, s2
	s_cbranch_execz .LBB265_285
.LBB265_340:
	v_sub_nc_u32_e32 v9, v39, v8
	s_delay_alu instid0(VALU_DEP_1)
	v_lshlrev_b32_e32 v9, 3, v9
	ds_store_b64 v9, v[93:94]
	s_or_b32 exec_lo, exec_lo, s3
	s_and_saveexec_b32 s2, s1
	s_cbranch_execnz .LBB265_286
	s_branch .LBB265_287
	.section	.rodata,"a",@progbits
	.p2align	6, 0x0
	.amdhsa_kernel _ZN7rocprim17ROCPRIM_400000_NS6detail17trampoline_kernelINS0_14default_configENS1_29reduce_by_key_config_selectorIyyN6thrust23THRUST_200600_302600_NS4plusIyEEEEZZNS1_33reduce_by_key_impl_wrapped_configILNS1_25lookback_scan_determinismE0ES3_S9_NS6_6detail15normal_iteratorINS6_10device_ptrIyEEEESG_SG_SG_PmS8_NS6_8equal_toIyEEEE10hipError_tPvRmT2_T3_mT4_T5_T6_T7_T8_P12ihipStream_tbENKUlT_T0_E_clISt17integral_constantIbLb1EES10_IbLb0EEEEDaSW_SX_EUlSW_E_NS1_11comp_targetILNS1_3genE9ELNS1_11target_archE1100ELNS1_3gpuE3ELNS1_3repE0EEENS1_30default_config_static_selectorELNS0_4arch9wavefront6targetE0EEEvT1_
		.amdhsa_group_segment_fixed_size 30720
		.amdhsa_private_segment_fixed_size 0
		.amdhsa_kernarg_size 136
		.amdhsa_user_sgpr_count 15
		.amdhsa_user_sgpr_dispatch_ptr 0
		.amdhsa_user_sgpr_queue_ptr 0
		.amdhsa_user_sgpr_kernarg_segment_ptr 1
		.amdhsa_user_sgpr_dispatch_id 0
		.amdhsa_user_sgpr_private_segment_size 0
		.amdhsa_wavefront_size32 1
		.amdhsa_uses_dynamic_stack 0
		.amdhsa_enable_private_segment 0
		.amdhsa_system_sgpr_workgroup_id_x 1
		.amdhsa_system_sgpr_workgroup_id_y 0
		.amdhsa_system_sgpr_workgroup_id_z 0
		.amdhsa_system_sgpr_workgroup_info 0
		.amdhsa_system_vgpr_workitem_id 0
		.amdhsa_next_free_vgpr 121
		.amdhsa_next_free_sgpr 52
		.amdhsa_reserve_vcc 1
		.amdhsa_float_round_mode_32 0
		.amdhsa_float_round_mode_16_64 0
		.amdhsa_float_denorm_mode_32 3
		.amdhsa_float_denorm_mode_16_64 3
		.amdhsa_dx10_clamp 1
		.amdhsa_ieee_mode 1
		.amdhsa_fp16_overflow 0
		.amdhsa_workgroup_processor_mode 1
		.amdhsa_memory_ordered 1
		.amdhsa_forward_progress 0
		.amdhsa_shared_vgpr_count 0
		.amdhsa_exception_fp_ieee_invalid_op 0
		.amdhsa_exception_fp_denorm_src 0
		.amdhsa_exception_fp_ieee_div_zero 0
		.amdhsa_exception_fp_ieee_overflow 0
		.amdhsa_exception_fp_ieee_underflow 0
		.amdhsa_exception_fp_ieee_inexact 0
		.amdhsa_exception_int_div_zero 0
	.end_amdhsa_kernel
	.section	.text._ZN7rocprim17ROCPRIM_400000_NS6detail17trampoline_kernelINS0_14default_configENS1_29reduce_by_key_config_selectorIyyN6thrust23THRUST_200600_302600_NS4plusIyEEEEZZNS1_33reduce_by_key_impl_wrapped_configILNS1_25lookback_scan_determinismE0ES3_S9_NS6_6detail15normal_iteratorINS6_10device_ptrIyEEEESG_SG_SG_PmS8_NS6_8equal_toIyEEEE10hipError_tPvRmT2_T3_mT4_T5_T6_T7_T8_P12ihipStream_tbENKUlT_T0_E_clISt17integral_constantIbLb1EES10_IbLb0EEEEDaSW_SX_EUlSW_E_NS1_11comp_targetILNS1_3genE9ELNS1_11target_archE1100ELNS1_3gpuE3ELNS1_3repE0EEENS1_30default_config_static_selectorELNS0_4arch9wavefront6targetE0EEEvT1_,"axG",@progbits,_ZN7rocprim17ROCPRIM_400000_NS6detail17trampoline_kernelINS0_14default_configENS1_29reduce_by_key_config_selectorIyyN6thrust23THRUST_200600_302600_NS4plusIyEEEEZZNS1_33reduce_by_key_impl_wrapped_configILNS1_25lookback_scan_determinismE0ES3_S9_NS6_6detail15normal_iteratorINS6_10device_ptrIyEEEESG_SG_SG_PmS8_NS6_8equal_toIyEEEE10hipError_tPvRmT2_T3_mT4_T5_T6_T7_T8_P12ihipStream_tbENKUlT_T0_E_clISt17integral_constantIbLb1EES10_IbLb0EEEEDaSW_SX_EUlSW_E_NS1_11comp_targetILNS1_3genE9ELNS1_11target_archE1100ELNS1_3gpuE3ELNS1_3repE0EEENS1_30default_config_static_selectorELNS0_4arch9wavefront6targetE0EEEvT1_,comdat
.Lfunc_end265:
	.size	_ZN7rocprim17ROCPRIM_400000_NS6detail17trampoline_kernelINS0_14default_configENS1_29reduce_by_key_config_selectorIyyN6thrust23THRUST_200600_302600_NS4plusIyEEEEZZNS1_33reduce_by_key_impl_wrapped_configILNS1_25lookback_scan_determinismE0ES3_S9_NS6_6detail15normal_iteratorINS6_10device_ptrIyEEEESG_SG_SG_PmS8_NS6_8equal_toIyEEEE10hipError_tPvRmT2_T3_mT4_T5_T6_T7_T8_P12ihipStream_tbENKUlT_T0_E_clISt17integral_constantIbLb1EES10_IbLb0EEEEDaSW_SX_EUlSW_E_NS1_11comp_targetILNS1_3genE9ELNS1_11target_archE1100ELNS1_3gpuE3ELNS1_3repE0EEENS1_30default_config_static_selectorELNS0_4arch9wavefront6targetE0EEEvT1_, .Lfunc_end265-_ZN7rocprim17ROCPRIM_400000_NS6detail17trampoline_kernelINS0_14default_configENS1_29reduce_by_key_config_selectorIyyN6thrust23THRUST_200600_302600_NS4plusIyEEEEZZNS1_33reduce_by_key_impl_wrapped_configILNS1_25lookback_scan_determinismE0ES3_S9_NS6_6detail15normal_iteratorINS6_10device_ptrIyEEEESG_SG_SG_PmS8_NS6_8equal_toIyEEEE10hipError_tPvRmT2_T3_mT4_T5_T6_T7_T8_P12ihipStream_tbENKUlT_T0_E_clISt17integral_constantIbLb1EES10_IbLb0EEEEDaSW_SX_EUlSW_E_NS1_11comp_targetILNS1_3genE9ELNS1_11target_archE1100ELNS1_3gpuE3ELNS1_3repE0EEENS1_30default_config_static_selectorELNS0_4arch9wavefront6targetE0EEEvT1_
                                        ; -- End function
	.section	.AMDGPU.csdata,"",@progbits
; Kernel info:
; codeLenInByte = 19220
; NumSgprs: 54
; NumVgprs: 121
; ScratchSize: 0
; MemoryBound: 0
; FloatMode: 240
; IeeeMode: 1
; LDSByteSize: 30720 bytes/workgroup (compile time only)
; SGPRBlocks: 6
; VGPRBlocks: 15
; NumSGPRsForWavesPerEU: 54
; NumVGPRsForWavesPerEU: 121
; Occupancy: 8
; WaveLimiterHint : 1
; COMPUTE_PGM_RSRC2:SCRATCH_EN: 0
; COMPUTE_PGM_RSRC2:USER_SGPR: 15
; COMPUTE_PGM_RSRC2:TRAP_HANDLER: 0
; COMPUTE_PGM_RSRC2:TGID_X_EN: 1
; COMPUTE_PGM_RSRC2:TGID_Y_EN: 0
; COMPUTE_PGM_RSRC2:TGID_Z_EN: 0
; COMPUTE_PGM_RSRC2:TIDIG_COMP_CNT: 0
	.section	.text._ZN7rocprim17ROCPRIM_400000_NS6detail17trampoline_kernelINS0_14default_configENS1_29reduce_by_key_config_selectorIyyN6thrust23THRUST_200600_302600_NS4plusIyEEEEZZNS1_33reduce_by_key_impl_wrapped_configILNS1_25lookback_scan_determinismE0ES3_S9_NS6_6detail15normal_iteratorINS6_10device_ptrIyEEEESG_SG_SG_PmS8_NS6_8equal_toIyEEEE10hipError_tPvRmT2_T3_mT4_T5_T6_T7_T8_P12ihipStream_tbENKUlT_T0_E_clISt17integral_constantIbLb1EES10_IbLb0EEEEDaSW_SX_EUlSW_E_NS1_11comp_targetILNS1_3genE8ELNS1_11target_archE1030ELNS1_3gpuE2ELNS1_3repE0EEENS1_30default_config_static_selectorELNS0_4arch9wavefront6targetE0EEEvT1_,"axG",@progbits,_ZN7rocprim17ROCPRIM_400000_NS6detail17trampoline_kernelINS0_14default_configENS1_29reduce_by_key_config_selectorIyyN6thrust23THRUST_200600_302600_NS4plusIyEEEEZZNS1_33reduce_by_key_impl_wrapped_configILNS1_25lookback_scan_determinismE0ES3_S9_NS6_6detail15normal_iteratorINS6_10device_ptrIyEEEESG_SG_SG_PmS8_NS6_8equal_toIyEEEE10hipError_tPvRmT2_T3_mT4_T5_T6_T7_T8_P12ihipStream_tbENKUlT_T0_E_clISt17integral_constantIbLb1EES10_IbLb0EEEEDaSW_SX_EUlSW_E_NS1_11comp_targetILNS1_3genE8ELNS1_11target_archE1030ELNS1_3gpuE2ELNS1_3repE0EEENS1_30default_config_static_selectorELNS0_4arch9wavefront6targetE0EEEvT1_,comdat
	.protected	_ZN7rocprim17ROCPRIM_400000_NS6detail17trampoline_kernelINS0_14default_configENS1_29reduce_by_key_config_selectorIyyN6thrust23THRUST_200600_302600_NS4plusIyEEEEZZNS1_33reduce_by_key_impl_wrapped_configILNS1_25lookback_scan_determinismE0ES3_S9_NS6_6detail15normal_iteratorINS6_10device_ptrIyEEEESG_SG_SG_PmS8_NS6_8equal_toIyEEEE10hipError_tPvRmT2_T3_mT4_T5_T6_T7_T8_P12ihipStream_tbENKUlT_T0_E_clISt17integral_constantIbLb1EES10_IbLb0EEEEDaSW_SX_EUlSW_E_NS1_11comp_targetILNS1_3genE8ELNS1_11target_archE1030ELNS1_3gpuE2ELNS1_3repE0EEENS1_30default_config_static_selectorELNS0_4arch9wavefront6targetE0EEEvT1_ ; -- Begin function _ZN7rocprim17ROCPRIM_400000_NS6detail17trampoline_kernelINS0_14default_configENS1_29reduce_by_key_config_selectorIyyN6thrust23THRUST_200600_302600_NS4plusIyEEEEZZNS1_33reduce_by_key_impl_wrapped_configILNS1_25lookback_scan_determinismE0ES3_S9_NS6_6detail15normal_iteratorINS6_10device_ptrIyEEEESG_SG_SG_PmS8_NS6_8equal_toIyEEEE10hipError_tPvRmT2_T3_mT4_T5_T6_T7_T8_P12ihipStream_tbENKUlT_T0_E_clISt17integral_constantIbLb1EES10_IbLb0EEEEDaSW_SX_EUlSW_E_NS1_11comp_targetILNS1_3genE8ELNS1_11target_archE1030ELNS1_3gpuE2ELNS1_3repE0EEENS1_30default_config_static_selectorELNS0_4arch9wavefront6targetE0EEEvT1_
	.globl	_ZN7rocprim17ROCPRIM_400000_NS6detail17trampoline_kernelINS0_14default_configENS1_29reduce_by_key_config_selectorIyyN6thrust23THRUST_200600_302600_NS4plusIyEEEEZZNS1_33reduce_by_key_impl_wrapped_configILNS1_25lookback_scan_determinismE0ES3_S9_NS6_6detail15normal_iteratorINS6_10device_ptrIyEEEESG_SG_SG_PmS8_NS6_8equal_toIyEEEE10hipError_tPvRmT2_T3_mT4_T5_T6_T7_T8_P12ihipStream_tbENKUlT_T0_E_clISt17integral_constantIbLb1EES10_IbLb0EEEEDaSW_SX_EUlSW_E_NS1_11comp_targetILNS1_3genE8ELNS1_11target_archE1030ELNS1_3gpuE2ELNS1_3repE0EEENS1_30default_config_static_selectorELNS0_4arch9wavefront6targetE0EEEvT1_
	.p2align	8
	.type	_ZN7rocprim17ROCPRIM_400000_NS6detail17trampoline_kernelINS0_14default_configENS1_29reduce_by_key_config_selectorIyyN6thrust23THRUST_200600_302600_NS4plusIyEEEEZZNS1_33reduce_by_key_impl_wrapped_configILNS1_25lookback_scan_determinismE0ES3_S9_NS6_6detail15normal_iteratorINS6_10device_ptrIyEEEESG_SG_SG_PmS8_NS6_8equal_toIyEEEE10hipError_tPvRmT2_T3_mT4_T5_T6_T7_T8_P12ihipStream_tbENKUlT_T0_E_clISt17integral_constantIbLb1EES10_IbLb0EEEEDaSW_SX_EUlSW_E_NS1_11comp_targetILNS1_3genE8ELNS1_11target_archE1030ELNS1_3gpuE2ELNS1_3repE0EEENS1_30default_config_static_selectorELNS0_4arch9wavefront6targetE0EEEvT1_,@function
_ZN7rocprim17ROCPRIM_400000_NS6detail17trampoline_kernelINS0_14default_configENS1_29reduce_by_key_config_selectorIyyN6thrust23THRUST_200600_302600_NS4plusIyEEEEZZNS1_33reduce_by_key_impl_wrapped_configILNS1_25lookback_scan_determinismE0ES3_S9_NS6_6detail15normal_iteratorINS6_10device_ptrIyEEEESG_SG_SG_PmS8_NS6_8equal_toIyEEEE10hipError_tPvRmT2_T3_mT4_T5_T6_T7_T8_P12ihipStream_tbENKUlT_T0_E_clISt17integral_constantIbLb1EES10_IbLb0EEEEDaSW_SX_EUlSW_E_NS1_11comp_targetILNS1_3genE8ELNS1_11target_archE1030ELNS1_3gpuE2ELNS1_3repE0EEENS1_30default_config_static_selectorELNS0_4arch9wavefront6targetE0EEEvT1_: ; @_ZN7rocprim17ROCPRIM_400000_NS6detail17trampoline_kernelINS0_14default_configENS1_29reduce_by_key_config_selectorIyyN6thrust23THRUST_200600_302600_NS4plusIyEEEEZZNS1_33reduce_by_key_impl_wrapped_configILNS1_25lookback_scan_determinismE0ES3_S9_NS6_6detail15normal_iteratorINS6_10device_ptrIyEEEESG_SG_SG_PmS8_NS6_8equal_toIyEEEE10hipError_tPvRmT2_T3_mT4_T5_T6_T7_T8_P12ihipStream_tbENKUlT_T0_E_clISt17integral_constantIbLb1EES10_IbLb0EEEEDaSW_SX_EUlSW_E_NS1_11comp_targetILNS1_3genE8ELNS1_11target_archE1030ELNS1_3gpuE2ELNS1_3repE0EEENS1_30default_config_static_selectorELNS0_4arch9wavefront6targetE0EEEvT1_
; %bb.0:
	.section	.rodata,"a",@progbits
	.p2align	6, 0x0
	.amdhsa_kernel _ZN7rocprim17ROCPRIM_400000_NS6detail17trampoline_kernelINS0_14default_configENS1_29reduce_by_key_config_selectorIyyN6thrust23THRUST_200600_302600_NS4plusIyEEEEZZNS1_33reduce_by_key_impl_wrapped_configILNS1_25lookback_scan_determinismE0ES3_S9_NS6_6detail15normal_iteratorINS6_10device_ptrIyEEEESG_SG_SG_PmS8_NS6_8equal_toIyEEEE10hipError_tPvRmT2_T3_mT4_T5_T6_T7_T8_P12ihipStream_tbENKUlT_T0_E_clISt17integral_constantIbLb1EES10_IbLb0EEEEDaSW_SX_EUlSW_E_NS1_11comp_targetILNS1_3genE8ELNS1_11target_archE1030ELNS1_3gpuE2ELNS1_3repE0EEENS1_30default_config_static_selectorELNS0_4arch9wavefront6targetE0EEEvT1_
		.amdhsa_group_segment_fixed_size 0
		.amdhsa_private_segment_fixed_size 0
		.amdhsa_kernarg_size 136
		.amdhsa_user_sgpr_count 15
		.amdhsa_user_sgpr_dispatch_ptr 0
		.amdhsa_user_sgpr_queue_ptr 0
		.amdhsa_user_sgpr_kernarg_segment_ptr 1
		.amdhsa_user_sgpr_dispatch_id 0
		.amdhsa_user_sgpr_private_segment_size 0
		.amdhsa_wavefront_size32 1
		.amdhsa_uses_dynamic_stack 0
		.amdhsa_enable_private_segment 0
		.amdhsa_system_sgpr_workgroup_id_x 1
		.amdhsa_system_sgpr_workgroup_id_y 0
		.amdhsa_system_sgpr_workgroup_id_z 0
		.amdhsa_system_sgpr_workgroup_info 0
		.amdhsa_system_vgpr_workitem_id 0
		.amdhsa_next_free_vgpr 1
		.amdhsa_next_free_sgpr 1
		.amdhsa_reserve_vcc 0
		.amdhsa_float_round_mode_32 0
		.amdhsa_float_round_mode_16_64 0
		.amdhsa_float_denorm_mode_32 3
		.amdhsa_float_denorm_mode_16_64 3
		.amdhsa_dx10_clamp 1
		.amdhsa_ieee_mode 1
		.amdhsa_fp16_overflow 0
		.amdhsa_workgroup_processor_mode 1
		.amdhsa_memory_ordered 1
		.amdhsa_forward_progress 0
		.amdhsa_shared_vgpr_count 0
		.amdhsa_exception_fp_ieee_invalid_op 0
		.amdhsa_exception_fp_denorm_src 0
		.amdhsa_exception_fp_ieee_div_zero 0
		.amdhsa_exception_fp_ieee_overflow 0
		.amdhsa_exception_fp_ieee_underflow 0
		.amdhsa_exception_fp_ieee_inexact 0
		.amdhsa_exception_int_div_zero 0
	.end_amdhsa_kernel
	.section	.text._ZN7rocprim17ROCPRIM_400000_NS6detail17trampoline_kernelINS0_14default_configENS1_29reduce_by_key_config_selectorIyyN6thrust23THRUST_200600_302600_NS4plusIyEEEEZZNS1_33reduce_by_key_impl_wrapped_configILNS1_25lookback_scan_determinismE0ES3_S9_NS6_6detail15normal_iteratorINS6_10device_ptrIyEEEESG_SG_SG_PmS8_NS6_8equal_toIyEEEE10hipError_tPvRmT2_T3_mT4_T5_T6_T7_T8_P12ihipStream_tbENKUlT_T0_E_clISt17integral_constantIbLb1EES10_IbLb0EEEEDaSW_SX_EUlSW_E_NS1_11comp_targetILNS1_3genE8ELNS1_11target_archE1030ELNS1_3gpuE2ELNS1_3repE0EEENS1_30default_config_static_selectorELNS0_4arch9wavefront6targetE0EEEvT1_,"axG",@progbits,_ZN7rocprim17ROCPRIM_400000_NS6detail17trampoline_kernelINS0_14default_configENS1_29reduce_by_key_config_selectorIyyN6thrust23THRUST_200600_302600_NS4plusIyEEEEZZNS1_33reduce_by_key_impl_wrapped_configILNS1_25lookback_scan_determinismE0ES3_S9_NS6_6detail15normal_iteratorINS6_10device_ptrIyEEEESG_SG_SG_PmS8_NS6_8equal_toIyEEEE10hipError_tPvRmT2_T3_mT4_T5_T6_T7_T8_P12ihipStream_tbENKUlT_T0_E_clISt17integral_constantIbLb1EES10_IbLb0EEEEDaSW_SX_EUlSW_E_NS1_11comp_targetILNS1_3genE8ELNS1_11target_archE1030ELNS1_3gpuE2ELNS1_3repE0EEENS1_30default_config_static_selectorELNS0_4arch9wavefront6targetE0EEEvT1_,comdat
.Lfunc_end266:
	.size	_ZN7rocprim17ROCPRIM_400000_NS6detail17trampoline_kernelINS0_14default_configENS1_29reduce_by_key_config_selectorIyyN6thrust23THRUST_200600_302600_NS4plusIyEEEEZZNS1_33reduce_by_key_impl_wrapped_configILNS1_25lookback_scan_determinismE0ES3_S9_NS6_6detail15normal_iteratorINS6_10device_ptrIyEEEESG_SG_SG_PmS8_NS6_8equal_toIyEEEE10hipError_tPvRmT2_T3_mT4_T5_T6_T7_T8_P12ihipStream_tbENKUlT_T0_E_clISt17integral_constantIbLb1EES10_IbLb0EEEEDaSW_SX_EUlSW_E_NS1_11comp_targetILNS1_3genE8ELNS1_11target_archE1030ELNS1_3gpuE2ELNS1_3repE0EEENS1_30default_config_static_selectorELNS0_4arch9wavefront6targetE0EEEvT1_, .Lfunc_end266-_ZN7rocprim17ROCPRIM_400000_NS6detail17trampoline_kernelINS0_14default_configENS1_29reduce_by_key_config_selectorIyyN6thrust23THRUST_200600_302600_NS4plusIyEEEEZZNS1_33reduce_by_key_impl_wrapped_configILNS1_25lookback_scan_determinismE0ES3_S9_NS6_6detail15normal_iteratorINS6_10device_ptrIyEEEESG_SG_SG_PmS8_NS6_8equal_toIyEEEE10hipError_tPvRmT2_T3_mT4_T5_T6_T7_T8_P12ihipStream_tbENKUlT_T0_E_clISt17integral_constantIbLb1EES10_IbLb0EEEEDaSW_SX_EUlSW_E_NS1_11comp_targetILNS1_3genE8ELNS1_11target_archE1030ELNS1_3gpuE2ELNS1_3repE0EEENS1_30default_config_static_selectorELNS0_4arch9wavefront6targetE0EEEvT1_
                                        ; -- End function
	.section	.AMDGPU.csdata,"",@progbits
; Kernel info:
; codeLenInByte = 0
; NumSgprs: 0
; NumVgprs: 0
; ScratchSize: 0
; MemoryBound: 0
; FloatMode: 240
; IeeeMode: 1
; LDSByteSize: 0 bytes/workgroup (compile time only)
; SGPRBlocks: 0
; VGPRBlocks: 0
; NumSGPRsForWavesPerEU: 1
; NumVGPRsForWavesPerEU: 1
; Occupancy: 16
; WaveLimiterHint : 0
; COMPUTE_PGM_RSRC2:SCRATCH_EN: 0
; COMPUTE_PGM_RSRC2:USER_SGPR: 15
; COMPUTE_PGM_RSRC2:TRAP_HANDLER: 0
; COMPUTE_PGM_RSRC2:TGID_X_EN: 1
; COMPUTE_PGM_RSRC2:TGID_Y_EN: 0
; COMPUTE_PGM_RSRC2:TGID_Z_EN: 0
; COMPUTE_PGM_RSRC2:TIDIG_COMP_CNT: 0
	.section	.text._ZN7rocprim17ROCPRIM_400000_NS6detail25reduce_by_key_init_kernelINS1_19lookback_scan_stateINS0_5tupleIJjyEEELb0ELb0EEEyNS1_16block_id_wrapperIjLb1EEEEEvT_jbjPmPT0_T1_,"axG",@progbits,_ZN7rocprim17ROCPRIM_400000_NS6detail25reduce_by_key_init_kernelINS1_19lookback_scan_stateINS0_5tupleIJjyEEELb0ELb0EEEyNS1_16block_id_wrapperIjLb1EEEEEvT_jbjPmPT0_T1_,comdat
	.protected	_ZN7rocprim17ROCPRIM_400000_NS6detail25reduce_by_key_init_kernelINS1_19lookback_scan_stateINS0_5tupleIJjyEEELb0ELb0EEEyNS1_16block_id_wrapperIjLb1EEEEEvT_jbjPmPT0_T1_ ; -- Begin function _ZN7rocprim17ROCPRIM_400000_NS6detail25reduce_by_key_init_kernelINS1_19lookback_scan_stateINS0_5tupleIJjyEEELb0ELb0EEEyNS1_16block_id_wrapperIjLb1EEEEEvT_jbjPmPT0_T1_
	.globl	_ZN7rocprim17ROCPRIM_400000_NS6detail25reduce_by_key_init_kernelINS1_19lookback_scan_stateINS0_5tupleIJjyEEELb0ELb0EEEyNS1_16block_id_wrapperIjLb1EEEEEvT_jbjPmPT0_T1_
	.p2align	8
	.type	_ZN7rocprim17ROCPRIM_400000_NS6detail25reduce_by_key_init_kernelINS1_19lookback_scan_stateINS0_5tupleIJjyEEELb0ELb0EEEyNS1_16block_id_wrapperIjLb1EEEEEvT_jbjPmPT0_T1_,@function
_ZN7rocprim17ROCPRIM_400000_NS6detail25reduce_by_key_init_kernelINS1_19lookback_scan_stateINS0_5tupleIJjyEEELb0ELb0EEEyNS1_16block_id_wrapperIjLb1EEEEEvT_jbjPmPT0_T1_: ; @_ZN7rocprim17ROCPRIM_400000_NS6detail25reduce_by_key_init_kernelINS1_19lookback_scan_stateINS0_5tupleIJjyEEELb0ELb0EEEyNS1_16block_id_wrapperIjLb1EEEEEvT_jbjPmPT0_T1_
; %bb.0:
	s_clause 0x3
	s_load_b32 s2, s[0:1], 0x4c
	s_load_b256 s[4:11], s[0:1], 0x18
	s_load_b64 s[16:17], s[0:1], 0x38
	s_load_b64 s[12:13], s[0:1], 0x10
	s_waitcnt lgkmcnt(0)
	s_and_b32 s2, s2, 0xffff
	s_delay_alu instid0(SALU_CYCLE_1) | instskip(SKIP_1) | instid1(SALU_CYCLE_1)
	v_mad_u64_u32 v[1:2], null, s15, s2, v[0:1]
	s_and_b32 s2, s5, 1
	s_cmp_eq_u32 s2, 0
	s_mov_b32 s2, -1
	s_cbranch_scc0 .LBB267_7
; %bb.1:
	s_cmp_lt_u32 s6, s4
	s_mov_b32 s5, exec_lo
	s_cselect_b32 s2, s6, 0
	s_delay_alu instid0(SALU_CYCLE_1)
	v_cmpx_eq_u32_e64 s2, v1
	s_cbranch_execz .LBB267_6
; %bb.2:
	s_add_i32 s6, s6, 32
	s_load_b128 s[0:3], s[0:1], 0x0
	v_mov_b32_e32 v0, s6
	s_add_u32 s14, s12, s6
	s_addc_u32 s15, s13, 0
	s_mov_b32 s7, 0
	global_load_u8 v0, v0, s[12:13] glc
	s_waitcnt vmcnt(0)
	v_cmp_ne_u16_e32 vcc_lo, 0, v0
	v_readfirstlane_b32 s18, v0
	s_cbranch_vccnz .LBB267_5
; %bb.3:
	v_mov_b32_e32 v0, 0
.LBB267_4:                              ; =>This Inner Loop Header: Depth=1
	global_load_u8 v2, v0, s[14:15] glc
	s_waitcnt vmcnt(0)
	v_cmp_eq_u16_e32 vcc_lo, 0, v2
	v_readfirstlane_b32 s18, v2
	s_cbranch_vccnz .LBB267_4
.LBB267_5:
	s_delay_alu instid0(VALU_DEP_1)
	s_and_b32 s14, 0xffff, s18
	v_mov_b32_e32 v0, 0
	s_cmp_eq_u32 s14, 1
	s_waitcnt lgkmcnt(0)
	buffer_gl1_inv
	buffer_gl0_inv
	s_cselect_b32 s3, s1, s3
	s_cselect_b32 s2, s0, s2
	s_lshl_b64 s[0:1], s[6:7], 4
	s_delay_alu instid0(SALU_CYCLE_1)
	s_add_u32 s0, s2, s0
	s_addc_u32 s1, s3, s1
	s_clause 0x2
	global_load_b64 v[2:3], v0, s[8:9]
	global_load_b32 v6, v0, s[0:1]
	global_load_b64 v[4:5], v0, s[0:1] offset:8
	s_waitcnt vmcnt(1)
	v_add_co_u32 v2, vcc_lo, v2, v6
	v_add_co_ci_u32_e32 v3, vcc_lo, 0, v3, vcc_lo
	global_store_b64 v0, v[2:3], s[8:9]
	s_waitcnt vmcnt(0)
	global_store_b64 v0, v[4:5], s[10:11]
.LBB267_6:
	s_or_b32 exec_lo, exec_lo, s5
	s_mov_b32 s2, 0
.LBB267_7:
	s_delay_alu instid0(VALU_DEP_1)
	v_cmp_eq_u32_e64 s0, 0, v1
	s_and_not1_b32 vcc_lo, exec_lo, s2
	s_cbranch_vccnz .LBB267_11
; %bb.8:
	s_cmp_lg_u64 s[8:9], 0
	s_cselect_b32 s1, -1, 0
	s_delay_alu instid0(SALU_CYCLE_1) | instskip(NEXT) | instid1(SALU_CYCLE_1)
	s_and_b32 s1, s1, s0
	s_and_saveexec_b32 s0, s1
	s_cbranch_execz .LBB267_10
; %bb.9:
	v_mov_b32_e32 v2, 0
	s_delay_alu instid0(VALU_DEP_1)
	v_mov_b32_e32 v3, v2
	global_store_b64 v2, v[2:3], s[8:9]
.LBB267_10:
	s_or_b32 exec_lo, exec_lo, s0
.LBB267_11:
	s_delay_alu instid0(SALU_CYCLE_1)
	s_mov_b32 s0, exec_lo
	v_cmpx_eq_u32_e32 0, v1
	s_cbranch_execz .LBB267_13
; %bb.12:
	v_mov_b32_e32 v0, 0
	global_store_b32 v0, v0, s[16:17]
.LBB267_13:
	s_or_b32 exec_lo, exec_lo, s0
	s_delay_alu instid0(SALU_CYCLE_1)
	s_mov_b32 s0, exec_lo
	v_cmpx_gt_u32_e64 s4, v1
	s_cbranch_execz .LBB267_15
; %bb.14:
	v_add_nc_u32_e32 v0, 32, v1
	v_mov_b32_e32 v2, 0
	global_store_b8 v0, v2, s[12:13]
.LBB267_15:
	s_or_b32 exec_lo, exec_lo, s0
	s_delay_alu instid0(SALU_CYCLE_1)
	s_mov_b32 s0, exec_lo
	v_cmpx_gt_u32_e32 32, v1
	s_cbranch_execz .LBB267_17
; %bb.16:
	v_mov_b32_e32 v0, 0xff
	global_store_b8 v1, v0, s[12:13]
.LBB267_17:
	s_nop 0
	s_sendmsg sendmsg(MSG_DEALLOC_VGPRS)
	s_endpgm
	.section	.rodata,"a",@progbits
	.p2align	6, 0x0
	.amdhsa_kernel _ZN7rocprim17ROCPRIM_400000_NS6detail25reduce_by_key_init_kernelINS1_19lookback_scan_stateINS0_5tupleIJjyEEELb0ELb0EEEyNS1_16block_id_wrapperIjLb1EEEEEvT_jbjPmPT0_T1_
		.amdhsa_group_segment_fixed_size 0
		.amdhsa_private_segment_fixed_size 0
		.amdhsa_kernarg_size 320
		.amdhsa_user_sgpr_count 15
		.amdhsa_user_sgpr_dispatch_ptr 0
		.amdhsa_user_sgpr_queue_ptr 0
		.amdhsa_user_sgpr_kernarg_segment_ptr 1
		.amdhsa_user_sgpr_dispatch_id 0
		.amdhsa_user_sgpr_private_segment_size 0
		.amdhsa_wavefront_size32 1
		.amdhsa_uses_dynamic_stack 0
		.amdhsa_enable_private_segment 0
		.amdhsa_system_sgpr_workgroup_id_x 1
		.amdhsa_system_sgpr_workgroup_id_y 0
		.amdhsa_system_sgpr_workgroup_id_z 0
		.amdhsa_system_sgpr_workgroup_info 0
		.amdhsa_system_vgpr_workitem_id 0
		.amdhsa_next_free_vgpr 7
		.amdhsa_next_free_sgpr 19
		.amdhsa_reserve_vcc 1
		.amdhsa_float_round_mode_32 0
		.amdhsa_float_round_mode_16_64 0
		.amdhsa_float_denorm_mode_32 3
		.amdhsa_float_denorm_mode_16_64 3
		.amdhsa_dx10_clamp 1
		.amdhsa_ieee_mode 1
		.amdhsa_fp16_overflow 0
		.amdhsa_workgroup_processor_mode 1
		.amdhsa_memory_ordered 1
		.amdhsa_forward_progress 0
		.amdhsa_shared_vgpr_count 0
		.amdhsa_exception_fp_ieee_invalid_op 0
		.amdhsa_exception_fp_denorm_src 0
		.amdhsa_exception_fp_ieee_div_zero 0
		.amdhsa_exception_fp_ieee_overflow 0
		.amdhsa_exception_fp_ieee_underflow 0
		.amdhsa_exception_fp_ieee_inexact 0
		.amdhsa_exception_int_div_zero 0
	.end_amdhsa_kernel
	.section	.text._ZN7rocprim17ROCPRIM_400000_NS6detail25reduce_by_key_init_kernelINS1_19lookback_scan_stateINS0_5tupleIJjyEEELb0ELb0EEEyNS1_16block_id_wrapperIjLb1EEEEEvT_jbjPmPT0_T1_,"axG",@progbits,_ZN7rocprim17ROCPRIM_400000_NS6detail25reduce_by_key_init_kernelINS1_19lookback_scan_stateINS0_5tupleIJjyEEELb0ELb0EEEyNS1_16block_id_wrapperIjLb1EEEEEvT_jbjPmPT0_T1_,comdat
.Lfunc_end267:
	.size	_ZN7rocprim17ROCPRIM_400000_NS6detail25reduce_by_key_init_kernelINS1_19lookback_scan_stateINS0_5tupleIJjyEEELb0ELb0EEEyNS1_16block_id_wrapperIjLb1EEEEEvT_jbjPmPT0_T1_, .Lfunc_end267-_ZN7rocprim17ROCPRIM_400000_NS6detail25reduce_by_key_init_kernelINS1_19lookback_scan_stateINS0_5tupleIJjyEEELb0ELb0EEEyNS1_16block_id_wrapperIjLb1EEEEEvT_jbjPmPT0_T1_
                                        ; -- End function
	.section	.AMDGPU.csdata,"",@progbits
; Kernel info:
; codeLenInByte = 504
; NumSgprs: 21
; NumVgprs: 7
; ScratchSize: 0
; MemoryBound: 0
; FloatMode: 240
; IeeeMode: 1
; LDSByteSize: 0 bytes/workgroup (compile time only)
; SGPRBlocks: 2
; VGPRBlocks: 0
; NumSGPRsForWavesPerEU: 21
; NumVGPRsForWavesPerEU: 7
; Occupancy: 16
; WaveLimiterHint : 0
; COMPUTE_PGM_RSRC2:SCRATCH_EN: 0
; COMPUTE_PGM_RSRC2:USER_SGPR: 15
; COMPUTE_PGM_RSRC2:TRAP_HANDLER: 0
; COMPUTE_PGM_RSRC2:TGID_X_EN: 1
; COMPUTE_PGM_RSRC2:TGID_Y_EN: 0
; COMPUTE_PGM_RSRC2:TGID_Z_EN: 0
; COMPUTE_PGM_RSRC2:TIDIG_COMP_CNT: 0
	.section	.text._ZN7rocprim17ROCPRIM_400000_NS6detail17trampoline_kernelINS0_14default_configENS1_29reduce_by_key_config_selectorIyyN6thrust23THRUST_200600_302600_NS4plusIyEEEEZZNS1_33reduce_by_key_impl_wrapped_configILNS1_25lookback_scan_determinismE0ES3_S9_NS6_6detail15normal_iteratorINS6_10device_ptrIyEEEESG_SG_SG_PmS8_NS6_8equal_toIyEEEE10hipError_tPvRmT2_T3_mT4_T5_T6_T7_T8_P12ihipStream_tbENKUlT_T0_E_clISt17integral_constantIbLb0EES10_IbLb1EEEEDaSW_SX_EUlSW_E_NS1_11comp_targetILNS1_3genE0ELNS1_11target_archE4294967295ELNS1_3gpuE0ELNS1_3repE0EEENS1_30default_config_static_selectorELNS0_4arch9wavefront6targetE0EEEvT1_,"axG",@progbits,_ZN7rocprim17ROCPRIM_400000_NS6detail17trampoline_kernelINS0_14default_configENS1_29reduce_by_key_config_selectorIyyN6thrust23THRUST_200600_302600_NS4plusIyEEEEZZNS1_33reduce_by_key_impl_wrapped_configILNS1_25lookback_scan_determinismE0ES3_S9_NS6_6detail15normal_iteratorINS6_10device_ptrIyEEEESG_SG_SG_PmS8_NS6_8equal_toIyEEEE10hipError_tPvRmT2_T3_mT4_T5_T6_T7_T8_P12ihipStream_tbENKUlT_T0_E_clISt17integral_constantIbLb0EES10_IbLb1EEEEDaSW_SX_EUlSW_E_NS1_11comp_targetILNS1_3genE0ELNS1_11target_archE4294967295ELNS1_3gpuE0ELNS1_3repE0EEENS1_30default_config_static_selectorELNS0_4arch9wavefront6targetE0EEEvT1_,comdat
	.protected	_ZN7rocprim17ROCPRIM_400000_NS6detail17trampoline_kernelINS0_14default_configENS1_29reduce_by_key_config_selectorIyyN6thrust23THRUST_200600_302600_NS4plusIyEEEEZZNS1_33reduce_by_key_impl_wrapped_configILNS1_25lookback_scan_determinismE0ES3_S9_NS6_6detail15normal_iteratorINS6_10device_ptrIyEEEESG_SG_SG_PmS8_NS6_8equal_toIyEEEE10hipError_tPvRmT2_T3_mT4_T5_T6_T7_T8_P12ihipStream_tbENKUlT_T0_E_clISt17integral_constantIbLb0EES10_IbLb1EEEEDaSW_SX_EUlSW_E_NS1_11comp_targetILNS1_3genE0ELNS1_11target_archE4294967295ELNS1_3gpuE0ELNS1_3repE0EEENS1_30default_config_static_selectorELNS0_4arch9wavefront6targetE0EEEvT1_ ; -- Begin function _ZN7rocprim17ROCPRIM_400000_NS6detail17trampoline_kernelINS0_14default_configENS1_29reduce_by_key_config_selectorIyyN6thrust23THRUST_200600_302600_NS4plusIyEEEEZZNS1_33reduce_by_key_impl_wrapped_configILNS1_25lookback_scan_determinismE0ES3_S9_NS6_6detail15normal_iteratorINS6_10device_ptrIyEEEESG_SG_SG_PmS8_NS6_8equal_toIyEEEE10hipError_tPvRmT2_T3_mT4_T5_T6_T7_T8_P12ihipStream_tbENKUlT_T0_E_clISt17integral_constantIbLb0EES10_IbLb1EEEEDaSW_SX_EUlSW_E_NS1_11comp_targetILNS1_3genE0ELNS1_11target_archE4294967295ELNS1_3gpuE0ELNS1_3repE0EEENS1_30default_config_static_selectorELNS0_4arch9wavefront6targetE0EEEvT1_
	.globl	_ZN7rocprim17ROCPRIM_400000_NS6detail17trampoline_kernelINS0_14default_configENS1_29reduce_by_key_config_selectorIyyN6thrust23THRUST_200600_302600_NS4plusIyEEEEZZNS1_33reduce_by_key_impl_wrapped_configILNS1_25lookback_scan_determinismE0ES3_S9_NS6_6detail15normal_iteratorINS6_10device_ptrIyEEEESG_SG_SG_PmS8_NS6_8equal_toIyEEEE10hipError_tPvRmT2_T3_mT4_T5_T6_T7_T8_P12ihipStream_tbENKUlT_T0_E_clISt17integral_constantIbLb0EES10_IbLb1EEEEDaSW_SX_EUlSW_E_NS1_11comp_targetILNS1_3genE0ELNS1_11target_archE4294967295ELNS1_3gpuE0ELNS1_3repE0EEENS1_30default_config_static_selectorELNS0_4arch9wavefront6targetE0EEEvT1_
	.p2align	8
	.type	_ZN7rocprim17ROCPRIM_400000_NS6detail17trampoline_kernelINS0_14default_configENS1_29reduce_by_key_config_selectorIyyN6thrust23THRUST_200600_302600_NS4plusIyEEEEZZNS1_33reduce_by_key_impl_wrapped_configILNS1_25lookback_scan_determinismE0ES3_S9_NS6_6detail15normal_iteratorINS6_10device_ptrIyEEEESG_SG_SG_PmS8_NS6_8equal_toIyEEEE10hipError_tPvRmT2_T3_mT4_T5_T6_T7_T8_P12ihipStream_tbENKUlT_T0_E_clISt17integral_constantIbLb0EES10_IbLb1EEEEDaSW_SX_EUlSW_E_NS1_11comp_targetILNS1_3genE0ELNS1_11target_archE4294967295ELNS1_3gpuE0ELNS1_3repE0EEENS1_30default_config_static_selectorELNS0_4arch9wavefront6targetE0EEEvT1_,@function
_ZN7rocprim17ROCPRIM_400000_NS6detail17trampoline_kernelINS0_14default_configENS1_29reduce_by_key_config_selectorIyyN6thrust23THRUST_200600_302600_NS4plusIyEEEEZZNS1_33reduce_by_key_impl_wrapped_configILNS1_25lookback_scan_determinismE0ES3_S9_NS6_6detail15normal_iteratorINS6_10device_ptrIyEEEESG_SG_SG_PmS8_NS6_8equal_toIyEEEE10hipError_tPvRmT2_T3_mT4_T5_T6_T7_T8_P12ihipStream_tbENKUlT_T0_E_clISt17integral_constantIbLb0EES10_IbLb1EEEEDaSW_SX_EUlSW_E_NS1_11comp_targetILNS1_3genE0ELNS1_11target_archE4294967295ELNS1_3gpuE0ELNS1_3repE0EEENS1_30default_config_static_selectorELNS0_4arch9wavefront6targetE0EEEvT1_: ; @_ZN7rocprim17ROCPRIM_400000_NS6detail17trampoline_kernelINS0_14default_configENS1_29reduce_by_key_config_selectorIyyN6thrust23THRUST_200600_302600_NS4plusIyEEEEZZNS1_33reduce_by_key_impl_wrapped_configILNS1_25lookback_scan_determinismE0ES3_S9_NS6_6detail15normal_iteratorINS6_10device_ptrIyEEEESG_SG_SG_PmS8_NS6_8equal_toIyEEEE10hipError_tPvRmT2_T3_mT4_T5_T6_T7_T8_P12ihipStream_tbENKUlT_T0_E_clISt17integral_constantIbLb0EES10_IbLb1EEEEDaSW_SX_EUlSW_E_NS1_11comp_targetILNS1_3genE0ELNS1_11target_archE4294967295ELNS1_3gpuE0ELNS1_3repE0EEENS1_30default_config_static_selectorELNS0_4arch9wavefront6targetE0EEEvT1_
; %bb.0:
	.section	.rodata,"a",@progbits
	.p2align	6, 0x0
	.amdhsa_kernel _ZN7rocprim17ROCPRIM_400000_NS6detail17trampoline_kernelINS0_14default_configENS1_29reduce_by_key_config_selectorIyyN6thrust23THRUST_200600_302600_NS4plusIyEEEEZZNS1_33reduce_by_key_impl_wrapped_configILNS1_25lookback_scan_determinismE0ES3_S9_NS6_6detail15normal_iteratorINS6_10device_ptrIyEEEESG_SG_SG_PmS8_NS6_8equal_toIyEEEE10hipError_tPvRmT2_T3_mT4_T5_T6_T7_T8_P12ihipStream_tbENKUlT_T0_E_clISt17integral_constantIbLb0EES10_IbLb1EEEEDaSW_SX_EUlSW_E_NS1_11comp_targetILNS1_3genE0ELNS1_11target_archE4294967295ELNS1_3gpuE0ELNS1_3repE0EEENS1_30default_config_static_selectorELNS0_4arch9wavefront6targetE0EEEvT1_
		.amdhsa_group_segment_fixed_size 0
		.amdhsa_private_segment_fixed_size 0
		.amdhsa_kernarg_size 136
		.amdhsa_user_sgpr_count 15
		.amdhsa_user_sgpr_dispatch_ptr 0
		.amdhsa_user_sgpr_queue_ptr 0
		.amdhsa_user_sgpr_kernarg_segment_ptr 1
		.amdhsa_user_sgpr_dispatch_id 0
		.amdhsa_user_sgpr_private_segment_size 0
		.amdhsa_wavefront_size32 1
		.amdhsa_uses_dynamic_stack 0
		.amdhsa_enable_private_segment 0
		.amdhsa_system_sgpr_workgroup_id_x 1
		.amdhsa_system_sgpr_workgroup_id_y 0
		.amdhsa_system_sgpr_workgroup_id_z 0
		.amdhsa_system_sgpr_workgroup_info 0
		.amdhsa_system_vgpr_workitem_id 0
		.amdhsa_next_free_vgpr 1
		.amdhsa_next_free_sgpr 1
		.amdhsa_reserve_vcc 0
		.amdhsa_float_round_mode_32 0
		.amdhsa_float_round_mode_16_64 0
		.amdhsa_float_denorm_mode_32 3
		.amdhsa_float_denorm_mode_16_64 3
		.amdhsa_dx10_clamp 1
		.amdhsa_ieee_mode 1
		.amdhsa_fp16_overflow 0
		.amdhsa_workgroup_processor_mode 1
		.amdhsa_memory_ordered 1
		.amdhsa_forward_progress 0
		.amdhsa_shared_vgpr_count 0
		.amdhsa_exception_fp_ieee_invalid_op 0
		.amdhsa_exception_fp_denorm_src 0
		.amdhsa_exception_fp_ieee_div_zero 0
		.amdhsa_exception_fp_ieee_overflow 0
		.amdhsa_exception_fp_ieee_underflow 0
		.amdhsa_exception_fp_ieee_inexact 0
		.amdhsa_exception_int_div_zero 0
	.end_amdhsa_kernel
	.section	.text._ZN7rocprim17ROCPRIM_400000_NS6detail17trampoline_kernelINS0_14default_configENS1_29reduce_by_key_config_selectorIyyN6thrust23THRUST_200600_302600_NS4plusIyEEEEZZNS1_33reduce_by_key_impl_wrapped_configILNS1_25lookback_scan_determinismE0ES3_S9_NS6_6detail15normal_iteratorINS6_10device_ptrIyEEEESG_SG_SG_PmS8_NS6_8equal_toIyEEEE10hipError_tPvRmT2_T3_mT4_T5_T6_T7_T8_P12ihipStream_tbENKUlT_T0_E_clISt17integral_constantIbLb0EES10_IbLb1EEEEDaSW_SX_EUlSW_E_NS1_11comp_targetILNS1_3genE0ELNS1_11target_archE4294967295ELNS1_3gpuE0ELNS1_3repE0EEENS1_30default_config_static_selectorELNS0_4arch9wavefront6targetE0EEEvT1_,"axG",@progbits,_ZN7rocprim17ROCPRIM_400000_NS6detail17trampoline_kernelINS0_14default_configENS1_29reduce_by_key_config_selectorIyyN6thrust23THRUST_200600_302600_NS4plusIyEEEEZZNS1_33reduce_by_key_impl_wrapped_configILNS1_25lookback_scan_determinismE0ES3_S9_NS6_6detail15normal_iteratorINS6_10device_ptrIyEEEESG_SG_SG_PmS8_NS6_8equal_toIyEEEE10hipError_tPvRmT2_T3_mT4_T5_T6_T7_T8_P12ihipStream_tbENKUlT_T0_E_clISt17integral_constantIbLb0EES10_IbLb1EEEEDaSW_SX_EUlSW_E_NS1_11comp_targetILNS1_3genE0ELNS1_11target_archE4294967295ELNS1_3gpuE0ELNS1_3repE0EEENS1_30default_config_static_selectorELNS0_4arch9wavefront6targetE0EEEvT1_,comdat
.Lfunc_end268:
	.size	_ZN7rocprim17ROCPRIM_400000_NS6detail17trampoline_kernelINS0_14default_configENS1_29reduce_by_key_config_selectorIyyN6thrust23THRUST_200600_302600_NS4plusIyEEEEZZNS1_33reduce_by_key_impl_wrapped_configILNS1_25lookback_scan_determinismE0ES3_S9_NS6_6detail15normal_iteratorINS6_10device_ptrIyEEEESG_SG_SG_PmS8_NS6_8equal_toIyEEEE10hipError_tPvRmT2_T3_mT4_T5_T6_T7_T8_P12ihipStream_tbENKUlT_T0_E_clISt17integral_constantIbLb0EES10_IbLb1EEEEDaSW_SX_EUlSW_E_NS1_11comp_targetILNS1_3genE0ELNS1_11target_archE4294967295ELNS1_3gpuE0ELNS1_3repE0EEENS1_30default_config_static_selectorELNS0_4arch9wavefront6targetE0EEEvT1_, .Lfunc_end268-_ZN7rocprim17ROCPRIM_400000_NS6detail17trampoline_kernelINS0_14default_configENS1_29reduce_by_key_config_selectorIyyN6thrust23THRUST_200600_302600_NS4plusIyEEEEZZNS1_33reduce_by_key_impl_wrapped_configILNS1_25lookback_scan_determinismE0ES3_S9_NS6_6detail15normal_iteratorINS6_10device_ptrIyEEEESG_SG_SG_PmS8_NS6_8equal_toIyEEEE10hipError_tPvRmT2_T3_mT4_T5_T6_T7_T8_P12ihipStream_tbENKUlT_T0_E_clISt17integral_constantIbLb0EES10_IbLb1EEEEDaSW_SX_EUlSW_E_NS1_11comp_targetILNS1_3genE0ELNS1_11target_archE4294967295ELNS1_3gpuE0ELNS1_3repE0EEENS1_30default_config_static_selectorELNS0_4arch9wavefront6targetE0EEEvT1_
                                        ; -- End function
	.section	.AMDGPU.csdata,"",@progbits
; Kernel info:
; codeLenInByte = 0
; NumSgprs: 0
; NumVgprs: 0
; ScratchSize: 0
; MemoryBound: 0
; FloatMode: 240
; IeeeMode: 1
; LDSByteSize: 0 bytes/workgroup (compile time only)
; SGPRBlocks: 0
; VGPRBlocks: 0
; NumSGPRsForWavesPerEU: 1
; NumVGPRsForWavesPerEU: 1
; Occupancy: 16
; WaveLimiterHint : 0
; COMPUTE_PGM_RSRC2:SCRATCH_EN: 0
; COMPUTE_PGM_RSRC2:USER_SGPR: 15
; COMPUTE_PGM_RSRC2:TRAP_HANDLER: 0
; COMPUTE_PGM_RSRC2:TGID_X_EN: 1
; COMPUTE_PGM_RSRC2:TGID_Y_EN: 0
; COMPUTE_PGM_RSRC2:TGID_Z_EN: 0
; COMPUTE_PGM_RSRC2:TIDIG_COMP_CNT: 0
	.section	.text._ZN7rocprim17ROCPRIM_400000_NS6detail17trampoline_kernelINS0_14default_configENS1_29reduce_by_key_config_selectorIyyN6thrust23THRUST_200600_302600_NS4plusIyEEEEZZNS1_33reduce_by_key_impl_wrapped_configILNS1_25lookback_scan_determinismE0ES3_S9_NS6_6detail15normal_iteratorINS6_10device_ptrIyEEEESG_SG_SG_PmS8_NS6_8equal_toIyEEEE10hipError_tPvRmT2_T3_mT4_T5_T6_T7_T8_P12ihipStream_tbENKUlT_T0_E_clISt17integral_constantIbLb0EES10_IbLb1EEEEDaSW_SX_EUlSW_E_NS1_11comp_targetILNS1_3genE5ELNS1_11target_archE942ELNS1_3gpuE9ELNS1_3repE0EEENS1_30default_config_static_selectorELNS0_4arch9wavefront6targetE0EEEvT1_,"axG",@progbits,_ZN7rocprim17ROCPRIM_400000_NS6detail17trampoline_kernelINS0_14default_configENS1_29reduce_by_key_config_selectorIyyN6thrust23THRUST_200600_302600_NS4plusIyEEEEZZNS1_33reduce_by_key_impl_wrapped_configILNS1_25lookback_scan_determinismE0ES3_S9_NS6_6detail15normal_iteratorINS6_10device_ptrIyEEEESG_SG_SG_PmS8_NS6_8equal_toIyEEEE10hipError_tPvRmT2_T3_mT4_T5_T6_T7_T8_P12ihipStream_tbENKUlT_T0_E_clISt17integral_constantIbLb0EES10_IbLb1EEEEDaSW_SX_EUlSW_E_NS1_11comp_targetILNS1_3genE5ELNS1_11target_archE942ELNS1_3gpuE9ELNS1_3repE0EEENS1_30default_config_static_selectorELNS0_4arch9wavefront6targetE0EEEvT1_,comdat
	.protected	_ZN7rocprim17ROCPRIM_400000_NS6detail17trampoline_kernelINS0_14default_configENS1_29reduce_by_key_config_selectorIyyN6thrust23THRUST_200600_302600_NS4plusIyEEEEZZNS1_33reduce_by_key_impl_wrapped_configILNS1_25lookback_scan_determinismE0ES3_S9_NS6_6detail15normal_iteratorINS6_10device_ptrIyEEEESG_SG_SG_PmS8_NS6_8equal_toIyEEEE10hipError_tPvRmT2_T3_mT4_T5_T6_T7_T8_P12ihipStream_tbENKUlT_T0_E_clISt17integral_constantIbLb0EES10_IbLb1EEEEDaSW_SX_EUlSW_E_NS1_11comp_targetILNS1_3genE5ELNS1_11target_archE942ELNS1_3gpuE9ELNS1_3repE0EEENS1_30default_config_static_selectorELNS0_4arch9wavefront6targetE0EEEvT1_ ; -- Begin function _ZN7rocprim17ROCPRIM_400000_NS6detail17trampoline_kernelINS0_14default_configENS1_29reduce_by_key_config_selectorIyyN6thrust23THRUST_200600_302600_NS4plusIyEEEEZZNS1_33reduce_by_key_impl_wrapped_configILNS1_25lookback_scan_determinismE0ES3_S9_NS6_6detail15normal_iteratorINS6_10device_ptrIyEEEESG_SG_SG_PmS8_NS6_8equal_toIyEEEE10hipError_tPvRmT2_T3_mT4_T5_T6_T7_T8_P12ihipStream_tbENKUlT_T0_E_clISt17integral_constantIbLb0EES10_IbLb1EEEEDaSW_SX_EUlSW_E_NS1_11comp_targetILNS1_3genE5ELNS1_11target_archE942ELNS1_3gpuE9ELNS1_3repE0EEENS1_30default_config_static_selectorELNS0_4arch9wavefront6targetE0EEEvT1_
	.globl	_ZN7rocprim17ROCPRIM_400000_NS6detail17trampoline_kernelINS0_14default_configENS1_29reduce_by_key_config_selectorIyyN6thrust23THRUST_200600_302600_NS4plusIyEEEEZZNS1_33reduce_by_key_impl_wrapped_configILNS1_25lookback_scan_determinismE0ES3_S9_NS6_6detail15normal_iteratorINS6_10device_ptrIyEEEESG_SG_SG_PmS8_NS6_8equal_toIyEEEE10hipError_tPvRmT2_T3_mT4_T5_T6_T7_T8_P12ihipStream_tbENKUlT_T0_E_clISt17integral_constantIbLb0EES10_IbLb1EEEEDaSW_SX_EUlSW_E_NS1_11comp_targetILNS1_3genE5ELNS1_11target_archE942ELNS1_3gpuE9ELNS1_3repE0EEENS1_30default_config_static_selectorELNS0_4arch9wavefront6targetE0EEEvT1_
	.p2align	8
	.type	_ZN7rocprim17ROCPRIM_400000_NS6detail17trampoline_kernelINS0_14default_configENS1_29reduce_by_key_config_selectorIyyN6thrust23THRUST_200600_302600_NS4plusIyEEEEZZNS1_33reduce_by_key_impl_wrapped_configILNS1_25lookback_scan_determinismE0ES3_S9_NS6_6detail15normal_iteratorINS6_10device_ptrIyEEEESG_SG_SG_PmS8_NS6_8equal_toIyEEEE10hipError_tPvRmT2_T3_mT4_T5_T6_T7_T8_P12ihipStream_tbENKUlT_T0_E_clISt17integral_constantIbLb0EES10_IbLb1EEEEDaSW_SX_EUlSW_E_NS1_11comp_targetILNS1_3genE5ELNS1_11target_archE942ELNS1_3gpuE9ELNS1_3repE0EEENS1_30default_config_static_selectorELNS0_4arch9wavefront6targetE0EEEvT1_,@function
_ZN7rocprim17ROCPRIM_400000_NS6detail17trampoline_kernelINS0_14default_configENS1_29reduce_by_key_config_selectorIyyN6thrust23THRUST_200600_302600_NS4plusIyEEEEZZNS1_33reduce_by_key_impl_wrapped_configILNS1_25lookback_scan_determinismE0ES3_S9_NS6_6detail15normal_iteratorINS6_10device_ptrIyEEEESG_SG_SG_PmS8_NS6_8equal_toIyEEEE10hipError_tPvRmT2_T3_mT4_T5_T6_T7_T8_P12ihipStream_tbENKUlT_T0_E_clISt17integral_constantIbLb0EES10_IbLb1EEEEDaSW_SX_EUlSW_E_NS1_11comp_targetILNS1_3genE5ELNS1_11target_archE942ELNS1_3gpuE9ELNS1_3repE0EEENS1_30default_config_static_selectorELNS0_4arch9wavefront6targetE0EEEvT1_: ; @_ZN7rocprim17ROCPRIM_400000_NS6detail17trampoline_kernelINS0_14default_configENS1_29reduce_by_key_config_selectorIyyN6thrust23THRUST_200600_302600_NS4plusIyEEEEZZNS1_33reduce_by_key_impl_wrapped_configILNS1_25lookback_scan_determinismE0ES3_S9_NS6_6detail15normal_iteratorINS6_10device_ptrIyEEEESG_SG_SG_PmS8_NS6_8equal_toIyEEEE10hipError_tPvRmT2_T3_mT4_T5_T6_T7_T8_P12ihipStream_tbENKUlT_T0_E_clISt17integral_constantIbLb0EES10_IbLb1EEEEDaSW_SX_EUlSW_E_NS1_11comp_targetILNS1_3genE5ELNS1_11target_archE942ELNS1_3gpuE9ELNS1_3repE0EEENS1_30default_config_static_selectorELNS0_4arch9wavefront6targetE0EEEvT1_
; %bb.0:
	.section	.rodata,"a",@progbits
	.p2align	6, 0x0
	.amdhsa_kernel _ZN7rocprim17ROCPRIM_400000_NS6detail17trampoline_kernelINS0_14default_configENS1_29reduce_by_key_config_selectorIyyN6thrust23THRUST_200600_302600_NS4plusIyEEEEZZNS1_33reduce_by_key_impl_wrapped_configILNS1_25lookback_scan_determinismE0ES3_S9_NS6_6detail15normal_iteratorINS6_10device_ptrIyEEEESG_SG_SG_PmS8_NS6_8equal_toIyEEEE10hipError_tPvRmT2_T3_mT4_T5_T6_T7_T8_P12ihipStream_tbENKUlT_T0_E_clISt17integral_constantIbLb0EES10_IbLb1EEEEDaSW_SX_EUlSW_E_NS1_11comp_targetILNS1_3genE5ELNS1_11target_archE942ELNS1_3gpuE9ELNS1_3repE0EEENS1_30default_config_static_selectorELNS0_4arch9wavefront6targetE0EEEvT1_
		.amdhsa_group_segment_fixed_size 0
		.amdhsa_private_segment_fixed_size 0
		.amdhsa_kernarg_size 136
		.amdhsa_user_sgpr_count 15
		.amdhsa_user_sgpr_dispatch_ptr 0
		.amdhsa_user_sgpr_queue_ptr 0
		.amdhsa_user_sgpr_kernarg_segment_ptr 1
		.amdhsa_user_sgpr_dispatch_id 0
		.amdhsa_user_sgpr_private_segment_size 0
		.amdhsa_wavefront_size32 1
		.amdhsa_uses_dynamic_stack 0
		.amdhsa_enable_private_segment 0
		.amdhsa_system_sgpr_workgroup_id_x 1
		.amdhsa_system_sgpr_workgroup_id_y 0
		.amdhsa_system_sgpr_workgroup_id_z 0
		.amdhsa_system_sgpr_workgroup_info 0
		.amdhsa_system_vgpr_workitem_id 0
		.amdhsa_next_free_vgpr 1
		.amdhsa_next_free_sgpr 1
		.amdhsa_reserve_vcc 0
		.amdhsa_float_round_mode_32 0
		.amdhsa_float_round_mode_16_64 0
		.amdhsa_float_denorm_mode_32 3
		.amdhsa_float_denorm_mode_16_64 3
		.amdhsa_dx10_clamp 1
		.amdhsa_ieee_mode 1
		.amdhsa_fp16_overflow 0
		.amdhsa_workgroup_processor_mode 1
		.amdhsa_memory_ordered 1
		.amdhsa_forward_progress 0
		.amdhsa_shared_vgpr_count 0
		.amdhsa_exception_fp_ieee_invalid_op 0
		.amdhsa_exception_fp_denorm_src 0
		.amdhsa_exception_fp_ieee_div_zero 0
		.amdhsa_exception_fp_ieee_overflow 0
		.amdhsa_exception_fp_ieee_underflow 0
		.amdhsa_exception_fp_ieee_inexact 0
		.amdhsa_exception_int_div_zero 0
	.end_amdhsa_kernel
	.section	.text._ZN7rocprim17ROCPRIM_400000_NS6detail17trampoline_kernelINS0_14default_configENS1_29reduce_by_key_config_selectorIyyN6thrust23THRUST_200600_302600_NS4plusIyEEEEZZNS1_33reduce_by_key_impl_wrapped_configILNS1_25lookback_scan_determinismE0ES3_S9_NS6_6detail15normal_iteratorINS6_10device_ptrIyEEEESG_SG_SG_PmS8_NS6_8equal_toIyEEEE10hipError_tPvRmT2_T3_mT4_T5_T6_T7_T8_P12ihipStream_tbENKUlT_T0_E_clISt17integral_constantIbLb0EES10_IbLb1EEEEDaSW_SX_EUlSW_E_NS1_11comp_targetILNS1_3genE5ELNS1_11target_archE942ELNS1_3gpuE9ELNS1_3repE0EEENS1_30default_config_static_selectorELNS0_4arch9wavefront6targetE0EEEvT1_,"axG",@progbits,_ZN7rocprim17ROCPRIM_400000_NS6detail17trampoline_kernelINS0_14default_configENS1_29reduce_by_key_config_selectorIyyN6thrust23THRUST_200600_302600_NS4plusIyEEEEZZNS1_33reduce_by_key_impl_wrapped_configILNS1_25lookback_scan_determinismE0ES3_S9_NS6_6detail15normal_iteratorINS6_10device_ptrIyEEEESG_SG_SG_PmS8_NS6_8equal_toIyEEEE10hipError_tPvRmT2_T3_mT4_T5_T6_T7_T8_P12ihipStream_tbENKUlT_T0_E_clISt17integral_constantIbLb0EES10_IbLb1EEEEDaSW_SX_EUlSW_E_NS1_11comp_targetILNS1_3genE5ELNS1_11target_archE942ELNS1_3gpuE9ELNS1_3repE0EEENS1_30default_config_static_selectorELNS0_4arch9wavefront6targetE0EEEvT1_,comdat
.Lfunc_end269:
	.size	_ZN7rocprim17ROCPRIM_400000_NS6detail17trampoline_kernelINS0_14default_configENS1_29reduce_by_key_config_selectorIyyN6thrust23THRUST_200600_302600_NS4plusIyEEEEZZNS1_33reduce_by_key_impl_wrapped_configILNS1_25lookback_scan_determinismE0ES3_S9_NS6_6detail15normal_iteratorINS6_10device_ptrIyEEEESG_SG_SG_PmS8_NS6_8equal_toIyEEEE10hipError_tPvRmT2_T3_mT4_T5_T6_T7_T8_P12ihipStream_tbENKUlT_T0_E_clISt17integral_constantIbLb0EES10_IbLb1EEEEDaSW_SX_EUlSW_E_NS1_11comp_targetILNS1_3genE5ELNS1_11target_archE942ELNS1_3gpuE9ELNS1_3repE0EEENS1_30default_config_static_selectorELNS0_4arch9wavefront6targetE0EEEvT1_, .Lfunc_end269-_ZN7rocprim17ROCPRIM_400000_NS6detail17trampoline_kernelINS0_14default_configENS1_29reduce_by_key_config_selectorIyyN6thrust23THRUST_200600_302600_NS4plusIyEEEEZZNS1_33reduce_by_key_impl_wrapped_configILNS1_25lookback_scan_determinismE0ES3_S9_NS6_6detail15normal_iteratorINS6_10device_ptrIyEEEESG_SG_SG_PmS8_NS6_8equal_toIyEEEE10hipError_tPvRmT2_T3_mT4_T5_T6_T7_T8_P12ihipStream_tbENKUlT_T0_E_clISt17integral_constantIbLb0EES10_IbLb1EEEEDaSW_SX_EUlSW_E_NS1_11comp_targetILNS1_3genE5ELNS1_11target_archE942ELNS1_3gpuE9ELNS1_3repE0EEENS1_30default_config_static_selectorELNS0_4arch9wavefront6targetE0EEEvT1_
                                        ; -- End function
	.section	.AMDGPU.csdata,"",@progbits
; Kernel info:
; codeLenInByte = 0
; NumSgprs: 0
; NumVgprs: 0
; ScratchSize: 0
; MemoryBound: 0
; FloatMode: 240
; IeeeMode: 1
; LDSByteSize: 0 bytes/workgroup (compile time only)
; SGPRBlocks: 0
; VGPRBlocks: 0
; NumSGPRsForWavesPerEU: 1
; NumVGPRsForWavesPerEU: 1
; Occupancy: 16
; WaveLimiterHint : 0
; COMPUTE_PGM_RSRC2:SCRATCH_EN: 0
; COMPUTE_PGM_RSRC2:USER_SGPR: 15
; COMPUTE_PGM_RSRC2:TRAP_HANDLER: 0
; COMPUTE_PGM_RSRC2:TGID_X_EN: 1
; COMPUTE_PGM_RSRC2:TGID_Y_EN: 0
; COMPUTE_PGM_RSRC2:TGID_Z_EN: 0
; COMPUTE_PGM_RSRC2:TIDIG_COMP_CNT: 0
	.section	.text._ZN7rocprim17ROCPRIM_400000_NS6detail17trampoline_kernelINS0_14default_configENS1_29reduce_by_key_config_selectorIyyN6thrust23THRUST_200600_302600_NS4plusIyEEEEZZNS1_33reduce_by_key_impl_wrapped_configILNS1_25lookback_scan_determinismE0ES3_S9_NS6_6detail15normal_iteratorINS6_10device_ptrIyEEEESG_SG_SG_PmS8_NS6_8equal_toIyEEEE10hipError_tPvRmT2_T3_mT4_T5_T6_T7_T8_P12ihipStream_tbENKUlT_T0_E_clISt17integral_constantIbLb0EES10_IbLb1EEEEDaSW_SX_EUlSW_E_NS1_11comp_targetILNS1_3genE4ELNS1_11target_archE910ELNS1_3gpuE8ELNS1_3repE0EEENS1_30default_config_static_selectorELNS0_4arch9wavefront6targetE0EEEvT1_,"axG",@progbits,_ZN7rocprim17ROCPRIM_400000_NS6detail17trampoline_kernelINS0_14default_configENS1_29reduce_by_key_config_selectorIyyN6thrust23THRUST_200600_302600_NS4plusIyEEEEZZNS1_33reduce_by_key_impl_wrapped_configILNS1_25lookback_scan_determinismE0ES3_S9_NS6_6detail15normal_iteratorINS6_10device_ptrIyEEEESG_SG_SG_PmS8_NS6_8equal_toIyEEEE10hipError_tPvRmT2_T3_mT4_T5_T6_T7_T8_P12ihipStream_tbENKUlT_T0_E_clISt17integral_constantIbLb0EES10_IbLb1EEEEDaSW_SX_EUlSW_E_NS1_11comp_targetILNS1_3genE4ELNS1_11target_archE910ELNS1_3gpuE8ELNS1_3repE0EEENS1_30default_config_static_selectorELNS0_4arch9wavefront6targetE0EEEvT1_,comdat
	.protected	_ZN7rocprim17ROCPRIM_400000_NS6detail17trampoline_kernelINS0_14default_configENS1_29reduce_by_key_config_selectorIyyN6thrust23THRUST_200600_302600_NS4plusIyEEEEZZNS1_33reduce_by_key_impl_wrapped_configILNS1_25lookback_scan_determinismE0ES3_S9_NS6_6detail15normal_iteratorINS6_10device_ptrIyEEEESG_SG_SG_PmS8_NS6_8equal_toIyEEEE10hipError_tPvRmT2_T3_mT4_T5_T6_T7_T8_P12ihipStream_tbENKUlT_T0_E_clISt17integral_constantIbLb0EES10_IbLb1EEEEDaSW_SX_EUlSW_E_NS1_11comp_targetILNS1_3genE4ELNS1_11target_archE910ELNS1_3gpuE8ELNS1_3repE0EEENS1_30default_config_static_selectorELNS0_4arch9wavefront6targetE0EEEvT1_ ; -- Begin function _ZN7rocprim17ROCPRIM_400000_NS6detail17trampoline_kernelINS0_14default_configENS1_29reduce_by_key_config_selectorIyyN6thrust23THRUST_200600_302600_NS4plusIyEEEEZZNS1_33reduce_by_key_impl_wrapped_configILNS1_25lookback_scan_determinismE0ES3_S9_NS6_6detail15normal_iteratorINS6_10device_ptrIyEEEESG_SG_SG_PmS8_NS6_8equal_toIyEEEE10hipError_tPvRmT2_T3_mT4_T5_T6_T7_T8_P12ihipStream_tbENKUlT_T0_E_clISt17integral_constantIbLb0EES10_IbLb1EEEEDaSW_SX_EUlSW_E_NS1_11comp_targetILNS1_3genE4ELNS1_11target_archE910ELNS1_3gpuE8ELNS1_3repE0EEENS1_30default_config_static_selectorELNS0_4arch9wavefront6targetE0EEEvT1_
	.globl	_ZN7rocprim17ROCPRIM_400000_NS6detail17trampoline_kernelINS0_14default_configENS1_29reduce_by_key_config_selectorIyyN6thrust23THRUST_200600_302600_NS4plusIyEEEEZZNS1_33reduce_by_key_impl_wrapped_configILNS1_25lookback_scan_determinismE0ES3_S9_NS6_6detail15normal_iteratorINS6_10device_ptrIyEEEESG_SG_SG_PmS8_NS6_8equal_toIyEEEE10hipError_tPvRmT2_T3_mT4_T5_T6_T7_T8_P12ihipStream_tbENKUlT_T0_E_clISt17integral_constantIbLb0EES10_IbLb1EEEEDaSW_SX_EUlSW_E_NS1_11comp_targetILNS1_3genE4ELNS1_11target_archE910ELNS1_3gpuE8ELNS1_3repE0EEENS1_30default_config_static_selectorELNS0_4arch9wavefront6targetE0EEEvT1_
	.p2align	8
	.type	_ZN7rocprim17ROCPRIM_400000_NS6detail17trampoline_kernelINS0_14default_configENS1_29reduce_by_key_config_selectorIyyN6thrust23THRUST_200600_302600_NS4plusIyEEEEZZNS1_33reduce_by_key_impl_wrapped_configILNS1_25lookback_scan_determinismE0ES3_S9_NS6_6detail15normal_iteratorINS6_10device_ptrIyEEEESG_SG_SG_PmS8_NS6_8equal_toIyEEEE10hipError_tPvRmT2_T3_mT4_T5_T6_T7_T8_P12ihipStream_tbENKUlT_T0_E_clISt17integral_constantIbLb0EES10_IbLb1EEEEDaSW_SX_EUlSW_E_NS1_11comp_targetILNS1_3genE4ELNS1_11target_archE910ELNS1_3gpuE8ELNS1_3repE0EEENS1_30default_config_static_selectorELNS0_4arch9wavefront6targetE0EEEvT1_,@function
_ZN7rocprim17ROCPRIM_400000_NS6detail17trampoline_kernelINS0_14default_configENS1_29reduce_by_key_config_selectorIyyN6thrust23THRUST_200600_302600_NS4plusIyEEEEZZNS1_33reduce_by_key_impl_wrapped_configILNS1_25lookback_scan_determinismE0ES3_S9_NS6_6detail15normal_iteratorINS6_10device_ptrIyEEEESG_SG_SG_PmS8_NS6_8equal_toIyEEEE10hipError_tPvRmT2_T3_mT4_T5_T6_T7_T8_P12ihipStream_tbENKUlT_T0_E_clISt17integral_constantIbLb0EES10_IbLb1EEEEDaSW_SX_EUlSW_E_NS1_11comp_targetILNS1_3genE4ELNS1_11target_archE910ELNS1_3gpuE8ELNS1_3repE0EEENS1_30default_config_static_selectorELNS0_4arch9wavefront6targetE0EEEvT1_: ; @_ZN7rocprim17ROCPRIM_400000_NS6detail17trampoline_kernelINS0_14default_configENS1_29reduce_by_key_config_selectorIyyN6thrust23THRUST_200600_302600_NS4plusIyEEEEZZNS1_33reduce_by_key_impl_wrapped_configILNS1_25lookback_scan_determinismE0ES3_S9_NS6_6detail15normal_iteratorINS6_10device_ptrIyEEEESG_SG_SG_PmS8_NS6_8equal_toIyEEEE10hipError_tPvRmT2_T3_mT4_T5_T6_T7_T8_P12ihipStream_tbENKUlT_T0_E_clISt17integral_constantIbLb0EES10_IbLb1EEEEDaSW_SX_EUlSW_E_NS1_11comp_targetILNS1_3genE4ELNS1_11target_archE910ELNS1_3gpuE8ELNS1_3repE0EEENS1_30default_config_static_selectorELNS0_4arch9wavefront6targetE0EEEvT1_
; %bb.0:
	.section	.rodata,"a",@progbits
	.p2align	6, 0x0
	.amdhsa_kernel _ZN7rocprim17ROCPRIM_400000_NS6detail17trampoline_kernelINS0_14default_configENS1_29reduce_by_key_config_selectorIyyN6thrust23THRUST_200600_302600_NS4plusIyEEEEZZNS1_33reduce_by_key_impl_wrapped_configILNS1_25lookback_scan_determinismE0ES3_S9_NS6_6detail15normal_iteratorINS6_10device_ptrIyEEEESG_SG_SG_PmS8_NS6_8equal_toIyEEEE10hipError_tPvRmT2_T3_mT4_T5_T6_T7_T8_P12ihipStream_tbENKUlT_T0_E_clISt17integral_constantIbLb0EES10_IbLb1EEEEDaSW_SX_EUlSW_E_NS1_11comp_targetILNS1_3genE4ELNS1_11target_archE910ELNS1_3gpuE8ELNS1_3repE0EEENS1_30default_config_static_selectorELNS0_4arch9wavefront6targetE0EEEvT1_
		.amdhsa_group_segment_fixed_size 0
		.amdhsa_private_segment_fixed_size 0
		.amdhsa_kernarg_size 136
		.amdhsa_user_sgpr_count 15
		.amdhsa_user_sgpr_dispatch_ptr 0
		.amdhsa_user_sgpr_queue_ptr 0
		.amdhsa_user_sgpr_kernarg_segment_ptr 1
		.amdhsa_user_sgpr_dispatch_id 0
		.amdhsa_user_sgpr_private_segment_size 0
		.amdhsa_wavefront_size32 1
		.amdhsa_uses_dynamic_stack 0
		.amdhsa_enable_private_segment 0
		.amdhsa_system_sgpr_workgroup_id_x 1
		.amdhsa_system_sgpr_workgroup_id_y 0
		.amdhsa_system_sgpr_workgroup_id_z 0
		.amdhsa_system_sgpr_workgroup_info 0
		.amdhsa_system_vgpr_workitem_id 0
		.amdhsa_next_free_vgpr 1
		.amdhsa_next_free_sgpr 1
		.amdhsa_reserve_vcc 0
		.amdhsa_float_round_mode_32 0
		.amdhsa_float_round_mode_16_64 0
		.amdhsa_float_denorm_mode_32 3
		.amdhsa_float_denorm_mode_16_64 3
		.amdhsa_dx10_clamp 1
		.amdhsa_ieee_mode 1
		.amdhsa_fp16_overflow 0
		.amdhsa_workgroup_processor_mode 1
		.amdhsa_memory_ordered 1
		.amdhsa_forward_progress 0
		.amdhsa_shared_vgpr_count 0
		.amdhsa_exception_fp_ieee_invalid_op 0
		.amdhsa_exception_fp_denorm_src 0
		.amdhsa_exception_fp_ieee_div_zero 0
		.amdhsa_exception_fp_ieee_overflow 0
		.amdhsa_exception_fp_ieee_underflow 0
		.amdhsa_exception_fp_ieee_inexact 0
		.amdhsa_exception_int_div_zero 0
	.end_amdhsa_kernel
	.section	.text._ZN7rocprim17ROCPRIM_400000_NS6detail17trampoline_kernelINS0_14default_configENS1_29reduce_by_key_config_selectorIyyN6thrust23THRUST_200600_302600_NS4plusIyEEEEZZNS1_33reduce_by_key_impl_wrapped_configILNS1_25lookback_scan_determinismE0ES3_S9_NS6_6detail15normal_iteratorINS6_10device_ptrIyEEEESG_SG_SG_PmS8_NS6_8equal_toIyEEEE10hipError_tPvRmT2_T3_mT4_T5_T6_T7_T8_P12ihipStream_tbENKUlT_T0_E_clISt17integral_constantIbLb0EES10_IbLb1EEEEDaSW_SX_EUlSW_E_NS1_11comp_targetILNS1_3genE4ELNS1_11target_archE910ELNS1_3gpuE8ELNS1_3repE0EEENS1_30default_config_static_selectorELNS0_4arch9wavefront6targetE0EEEvT1_,"axG",@progbits,_ZN7rocprim17ROCPRIM_400000_NS6detail17trampoline_kernelINS0_14default_configENS1_29reduce_by_key_config_selectorIyyN6thrust23THRUST_200600_302600_NS4plusIyEEEEZZNS1_33reduce_by_key_impl_wrapped_configILNS1_25lookback_scan_determinismE0ES3_S9_NS6_6detail15normal_iteratorINS6_10device_ptrIyEEEESG_SG_SG_PmS8_NS6_8equal_toIyEEEE10hipError_tPvRmT2_T3_mT4_T5_T6_T7_T8_P12ihipStream_tbENKUlT_T0_E_clISt17integral_constantIbLb0EES10_IbLb1EEEEDaSW_SX_EUlSW_E_NS1_11comp_targetILNS1_3genE4ELNS1_11target_archE910ELNS1_3gpuE8ELNS1_3repE0EEENS1_30default_config_static_selectorELNS0_4arch9wavefront6targetE0EEEvT1_,comdat
.Lfunc_end270:
	.size	_ZN7rocprim17ROCPRIM_400000_NS6detail17trampoline_kernelINS0_14default_configENS1_29reduce_by_key_config_selectorIyyN6thrust23THRUST_200600_302600_NS4plusIyEEEEZZNS1_33reduce_by_key_impl_wrapped_configILNS1_25lookback_scan_determinismE0ES3_S9_NS6_6detail15normal_iteratorINS6_10device_ptrIyEEEESG_SG_SG_PmS8_NS6_8equal_toIyEEEE10hipError_tPvRmT2_T3_mT4_T5_T6_T7_T8_P12ihipStream_tbENKUlT_T0_E_clISt17integral_constantIbLb0EES10_IbLb1EEEEDaSW_SX_EUlSW_E_NS1_11comp_targetILNS1_3genE4ELNS1_11target_archE910ELNS1_3gpuE8ELNS1_3repE0EEENS1_30default_config_static_selectorELNS0_4arch9wavefront6targetE0EEEvT1_, .Lfunc_end270-_ZN7rocprim17ROCPRIM_400000_NS6detail17trampoline_kernelINS0_14default_configENS1_29reduce_by_key_config_selectorIyyN6thrust23THRUST_200600_302600_NS4plusIyEEEEZZNS1_33reduce_by_key_impl_wrapped_configILNS1_25lookback_scan_determinismE0ES3_S9_NS6_6detail15normal_iteratorINS6_10device_ptrIyEEEESG_SG_SG_PmS8_NS6_8equal_toIyEEEE10hipError_tPvRmT2_T3_mT4_T5_T6_T7_T8_P12ihipStream_tbENKUlT_T0_E_clISt17integral_constantIbLb0EES10_IbLb1EEEEDaSW_SX_EUlSW_E_NS1_11comp_targetILNS1_3genE4ELNS1_11target_archE910ELNS1_3gpuE8ELNS1_3repE0EEENS1_30default_config_static_selectorELNS0_4arch9wavefront6targetE0EEEvT1_
                                        ; -- End function
	.section	.AMDGPU.csdata,"",@progbits
; Kernel info:
; codeLenInByte = 0
; NumSgprs: 0
; NumVgprs: 0
; ScratchSize: 0
; MemoryBound: 0
; FloatMode: 240
; IeeeMode: 1
; LDSByteSize: 0 bytes/workgroup (compile time only)
; SGPRBlocks: 0
; VGPRBlocks: 0
; NumSGPRsForWavesPerEU: 1
; NumVGPRsForWavesPerEU: 1
; Occupancy: 16
; WaveLimiterHint : 0
; COMPUTE_PGM_RSRC2:SCRATCH_EN: 0
; COMPUTE_PGM_RSRC2:USER_SGPR: 15
; COMPUTE_PGM_RSRC2:TRAP_HANDLER: 0
; COMPUTE_PGM_RSRC2:TGID_X_EN: 1
; COMPUTE_PGM_RSRC2:TGID_Y_EN: 0
; COMPUTE_PGM_RSRC2:TGID_Z_EN: 0
; COMPUTE_PGM_RSRC2:TIDIG_COMP_CNT: 0
	.section	.text._ZN7rocprim17ROCPRIM_400000_NS6detail17trampoline_kernelINS0_14default_configENS1_29reduce_by_key_config_selectorIyyN6thrust23THRUST_200600_302600_NS4plusIyEEEEZZNS1_33reduce_by_key_impl_wrapped_configILNS1_25lookback_scan_determinismE0ES3_S9_NS6_6detail15normal_iteratorINS6_10device_ptrIyEEEESG_SG_SG_PmS8_NS6_8equal_toIyEEEE10hipError_tPvRmT2_T3_mT4_T5_T6_T7_T8_P12ihipStream_tbENKUlT_T0_E_clISt17integral_constantIbLb0EES10_IbLb1EEEEDaSW_SX_EUlSW_E_NS1_11comp_targetILNS1_3genE3ELNS1_11target_archE908ELNS1_3gpuE7ELNS1_3repE0EEENS1_30default_config_static_selectorELNS0_4arch9wavefront6targetE0EEEvT1_,"axG",@progbits,_ZN7rocprim17ROCPRIM_400000_NS6detail17trampoline_kernelINS0_14default_configENS1_29reduce_by_key_config_selectorIyyN6thrust23THRUST_200600_302600_NS4plusIyEEEEZZNS1_33reduce_by_key_impl_wrapped_configILNS1_25lookback_scan_determinismE0ES3_S9_NS6_6detail15normal_iteratorINS6_10device_ptrIyEEEESG_SG_SG_PmS8_NS6_8equal_toIyEEEE10hipError_tPvRmT2_T3_mT4_T5_T6_T7_T8_P12ihipStream_tbENKUlT_T0_E_clISt17integral_constantIbLb0EES10_IbLb1EEEEDaSW_SX_EUlSW_E_NS1_11comp_targetILNS1_3genE3ELNS1_11target_archE908ELNS1_3gpuE7ELNS1_3repE0EEENS1_30default_config_static_selectorELNS0_4arch9wavefront6targetE0EEEvT1_,comdat
	.protected	_ZN7rocprim17ROCPRIM_400000_NS6detail17trampoline_kernelINS0_14default_configENS1_29reduce_by_key_config_selectorIyyN6thrust23THRUST_200600_302600_NS4plusIyEEEEZZNS1_33reduce_by_key_impl_wrapped_configILNS1_25lookback_scan_determinismE0ES3_S9_NS6_6detail15normal_iteratorINS6_10device_ptrIyEEEESG_SG_SG_PmS8_NS6_8equal_toIyEEEE10hipError_tPvRmT2_T3_mT4_T5_T6_T7_T8_P12ihipStream_tbENKUlT_T0_E_clISt17integral_constantIbLb0EES10_IbLb1EEEEDaSW_SX_EUlSW_E_NS1_11comp_targetILNS1_3genE3ELNS1_11target_archE908ELNS1_3gpuE7ELNS1_3repE0EEENS1_30default_config_static_selectorELNS0_4arch9wavefront6targetE0EEEvT1_ ; -- Begin function _ZN7rocprim17ROCPRIM_400000_NS6detail17trampoline_kernelINS0_14default_configENS1_29reduce_by_key_config_selectorIyyN6thrust23THRUST_200600_302600_NS4plusIyEEEEZZNS1_33reduce_by_key_impl_wrapped_configILNS1_25lookback_scan_determinismE0ES3_S9_NS6_6detail15normal_iteratorINS6_10device_ptrIyEEEESG_SG_SG_PmS8_NS6_8equal_toIyEEEE10hipError_tPvRmT2_T3_mT4_T5_T6_T7_T8_P12ihipStream_tbENKUlT_T0_E_clISt17integral_constantIbLb0EES10_IbLb1EEEEDaSW_SX_EUlSW_E_NS1_11comp_targetILNS1_3genE3ELNS1_11target_archE908ELNS1_3gpuE7ELNS1_3repE0EEENS1_30default_config_static_selectorELNS0_4arch9wavefront6targetE0EEEvT1_
	.globl	_ZN7rocprim17ROCPRIM_400000_NS6detail17trampoline_kernelINS0_14default_configENS1_29reduce_by_key_config_selectorIyyN6thrust23THRUST_200600_302600_NS4plusIyEEEEZZNS1_33reduce_by_key_impl_wrapped_configILNS1_25lookback_scan_determinismE0ES3_S9_NS6_6detail15normal_iteratorINS6_10device_ptrIyEEEESG_SG_SG_PmS8_NS6_8equal_toIyEEEE10hipError_tPvRmT2_T3_mT4_T5_T6_T7_T8_P12ihipStream_tbENKUlT_T0_E_clISt17integral_constantIbLb0EES10_IbLb1EEEEDaSW_SX_EUlSW_E_NS1_11comp_targetILNS1_3genE3ELNS1_11target_archE908ELNS1_3gpuE7ELNS1_3repE0EEENS1_30default_config_static_selectorELNS0_4arch9wavefront6targetE0EEEvT1_
	.p2align	8
	.type	_ZN7rocprim17ROCPRIM_400000_NS6detail17trampoline_kernelINS0_14default_configENS1_29reduce_by_key_config_selectorIyyN6thrust23THRUST_200600_302600_NS4plusIyEEEEZZNS1_33reduce_by_key_impl_wrapped_configILNS1_25lookback_scan_determinismE0ES3_S9_NS6_6detail15normal_iteratorINS6_10device_ptrIyEEEESG_SG_SG_PmS8_NS6_8equal_toIyEEEE10hipError_tPvRmT2_T3_mT4_T5_T6_T7_T8_P12ihipStream_tbENKUlT_T0_E_clISt17integral_constantIbLb0EES10_IbLb1EEEEDaSW_SX_EUlSW_E_NS1_11comp_targetILNS1_3genE3ELNS1_11target_archE908ELNS1_3gpuE7ELNS1_3repE0EEENS1_30default_config_static_selectorELNS0_4arch9wavefront6targetE0EEEvT1_,@function
_ZN7rocprim17ROCPRIM_400000_NS6detail17trampoline_kernelINS0_14default_configENS1_29reduce_by_key_config_selectorIyyN6thrust23THRUST_200600_302600_NS4plusIyEEEEZZNS1_33reduce_by_key_impl_wrapped_configILNS1_25lookback_scan_determinismE0ES3_S9_NS6_6detail15normal_iteratorINS6_10device_ptrIyEEEESG_SG_SG_PmS8_NS6_8equal_toIyEEEE10hipError_tPvRmT2_T3_mT4_T5_T6_T7_T8_P12ihipStream_tbENKUlT_T0_E_clISt17integral_constantIbLb0EES10_IbLb1EEEEDaSW_SX_EUlSW_E_NS1_11comp_targetILNS1_3genE3ELNS1_11target_archE908ELNS1_3gpuE7ELNS1_3repE0EEENS1_30default_config_static_selectorELNS0_4arch9wavefront6targetE0EEEvT1_: ; @_ZN7rocprim17ROCPRIM_400000_NS6detail17trampoline_kernelINS0_14default_configENS1_29reduce_by_key_config_selectorIyyN6thrust23THRUST_200600_302600_NS4plusIyEEEEZZNS1_33reduce_by_key_impl_wrapped_configILNS1_25lookback_scan_determinismE0ES3_S9_NS6_6detail15normal_iteratorINS6_10device_ptrIyEEEESG_SG_SG_PmS8_NS6_8equal_toIyEEEE10hipError_tPvRmT2_T3_mT4_T5_T6_T7_T8_P12ihipStream_tbENKUlT_T0_E_clISt17integral_constantIbLb0EES10_IbLb1EEEEDaSW_SX_EUlSW_E_NS1_11comp_targetILNS1_3genE3ELNS1_11target_archE908ELNS1_3gpuE7ELNS1_3repE0EEENS1_30default_config_static_selectorELNS0_4arch9wavefront6targetE0EEEvT1_
; %bb.0:
	.section	.rodata,"a",@progbits
	.p2align	6, 0x0
	.amdhsa_kernel _ZN7rocprim17ROCPRIM_400000_NS6detail17trampoline_kernelINS0_14default_configENS1_29reduce_by_key_config_selectorIyyN6thrust23THRUST_200600_302600_NS4plusIyEEEEZZNS1_33reduce_by_key_impl_wrapped_configILNS1_25lookback_scan_determinismE0ES3_S9_NS6_6detail15normal_iteratorINS6_10device_ptrIyEEEESG_SG_SG_PmS8_NS6_8equal_toIyEEEE10hipError_tPvRmT2_T3_mT4_T5_T6_T7_T8_P12ihipStream_tbENKUlT_T0_E_clISt17integral_constantIbLb0EES10_IbLb1EEEEDaSW_SX_EUlSW_E_NS1_11comp_targetILNS1_3genE3ELNS1_11target_archE908ELNS1_3gpuE7ELNS1_3repE0EEENS1_30default_config_static_selectorELNS0_4arch9wavefront6targetE0EEEvT1_
		.amdhsa_group_segment_fixed_size 0
		.amdhsa_private_segment_fixed_size 0
		.amdhsa_kernarg_size 136
		.amdhsa_user_sgpr_count 15
		.amdhsa_user_sgpr_dispatch_ptr 0
		.amdhsa_user_sgpr_queue_ptr 0
		.amdhsa_user_sgpr_kernarg_segment_ptr 1
		.amdhsa_user_sgpr_dispatch_id 0
		.amdhsa_user_sgpr_private_segment_size 0
		.amdhsa_wavefront_size32 1
		.amdhsa_uses_dynamic_stack 0
		.amdhsa_enable_private_segment 0
		.amdhsa_system_sgpr_workgroup_id_x 1
		.amdhsa_system_sgpr_workgroup_id_y 0
		.amdhsa_system_sgpr_workgroup_id_z 0
		.amdhsa_system_sgpr_workgroup_info 0
		.amdhsa_system_vgpr_workitem_id 0
		.amdhsa_next_free_vgpr 1
		.amdhsa_next_free_sgpr 1
		.amdhsa_reserve_vcc 0
		.amdhsa_float_round_mode_32 0
		.amdhsa_float_round_mode_16_64 0
		.amdhsa_float_denorm_mode_32 3
		.amdhsa_float_denorm_mode_16_64 3
		.amdhsa_dx10_clamp 1
		.amdhsa_ieee_mode 1
		.amdhsa_fp16_overflow 0
		.amdhsa_workgroup_processor_mode 1
		.amdhsa_memory_ordered 1
		.amdhsa_forward_progress 0
		.amdhsa_shared_vgpr_count 0
		.amdhsa_exception_fp_ieee_invalid_op 0
		.amdhsa_exception_fp_denorm_src 0
		.amdhsa_exception_fp_ieee_div_zero 0
		.amdhsa_exception_fp_ieee_overflow 0
		.amdhsa_exception_fp_ieee_underflow 0
		.amdhsa_exception_fp_ieee_inexact 0
		.amdhsa_exception_int_div_zero 0
	.end_amdhsa_kernel
	.section	.text._ZN7rocprim17ROCPRIM_400000_NS6detail17trampoline_kernelINS0_14default_configENS1_29reduce_by_key_config_selectorIyyN6thrust23THRUST_200600_302600_NS4plusIyEEEEZZNS1_33reduce_by_key_impl_wrapped_configILNS1_25lookback_scan_determinismE0ES3_S9_NS6_6detail15normal_iteratorINS6_10device_ptrIyEEEESG_SG_SG_PmS8_NS6_8equal_toIyEEEE10hipError_tPvRmT2_T3_mT4_T5_T6_T7_T8_P12ihipStream_tbENKUlT_T0_E_clISt17integral_constantIbLb0EES10_IbLb1EEEEDaSW_SX_EUlSW_E_NS1_11comp_targetILNS1_3genE3ELNS1_11target_archE908ELNS1_3gpuE7ELNS1_3repE0EEENS1_30default_config_static_selectorELNS0_4arch9wavefront6targetE0EEEvT1_,"axG",@progbits,_ZN7rocprim17ROCPRIM_400000_NS6detail17trampoline_kernelINS0_14default_configENS1_29reduce_by_key_config_selectorIyyN6thrust23THRUST_200600_302600_NS4plusIyEEEEZZNS1_33reduce_by_key_impl_wrapped_configILNS1_25lookback_scan_determinismE0ES3_S9_NS6_6detail15normal_iteratorINS6_10device_ptrIyEEEESG_SG_SG_PmS8_NS6_8equal_toIyEEEE10hipError_tPvRmT2_T3_mT4_T5_T6_T7_T8_P12ihipStream_tbENKUlT_T0_E_clISt17integral_constantIbLb0EES10_IbLb1EEEEDaSW_SX_EUlSW_E_NS1_11comp_targetILNS1_3genE3ELNS1_11target_archE908ELNS1_3gpuE7ELNS1_3repE0EEENS1_30default_config_static_selectorELNS0_4arch9wavefront6targetE0EEEvT1_,comdat
.Lfunc_end271:
	.size	_ZN7rocprim17ROCPRIM_400000_NS6detail17trampoline_kernelINS0_14default_configENS1_29reduce_by_key_config_selectorIyyN6thrust23THRUST_200600_302600_NS4plusIyEEEEZZNS1_33reduce_by_key_impl_wrapped_configILNS1_25lookback_scan_determinismE0ES3_S9_NS6_6detail15normal_iteratorINS6_10device_ptrIyEEEESG_SG_SG_PmS8_NS6_8equal_toIyEEEE10hipError_tPvRmT2_T3_mT4_T5_T6_T7_T8_P12ihipStream_tbENKUlT_T0_E_clISt17integral_constantIbLb0EES10_IbLb1EEEEDaSW_SX_EUlSW_E_NS1_11comp_targetILNS1_3genE3ELNS1_11target_archE908ELNS1_3gpuE7ELNS1_3repE0EEENS1_30default_config_static_selectorELNS0_4arch9wavefront6targetE0EEEvT1_, .Lfunc_end271-_ZN7rocprim17ROCPRIM_400000_NS6detail17trampoline_kernelINS0_14default_configENS1_29reduce_by_key_config_selectorIyyN6thrust23THRUST_200600_302600_NS4plusIyEEEEZZNS1_33reduce_by_key_impl_wrapped_configILNS1_25lookback_scan_determinismE0ES3_S9_NS6_6detail15normal_iteratorINS6_10device_ptrIyEEEESG_SG_SG_PmS8_NS6_8equal_toIyEEEE10hipError_tPvRmT2_T3_mT4_T5_T6_T7_T8_P12ihipStream_tbENKUlT_T0_E_clISt17integral_constantIbLb0EES10_IbLb1EEEEDaSW_SX_EUlSW_E_NS1_11comp_targetILNS1_3genE3ELNS1_11target_archE908ELNS1_3gpuE7ELNS1_3repE0EEENS1_30default_config_static_selectorELNS0_4arch9wavefront6targetE0EEEvT1_
                                        ; -- End function
	.section	.AMDGPU.csdata,"",@progbits
; Kernel info:
; codeLenInByte = 0
; NumSgprs: 0
; NumVgprs: 0
; ScratchSize: 0
; MemoryBound: 0
; FloatMode: 240
; IeeeMode: 1
; LDSByteSize: 0 bytes/workgroup (compile time only)
; SGPRBlocks: 0
; VGPRBlocks: 0
; NumSGPRsForWavesPerEU: 1
; NumVGPRsForWavesPerEU: 1
; Occupancy: 16
; WaveLimiterHint : 0
; COMPUTE_PGM_RSRC2:SCRATCH_EN: 0
; COMPUTE_PGM_RSRC2:USER_SGPR: 15
; COMPUTE_PGM_RSRC2:TRAP_HANDLER: 0
; COMPUTE_PGM_RSRC2:TGID_X_EN: 1
; COMPUTE_PGM_RSRC2:TGID_Y_EN: 0
; COMPUTE_PGM_RSRC2:TGID_Z_EN: 0
; COMPUTE_PGM_RSRC2:TIDIG_COMP_CNT: 0
	.section	.text._ZN7rocprim17ROCPRIM_400000_NS6detail17trampoline_kernelINS0_14default_configENS1_29reduce_by_key_config_selectorIyyN6thrust23THRUST_200600_302600_NS4plusIyEEEEZZNS1_33reduce_by_key_impl_wrapped_configILNS1_25lookback_scan_determinismE0ES3_S9_NS6_6detail15normal_iteratorINS6_10device_ptrIyEEEESG_SG_SG_PmS8_NS6_8equal_toIyEEEE10hipError_tPvRmT2_T3_mT4_T5_T6_T7_T8_P12ihipStream_tbENKUlT_T0_E_clISt17integral_constantIbLb0EES10_IbLb1EEEEDaSW_SX_EUlSW_E_NS1_11comp_targetILNS1_3genE2ELNS1_11target_archE906ELNS1_3gpuE6ELNS1_3repE0EEENS1_30default_config_static_selectorELNS0_4arch9wavefront6targetE0EEEvT1_,"axG",@progbits,_ZN7rocprim17ROCPRIM_400000_NS6detail17trampoline_kernelINS0_14default_configENS1_29reduce_by_key_config_selectorIyyN6thrust23THRUST_200600_302600_NS4plusIyEEEEZZNS1_33reduce_by_key_impl_wrapped_configILNS1_25lookback_scan_determinismE0ES3_S9_NS6_6detail15normal_iteratorINS6_10device_ptrIyEEEESG_SG_SG_PmS8_NS6_8equal_toIyEEEE10hipError_tPvRmT2_T3_mT4_T5_T6_T7_T8_P12ihipStream_tbENKUlT_T0_E_clISt17integral_constantIbLb0EES10_IbLb1EEEEDaSW_SX_EUlSW_E_NS1_11comp_targetILNS1_3genE2ELNS1_11target_archE906ELNS1_3gpuE6ELNS1_3repE0EEENS1_30default_config_static_selectorELNS0_4arch9wavefront6targetE0EEEvT1_,comdat
	.protected	_ZN7rocprim17ROCPRIM_400000_NS6detail17trampoline_kernelINS0_14default_configENS1_29reduce_by_key_config_selectorIyyN6thrust23THRUST_200600_302600_NS4plusIyEEEEZZNS1_33reduce_by_key_impl_wrapped_configILNS1_25lookback_scan_determinismE0ES3_S9_NS6_6detail15normal_iteratorINS6_10device_ptrIyEEEESG_SG_SG_PmS8_NS6_8equal_toIyEEEE10hipError_tPvRmT2_T3_mT4_T5_T6_T7_T8_P12ihipStream_tbENKUlT_T0_E_clISt17integral_constantIbLb0EES10_IbLb1EEEEDaSW_SX_EUlSW_E_NS1_11comp_targetILNS1_3genE2ELNS1_11target_archE906ELNS1_3gpuE6ELNS1_3repE0EEENS1_30default_config_static_selectorELNS0_4arch9wavefront6targetE0EEEvT1_ ; -- Begin function _ZN7rocprim17ROCPRIM_400000_NS6detail17trampoline_kernelINS0_14default_configENS1_29reduce_by_key_config_selectorIyyN6thrust23THRUST_200600_302600_NS4plusIyEEEEZZNS1_33reduce_by_key_impl_wrapped_configILNS1_25lookback_scan_determinismE0ES3_S9_NS6_6detail15normal_iteratorINS6_10device_ptrIyEEEESG_SG_SG_PmS8_NS6_8equal_toIyEEEE10hipError_tPvRmT2_T3_mT4_T5_T6_T7_T8_P12ihipStream_tbENKUlT_T0_E_clISt17integral_constantIbLb0EES10_IbLb1EEEEDaSW_SX_EUlSW_E_NS1_11comp_targetILNS1_3genE2ELNS1_11target_archE906ELNS1_3gpuE6ELNS1_3repE0EEENS1_30default_config_static_selectorELNS0_4arch9wavefront6targetE0EEEvT1_
	.globl	_ZN7rocprim17ROCPRIM_400000_NS6detail17trampoline_kernelINS0_14default_configENS1_29reduce_by_key_config_selectorIyyN6thrust23THRUST_200600_302600_NS4plusIyEEEEZZNS1_33reduce_by_key_impl_wrapped_configILNS1_25lookback_scan_determinismE0ES3_S9_NS6_6detail15normal_iteratorINS6_10device_ptrIyEEEESG_SG_SG_PmS8_NS6_8equal_toIyEEEE10hipError_tPvRmT2_T3_mT4_T5_T6_T7_T8_P12ihipStream_tbENKUlT_T0_E_clISt17integral_constantIbLb0EES10_IbLb1EEEEDaSW_SX_EUlSW_E_NS1_11comp_targetILNS1_3genE2ELNS1_11target_archE906ELNS1_3gpuE6ELNS1_3repE0EEENS1_30default_config_static_selectorELNS0_4arch9wavefront6targetE0EEEvT1_
	.p2align	8
	.type	_ZN7rocprim17ROCPRIM_400000_NS6detail17trampoline_kernelINS0_14default_configENS1_29reduce_by_key_config_selectorIyyN6thrust23THRUST_200600_302600_NS4plusIyEEEEZZNS1_33reduce_by_key_impl_wrapped_configILNS1_25lookback_scan_determinismE0ES3_S9_NS6_6detail15normal_iteratorINS6_10device_ptrIyEEEESG_SG_SG_PmS8_NS6_8equal_toIyEEEE10hipError_tPvRmT2_T3_mT4_T5_T6_T7_T8_P12ihipStream_tbENKUlT_T0_E_clISt17integral_constantIbLb0EES10_IbLb1EEEEDaSW_SX_EUlSW_E_NS1_11comp_targetILNS1_3genE2ELNS1_11target_archE906ELNS1_3gpuE6ELNS1_3repE0EEENS1_30default_config_static_selectorELNS0_4arch9wavefront6targetE0EEEvT1_,@function
_ZN7rocprim17ROCPRIM_400000_NS6detail17trampoline_kernelINS0_14default_configENS1_29reduce_by_key_config_selectorIyyN6thrust23THRUST_200600_302600_NS4plusIyEEEEZZNS1_33reduce_by_key_impl_wrapped_configILNS1_25lookback_scan_determinismE0ES3_S9_NS6_6detail15normal_iteratorINS6_10device_ptrIyEEEESG_SG_SG_PmS8_NS6_8equal_toIyEEEE10hipError_tPvRmT2_T3_mT4_T5_T6_T7_T8_P12ihipStream_tbENKUlT_T0_E_clISt17integral_constantIbLb0EES10_IbLb1EEEEDaSW_SX_EUlSW_E_NS1_11comp_targetILNS1_3genE2ELNS1_11target_archE906ELNS1_3gpuE6ELNS1_3repE0EEENS1_30default_config_static_selectorELNS0_4arch9wavefront6targetE0EEEvT1_: ; @_ZN7rocprim17ROCPRIM_400000_NS6detail17trampoline_kernelINS0_14default_configENS1_29reduce_by_key_config_selectorIyyN6thrust23THRUST_200600_302600_NS4plusIyEEEEZZNS1_33reduce_by_key_impl_wrapped_configILNS1_25lookback_scan_determinismE0ES3_S9_NS6_6detail15normal_iteratorINS6_10device_ptrIyEEEESG_SG_SG_PmS8_NS6_8equal_toIyEEEE10hipError_tPvRmT2_T3_mT4_T5_T6_T7_T8_P12ihipStream_tbENKUlT_T0_E_clISt17integral_constantIbLb0EES10_IbLb1EEEEDaSW_SX_EUlSW_E_NS1_11comp_targetILNS1_3genE2ELNS1_11target_archE906ELNS1_3gpuE6ELNS1_3repE0EEENS1_30default_config_static_selectorELNS0_4arch9wavefront6targetE0EEEvT1_
; %bb.0:
	.section	.rodata,"a",@progbits
	.p2align	6, 0x0
	.amdhsa_kernel _ZN7rocprim17ROCPRIM_400000_NS6detail17trampoline_kernelINS0_14default_configENS1_29reduce_by_key_config_selectorIyyN6thrust23THRUST_200600_302600_NS4plusIyEEEEZZNS1_33reduce_by_key_impl_wrapped_configILNS1_25lookback_scan_determinismE0ES3_S9_NS6_6detail15normal_iteratorINS6_10device_ptrIyEEEESG_SG_SG_PmS8_NS6_8equal_toIyEEEE10hipError_tPvRmT2_T3_mT4_T5_T6_T7_T8_P12ihipStream_tbENKUlT_T0_E_clISt17integral_constantIbLb0EES10_IbLb1EEEEDaSW_SX_EUlSW_E_NS1_11comp_targetILNS1_3genE2ELNS1_11target_archE906ELNS1_3gpuE6ELNS1_3repE0EEENS1_30default_config_static_selectorELNS0_4arch9wavefront6targetE0EEEvT1_
		.amdhsa_group_segment_fixed_size 0
		.amdhsa_private_segment_fixed_size 0
		.amdhsa_kernarg_size 136
		.amdhsa_user_sgpr_count 15
		.amdhsa_user_sgpr_dispatch_ptr 0
		.amdhsa_user_sgpr_queue_ptr 0
		.amdhsa_user_sgpr_kernarg_segment_ptr 1
		.amdhsa_user_sgpr_dispatch_id 0
		.amdhsa_user_sgpr_private_segment_size 0
		.amdhsa_wavefront_size32 1
		.amdhsa_uses_dynamic_stack 0
		.amdhsa_enable_private_segment 0
		.amdhsa_system_sgpr_workgroup_id_x 1
		.amdhsa_system_sgpr_workgroup_id_y 0
		.amdhsa_system_sgpr_workgroup_id_z 0
		.amdhsa_system_sgpr_workgroup_info 0
		.amdhsa_system_vgpr_workitem_id 0
		.amdhsa_next_free_vgpr 1
		.amdhsa_next_free_sgpr 1
		.amdhsa_reserve_vcc 0
		.amdhsa_float_round_mode_32 0
		.amdhsa_float_round_mode_16_64 0
		.amdhsa_float_denorm_mode_32 3
		.amdhsa_float_denorm_mode_16_64 3
		.amdhsa_dx10_clamp 1
		.amdhsa_ieee_mode 1
		.amdhsa_fp16_overflow 0
		.amdhsa_workgroup_processor_mode 1
		.amdhsa_memory_ordered 1
		.amdhsa_forward_progress 0
		.amdhsa_shared_vgpr_count 0
		.amdhsa_exception_fp_ieee_invalid_op 0
		.amdhsa_exception_fp_denorm_src 0
		.amdhsa_exception_fp_ieee_div_zero 0
		.amdhsa_exception_fp_ieee_overflow 0
		.amdhsa_exception_fp_ieee_underflow 0
		.amdhsa_exception_fp_ieee_inexact 0
		.amdhsa_exception_int_div_zero 0
	.end_amdhsa_kernel
	.section	.text._ZN7rocprim17ROCPRIM_400000_NS6detail17trampoline_kernelINS0_14default_configENS1_29reduce_by_key_config_selectorIyyN6thrust23THRUST_200600_302600_NS4plusIyEEEEZZNS1_33reduce_by_key_impl_wrapped_configILNS1_25lookback_scan_determinismE0ES3_S9_NS6_6detail15normal_iteratorINS6_10device_ptrIyEEEESG_SG_SG_PmS8_NS6_8equal_toIyEEEE10hipError_tPvRmT2_T3_mT4_T5_T6_T7_T8_P12ihipStream_tbENKUlT_T0_E_clISt17integral_constantIbLb0EES10_IbLb1EEEEDaSW_SX_EUlSW_E_NS1_11comp_targetILNS1_3genE2ELNS1_11target_archE906ELNS1_3gpuE6ELNS1_3repE0EEENS1_30default_config_static_selectorELNS0_4arch9wavefront6targetE0EEEvT1_,"axG",@progbits,_ZN7rocprim17ROCPRIM_400000_NS6detail17trampoline_kernelINS0_14default_configENS1_29reduce_by_key_config_selectorIyyN6thrust23THRUST_200600_302600_NS4plusIyEEEEZZNS1_33reduce_by_key_impl_wrapped_configILNS1_25lookback_scan_determinismE0ES3_S9_NS6_6detail15normal_iteratorINS6_10device_ptrIyEEEESG_SG_SG_PmS8_NS6_8equal_toIyEEEE10hipError_tPvRmT2_T3_mT4_T5_T6_T7_T8_P12ihipStream_tbENKUlT_T0_E_clISt17integral_constantIbLb0EES10_IbLb1EEEEDaSW_SX_EUlSW_E_NS1_11comp_targetILNS1_3genE2ELNS1_11target_archE906ELNS1_3gpuE6ELNS1_3repE0EEENS1_30default_config_static_selectorELNS0_4arch9wavefront6targetE0EEEvT1_,comdat
.Lfunc_end272:
	.size	_ZN7rocprim17ROCPRIM_400000_NS6detail17trampoline_kernelINS0_14default_configENS1_29reduce_by_key_config_selectorIyyN6thrust23THRUST_200600_302600_NS4plusIyEEEEZZNS1_33reduce_by_key_impl_wrapped_configILNS1_25lookback_scan_determinismE0ES3_S9_NS6_6detail15normal_iteratorINS6_10device_ptrIyEEEESG_SG_SG_PmS8_NS6_8equal_toIyEEEE10hipError_tPvRmT2_T3_mT4_T5_T6_T7_T8_P12ihipStream_tbENKUlT_T0_E_clISt17integral_constantIbLb0EES10_IbLb1EEEEDaSW_SX_EUlSW_E_NS1_11comp_targetILNS1_3genE2ELNS1_11target_archE906ELNS1_3gpuE6ELNS1_3repE0EEENS1_30default_config_static_selectorELNS0_4arch9wavefront6targetE0EEEvT1_, .Lfunc_end272-_ZN7rocprim17ROCPRIM_400000_NS6detail17trampoline_kernelINS0_14default_configENS1_29reduce_by_key_config_selectorIyyN6thrust23THRUST_200600_302600_NS4plusIyEEEEZZNS1_33reduce_by_key_impl_wrapped_configILNS1_25lookback_scan_determinismE0ES3_S9_NS6_6detail15normal_iteratorINS6_10device_ptrIyEEEESG_SG_SG_PmS8_NS6_8equal_toIyEEEE10hipError_tPvRmT2_T3_mT4_T5_T6_T7_T8_P12ihipStream_tbENKUlT_T0_E_clISt17integral_constantIbLb0EES10_IbLb1EEEEDaSW_SX_EUlSW_E_NS1_11comp_targetILNS1_3genE2ELNS1_11target_archE906ELNS1_3gpuE6ELNS1_3repE0EEENS1_30default_config_static_selectorELNS0_4arch9wavefront6targetE0EEEvT1_
                                        ; -- End function
	.section	.AMDGPU.csdata,"",@progbits
; Kernel info:
; codeLenInByte = 0
; NumSgprs: 0
; NumVgprs: 0
; ScratchSize: 0
; MemoryBound: 0
; FloatMode: 240
; IeeeMode: 1
; LDSByteSize: 0 bytes/workgroup (compile time only)
; SGPRBlocks: 0
; VGPRBlocks: 0
; NumSGPRsForWavesPerEU: 1
; NumVGPRsForWavesPerEU: 1
; Occupancy: 16
; WaveLimiterHint : 0
; COMPUTE_PGM_RSRC2:SCRATCH_EN: 0
; COMPUTE_PGM_RSRC2:USER_SGPR: 15
; COMPUTE_PGM_RSRC2:TRAP_HANDLER: 0
; COMPUTE_PGM_RSRC2:TGID_X_EN: 1
; COMPUTE_PGM_RSRC2:TGID_Y_EN: 0
; COMPUTE_PGM_RSRC2:TGID_Z_EN: 0
; COMPUTE_PGM_RSRC2:TIDIG_COMP_CNT: 0
	.section	.text._ZN7rocprim17ROCPRIM_400000_NS6detail17trampoline_kernelINS0_14default_configENS1_29reduce_by_key_config_selectorIyyN6thrust23THRUST_200600_302600_NS4plusIyEEEEZZNS1_33reduce_by_key_impl_wrapped_configILNS1_25lookback_scan_determinismE0ES3_S9_NS6_6detail15normal_iteratorINS6_10device_ptrIyEEEESG_SG_SG_PmS8_NS6_8equal_toIyEEEE10hipError_tPvRmT2_T3_mT4_T5_T6_T7_T8_P12ihipStream_tbENKUlT_T0_E_clISt17integral_constantIbLb0EES10_IbLb1EEEEDaSW_SX_EUlSW_E_NS1_11comp_targetILNS1_3genE10ELNS1_11target_archE1201ELNS1_3gpuE5ELNS1_3repE0EEENS1_30default_config_static_selectorELNS0_4arch9wavefront6targetE0EEEvT1_,"axG",@progbits,_ZN7rocprim17ROCPRIM_400000_NS6detail17trampoline_kernelINS0_14default_configENS1_29reduce_by_key_config_selectorIyyN6thrust23THRUST_200600_302600_NS4plusIyEEEEZZNS1_33reduce_by_key_impl_wrapped_configILNS1_25lookback_scan_determinismE0ES3_S9_NS6_6detail15normal_iteratorINS6_10device_ptrIyEEEESG_SG_SG_PmS8_NS6_8equal_toIyEEEE10hipError_tPvRmT2_T3_mT4_T5_T6_T7_T8_P12ihipStream_tbENKUlT_T0_E_clISt17integral_constantIbLb0EES10_IbLb1EEEEDaSW_SX_EUlSW_E_NS1_11comp_targetILNS1_3genE10ELNS1_11target_archE1201ELNS1_3gpuE5ELNS1_3repE0EEENS1_30default_config_static_selectorELNS0_4arch9wavefront6targetE0EEEvT1_,comdat
	.protected	_ZN7rocprim17ROCPRIM_400000_NS6detail17trampoline_kernelINS0_14default_configENS1_29reduce_by_key_config_selectorIyyN6thrust23THRUST_200600_302600_NS4plusIyEEEEZZNS1_33reduce_by_key_impl_wrapped_configILNS1_25lookback_scan_determinismE0ES3_S9_NS6_6detail15normal_iteratorINS6_10device_ptrIyEEEESG_SG_SG_PmS8_NS6_8equal_toIyEEEE10hipError_tPvRmT2_T3_mT4_T5_T6_T7_T8_P12ihipStream_tbENKUlT_T0_E_clISt17integral_constantIbLb0EES10_IbLb1EEEEDaSW_SX_EUlSW_E_NS1_11comp_targetILNS1_3genE10ELNS1_11target_archE1201ELNS1_3gpuE5ELNS1_3repE0EEENS1_30default_config_static_selectorELNS0_4arch9wavefront6targetE0EEEvT1_ ; -- Begin function _ZN7rocprim17ROCPRIM_400000_NS6detail17trampoline_kernelINS0_14default_configENS1_29reduce_by_key_config_selectorIyyN6thrust23THRUST_200600_302600_NS4plusIyEEEEZZNS1_33reduce_by_key_impl_wrapped_configILNS1_25lookback_scan_determinismE0ES3_S9_NS6_6detail15normal_iteratorINS6_10device_ptrIyEEEESG_SG_SG_PmS8_NS6_8equal_toIyEEEE10hipError_tPvRmT2_T3_mT4_T5_T6_T7_T8_P12ihipStream_tbENKUlT_T0_E_clISt17integral_constantIbLb0EES10_IbLb1EEEEDaSW_SX_EUlSW_E_NS1_11comp_targetILNS1_3genE10ELNS1_11target_archE1201ELNS1_3gpuE5ELNS1_3repE0EEENS1_30default_config_static_selectorELNS0_4arch9wavefront6targetE0EEEvT1_
	.globl	_ZN7rocprim17ROCPRIM_400000_NS6detail17trampoline_kernelINS0_14default_configENS1_29reduce_by_key_config_selectorIyyN6thrust23THRUST_200600_302600_NS4plusIyEEEEZZNS1_33reduce_by_key_impl_wrapped_configILNS1_25lookback_scan_determinismE0ES3_S9_NS6_6detail15normal_iteratorINS6_10device_ptrIyEEEESG_SG_SG_PmS8_NS6_8equal_toIyEEEE10hipError_tPvRmT2_T3_mT4_T5_T6_T7_T8_P12ihipStream_tbENKUlT_T0_E_clISt17integral_constantIbLb0EES10_IbLb1EEEEDaSW_SX_EUlSW_E_NS1_11comp_targetILNS1_3genE10ELNS1_11target_archE1201ELNS1_3gpuE5ELNS1_3repE0EEENS1_30default_config_static_selectorELNS0_4arch9wavefront6targetE0EEEvT1_
	.p2align	8
	.type	_ZN7rocprim17ROCPRIM_400000_NS6detail17trampoline_kernelINS0_14default_configENS1_29reduce_by_key_config_selectorIyyN6thrust23THRUST_200600_302600_NS4plusIyEEEEZZNS1_33reduce_by_key_impl_wrapped_configILNS1_25lookback_scan_determinismE0ES3_S9_NS6_6detail15normal_iteratorINS6_10device_ptrIyEEEESG_SG_SG_PmS8_NS6_8equal_toIyEEEE10hipError_tPvRmT2_T3_mT4_T5_T6_T7_T8_P12ihipStream_tbENKUlT_T0_E_clISt17integral_constantIbLb0EES10_IbLb1EEEEDaSW_SX_EUlSW_E_NS1_11comp_targetILNS1_3genE10ELNS1_11target_archE1201ELNS1_3gpuE5ELNS1_3repE0EEENS1_30default_config_static_selectorELNS0_4arch9wavefront6targetE0EEEvT1_,@function
_ZN7rocprim17ROCPRIM_400000_NS6detail17trampoline_kernelINS0_14default_configENS1_29reduce_by_key_config_selectorIyyN6thrust23THRUST_200600_302600_NS4plusIyEEEEZZNS1_33reduce_by_key_impl_wrapped_configILNS1_25lookback_scan_determinismE0ES3_S9_NS6_6detail15normal_iteratorINS6_10device_ptrIyEEEESG_SG_SG_PmS8_NS6_8equal_toIyEEEE10hipError_tPvRmT2_T3_mT4_T5_T6_T7_T8_P12ihipStream_tbENKUlT_T0_E_clISt17integral_constantIbLb0EES10_IbLb1EEEEDaSW_SX_EUlSW_E_NS1_11comp_targetILNS1_3genE10ELNS1_11target_archE1201ELNS1_3gpuE5ELNS1_3repE0EEENS1_30default_config_static_selectorELNS0_4arch9wavefront6targetE0EEEvT1_: ; @_ZN7rocprim17ROCPRIM_400000_NS6detail17trampoline_kernelINS0_14default_configENS1_29reduce_by_key_config_selectorIyyN6thrust23THRUST_200600_302600_NS4plusIyEEEEZZNS1_33reduce_by_key_impl_wrapped_configILNS1_25lookback_scan_determinismE0ES3_S9_NS6_6detail15normal_iteratorINS6_10device_ptrIyEEEESG_SG_SG_PmS8_NS6_8equal_toIyEEEE10hipError_tPvRmT2_T3_mT4_T5_T6_T7_T8_P12ihipStream_tbENKUlT_T0_E_clISt17integral_constantIbLb0EES10_IbLb1EEEEDaSW_SX_EUlSW_E_NS1_11comp_targetILNS1_3genE10ELNS1_11target_archE1201ELNS1_3gpuE5ELNS1_3repE0EEENS1_30default_config_static_selectorELNS0_4arch9wavefront6targetE0EEEvT1_
; %bb.0:
	.section	.rodata,"a",@progbits
	.p2align	6, 0x0
	.amdhsa_kernel _ZN7rocprim17ROCPRIM_400000_NS6detail17trampoline_kernelINS0_14default_configENS1_29reduce_by_key_config_selectorIyyN6thrust23THRUST_200600_302600_NS4plusIyEEEEZZNS1_33reduce_by_key_impl_wrapped_configILNS1_25lookback_scan_determinismE0ES3_S9_NS6_6detail15normal_iteratorINS6_10device_ptrIyEEEESG_SG_SG_PmS8_NS6_8equal_toIyEEEE10hipError_tPvRmT2_T3_mT4_T5_T6_T7_T8_P12ihipStream_tbENKUlT_T0_E_clISt17integral_constantIbLb0EES10_IbLb1EEEEDaSW_SX_EUlSW_E_NS1_11comp_targetILNS1_3genE10ELNS1_11target_archE1201ELNS1_3gpuE5ELNS1_3repE0EEENS1_30default_config_static_selectorELNS0_4arch9wavefront6targetE0EEEvT1_
		.amdhsa_group_segment_fixed_size 0
		.amdhsa_private_segment_fixed_size 0
		.amdhsa_kernarg_size 136
		.amdhsa_user_sgpr_count 15
		.amdhsa_user_sgpr_dispatch_ptr 0
		.amdhsa_user_sgpr_queue_ptr 0
		.amdhsa_user_sgpr_kernarg_segment_ptr 1
		.amdhsa_user_sgpr_dispatch_id 0
		.amdhsa_user_sgpr_private_segment_size 0
		.amdhsa_wavefront_size32 1
		.amdhsa_uses_dynamic_stack 0
		.amdhsa_enable_private_segment 0
		.amdhsa_system_sgpr_workgroup_id_x 1
		.amdhsa_system_sgpr_workgroup_id_y 0
		.amdhsa_system_sgpr_workgroup_id_z 0
		.amdhsa_system_sgpr_workgroup_info 0
		.amdhsa_system_vgpr_workitem_id 0
		.amdhsa_next_free_vgpr 1
		.amdhsa_next_free_sgpr 1
		.amdhsa_reserve_vcc 0
		.amdhsa_float_round_mode_32 0
		.amdhsa_float_round_mode_16_64 0
		.amdhsa_float_denorm_mode_32 3
		.amdhsa_float_denorm_mode_16_64 3
		.amdhsa_dx10_clamp 1
		.amdhsa_ieee_mode 1
		.amdhsa_fp16_overflow 0
		.amdhsa_workgroup_processor_mode 1
		.amdhsa_memory_ordered 1
		.amdhsa_forward_progress 0
		.amdhsa_shared_vgpr_count 0
		.amdhsa_exception_fp_ieee_invalid_op 0
		.amdhsa_exception_fp_denorm_src 0
		.amdhsa_exception_fp_ieee_div_zero 0
		.amdhsa_exception_fp_ieee_overflow 0
		.amdhsa_exception_fp_ieee_underflow 0
		.amdhsa_exception_fp_ieee_inexact 0
		.amdhsa_exception_int_div_zero 0
	.end_amdhsa_kernel
	.section	.text._ZN7rocprim17ROCPRIM_400000_NS6detail17trampoline_kernelINS0_14default_configENS1_29reduce_by_key_config_selectorIyyN6thrust23THRUST_200600_302600_NS4plusIyEEEEZZNS1_33reduce_by_key_impl_wrapped_configILNS1_25lookback_scan_determinismE0ES3_S9_NS6_6detail15normal_iteratorINS6_10device_ptrIyEEEESG_SG_SG_PmS8_NS6_8equal_toIyEEEE10hipError_tPvRmT2_T3_mT4_T5_T6_T7_T8_P12ihipStream_tbENKUlT_T0_E_clISt17integral_constantIbLb0EES10_IbLb1EEEEDaSW_SX_EUlSW_E_NS1_11comp_targetILNS1_3genE10ELNS1_11target_archE1201ELNS1_3gpuE5ELNS1_3repE0EEENS1_30default_config_static_selectorELNS0_4arch9wavefront6targetE0EEEvT1_,"axG",@progbits,_ZN7rocprim17ROCPRIM_400000_NS6detail17trampoline_kernelINS0_14default_configENS1_29reduce_by_key_config_selectorIyyN6thrust23THRUST_200600_302600_NS4plusIyEEEEZZNS1_33reduce_by_key_impl_wrapped_configILNS1_25lookback_scan_determinismE0ES3_S9_NS6_6detail15normal_iteratorINS6_10device_ptrIyEEEESG_SG_SG_PmS8_NS6_8equal_toIyEEEE10hipError_tPvRmT2_T3_mT4_T5_T6_T7_T8_P12ihipStream_tbENKUlT_T0_E_clISt17integral_constantIbLb0EES10_IbLb1EEEEDaSW_SX_EUlSW_E_NS1_11comp_targetILNS1_3genE10ELNS1_11target_archE1201ELNS1_3gpuE5ELNS1_3repE0EEENS1_30default_config_static_selectorELNS0_4arch9wavefront6targetE0EEEvT1_,comdat
.Lfunc_end273:
	.size	_ZN7rocprim17ROCPRIM_400000_NS6detail17trampoline_kernelINS0_14default_configENS1_29reduce_by_key_config_selectorIyyN6thrust23THRUST_200600_302600_NS4plusIyEEEEZZNS1_33reduce_by_key_impl_wrapped_configILNS1_25lookback_scan_determinismE0ES3_S9_NS6_6detail15normal_iteratorINS6_10device_ptrIyEEEESG_SG_SG_PmS8_NS6_8equal_toIyEEEE10hipError_tPvRmT2_T3_mT4_T5_T6_T7_T8_P12ihipStream_tbENKUlT_T0_E_clISt17integral_constantIbLb0EES10_IbLb1EEEEDaSW_SX_EUlSW_E_NS1_11comp_targetILNS1_3genE10ELNS1_11target_archE1201ELNS1_3gpuE5ELNS1_3repE0EEENS1_30default_config_static_selectorELNS0_4arch9wavefront6targetE0EEEvT1_, .Lfunc_end273-_ZN7rocprim17ROCPRIM_400000_NS6detail17trampoline_kernelINS0_14default_configENS1_29reduce_by_key_config_selectorIyyN6thrust23THRUST_200600_302600_NS4plusIyEEEEZZNS1_33reduce_by_key_impl_wrapped_configILNS1_25lookback_scan_determinismE0ES3_S9_NS6_6detail15normal_iteratorINS6_10device_ptrIyEEEESG_SG_SG_PmS8_NS6_8equal_toIyEEEE10hipError_tPvRmT2_T3_mT4_T5_T6_T7_T8_P12ihipStream_tbENKUlT_T0_E_clISt17integral_constantIbLb0EES10_IbLb1EEEEDaSW_SX_EUlSW_E_NS1_11comp_targetILNS1_3genE10ELNS1_11target_archE1201ELNS1_3gpuE5ELNS1_3repE0EEENS1_30default_config_static_selectorELNS0_4arch9wavefront6targetE0EEEvT1_
                                        ; -- End function
	.section	.AMDGPU.csdata,"",@progbits
; Kernel info:
; codeLenInByte = 0
; NumSgprs: 0
; NumVgprs: 0
; ScratchSize: 0
; MemoryBound: 0
; FloatMode: 240
; IeeeMode: 1
; LDSByteSize: 0 bytes/workgroup (compile time only)
; SGPRBlocks: 0
; VGPRBlocks: 0
; NumSGPRsForWavesPerEU: 1
; NumVGPRsForWavesPerEU: 1
; Occupancy: 16
; WaveLimiterHint : 0
; COMPUTE_PGM_RSRC2:SCRATCH_EN: 0
; COMPUTE_PGM_RSRC2:USER_SGPR: 15
; COMPUTE_PGM_RSRC2:TRAP_HANDLER: 0
; COMPUTE_PGM_RSRC2:TGID_X_EN: 1
; COMPUTE_PGM_RSRC2:TGID_Y_EN: 0
; COMPUTE_PGM_RSRC2:TGID_Z_EN: 0
; COMPUTE_PGM_RSRC2:TIDIG_COMP_CNT: 0
	.section	.text._ZN7rocprim17ROCPRIM_400000_NS6detail17trampoline_kernelINS0_14default_configENS1_29reduce_by_key_config_selectorIyyN6thrust23THRUST_200600_302600_NS4plusIyEEEEZZNS1_33reduce_by_key_impl_wrapped_configILNS1_25lookback_scan_determinismE0ES3_S9_NS6_6detail15normal_iteratorINS6_10device_ptrIyEEEESG_SG_SG_PmS8_NS6_8equal_toIyEEEE10hipError_tPvRmT2_T3_mT4_T5_T6_T7_T8_P12ihipStream_tbENKUlT_T0_E_clISt17integral_constantIbLb0EES10_IbLb1EEEEDaSW_SX_EUlSW_E_NS1_11comp_targetILNS1_3genE10ELNS1_11target_archE1200ELNS1_3gpuE4ELNS1_3repE0EEENS1_30default_config_static_selectorELNS0_4arch9wavefront6targetE0EEEvT1_,"axG",@progbits,_ZN7rocprim17ROCPRIM_400000_NS6detail17trampoline_kernelINS0_14default_configENS1_29reduce_by_key_config_selectorIyyN6thrust23THRUST_200600_302600_NS4plusIyEEEEZZNS1_33reduce_by_key_impl_wrapped_configILNS1_25lookback_scan_determinismE0ES3_S9_NS6_6detail15normal_iteratorINS6_10device_ptrIyEEEESG_SG_SG_PmS8_NS6_8equal_toIyEEEE10hipError_tPvRmT2_T3_mT4_T5_T6_T7_T8_P12ihipStream_tbENKUlT_T0_E_clISt17integral_constantIbLb0EES10_IbLb1EEEEDaSW_SX_EUlSW_E_NS1_11comp_targetILNS1_3genE10ELNS1_11target_archE1200ELNS1_3gpuE4ELNS1_3repE0EEENS1_30default_config_static_selectorELNS0_4arch9wavefront6targetE0EEEvT1_,comdat
	.protected	_ZN7rocprim17ROCPRIM_400000_NS6detail17trampoline_kernelINS0_14default_configENS1_29reduce_by_key_config_selectorIyyN6thrust23THRUST_200600_302600_NS4plusIyEEEEZZNS1_33reduce_by_key_impl_wrapped_configILNS1_25lookback_scan_determinismE0ES3_S9_NS6_6detail15normal_iteratorINS6_10device_ptrIyEEEESG_SG_SG_PmS8_NS6_8equal_toIyEEEE10hipError_tPvRmT2_T3_mT4_T5_T6_T7_T8_P12ihipStream_tbENKUlT_T0_E_clISt17integral_constantIbLb0EES10_IbLb1EEEEDaSW_SX_EUlSW_E_NS1_11comp_targetILNS1_3genE10ELNS1_11target_archE1200ELNS1_3gpuE4ELNS1_3repE0EEENS1_30default_config_static_selectorELNS0_4arch9wavefront6targetE0EEEvT1_ ; -- Begin function _ZN7rocprim17ROCPRIM_400000_NS6detail17trampoline_kernelINS0_14default_configENS1_29reduce_by_key_config_selectorIyyN6thrust23THRUST_200600_302600_NS4plusIyEEEEZZNS1_33reduce_by_key_impl_wrapped_configILNS1_25lookback_scan_determinismE0ES3_S9_NS6_6detail15normal_iteratorINS6_10device_ptrIyEEEESG_SG_SG_PmS8_NS6_8equal_toIyEEEE10hipError_tPvRmT2_T3_mT4_T5_T6_T7_T8_P12ihipStream_tbENKUlT_T0_E_clISt17integral_constantIbLb0EES10_IbLb1EEEEDaSW_SX_EUlSW_E_NS1_11comp_targetILNS1_3genE10ELNS1_11target_archE1200ELNS1_3gpuE4ELNS1_3repE0EEENS1_30default_config_static_selectorELNS0_4arch9wavefront6targetE0EEEvT1_
	.globl	_ZN7rocprim17ROCPRIM_400000_NS6detail17trampoline_kernelINS0_14default_configENS1_29reduce_by_key_config_selectorIyyN6thrust23THRUST_200600_302600_NS4plusIyEEEEZZNS1_33reduce_by_key_impl_wrapped_configILNS1_25lookback_scan_determinismE0ES3_S9_NS6_6detail15normal_iteratorINS6_10device_ptrIyEEEESG_SG_SG_PmS8_NS6_8equal_toIyEEEE10hipError_tPvRmT2_T3_mT4_T5_T6_T7_T8_P12ihipStream_tbENKUlT_T0_E_clISt17integral_constantIbLb0EES10_IbLb1EEEEDaSW_SX_EUlSW_E_NS1_11comp_targetILNS1_3genE10ELNS1_11target_archE1200ELNS1_3gpuE4ELNS1_3repE0EEENS1_30default_config_static_selectorELNS0_4arch9wavefront6targetE0EEEvT1_
	.p2align	8
	.type	_ZN7rocprim17ROCPRIM_400000_NS6detail17trampoline_kernelINS0_14default_configENS1_29reduce_by_key_config_selectorIyyN6thrust23THRUST_200600_302600_NS4plusIyEEEEZZNS1_33reduce_by_key_impl_wrapped_configILNS1_25lookback_scan_determinismE0ES3_S9_NS6_6detail15normal_iteratorINS6_10device_ptrIyEEEESG_SG_SG_PmS8_NS6_8equal_toIyEEEE10hipError_tPvRmT2_T3_mT4_T5_T6_T7_T8_P12ihipStream_tbENKUlT_T0_E_clISt17integral_constantIbLb0EES10_IbLb1EEEEDaSW_SX_EUlSW_E_NS1_11comp_targetILNS1_3genE10ELNS1_11target_archE1200ELNS1_3gpuE4ELNS1_3repE0EEENS1_30default_config_static_selectorELNS0_4arch9wavefront6targetE0EEEvT1_,@function
_ZN7rocprim17ROCPRIM_400000_NS6detail17trampoline_kernelINS0_14default_configENS1_29reduce_by_key_config_selectorIyyN6thrust23THRUST_200600_302600_NS4plusIyEEEEZZNS1_33reduce_by_key_impl_wrapped_configILNS1_25lookback_scan_determinismE0ES3_S9_NS6_6detail15normal_iteratorINS6_10device_ptrIyEEEESG_SG_SG_PmS8_NS6_8equal_toIyEEEE10hipError_tPvRmT2_T3_mT4_T5_T6_T7_T8_P12ihipStream_tbENKUlT_T0_E_clISt17integral_constantIbLb0EES10_IbLb1EEEEDaSW_SX_EUlSW_E_NS1_11comp_targetILNS1_3genE10ELNS1_11target_archE1200ELNS1_3gpuE4ELNS1_3repE0EEENS1_30default_config_static_selectorELNS0_4arch9wavefront6targetE0EEEvT1_: ; @_ZN7rocprim17ROCPRIM_400000_NS6detail17trampoline_kernelINS0_14default_configENS1_29reduce_by_key_config_selectorIyyN6thrust23THRUST_200600_302600_NS4plusIyEEEEZZNS1_33reduce_by_key_impl_wrapped_configILNS1_25lookback_scan_determinismE0ES3_S9_NS6_6detail15normal_iteratorINS6_10device_ptrIyEEEESG_SG_SG_PmS8_NS6_8equal_toIyEEEE10hipError_tPvRmT2_T3_mT4_T5_T6_T7_T8_P12ihipStream_tbENKUlT_T0_E_clISt17integral_constantIbLb0EES10_IbLb1EEEEDaSW_SX_EUlSW_E_NS1_11comp_targetILNS1_3genE10ELNS1_11target_archE1200ELNS1_3gpuE4ELNS1_3repE0EEENS1_30default_config_static_selectorELNS0_4arch9wavefront6targetE0EEEvT1_
; %bb.0:
	.section	.rodata,"a",@progbits
	.p2align	6, 0x0
	.amdhsa_kernel _ZN7rocprim17ROCPRIM_400000_NS6detail17trampoline_kernelINS0_14default_configENS1_29reduce_by_key_config_selectorIyyN6thrust23THRUST_200600_302600_NS4plusIyEEEEZZNS1_33reduce_by_key_impl_wrapped_configILNS1_25lookback_scan_determinismE0ES3_S9_NS6_6detail15normal_iteratorINS6_10device_ptrIyEEEESG_SG_SG_PmS8_NS6_8equal_toIyEEEE10hipError_tPvRmT2_T3_mT4_T5_T6_T7_T8_P12ihipStream_tbENKUlT_T0_E_clISt17integral_constantIbLb0EES10_IbLb1EEEEDaSW_SX_EUlSW_E_NS1_11comp_targetILNS1_3genE10ELNS1_11target_archE1200ELNS1_3gpuE4ELNS1_3repE0EEENS1_30default_config_static_selectorELNS0_4arch9wavefront6targetE0EEEvT1_
		.amdhsa_group_segment_fixed_size 0
		.amdhsa_private_segment_fixed_size 0
		.amdhsa_kernarg_size 136
		.amdhsa_user_sgpr_count 15
		.amdhsa_user_sgpr_dispatch_ptr 0
		.amdhsa_user_sgpr_queue_ptr 0
		.amdhsa_user_sgpr_kernarg_segment_ptr 1
		.amdhsa_user_sgpr_dispatch_id 0
		.amdhsa_user_sgpr_private_segment_size 0
		.amdhsa_wavefront_size32 1
		.amdhsa_uses_dynamic_stack 0
		.amdhsa_enable_private_segment 0
		.amdhsa_system_sgpr_workgroup_id_x 1
		.amdhsa_system_sgpr_workgroup_id_y 0
		.amdhsa_system_sgpr_workgroup_id_z 0
		.amdhsa_system_sgpr_workgroup_info 0
		.amdhsa_system_vgpr_workitem_id 0
		.amdhsa_next_free_vgpr 1
		.amdhsa_next_free_sgpr 1
		.amdhsa_reserve_vcc 0
		.amdhsa_float_round_mode_32 0
		.amdhsa_float_round_mode_16_64 0
		.amdhsa_float_denorm_mode_32 3
		.amdhsa_float_denorm_mode_16_64 3
		.amdhsa_dx10_clamp 1
		.amdhsa_ieee_mode 1
		.amdhsa_fp16_overflow 0
		.amdhsa_workgroup_processor_mode 1
		.amdhsa_memory_ordered 1
		.amdhsa_forward_progress 0
		.amdhsa_shared_vgpr_count 0
		.amdhsa_exception_fp_ieee_invalid_op 0
		.amdhsa_exception_fp_denorm_src 0
		.amdhsa_exception_fp_ieee_div_zero 0
		.amdhsa_exception_fp_ieee_overflow 0
		.amdhsa_exception_fp_ieee_underflow 0
		.amdhsa_exception_fp_ieee_inexact 0
		.amdhsa_exception_int_div_zero 0
	.end_amdhsa_kernel
	.section	.text._ZN7rocprim17ROCPRIM_400000_NS6detail17trampoline_kernelINS0_14default_configENS1_29reduce_by_key_config_selectorIyyN6thrust23THRUST_200600_302600_NS4plusIyEEEEZZNS1_33reduce_by_key_impl_wrapped_configILNS1_25lookback_scan_determinismE0ES3_S9_NS6_6detail15normal_iteratorINS6_10device_ptrIyEEEESG_SG_SG_PmS8_NS6_8equal_toIyEEEE10hipError_tPvRmT2_T3_mT4_T5_T6_T7_T8_P12ihipStream_tbENKUlT_T0_E_clISt17integral_constantIbLb0EES10_IbLb1EEEEDaSW_SX_EUlSW_E_NS1_11comp_targetILNS1_3genE10ELNS1_11target_archE1200ELNS1_3gpuE4ELNS1_3repE0EEENS1_30default_config_static_selectorELNS0_4arch9wavefront6targetE0EEEvT1_,"axG",@progbits,_ZN7rocprim17ROCPRIM_400000_NS6detail17trampoline_kernelINS0_14default_configENS1_29reduce_by_key_config_selectorIyyN6thrust23THRUST_200600_302600_NS4plusIyEEEEZZNS1_33reduce_by_key_impl_wrapped_configILNS1_25lookback_scan_determinismE0ES3_S9_NS6_6detail15normal_iteratorINS6_10device_ptrIyEEEESG_SG_SG_PmS8_NS6_8equal_toIyEEEE10hipError_tPvRmT2_T3_mT4_T5_T6_T7_T8_P12ihipStream_tbENKUlT_T0_E_clISt17integral_constantIbLb0EES10_IbLb1EEEEDaSW_SX_EUlSW_E_NS1_11comp_targetILNS1_3genE10ELNS1_11target_archE1200ELNS1_3gpuE4ELNS1_3repE0EEENS1_30default_config_static_selectorELNS0_4arch9wavefront6targetE0EEEvT1_,comdat
.Lfunc_end274:
	.size	_ZN7rocprim17ROCPRIM_400000_NS6detail17trampoline_kernelINS0_14default_configENS1_29reduce_by_key_config_selectorIyyN6thrust23THRUST_200600_302600_NS4plusIyEEEEZZNS1_33reduce_by_key_impl_wrapped_configILNS1_25lookback_scan_determinismE0ES3_S9_NS6_6detail15normal_iteratorINS6_10device_ptrIyEEEESG_SG_SG_PmS8_NS6_8equal_toIyEEEE10hipError_tPvRmT2_T3_mT4_T5_T6_T7_T8_P12ihipStream_tbENKUlT_T0_E_clISt17integral_constantIbLb0EES10_IbLb1EEEEDaSW_SX_EUlSW_E_NS1_11comp_targetILNS1_3genE10ELNS1_11target_archE1200ELNS1_3gpuE4ELNS1_3repE0EEENS1_30default_config_static_selectorELNS0_4arch9wavefront6targetE0EEEvT1_, .Lfunc_end274-_ZN7rocprim17ROCPRIM_400000_NS6detail17trampoline_kernelINS0_14default_configENS1_29reduce_by_key_config_selectorIyyN6thrust23THRUST_200600_302600_NS4plusIyEEEEZZNS1_33reduce_by_key_impl_wrapped_configILNS1_25lookback_scan_determinismE0ES3_S9_NS6_6detail15normal_iteratorINS6_10device_ptrIyEEEESG_SG_SG_PmS8_NS6_8equal_toIyEEEE10hipError_tPvRmT2_T3_mT4_T5_T6_T7_T8_P12ihipStream_tbENKUlT_T0_E_clISt17integral_constantIbLb0EES10_IbLb1EEEEDaSW_SX_EUlSW_E_NS1_11comp_targetILNS1_3genE10ELNS1_11target_archE1200ELNS1_3gpuE4ELNS1_3repE0EEENS1_30default_config_static_selectorELNS0_4arch9wavefront6targetE0EEEvT1_
                                        ; -- End function
	.section	.AMDGPU.csdata,"",@progbits
; Kernel info:
; codeLenInByte = 0
; NumSgprs: 0
; NumVgprs: 0
; ScratchSize: 0
; MemoryBound: 0
; FloatMode: 240
; IeeeMode: 1
; LDSByteSize: 0 bytes/workgroup (compile time only)
; SGPRBlocks: 0
; VGPRBlocks: 0
; NumSGPRsForWavesPerEU: 1
; NumVGPRsForWavesPerEU: 1
; Occupancy: 16
; WaveLimiterHint : 0
; COMPUTE_PGM_RSRC2:SCRATCH_EN: 0
; COMPUTE_PGM_RSRC2:USER_SGPR: 15
; COMPUTE_PGM_RSRC2:TRAP_HANDLER: 0
; COMPUTE_PGM_RSRC2:TGID_X_EN: 1
; COMPUTE_PGM_RSRC2:TGID_Y_EN: 0
; COMPUTE_PGM_RSRC2:TGID_Z_EN: 0
; COMPUTE_PGM_RSRC2:TIDIG_COMP_CNT: 0
	.section	.text._ZN7rocprim17ROCPRIM_400000_NS6detail17trampoline_kernelINS0_14default_configENS1_29reduce_by_key_config_selectorIyyN6thrust23THRUST_200600_302600_NS4plusIyEEEEZZNS1_33reduce_by_key_impl_wrapped_configILNS1_25lookback_scan_determinismE0ES3_S9_NS6_6detail15normal_iteratorINS6_10device_ptrIyEEEESG_SG_SG_PmS8_NS6_8equal_toIyEEEE10hipError_tPvRmT2_T3_mT4_T5_T6_T7_T8_P12ihipStream_tbENKUlT_T0_E_clISt17integral_constantIbLb0EES10_IbLb1EEEEDaSW_SX_EUlSW_E_NS1_11comp_targetILNS1_3genE9ELNS1_11target_archE1100ELNS1_3gpuE3ELNS1_3repE0EEENS1_30default_config_static_selectorELNS0_4arch9wavefront6targetE0EEEvT1_,"axG",@progbits,_ZN7rocprim17ROCPRIM_400000_NS6detail17trampoline_kernelINS0_14default_configENS1_29reduce_by_key_config_selectorIyyN6thrust23THRUST_200600_302600_NS4plusIyEEEEZZNS1_33reduce_by_key_impl_wrapped_configILNS1_25lookback_scan_determinismE0ES3_S9_NS6_6detail15normal_iteratorINS6_10device_ptrIyEEEESG_SG_SG_PmS8_NS6_8equal_toIyEEEE10hipError_tPvRmT2_T3_mT4_T5_T6_T7_T8_P12ihipStream_tbENKUlT_T0_E_clISt17integral_constantIbLb0EES10_IbLb1EEEEDaSW_SX_EUlSW_E_NS1_11comp_targetILNS1_3genE9ELNS1_11target_archE1100ELNS1_3gpuE3ELNS1_3repE0EEENS1_30default_config_static_selectorELNS0_4arch9wavefront6targetE0EEEvT1_,comdat
	.protected	_ZN7rocprim17ROCPRIM_400000_NS6detail17trampoline_kernelINS0_14default_configENS1_29reduce_by_key_config_selectorIyyN6thrust23THRUST_200600_302600_NS4plusIyEEEEZZNS1_33reduce_by_key_impl_wrapped_configILNS1_25lookback_scan_determinismE0ES3_S9_NS6_6detail15normal_iteratorINS6_10device_ptrIyEEEESG_SG_SG_PmS8_NS6_8equal_toIyEEEE10hipError_tPvRmT2_T3_mT4_T5_T6_T7_T8_P12ihipStream_tbENKUlT_T0_E_clISt17integral_constantIbLb0EES10_IbLb1EEEEDaSW_SX_EUlSW_E_NS1_11comp_targetILNS1_3genE9ELNS1_11target_archE1100ELNS1_3gpuE3ELNS1_3repE0EEENS1_30default_config_static_selectorELNS0_4arch9wavefront6targetE0EEEvT1_ ; -- Begin function _ZN7rocprim17ROCPRIM_400000_NS6detail17trampoline_kernelINS0_14default_configENS1_29reduce_by_key_config_selectorIyyN6thrust23THRUST_200600_302600_NS4plusIyEEEEZZNS1_33reduce_by_key_impl_wrapped_configILNS1_25lookback_scan_determinismE0ES3_S9_NS6_6detail15normal_iteratorINS6_10device_ptrIyEEEESG_SG_SG_PmS8_NS6_8equal_toIyEEEE10hipError_tPvRmT2_T3_mT4_T5_T6_T7_T8_P12ihipStream_tbENKUlT_T0_E_clISt17integral_constantIbLb0EES10_IbLb1EEEEDaSW_SX_EUlSW_E_NS1_11comp_targetILNS1_3genE9ELNS1_11target_archE1100ELNS1_3gpuE3ELNS1_3repE0EEENS1_30default_config_static_selectorELNS0_4arch9wavefront6targetE0EEEvT1_
	.globl	_ZN7rocprim17ROCPRIM_400000_NS6detail17trampoline_kernelINS0_14default_configENS1_29reduce_by_key_config_selectorIyyN6thrust23THRUST_200600_302600_NS4plusIyEEEEZZNS1_33reduce_by_key_impl_wrapped_configILNS1_25lookback_scan_determinismE0ES3_S9_NS6_6detail15normal_iteratorINS6_10device_ptrIyEEEESG_SG_SG_PmS8_NS6_8equal_toIyEEEE10hipError_tPvRmT2_T3_mT4_T5_T6_T7_T8_P12ihipStream_tbENKUlT_T0_E_clISt17integral_constantIbLb0EES10_IbLb1EEEEDaSW_SX_EUlSW_E_NS1_11comp_targetILNS1_3genE9ELNS1_11target_archE1100ELNS1_3gpuE3ELNS1_3repE0EEENS1_30default_config_static_selectorELNS0_4arch9wavefront6targetE0EEEvT1_
	.p2align	8
	.type	_ZN7rocprim17ROCPRIM_400000_NS6detail17trampoline_kernelINS0_14default_configENS1_29reduce_by_key_config_selectorIyyN6thrust23THRUST_200600_302600_NS4plusIyEEEEZZNS1_33reduce_by_key_impl_wrapped_configILNS1_25lookback_scan_determinismE0ES3_S9_NS6_6detail15normal_iteratorINS6_10device_ptrIyEEEESG_SG_SG_PmS8_NS6_8equal_toIyEEEE10hipError_tPvRmT2_T3_mT4_T5_T6_T7_T8_P12ihipStream_tbENKUlT_T0_E_clISt17integral_constantIbLb0EES10_IbLb1EEEEDaSW_SX_EUlSW_E_NS1_11comp_targetILNS1_3genE9ELNS1_11target_archE1100ELNS1_3gpuE3ELNS1_3repE0EEENS1_30default_config_static_selectorELNS0_4arch9wavefront6targetE0EEEvT1_,@function
_ZN7rocprim17ROCPRIM_400000_NS6detail17trampoline_kernelINS0_14default_configENS1_29reduce_by_key_config_selectorIyyN6thrust23THRUST_200600_302600_NS4plusIyEEEEZZNS1_33reduce_by_key_impl_wrapped_configILNS1_25lookback_scan_determinismE0ES3_S9_NS6_6detail15normal_iteratorINS6_10device_ptrIyEEEESG_SG_SG_PmS8_NS6_8equal_toIyEEEE10hipError_tPvRmT2_T3_mT4_T5_T6_T7_T8_P12ihipStream_tbENKUlT_T0_E_clISt17integral_constantIbLb0EES10_IbLb1EEEEDaSW_SX_EUlSW_E_NS1_11comp_targetILNS1_3genE9ELNS1_11target_archE1100ELNS1_3gpuE3ELNS1_3repE0EEENS1_30default_config_static_selectorELNS0_4arch9wavefront6targetE0EEEvT1_: ; @_ZN7rocprim17ROCPRIM_400000_NS6detail17trampoline_kernelINS0_14default_configENS1_29reduce_by_key_config_selectorIyyN6thrust23THRUST_200600_302600_NS4plusIyEEEEZZNS1_33reduce_by_key_impl_wrapped_configILNS1_25lookback_scan_determinismE0ES3_S9_NS6_6detail15normal_iteratorINS6_10device_ptrIyEEEESG_SG_SG_PmS8_NS6_8equal_toIyEEEE10hipError_tPvRmT2_T3_mT4_T5_T6_T7_T8_P12ihipStream_tbENKUlT_T0_E_clISt17integral_constantIbLb0EES10_IbLb1EEEEDaSW_SX_EUlSW_E_NS1_11comp_targetILNS1_3genE9ELNS1_11target_archE1100ELNS1_3gpuE3ELNS1_3repE0EEENS1_30default_config_static_selectorELNS0_4arch9wavefront6targetE0EEEvT1_
; %bb.0:
	s_clause 0x2
	s_load_b256 s[12:19], s[0:1], 0x0
	s_load_b128 s[20:23], s[0:1], 0x20
	s_load_b64 s[24:25], s[0:1], 0x78
	v_cmp_ne_u32_e64 s3, 0, v0
	v_cmp_eq_u32_e64 s2, 0, v0
	s_delay_alu instid0(VALU_DEP_1)
	s_and_saveexec_b32 s4, s2
	s_cbranch_execz .LBB275_4
; %bb.1:
	s_mov_b32 s6, exec_lo
	s_mov_b32 s5, exec_lo
	v_mbcnt_lo_u32_b32 v1, s6, 0
                                        ; implicit-def: $vgpr2
	s_delay_alu instid0(VALU_DEP_1)
	v_cmpx_eq_u32_e32 0, v1
	s_cbranch_execz .LBB275_3
; %bb.2:
	s_load_b64 s[8:9], s[0:1], 0x80
	s_bcnt1_i32_b32 s6, s6
	s_delay_alu instid0(SALU_CYCLE_1)
	v_dual_mov_b32 v2, 0 :: v_dual_mov_b32 v3, s6
	s_waitcnt lgkmcnt(0)
	global_atomic_add_u32 v2, v2, v3, s[8:9] glc
.LBB275_3:
	s_or_b32 exec_lo, exec_lo, s5
	s_waitcnt vmcnt(0)
	v_readfirstlane_b32 s5, v2
	s_delay_alu instid0(VALU_DEP_1)
	v_dual_mov_b32 v2, 0 :: v_dual_add_nc_u32 v1, s5, v1
	ds_store_b32 v2, v1
.LBB275_4:
	s_or_b32 exec_lo, exec_lo, s4
	v_mov_b32_e32 v2, 0
	s_waitcnt lgkmcnt(0)
	s_barrier
	buffer_gl0_inv
	s_load_b512 s[36:51], s[0:1], 0x38
	ds_load_b32 v1, v2
	s_lshl_b64 s[4:5], s[14:15], 3
	s_mov_b32 s0, 0
	s_add_u32 s9, s12, s4
	s_addc_u32 s10, s13, s5
	s_add_u32 s11, s16, s4
	s_addc_u32 s12, s17, s5
	s_waitcnt lgkmcnt(0)
	s_barrier
	buffer_gl0_inv
	s_mul_i32 s1, s44, s43
	v_readfirstlane_b32 s30, v1
	v_mul_lo_u32 v1, 0xf00, v1
	s_mul_hi_u32 s6, s44, s42
	s_mul_i32 s7, s45, s42
	s_add_i32 s1, s6, s1
	s_mul_i32 s8, s44, s42
	s_add_i32 s1, s1, s7
	s_add_u32 s26, s8, s30
	s_addc_u32 s27, s1, 0
	v_lshlrev_b64 v[1:2], 3, v[1:2]
	s_add_u32 s4, s46, -1
	s_addc_u32 s5, s47, -1
	s_mul_i32 s28, s4, 0xfffff100
	s_cmp_eq_u64 s[26:27], s[4:5]
	s_delay_alu instid0(VALU_DEP_1)
	v_add_co_u32 v66, vcc_lo, s9, v1
	v_add_co_ci_u32_e32 v64, vcc_lo, s10, v2, vcc_lo
	v_add_co_u32 v61, vcc_lo, s11, v1
	v_add_co_ci_u32_e32 v62, vcc_lo, s12, v2, vcc_lo
	s_cselect_b32 s17, -1, 0
	s_cmp_lg_u64 s[26:27], s[4:5]
	s_cselect_b32 s31, -1, 0
	s_and_b32 vcc_lo, exec_lo, s17
	s_cbranch_vccnz .LBB275_6
; %bb.5:
	v_lshlrev_b32_e32 v65, 3, v0
	s_delay_alu instid0(VALU_DEP_1) | instskip(SKIP_2) | instid1(VALU_DEP_3)
	v_add_co_u32 v1, vcc_lo, v66, v65
	v_add_co_ci_u32_e32 v2, vcc_lo, 0, v64, vcc_lo
	v_mad_u32_u24 v63, 0x70, v0, v65
	v_add_co_u32 v3, vcc_lo, 0x1000, v1
	s_delay_alu instid0(VALU_DEP_3)
	v_add_co_ci_u32_e32 v4, vcc_lo, 0, v2, vcc_lo
	v_add_co_u32 v5, vcc_lo, 0x2000, v1
	v_add_co_ci_u32_e32 v6, vcc_lo, 0, v2, vcc_lo
	v_add_co_u32 v7, vcc_lo, 0x3000, v1
	;; [unrolled: 2-line block ×5, first 2 shown]
	v_add_co_ci_u32_e32 v24, vcc_lo, 0, v2, vcc_lo
	s_clause 0x7
	flat_load_b64 v[9:10], v[1:2]
	flat_load_b64 v[11:12], v[1:2] offset:2048
	flat_load_b64 v[13:14], v[3:4]
	flat_load_b64 v[3:4], v[3:4] offset:2048
	;; [unrolled: 2-line block ×4, first 2 shown]
	v_add_co_u32 v1, vcc_lo, 0x7000, v1
	v_add_co_ci_u32_e32 v2, vcc_lo, 0, v2, vcc_lo
	s_clause 0x6
	flat_load_b64 v[25:26], v[19:20]
	flat_load_b64 v[19:20], v[19:20] offset:2048
	flat_load_b64 v[27:28], v[21:22]
	flat_load_b64 v[21:22], v[21:22] offset:2048
	flat_load_b64 v[29:30], v[23:24]
	flat_load_b64 v[23:24], v[23:24] offset:2048
	flat_load_b64 v[1:2], v[1:2]
	v_add_co_u32 v31, vcc_lo, v61, v65
	v_add_co_ci_u32_e32 v32, vcc_lo, 0, v62, vcc_lo
	s_waitcnt vmcnt(13) lgkmcnt(13)
	ds_store_2addr_stride64_b64 v65, v[9:10], v[11:12] offset1:4
	s_waitcnt vmcnt(11) lgkmcnt(12)
	ds_store_2addr_stride64_b64 v65, v[13:14], v[3:4] offset0:8 offset1:12
	s_waitcnt vmcnt(9) lgkmcnt(11)
	ds_store_2addr_stride64_b64 v65, v[15:16], v[5:6] offset0:16 offset1:20
	;; [unrolled: 2-line block ×6, first 2 shown]
	s_waitcnt vmcnt(0) lgkmcnt(7)
	ds_store_b64 v65, v[1:2] offset:28672
	v_add_co_u32 v33, vcc_lo, 0x1000, v31
	v_add_co_ci_u32_e32 v34, vcc_lo, 0, v32, vcc_lo
	v_add_co_u32 v35, vcc_lo, 0x2000, v31
	v_add_co_ci_u32_e32 v36, vcc_lo, 0, v32, vcc_lo
	;; [unrolled: 2-line block ×7, first 2 shown]
	s_waitcnt lgkmcnt(0)
	s_barrier
	buffer_gl0_inv
	ds_load_2addr_b64 v[25:28], v63 offset1:1
	ds_load_2addr_b64 v[21:24], v63 offset0:2 offset1:3
	ds_load_2addr_b64 v[17:20], v63 offset0:4 offset1:5
	;; [unrolled: 1-line block ×6, first 2 shown]
	ds_load_b64 v[57:58], v63 offset:112
	s_waitcnt lgkmcnt(0)
	s_barrier
	buffer_gl0_inv
	s_clause 0xe
	flat_load_b64 v[29:30], v[31:32]
	flat_load_b64 v[31:32], v[31:32] offset:2048
	flat_load_b64 v[47:48], v[33:34]
	flat_load_b64 v[33:34], v[33:34] offset:2048
	;; [unrolled: 2-line block ×7, first 2 shown]
	flat_load_b64 v[45:46], v[45:46]
	s_waitcnt vmcnt(13) lgkmcnt(13)
	ds_store_2addr_stride64_b64 v65, v[29:30], v[31:32] offset1:4
	s_waitcnt vmcnt(11) lgkmcnt(12)
	ds_store_2addr_stride64_b64 v65, v[47:48], v[33:34] offset0:8 offset1:12
	s_waitcnt vmcnt(9) lgkmcnt(11)
	ds_store_2addr_stride64_b64 v65, v[49:50], v[35:36] offset0:16 offset1:20
	;; [unrolled: 2-line block ×6, first 2 shown]
	s_waitcnt vmcnt(0) lgkmcnt(7)
	ds_store_b64 v65, v[45:46] offset:28672
	s_waitcnt lgkmcnt(0)
	s_barrier
	s_and_not1_b32 vcc_lo, exec_lo, s0
	s_add_i32 s28, s28, s48
	s_cbranch_vccz .LBB275_7
	s_branch .LBB275_54
.LBB275_6:
                                        ; implicit-def: $vgpr63
                                        ; implicit-def: $vgpr25_vgpr26
                                        ; implicit-def: $vgpr21_vgpr22
                                        ; implicit-def: $vgpr17_vgpr18
                                        ; implicit-def: $vgpr13_vgpr14
                                        ; implicit-def: $vgpr9_vgpr10
                                        ; implicit-def: $vgpr5_vgpr6
                                        ; implicit-def: $vgpr1_vgpr2
                                        ; implicit-def: $vgpr57_vgpr58
	s_add_i32 s28, s28, s48
.LBB275_7:
	s_delay_alu instid0(SALU_CYCLE_1)
	v_cmp_gt_u32_e32 vcc_lo, s28, v0
                                        ; implicit-def: $vgpr1_vgpr2
	s_and_saveexec_b32 s1, vcc_lo
	s_cbranch_execz .LBB275_9
; %bb.8:
	v_lshlrev_b32_e32 v1, 3, v0
	s_delay_alu instid0(VALU_DEP_1) | instskip(NEXT) | instid1(VALU_DEP_1)
	v_add_co_u32 v1, s0, v66, v1
	v_add_co_ci_u32_e64 v2, s0, 0, v64, s0
	flat_load_b64 v[1:2], v[1:2]
.LBB275_9:
	s_or_b32 exec_lo, exec_lo, s1
	v_or_b32_e32 v3, 0x100, v0
	s_delay_alu instid0(VALU_DEP_1) | instskip(NEXT) | instid1(VALU_DEP_1)
	v_cmp_gt_u32_e64 s0, s28, v3
                                        ; implicit-def: $vgpr3_vgpr4
	s_and_saveexec_b32 s4, s0
	s_cbranch_execz .LBB275_11
; %bb.10:
	v_lshlrev_b32_e32 v3, 3, v0
	s_delay_alu instid0(VALU_DEP_1) | instskip(NEXT) | instid1(VALU_DEP_1)
	v_add_co_u32 v3, s1, v66, v3
	v_add_co_ci_u32_e64 v4, s1, 0, v64, s1
	flat_load_b64 v[3:4], v[3:4] offset:2048
.LBB275_11:
	s_or_b32 exec_lo, exec_lo, s4
	v_or_b32_e32 v5, 0x200, v0
	s_delay_alu instid0(VALU_DEP_1) | instskip(SKIP_1) | instid1(VALU_DEP_2)
	v_cmp_gt_u32_e64 s1, s28, v5
	v_lshlrev_b32_e32 v35, 3, v5
                                        ; implicit-def: $vgpr5_vgpr6
	s_and_saveexec_b32 s5, s1
	s_cbranch_execz .LBB275_13
; %bb.12:
	s_delay_alu instid0(VALU_DEP_1) | instskip(NEXT) | instid1(VALU_DEP_1)
	v_add_co_u32 v5, s4, v66, v35
	v_add_co_ci_u32_e64 v6, s4, 0, v64, s4
	flat_load_b64 v[5:6], v[5:6]
.LBB275_13:
	s_or_b32 exec_lo, exec_lo, s5
	v_or_b32_e32 v7, 0x300, v0
	s_delay_alu instid0(VALU_DEP_1) | instskip(SKIP_1) | instid1(VALU_DEP_2)
	v_cmp_gt_u32_e64 s4, s28, v7
	v_lshlrev_b32_e32 v37, 3, v7
                                        ; implicit-def: $vgpr7_vgpr8
	s_and_saveexec_b32 s6, s4
	s_cbranch_execz .LBB275_15
; %bb.14:
	s_delay_alu instid0(VALU_DEP_1) | instskip(NEXT) | instid1(VALU_DEP_1)
	v_add_co_u32 v7, s5, v66, v37
	v_add_co_ci_u32_e64 v8, s5, 0, v64, s5
	flat_load_b64 v[7:8], v[7:8]
.LBB275_15:
	s_or_b32 exec_lo, exec_lo, s6
	v_or_b32_e32 v9, 0x400, v0
	s_delay_alu instid0(VALU_DEP_1) | instskip(SKIP_1) | instid1(VALU_DEP_2)
	v_cmp_gt_u32_e64 s5, s28, v9
	v_lshlrev_b32_e32 v39, 3, v9
                                        ; implicit-def: $vgpr9_vgpr10
	s_and_saveexec_b32 s7, s5
	s_cbranch_execz .LBB275_17
; %bb.16:
	s_delay_alu instid0(VALU_DEP_1) | instskip(NEXT) | instid1(VALU_DEP_1)
	v_add_co_u32 v9, s6, v66, v39
	v_add_co_ci_u32_e64 v10, s6, 0, v64, s6
	flat_load_b64 v[9:10], v[9:10]
.LBB275_17:
	s_or_b32 exec_lo, exec_lo, s7
	v_or_b32_e32 v11, 0x500, v0
	s_delay_alu instid0(VALU_DEP_1) | instskip(SKIP_1) | instid1(VALU_DEP_2)
	v_cmp_gt_u32_e64 s6, s28, v11
	v_lshlrev_b32_e32 v41, 3, v11
                                        ; implicit-def: $vgpr11_vgpr12
	s_and_saveexec_b32 s8, s6
	s_cbranch_execz .LBB275_19
; %bb.18:
	s_delay_alu instid0(VALU_DEP_1) | instskip(NEXT) | instid1(VALU_DEP_1)
	v_add_co_u32 v11, s7, v66, v41
	v_add_co_ci_u32_e64 v12, s7, 0, v64, s7
	flat_load_b64 v[11:12], v[11:12]
.LBB275_19:
	s_or_b32 exec_lo, exec_lo, s8
	v_or_b32_e32 v13, 0x600, v0
	s_delay_alu instid0(VALU_DEP_1) | instskip(SKIP_1) | instid1(VALU_DEP_2)
	v_cmp_gt_u32_e64 s7, s28, v13
	v_lshlrev_b32_e32 v43, 3, v13
                                        ; implicit-def: $vgpr13_vgpr14
	s_and_saveexec_b32 s9, s7
	s_cbranch_execz .LBB275_21
; %bb.20:
	s_delay_alu instid0(VALU_DEP_1) | instskip(NEXT) | instid1(VALU_DEP_1)
	v_add_co_u32 v13, s8, v66, v43
	v_add_co_ci_u32_e64 v14, s8, 0, v64, s8
	flat_load_b64 v[13:14], v[13:14]
.LBB275_21:
	s_or_b32 exec_lo, exec_lo, s9
	v_or_b32_e32 v15, 0x700, v0
	s_delay_alu instid0(VALU_DEP_1) | instskip(SKIP_1) | instid1(VALU_DEP_2)
	v_cmp_gt_u32_e64 s8, s28, v15
	v_lshlrev_b32_e32 v45, 3, v15
                                        ; implicit-def: $vgpr15_vgpr16
	s_and_saveexec_b32 s10, s8
	s_cbranch_execz .LBB275_23
; %bb.22:
	s_delay_alu instid0(VALU_DEP_1) | instskip(NEXT) | instid1(VALU_DEP_1)
	v_add_co_u32 v15, s9, v66, v45
	v_add_co_ci_u32_e64 v16, s9, 0, v64, s9
	flat_load_b64 v[15:16], v[15:16]
.LBB275_23:
	s_or_b32 exec_lo, exec_lo, s10
	v_or_b32_e32 v17, 0x800, v0
	s_delay_alu instid0(VALU_DEP_1) | instskip(SKIP_1) | instid1(VALU_DEP_2)
	v_cmp_gt_u32_e64 s9, s28, v17
	v_lshlrev_b32_e32 v47, 3, v17
                                        ; implicit-def: $vgpr17_vgpr18
	s_and_saveexec_b32 s11, s9
	s_cbranch_execz .LBB275_25
; %bb.24:
	s_delay_alu instid0(VALU_DEP_1) | instskip(NEXT) | instid1(VALU_DEP_1)
	v_add_co_u32 v17, s10, v66, v47
	v_add_co_ci_u32_e64 v18, s10, 0, v64, s10
	flat_load_b64 v[17:18], v[17:18]
.LBB275_25:
	s_or_b32 exec_lo, exec_lo, s11
	v_or_b32_e32 v19, 0x900, v0
	s_delay_alu instid0(VALU_DEP_1) | instskip(SKIP_1) | instid1(VALU_DEP_2)
	v_cmp_gt_u32_e64 s10, s28, v19
	v_lshlrev_b32_e32 v49, 3, v19
                                        ; implicit-def: $vgpr19_vgpr20
	s_and_saveexec_b32 s12, s10
	s_cbranch_execz .LBB275_27
; %bb.26:
	s_delay_alu instid0(VALU_DEP_1) | instskip(NEXT) | instid1(VALU_DEP_1)
	v_add_co_u32 v19, s11, v66, v49
	v_add_co_ci_u32_e64 v20, s11, 0, v64, s11
	flat_load_b64 v[19:20], v[19:20]
.LBB275_27:
	s_or_b32 exec_lo, exec_lo, s12
	v_or_b32_e32 v21, 0xa00, v0
	s_delay_alu instid0(VALU_DEP_1) | instskip(SKIP_1) | instid1(VALU_DEP_2)
	v_cmp_gt_u32_e64 s11, s28, v21
	v_lshlrev_b32_e32 v51, 3, v21
                                        ; implicit-def: $vgpr21_vgpr22
	s_and_saveexec_b32 s13, s11
	s_cbranch_execz .LBB275_29
; %bb.28:
	s_delay_alu instid0(VALU_DEP_1) | instskip(NEXT) | instid1(VALU_DEP_1)
	v_add_co_u32 v21, s12, v66, v51
	v_add_co_ci_u32_e64 v22, s12, 0, v64, s12
	flat_load_b64 v[21:22], v[21:22]
.LBB275_29:
	s_or_b32 exec_lo, exec_lo, s13
	v_or_b32_e32 v23, 0xb00, v0
	s_delay_alu instid0(VALU_DEP_1) | instskip(SKIP_1) | instid1(VALU_DEP_2)
	v_cmp_gt_u32_e64 s12, s28, v23
	v_lshlrev_b32_e32 v53, 3, v23
                                        ; implicit-def: $vgpr23_vgpr24
	s_and_saveexec_b32 s14, s12
	s_cbranch_execz .LBB275_31
; %bb.30:
	s_delay_alu instid0(VALU_DEP_1) | instskip(NEXT) | instid1(VALU_DEP_1)
	v_add_co_u32 v23, s13, v66, v53
	v_add_co_ci_u32_e64 v24, s13, 0, v64, s13
	flat_load_b64 v[23:24], v[23:24]
.LBB275_31:
	s_or_b32 exec_lo, exec_lo, s14
	v_or_b32_e32 v25, 0xc00, v0
	s_delay_alu instid0(VALU_DEP_1) | instskip(SKIP_1) | instid1(VALU_DEP_2)
	v_cmp_gt_u32_e64 s13, s28, v25
	v_lshlrev_b32_e32 v55, 3, v25
                                        ; implicit-def: $vgpr25_vgpr26
	s_and_saveexec_b32 s15, s13
	s_cbranch_execz .LBB275_33
; %bb.32:
	s_delay_alu instid0(VALU_DEP_1) | instskip(NEXT) | instid1(VALU_DEP_1)
	v_add_co_u32 v25, s14, v66, v55
	v_add_co_ci_u32_e64 v26, s14, 0, v64, s14
	flat_load_b64 v[25:26], v[25:26]
.LBB275_33:
	s_or_b32 exec_lo, exec_lo, s15
	v_or_b32_e32 v27, 0xd00, v0
	s_delay_alu instid0(VALU_DEP_1) | instskip(SKIP_1) | instid1(VALU_DEP_2)
	v_cmp_gt_u32_e64 s14, s28, v27
	v_lshlrev_b32_e32 v59, 3, v27
                                        ; implicit-def: $vgpr27_vgpr28
	s_and_saveexec_b32 s16, s14
	s_cbranch_execz .LBB275_35
; %bb.34:
	s_delay_alu instid0(VALU_DEP_1) | instskip(NEXT) | instid1(VALU_DEP_1)
	v_add_co_u32 v27, s15, v66, v59
	v_add_co_ci_u32_e64 v28, s15, 0, v64, s15
	flat_load_b64 v[27:28], v[27:28]
.LBB275_35:
	s_or_b32 exec_lo, exec_lo, s16
	v_or_b32_e32 v29, 0xe00, v0
	s_delay_alu instid0(VALU_DEP_1) | instskip(SKIP_1) | instid1(VALU_DEP_2)
	v_cmp_gt_u32_e64 s15, s28, v29
	v_lshlrev_b32_e32 v67, 3, v29
                                        ; implicit-def: $vgpr29_vgpr30
	s_and_saveexec_b32 s29, s15
	s_cbranch_execz .LBB275_37
; %bb.36:
	s_delay_alu instid0(VALU_DEP_1) | instskip(NEXT) | instid1(VALU_DEP_1)
	v_add_co_u32 v29, s16, v66, v67
	v_add_co_ci_u32_e64 v30, s16, 0, v64, s16
	flat_load_b64 v[29:30], v[29:30]
.LBB275_37:
	s_or_b32 exec_lo, exec_lo, s29
	v_lshlrev_b32_e32 v65, 3, v0
	s_waitcnt vmcnt(0) lgkmcnt(0)
	ds_store_2addr_stride64_b64 v65, v[1:2], v[3:4] offset1:4
	ds_store_2addr_stride64_b64 v65, v[5:6], v[7:8] offset0:8 offset1:12
	ds_store_2addr_stride64_b64 v65, v[9:10], v[11:12] offset0:16 offset1:20
	;; [unrolled: 1-line block ×6, first 2 shown]
	v_mad_u32_u24 v63, 0x70, v0, v65
	ds_store_b64 v65, v[29:30] offset:28672
	s_waitcnt lgkmcnt(0)
	s_barrier
	buffer_gl0_inv
	ds_load_2addr_b64 v[25:28], v63 offset1:1
	ds_load_2addr_b64 v[21:24], v63 offset0:2 offset1:3
	ds_load_2addr_b64 v[17:20], v63 offset0:4 offset1:5
	;; [unrolled: 1-line block ×6, first 2 shown]
	ds_load_b64 v[57:58], v63 offset:112
	s_waitcnt lgkmcnt(0)
	s_barrier
	buffer_gl0_inv
                                        ; implicit-def: $vgpr29_vgpr30
	s_and_saveexec_b32 s16, vcc_lo
	s_cbranch_execnz .LBB275_61
; %bb.38:
	s_or_b32 exec_lo, exec_lo, s16
                                        ; implicit-def: $vgpr31_vgpr32
	s_and_saveexec_b32 s16, s0
	s_cbranch_execnz .LBB275_62
.LBB275_39:
	s_or_b32 exec_lo, exec_lo, s16
                                        ; implicit-def: $vgpr33_vgpr34
	s_and_saveexec_b32 s0, s1
	s_cbranch_execnz .LBB275_63
.LBB275_40:
	s_or_b32 exec_lo, exec_lo, s0
                                        ; implicit-def: $vgpr35_vgpr36
	s_and_saveexec_b32 s0, s4
	s_cbranch_execnz .LBB275_64
.LBB275_41:
	s_or_b32 exec_lo, exec_lo, s0
                                        ; implicit-def: $vgpr37_vgpr38
	s_and_saveexec_b32 s0, s5
	s_cbranch_execnz .LBB275_65
.LBB275_42:
	s_or_b32 exec_lo, exec_lo, s0
                                        ; implicit-def: $vgpr39_vgpr40
	s_and_saveexec_b32 s0, s6
	s_cbranch_execnz .LBB275_66
.LBB275_43:
	s_or_b32 exec_lo, exec_lo, s0
                                        ; implicit-def: $vgpr41_vgpr42
	s_and_saveexec_b32 s0, s7
	s_cbranch_execnz .LBB275_67
.LBB275_44:
	s_or_b32 exec_lo, exec_lo, s0
                                        ; implicit-def: $vgpr43_vgpr44
	s_and_saveexec_b32 s0, s8
	s_cbranch_execnz .LBB275_68
.LBB275_45:
	s_or_b32 exec_lo, exec_lo, s0
                                        ; implicit-def: $vgpr45_vgpr46
	s_and_saveexec_b32 s0, s9
	s_cbranch_execnz .LBB275_69
.LBB275_46:
	s_or_b32 exec_lo, exec_lo, s0
                                        ; implicit-def: $vgpr47_vgpr48
	s_and_saveexec_b32 s0, s10
	s_cbranch_execnz .LBB275_70
.LBB275_47:
	s_or_b32 exec_lo, exec_lo, s0
                                        ; implicit-def: $vgpr49_vgpr50
	s_and_saveexec_b32 s0, s11
	s_cbranch_execnz .LBB275_71
.LBB275_48:
	s_or_b32 exec_lo, exec_lo, s0
                                        ; implicit-def: $vgpr51_vgpr52
	s_and_saveexec_b32 s0, s12
	s_cbranch_execnz .LBB275_72
.LBB275_49:
	s_or_b32 exec_lo, exec_lo, s0
                                        ; implicit-def: $vgpr53_vgpr54
	s_and_saveexec_b32 s0, s13
	s_cbranch_execnz .LBB275_73
.LBB275_50:
	s_or_b32 exec_lo, exec_lo, s0
                                        ; implicit-def: $vgpr55_vgpr56
	s_and_saveexec_b32 s0, s14
	s_cbranch_execnz .LBB275_74
.LBB275_51:
	s_or_b32 exec_lo, exec_lo, s0
                                        ; implicit-def: $vgpr59_vgpr60
	s_and_saveexec_b32 s0, s15
	s_cbranch_execz .LBB275_53
.LBB275_52:
	v_add_co_u32 v59, vcc_lo, v61, v67
	v_add_co_ci_u32_e32 v60, vcc_lo, 0, v62, vcc_lo
	flat_load_b64 v[59:60], v[59:60]
.LBB275_53:
	s_or_b32 exec_lo, exec_lo, s0
	s_waitcnt vmcnt(0) lgkmcnt(0)
	ds_store_2addr_stride64_b64 v65, v[29:30], v[31:32] offset1:4
	ds_store_2addr_stride64_b64 v65, v[33:34], v[35:36] offset0:8 offset1:12
	ds_store_2addr_stride64_b64 v65, v[37:38], v[39:40] offset0:16 offset1:20
	;; [unrolled: 1-line block ×6, first 2 shown]
	ds_store_b64 v65, v[59:60] offset:28672
	s_waitcnt lgkmcnt(0)
	s_barrier
.LBB275_54:
	buffer_gl0_inv
	ds_load_2addr_b64 v[53:56], v63 offset1:1
	ds_load_2addr_b64 v[49:52], v63 offset0:2 offset1:3
	ds_load_2addr_b64 v[45:48], v63 offset0:4 offset1:5
	;; [unrolled: 1-line block ×6, first 2 shown]
	ds_load_b64 v[59:60], v63 offset:112
	s_cmp_eq_u64 s[26:27], 0
	s_waitcnt lgkmcnt(0)
	s_cselect_b32 s29, -1, 0
	s_cmp_lg_u64 s[26:27], 0
	s_barrier
	s_cselect_b32 s15, -1, 0
	s_and_b32 vcc_lo, exec_lo, s31
	buffer_gl0_inv
	s_cbranch_vccz .LBB275_60
; %bb.55:
	s_and_b32 vcc_lo, exec_lo, s15
	s_cbranch_vccz .LBB275_75
; %bb.56:
	v_add_co_u32 v61, vcc_lo, -8, v66
	v_add_co_ci_u32_e32 v62, vcc_lo, -1, v64, vcc_lo
	v_cmp_ne_u64_e64 s0, v[3:4], v[57:58]
	v_cmp_ne_u64_e64 s1, v[1:2], v[3:4]
	v_cmp_ne_u64_e64 s4, v[7:8], v[1:2]
	flat_load_b64 v[61:62], v[61:62]
	v_cmp_ne_u64_e64 s5, v[5:6], v[7:8]
	v_cmp_ne_u64_e64 s6, v[11:12], v[5:6]
	;; [unrolled: 1-line block ×10, first 2 shown]
	v_cmp_ne_u64_e32 vcc_lo, v[25:26], v[27:28]
	v_lshlrev_b32_e32 v63, 3, v0
	s_mov_b32 s31, -1
	ds_store_b64 v63, v[57:58]
	s_waitcnt vmcnt(0) lgkmcnt(0)
	s_barrier
	buffer_gl0_inv
	s_and_saveexec_b32 s16, s3
	s_cbranch_execz .LBB275_58
; %bb.57:
	v_add_nc_u32_e32 v61, -8, v63
	ds_load_b64 v[61:62], v61
.LBB275_58:
	s_or_b32 exec_lo, exec_lo, s16
	v_cndmask_b32_e64 v104, 0, 1, s0
	v_cndmask_b32_e64 v99, 0, 1, s1
	;; [unrolled: 1-line block ×13, first 2 shown]
	s_waitcnt lgkmcnt(0)
	v_cmp_ne_u64_e64 s0, v[61:62], v[25:26]
	v_cndmask_b32_e64 v112, 0, 1, vcc_lo
.LBB275_59:
                                        ; implicit-def: $sgpr1
	s_branch .LBB275_87
.LBB275_60:
	s_mov_b32 s31, 0
                                        ; implicit-def: $sgpr0
                                        ; implicit-def: $vgpr104
                                        ; implicit-def: $vgpr99
                                        ; implicit-def: $vgpr100
                                        ; implicit-def: $vgpr101
                                        ; implicit-def: $vgpr102
                                        ; implicit-def: $vgpr103
                                        ; implicit-def: $vgpr105
                                        ; implicit-def: $vgpr106
                                        ; implicit-def: $vgpr107
                                        ; implicit-def: $vgpr108
                                        ; implicit-def: $vgpr109
                                        ; implicit-def: $vgpr110
                                        ; implicit-def: $vgpr111
                                        ; implicit-def: $vgpr112
                                        ; implicit-def: $sgpr1
	s_cbranch_execnz .LBB275_79
	s_branch .LBB275_87
.LBB275_61:
	v_add_co_u32 v29, vcc_lo, v61, v65
	v_add_co_ci_u32_e32 v30, vcc_lo, 0, v62, vcc_lo
	flat_load_b64 v[29:30], v[29:30]
	s_or_b32 exec_lo, exec_lo, s16
                                        ; implicit-def: $vgpr31_vgpr32
	s_and_saveexec_b32 s16, s0
	s_cbranch_execz .LBB275_39
.LBB275_62:
	v_add_co_u32 v31, vcc_lo, v61, v65
	v_add_co_ci_u32_e32 v32, vcc_lo, 0, v62, vcc_lo
	flat_load_b64 v[31:32], v[31:32] offset:2048
	s_or_b32 exec_lo, exec_lo, s16
                                        ; implicit-def: $vgpr33_vgpr34
	s_and_saveexec_b32 s0, s1
	s_cbranch_execz .LBB275_40
.LBB275_63:
	v_add_co_u32 v33, vcc_lo, v61, v35
	v_add_co_ci_u32_e32 v34, vcc_lo, 0, v62, vcc_lo
	flat_load_b64 v[33:34], v[33:34]
	s_or_b32 exec_lo, exec_lo, s0
                                        ; implicit-def: $vgpr35_vgpr36
	s_and_saveexec_b32 s0, s4
	s_cbranch_execz .LBB275_41
.LBB275_64:
	v_add_co_u32 v35, vcc_lo, v61, v37
	v_add_co_ci_u32_e32 v36, vcc_lo, 0, v62, vcc_lo
	flat_load_b64 v[35:36], v[35:36]
	s_or_b32 exec_lo, exec_lo, s0
                                        ; implicit-def: $vgpr37_vgpr38
	s_and_saveexec_b32 s0, s5
	s_cbranch_execz .LBB275_42
.LBB275_65:
	v_add_co_u32 v37, vcc_lo, v61, v39
	v_add_co_ci_u32_e32 v38, vcc_lo, 0, v62, vcc_lo
	flat_load_b64 v[37:38], v[37:38]
	s_or_b32 exec_lo, exec_lo, s0
                                        ; implicit-def: $vgpr39_vgpr40
	s_and_saveexec_b32 s0, s6
	s_cbranch_execz .LBB275_43
.LBB275_66:
	v_add_co_u32 v39, vcc_lo, v61, v41
	v_add_co_ci_u32_e32 v40, vcc_lo, 0, v62, vcc_lo
	flat_load_b64 v[39:40], v[39:40]
	s_or_b32 exec_lo, exec_lo, s0
                                        ; implicit-def: $vgpr41_vgpr42
	s_and_saveexec_b32 s0, s7
	s_cbranch_execz .LBB275_44
.LBB275_67:
	v_add_co_u32 v41, vcc_lo, v61, v43
	v_add_co_ci_u32_e32 v42, vcc_lo, 0, v62, vcc_lo
	flat_load_b64 v[41:42], v[41:42]
	s_or_b32 exec_lo, exec_lo, s0
                                        ; implicit-def: $vgpr43_vgpr44
	s_and_saveexec_b32 s0, s8
	s_cbranch_execz .LBB275_45
.LBB275_68:
	v_add_co_u32 v43, vcc_lo, v61, v45
	v_add_co_ci_u32_e32 v44, vcc_lo, 0, v62, vcc_lo
	flat_load_b64 v[43:44], v[43:44]
	s_or_b32 exec_lo, exec_lo, s0
                                        ; implicit-def: $vgpr45_vgpr46
	s_and_saveexec_b32 s0, s9
	s_cbranch_execz .LBB275_46
.LBB275_69:
	v_add_co_u32 v45, vcc_lo, v61, v47
	v_add_co_ci_u32_e32 v46, vcc_lo, 0, v62, vcc_lo
	flat_load_b64 v[45:46], v[45:46]
	s_or_b32 exec_lo, exec_lo, s0
                                        ; implicit-def: $vgpr47_vgpr48
	s_and_saveexec_b32 s0, s10
	s_cbranch_execz .LBB275_47
.LBB275_70:
	v_add_co_u32 v47, vcc_lo, v61, v49
	v_add_co_ci_u32_e32 v48, vcc_lo, 0, v62, vcc_lo
	flat_load_b64 v[47:48], v[47:48]
	s_or_b32 exec_lo, exec_lo, s0
                                        ; implicit-def: $vgpr49_vgpr50
	s_and_saveexec_b32 s0, s11
	s_cbranch_execz .LBB275_48
.LBB275_71:
	v_add_co_u32 v49, vcc_lo, v61, v51
	v_add_co_ci_u32_e32 v50, vcc_lo, 0, v62, vcc_lo
	flat_load_b64 v[49:50], v[49:50]
	s_or_b32 exec_lo, exec_lo, s0
                                        ; implicit-def: $vgpr51_vgpr52
	s_and_saveexec_b32 s0, s12
	s_cbranch_execz .LBB275_49
.LBB275_72:
	v_add_co_u32 v51, vcc_lo, v61, v53
	v_add_co_ci_u32_e32 v52, vcc_lo, 0, v62, vcc_lo
	flat_load_b64 v[51:52], v[51:52]
	s_or_b32 exec_lo, exec_lo, s0
                                        ; implicit-def: $vgpr53_vgpr54
	s_and_saveexec_b32 s0, s13
	s_cbranch_execz .LBB275_50
.LBB275_73:
	v_add_co_u32 v53, vcc_lo, v61, v55
	v_add_co_ci_u32_e32 v54, vcc_lo, 0, v62, vcc_lo
	flat_load_b64 v[53:54], v[53:54]
	s_or_b32 exec_lo, exec_lo, s0
                                        ; implicit-def: $vgpr55_vgpr56
	s_and_saveexec_b32 s0, s14
	s_cbranch_execz .LBB275_51
.LBB275_74:
	v_add_co_u32 v55, vcc_lo, v61, v59
	v_add_co_ci_u32_e32 v56, vcc_lo, 0, v62, vcc_lo
	flat_load_b64 v[55:56], v[55:56]
	s_or_b32 exec_lo, exec_lo, s0
                                        ; implicit-def: $vgpr59_vgpr60
	s_and_saveexec_b32 s0, s15
	s_cbranch_execnz .LBB275_52
	s_branch .LBB275_53
.LBB275_75:
	s_mov_b32 s31, 0
                                        ; implicit-def: $sgpr0
                                        ; implicit-def: $vgpr104
                                        ; implicit-def: $vgpr99
                                        ; implicit-def: $vgpr100
                                        ; implicit-def: $vgpr101
                                        ; implicit-def: $vgpr102
                                        ; implicit-def: $vgpr103
                                        ; implicit-def: $vgpr105
                                        ; implicit-def: $vgpr106
                                        ; implicit-def: $vgpr107
                                        ; implicit-def: $vgpr108
                                        ; implicit-def: $vgpr109
                                        ; implicit-def: $vgpr110
                                        ; implicit-def: $vgpr111
                                        ; implicit-def: $vgpr112
	s_cbranch_execz .LBB275_59
; %bb.76:
	v_cmp_ne_u64_e32 vcc_lo, v[3:4], v[57:58]
	v_lshlrev_b32_e32 v61, 3, v0
                                        ; implicit-def: $sgpr0
	ds_store_b64 v61, v[57:58]
	v_cndmask_b32_e64 v104, 0, 1, vcc_lo
	v_cmp_ne_u64_e32 vcc_lo, v[1:2], v[3:4]
	s_waitcnt lgkmcnt(0)
	s_barrier
	buffer_gl0_inv
	v_cndmask_b32_e64 v99, 0, 1, vcc_lo
	v_cmp_ne_u64_e32 vcc_lo, v[7:8], v[1:2]
	v_cndmask_b32_e64 v100, 0, 1, vcc_lo
	v_cmp_ne_u64_e32 vcc_lo, v[5:6], v[7:8]
	;; [unrolled: 2-line block ×12, first 2 shown]
	v_cndmask_b32_e64 v112, 0, 1, vcc_lo
	s_and_saveexec_b32 s1, s3
	s_delay_alu instid0(SALU_CYCLE_1)
	s_xor_b32 s1, exec_lo, s1
	s_cbranch_execz .LBB275_78
; %bb.77:
	v_add_nc_u32_e32 v61, -8, v61
	s_or_b32 s31, s31, exec_lo
	ds_load_b64 v[61:62], v61
	s_waitcnt lgkmcnt(0)
	v_cmp_ne_u64_e32 vcc_lo, v[61:62], v[25:26]
	s_and_b32 s0, vcc_lo, exec_lo
.LBB275_78:
	s_or_b32 exec_lo, exec_lo, s1
	s_mov_b32 s1, 1
	s_branch .LBB275_87
.LBB275_79:
	s_mul_hi_u32 s0, s26, 0xfffff100
	s_mul_i32 s1, s27, 0xfffff100
	s_sub_i32 s0, s0, s26
	s_mul_i32 s4, s26, 0xfffff100
	s_add_i32 s0, s0, s1
	s_add_u32 s26, s4, s48
	s_addc_u32 s27, s0, s49
	s_and_b32 vcc_lo, exec_lo, s15
	v_cmp_ne_u64_e64 s14, v[3:4], v[57:58]
	v_cmp_ne_u64_e64 s15, v[1:2], v[3:4]
	;; [unrolled: 1-line block ×14, first 2 shown]
	v_mad_u32_u24 v61, v0, 15, 14
	v_mad_u32_u24 v87, v0, 15, 13
	;; [unrolled: 1-line block ×14, first 2 shown]
	s_cbranch_vccz .LBB275_84
; %bb.80:
	v_add_co_u32 v88, vcc_lo, -8, v66
	v_add_co_ci_u32_e32 v89, vcc_lo, -1, v64, vcc_lo
	v_mov_b32_e32 v62, 0
	v_lshlrev_b32_e32 v92, 3, v0
	v_mul_u32_u24_e32 v91, 15, v0
	flat_load_b64 v[89:90], v[88:89]
	s_mov_b32 s31, -1
	v_cmp_gt_u64_e32 vcc_lo, s[26:27], v[61:62]
	v_mov_b32_e32 v88, v62
	v_mov_b32_e32 v86, v62
	;; [unrolled: 1-line block ×5, first 2 shown]
	v_cmp_gt_u64_e64 s16, s[26:27], v[87:88]
	s_and_b32 s34, vcc_lo, s14
	v_cmp_gt_u64_e32 vcc_lo, s[26:27], v[85:86]
	v_mov_b32_e32 v78, v62
	v_mov_b32_e32 v76, v62
	v_cmp_gt_u64_e64 s14, s[26:27], v[83:84]
	s_and_b32 s35, s16, s15
	v_mov_b32_e32 v74, v62
	s_and_b32 s44, vcc_lo, s13
	v_cmp_gt_u64_e32 vcc_lo, s[26:27], v[81:82]
	v_cmp_gt_u64_e64 s13, s[26:27], v[79:80]
	v_cmp_gt_u64_e64 s15, s[26:27], v[77:78]
	;; [unrolled: 1-line block ×3, first 2 shown]
	v_mov_b32_e32 v72, v62
	v_mov_b32_e32 v70, v62
	;; [unrolled: 1-line block ×5, first 2 shown]
	s_and_b32 s14, s14, s12
	s_and_b32 s45, vcc_lo, s8
	s_and_b32 s46, s13, s9
	s_and_b32 s15, s15, s10
	s_and_b32 s13, s16, s11
	v_cmp_gt_u64_e32 vcc_lo, s[26:27], v[73:74]
	v_cmp_gt_u64_e64 s8, s[26:27], v[71:72]
	v_cmp_gt_u64_e64 s9, s[26:27], v[69:70]
	;; [unrolled: 1-line block ×5, first 2 shown]
	s_mov_b32 s33, 0
	s_and_b32 s0, vcc_lo, s0
	s_and_b32 s8, s8, s1
	s_and_b32 s9, s9, s4
	;; [unrolled: 1-line block ×5, first 2 shown]
	ds_store_b64 v92, v[57:58]
	s_waitcnt vmcnt(0) lgkmcnt(0)
	s_barrier
	buffer_gl0_inv
	s_and_saveexec_b32 s6, s3
	s_cbranch_execz .LBB275_82
; %bb.81:
	v_add_nc_u32_e32 v64, -8, v92
	ds_load_b64 v[89:90], v64
.LBB275_82:
	s_or_b32 exec_lo, exec_lo, s6
	v_mov_b32_e32 v92, v62
	v_cndmask_b32_e64 v107, 0, 1, s0
	s_waitcnt lgkmcnt(0)
	v_cmp_ne_u64_e64 s0, v[89:90], v[25:26]
	v_cndmask_b32_e64 v104, 0, 1, s34
	v_cndmask_b32_e64 v99, 0, 1, s35
	v_cmp_gt_u64_e32 vcc_lo, s[26:27], v[91:92]
	v_cndmask_b32_e64 v100, 0, 1, s44
	v_cndmask_b32_e64 v101, 0, 1, s14
	;; [unrolled: 1-line block ×11, first 2 shown]
	s_and_b32 s0, vcc_lo, s0
	s_and_b32 vcc_lo, exec_lo, s33
	s_cbranch_vccnz .LBB275_85
.LBB275_83:
                                        ; implicit-def: $sgpr1
	v_mov_b32_e32 v113, s1
	s_and_saveexec_b32 s1, s31
	s_cbranch_execnz .LBB275_88
	s_branch .LBB275_89
.LBB275_84:
                                        ; implicit-def: $sgpr0
                                        ; implicit-def: $vgpr104
                                        ; implicit-def: $vgpr99
                                        ; implicit-def: $vgpr100
                                        ; implicit-def: $vgpr101
                                        ; implicit-def: $vgpr102
                                        ; implicit-def: $vgpr103
                                        ; implicit-def: $vgpr105
                                        ; implicit-def: $vgpr106
                                        ; implicit-def: $vgpr107
                                        ; implicit-def: $vgpr108
                                        ; implicit-def: $vgpr109
                                        ; implicit-def: $vgpr110
                                        ; implicit-def: $vgpr111
                                        ; implicit-def: $vgpr112
	s_cbranch_execz .LBB275_83
.LBB275_85:
	v_dual_mov_b32 v62, 0 :: v_dual_lshlrev_b32 v89, 3, v0
	v_cmp_ne_u64_e64 s0, v[1:2], v[3:4]
	v_cmp_ne_u64_e32 vcc_lo, v[3:4], v[57:58]
	v_cmp_ne_u64_e64 s4, v[7:8], v[1:2]
	s_delay_alu instid0(VALU_DEP_4)
	v_mov_b32_e32 v88, v62
	v_mov_b32_e32 v86, v62
	v_cmp_gt_u64_e64 s1, s[26:27], v[61:62]
	v_mov_b32_e32 v82, v62
	v_mov_b32_e32 v84, v62
	v_cmp_gt_u64_e64 s5, s[26:27], v[87:88]
	v_cmp_gt_u64_e64 s6, s[26:27], v[85:86]
	v_mov_b32_e32 v78, v62
	s_and_b32 s1, s1, vcc_lo
	v_cmp_gt_u64_e64 s7, s[26:27], v[83:84]
	v_cndmask_b32_e64 v104, 0, 1, s1
	s_and_b32 s0, s5, s0
	v_cmp_ne_u64_e64 s1, v[11:12], v[5:6]
	v_cndmask_b32_e64 v99, 0, 1, s0
	s_and_b32 s0, s6, s4
	v_cmp_ne_u64_e32 vcc_lo, v[5:6], v[7:8]
	v_cndmask_b32_e64 v100, 0, 1, s0
	v_cmp_gt_u64_e64 s0, s[26:27], v[81:82]
	v_mov_b32_e32 v80, v62
	v_mov_b32_e32 v74, v62
	;; [unrolled: 1-line block ×3, first 2 shown]
	s_and_b32 s4, s7, vcc_lo
	v_mov_b32_e32 v76, v62
	s_and_b32 s0, s0, s1
	v_cmp_ne_u64_e64 s1, v[15:16], v[9:10]
	v_cndmask_b32_e64 v102, 0, 1, s0
	v_cmp_gt_u64_e64 s0, s[26:27], v[77:78]
	v_cndmask_b32_e64 v101, 0, 1, s4
	v_cmp_gt_u64_e32 vcc_lo, s[26:27], v[79:80]
	v_cmp_ne_u64_e64 s4, v[9:10], v[11:12]
	v_cmp_gt_u64_e64 s5, s[26:27], v[71:72]
	v_cmp_ne_u64_e64 s6, v[17:18], v[19:20]
	s_and_b32 s0, s0, s1
	v_cmp_ne_u64_e64 s1, v[19:20], v[13:14]
	v_cndmask_b32_e64 v105, 0, 1, s0
	v_cmp_gt_u64_e64 s0, s[26:27], v[73:74]
	s_and_b32 s4, vcc_lo, s4
	v_cmp_gt_u64_e32 vcc_lo, s[26:27], v[75:76]
	v_cndmask_b32_e64 v103, 0, 1, s4
	v_cmp_ne_u64_e64 s4, v[13:14], v[15:16]
	v_mov_b32_e32 v70, v62
	s_and_b32 s0, s0, s1
	v_mov_b32_e32 v68, v62
	v_cndmask_b32_e64 v107, 0, 1, s0
	s_and_b32 s0, s5, s6
	v_mov_b32_e32 v66, v62
	s_and_b32 s4, vcc_lo, s4
	v_cndmask_b32_e64 v108, 0, 1, s0
	v_cmp_gt_u64_e32 vcc_lo, s[26:27], v[69:70]
	v_cmp_ne_u64_e64 s0, v[23:24], v[17:18]
	v_mov_b32_e32 v64, v62
	v_cndmask_b32_e64 v106, 0, 1, s4
	v_cmp_gt_u64_e64 s1, s[26:27], v[67:68]
	v_cmp_ne_u64_e64 s4, v[21:22], v[23:24]
	v_cmp_gt_u64_e64 s5, s[26:27], v[65:66]
	v_cmp_ne_u64_e64 s6, v[27:28], v[21:22]
	;; [unrolled: 2-line block ×3, first 2 shown]
	s_and_b32 s0, vcc_lo, s0
	ds_store_b64 v89, v[57:58]
	v_cndmask_b32_e64 v109, 0, 1, s0
	s_and_b32 s0, s1, s4
	s_mov_b32 s1, 1
	v_cndmask_b32_e64 v110, 0, 1, s0
	s_and_b32 s0, s5, s6
	s_waitcnt lgkmcnt(0)
	v_cndmask_b32_e64 v111, 0, 1, s0
	s_and_b32 s0, s7, s8
	s_barrier
	v_cndmask_b32_e64 v112, 0, 1, s0
	buffer_gl0_inv
                                        ; implicit-def: $sgpr0
	s_and_saveexec_b32 s4, s3
	s_cbranch_execz .LBB275_220
; %bb.86:
	v_add_nc_u32_e32 v61, -8, v89
	s_or_b32 s31, s31, exec_lo
	ds_load_b64 v[63:64], v61
	v_mul_u32_u24_e32 v61, 15, v0
	s_delay_alu instid0(VALU_DEP_1) | instskip(SKIP_2) | instid1(VALU_DEP_1)
	v_cmp_gt_u64_e32 vcc_lo, s[26:27], v[61:62]
	s_waitcnt lgkmcnt(0)
	v_cmp_ne_u64_e64 s0, v[63:64], v[25:26]
	s_and_b32 s0, vcc_lo, s0
	s_delay_alu instid0(SALU_CYCLE_1)
	s_and_b32 s0, s0, exec_lo
	s_or_b32 exec_lo, exec_lo, s4
.LBB275_87:
	v_mov_b32_e32 v113, s1
	s_and_saveexec_b32 s1, s31
.LBB275_88:
	s_delay_alu instid0(VALU_DEP_3)
	v_cndmask_b32_e64 v113, 0, 1, s0
.LBB275_89:
	s_or_b32 exec_lo, exec_lo, s1
	s_delay_alu instid0(VALU_DEP_1)
	v_add3_u32 v61, v112, v113, v111
	v_dual_mov_b32 v95, v53 :: v_dual_mov_b32 v96, v54
	v_cmp_eq_u32_e64 s13, 0, v112
	v_cmp_eq_u32_e64 s12, 0, v111
	;; [unrolled: 1-line block ×3, first 2 shown]
	v_add3_u32 v116, v61, v110, v109
	v_cmp_eq_u32_e64 s10, 0, v109
	v_cmp_eq_u32_e64 s9, 0, v108
	;; [unrolled: 1-line block ×10, first 2 shown]
	v_cmp_eq_u32_e32 vcc_lo, 0, v104
	v_mbcnt_lo_u32_b32 v115, -1, 0
	s_cmp_eq_u64 s[42:43], 0
	s_cselect_b32 s15, -1, 0
	s_cmp_lg_u32 s30, 0
	s_cbranch_scc0 .LBB275_152
; %bb.90:
	v_cndmask_b32_e64 v61, 0, v53, s13
	v_cndmask_b32_e64 v62, 0, v54, s13
	v_add3_u32 v63, v116, v108, v107
	s_delay_alu instid0(VALU_DEP_3) | instskip(NEXT) | instid1(VALU_DEP_1)
	v_add_co_u32 v61, s14, v61, v55
	v_add_co_ci_u32_e64 v62, s14, v62, v56, s14
	s_delay_alu instid0(VALU_DEP_3) | instskip(NEXT) | instid1(VALU_DEP_3)
	v_add3_u32 v63, v63, v106, v105
	v_cndmask_b32_e64 v61, 0, v61, s12
	s_delay_alu instid0(VALU_DEP_3) | instskip(NEXT) | instid1(VALU_DEP_3)
	v_cndmask_b32_e64 v62, 0, v62, s12
	v_add3_u32 v63, v63, v103, v102
	s_delay_alu instid0(VALU_DEP_3) | instskip(NEXT) | instid1(VALU_DEP_1)
	v_add_co_u32 v61, s14, v61, v49
	v_add_co_ci_u32_e64 v62, s14, v62, v50, s14
	s_delay_alu instid0(VALU_DEP_3) | instskip(NEXT) | instid1(VALU_DEP_3)
	v_add3_u32 v63, v63, v101, v100
	v_cndmask_b32_e64 v61, 0, v61, s11
	s_delay_alu instid0(VALU_DEP_3) | instskip(NEXT) | instid1(VALU_DEP_3)
	v_cndmask_b32_e64 v62, 0, v62, s11
	v_add3_u32 v65, v63, v99, v104
	s_delay_alu instid0(VALU_DEP_3) | instskip(NEXT) | instid1(VALU_DEP_1)
	v_add_co_u32 v61, s14, v61, v51
	v_add_co_ci_u32_e64 v62, s14, v62, v52, s14
	s_delay_alu instid0(VALU_DEP_2) | instskip(NEXT) | instid1(VALU_DEP_2)
	v_cndmask_b32_e64 v61, 0, v61, s10
	v_cndmask_b32_e64 v62, 0, v62, s10
	s_delay_alu instid0(VALU_DEP_2) | instskip(NEXT) | instid1(VALU_DEP_1)
	v_add_co_u32 v61, s14, v61, v45
	v_add_co_ci_u32_e64 v62, s14, v62, v46, s14
	s_delay_alu instid0(VALU_DEP_2) | instskip(NEXT) | instid1(VALU_DEP_2)
	v_cndmask_b32_e64 v61, 0, v61, s9
	v_cndmask_b32_e64 v62, 0, v62, s9
	s_delay_alu instid0(VALU_DEP_2) | instskip(NEXT) | instid1(VALU_DEP_1)
	;; [unrolled: 6-line block ×10, first 2 shown]
	v_add_co_u32 v61, s14, v61, v31
	v_add_co_ci_u32_e64 v62, s14, v62, v32, s14
	s_mov_b32 s14, exec_lo
	s_delay_alu instid0(VALU_DEP_1) | instskip(NEXT) | instid1(VALU_DEP_1)
	v_dual_cndmask_b32 v61, 0, v61 :: v_dual_cndmask_b32 v62, 0, v62
	v_add_co_u32 v63, vcc_lo, v61, v59
	s_delay_alu instid0(VALU_DEP_2) | instskip(SKIP_2) | instid1(VALU_DEP_4)
	v_add_co_ci_u32_e32 v64, vcc_lo, v62, v60, vcc_lo
	v_and_b32_e32 v61, 15, v115
	v_mov_b32_dpp v62, v65 row_shr:1 row_mask:0xf bank_mask:0xf
	v_mov_b32_dpp v66, v63 row_shr:1 row_mask:0xf bank_mask:0xf
	s_delay_alu instid0(VALU_DEP_4) | instskip(NEXT) | instid1(VALU_DEP_4)
	v_mov_b32_dpp v67, v64 row_shr:1 row_mask:0xf bank_mask:0xf
	v_cmpx_ne_u32_e32 0, v61
; %bb.91:
	v_cmp_eq_u32_e32 vcc_lo, 0, v65
	v_add_nc_u32_e32 v65, v62, v65
	s_delay_alu instid0(VALU_DEP_4) | instskip(NEXT) | instid1(VALU_DEP_1)
	v_dual_cndmask_b32 v67, 0, v67 :: v_dual_cndmask_b32 v66, 0, v66
	v_add_co_u32 v63, vcc_lo, v66, v63
	s_delay_alu instid0(VALU_DEP_2)
	v_add_co_ci_u32_e32 v64, vcc_lo, v67, v64, vcc_lo
; %bb.92:
	s_or_b32 exec_lo, exec_lo, s14
	v_mov_b32_dpp v62, v65 row_shr:2 row_mask:0xf bank_mask:0xf
	s_delay_alu instid0(VALU_DEP_3) | instskip(NEXT) | instid1(VALU_DEP_3)
	v_mov_b32_dpp v66, v63 row_shr:2 row_mask:0xf bank_mask:0xf
	v_mov_b32_dpp v67, v64 row_shr:2 row_mask:0xf bank_mask:0xf
	s_mov_b32 s14, exec_lo
	v_cmpx_lt_u32_e32 1, v61
; %bb.93:
	v_cmp_eq_u32_e32 vcc_lo, 0, v65
	v_add_nc_u32_e32 v65, v62, v65
	v_dual_cndmask_b32 v67, 0, v67 :: v_dual_cndmask_b32 v66, 0, v66
	s_delay_alu instid0(VALU_DEP_1) | instskip(NEXT) | instid1(VALU_DEP_2)
	v_add_co_u32 v63, vcc_lo, v66, v63
	v_add_co_ci_u32_e32 v64, vcc_lo, v67, v64, vcc_lo
; %bb.94:
	s_or_b32 exec_lo, exec_lo, s14
	v_mov_b32_dpp v62, v65 row_shr:4 row_mask:0xf bank_mask:0xf
	s_delay_alu instid0(VALU_DEP_3) | instskip(NEXT) | instid1(VALU_DEP_3)
	v_mov_b32_dpp v66, v63 row_shr:4 row_mask:0xf bank_mask:0xf
	v_mov_b32_dpp v67, v64 row_shr:4 row_mask:0xf bank_mask:0xf
	s_mov_b32 s14, exec_lo
	v_cmpx_lt_u32_e32 3, v61
; %bb.95:
	v_cmp_eq_u32_e32 vcc_lo, 0, v65
	v_add_nc_u32_e32 v65, v62, v65
	v_dual_cndmask_b32 v67, 0, v67 :: v_dual_cndmask_b32 v66, 0, v66
	s_delay_alu instid0(VALU_DEP_1) | instskip(NEXT) | instid1(VALU_DEP_2)
	v_add_co_u32 v63, vcc_lo, v66, v63
	;; [unrolled: 15-line block ×3, first 2 shown]
	v_add_co_ci_u32_e32 v64, vcc_lo, v61, v64, vcc_lo
; %bb.98:
	s_or_b32 exec_lo, exec_lo, s14
	ds_swizzle_b32 v61, v65 offset:swizzle(BROADCAST,32,15)
	ds_swizzle_b32 v62, v63 offset:swizzle(BROADCAST,32,15)
	;; [unrolled: 1-line block ×3, first 2 shown]
	v_and_b32_e32 v67, 16, v115
	s_mov_b32 s14, exec_lo
	s_delay_alu instid0(VALU_DEP_1)
	v_cmpx_ne_u32_e32 0, v67
	s_cbranch_execz .LBB275_100
; %bb.99:
	v_cmp_eq_u32_e32 vcc_lo, 0, v65
	s_waitcnt lgkmcnt(1)
	v_dual_cndmask_b32 v62, 0, v62 :: v_dual_add_nc_u32 v65, v61, v65
	s_waitcnt lgkmcnt(0)
	v_cndmask_b32_e32 v66, 0, v66, vcc_lo
	s_delay_alu instid0(VALU_DEP_2) | instskip(NEXT) | instid1(VALU_DEP_2)
	v_add_co_u32 v63, vcc_lo, v62, v63
	v_add_co_ci_u32_e32 v64, vcc_lo, v66, v64, vcc_lo
.LBB275_100:
	s_or_b32 exec_lo, exec_lo, s14
	s_waitcnt lgkmcnt(1)
	v_lshrrev_b32_e32 v62, 5, v0
	v_or_b32_e32 v61, 31, v0
	s_mov_b32 s14, exec_lo
	s_waitcnt lgkmcnt(0)
	s_delay_alu instid0(VALU_DEP_2) | instskip(NEXT) | instid1(VALU_DEP_2)
	v_lshlrev_b32_e32 v66, 4, v62
	v_cmpx_eq_u32_e64 v61, v0
	s_cbranch_execz .LBB275_102
; %bb.101:
	ds_store_b32 v66, v65 offset:4128
	ds_store_b64 v66, v[63:64] offset:4136
.LBB275_102:
	s_or_b32 exec_lo, exec_lo, s14
	s_delay_alu instid0(SALU_CYCLE_1)
	s_mov_b32 s14, exec_lo
	s_waitcnt lgkmcnt(0)
	s_barrier
	buffer_gl0_inv
	v_cmpx_gt_u32_e32 8, v0
	s_cbranch_execz .LBB275_110
; %bb.103:
	v_lshlrev_b32_e32 v67, 4, v0
	v_and_b32_e32 v69, 7, v115
	s_mov_b32 s16, exec_lo
	ds_load_b32 v68, v67 offset:4128
	ds_load_b64 v[61:62], v67 offset:4136
	s_waitcnt lgkmcnt(1)
	v_mov_b32_dpp v70, v68 row_shr:1 row_mask:0xf bank_mask:0xf
	s_waitcnt lgkmcnt(0)
	v_mov_b32_dpp v71, v61 row_shr:1 row_mask:0xf bank_mask:0xf
	v_mov_b32_dpp v72, v62 row_shr:1 row_mask:0xf bank_mask:0xf
	v_cmpx_ne_u32_e32 0, v69
; %bb.104:
	v_cmp_eq_u32_e32 vcc_lo, 0, v68
	v_add_nc_u32_e32 v68, v70, v68
	s_delay_alu instid0(VALU_DEP_4) | instskip(NEXT) | instid1(VALU_DEP_1)
	v_dual_cndmask_b32 v72, 0, v72 :: v_dual_cndmask_b32 v71, 0, v71
	v_add_co_u32 v61, vcc_lo, v71, v61
	s_delay_alu instid0(VALU_DEP_2)
	v_add_co_ci_u32_e32 v62, vcc_lo, v72, v62, vcc_lo
; %bb.105:
	s_or_b32 exec_lo, exec_lo, s16
	v_mov_b32_dpp v70, v68 row_shr:2 row_mask:0xf bank_mask:0xf
	s_delay_alu instid0(VALU_DEP_3) | instskip(NEXT) | instid1(VALU_DEP_3)
	v_mov_b32_dpp v71, v61 row_shr:2 row_mask:0xf bank_mask:0xf
	v_mov_b32_dpp v72, v62 row_shr:2 row_mask:0xf bank_mask:0xf
	s_mov_b32 s16, exec_lo
	v_cmpx_lt_u32_e32 1, v69
; %bb.106:
	v_cmp_eq_u32_e32 vcc_lo, 0, v68
	v_add_nc_u32_e32 v68, v70, v68
	v_dual_cndmask_b32 v72, 0, v72 :: v_dual_cndmask_b32 v71, 0, v71
	s_delay_alu instid0(VALU_DEP_1) | instskip(NEXT) | instid1(VALU_DEP_2)
	v_add_co_u32 v61, vcc_lo, v71, v61
	v_add_co_ci_u32_e32 v62, vcc_lo, v72, v62, vcc_lo
; %bb.107:
	s_or_b32 exec_lo, exec_lo, s16
	v_mov_b32_dpp v70, v68 row_shr:4 row_mask:0xf bank_mask:0xf
	s_delay_alu instid0(VALU_DEP_3) | instskip(NEXT) | instid1(VALU_DEP_3)
	v_mov_b32_dpp v71, v61 row_shr:4 row_mask:0xf bank_mask:0xf
	v_mov_b32_dpp v72, v62 row_shr:4 row_mask:0xf bank_mask:0xf
	s_mov_b32 s16, exec_lo
	v_cmpx_lt_u32_e32 3, v69
; %bb.108:
	v_cmp_eq_u32_e32 vcc_lo, 0, v68
	v_dual_cndmask_b32 v71, 0, v71 :: v_dual_add_nc_u32 v68, v70, v68
	v_cndmask_b32_e32 v69, 0, v72, vcc_lo
	s_delay_alu instid0(VALU_DEP_2) | instskip(NEXT) | instid1(VALU_DEP_2)
	v_add_co_u32 v61, vcc_lo, v71, v61
	v_add_co_ci_u32_e32 v62, vcc_lo, v69, v62, vcc_lo
; %bb.109:
	s_or_b32 exec_lo, exec_lo, s16
	ds_store_b32 v67, v68 offset:4128
	ds_store_b64 v67, v[61:62] offset:4136
.LBB275_110:
	s_or_b32 exec_lo, exec_lo, s14
	v_mov_b32_e32 v61, 0
	v_cmp_gt_u32_e32 vcc_lo, 32, v0
	v_dual_mov_b32 v62, 0 :: v_dual_mov_b32 v71, 0
	s_mov_b32 s16, exec_lo
	s_waitcnt lgkmcnt(0)
	s_barrier
	buffer_gl0_inv
	v_cmpx_lt_u32_e32 31, v0
	s_cbranch_execz .LBB275_112
; %bb.111:
	ds_load_b64 v[61:62], v66 offset:4120
	ds_load_b32 v71, v66 offset:4112
	v_cmp_eq_u32_e64 s14, 0, v65
	s_waitcnt lgkmcnt(1)
	s_delay_alu instid0(VALU_DEP_1) | instskip(SKIP_3) | instid1(VALU_DEP_3)
	v_cndmask_b32_e64 v67, 0, v61, s14
	v_cndmask_b32_e64 v66, 0, v62, s14
	s_waitcnt lgkmcnt(0)
	v_add_nc_u32_e32 v65, v71, v65
	v_add_co_u32 v63, s14, v67, v63
	s_delay_alu instid0(VALU_DEP_1)
	v_add_co_ci_u32_e64 v64, s14, v66, v64, s14
.LBB275_112:
	s_or_b32 exec_lo, exec_lo, s16
	v_add_nc_u32_e32 v66, -1, v115
	s_delay_alu instid0(VALU_DEP_1) | instskip(NEXT) | instid1(VALU_DEP_1)
	v_cmp_gt_i32_e64 s14, 0, v66
	v_cndmask_b32_e64 v66, v66, v115, s14
	v_cmp_eq_u32_e64 s14, 0, v115
	s_delay_alu instid0(VALU_DEP_2)
	v_lshlrev_b32_e32 v66, 2, v66
	ds_bpermute_b32 v74, v66, v65
	ds_bpermute_b32 v73, v66, v63
	;; [unrolled: 1-line block ×3, first 2 shown]
	s_and_saveexec_b32 s16, vcc_lo
	s_cbranch_execz .LBB275_151
; %bb.113:
	v_mov_b32_e32 v67, 0
	ds_load_b32 v75, v67 offset:4240
	ds_load_b64 v[63:64], v67 offset:4248
	s_and_saveexec_b32 s26, s14
	s_cbranch_execz .LBB275_115
; %bb.114:
	s_add_i32 s34, s30, 32
	s_mov_b32 s35, 0
	v_dual_mov_b32 v65, s34 :: v_dual_mov_b32 v66, 1
	s_lshl_b64 s[42:43], s[34:35], 4
	s_delay_alu instid0(SALU_CYCLE_1)
	s_add_u32 s34, s36, s42
	s_addc_u32 s35, s37, s43
	s_waitcnt lgkmcnt(1)
	global_store_b32 v67, v75, s[34:35]
	s_waitcnt lgkmcnt(0)
	global_store_b64 v67, v[63:64], s[34:35] offset:8
	s_waitcnt_vscnt null, 0x0
	buffer_gl1_inv
	buffer_gl0_inv
	global_store_b8 v65, v66, s[40:41]
.LBB275_115:
	s_or_b32 exec_lo, exec_lo, s26
	v_xad_u32 v65, v115, -1, s30
	s_mov_b32 s27, 0
	s_mov_b32 s26, exec_lo
	s_delay_alu instid0(VALU_DEP_1)
	v_add_nc_u32_e32 v66, 32, v65
	global_load_u8 v76, v66, s[40:41] glc
	s_waitcnt vmcnt(0)
	v_cmpx_eq_u16_e32 0, v76
	s_cbranch_execz .LBB275_119
; %bb.116:
	v_add_co_u32 v68, s31, s40, v66
	s_delay_alu instid0(VALU_DEP_1)
	v_add_co_ci_u32_e64 v69, null, s41, 0, s31
.LBB275_117:                            ; =>This Inner Loop Header: Depth=1
	global_load_u8 v76, v[68:69], off glc
	s_waitcnt vmcnt(0)
	v_cmp_ne_u16_e32 vcc_lo, 0, v76
	s_or_b32 s27, vcc_lo, s27
	s_delay_alu instid0(SALU_CYCLE_1)
	s_and_not1_b32 exec_lo, exec_lo, s27
	s_cbranch_execnz .LBB275_117
; %bb.118:
	s_or_b32 exec_lo, exec_lo, s27
.LBB275_119:
	s_delay_alu instid0(SALU_CYCLE_1)
	s_or_b32 exec_lo, exec_lo, s26
	v_dual_mov_b32 v68, s37 :: v_dual_mov_b32 v69, s36
	v_cmp_eq_u16_e32 vcc_lo, 1, v76
	v_lshlrev_b64 v[66:67], 4, v[66:67]
	s_waitcnt lgkmcnt(0)
	s_waitcnt_vscnt null, 0x0
	buffer_gl1_inv
	buffer_gl0_inv
	v_lshlrev_b32_e64 v78, v115, -1
	s_mov_b32 s26, exec_lo
	v_cndmask_b32_e32 v69, s38, v69, vcc_lo
	v_cndmask_b32_e32 v68, s39, v68, vcc_lo
	s_delay_alu instid0(VALU_DEP_2) | instskip(NEXT) | instid1(VALU_DEP_2)
	v_add_co_u32 v66, vcc_lo, v69, v66
	v_add_co_ci_u32_e32 v67, vcc_lo, v68, v67, vcc_lo
	v_cmp_ne_u32_e32 vcc_lo, 31, v115
	s_clause 0x1
	global_load_b32 v88, v[66:67], off
	global_load_b64 v[69:70], v[66:67], off offset:8
	v_add_co_ci_u32_e32 v66, vcc_lo, 0, v115, vcc_lo
	v_cmp_eq_u16_e32 vcc_lo, 2, v76
	s_delay_alu instid0(VALU_DEP_2) | instskip(SKIP_1) | instid1(VALU_DEP_1)
	v_lshlrev_b32_e32 v77, 2, v66
	v_and_or_b32 v66, vcc_lo, v78, 0x80000000
	v_ctz_i32_b32_e32 v66, v66
	s_waitcnt vmcnt(1)
	ds_bpermute_b32 v67, v77, v88
	s_waitcnt vmcnt(0)
	ds_bpermute_b32 v68, v77, v69
	ds_bpermute_b32 v79, v77, v70
	v_cmpx_lt_u32_e64 v115, v66
	s_cbranch_execz .LBB275_121
; %bb.120:
	v_cmp_eq_u32_e32 vcc_lo, 0, v88
	s_waitcnt lgkmcnt(0)
	v_dual_cndmask_b32 v79, 0, v79 :: v_dual_add_nc_u32 v88, v67, v88
	v_cndmask_b32_e32 v68, 0, v68, vcc_lo
	s_delay_alu instid0(VALU_DEP_1) | instskip(NEXT) | instid1(VALU_DEP_3)
	v_add_co_u32 v69, vcc_lo, v68, v69
	v_add_co_ci_u32_e32 v70, vcc_lo, v79, v70, vcc_lo
.LBB275_121:
	s_or_b32 exec_lo, exec_lo, s26
	v_cmp_gt_u32_e32 vcc_lo, 30, v115
	v_add_nc_u32_e32 v80, 2, v115
	s_mov_b32 s26, exec_lo
	s_waitcnt lgkmcnt(2)
	v_cndmask_b32_e64 v67, 0, 1, vcc_lo
	s_delay_alu instid0(VALU_DEP_1) | instskip(SKIP_1) | instid1(VALU_DEP_1)
	v_lshlrev_b32_e32 v67, 1, v67
	s_waitcnt lgkmcnt(0)
	v_add_lshl_u32 v79, v67, v115, 2
	ds_bpermute_b32 v67, v79, v88
	ds_bpermute_b32 v68, v79, v69
	ds_bpermute_b32 v81, v79, v70
	v_cmpx_le_u32_e64 v80, v66
	s_cbranch_execz .LBB275_123
; %bb.122:
	v_cmp_eq_u32_e32 vcc_lo, 0, v88
	s_waitcnt lgkmcnt(0)
	v_dual_cndmask_b32 v81, 0, v81 :: v_dual_add_nc_u32 v88, v67, v88
	v_cndmask_b32_e32 v68, 0, v68, vcc_lo
	s_delay_alu instid0(VALU_DEP_1) | instskip(NEXT) | instid1(VALU_DEP_3)
	v_add_co_u32 v69, vcc_lo, v68, v69
	v_add_co_ci_u32_e32 v70, vcc_lo, v81, v70, vcc_lo
.LBB275_123:
	s_or_b32 exec_lo, exec_lo, s26
	v_cmp_gt_u32_e32 vcc_lo, 28, v115
	v_add_nc_u32_e32 v82, 4, v115
	s_mov_b32 s26, exec_lo
	s_waitcnt lgkmcnt(2)
	v_cndmask_b32_e64 v67, 0, 1, vcc_lo
	s_delay_alu instid0(VALU_DEP_1) | instskip(SKIP_1) | instid1(VALU_DEP_1)
	v_lshlrev_b32_e32 v67, 2, v67
	s_waitcnt lgkmcnt(0)
	v_add_lshl_u32 v81, v67, v115, 2
	ds_bpermute_b32 v67, v81, v88
	ds_bpermute_b32 v68, v81, v69
	ds_bpermute_b32 v83, v81, v70
	v_cmpx_le_u32_e64 v82, v66
	;; [unrolled: 24-line block ×3, first 2 shown]
	s_cbranch_execz .LBB275_127
; %bb.126:
	v_cmp_eq_u32_e32 vcc_lo, 0, v88
	s_waitcnt lgkmcnt(0)
	v_dual_cndmask_b32 v85, 0, v85 :: v_dual_add_nc_u32 v88, v67, v88
	v_cndmask_b32_e32 v68, 0, v68, vcc_lo
	s_delay_alu instid0(VALU_DEP_1) | instskip(NEXT) | instid1(VALU_DEP_3)
	v_add_co_u32 v69, vcc_lo, v68, v69
	v_add_co_ci_u32_e32 v70, vcc_lo, v85, v70, vcc_lo
.LBB275_127:
	s_or_b32 exec_lo, exec_lo, s26
	v_cmp_gt_u32_e32 vcc_lo, 16, v115
	v_add_nc_u32_e32 v87, 16, v115
	s_mov_b32 s26, exec_lo
	s_waitcnt lgkmcnt(2)
	v_cndmask_b32_e64 v67, 0, 1, vcc_lo
	s_delay_alu instid0(VALU_DEP_1) | instskip(NEXT) | instid1(VALU_DEP_1)
	v_lshlrev_b32_e32 v67, 4, v67
	v_add_lshl_u32 v86, v67, v115, 2
	ds_bpermute_b32 v67, v86, v88
	s_waitcnt lgkmcnt(2)
	ds_bpermute_b32 v68, v86, v69
	s_waitcnt lgkmcnt(2)
	ds_bpermute_b32 v85, v86, v70
	v_cmpx_le_u32_e64 v87, v66
	s_cbranch_execz .LBB275_129
; %bb.128:
	v_cmp_eq_u32_e32 vcc_lo, 0, v88
	s_waitcnt lgkmcnt(2)
	v_add_nc_u32_e32 v88, v67, v88
	s_waitcnt lgkmcnt(1)
	v_cndmask_b32_e32 v68, 0, v68, vcc_lo
	s_waitcnt lgkmcnt(0)
	v_cndmask_b32_e32 v66, 0, v85, vcc_lo
	s_delay_alu instid0(VALU_DEP_2) | instskip(NEXT) | instid1(VALU_DEP_2)
	v_add_co_u32 v69, vcc_lo, v68, v69
	v_add_co_ci_u32_e32 v70, vcc_lo, v66, v70, vcc_lo
.LBB275_129:
	s_or_b32 exec_lo, exec_lo, s26
	v_mov_b32_e32 v66, 0
	s_branch .LBB275_131
.LBB275_130:                            ;   in Loop: Header=BB275_131 Depth=1
	s_or_b32 exec_lo, exec_lo, s26
	v_cmp_eq_u32_e32 vcc_lo, 0, v85
	v_subrev_nc_u32_e32 v65, 32, v65
	v_add_nc_u32_e32 v88, v88, v85
	v_dual_cndmask_b32 v70, 0, v70 :: v_dual_cndmask_b32 v69, 0, v69
	s_delay_alu instid0(VALU_DEP_1) | instskip(NEXT) | instid1(VALU_DEP_2)
	v_add_co_u32 v69, vcc_lo, v69, v67
	v_add_co_ci_u32_e32 v70, vcc_lo, v70, v68, vcc_lo
.LBB275_131:                            ; =>This Loop Header: Depth=1
                                        ;     Child Loop BB275_134 Depth 2
	s_waitcnt lgkmcnt(2)
	v_and_b32_e32 v67, 0xff, v76
	s_waitcnt lgkmcnt(0)
	v_mov_b32_e32 v85, v88
	s_delay_alu instid0(VALU_DEP_2) | instskip(SKIP_2) | instid1(VALU_DEP_1)
	v_cmp_ne_u16_e32 vcc_lo, 2, v67
	v_cndmask_b32_e64 v67, 0, 1, vcc_lo
	;;#ASMSTART
	;;#ASMEND
	v_cmp_ne_u32_e32 vcc_lo, 0, v67
	v_dual_mov_b32 v67, v69 :: v_dual_mov_b32 v68, v70
	s_cmp_lg_u32 vcc_lo, exec_lo
	s_cbranch_scc1 .LBB275_146
; %bb.132:                              ;   in Loop: Header=BB275_131 Depth=1
	global_load_u8 v76, v65, s[40:41] glc
	s_mov_b32 s26, exec_lo
	s_waitcnt vmcnt(0)
	v_cmpx_eq_u16_e32 0, v76
	s_cbranch_execz .LBB275_136
; %bb.133:                              ;   in Loop: Header=BB275_131 Depth=1
	v_add_co_u32 v69, s27, s40, v65
	s_delay_alu instid0(VALU_DEP_1)
	v_add_co_ci_u32_e64 v70, null, s41, 0, s27
	s_mov_b32 s27, 0
.LBB275_134:                            ;   Parent Loop BB275_131 Depth=1
                                        ; =>  This Inner Loop Header: Depth=2
	global_load_u8 v76, v[69:70], off glc
	s_waitcnt vmcnt(0)
	v_cmp_ne_u16_e32 vcc_lo, 0, v76
	s_or_b32 s27, vcc_lo, s27
	s_delay_alu instid0(SALU_CYCLE_1)
	s_and_not1_b32 exec_lo, exec_lo, s27
	s_cbranch_execnz .LBB275_134
; %bb.135:                              ;   in Loop: Header=BB275_131 Depth=1
	s_or_b32 exec_lo, exec_lo, s27
.LBB275_136:                            ;   in Loop: Header=BB275_131 Depth=1
	s_delay_alu instid0(SALU_CYCLE_1)
	s_or_b32 exec_lo, exec_lo, s26
	v_dual_mov_b32 v88, s37 :: v_dual_mov_b32 v89, s36
	v_cmp_eq_u16_e32 vcc_lo, 1, v76
	v_lshlrev_b64 v[69:70], 4, v[65:66]
	buffer_gl1_inv
	buffer_gl0_inv
	s_mov_b32 s26, exec_lo
	v_cndmask_b32_e32 v89, s38, v89, vcc_lo
	v_cndmask_b32_e32 v88, s39, v88, vcc_lo
	s_delay_alu instid0(VALU_DEP_2) | instskip(NEXT) | instid1(VALU_DEP_2)
	v_add_co_u32 v69, vcc_lo, v89, v69
	v_add_co_ci_u32_e32 v70, vcc_lo, v88, v70, vcc_lo
	v_cmp_eq_u16_e32 vcc_lo, 2, v76
	s_clause 0x1
	global_load_b32 v88, v[69:70], off
	global_load_b64 v[69:70], v[69:70], off offset:8
	v_and_or_b32 v89, vcc_lo, v78, 0x80000000
	s_delay_alu instid0(VALU_DEP_1)
	v_ctz_i32_b32_e32 v89, v89
	s_waitcnt vmcnt(1)
	ds_bpermute_b32 v90, v77, v88
	s_waitcnt vmcnt(0)
	ds_bpermute_b32 v91, v77, v69
	ds_bpermute_b32 v92, v77, v70
	v_cmpx_lt_u32_e64 v115, v89
	s_cbranch_execz .LBB275_138
; %bb.137:                              ;   in Loop: Header=BB275_131 Depth=1
	v_cmp_eq_u32_e32 vcc_lo, 0, v88
	s_waitcnt lgkmcnt(2)
	v_add_nc_u32_e32 v88, v90, v88
	s_waitcnt lgkmcnt(0)
	v_dual_cndmask_b32 v92, 0, v92 :: v_dual_cndmask_b32 v91, 0, v91
	s_delay_alu instid0(VALU_DEP_1) | instskip(NEXT) | instid1(VALU_DEP_2)
	v_add_co_u32 v69, vcc_lo, v91, v69
	v_add_co_ci_u32_e32 v70, vcc_lo, v92, v70, vcc_lo
.LBB275_138:                            ;   in Loop: Header=BB275_131 Depth=1
	s_or_b32 exec_lo, exec_lo, s26
	s_waitcnt lgkmcnt(2)
	ds_bpermute_b32 v90, v79, v88
	s_waitcnt lgkmcnt(2)
	ds_bpermute_b32 v91, v79, v69
	s_waitcnt lgkmcnt(2)
	ds_bpermute_b32 v92, v79, v70
	s_mov_b32 s26, exec_lo
	v_cmpx_le_u32_e64 v80, v89
	s_cbranch_execz .LBB275_140
; %bb.139:                              ;   in Loop: Header=BB275_131 Depth=1
	v_cmp_eq_u32_e32 vcc_lo, 0, v88
	s_waitcnt lgkmcnt(2)
	v_add_nc_u32_e32 v88, v90, v88
	s_waitcnt lgkmcnt(0)
	v_dual_cndmask_b32 v92, 0, v92 :: v_dual_cndmask_b32 v91, 0, v91
	s_delay_alu instid0(VALU_DEP_1) | instskip(NEXT) | instid1(VALU_DEP_2)
	v_add_co_u32 v69, vcc_lo, v91, v69
	v_add_co_ci_u32_e32 v70, vcc_lo, v92, v70, vcc_lo
.LBB275_140:                            ;   in Loop: Header=BB275_131 Depth=1
	s_or_b32 exec_lo, exec_lo, s26
	s_waitcnt lgkmcnt(2)
	ds_bpermute_b32 v90, v81, v88
	s_waitcnt lgkmcnt(2)
	ds_bpermute_b32 v91, v81, v69
	s_waitcnt lgkmcnt(2)
	ds_bpermute_b32 v92, v81, v70
	s_mov_b32 s26, exec_lo
	v_cmpx_le_u32_e64 v82, v89
	;; [unrolled: 20-line block ×4, first 2 shown]
	s_cbranch_execz .LBB275_130
; %bb.145:                              ;   in Loop: Header=BB275_131 Depth=1
	v_cmp_eq_u32_e32 vcc_lo, 0, v88
	s_waitcnt lgkmcnt(1)
	v_dual_cndmask_b32 v91, 0, v91 :: v_dual_add_nc_u32 v88, v90, v88
	s_waitcnt lgkmcnt(0)
	v_cndmask_b32_e32 v89, 0, v92, vcc_lo
	s_delay_alu instid0(VALU_DEP_2) | instskip(NEXT) | instid1(VALU_DEP_2)
	v_add_co_u32 v69, vcc_lo, v91, v69
	v_add_co_ci_u32_e32 v70, vcc_lo, v89, v70, vcc_lo
	s_branch .LBB275_130
.LBB275_146:                            ;   in Loop: Header=BB275_131 Depth=1
                                        ; implicit-def: $vgpr69_vgpr70
                                        ; implicit-def: $vgpr88
                                        ; implicit-def: $vgpr76
	s_cbranch_execz .LBB275_131
; %bb.147:
	s_and_saveexec_b32 s26, s14
	s_cbranch_execz .LBB275_149
; %bb.148:
	v_cmp_eq_u32_e32 vcc_lo, 0, v75
	s_mov_b32 s31, 0
	s_add_i32 s30, s30, 32
	v_dual_mov_b32 v70, 0 :: v_dual_add_nc_u32 v69, v85, v75
	v_dual_cndmask_b32 v66, 0, v68 :: v_dual_cndmask_b32 v65, 0, v67
	s_lshl_b64 s[34:35], s[30:31], 4
	v_dual_mov_b32 v76, s30 :: v_dual_mov_b32 v77, 2
	s_add_u32 s34, s38, s34
	s_delay_alu instid0(VALU_DEP_2)
	v_add_co_u32 v65, vcc_lo, v65, v63
	v_add_co_ci_u32_e32 v66, vcc_lo, v66, v64, vcc_lo
	s_addc_u32 s35, s39, s35
	s_clause 0x1
	global_store_b32 v70, v69, s[34:35]
	global_store_b64 v70, v[65:66], s[34:35] offset:8
	s_waitcnt lgkmcnt(0)
	s_waitcnt_vscnt null, 0x0
	buffer_gl1_inv
	buffer_gl0_inv
	global_store_b8 v76, v77, s[40:41]
	ds_store_b32 v70, v75 offset:4096
	ds_store_b64 v70, v[63:64] offset:4104
	ds_store_b32 v70, v85 offset:4112
	ds_store_b64 v70, v[67:68] offset:4120
.LBB275_149:
	s_or_b32 exec_lo, exec_lo, s26
	s_delay_alu instid0(SALU_CYCLE_1)
	s_and_b32 exec_lo, exec_lo, s2
	s_cbranch_execz .LBB275_151
; %bb.150:
	v_mov_b32_e32 v63, 0
	ds_store_b32 v63, v85 offset:4240
	ds_store_b64 v63, v[67:68] offset:4248
.LBB275_151:
	s_or_b32 exec_lo, exec_lo, s16
	s_waitcnt lgkmcnt(2)
	v_cndmask_b32_e64 v66, v74, v71, s14
	s_waitcnt lgkmcnt(0)
	s_waitcnt_vscnt null, 0x0
	s_barrier
	buffer_gl0_inv
	v_cndmask_b32_e64 v61, v73, v61, s14
	v_cmp_eq_u32_e32 vcc_lo, 0, v66
	v_mov_b32_e32 v65, 0
	v_cndmask_b32_e64 v62, v72, v62, s14
	v_cndmask_b32_e64 v66, v66, 0, s2
	ds_load_b64 v[63:64], v65 offset:4248
	s_waitcnt lgkmcnt(0)
	v_dual_cndmask_b32 v68, 0, v63 :: v_dual_cndmask_b32 v67, 0, v64
	s_delay_alu instid0(VALU_DEP_1) | instskip(NEXT) | instid1(VALU_DEP_2)
	v_add_co_u32 v61, vcc_lo, v68, v61
	v_add_co_ci_u32_e32 v62, vcc_lo, v67, v62, vcc_lo
	v_cmp_eq_u32_e32 vcc_lo, 0, v113
	s_delay_alu instid0(VALU_DEP_3) | instskip(NEXT) | instid1(VALU_DEP_3)
	v_cndmask_b32_e64 v79, v61, v63, s2
	v_cndmask_b32_e64 v80, v62, v64, s2
	ds_load_b32 v64, v65 offset:4240
	s_waitcnt lgkmcnt(0)
	v_cndmask_b32_e32 v62, 0, v79, vcc_lo
	s_barrier
	v_cndmask_b32_e32 v61, 0, v80, vcc_lo
	buffer_gl0_inv
	ds_load_b64 v[117:118], v65 offset:4104
	v_add_co_u32 v75, vcc_lo, v62, v53
	v_add_co_ci_u32_e32 v76, vcc_lo, v61, v54, vcc_lo
	s_delay_alu instid0(VALU_DEP_2) | instskip(NEXT) | instid1(VALU_DEP_2)
	v_cndmask_b32_e64 v61, 0, v75, s13
	v_cndmask_b32_e64 v62, 0, v76, s13
	s_delay_alu instid0(VALU_DEP_2) | instskip(NEXT) | instid1(VALU_DEP_2)
	v_add_co_u32 v81, vcc_lo, v61, v55
	v_add_co_ci_u32_e32 v82, vcc_lo, v62, v56, vcc_lo
	v_add_nc_u32_e32 v114, v64, v66
	s_delay_alu instid0(VALU_DEP_3) | instskip(NEXT) | instid1(VALU_DEP_3)
	v_cndmask_b32_e64 v61, 0, v81, s12
	v_cndmask_b32_e64 v62, 0, v82, s12
	s_delay_alu instid0(VALU_DEP_2) | instskip(NEXT) | instid1(VALU_DEP_2)
	v_add_co_u32 v85, vcc_lo, v61, v49
	v_add_co_ci_u32_e32 v86, vcc_lo, v62, v50, vcc_lo
	s_delay_alu instid0(VALU_DEP_2) | instskip(NEXT) | instid1(VALU_DEP_2)
	v_cndmask_b32_e64 v61, 0, v85, s11
	v_cndmask_b32_e64 v62, 0, v86, s11
	s_delay_alu instid0(VALU_DEP_2) | instskip(NEXT) | instid1(VALU_DEP_2)
	v_add_co_u32 v67, vcc_lo, v61, v51
	v_add_co_ci_u32_e32 v68, vcc_lo, v62, v52, vcc_lo
	s_delay_alu instid0(VALU_DEP_2) | instskip(NEXT) | instid1(VALU_DEP_2)
	;; [unrolled: 6-line block ×7, first 2 shown]
	v_cndmask_b32_e64 v61, 0, v69, s5
	v_cndmask_b32_e64 v62, 0, v70, s5
	s_delay_alu instid0(VALU_DEP_2) | instskip(NEXT) | instid1(VALU_DEP_2)
	v_add_co_u32 v73, vcc_lo, v61, v39
	v_add_co_ci_u32_e32 v74, vcc_lo, v62, v40, vcc_lo
	ds_load_b32 v61, v65 offset:4096
	v_cndmask_b32_e64 v62, 0, v73, s4
	v_cndmask_b32_e64 v63, 0, v74, s4
	s_delay_alu instid0(VALU_DEP_2) | instskip(NEXT) | instid1(VALU_DEP_2)
	v_add_co_u32 v89, vcc_lo, v62, v33
	v_add_co_ci_u32_e32 v90, vcc_lo, v63, v34, vcc_lo
	ds_load_b64 v[62:63], v65 offset:4120
	v_cndmask_b32_e64 v91, 0, v89, s3
	ds_load_b32 v65, v65 offset:4112
	v_cndmask_b32_e64 v92, 0, v90, s3
	v_add_co_u32 v91, vcc_lo, v91, v35
	s_delay_alu instid0(VALU_DEP_2) | instskip(SKIP_2) | instid1(VALU_DEP_3)
	v_add_co_ci_u32_e32 v92, vcc_lo, v92, v36, vcc_lo
	s_waitcnt lgkmcnt(2)
	v_cmp_eq_u32_e32 vcc_lo, 0, v61
	v_cndmask_b32_e64 v93, 0, v91, s1
	s_delay_alu instid0(VALU_DEP_3) | instskip(NEXT) | instid1(VALU_DEP_2)
	v_cndmask_b32_e64 v94, 0, v92, s1
	v_add_co_u32 v93, s1, v93, v29
	s_delay_alu instid0(VALU_DEP_1) | instskip(SKIP_2) | instid1(VALU_DEP_3)
	v_add_co_ci_u32_e64 v94, s1, v94, v30, s1
	s_waitcnt lgkmcnt(1)
	v_dual_cndmask_b32 v62, 0, v62 :: v_dual_cndmask_b32 v119, 0, v63
	v_cndmask_b32_e64 v97, 0, v93, s0
	s_delay_alu instid0(VALU_DEP_3) | instskip(NEXT) | instid1(VALU_DEP_3)
	v_cndmask_b32_e64 v98, 0, v94, s0
	v_add_co_u32 v63, vcc_lo, v62, v117
	s_delay_alu instid0(VALU_DEP_4)
	v_add_co_ci_u32_e32 v64, vcc_lo, v119, v118, vcc_lo
	s_branch .LBB275_180
.LBB275_152:
                                        ; implicit-def: $vgpr61
                                        ; implicit-def: $vgpr63_vgpr64
                                        ; implicit-def: $vgpr65
                                        ; implicit-def: $vgpr79_vgpr80
                                        ; implicit-def: $vgpr75_vgpr76
                                        ; implicit-def: $vgpr81_vgpr82
                                        ; implicit-def: $vgpr85_vgpr86
                                        ; implicit-def: $vgpr67_vgpr68
                                        ; implicit-def: $vgpr71_vgpr72
                                        ; implicit-def: $vgpr77_vgpr78
                                        ; implicit-def: $vgpr83_vgpr84
                                        ; implicit-def: $vgpr87_vgpr88
                                        ; implicit-def: $vgpr69_vgpr70
                                        ; implicit-def: $vgpr73_vgpr74
                                        ; implicit-def: $vgpr89_vgpr90
                                        ; implicit-def: $vgpr91_vgpr92
                                        ; implicit-def: $vgpr93_vgpr94
                                        ; implicit-def: $vgpr97_vgpr98
                                        ; implicit-def: $vgpr114
	s_cbranch_execz .LBB275_180
; %bb.153:
	s_and_b32 s0, s15, exec_lo
	s_cselect_b32 s1, 0, s25
	s_cselect_b32 s0, 0, s24
	s_delay_alu instid0(SALU_CYCLE_1)
	s_cmp_eq_u64 s[0:1], 0
	s_cbranch_scc1 .LBB275_155
; %bb.154:
	v_mov_b32_e32 v61, 0
	global_load_b64 v[95:96], v61, s[0:1]
.LBB275_155:
	v_cmp_eq_u32_e64 s12, 0, v112
	v_cmp_eq_u32_e64 s11, 0, v111
	;; [unrolled: 1-line block ×5, first 2 shown]
	v_cndmask_b32_e64 v62, 0, v53, s12
	v_cndmask_b32_e64 v61, 0, v54, s12
	v_cmp_eq_u32_e64 s7, 0, v107
	v_cmp_eq_u32_e64 s6, 0, v106
	;; [unrolled: 1-line block ×3, first 2 shown]
	v_add_co_u32 v62, vcc_lo, v62, v55
	v_add_co_ci_u32_e32 v61, vcc_lo, v61, v56, vcc_lo
	v_cmp_eq_u32_e64 s4, 0, v103
	s_delay_alu instid0(VALU_DEP_3) | instskip(SKIP_1) | instid1(VALU_DEP_4)
	v_cndmask_b32_e64 v62, 0, v62, s11
	v_cmp_eq_u32_e64 s3, 0, v102
	v_cndmask_b32_e64 v61, 0, v61, s11
	v_cmp_eq_u32_e64 s1, 0, v100
	v_add3_u32 v63, v116, v108, v107
	v_add_co_u32 v62, vcc_lo, v62, v49
	s_delay_alu instid0(VALU_DEP_4) | instskip(NEXT) | instid1(VALU_DEP_3)
	v_add_co_ci_u32_e32 v61, vcc_lo, v61, v50, vcc_lo
	v_add3_u32 v63, v63, v106, v105
	s_delay_alu instid0(VALU_DEP_3) | instskip(SKIP_1) | instid1(VALU_DEP_3)
	v_cndmask_b32_e64 v62, 0, v62, s10
	s_mov_b32 s14, exec_lo
	v_cndmask_b32_e64 v61, 0, v61, s10
	s_delay_alu instid0(VALU_DEP_3) | instskip(NEXT) | instid1(VALU_DEP_3)
	v_add3_u32 v63, v63, v103, v102
	v_add_co_u32 v62, vcc_lo, v62, v51
	s_delay_alu instid0(VALU_DEP_3) | instskip(NEXT) | instid1(VALU_DEP_3)
	v_add_co_ci_u32_e32 v61, vcc_lo, v61, v52, vcc_lo
	v_add3_u32 v63, v63, v101, v100
	s_delay_alu instid0(VALU_DEP_3) | instskip(NEXT) | instid1(VALU_DEP_3)
	v_cndmask_b32_e64 v62, 0, v62, s9
	v_cndmask_b32_e64 v61, 0, v61, s9
	s_delay_alu instid0(VALU_DEP_3) | instskip(NEXT) | instid1(VALU_DEP_3)
	v_add3_u32 v63, v63, v99, v104
	v_add_co_u32 v62, vcc_lo, v62, v45
	s_delay_alu instid0(VALU_DEP_3) | instskip(NEXT) | instid1(VALU_DEP_2)
	v_add_co_ci_u32_e32 v61, vcc_lo, v61, v46, vcc_lo
	v_cndmask_b32_e64 v62, 0, v62, s8
	s_delay_alu instid0(VALU_DEP_2) | instskip(NEXT) | instid1(VALU_DEP_2)
	v_cndmask_b32_e64 v61, 0, v61, s8
	v_add_co_u32 v62, vcc_lo, v62, v47
	s_delay_alu instid0(VALU_DEP_2) | instskip(NEXT) | instid1(VALU_DEP_2)
	v_add_co_ci_u32_e32 v61, vcc_lo, v61, v48, vcc_lo
	v_cndmask_b32_e64 v62, 0, v62, s7
	s_delay_alu instid0(VALU_DEP_2) | instskip(NEXT) | instid1(VALU_DEP_2)
	v_cndmask_b32_e64 v61, 0, v61, s7
	v_add_co_u32 v62, vcc_lo, v62, v41
	s_delay_alu instid0(VALU_DEP_2) | instskip(NEXT) | instid1(VALU_DEP_2)
	;; [unrolled: 6-line block ×5, first 2 shown]
	v_add_co_ci_u32_e32 v61, vcc_lo, v61, v40, vcc_lo
	v_cndmask_b32_e64 v62, 0, v62, s3
	s_delay_alu instid0(VALU_DEP_2) | instskip(NEXT) | instid1(VALU_DEP_2)
	v_cndmask_b32_e64 v61, 0, v61, s3
	v_add_co_u32 v62, vcc_lo, v62, v33
	s_delay_alu instid0(VALU_DEP_2) | instskip(SKIP_1) | instid1(VALU_DEP_2)
	v_add_co_ci_u32_e32 v61, vcc_lo, v61, v34, vcc_lo
	v_cmp_eq_u32_e32 vcc_lo, 0, v101
	v_dual_cndmask_b32 v61, 0, v61 :: v_dual_cndmask_b32 v62, 0, v62
	s_delay_alu instid0(VALU_DEP_1) | instskip(NEXT) | instid1(VALU_DEP_1)
	v_add_co_u32 v62, s0, v62, v35
	v_add_co_ci_u32_e64 v61, s0, v61, v36, s0
	s_delay_alu instid0(VALU_DEP_2) | instskip(NEXT) | instid1(VALU_DEP_2)
	v_cndmask_b32_e64 v62, 0, v62, s1
	v_cndmask_b32_e64 v61, 0, v61, s1
	s_delay_alu instid0(VALU_DEP_2) | instskip(NEXT) | instid1(VALU_DEP_1)
	v_add_co_u32 v62, s0, v62, v29
	v_add_co_ci_u32_e64 v61, s0, v61, v30, s0
	v_cmp_eq_u32_e64 s0, 0, v99
	s_delay_alu instid0(VALU_DEP_1) | instskip(NEXT) | instid1(VALU_DEP_3)
	v_cndmask_b32_e64 v62, 0, v62, s0
	v_cndmask_b32_e64 v61, 0, v61, s0
	s_delay_alu instid0(VALU_DEP_2) | instskip(NEXT) | instid1(VALU_DEP_1)
	v_add_co_u32 v62, s13, v62, v31
	v_add_co_ci_u32_e64 v61, s13, v61, v32, s13
	v_cmp_eq_u32_e64 s13, 0, v104
	s_delay_alu instid0(VALU_DEP_1) | instskip(NEXT) | instid1(VALU_DEP_3)
	v_cndmask_b32_e64 v62, 0, v62, s13
	v_cndmask_b32_e64 v61, 0, v61, s13
	s_delay_alu instid0(VALU_DEP_2) | instskip(NEXT) | instid1(VALU_DEP_1)
	v_add_co_u32 v59, s13, v62, v59
	v_add_co_ci_u32_e64 v60, s13, v61, v60, s13
	v_and_b32_e32 v61, 15, v115
	v_mov_b32_dpp v62, v63 row_shr:1 row_mask:0xf bank_mask:0xf
	s_delay_alu instid0(VALU_DEP_4)
	v_mov_b32_dpp v64, v59 row_shr:1 row_mask:0xf bank_mask:0xf
	s_waitcnt lgkmcnt(0)
	v_mov_b32_dpp v65, v60 row_shr:1 row_mask:0xf bank_mask:0xf
	v_cmpx_ne_u32_e32 0, v61
; %bb.156:
	v_cmp_eq_u32_e64 s13, 0, v63
	v_add_nc_u32_e32 v63, v62, v63
	s_delay_alu instid0(VALU_DEP_2) | instskip(SKIP_1) | instid1(VALU_DEP_2)
	v_cndmask_b32_e64 v64, 0, v64, s13
	v_cndmask_b32_e64 v65, 0, v65, s13
	v_add_co_u32 v59, s13, v64, v59
	s_delay_alu instid0(VALU_DEP_1)
	v_add_co_ci_u32_e64 v60, s13, v65, v60, s13
; %bb.157:
	s_or_b32 exec_lo, exec_lo, s14
	v_mov_b32_dpp v62, v63 row_shr:2 row_mask:0xf bank_mask:0xf
	s_delay_alu instid0(VALU_DEP_3) | instskip(NEXT) | instid1(VALU_DEP_3)
	v_mov_b32_dpp v64, v59 row_shr:2 row_mask:0xf bank_mask:0xf
	v_mov_b32_dpp v65, v60 row_shr:2 row_mask:0xf bank_mask:0xf
	s_mov_b32 s14, exec_lo
	v_cmpx_lt_u32_e32 1, v61
; %bb.158:
	v_cmp_eq_u32_e64 s13, 0, v63
	v_add_nc_u32_e32 v63, v62, v63
	s_delay_alu instid0(VALU_DEP_2) | instskip(SKIP_1) | instid1(VALU_DEP_2)
	v_cndmask_b32_e64 v64, 0, v64, s13
	v_cndmask_b32_e64 v65, 0, v65, s13
	v_add_co_u32 v59, s13, v64, v59
	s_delay_alu instid0(VALU_DEP_1)
	v_add_co_ci_u32_e64 v60, s13, v65, v60, s13
; %bb.159:
	s_or_b32 exec_lo, exec_lo, s14
	v_mov_b32_dpp v62, v63 row_shr:4 row_mask:0xf bank_mask:0xf
	s_delay_alu instid0(VALU_DEP_3) | instskip(NEXT) | instid1(VALU_DEP_3)
	v_mov_b32_dpp v64, v59 row_shr:4 row_mask:0xf bank_mask:0xf
	v_mov_b32_dpp v65, v60 row_shr:4 row_mask:0xf bank_mask:0xf
	s_mov_b32 s14, exec_lo
	v_cmpx_lt_u32_e32 3, v61
	;; [unrolled: 17-line block ×3, first 2 shown]
; %bb.162:
	v_cmp_eq_u32_e64 s13, 0, v63
	v_add_nc_u32_e32 v63, v62, v63
	s_delay_alu instid0(VALU_DEP_2) | instskip(SKIP_1) | instid1(VALU_DEP_2)
	v_cndmask_b32_e64 v64, 0, v64, s13
	v_cndmask_b32_e64 v61, 0, v65, s13
	v_add_co_u32 v59, s13, v64, v59
	s_delay_alu instid0(VALU_DEP_1)
	v_add_co_ci_u32_e64 v60, s13, v61, v60, s13
; %bb.163:
	s_or_b32 exec_lo, exec_lo, s14
	ds_swizzle_b32 v61, v63 offset:swizzle(BROADCAST,32,15)
	ds_swizzle_b32 v62, v59 offset:swizzle(BROADCAST,32,15)
	;; [unrolled: 1-line block ×3, first 2 shown]
	v_and_b32_e32 v65, 16, v115
	s_mov_b32 s14, exec_lo
	s_delay_alu instid0(VALU_DEP_1)
	v_cmpx_ne_u32_e32 0, v65
	s_cbranch_execz .LBB275_165
; %bb.164:
	v_cmp_eq_u32_e64 s13, 0, v63
	s_waitcnt lgkmcnt(2)
	v_add_nc_u32_e32 v63, v61, v63
	s_waitcnt lgkmcnt(1)
	s_delay_alu instid0(VALU_DEP_2) | instskip(SKIP_2) | instid1(VALU_DEP_2)
	v_cndmask_b32_e64 v62, 0, v62, s13
	s_waitcnt lgkmcnt(0)
	v_cndmask_b32_e64 v64, 0, v64, s13
	v_add_co_u32 v59, s13, v62, v59
	s_delay_alu instid0(VALU_DEP_1)
	v_add_co_ci_u32_e64 v60, s13, v64, v60, s13
.LBB275_165:
	s_or_b32 exec_lo, exec_lo, s14
	s_waitcnt lgkmcnt(1)
	v_lshrrev_b32_e32 v62, 5, v0
	v_or_b32_e32 v61, 31, v0
	s_mov_b32 s14, exec_lo
	s_waitcnt lgkmcnt(0)
	s_delay_alu instid0(VALU_DEP_2) | instskip(NEXT) | instid1(VALU_DEP_2)
	v_lshlrev_b32_e32 v64, 4, v62
	v_cmpx_eq_u32_e64 v61, v0
	s_cbranch_execz .LBB275_167
; %bb.166:
	ds_store_b32 v64, v63 offset:4128
	ds_store_b64 v64, v[59:60] offset:4136
.LBB275_167:
	s_or_b32 exec_lo, exec_lo, s14
	s_delay_alu instid0(SALU_CYCLE_1)
	s_mov_b32 s14, exec_lo
	s_waitcnt vmcnt(0) lgkmcnt(0)
	s_barrier
	buffer_gl0_inv
	v_cmpx_gt_u32_e32 8, v0
	s_cbranch_execz .LBB275_175
; %bb.168:
	v_lshlrev_b32_e32 v65, 4, v0
	v_and_b32_e32 v67, 7, v115
	s_mov_b32 s16, exec_lo
	ds_load_b32 v66, v65 offset:4128
	ds_load_b64 v[61:62], v65 offset:4136
	s_waitcnt lgkmcnt(1)
	v_mov_b32_dpp v68, v66 row_shr:1 row_mask:0xf bank_mask:0xf
	s_waitcnt lgkmcnt(0)
	v_mov_b32_dpp v69, v61 row_shr:1 row_mask:0xf bank_mask:0xf
	v_mov_b32_dpp v70, v62 row_shr:1 row_mask:0xf bank_mask:0xf
	v_cmpx_ne_u32_e32 0, v67
; %bb.169:
	v_cmp_eq_u32_e64 s13, 0, v66
	v_add_nc_u32_e32 v66, v68, v66
	s_delay_alu instid0(VALU_DEP_2) | instskip(SKIP_1) | instid1(VALU_DEP_2)
	v_cndmask_b32_e64 v69, 0, v69, s13
	v_cndmask_b32_e64 v70, 0, v70, s13
	v_add_co_u32 v61, s13, v69, v61
	s_delay_alu instid0(VALU_DEP_1)
	v_add_co_ci_u32_e64 v62, s13, v70, v62, s13
; %bb.170:
	s_or_b32 exec_lo, exec_lo, s16
	v_mov_b32_dpp v68, v66 row_shr:2 row_mask:0xf bank_mask:0xf
	s_delay_alu instid0(VALU_DEP_3) | instskip(NEXT) | instid1(VALU_DEP_3)
	v_mov_b32_dpp v69, v61 row_shr:2 row_mask:0xf bank_mask:0xf
	v_mov_b32_dpp v70, v62 row_shr:2 row_mask:0xf bank_mask:0xf
	s_mov_b32 s16, exec_lo
	v_cmpx_lt_u32_e32 1, v67
; %bb.171:
	v_cmp_eq_u32_e64 s13, 0, v66
	v_add_nc_u32_e32 v66, v68, v66
	s_delay_alu instid0(VALU_DEP_2) | instskip(SKIP_1) | instid1(VALU_DEP_2)
	v_cndmask_b32_e64 v69, 0, v69, s13
	v_cndmask_b32_e64 v70, 0, v70, s13
	v_add_co_u32 v61, s13, v69, v61
	s_delay_alu instid0(VALU_DEP_1)
	v_add_co_ci_u32_e64 v62, s13, v70, v62, s13
; %bb.172:
	s_or_b32 exec_lo, exec_lo, s16
	v_mov_b32_dpp v68, v66 row_shr:4 row_mask:0xf bank_mask:0xf
	s_delay_alu instid0(VALU_DEP_3) | instskip(NEXT) | instid1(VALU_DEP_3)
	v_mov_b32_dpp v69, v61 row_shr:4 row_mask:0xf bank_mask:0xf
	v_mov_b32_dpp v70, v62 row_shr:4 row_mask:0xf bank_mask:0xf
	s_mov_b32 s16, exec_lo
	v_cmpx_lt_u32_e32 3, v67
; %bb.173:
	v_cmp_eq_u32_e64 s13, 0, v66
	v_add_nc_u32_e32 v66, v68, v66
	s_delay_alu instid0(VALU_DEP_2) | instskip(SKIP_1) | instid1(VALU_DEP_2)
	v_cndmask_b32_e64 v69, 0, v69, s13
	v_cndmask_b32_e64 v67, 0, v70, s13
	v_add_co_u32 v61, s13, v69, v61
	s_delay_alu instid0(VALU_DEP_1)
	v_add_co_ci_u32_e64 v62, s13, v67, v62, s13
; %bb.174:
	s_or_b32 exec_lo, exec_lo, s16
	ds_store_b32 v65, v66 offset:4128
	ds_store_b64 v65, v[61:62] offset:4136
.LBB275_175:
	s_or_b32 exec_lo, exec_lo, s14
	v_dual_mov_b32 v65, 0 :: v_dual_mov_b32 v66, 0
	v_dual_mov_b32 v61, v95 :: v_dual_mov_b32 v62, v96
	s_mov_b32 s14, exec_lo
	s_waitcnt lgkmcnt(0)
	s_barrier
	buffer_gl0_inv
	v_cmpx_lt_u32_e32 31, v0
	s_cbranch_execz .LBB275_177
; %bb.176:
	ds_load_b32 v66, v64 offset:4112
	ds_load_b64 v[61:62], v64 offset:4120
	s_waitcnt lgkmcnt(1)
	v_cmp_eq_u32_e64 s13, 0, v66
	s_delay_alu instid0(VALU_DEP_1) | instskip(SKIP_2) | instid1(VALU_DEP_2)
	v_cndmask_b32_e64 v67, 0, v95, s13
	v_cndmask_b32_e64 v64, 0, v96, s13
	s_waitcnt lgkmcnt(0)
	v_add_co_u32 v61, s13, v67, v61
	s_delay_alu instid0(VALU_DEP_1)
	v_add_co_ci_u32_e64 v62, s13, v64, v62, s13
.LBB275_177:
	s_or_b32 exec_lo, exec_lo, s14
	v_add_nc_u32_e32 v64, -1, v115
	v_cmp_eq_u32_e64 s13, 0, v63
	v_add_nc_u32_e32 v63, v66, v63
	s_delay_alu instid0(VALU_DEP_3) | instskip(NEXT) | instid1(VALU_DEP_3)
	v_cmp_gt_i32_e64 s14, 0, v64
	v_cndmask_b32_e64 v68, 0, v61, s13
	v_cndmask_b32_e64 v67, 0, v62, s13
	s_delay_alu instid0(VALU_DEP_3) | instskip(NEXT) | instid1(VALU_DEP_3)
	v_cndmask_b32_e64 v64, v64, v115, s14
	v_add_co_u32 v59, s13, v68, v59
	s_delay_alu instid0(VALU_DEP_1) | instskip(NEXT) | instid1(VALU_DEP_3)
	v_add_co_ci_u32_e64 v60, s13, v67, v60, s13
	v_lshlrev_b32_e32 v64, 2, v64
	v_cmp_eq_u32_e64 s13, 0, v115
	ds_bpermute_b32 v59, v64, v59
	ds_bpermute_b32 v60, v64, v60
	ds_bpermute_b32 v63, v64, v63
	s_waitcnt lgkmcnt(2)
	v_cndmask_b32_e64 v79, v59, v61, s13
	s_waitcnt lgkmcnt(1)
	v_cndmask_b32_e64 v80, v60, v62, s13
	s_waitcnt lgkmcnt(0)
	v_cndmask_b32_e64 v114, v63, v66, s13
	v_cmp_eq_u32_e64 s13, 0, v113
	ds_load_b32 v61, v65 offset:4240
	v_cndmask_b32_e64 v59, v79, v95, s2
	v_cndmask_b32_e64 v60, v80, v96, s2
	s_delay_alu instid0(VALU_DEP_2) | instskip(NEXT) | instid1(VALU_DEP_2)
	v_cndmask_b32_e64 v59, 0, v59, s13
	v_cndmask_b32_e64 v60, 0, v60, s13
	s_delay_alu instid0(VALU_DEP_2) | instskip(NEXT) | instid1(VALU_DEP_1)
	v_add_co_u32 v75, s13, v59, v53
	v_add_co_ci_u32_e64 v76, s13, v60, v54, s13
	s_delay_alu instid0(VALU_DEP_2) | instskip(NEXT) | instid1(VALU_DEP_2)
	v_cndmask_b32_e64 v53, 0, v75, s12
	v_cndmask_b32_e64 v54, 0, v76, s12
	s_delay_alu instid0(VALU_DEP_2) | instskip(NEXT) | instid1(VALU_DEP_1)
	v_add_co_u32 v81, s12, v53, v55
	v_add_co_ci_u32_e64 v82, s12, v54, v56, s12
	;; [unrolled: 6-line block ×11, first 2 shown]
	ds_load_b64 v[33:34], v65 offset:4248
	v_dual_cndmask_b32 v37, 0, v89 :: v_dual_cndmask_b32 v38, 0, v90
	s_delay_alu instid0(VALU_DEP_1) | instskip(NEXT) | instid1(VALU_DEP_2)
	v_add_co_u32 v91, vcc_lo, v37, v35
	v_add_co_ci_u32_e32 v92, vcc_lo, v38, v36, vcc_lo
	s_waitcnt lgkmcnt(1)
	v_cmp_eq_u32_e32 vcc_lo, 0, v61
	s_delay_alu instid0(VALU_DEP_3) | instskip(NEXT) | instid1(VALU_DEP_3)
	v_cndmask_b32_e64 v35, 0, v91, s1
	v_cndmask_b32_e64 v36, 0, v92, s1
	s_delay_alu instid0(VALU_DEP_2) | instskip(NEXT) | instid1(VALU_DEP_1)
	v_add_co_u32 v93, s1, v35, v29
	v_add_co_ci_u32_e64 v94, s1, v36, v30, s1
	v_dual_cndmask_b32 v29, 0, v96 :: v_dual_cndmask_b32 v30, 0, v95
	s_delay_alu instid0(VALU_DEP_3) | instskip(NEXT) | instid1(VALU_DEP_3)
	v_cndmask_b32_e64 v97, 0, v93, s0
	v_cndmask_b32_e64 v98, 0, v94, s0
	s_waitcnt lgkmcnt(0)
	s_delay_alu instid0(VALU_DEP_3)
	v_add_co_u32 v63, vcc_lo, v30, v33
	v_add_co_ci_u32_e32 v64, vcc_lo, v29, v34, vcc_lo
	s_and_saveexec_b32 s0, s2
	s_cbranch_execz .LBB275_179
; %bb.178:
	v_dual_mov_b32 v114, 0 :: v_dual_mov_b32 v29, 2
	v_dual_mov_b32 v79, v95 :: v_dual_mov_b32 v80, v96
	s_clause 0x1
	global_store_b32 v114, v61, s[38:39] offset:512
	global_store_b64 v114, v[63:64], s[38:39] offset:520
	s_waitcnt_vscnt null, 0x0
	buffer_gl1_inv
	buffer_gl0_inv
	global_store_b8 v114, v29, s[40:41] offset:32
.LBB275_179:
	s_or_b32 exec_lo, exec_lo, s0
	v_mov_b32_e32 v65, 0
.LBB275_180:
	v_mov_b32_e32 v29, 0
	s_and_b32 s0, s15, exec_lo
	v_mov_b32_e32 v30, 0
	s_cselect_b32 s1, 0, s51
	s_cselect_b32 s0, 0, s50
	s_waitcnt lgkmcnt(0)
	s_waitcnt_vscnt null, 0x0
	s_cmp_eq_u64 s[0:1], 0
	s_barrier
	buffer_gl0_inv
	s_cbranch_scc1 .LBB275_182
; %bb.181:
	v_mov_b32_e32 v29, 0
	global_load_b64 v[29:30], v29, s[0:1]
.LBB275_182:
	v_cmp_eq_u32_e32 vcc_lo, 0, v113
	v_add_nc_u32_e32 v48, v114, v113
	v_cmp_ne_u32_e64 s13, 0, v113
	v_cmp_ne_u32_e64 s12, 0, v112
	;; [unrolled: 1-line block ×3, first 2 shown]
	v_cndmask_b32_e64 v33, 1, 2, vcc_lo
	v_cmp_eq_u32_e32 vcc_lo, 0, v112
	v_add_nc_u32_e32 v50, v48, v112
	v_cmp_ne_u32_e64 s9, 0, v110
	v_cmp_ne_u32_e64 s15, 0, v109
	;; [unrolled: 1-line block ×3, first 2 shown]
	v_cndmask_b32_e64 v34, 1, 2, vcc_lo
	v_cmp_eq_u32_e32 vcc_lo, 0, v111
	v_add_nc_u32_e32 v49, v50, v111
	v_cmp_ne_u32_e64 s11, 0, v107
	s_delay_alu instid0(VALU_DEP_4)
	v_dual_mov_b32 v66, 0 :: v_dual_and_b32 v33, v34, v33
	v_cndmask_b32_e64 v35, 1, 2, vcc_lo
	v_cmp_eq_u32_e32 vcc_lo, 0, v110
	v_add_nc_u32_e32 v47, v49, v110
	v_cmp_ne_u32_e64 s8, 0, v106
	v_cmp_ne_u32_e64 s7, 0, v105
	v_and_b32_e32 v35, v33, v35
	v_cndmask_b32_e64 v36, 1, 2, vcc_lo
	v_cmp_eq_u32_e32 vcc_lo, 0, v109
	v_add_nc_u32_e32 v46, v47, v109
	s_waitcnt vmcnt(0)
	v_lshlrev_b64 v[33:34], 3, v[29:30]
	v_cmp_ne_u32_e64 s6, 0, v103
	v_and_b32_e32 v35, v35, v36
	v_cndmask_b32_e64 v37, 1, 2, vcc_lo
	v_cmp_eq_u32_e32 vcc_lo, 0, v108
	v_add_nc_u32_e32 v45, v46, v108
	v_cmp_ne_u32_e64 s5, 0, v102
	v_cmp_ne_u32_e64 s4, 0, v101
	v_and_b32_e32 v35, v35, v37
	v_cndmask_b32_e64 v36, 1, 2, vcc_lo
	v_cmp_eq_u32_e32 vcc_lo, 0, v107
	v_add_nc_u32_e32 v44, v45, v107
	v_cmp_ne_u32_e64 s3, 0, v100
	;; [unrolled: 6-line block ×3, first 2 shown]
	s_delay_alu instid0(VALU_DEP_4) | instskip(SKIP_3) | instid1(VALU_DEP_3)
	v_and_b32_e32 v35, v35, v37
	v_cndmask_b32_e64 v36, 1, 2, vcc_lo
	v_cmp_eq_u32_e32 vcc_lo, 0, v105
	v_add_nc_u32_e32 v42, v43, v105
	v_and_b32_e32 v35, v35, v36
	v_cndmask_b32_e64 v37, 1, 2, vcc_lo
	v_cmp_eq_u32_e32 vcc_lo, 0, v103
	s_delay_alu instid0(VALU_DEP_4) | instskip(NEXT) | instid1(VALU_DEP_3)
	v_add_nc_u32_e32 v41, v42, v103
	v_and_b32_e32 v35, v35, v37
	v_cndmask_b32_e64 v36, 1, 2, vcc_lo
	v_cmp_eq_u32_e32 vcc_lo, 0, v102
	s_delay_alu instid0(VALU_DEP_4) | instskip(NEXT) | instid1(VALU_DEP_3)
	v_add_nc_u32_e32 v40, v41, v102
	v_and_b32_e32 v39, v35, v36
	v_cndmask_b32_e64 v37, 1, 2, vcc_lo
	v_cmp_eq_u32_e32 vcc_lo, 0, v101
	v_lshlrev_b64 v[35:36], 3, v[65:66]
	s_delay_alu instid0(VALU_DEP_3) | instskip(SKIP_3) | instid1(VALU_DEP_3)
	v_and_b32_e32 v37, v39, v37
	v_cndmask_b32_e64 v38, 1, 2, vcc_lo
	v_cmp_eq_u32_e32 vcc_lo, 0, v100
	v_add_nc_u32_e32 v39, v40, v101
	v_and_b32_e32 v54, v37, v38
	v_cndmask_b32_e64 v53, 1, 2, vcc_lo
	v_add_co_u32 v51, vcc_lo, s18, v33
	v_add_co_ci_u32_e32 v52, vcc_lo, s19, v34, vcc_lo
	s_delay_alu instid0(VALU_DEP_3) | instskip(NEXT) | instid1(VALU_DEP_3)
	v_and_b32_e32 v53, v54, v53
	v_add_co_u32 v51, vcc_lo, v51, v35
	s_delay_alu instid0(VALU_DEP_3)
	v_add_co_ci_u32_e32 v52, vcc_lo, v52, v36, vcc_lo
	v_cmp_eq_u32_e32 vcc_lo, 0, v99
	v_add_nc_u32_e32 v38, v39, v100
	s_mov_b32 s18, -1
	v_cndmask_b32_e64 v54, 1, 2, vcc_lo
	v_cmp_eq_u32_e32 vcc_lo, 0, v104
	s_delay_alu instid0(VALU_DEP_3) | instskip(NEXT) | instid1(VALU_DEP_3)
	v_add_nc_u32_e32 v37, v38, v99
	v_and_b32_e32 v53, v53, v54
	v_cndmask_b32_e64 v54, 1, 2, vcc_lo
	v_cmp_gt_u32_e32 vcc_lo, 0x100, v61
	s_delay_alu instid0(VALU_DEP_2) | instskip(NEXT) | instid1(VALU_DEP_1)
	v_and_b32_e32 v53, v53, v54
	v_cmp_gt_i16_e64 s16, 2, v53
	s_cbranch_vccz .LBB275_189
; %bb.183:
	s_delay_alu instid0(VALU_DEP_1)
	s_and_saveexec_b32 s18, s16
	s_cbranch_execz .LBB275_188
; %bb.184:
	s_mov_b32 s19, 0
	s_mov_b32 s16, exec_lo
	v_cmpx_ne_u16_e32 1, v53
	s_xor_b32 s16, exec_lo, s16
	s_cbranch_execnz .LBB275_221
; %bb.185:
	s_and_not1_saveexec_b32 s16, s16
	s_cbranch_execnz .LBB275_237
.LBB275_186:
	s_or_b32 exec_lo, exec_lo, s16
	s_delay_alu instid0(SALU_CYCLE_1)
	s_and_b32 exec_lo, exec_lo, s19
	s_cbranch_execz .LBB275_188
.LBB275_187:
	v_sub_nc_u32_e32 v54, v37, v65
	v_mov_b32_e32 v55, 0
	s_delay_alu instid0(VALU_DEP_1) | instskip(NEXT) | instid1(VALU_DEP_1)
	v_lshlrev_b64 v[54:55], 3, v[54:55]
	v_add_co_u32 v54, vcc_lo, v51, v54
	s_delay_alu instid0(VALU_DEP_2)
	v_add_co_ci_u32_e32 v55, vcc_lo, v52, v55, vcc_lo
	global_store_b64 v[54:55], v[57:58], off
.LBB275_188:
	s_or_b32 exec_lo, exec_lo, s18
	s_mov_b32 s18, 0
.LBB275_189:
	s_delay_alu instid0(SALU_CYCLE_1)
	s_and_b32 vcc_lo, exec_lo, s18
	s_cbranch_vccz .LBB275_199
; %bb.190:
	s_mov_b32 s16, exec_lo
	v_cmpx_gt_i16_e32 2, v53
	s_cbranch_execz .LBB275_195
; %bb.191:
	s_mov_b32 s19, 0
	s_mov_b32 s18, exec_lo
	v_cmpx_ne_u16_e32 1, v53
	s_xor_b32 s18, exec_lo, s18
	s_cbranch_execnz .LBB275_238
; %bb.192:
	s_and_not1_saveexec_b32 s0, s18
	s_cbranch_execnz .LBB275_254
.LBB275_193:
	s_or_b32 exec_lo, exec_lo, s0
	s_delay_alu instid0(SALU_CYCLE_1)
	s_and_b32 exec_lo, exec_lo, s19
	s_cbranch_execz .LBB275_195
.LBB275_194:
	v_sub_nc_u32_e32 v1, v37, v65
	s_delay_alu instid0(VALU_DEP_1)
	v_lshlrev_b32_e32 v1, 3, v1
	ds_store_b64 v1, v[57:58]
.LBB275_195:
	s_or_b32 exec_lo, exec_lo, s16
	s_delay_alu instid0(SALU_CYCLE_1)
	s_mov_b32 s1, exec_lo
	s_waitcnt lgkmcnt(0)
	s_waitcnt_vscnt null, 0x0
	s_barrier
	buffer_gl0_inv
	v_cmpx_lt_u32_e64 v0, v61
	s_cbranch_execz .LBB275_198
; %bb.196:
	v_dual_mov_b32 v2, 0 :: v_dual_lshlrev_b32 v3, 3, v0
	v_mov_b32_e32 v1, v0
	s_mov_b32 s3, 0
	.p2align	6
.LBB275_197:                            ; =>This Inner Loop Header: Depth=1
	ds_load_b64 v[4:5], v3
	v_lshlrev_b64 v[6:7], 3, v[1:2]
	v_add_nc_u32_e32 v1, 0x100, v1
	v_add_nc_u32_e32 v3, 0x800, v3
	s_delay_alu instid0(VALU_DEP_2) | instskip(NEXT) | instid1(VALU_DEP_4)
	v_cmp_ge_u32_e32 vcc_lo, v1, v61
	v_add_co_u32 v6, s0, v51, v6
	s_delay_alu instid0(VALU_DEP_1)
	v_add_co_ci_u32_e64 v7, s0, v52, v7, s0
	s_or_b32 s3, vcc_lo, s3
	s_waitcnt lgkmcnt(0)
	global_store_b64 v[6:7], v[4:5], off
	s_and_not1_b32 exec_lo, exec_lo, s3
	s_cbranch_execnz .LBB275_197
.LBB275_198:
	s_or_b32 exec_lo, exec_lo, s1
.LBB275_199:
	s_cmpk_lg_i32 s28, 0xf00
	v_cndmask_b32_e64 v8, 0, 1, s29
	s_cselect_b32 s0, -1, 0
	v_mad_i32_i24 v5, v0, -15, s28
	s_and_b32 s0, s0, s17
	v_add_co_u32 v1, vcc_lo, v97, v31
	v_cndmask_b32_e64 v4, 0, 1, s0
	s_mul_hi_u32 s0, s28, 0x88888889
	s_and_b32 s1, s2, s29
	s_lshr_b32 s0, s0, 3
	v_add_co_ci_u32_e32 v2, vcc_lo, v98, v32, vcc_lo
	v_sub_nc_u32_e32 v3, v61, v8
	v_cndmask_b32_e64 v6, v113, 0, s1
	v_cmp_eq_u32_e32 vcc_lo, s0, v0
	v_cmp_ne_u32_e64 s0, 0, v5
	s_mov_b32 s16, -1
	s_waitcnt_vscnt null, 0x0
	s_barrier
	s_and_b32 vcc_lo, vcc_lo, s17
	v_add_nc_u32_e32 v3, v3, v4
	v_cndmask_b32_e64 v4, 1, v6, s0
	v_cmp_ne_u32_e64 s0, 1, v5
	buffer_gl0_inv
	v_cndmask_b32_e64 v7, 1, v112, s0
	v_cmp_ne_u32_e64 s0, 14, v5
	s_delay_alu instid0(VALU_DEP_1) | instskip(SKIP_1) | instid1(VALU_DEP_2)
	v_cndmask_b32_e64 v9, 1, v104, s0
	v_cmp_ne_u32_e64 s0, 2, v5
	v_cndmask_b32_e32 v12, v104, v9, vcc_lo
	s_delay_alu instid0(VALU_DEP_2) | instskip(SKIP_1) | instid1(VALU_DEP_2)
	v_cndmask_b32_e64 v10, 1, v111, s0
	v_cmp_ne_u32_e64 s0, 3, v5
	v_dual_cndmask_b32 v9, v6, v4 :: v_dual_cndmask_b32 v10, v111, v10
	s_delay_alu instid0(VALU_DEP_2) | instskip(SKIP_1) | instid1(VALU_DEP_3)
	v_cndmask_b32_e64 v11, 1, v110, s0
	v_cmp_ne_u32_e64 s0, 4, v5
	v_cmp_ne_u32_e64 s14, 0, v9
	s_delay_alu instid0(VALU_DEP_4) | instskip(NEXT) | instid1(VALU_DEP_3)
	v_cmp_ne_u32_e64 s12, 0, v10
	v_cndmask_b32_e64 v4, 1, v109, s0
	v_cmp_ne_u32_e64 s0, 5, v5
	s_delay_alu instid0(VALU_DEP_2) | instskip(NEXT) | instid1(VALU_DEP_2)
	v_dual_cndmask_b32 v13, v112, v7 :: v_dual_cndmask_b32 v18, v109, v4
	v_cndmask_b32_e64 v6, 1, v108, s0
	v_cmp_eq_u32_e64 s0, 0, v9
	s_delay_alu instid0(VALU_DEP_3) | instskip(NEXT) | instid1(VALU_DEP_4)
	v_cmp_ne_u32_e64 s13, 0, v13
	v_cmp_ne_u32_e64 s10, 0, v18
	s_delay_alu instid0(VALU_DEP_4) | instskip(NEXT) | instid1(VALU_DEP_4)
	v_cndmask_b32_e32 v19, v108, v6, vcc_lo
	v_cndmask_b32_e64 v7, 1, 2, s0
	v_cmp_eq_u32_e64 s0, 0, v13
	s_delay_alu instid0(VALU_DEP_1) | instskip(SKIP_1) | instid1(VALU_DEP_2)
	v_cndmask_b32_e64 v14, 1, 2, s0
	v_cmp_ne_u32_e64 s0, 6, v5
	v_and_b32_e32 v7, v14, v7
	s_delay_alu instid0(VALU_DEP_2) | instskip(SKIP_1) | instid1(VALU_DEP_2)
	v_cndmask_b32_e64 v15, 1, v107, s0
	v_cmp_eq_u32_e64 s0, 0, v10
	v_cndmask_b32_e32 v15, v107, v15, vcc_lo
	s_delay_alu instid0(VALU_DEP_2) | instskip(SKIP_1) | instid1(VALU_DEP_1)
	v_cndmask_b32_e64 v14, 1, 2, s0
	v_cmp_ne_u32_e64 s0, 7, v5
	v_cndmask_b32_e64 v16, 1, v106, s0
	v_cmp_ne_u32_e64 s0, 8, v5
	s_delay_alu instid0(VALU_DEP_2) | instskip(SKIP_1) | instid1(VALU_DEP_3)
	v_dual_cndmask_b32 v16, v106, v16 :: v_dual_and_b32 v7, v7, v14
	v_cndmask_b32_e32 v11, v110, v11, vcc_lo
	v_cndmask_b32_e64 v17, 1, v105, s0
	s_delay_alu instid0(VALU_DEP_3) | instskip(NEXT) | instid1(VALU_DEP_3)
	v_cmp_ne_u32_e64 s7, 0, v16
	v_cmp_eq_u32_e64 s0, 0, v11
	s_delay_alu instid0(VALU_DEP_3) | instskip(NEXT) | instid1(VALU_DEP_2)
	v_cndmask_b32_e32 v17, v105, v17, vcc_lo
	v_cndmask_b32_e64 v14, 1, 2, s0
	v_cmp_ne_u32_e64 s0, 9, v5
	s_delay_alu instid0(VALU_DEP_3) | instskip(NEXT) | instid1(VALU_DEP_3)
	v_cmp_ne_u32_e64 s6, 0, v17
	v_and_b32_e32 v6, v7, v14
	s_delay_alu instid0(VALU_DEP_3) | instskip(SKIP_2) | instid1(VALU_DEP_3)
	v_cndmask_b32_e64 v4, 1, v103, s0
	v_cmp_eq_u32_e64 s0, 0, v18
	v_cmp_ne_u32_e64 s11, 0, v11
	v_cndmask_b32_e32 v23, v103, v4, vcc_lo
	s_delay_alu instid0(VALU_DEP_3) | instskip(SKIP_1) | instid1(VALU_DEP_3)
	v_cndmask_b32_e64 v7, 1, 2, s0
	v_cmp_ne_u32_e64 s0, 10, v5
	v_cmp_ne_u32_e64 s5, 0, v23
	s_delay_alu instid0(VALU_DEP_3) | instskip(NEXT) | instid1(VALU_DEP_3)
	v_and_b32_e32 v6, v6, v7
	v_cndmask_b32_e64 v14, 1, v102, s0
	v_cmp_ne_u32_e64 s0, 12, v5
	v_cmp_ne_u32_e64 s9, 0, v19
	s_delay_alu instid0(VALU_DEP_3) | instskip(NEXT) | instid1(VALU_DEP_3)
	v_cndmask_b32_e32 v14, v102, v14, vcc_lo
	v_cndmask_b32_e64 v20, 1, v100, s0
	v_cmp_eq_u32_e64 s0, 0, v19
	s_delay_alu instid0(VALU_DEP_3) | instskip(NEXT) | instid1(VALU_DEP_3)
	v_cmp_ne_u32_e64 s4, 0, v14
	v_cndmask_b32_e32 v20, v100, v20, vcc_lo
	s_delay_alu instid0(VALU_DEP_3) | instskip(SKIP_1) | instid1(VALU_DEP_3)
	v_cndmask_b32_e64 v7, 1, 2, s0
	v_cmp_ne_u32_e64 s0, 13, v5
	v_cmp_ne_u32_e64 s2, 0, v20
	s_delay_alu instid0(VALU_DEP_2) | instskip(SKIP_1) | instid1(VALU_DEP_2)
	v_cndmask_b32_e64 v21, 1, v99, s0
	v_cmp_eq_u32_e64 s0, 0, v15
	v_dual_cndmask_b32 v21, v99, v21 :: v_dual_and_b32 v6, v6, v7
	s_delay_alu instid0(VALU_DEP_2) | instskip(SKIP_1) | instid1(VALU_DEP_3)
	v_cndmask_b32_e64 v7, 1, 2, s0
	v_cmp_ne_u32_e64 s0, 11, v5
	v_cmp_ne_u32_e64 s1, 0, v21
	s_delay_alu instid0(VALU_DEP_3) | instskip(NEXT) | instid1(VALU_DEP_3)
	v_and_b32_e32 v6, v6, v7
	v_cndmask_b32_e64 v5, 1, v101, s0
	v_cmp_eq_u32_e64 s0, 0, v16
	s_delay_alu instid0(VALU_DEP_2) | instskip(NEXT) | instid1(VALU_DEP_2)
	v_cndmask_b32_e32 v22, v101, v5, vcc_lo
	v_cndmask_b32_e64 v7, 1, 2, s0
	v_cmp_eq_u32_e32 vcc_lo, 0, v17
	v_cmp_ne_u32_e64 s8, 0, v15
	v_cmp_ne_u32_e64 s0, 0, v12
	;; [unrolled: 1-line block ×3, first 2 shown]
	v_and_b32_e32 v4, v6, v7
	v_cndmask_b32_e64 v5, 1, 2, vcc_lo
	v_add_co_u32 v6, vcc_lo, s20, v33
	v_add_co_ci_u32_e32 v7, vcc_lo, s21, v34, vcc_lo
	v_cmp_eq_u32_e32 vcc_lo, 0, v23
	s_delay_alu instid0(VALU_DEP_4)
	v_and_b32_e32 v24, v4, v5
	v_cndmask_b32_e64 v25, 1, 2, vcc_lo
	v_add_co_u32 v4, vcc_lo, v6, v35
	v_add_co_ci_u32_e32 v5, vcc_lo, v7, v36, vcc_lo
	v_lshlrev_b32_e32 v6, 3, v8
	v_cmp_eq_u32_e32 vcc_lo, 0, v14
	v_and_b32_e32 v7, v24, v25
	v_add_nc_u32_e32 v8, v65, v8
	v_cndmask_b32_e64 v24, 1, 2, vcc_lo
	v_add_co_u32 v6, vcc_lo, v6, v4
	v_add_co_ci_u32_e32 v25, vcc_lo, 0, v5, vcc_lo
	v_cmp_eq_u32_e32 vcc_lo, 0, v22
	s_delay_alu instid0(VALU_DEP_4) | instskip(SKIP_4) | instid1(VALU_DEP_4)
	v_and_b32_e32 v24, v7, v24
	v_cndmask_b32_e64 v26, 1, 2, vcc_lo
	v_add_co_u32 v6, vcc_lo, v6, -8
	v_add_co_ci_u32_e32 v7, vcc_lo, -1, v25, vcc_lo
	v_cmp_eq_u32_e32 vcc_lo, 0, v20
	v_and_b32_e32 v24, v24, v26
	v_cndmask_b32_e64 v25, 1, 2, vcc_lo
	v_cmp_eq_u32_e32 vcc_lo, 0, v21
	s_delay_alu instid0(VALU_DEP_2) | instskip(SKIP_2) | instid1(VALU_DEP_2)
	v_and_b32_e32 v9, v24, v25
	v_cndmask_b32_e64 v10, 1, 2, vcc_lo
	v_cmp_eq_u32_e32 vcc_lo, 0, v12
	v_and_b32_e32 v9, v9, v10
	v_cndmask_b32_e64 v10, 1, 2, vcc_lo
	v_cmp_gt_u32_e32 vcc_lo, 0x100, v3
	s_delay_alu instid0(VALU_DEP_2) | instskip(NEXT) | instid1(VALU_DEP_1)
	v_and_b32_e32 v9, v9, v10
	v_cmp_gt_i16_e64 s15, 2, v9
	s_cbranch_vccnz .LBB275_203
; %bb.200:
	s_and_b32 vcc_lo, exec_lo, s16
	s_cbranch_vccnz .LBB275_209
.LBB275_201:
	v_cmp_eq_u32_e32 vcc_lo, 0xff, v0
	s_and_b32 s0, vcc_lo, s17
	s_delay_alu instid0(SALU_CYCLE_1)
	s_and_saveexec_b32 s1, s0
	s_cbranch_execnz .LBB275_218
.LBB275_202:
	s_nop 0
	s_sendmsg sendmsg(MSG_DEALLOC_VGPRS)
	s_endpgm
.LBB275_203:
	s_delay_alu instid0(VALU_DEP_1)
	s_and_saveexec_b32 s16, s15
	s_cbranch_execz .LBB275_208
; %bb.204:
	s_mov_b32 s18, 0
	s_mov_b32 s15, exec_lo
	v_cmpx_ne_u16_e32 1, v9
	s_xor_b32 s15, exec_lo, s15
	s_cbranch_execnz .LBB275_255
; %bb.205:
	s_and_not1_saveexec_b32 s15, s15
	s_cbranch_execnz .LBB275_271
.LBB275_206:
	s_or_b32 exec_lo, exec_lo, s15
	s_delay_alu instid0(SALU_CYCLE_1)
	s_and_b32 exec_lo, exec_lo, s18
	s_cbranch_execz .LBB275_208
.LBB275_207:
	v_sub_nc_u32_e32 v10, v37, v8
	v_mov_b32_e32 v11, 0
	s_delay_alu instid0(VALU_DEP_1) | instskip(NEXT) | instid1(VALU_DEP_1)
	v_lshlrev_b64 v[10:11], 3, v[10:11]
	v_add_co_u32 v10, vcc_lo, v6, v10
	s_delay_alu instid0(VALU_DEP_2)
	v_add_co_ci_u32_e32 v11, vcc_lo, v7, v11, vcc_lo
	global_store_b64 v[10:11], v[1:2], off
.LBB275_208:
	s_or_b32 exec_lo, exec_lo, s16
	s_branch .LBB275_201
.LBB275_209:
	s_mov_b32 s15, exec_lo
	v_cmpx_gt_i16_e32 2, v9
	s_cbranch_execz .LBB275_214
; %bb.210:
	s_mov_b32 s18, 0
	s_mov_b32 s16, exec_lo
	v_cmpx_ne_u16_e32 1, v9
	s_xor_b32 s16, exec_lo, s16
	s_cbranch_execnz .LBB275_272
; %bb.211:
	s_and_not1_saveexec_b32 s0, s16
	s_cbranch_execnz .LBB275_288
.LBB275_212:
	s_or_b32 exec_lo, exec_lo, s0
	s_delay_alu instid0(SALU_CYCLE_1)
	s_and_b32 exec_lo, exec_lo, s18
	s_cbranch_execz .LBB275_214
.LBB275_213:
	v_sub_nc_u32_e32 v8, v37, v8
	s_delay_alu instid0(VALU_DEP_1)
	v_lshlrev_b32_e32 v8, 3, v8
	ds_store_b64 v8, v[1:2]
.LBB275_214:
	s_or_b32 exec_lo, exec_lo, s15
	s_delay_alu instid0(SALU_CYCLE_1)
	s_mov_b32 s1, exec_lo
	s_waitcnt lgkmcnt(0)
	s_waitcnt_vscnt null, 0x0
	s_barrier
	buffer_gl0_inv
	v_cmpx_lt_u32_e64 v0, v3
	s_cbranch_execz .LBB275_217
; %bb.215:
	v_dual_mov_b32 v1, v0 :: v_dual_lshlrev_b32 v8, 3, v0
	v_mov_b32_e32 v2, 0
	s_mov_b32 s2, 0
	.p2align	6
.LBB275_216:                            ; =>This Inner Loop Header: Depth=1
	ds_load_b64 v[9:10], v8
	v_lshlrev_b64 v[11:12], 3, v[1:2]
	v_add_nc_u32_e32 v1, 0x100, v1
	v_add_nc_u32_e32 v8, 0x800, v8
	s_delay_alu instid0(VALU_DEP_2) | instskip(NEXT) | instid1(VALU_DEP_4)
	v_cmp_ge_u32_e32 vcc_lo, v1, v3
	v_add_co_u32 v11, s0, v6, v11
	s_delay_alu instid0(VALU_DEP_1)
	v_add_co_ci_u32_e64 v12, s0, v7, v12, s0
	s_or_b32 s2, vcc_lo, s2
	s_waitcnt lgkmcnt(0)
	global_store_b64 v[11:12], v[9:10], off
	s_and_not1_b32 exec_lo, exec_lo, s2
	s_cbranch_execnz .LBB275_216
.LBB275_217:
	s_or_b32 exec_lo, exec_lo, s1
	v_cmp_eq_u32_e32 vcc_lo, 0xff, v0
	s_and_b32 s0, vcc_lo, s17
	s_delay_alu instid0(SALU_CYCLE_1)
	s_and_saveexec_b32 s1, s0
	s_cbranch_execz .LBB275_202
.LBB275_218:
	v_add_co_u32 v0, s0, v61, v65
	s_delay_alu instid0(VALU_DEP_1) | instskip(SKIP_1) | instid1(VALU_DEP_3)
	v_add_co_ci_u32_e64 v1, null, 0, 0, s0
	v_mov_b32_e32 v62, 0
	v_add_co_u32 v0, vcc_lo, v0, v29
	s_delay_alu instid0(VALU_DEP_3)
	v_add_co_ci_u32_e32 v1, vcc_lo, v1, v30, vcc_lo
	s_cmpk_lg_i32 s28, 0xf00
	global_store_b64 v62, v[0:1], s[22:23]
	s_cbranch_scc1 .LBB275_202
; %bb.219:
	v_lshlrev_b64 v[0:1], 3, v[61:62]
	s_delay_alu instid0(VALU_DEP_1) | instskip(NEXT) | instid1(VALU_DEP_2)
	v_add_co_u32 v0, vcc_lo, v4, v0
	v_add_co_ci_u32_e32 v1, vcc_lo, v5, v1, vcc_lo
	global_store_b64 v[0:1], v[63:64], off offset:-8
	s_nop 0
	s_sendmsg sendmsg(MSG_DEALLOC_VGPRS)
	s_endpgm
.LBB275_220:
	s_or_b32 exec_lo, exec_lo, s4
	v_mov_b32_e32 v113, s1
	s_and_saveexec_b32 s1, s31
	s_cbranch_execnz .LBB275_88
	s_branch .LBB275_89
.LBB275_221:
	s_and_saveexec_b32 s19, s13
	s_cbranch_execnz .LBB275_289
; %bb.222:
	s_or_b32 exec_lo, exec_lo, s19
	s_and_saveexec_b32 s19, s12
	s_cbranch_execnz .LBB275_290
.LBB275_223:
	s_or_b32 exec_lo, exec_lo, s19
	s_and_saveexec_b32 s19, s10
	s_cbranch_execnz .LBB275_291
.LBB275_224:
	s_or_b32 exec_lo, exec_lo, s19
	s_and_saveexec_b32 s19, s9
	s_cbranch_execnz .LBB275_292
.LBB275_225:
	s_or_b32 exec_lo, exec_lo, s19
	s_and_saveexec_b32 s19, s15
	s_cbranch_execnz .LBB275_293
.LBB275_226:
	s_or_b32 exec_lo, exec_lo, s19
	s_and_saveexec_b32 s19, s14
	s_cbranch_execnz .LBB275_294
.LBB275_227:
	s_or_b32 exec_lo, exec_lo, s19
	s_and_saveexec_b32 s19, s11
	s_cbranch_execnz .LBB275_295
.LBB275_228:
	s_or_b32 exec_lo, exec_lo, s19
	s_and_saveexec_b32 s19, s8
	s_cbranch_execnz .LBB275_296
.LBB275_229:
	s_or_b32 exec_lo, exec_lo, s19
	s_and_saveexec_b32 s19, s7
	s_cbranch_execnz .LBB275_297
.LBB275_230:
	s_or_b32 exec_lo, exec_lo, s19
	s_and_saveexec_b32 s19, s6
	s_cbranch_execnz .LBB275_298
.LBB275_231:
	s_or_b32 exec_lo, exec_lo, s19
	s_and_saveexec_b32 s19, s5
	s_cbranch_execnz .LBB275_299
.LBB275_232:
	s_or_b32 exec_lo, exec_lo, s19
	s_and_saveexec_b32 s19, s4
	s_cbranch_execnz .LBB275_300
.LBB275_233:
	s_or_b32 exec_lo, exec_lo, s19
	s_and_saveexec_b32 s19, s3
	s_cbranch_execnz .LBB275_301
.LBB275_234:
	s_or_b32 exec_lo, exec_lo, s19
	s_and_saveexec_b32 s19, s1
	s_cbranch_execz .LBB275_236
.LBB275_235:
	v_sub_nc_u32_e32 v54, v38, v65
	v_mov_b32_e32 v55, 0
	s_delay_alu instid0(VALU_DEP_1) | instskip(NEXT) | instid1(VALU_DEP_1)
	v_lshlrev_b64 v[54:55], 3, v[54:55]
	v_add_co_u32 v54, vcc_lo, v51, v54
	s_delay_alu instid0(VALU_DEP_2)
	v_add_co_ci_u32_e32 v55, vcc_lo, v52, v55, vcc_lo
	global_store_b64 v[54:55], v[3:4], off
.LBB275_236:
	s_or_b32 exec_lo, exec_lo, s19
	s_delay_alu instid0(SALU_CYCLE_1)
	s_and_b32 s19, s0, exec_lo
	s_and_not1_saveexec_b32 s16, s16
	s_cbranch_execz .LBB275_186
.LBB275_237:
	v_sub_nc_u32_e32 v54, v114, v65
	v_mov_b32_e32 v55, 0
	s_or_b32 s19, s19, exec_lo
	s_delay_alu instid0(VALU_DEP_1) | instskip(SKIP_1) | instid1(VALU_DEP_1)
	v_lshlrev_b64 v[59:60], 3, v[54:55]
	v_sub_nc_u32_e32 v54, v48, v65
	v_lshlrev_b64 v[95:96], 3, v[54:55]
	v_sub_nc_u32_e32 v54, v50, v65
	s_delay_alu instid0(VALU_DEP_4) | instskip(SKIP_1) | instid1(VALU_DEP_3)
	v_add_co_u32 v59, vcc_lo, v51, v59
	v_add_co_ci_u32_e32 v60, vcc_lo, v52, v60, vcc_lo
	v_lshlrev_b64 v[115:116], 3, v[54:55]
	v_sub_nc_u32_e32 v54, v49, v65
	v_add_co_u32 v95, vcc_lo, v51, v95
	v_add_co_ci_u32_e32 v96, vcc_lo, v52, v96, vcc_lo
	global_store_b64 v[59:60], v[25:26], off
	v_lshlrev_b64 v[59:60], 3, v[54:55]
	v_sub_nc_u32_e32 v54, v47, v65
	global_store_b64 v[95:96], v[27:28], off
	v_add_co_u32 v95, vcc_lo, v51, v115
	v_add_co_ci_u32_e32 v96, vcc_lo, v52, v116, vcc_lo
	v_lshlrev_b64 v[115:116], 3, v[54:55]
	v_sub_nc_u32_e32 v54, v46, v65
	v_add_co_u32 v59, vcc_lo, v51, v59
	v_add_co_ci_u32_e32 v60, vcc_lo, v52, v60, vcc_lo
	s_delay_alu instid0(VALU_DEP_3) | instskip(SKIP_3) | instid1(VALU_DEP_3)
	v_lshlrev_b64 v[117:118], 3, v[54:55]
	v_sub_nc_u32_e32 v54, v45, v65
	v_add_co_u32 v115, vcc_lo, v51, v115
	v_add_co_ci_u32_e32 v116, vcc_lo, v52, v116, vcc_lo
	v_lshlrev_b64 v[119:120], 3, v[54:55]
	v_sub_nc_u32_e32 v54, v44, v65
	v_add_co_u32 v117, vcc_lo, v51, v117
	v_add_co_ci_u32_e32 v118, vcc_lo, v52, v118, vcc_lo
	s_clause 0x3
	global_store_b64 v[95:96], v[21:22], off
	global_store_b64 v[59:60], v[23:24], off
	global_store_b64 v[115:116], v[17:18], off
	global_store_b64 v[117:118], v[19:20], off
	v_lshlrev_b64 v[59:60], 3, v[54:55]
	v_sub_nc_u32_e32 v54, v43, v65
	v_add_co_u32 v95, vcc_lo, v51, v119
	v_add_co_ci_u32_e32 v96, vcc_lo, v52, v120, vcc_lo
	s_delay_alu instid0(VALU_DEP_3) | instskip(SKIP_3) | instid1(VALU_DEP_3)
	v_lshlrev_b64 v[115:116], 3, v[54:55]
	v_sub_nc_u32_e32 v54, v42, v65
	v_add_co_u32 v59, vcc_lo, v51, v59
	v_add_co_ci_u32_e32 v60, vcc_lo, v52, v60, vcc_lo
	v_lshlrev_b64 v[117:118], 3, v[54:55]
	v_sub_nc_u32_e32 v54, v41, v65
	v_add_co_u32 v115, vcc_lo, v51, v115
	v_add_co_ci_u32_e32 v116, vcc_lo, v52, v116, vcc_lo
	s_delay_alu instid0(VALU_DEP_3)
	v_lshlrev_b64 v[119:120], 3, v[54:55]
	v_sub_nc_u32_e32 v54, v40, v65
	v_add_co_u32 v117, vcc_lo, v51, v117
	v_add_co_ci_u32_e32 v118, vcc_lo, v52, v118, vcc_lo
	s_clause 0x3
	global_store_b64 v[95:96], v[13:14], off
	global_store_b64 v[59:60], v[15:16], off
	;; [unrolled: 1-line block ×4, first 2 shown]
	v_lshlrev_b64 v[59:60], 3, v[54:55]
	v_sub_nc_u32_e32 v54, v39, v65
	v_add_co_u32 v95, vcc_lo, v51, v119
	v_add_co_ci_u32_e32 v96, vcc_lo, v52, v120, vcc_lo
	s_delay_alu instid0(VALU_DEP_3) | instskip(SKIP_3) | instid1(VALU_DEP_3)
	v_lshlrev_b64 v[115:116], 3, v[54:55]
	v_sub_nc_u32_e32 v54, v38, v65
	v_add_co_u32 v59, vcc_lo, v51, v59
	v_add_co_ci_u32_e32 v60, vcc_lo, v52, v60, vcc_lo
	v_lshlrev_b64 v[54:55], 3, v[54:55]
	v_add_co_u32 v115, vcc_lo, v51, v115
	v_add_co_ci_u32_e32 v116, vcc_lo, v52, v116, vcc_lo
	s_clause 0x2
	global_store_b64 v[95:96], v[5:6], off
	global_store_b64 v[59:60], v[7:8], off
	;; [unrolled: 1-line block ×3, first 2 shown]
	v_add_co_u32 v54, vcc_lo, v51, v54
	v_add_co_ci_u32_e32 v55, vcc_lo, v52, v55, vcc_lo
	global_store_b64 v[54:55], v[3:4], off
	s_or_b32 exec_lo, exec_lo, s16
	s_delay_alu instid0(SALU_CYCLE_1)
	s_and_b32 exec_lo, exec_lo, s19
	s_cbranch_execnz .LBB275_187
	s_branch .LBB275_188
.LBB275_238:
	s_and_saveexec_b32 s19, s13
	s_cbranch_execnz .LBB275_302
; %bb.239:
	s_or_b32 exec_lo, exec_lo, s19
	s_and_saveexec_b32 s13, s12
	s_cbranch_execnz .LBB275_303
.LBB275_240:
	s_or_b32 exec_lo, exec_lo, s13
	s_and_saveexec_b32 s12, s10
	s_cbranch_execnz .LBB275_304
.LBB275_241:
	s_or_b32 exec_lo, exec_lo, s12
	s_and_saveexec_b32 s10, s9
	s_cbranch_execnz .LBB275_305
.LBB275_242:
	s_or_b32 exec_lo, exec_lo, s10
	s_and_saveexec_b32 s9, s15
	s_cbranch_execnz .LBB275_306
.LBB275_243:
	s_or_b32 exec_lo, exec_lo, s9
	s_and_saveexec_b32 s9, s14
	s_cbranch_execnz .LBB275_307
.LBB275_244:
	s_or_b32 exec_lo, exec_lo, s9
	s_and_saveexec_b32 s9, s11
	s_cbranch_execnz .LBB275_308
.LBB275_245:
	s_or_b32 exec_lo, exec_lo, s9
	s_and_saveexec_b32 s9, s8
	s_cbranch_execnz .LBB275_309
.LBB275_246:
	s_or_b32 exec_lo, exec_lo, s9
	s_and_saveexec_b32 s8, s7
	s_cbranch_execnz .LBB275_310
.LBB275_247:
	s_or_b32 exec_lo, exec_lo, s8
	s_and_saveexec_b32 s7, s6
	s_cbranch_execnz .LBB275_311
.LBB275_248:
	s_or_b32 exec_lo, exec_lo, s7
	s_and_saveexec_b32 s6, s5
	s_cbranch_execnz .LBB275_312
.LBB275_249:
	s_or_b32 exec_lo, exec_lo, s6
	s_and_saveexec_b32 s5, s4
	s_cbranch_execnz .LBB275_313
.LBB275_250:
	s_or_b32 exec_lo, exec_lo, s5
	s_and_saveexec_b32 s4, s3
	s_cbranch_execnz .LBB275_314
.LBB275_251:
	s_or_b32 exec_lo, exec_lo, s4
	s_and_saveexec_b32 s3, s1
	s_cbranch_execz .LBB275_253
.LBB275_252:
	v_sub_nc_u32_e32 v1, v38, v65
	s_delay_alu instid0(VALU_DEP_1)
	v_lshlrev_b32_e32 v1, 3, v1
	ds_store_b64 v1, v[3:4]
.LBB275_253:
	s_or_b32 exec_lo, exec_lo, s3
	s_delay_alu instid0(SALU_CYCLE_1)
	s_and_b32 s19, s0, exec_lo
                                        ; implicit-def: $vgpr25_vgpr26
                                        ; implicit-def: $vgpr21_vgpr22
                                        ; implicit-def: $vgpr17_vgpr18
                                        ; implicit-def: $vgpr13_vgpr14
                                        ; implicit-def: $vgpr9_vgpr10
                                        ; implicit-def: $vgpr5_vgpr6
                                        ; implicit-def: $vgpr1_vgpr2
	s_and_not1_saveexec_b32 s0, s18
	s_cbranch_execz .LBB275_193
.LBB275_254:
	v_sub_nc_u32_e32 v53, v114, v65
	v_sub_nc_u32_e32 v54, v48, v65
	;; [unrolled: 1-line block ×4, first 2 shown]
	s_or_b32 s19, s19, exec_lo
	v_lshlrev_b32_e32 v53, 3, v53
	v_lshlrev_b32_e32 v54, 3, v54
	;; [unrolled: 1-line block ×4, first 2 shown]
	ds_store_b64 v53, v[25:26]
	ds_store_b64 v54, v[27:28]
	;; [unrolled: 1-line block ×3, first 2 shown]
	v_sub_nc_u32_e32 v21, v47, v65
	v_sub_nc_u32_e32 v22, v46, v65
	ds_store_b64 v56, v[23:24]
	v_sub_nc_u32_e32 v23, v45, v65
	v_sub_nc_u32_e32 v24, v44, v65
	v_lshlrev_b32_e32 v21, 3, v21
	v_sub_nc_u32_e32 v25, v43, v65
	v_lshlrev_b32_e32 v22, 3, v22
	v_lshlrev_b32_e32 v23, 3, v23
	;; [unrolled: 1-line block ×3, first 2 shown]
	ds_store_b64 v21, v[17:18]
	v_lshlrev_b32_e32 v17, 3, v25
	ds_store_b64 v22, v[19:20]
	ds_store_b64 v23, v[13:14]
	;; [unrolled: 1-line block ×3, first 2 shown]
	v_sub_nc_u32_e32 v13, v42, v65
	v_sub_nc_u32_e32 v15, v38, v65
	;; [unrolled: 1-line block ×3, first 2 shown]
	ds_store_b64 v17, v[9:10]
	v_sub_nc_u32_e32 v9, v41, v65
	v_lshlrev_b32_e32 v13, 3, v13
	v_sub_nc_u32_e32 v10, v40, v65
	v_lshlrev_b32_e32 v14, 3, v14
	s_delay_alu instid0(VALU_DEP_4)
	v_lshlrev_b32_e32 v9, 3, v9
	ds_store_b64 v13, v[11:12]
	v_lshlrev_b32_e32 v11, 3, v15
	v_lshlrev_b32_e32 v10, 3, v10
	ds_store_b64 v9, v[5:6]
	ds_store_b64 v10, v[7:8]
	;; [unrolled: 1-line block ×4, first 2 shown]
	s_or_b32 exec_lo, exec_lo, s0
	s_delay_alu instid0(SALU_CYCLE_1)
	s_and_b32 exec_lo, exec_lo, s19
	s_cbranch_execnz .LBB275_194
	s_branch .LBB275_195
.LBB275_255:
	s_and_saveexec_b32 s18, s14
	s_cbranch_execnz .LBB275_315
; %bb.256:
	s_or_b32 exec_lo, exec_lo, s18
	s_and_saveexec_b32 s18, s13
	s_cbranch_execnz .LBB275_316
.LBB275_257:
	s_or_b32 exec_lo, exec_lo, s18
	s_and_saveexec_b32 s18, s12
	s_cbranch_execnz .LBB275_317
.LBB275_258:
	s_or_b32 exec_lo, exec_lo, s18
	s_and_saveexec_b32 s18, s11
	s_cbranch_execnz .LBB275_318
.LBB275_259:
	s_or_b32 exec_lo, exec_lo, s18
	s_and_saveexec_b32 s18, s10
	s_cbranch_execnz .LBB275_319
.LBB275_260:
	s_or_b32 exec_lo, exec_lo, s18
	s_and_saveexec_b32 s18, s9
	s_cbranch_execnz .LBB275_320
.LBB275_261:
	s_or_b32 exec_lo, exec_lo, s18
	s_and_saveexec_b32 s18, s8
	s_cbranch_execnz .LBB275_321
.LBB275_262:
	s_or_b32 exec_lo, exec_lo, s18
	s_and_saveexec_b32 s18, s7
	s_cbranch_execnz .LBB275_322
.LBB275_263:
	s_or_b32 exec_lo, exec_lo, s18
	s_and_saveexec_b32 s18, s6
	s_cbranch_execnz .LBB275_323
.LBB275_264:
	s_or_b32 exec_lo, exec_lo, s18
	s_and_saveexec_b32 s18, s5
	s_cbranch_execnz .LBB275_324
.LBB275_265:
	s_or_b32 exec_lo, exec_lo, s18
	s_and_saveexec_b32 s18, s4
	s_cbranch_execnz .LBB275_325
.LBB275_266:
	s_or_b32 exec_lo, exec_lo, s18
	s_and_saveexec_b32 s18, s3
	s_cbranch_execnz .LBB275_326
.LBB275_267:
	s_or_b32 exec_lo, exec_lo, s18
	s_and_saveexec_b32 s18, s2
	s_cbranch_execnz .LBB275_327
.LBB275_268:
	s_or_b32 exec_lo, exec_lo, s18
	s_and_saveexec_b32 s18, s1
	s_cbranch_execz .LBB275_270
.LBB275_269:
	v_sub_nc_u32_e32 v10, v38, v8
	v_mov_b32_e32 v11, 0
	s_delay_alu instid0(VALU_DEP_1) | instskip(NEXT) | instid1(VALU_DEP_1)
	v_lshlrev_b64 v[10:11], 3, v[10:11]
	v_add_co_u32 v10, vcc_lo, v6, v10
	s_delay_alu instid0(VALU_DEP_2)
	v_add_co_ci_u32_e32 v11, vcc_lo, v7, v11, vcc_lo
	global_store_b64 v[10:11], v[93:94], off
.LBB275_270:
	s_or_b32 exec_lo, exec_lo, s18
	s_delay_alu instid0(SALU_CYCLE_1)
	s_and_b32 s18, s0, exec_lo
	s_and_not1_saveexec_b32 s15, s15
	s_cbranch_execz .LBB275_206
.LBB275_271:
	v_sub_nc_u32_e32 v10, v114, v8
	v_mov_b32_e32 v11, 0
	s_or_b32 s18, s18, exec_lo
	s_delay_alu instid0(VALU_DEP_1) | instskip(SKIP_1) | instid1(VALU_DEP_1)
	v_lshlrev_b64 v[12:13], 3, v[10:11]
	v_sub_nc_u32_e32 v10, v48, v8
	v_lshlrev_b64 v[14:15], 3, v[10:11]
	v_sub_nc_u32_e32 v10, v50, v8
	s_delay_alu instid0(VALU_DEP_4) | instskip(SKIP_1) | instid1(VALU_DEP_3)
	v_add_co_u32 v12, vcc_lo, v6, v12
	v_add_co_ci_u32_e32 v13, vcc_lo, v7, v13, vcc_lo
	v_lshlrev_b64 v[16:17], 3, v[10:11]
	v_sub_nc_u32_e32 v10, v49, v8
	v_add_co_u32 v14, vcc_lo, v6, v14
	v_add_co_ci_u32_e32 v15, vcc_lo, v7, v15, vcc_lo
	global_store_b64 v[12:13], v[79:80], off
	v_lshlrev_b64 v[12:13], 3, v[10:11]
	v_sub_nc_u32_e32 v10, v47, v8
	global_store_b64 v[14:15], v[75:76], off
	v_add_co_u32 v14, vcc_lo, v6, v16
	v_add_co_ci_u32_e32 v15, vcc_lo, v7, v17, vcc_lo
	v_lshlrev_b64 v[16:17], 3, v[10:11]
	v_sub_nc_u32_e32 v10, v46, v8
	v_add_co_u32 v12, vcc_lo, v6, v12
	v_add_co_ci_u32_e32 v13, vcc_lo, v7, v13, vcc_lo
	s_delay_alu instid0(VALU_DEP_3) | instskip(SKIP_3) | instid1(VALU_DEP_3)
	v_lshlrev_b64 v[18:19], 3, v[10:11]
	v_sub_nc_u32_e32 v10, v45, v8
	v_add_co_u32 v16, vcc_lo, v6, v16
	v_add_co_ci_u32_e32 v17, vcc_lo, v7, v17, vcc_lo
	v_lshlrev_b64 v[20:21], 3, v[10:11]
	v_sub_nc_u32_e32 v10, v44, v8
	v_add_co_u32 v18, vcc_lo, v6, v18
	v_add_co_ci_u32_e32 v19, vcc_lo, v7, v19, vcc_lo
	s_clause 0x3
	global_store_b64 v[14:15], v[81:82], off
	global_store_b64 v[12:13], v[85:86], off
	;; [unrolled: 1-line block ×4, first 2 shown]
	v_lshlrev_b64 v[12:13], 3, v[10:11]
	v_sub_nc_u32_e32 v10, v43, v8
	v_add_co_u32 v14, vcc_lo, v6, v20
	v_add_co_ci_u32_e32 v15, vcc_lo, v7, v21, vcc_lo
	s_delay_alu instid0(VALU_DEP_3) | instskip(SKIP_3) | instid1(VALU_DEP_3)
	v_lshlrev_b64 v[16:17], 3, v[10:11]
	v_sub_nc_u32_e32 v10, v42, v8
	v_add_co_u32 v12, vcc_lo, v6, v12
	v_add_co_ci_u32_e32 v13, vcc_lo, v7, v13, vcc_lo
	v_lshlrev_b64 v[18:19], 3, v[10:11]
	v_sub_nc_u32_e32 v10, v41, v8
	v_add_co_u32 v16, vcc_lo, v6, v16
	v_add_co_ci_u32_e32 v17, vcc_lo, v7, v17, vcc_lo
	s_delay_alu instid0(VALU_DEP_3)
	v_lshlrev_b64 v[20:21], 3, v[10:11]
	v_sub_nc_u32_e32 v10, v40, v8
	v_add_co_u32 v18, vcc_lo, v6, v18
	v_add_co_ci_u32_e32 v19, vcc_lo, v7, v19, vcc_lo
	s_clause 0x3
	global_store_b64 v[14:15], v[77:78], off
	global_store_b64 v[12:13], v[83:84], off
	;; [unrolled: 1-line block ×4, first 2 shown]
	v_lshlrev_b64 v[12:13], 3, v[10:11]
	v_sub_nc_u32_e32 v10, v39, v8
	v_add_co_u32 v14, vcc_lo, v6, v20
	v_add_co_ci_u32_e32 v15, vcc_lo, v7, v21, vcc_lo
	s_delay_alu instid0(VALU_DEP_3) | instskip(SKIP_3) | instid1(VALU_DEP_3)
	v_lshlrev_b64 v[16:17], 3, v[10:11]
	v_sub_nc_u32_e32 v10, v38, v8
	v_add_co_u32 v12, vcc_lo, v6, v12
	v_add_co_ci_u32_e32 v13, vcc_lo, v7, v13, vcc_lo
	v_lshlrev_b64 v[10:11], 3, v[10:11]
	v_add_co_u32 v16, vcc_lo, v6, v16
	v_add_co_ci_u32_e32 v17, vcc_lo, v7, v17, vcc_lo
	s_clause 0x2
	global_store_b64 v[14:15], v[73:74], off
	global_store_b64 v[12:13], v[89:90], off
	;; [unrolled: 1-line block ×3, first 2 shown]
	v_add_co_u32 v10, vcc_lo, v6, v10
	v_add_co_ci_u32_e32 v11, vcc_lo, v7, v11, vcc_lo
	global_store_b64 v[10:11], v[93:94], off
	s_or_b32 exec_lo, exec_lo, s15
	s_delay_alu instid0(SALU_CYCLE_1)
	s_and_b32 exec_lo, exec_lo, s18
	s_cbranch_execnz .LBB275_207
	s_branch .LBB275_208
.LBB275_272:
	s_and_saveexec_b32 s18, s14
	s_cbranch_execnz .LBB275_328
; %bb.273:
	s_or_b32 exec_lo, exec_lo, s18
	s_and_saveexec_b32 s14, s13
	s_cbranch_execnz .LBB275_329
.LBB275_274:
	s_or_b32 exec_lo, exec_lo, s14
	s_and_saveexec_b32 s13, s12
	s_cbranch_execnz .LBB275_330
.LBB275_275:
	s_or_b32 exec_lo, exec_lo, s13
	s_and_saveexec_b32 s12, s11
	s_cbranch_execnz .LBB275_331
.LBB275_276:
	s_or_b32 exec_lo, exec_lo, s12
	s_and_saveexec_b32 s11, s10
	s_cbranch_execnz .LBB275_332
.LBB275_277:
	s_or_b32 exec_lo, exec_lo, s11
	s_and_saveexec_b32 s10, s9
	s_cbranch_execnz .LBB275_333
.LBB275_278:
	s_or_b32 exec_lo, exec_lo, s10
	s_and_saveexec_b32 s9, s8
	s_cbranch_execnz .LBB275_334
.LBB275_279:
	s_or_b32 exec_lo, exec_lo, s9
	s_and_saveexec_b32 s8, s7
	s_cbranch_execnz .LBB275_335
.LBB275_280:
	s_or_b32 exec_lo, exec_lo, s8
	s_and_saveexec_b32 s7, s6
	s_cbranch_execnz .LBB275_336
.LBB275_281:
	s_or_b32 exec_lo, exec_lo, s7
	s_and_saveexec_b32 s6, s5
	s_cbranch_execnz .LBB275_337
.LBB275_282:
	s_or_b32 exec_lo, exec_lo, s6
	s_and_saveexec_b32 s5, s4
	s_cbranch_execnz .LBB275_338
.LBB275_283:
	s_or_b32 exec_lo, exec_lo, s5
	s_and_saveexec_b32 s4, s3
	s_cbranch_execnz .LBB275_339
.LBB275_284:
	s_or_b32 exec_lo, exec_lo, s4
	s_and_saveexec_b32 s3, s2
	s_cbranch_execnz .LBB275_340
.LBB275_285:
	s_or_b32 exec_lo, exec_lo, s3
	s_and_saveexec_b32 s2, s1
	s_cbranch_execz .LBB275_287
.LBB275_286:
	v_sub_nc_u32_e32 v9, v38, v8
	s_delay_alu instid0(VALU_DEP_1)
	v_lshlrev_b32_e32 v9, 3, v9
	ds_store_b64 v9, v[93:94]
.LBB275_287:
	s_or_b32 exec_lo, exec_lo, s2
	s_delay_alu instid0(SALU_CYCLE_1)
	s_and_b32 s18, s0, exec_lo
                                        ; implicit-def: $vgpr79_vgpr80
                                        ; implicit-def: $vgpr75_vgpr76
                                        ; implicit-def: $vgpr81_vgpr82
                                        ; implicit-def: $vgpr85_vgpr86
                                        ; implicit-def: $vgpr67_vgpr68
                                        ; implicit-def: $vgpr71_vgpr72
                                        ; implicit-def: $vgpr77_vgpr78
                                        ; implicit-def: $vgpr83_vgpr84
                                        ; implicit-def: $vgpr87_vgpr88
                                        ; implicit-def: $vgpr69_vgpr70
                                        ; implicit-def: $vgpr73_vgpr74
                                        ; implicit-def: $vgpr89_vgpr90
                                        ; implicit-def: $vgpr91_vgpr92
                                        ; implicit-def: $vgpr93_vgpr94
                                        ; implicit-def: $vgpr114
                                        ; implicit-def: $vgpr48
                                        ; implicit-def: $vgpr50
                                        ; implicit-def: $vgpr49
                                        ; implicit-def: $vgpr47
                                        ; implicit-def: $vgpr46
                                        ; implicit-def: $vgpr45
                                        ; implicit-def: $vgpr44
                                        ; implicit-def: $vgpr43
                                        ; implicit-def: $vgpr42
                                        ; implicit-def: $vgpr41
                                        ; implicit-def: $vgpr40
                                        ; implicit-def: $vgpr39
                                        ; implicit-def: $vgpr38
	s_and_not1_saveexec_b32 s0, s16
	s_cbranch_execz .LBB275_212
.LBB275_288:
	v_sub_nc_u32_e32 v9, v114, v8
	v_sub_nc_u32_e32 v10, v48, v8
	;; [unrolled: 1-line block ×5, first 2 shown]
	v_lshlrev_b32_e32 v9, 3, v9
	v_lshlrev_b32_e32 v10, 3, v10
	;; [unrolled: 1-line block ×4, first 2 shown]
	s_or_b32 s18, s18, exec_lo
	ds_store_b64 v9, v[79:80]
	ds_store_b64 v10, v[75:76]
	;; [unrolled: 1-line block ×3, first 2 shown]
	v_sub_nc_u32_e32 v9, v47, v8
	v_sub_nc_u32_e32 v10, v46, v8
	;; [unrolled: 1-line block ×3, first 2 shown]
	ds_store_b64 v12, v[85:86]
	v_sub_nc_u32_e32 v12, v44, v8
	v_lshlrev_b32_e32 v9, 3, v9
	v_lshlrev_b32_e32 v10, 3, v10
	;; [unrolled: 1-line block ×3, first 2 shown]
	s_delay_alu instid0(VALU_DEP_4)
	v_lshlrev_b32_e32 v12, 3, v12
	ds_store_b64 v9, v[67:68]
	v_lshlrev_b32_e32 v9, 3, v13
	ds_store_b64 v10, v[71:72]
	ds_store_b64 v11, v[77:78]
	;; [unrolled: 1-line block ×3, first 2 shown]
	v_sub_nc_u32_e32 v10, v42, v8
	v_sub_nc_u32_e32 v13, v38, v8
	;; [unrolled: 1-line block ×3, first 2 shown]
	ds_store_b64 v9, v[87:88]
	v_sub_nc_u32_e32 v9, v41, v8
	v_lshlrev_b32_e32 v10, 3, v10
	v_sub_nc_u32_e32 v12, v39, v8
	v_lshlrev_b32_e32 v11, 3, v11
	s_delay_alu instid0(VALU_DEP_4)
	v_lshlrev_b32_e32 v9, 3, v9
	ds_store_b64 v10, v[69:70]
	v_lshlrev_b32_e32 v10, 3, v13
	v_lshlrev_b32_e32 v12, 3, v12
	ds_store_b64 v9, v[73:74]
	ds_store_b64 v11, v[89:90]
	;; [unrolled: 1-line block ×4, first 2 shown]
	s_or_b32 exec_lo, exec_lo, s0
	s_delay_alu instid0(SALU_CYCLE_1)
	s_and_b32 exec_lo, exec_lo, s18
	s_cbranch_execnz .LBB275_213
	s_branch .LBB275_214
.LBB275_289:
	v_sub_nc_u32_e32 v54, v114, v65
	v_mov_b32_e32 v55, 0
	s_delay_alu instid0(VALU_DEP_1) | instskip(NEXT) | instid1(VALU_DEP_1)
	v_lshlrev_b64 v[54:55], 3, v[54:55]
	v_add_co_u32 v54, vcc_lo, v51, v54
	s_delay_alu instid0(VALU_DEP_2)
	v_add_co_ci_u32_e32 v55, vcc_lo, v52, v55, vcc_lo
	global_store_b64 v[54:55], v[25:26], off
	s_or_b32 exec_lo, exec_lo, s19
	s_and_saveexec_b32 s19, s12
	s_cbranch_execz .LBB275_223
.LBB275_290:
	v_sub_nc_u32_e32 v54, v48, v65
	v_mov_b32_e32 v55, 0
	s_delay_alu instid0(VALU_DEP_1) | instskip(NEXT) | instid1(VALU_DEP_1)
	v_lshlrev_b64 v[54:55], 3, v[54:55]
	v_add_co_u32 v54, vcc_lo, v51, v54
	s_delay_alu instid0(VALU_DEP_2)
	v_add_co_ci_u32_e32 v55, vcc_lo, v52, v55, vcc_lo
	global_store_b64 v[54:55], v[27:28], off
	s_or_b32 exec_lo, exec_lo, s19
	s_and_saveexec_b32 s19, s10
	s_cbranch_execz .LBB275_224
.LBB275_291:
	v_sub_nc_u32_e32 v54, v50, v65
	v_mov_b32_e32 v55, 0
	s_delay_alu instid0(VALU_DEP_1) | instskip(NEXT) | instid1(VALU_DEP_1)
	v_lshlrev_b64 v[54:55], 3, v[54:55]
	v_add_co_u32 v54, vcc_lo, v51, v54
	s_delay_alu instid0(VALU_DEP_2)
	v_add_co_ci_u32_e32 v55, vcc_lo, v52, v55, vcc_lo
	global_store_b64 v[54:55], v[21:22], off
	s_or_b32 exec_lo, exec_lo, s19
	s_and_saveexec_b32 s19, s9
	s_cbranch_execz .LBB275_225
.LBB275_292:
	v_sub_nc_u32_e32 v54, v49, v65
	v_mov_b32_e32 v55, 0
	s_delay_alu instid0(VALU_DEP_1) | instskip(NEXT) | instid1(VALU_DEP_1)
	v_lshlrev_b64 v[54:55], 3, v[54:55]
	v_add_co_u32 v54, vcc_lo, v51, v54
	s_delay_alu instid0(VALU_DEP_2)
	v_add_co_ci_u32_e32 v55, vcc_lo, v52, v55, vcc_lo
	global_store_b64 v[54:55], v[23:24], off
	s_or_b32 exec_lo, exec_lo, s19
	s_and_saveexec_b32 s19, s15
	s_cbranch_execz .LBB275_226
.LBB275_293:
	v_sub_nc_u32_e32 v54, v47, v65
	v_mov_b32_e32 v55, 0
	s_delay_alu instid0(VALU_DEP_1) | instskip(NEXT) | instid1(VALU_DEP_1)
	v_lshlrev_b64 v[54:55], 3, v[54:55]
	v_add_co_u32 v54, vcc_lo, v51, v54
	s_delay_alu instid0(VALU_DEP_2)
	v_add_co_ci_u32_e32 v55, vcc_lo, v52, v55, vcc_lo
	global_store_b64 v[54:55], v[17:18], off
	s_or_b32 exec_lo, exec_lo, s19
	s_and_saveexec_b32 s19, s14
	s_cbranch_execz .LBB275_227
.LBB275_294:
	v_sub_nc_u32_e32 v54, v46, v65
	v_mov_b32_e32 v55, 0
	s_delay_alu instid0(VALU_DEP_1) | instskip(NEXT) | instid1(VALU_DEP_1)
	v_lshlrev_b64 v[54:55], 3, v[54:55]
	v_add_co_u32 v54, vcc_lo, v51, v54
	s_delay_alu instid0(VALU_DEP_2)
	v_add_co_ci_u32_e32 v55, vcc_lo, v52, v55, vcc_lo
	global_store_b64 v[54:55], v[19:20], off
	s_or_b32 exec_lo, exec_lo, s19
	s_and_saveexec_b32 s19, s11
	s_cbranch_execz .LBB275_228
.LBB275_295:
	v_sub_nc_u32_e32 v54, v45, v65
	v_mov_b32_e32 v55, 0
	s_delay_alu instid0(VALU_DEP_1) | instskip(NEXT) | instid1(VALU_DEP_1)
	v_lshlrev_b64 v[54:55], 3, v[54:55]
	v_add_co_u32 v54, vcc_lo, v51, v54
	s_delay_alu instid0(VALU_DEP_2)
	v_add_co_ci_u32_e32 v55, vcc_lo, v52, v55, vcc_lo
	global_store_b64 v[54:55], v[13:14], off
	s_or_b32 exec_lo, exec_lo, s19
	s_and_saveexec_b32 s19, s8
	s_cbranch_execz .LBB275_229
.LBB275_296:
	v_sub_nc_u32_e32 v54, v44, v65
	v_mov_b32_e32 v55, 0
	s_delay_alu instid0(VALU_DEP_1) | instskip(NEXT) | instid1(VALU_DEP_1)
	v_lshlrev_b64 v[54:55], 3, v[54:55]
	v_add_co_u32 v54, vcc_lo, v51, v54
	s_delay_alu instid0(VALU_DEP_2)
	v_add_co_ci_u32_e32 v55, vcc_lo, v52, v55, vcc_lo
	global_store_b64 v[54:55], v[15:16], off
	s_or_b32 exec_lo, exec_lo, s19
	s_and_saveexec_b32 s19, s7
	s_cbranch_execz .LBB275_230
.LBB275_297:
	v_sub_nc_u32_e32 v54, v43, v65
	v_mov_b32_e32 v55, 0
	s_delay_alu instid0(VALU_DEP_1) | instskip(NEXT) | instid1(VALU_DEP_1)
	v_lshlrev_b64 v[54:55], 3, v[54:55]
	v_add_co_u32 v54, vcc_lo, v51, v54
	s_delay_alu instid0(VALU_DEP_2)
	v_add_co_ci_u32_e32 v55, vcc_lo, v52, v55, vcc_lo
	global_store_b64 v[54:55], v[9:10], off
	s_or_b32 exec_lo, exec_lo, s19
	s_and_saveexec_b32 s19, s6
	s_cbranch_execz .LBB275_231
.LBB275_298:
	v_sub_nc_u32_e32 v54, v42, v65
	v_mov_b32_e32 v55, 0
	s_delay_alu instid0(VALU_DEP_1) | instskip(NEXT) | instid1(VALU_DEP_1)
	v_lshlrev_b64 v[54:55], 3, v[54:55]
	v_add_co_u32 v54, vcc_lo, v51, v54
	s_delay_alu instid0(VALU_DEP_2)
	v_add_co_ci_u32_e32 v55, vcc_lo, v52, v55, vcc_lo
	global_store_b64 v[54:55], v[11:12], off
	s_or_b32 exec_lo, exec_lo, s19
	s_and_saveexec_b32 s19, s5
	s_cbranch_execz .LBB275_232
.LBB275_299:
	v_sub_nc_u32_e32 v54, v41, v65
	v_mov_b32_e32 v55, 0
	s_delay_alu instid0(VALU_DEP_1) | instskip(NEXT) | instid1(VALU_DEP_1)
	v_lshlrev_b64 v[54:55], 3, v[54:55]
	v_add_co_u32 v54, vcc_lo, v51, v54
	s_delay_alu instid0(VALU_DEP_2)
	v_add_co_ci_u32_e32 v55, vcc_lo, v52, v55, vcc_lo
	global_store_b64 v[54:55], v[5:6], off
	s_or_b32 exec_lo, exec_lo, s19
	s_and_saveexec_b32 s19, s4
	s_cbranch_execz .LBB275_233
.LBB275_300:
	v_sub_nc_u32_e32 v54, v40, v65
	v_mov_b32_e32 v55, 0
	s_delay_alu instid0(VALU_DEP_1) | instskip(NEXT) | instid1(VALU_DEP_1)
	v_lshlrev_b64 v[54:55], 3, v[54:55]
	v_add_co_u32 v54, vcc_lo, v51, v54
	s_delay_alu instid0(VALU_DEP_2)
	v_add_co_ci_u32_e32 v55, vcc_lo, v52, v55, vcc_lo
	global_store_b64 v[54:55], v[7:8], off
	s_or_b32 exec_lo, exec_lo, s19
	s_and_saveexec_b32 s19, s3
	s_cbranch_execz .LBB275_234
.LBB275_301:
	v_sub_nc_u32_e32 v54, v39, v65
	v_mov_b32_e32 v55, 0
	s_delay_alu instid0(VALU_DEP_1) | instskip(NEXT) | instid1(VALU_DEP_1)
	v_lshlrev_b64 v[54:55], 3, v[54:55]
	v_add_co_u32 v54, vcc_lo, v51, v54
	s_delay_alu instid0(VALU_DEP_2)
	v_add_co_ci_u32_e32 v55, vcc_lo, v52, v55, vcc_lo
	global_store_b64 v[54:55], v[1:2], off
	s_or_b32 exec_lo, exec_lo, s19
	s_and_saveexec_b32 s19, s1
	s_cbranch_execnz .LBB275_235
	s_branch .LBB275_236
.LBB275_302:
	v_sub_nc_u32_e32 v53, v114, v65
	s_delay_alu instid0(VALU_DEP_1)
	v_lshlrev_b32_e32 v53, 3, v53
	ds_store_b64 v53, v[25:26]
	s_or_b32 exec_lo, exec_lo, s19
	s_and_saveexec_b32 s13, s12
	s_cbranch_execz .LBB275_240
.LBB275_303:
	v_sub_nc_u32_e32 v25, v48, v65
	s_delay_alu instid0(VALU_DEP_1)
	v_lshlrev_b32_e32 v25, 3, v25
	ds_store_b64 v25, v[27:28]
	s_or_b32 exec_lo, exec_lo, s13
	s_and_saveexec_b32 s12, s10
	s_cbranch_execz .LBB275_241
.LBB275_304:
	v_sub_nc_u32_e32 v25, v50, v65
	s_delay_alu instid0(VALU_DEP_1)
	v_lshlrev_b32_e32 v25, 3, v25
	ds_store_b64 v25, v[21:22]
	s_or_b32 exec_lo, exec_lo, s12
	s_and_saveexec_b32 s10, s9
	s_cbranch_execz .LBB275_242
.LBB275_305:
	v_sub_nc_u32_e32 v21, v49, v65
	s_delay_alu instid0(VALU_DEP_1)
	v_lshlrev_b32_e32 v21, 3, v21
	ds_store_b64 v21, v[23:24]
	s_or_b32 exec_lo, exec_lo, s10
	s_and_saveexec_b32 s9, s15
	s_cbranch_execz .LBB275_243
.LBB275_306:
	v_sub_nc_u32_e32 v21, v47, v65
	s_delay_alu instid0(VALU_DEP_1)
	v_lshlrev_b32_e32 v21, 3, v21
	ds_store_b64 v21, v[17:18]
	s_or_b32 exec_lo, exec_lo, s9
	s_and_saveexec_b32 s9, s14
	s_cbranch_execz .LBB275_244
.LBB275_307:
	v_sub_nc_u32_e32 v17, v46, v65
	s_delay_alu instid0(VALU_DEP_1)
	v_lshlrev_b32_e32 v17, 3, v17
	ds_store_b64 v17, v[19:20]
	s_or_b32 exec_lo, exec_lo, s9
	s_and_saveexec_b32 s9, s11
	s_cbranch_execz .LBB275_245
.LBB275_308:
	v_sub_nc_u32_e32 v17, v45, v65
	s_delay_alu instid0(VALU_DEP_1)
	v_lshlrev_b32_e32 v17, 3, v17
	ds_store_b64 v17, v[13:14]
	s_or_b32 exec_lo, exec_lo, s9
	s_and_saveexec_b32 s9, s8
	s_cbranch_execz .LBB275_246
.LBB275_309:
	v_sub_nc_u32_e32 v13, v44, v65
	s_delay_alu instid0(VALU_DEP_1)
	v_lshlrev_b32_e32 v13, 3, v13
	ds_store_b64 v13, v[15:16]
	s_or_b32 exec_lo, exec_lo, s9
	s_and_saveexec_b32 s8, s7
	s_cbranch_execz .LBB275_247
.LBB275_310:
	v_sub_nc_u32_e32 v13, v43, v65
	s_delay_alu instid0(VALU_DEP_1)
	v_lshlrev_b32_e32 v13, 3, v13
	ds_store_b64 v13, v[9:10]
	s_or_b32 exec_lo, exec_lo, s8
	s_and_saveexec_b32 s7, s6
	s_cbranch_execz .LBB275_248
.LBB275_311:
	v_sub_nc_u32_e32 v9, v42, v65
	s_delay_alu instid0(VALU_DEP_1)
	v_lshlrev_b32_e32 v9, 3, v9
	ds_store_b64 v9, v[11:12]
	s_or_b32 exec_lo, exec_lo, s7
	s_and_saveexec_b32 s6, s5
	s_cbranch_execz .LBB275_249
.LBB275_312:
	v_sub_nc_u32_e32 v9, v41, v65
	s_delay_alu instid0(VALU_DEP_1)
	v_lshlrev_b32_e32 v9, 3, v9
	ds_store_b64 v9, v[5:6]
	s_or_b32 exec_lo, exec_lo, s6
	s_and_saveexec_b32 s5, s4
	s_cbranch_execz .LBB275_250
.LBB275_313:
	v_sub_nc_u32_e32 v5, v40, v65
	s_delay_alu instid0(VALU_DEP_1)
	v_lshlrev_b32_e32 v5, 3, v5
	ds_store_b64 v5, v[7:8]
	s_or_b32 exec_lo, exec_lo, s5
	s_and_saveexec_b32 s4, s3
	s_cbranch_execz .LBB275_251
.LBB275_314:
	v_sub_nc_u32_e32 v5, v39, v65
	s_delay_alu instid0(VALU_DEP_1)
	v_lshlrev_b32_e32 v5, 3, v5
	ds_store_b64 v5, v[1:2]
	s_or_b32 exec_lo, exec_lo, s4
	s_and_saveexec_b32 s3, s1
	s_cbranch_execnz .LBB275_252
	s_branch .LBB275_253
.LBB275_315:
	v_sub_nc_u32_e32 v10, v114, v8
	v_mov_b32_e32 v11, 0
	s_delay_alu instid0(VALU_DEP_1) | instskip(NEXT) | instid1(VALU_DEP_1)
	v_lshlrev_b64 v[10:11], 3, v[10:11]
	v_add_co_u32 v10, vcc_lo, v6, v10
	s_delay_alu instid0(VALU_DEP_2)
	v_add_co_ci_u32_e32 v11, vcc_lo, v7, v11, vcc_lo
	global_store_b64 v[10:11], v[79:80], off
	s_or_b32 exec_lo, exec_lo, s18
	s_and_saveexec_b32 s18, s13
	s_cbranch_execz .LBB275_257
.LBB275_316:
	v_sub_nc_u32_e32 v10, v48, v8
	v_mov_b32_e32 v11, 0
	s_delay_alu instid0(VALU_DEP_1) | instskip(NEXT) | instid1(VALU_DEP_1)
	v_lshlrev_b64 v[10:11], 3, v[10:11]
	v_add_co_u32 v10, vcc_lo, v6, v10
	s_delay_alu instid0(VALU_DEP_2)
	v_add_co_ci_u32_e32 v11, vcc_lo, v7, v11, vcc_lo
	global_store_b64 v[10:11], v[75:76], off
	s_or_b32 exec_lo, exec_lo, s18
	s_and_saveexec_b32 s18, s12
	s_cbranch_execz .LBB275_258
.LBB275_317:
	v_sub_nc_u32_e32 v10, v50, v8
	v_mov_b32_e32 v11, 0
	s_delay_alu instid0(VALU_DEP_1) | instskip(NEXT) | instid1(VALU_DEP_1)
	v_lshlrev_b64 v[10:11], 3, v[10:11]
	v_add_co_u32 v10, vcc_lo, v6, v10
	s_delay_alu instid0(VALU_DEP_2)
	v_add_co_ci_u32_e32 v11, vcc_lo, v7, v11, vcc_lo
	global_store_b64 v[10:11], v[81:82], off
	s_or_b32 exec_lo, exec_lo, s18
	s_and_saveexec_b32 s18, s11
	s_cbranch_execz .LBB275_259
.LBB275_318:
	v_sub_nc_u32_e32 v10, v49, v8
	v_mov_b32_e32 v11, 0
	s_delay_alu instid0(VALU_DEP_1) | instskip(NEXT) | instid1(VALU_DEP_1)
	v_lshlrev_b64 v[10:11], 3, v[10:11]
	v_add_co_u32 v10, vcc_lo, v6, v10
	s_delay_alu instid0(VALU_DEP_2)
	v_add_co_ci_u32_e32 v11, vcc_lo, v7, v11, vcc_lo
	global_store_b64 v[10:11], v[85:86], off
	s_or_b32 exec_lo, exec_lo, s18
	s_and_saveexec_b32 s18, s10
	s_cbranch_execz .LBB275_260
.LBB275_319:
	v_sub_nc_u32_e32 v10, v47, v8
	v_mov_b32_e32 v11, 0
	s_delay_alu instid0(VALU_DEP_1) | instskip(NEXT) | instid1(VALU_DEP_1)
	v_lshlrev_b64 v[10:11], 3, v[10:11]
	v_add_co_u32 v10, vcc_lo, v6, v10
	s_delay_alu instid0(VALU_DEP_2)
	v_add_co_ci_u32_e32 v11, vcc_lo, v7, v11, vcc_lo
	global_store_b64 v[10:11], v[67:68], off
	s_or_b32 exec_lo, exec_lo, s18
	s_and_saveexec_b32 s18, s9
	s_cbranch_execz .LBB275_261
.LBB275_320:
	v_sub_nc_u32_e32 v10, v46, v8
	v_mov_b32_e32 v11, 0
	s_delay_alu instid0(VALU_DEP_1) | instskip(NEXT) | instid1(VALU_DEP_1)
	v_lshlrev_b64 v[10:11], 3, v[10:11]
	v_add_co_u32 v10, vcc_lo, v6, v10
	s_delay_alu instid0(VALU_DEP_2)
	v_add_co_ci_u32_e32 v11, vcc_lo, v7, v11, vcc_lo
	global_store_b64 v[10:11], v[71:72], off
	s_or_b32 exec_lo, exec_lo, s18
	s_and_saveexec_b32 s18, s8
	s_cbranch_execz .LBB275_262
.LBB275_321:
	v_sub_nc_u32_e32 v10, v45, v8
	v_mov_b32_e32 v11, 0
	s_delay_alu instid0(VALU_DEP_1) | instskip(NEXT) | instid1(VALU_DEP_1)
	v_lshlrev_b64 v[10:11], 3, v[10:11]
	v_add_co_u32 v10, vcc_lo, v6, v10
	s_delay_alu instid0(VALU_DEP_2)
	v_add_co_ci_u32_e32 v11, vcc_lo, v7, v11, vcc_lo
	global_store_b64 v[10:11], v[77:78], off
	s_or_b32 exec_lo, exec_lo, s18
	s_and_saveexec_b32 s18, s7
	s_cbranch_execz .LBB275_263
.LBB275_322:
	v_sub_nc_u32_e32 v10, v44, v8
	v_mov_b32_e32 v11, 0
	s_delay_alu instid0(VALU_DEP_1) | instskip(NEXT) | instid1(VALU_DEP_1)
	v_lshlrev_b64 v[10:11], 3, v[10:11]
	v_add_co_u32 v10, vcc_lo, v6, v10
	s_delay_alu instid0(VALU_DEP_2)
	v_add_co_ci_u32_e32 v11, vcc_lo, v7, v11, vcc_lo
	global_store_b64 v[10:11], v[83:84], off
	s_or_b32 exec_lo, exec_lo, s18
	s_and_saveexec_b32 s18, s6
	s_cbranch_execz .LBB275_264
.LBB275_323:
	v_sub_nc_u32_e32 v10, v43, v8
	v_mov_b32_e32 v11, 0
	s_delay_alu instid0(VALU_DEP_1) | instskip(NEXT) | instid1(VALU_DEP_1)
	v_lshlrev_b64 v[10:11], 3, v[10:11]
	v_add_co_u32 v10, vcc_lo, v6, v10
	s_delay_alu instid0(VALU_DEP_2)
	v_add_co_ci_u32_e32 v11, vcc_lo, v7, v11, vcc_lo
	global_store_b64 v[10:11], v[87:88], off
	s_or_b32 exec_lo, exec_lo, s18
	s_and_saveexec_b32 s18, s5
	s_cbranch_execz .LBB275_265
.LBB275_324:
	v_sub_nc_u32_e32 v10, v42, v8
	v_mov_b32_e32 v11, 0
	s_delay_alu instid0(VALU_DEP_1) | instskip(NEXT) | instid1(VALU_DEP_1)
	v_lshlrev_b64 v[10:11], 3, v[10:11]
	v_add_co_u32 v10, vcc_lo, v6, v10
	s_delay_alu instid0(VALU_DEP_2)
	v_add_co_ci_u32_e32 v11, vcc_lo, v7, v11, vcc_lo
	global_store_b64 v[10:11], v[69:70], off
	s_or_b32 exec_lo, exec_lo, s18
	s_and_saveexec_b32 s18, s4
	s_cbranch_execz .LBB275_266
.LBB275_325:
	v_sub_nc_u32_e32 v10, v41, v8
	v_mov_b32_e32 v11, 0
	s_delay_alu instid0(VALU_DEP_1) | instskip(NEXT) | instid1(VALU_DEP_1)
	v_lshlrev_b64 v[10:11], 3, v[10:11]
	v_add_co_u32 v10, vcc_lo, v6, v10
	s_delay_alu instid0(VALU_DEP_2)
	v_add_co_ci_u32_e32 v11, vcc_lo, v7, v11, vcc_lo
	global_store_b64 v[10:11], v[73:74], off
	s_or_b32 exec_lo, exec_lo, s18
	s_and_saveexec_b32 s18, s3
	s_cbranch_execz .LBB275_267
.LBB275_326:
	v_sub_nc_u32_e32 v10, v40, v8
	v_mov_b32_e32 v11, 0
	s_delay_alu instid0(VALU_DEP_1) | instskip(NEXT) | instid1(VALU_DEP_1)
	v_lshlrev_b64 v[10:11], 3, v[10:11]
	v_add_co_u32 v10, vcc_lo, v6, v10
	s_delay_alu instid0(VALU_DEP_2)
	v_add_co_ci_u32_e32 v11, vcc_lo, v7, v11, vcc_lo
	global_store_b64 v[10:11], v[89:90], off
	s_or_b32 exec_lo, exec_lo, s18
	s_and_saveexec_b32 s18, s2
	s_cbranch_execz .LBB275_268
.LBB275_327:
	v_sub_nc_u32_e32 v10, v39, v8
	v_mov_b32_e32 v11, 0
	s_delay_alu instid0(VALU_DEP_1) | instskip(NEXT) | instid1(VALU_DEP_1)
	v_lshlrev_b64 v[10:11], 3, v[10:11]
	v_add_co_u32 v10, vcc_lo, v6, v10
	s_delay_alu instid0(VALU_DEP_2)
	v_add_co_ci_u32_e32 v11, vcc_lo, v7, v11, vcc_lo
	global_store_b64 v[10:11], v[91:92], off
	s_or_b32 exec_lo, exec_lo, s18
	s_and_saveexec_b32 s18, s1
	s_cbranch_execnz .LBB275_269
	s_branch .LBB275_270
.LBB275_328:
	v_sub_nc_u32_e32 v9, v114, v8
	s_delay_alu instid0(VALU_DEP_1)
	v_lshlrev_b32_e32 v9, 3, v9
	ds_store_b64 v9, v[79:80]
	s_or_b32 exec_lo, exec_lo, s18
	s_and_saveexec_b32 s14, s13
	s_cbranch_execz .LBB275_274
.LBB275_329:
	v_sub_nc_u32_e32 v9, v48, v8
	s_delay_alu instid0(VALU_DEP_1)
	v_lshlrev_b32_e32 v9, 3, v9
	ds_store_b64 v9, v[75:76]
	s_or_b32 exec_lo, exec_lo, s14
	s_and_saveexec_b32 s13, s12
	s_cbranch_execz .LBB275_275
.LBB275_330:
	v_sub_nc_u32_e32 v9, v50, v8
	s_delay_alu instid0(VALU_DEP_1)
	v_lshlrev_b32_e32 v9, 3, v9
	ds_store_b64 v9, v[81:82]
	s_or_b32 exec_lo, exec_lo, s13
	s_and_saveexec_b32 s12, s11
	s_cbranch_execz .LBB275_276
.LBB275_331:
	v_sub_nc_u32_e32 v9, v49, v8
	s_delay_alu instid0(VALU_DEP_1)
	v_lshlrev_b32_e32 v9, 3, v9
	ds_store_b64 v9, v[85:86]
	s_or_b32 exec_lo, exec_lo, s12
	s_and_saveexec_b32 s11, s10
	s_cbranch_execz .LBB275_277
.LBB275_332:
	v_sub_nc_u32_e32 v9, v47, v8
	s_delay_alu instid0(VALU_DEP_1)
	v_lshlrev_b32_e32 v9, 3, v9
	ds_store_b64 v9, v[67:68]
	s_or_b32 exec_lo, exec_lo, s11
	s_and_saveexec_b32 s10, s9
	s_cbranch_execz .LBB275_278
.LBB275_333:
	v_sub_nc_u32_e32 v9, v46, v8
	s_delay_alu instid0(VALU_DEP_1)
	v_lshlrev_b32_e32 v9, 3, v9
	ds_store_b64 v9, v[71:72]
	s_or_b32 exec_lo, exec_lo, s10
	s_and_saveexec_b32 s9, s8
	s_cbranch_execz .LBB275_279
.LBB275_334:
	v_sub_nc_u32_e32 v9, v45, v8
	s_delay_alu instid0(VALU_DEP_1)
	v_lshlrev_b32_e32 v9, 3, v9
	ds_store_b64 v9, v[77:78]
	s_or_b32 exec_lo, exec_lo, s9
	s_and_saveexec_b32 s8, s7
	s_cbranch_execz .LBB275_280
.LBB275_335:
	v_sub_nc_u32_e32 v9, v44, v8
	s_delay_alu instid0(VALU_DEP_1)
	v_lshlrev_b32_e32 v9, 3, v9
	ds_store_b64 v9, v[83:84]
	s_or_b32 exec_lo, exec_lo, s8
	s_and_saveexec_b32 s7, s6
	s_cbranch_execz .LBB275_281
.LBB275_336:
	v_sub_nc_u32_e32 v9, v43, v8
	s_delay_alu instid0(VALU_DEP_1)
	v_lshlrev_b32_e32 v9, 3, v9
	ds_store_b64 v9, v[87:88]
	s_or_b32 exec_lo, exec_lo, s7
	s_and_saveexec_b32 s6, s5
	s_cbranch_execz .LBB275_282
.LBB275_337:
	v_sub_nc_u32_e32 v9, v42, v8
	s_delay_alu instid0(VALU_DEP_1)
	v_lshlrev_b32_e32 v9, 3, v9
	ds_store_b64 v9, v[69:70]
	s_or_b32 exec_lo, exec_lo, s6
	s_and_saveexec_b32 s5, s4
	s_cbranch_execz .LBB275_283
.LBB275_338:
	v_sub_nc_u32_e32 v9, v41, v8
	s_delay_alu instid0(VALU_DEP_1)
	v_lshlrev_b32_e32 v9, 3, v9
	ds_store_b64 v9, v[73:74]
	s_or_b32 exec_lo, exec_lo, s5
	s_and_saveexec_b32 s4, s3
	s_cbranch_execz .LBB275_284
.LBB275_339:
	v_sub_nc_u32_e32 v9, v40, v8
	s_delay_alu instid0(VALU_DEP_1)
	v_lshlrev_b32_e32 v9, 3, v9
	ds_store_b64 v9, v[89:90]
	s_or_b32 exec_lo, exec_lo, s4
	s_and_saveexec_b32 s3, s2
	s_cbranch_execz .LBB275_285
.LBB275_340:
	v_sub_nc_u32_e32 v9, v39, v8
	s_delay_alu instid0(VALU_DEP_1)
	v_lshlrev_b32_e32 v9, 3, v9
	ds_store_b64 v9, v[91:92]
	s_or_b32 exec_lo, exec_lo, s3
	s_and_saveexec_b32 s2, s1
	s_cbranch_execnz .LBB275_286
	s_branch .LBB275_287
	.section	.rodata,"a",@progbits
	.p2align	6, 0x0
	.amdhsa_kernel _ZN7rocprim17ROCPRIM_400000_NS6detail17trampoline_kernelINS0_14default_configENS1_29reduce_by_key_config_selectorIyyN6thrust23THRUST_200600_302600_NS4plusIyEEEEZZNS1_33reduce_by_key_impl_wrapped_configILNS1_25lookback_scan_determinismE0ES3_S9_NS6_6detail15normal_iteratorINS6_10device_ptrIyEEEESG_SG_SG_PmS8_NS6_8equal_toIyEEEE10hipError_tPvRmT2_T3_mT4_T5_T6_T7_T8_P12ihipStream_tbENKUlT_T0_E_clISt17integral_constantIbLb0EES10_IbLb1EEEEDaSW_SX_EUlSW_E_NS1_11comp_targetILNS1_3genE9ELNS1_11target_archE1100ELNS1_3gpuE3ELNS1_3repE0EEENS1_30default_config_static_selectorELNS0_4arch9wavefront6targetE0EEEvT1_
		.amdhsa_group_segment_fixed_size 30720
		.amdhsa_private_segment_fixed_size 0
		.amdhsa_kernarg_size 136
		.amdhsa_user_sgpr_count 15
		.amdhsa_user_sgpr_dispatch_ptr 0
		.amdhsa_user_sgpr_queue_ptr 0
		.amdhsa_user_sgpr_kernarg_segment_ptr 1
		.amdhsa_user_sgpr_dispatch_id 0
		.amdhsa_user_sgpr_private_segment_size 0
		.amdhsa_wavefront_size32 1
		.amdhsa_uses_dynamic_stack 0
		.amdhsa_enable_private_segment 0
		.amdhsa_system_sgpr_workgroup_id_x 1
		.amdhsa_system_sgpr_workgroup_id_y 0
		.amdhsa_system_sgpr_workgroup_id_z 0
		.amdhsa_system_sgpr_workgroup_info 0
		.amdhsa_system_vgpr_workitem_id 0
		.amdhsa_next_free_vgpr 121
		.amdhsa_next_free_sgpr 52
		.amdhsa_reserve_vcc 1
		.amdhsa_float_round_mode_32 0
		.amdhsa_float_round_mode_16_64 0
		.amdhsa_float_denorm_mode_32 3
		.amdhsa_float_denorm_mode_16_64 3
		.amdhsa_dx10_clamp 1
		.amdhsa_ieee_mode 1
		.amdhsa_fp16_overflow 0
		.amdhsa_workgroup_processor_mode 1
		.amdhsa_memory_ordered 1
		.amdhsa_forward_progress 0
		.amdhsa_shared_vgpr_count 0
		.amdhsa_exception_fp_ieee_invalid_op 0
		.amdhsa_exception_fp_denorm_src 0
		.amdhsa_exception_fp_ieee_div_zero 0
		.amdhsa_exception_fp_ieee_overflow 0
		.amdhsa_exception_fp_ieee_underflow 0
		.amdhsa_exception_fp_ieee_inexact 0
		.amdhsa_exception_int_div_zero 0
	.end_amdhsa_kernel
	.section	.text._ZN7rocprim17ROCPRIM_400000_NS6detail17trampoline_kernelINS0_14default_configENS1_29reduce_by_key_config_selectorIyyN6thrust23THRUST_200600_302600_NS4plusIyEEEEZZNS1_33reduce_by_key_impl_wrapped_configILNS1_25lookback_scan_determinismE0ES3_S9_NS6_6detail15normal_iteratorINS6_10device_ptrIyEEEESG_SG_SG_PmS8_NS6_8equal_toIyEEEE10hipError_tPvRmT2_T3_mT4_T5_T6_T7_T8_P12ihipStream_tbENKUlT_T0_E_clISt17integral_constantIbLb0EES10_IbLb1EEEEDaSW_SX_EUlSW_E_NS1_11comp_targetILNS1_3genE9ELNS1_11target_archE1100ELNS1_3gpuE3ELNS1_3repE0EEENS1_30default_config_static_selectorELNS0_4arch9wavefront6targetE0EEEvT1_,"axG",@progbits,_ZN7rocprim17ROCPRIM_400000_NS6detail17trampoline_kernelINS0_14default_configENS1_29reduce_by_key_config_selectorIyyN6thrust23THRUST_200600_302600_NS4plusIyEEEEZZNS1_33reduce_by_key_impl_wrapped_configILNS1_25lookback_scan_determinismE0ES3_S9_NS6_6detail15normal_iteratorINS6_10device_ptrIyEEEESG_SG_SG_PmS8_NS6_8equal_toIyEEEE10hipError_tPvRmT2_T3_mT4_T5_T6_T7_T8_P12ihipStream_tbENKUlT_T0_E_clISt17integral_constantIbLb0EES10_IbLb1EEEEDaSW_SX_EUlSW_E_NS1_11comp_targetILNS1_3genE9ELNS1_11target_archE1100ELNS1_3gpuE3ELNS1_3repE0EEENS1_30default_config_static_selectorELNS0_4arch9wavefront6targetE0EEEvT1_,comdat
.Lfunc_end275:
	.size	_ZN7rocprim17ROCPRIM_400000_NS6detail17trampoline_kernelINS0_14default_configENS1_29reduce_by_key_config_selectorIyyN6thrust23THRUST_200600_302600_NS4plusIyEEEEZZNS1_33reduce_by_key_impl_wrapped_configILNS1_25lookback_scan_determinismE0ES3_S9_NS6_6detail15normal_iteratorINS6_10device_ptrIyEEEESG_SG_SG_PmS8_NS6_8equal_toIyEEEE10hipError_tPvRmT2_T3_mT4_T5_T6_T7_T8_P12ihipStream_tbENKUlT_T0_E_clISt17integral_constantIbLb0EES10_IbLb1EEEEDaSW_SX_EUlSW_E_NS1_11comp_targetILNS1_3genE9ELNS1_11target_archE1100ELNS1_3gpuE3ELNS1_3repE0EEENS1_30default_config_static_selectorELNS0_4arch9wavefront6targetE0EEEvT1_, .Lfunc_end275-_ZN7rocprim17ROCPRIM_400000_NS6detail17trampoline_kernelINS0_14default_configENS1_29reduce_by_key_config_selectorIyyN6thrust23THRUST_200600_302600_NS4plusIyEEEEZZNS1_33reduce_by_key_impl_wrapped_configILNS1_25lookback_scan_determinismE0ES3_S9_NS6_6detail15normal_iteratorINS6_10device_ptrIyEEEESG_SG_SG_PmS8_NS6_8equal_toIyEEEE10hipError_tPvRmT2_T3_mT4_T5_T6_T7_T8_P12ihipStream_tbENKUlT_T0_E_clISt17integral_constantIbLb0EES10_IbLb1EEEEDaSW_SX_EUlSW_E_NS1_11comp_targetILNS1_3genE9ELNS1_11target_archE1100ELNS1_3gpuE3ELNS1_3repE0EEENS1_30default_config_static_selectorELNS0_4arch9wavefront6targetE0EEEvT1_
                                        ; -- End function
	.section	.AMDGPU.csdata,"",@progbits
; Kernel info:
; codeLenInByte = 19008
; NumSgprs: 54
; NumVgprs: 121
; ScratchSize: 0
; MemoryBound: 0
; FloatMode: 240
; IeeeMode: 1
; LDSByteSize: 30720 bytes/workgroup (compile time only)
; SGPRBlocks: 6
; VGPRBlocks: 15
; NumSGPRsForWavesPerEU: 54
; NumVGPRsForWavesPerEU: 121
; Occupancy: 8
; WaveLimiterHint : 1
; COMPUTE_PGM_RSRC2:SCRATCH_EN: 0
; COMPUTE_PGM_RSRC2:USER_SGPR: 15
; COMPUTE_PGM_RSRC2:TRAP_HANDLER: 0
; COMPUTE_PGM_RSRC2:TGID_X_EN: 1
; COMPUTE_PGM_RSRC2:TGID_Y_EN: 0
; COMPUTE_PGM_RSRC2:TGID_Z_EN: 0
; COMPUTE_PGM_RSRC2:TIDIG_COMP_CNT: 0
	.section	.text._ZN7rocprim17ROCPRIM_400000_NS6detail17trampoline_kernelINS0_14default_configENS1_29reduce_by_key_config_selectorIyyN6thrust23THRUST_200600_302600_NS4plusIyEEEEZZNS1_33reduce_by_key_impl_wrapped_configILNS1_25lookback_scan_determinismE0ES3_S9_NS6_6detail15normal_iteratorINS6_10device_ptrIyEEEESG_SG_SG_PmS8_NS6_8equal_toIyEEEE10hipError_tPvRmT2_T3_mT4_T5_T6_T7_T8_P12ihipStream_tbENKUlT_T0_E_clISt17integral_constantIbLb0EES10_IbLb1EEEEDaSW_SX_EUlSW_E_NS1_11comp_targetILNS1_3genE8ELNS1_11target_archE1030ELNS1_3gpuE2ELNS1_3repE0EEENS1_30default_config_static_selectorELNS0_4arch9wavefront6targetE0EEEvT1_,"axG",@progbits,_ZN7rocprim17ROCPRIM_400000_NS6detail17trampoline_kernelINS0_14default_configENS1_29reduce_by_key_config_selectorIyyN6thrust23THRUST_200600_302600_NS4plusIyEEEEZZNS1_33reduce_by_key_impl_wrapped_configILNS1_25lookback_scan_determinismE0ES3_S9_NS6_6detail15normal_iteratorINS6_10device_ptrIyEEEESG_SG_SG_PmS8_NS6_8equal_toIyEEEE10hipError_tPvRmT2_T3_mT4_T5_T6_T7_T8_P12ihipStream_tbENKUlT_T0_E_clISt17integral_constantIbLb0EES10_IbLb1EEEEDaSW_SX_EUlSW_E_NS1_11comp_targetILNS1_3genE8ELNS1_11target_archE1030ELNS1_3gpuE2ELNS1_3repE0EEENS1_30default_config_static_selectorELNS0_4arch9wavefront6targetE0EEEvT1_,comdat
	.protected	_ZN7rocprim17ROCPRIM_400000_NS6detail17trampoline_kernelINS0_14default_configENS1_29reduce_by_key_config_selectorIyyN6thrust23THRUST_200600_302600_NS4plusIyEEEEZZNS1_33reduce_by_key_impl_wrapped_configILNS1_25lookback_scan_determinismE0ES3_S9_NS6_6detail15normal_iteratorINS6_10device_ptrIyEEEESG_SG_SG_PmS8_NS6_8equal_toIyEEEE10hipError_tPvRmT2_T3_mT4_T5_T6_T7_T8_P12ihipStream_tbENKUlT_T0_E_clISt17integral_constantIbLb0EES10_IbLb1EEEEDaSW_SX_EUlSW_E_NS1_11comp_targetILNS1_3genE8ELNS1_11target_archE1030ELNS1_3gpuE2ELNS1_3repE0EEENS1_30default_config_static_selectorELNS0_4arch9wavefront6targetE0EEEvT1_ ; -- Begin function _ZN7rocprim17ROCPRIM_400000_NS6detail17trampoline_kernelINS0_14default_configENS1_29reduce_by_key_config_selectorIyyN6thrust23THRUST_200600_302600_NS4plusIyEEEEZZNS1_33reduce_by_key_impl_wrapped_configILNS1_25lookback_scan_determinismE0ES3_S9_NS6_6detail15normal_iteratorINS6_10device_ptrIyEEEESG_SG_SG_PmS8_NS6_8equal_toIyEEEE10hipError_tPvRmT2_T3_mT4_T5_T6_T7_T8_P12ihipStream_tbENKUlT_T0_E_clISt17integral_constantIbLb0EES10_IbLb1EEEEDaSW_SX_EUlSW_E_NS1_11comp_targetILNS1_3genE8ELNS1_11target_archE1030ELNS1_3gpuE2ELNS1_3repE0EEENS1_30default_config_static_selectorELNS0_4arch9wavefront6targetE0EEEvT1_
	.globl	_ZN7rocprim17ROCPRIM_400000_NS6detail17trampoline_kernelINS0_14default_configENS1_29reduce_by_key_config_selectorIyyN6thrust23THRUST_200600_302600_NS4plusIyEEEEZZNS1_33reduce_by_key_impl_wrapped_configILNS1_25lookback_scan_determinismE0ES3_S9_NS6_6detail15normal_iteratorINS6_10device_ptrIyEEEESG_SG_SG_PmS8_NS6_8equal_toIyEEEE10hipError_tPvRmT2_T3_mT4_T5_T6_T7_T8_P12ihipStream_tbENKUlT_T0_E_clISt17integral_constantIbLb0EES10_IbLb1EEEEDaSW_SX_EUlSW_E_NS1_11comp_targetILNS1_3genE8ELNS1_11target_archE1030ELNS1_3gpuE2ELNS1_3repE0EEENS1_30default_config_static_selectorELNS0_4arch9wavefront6targetE0EEEvT1_
	.p2align	8
	.type	_ZN7rocprim17ROCPRIM_400000_NS6detail17trampoline_kernelINS0_14default_configENS1_29reduce_by_key_config_selectorIyyN6thrust23THRUST_200600_302600_NS4plusIyEEEEZZNS1_33reduce_by_key_impl_wrapped_configILNS1_25lookback_scan_determinismE0ES3_S9_NS6_6detail15normal_iteratorINS6_10device_ptrIyEEEESG_SG_SG_PmS8_NS6_8equal_toIyEEEE10hipError_tPvRmT2_T3_mT4_T5_T6_T7_T8_P12ihipStream_tbENKUlT_T0_E_clISt17integral_constantIbLb0EES10_IbLb1EEEEDaSW_SX_EUlSW_E_NS1_11comp_targetILNS1_3genE8ELNS1_11target_archE1030ELNS1_3gpuE2ELNS1_3repE0EEENS1_30default_config_static_selectorELNS0_4arch9wavefront6targetE0EEEvT1_,@function
_ZN7rocprim17ROCPRIM_400000_NS6detail17trampoline_kernelINS0_14default_configENS1_29reduce_by_key_config_selectorIyyN6thrust23THRUST_200600_302600_NS4plusIyEEEEZZNS1_33reduce_by_key_impl_wrapped_configILNS1_25lookback_scan_determinismE0ES3_S9_NS6_6detail15normal_iteratorINS6_10device_ptrIyEEEESG_SG_SG_PmS8_NS6_8equal_toIyEEEE10hipError_tPvRmT2_T3_mT4_T5_T6_T7_T8_P12ihipStream_tbENKUlT_T0_E_clISt17integral_constantIbLb0EES10_IbLb1EEEEDaSW_SX_EUlSW_E_NS1_11comp_targetILNS1_3genE8ELNS1_11target_archE1030ELNS1_3gpuE2ELNS1_3repE0EEENS1_30default_config_static_selectorELNS0_4arch9wavefront6targetE0EEEvT1_: ; @_ZN7rocprim17ROCPRIM_400000_NS6detail17trampoline_kernelINS0_14default_configENS1_29reduce_by_key_config_selectorIyyN6thrust23THRUST_200600_302600_NS4plusIyEEEEZZNS1_33reduce_by_key_impl_wrapped_configILNS1_25lookback_scan_determinismE0ES3_S9_NS6_6detail15normal_iteratorINS6_10device_ptrIyEEEESG_SG_SG_PmS8_NS6_8equal_toIyEEEE10hipError_tPvRmT2_T3_mT4_T5_T6_T7_T8_P12ihipStream_tbENKUlT_T0_E_clISt17integral_constantIbLb0EES10_IbLb1EEEEDaSW_SX_EUlSW_E_NS1_11comp_targetILNS1_3genE8ELNS1_11target_archE1030ELNS1_3gpuE2ELNS1_3repE0EEENS1_30default_config_static_selectorELNS0_4arch9wavefront6targetE0EEEvT1_
; %bb.0:
	.section	.rodata,"a",@progbits
	.p2align	6, 0x0
	.amdhsa_kernel _ZN7rocprim17ROCPRIM_400000_NS6detail17trampoline_kernelINS0_14default_configENS1_29reduce_by_key_config_selectorIyyN6thrust23THRUST_200600_302600_NS4plusIyEEEEZZNS1_33reduce_by_key_impl_wrapped_configILNS1_25lookback_scan_determinismE0ES3_S9_NS6_6detail15normal_iteratorINS6_10device_ptrIyEEEESG_SG_SG_PmS8_NS6_8equal_toIyEEEE10hipError_tPvRmT2_T3_mT4_T5_T6_T7_T8_P12ihipStream_tbENKUlT_T0_E_clISt17integral_constantIbLb0EES10_IbLb1EEEEDaSW_SX_EUlSW_E_NS1_11comp_targetILNS1_3genE8ELNS1_11target_archE1030ELNS1_3gpuE2ELNS1_3repE0EEENS1_30default_config_static_selectorELNS0_4arch9wavefront6targetE0EEEvT1_
		.amdhsa_group_segment_fixed_size 0
		.amdhsa_private_segment_fixed_size 0
		.amdhsa_kernarg_size 136
		.amdhsa_user_sgpr_count 15
		.amdhsa_user_sgpr_dispatch_ptr 0
		.amdhsa_user_sgpr_queue_ptr 0
		.amdhsa_user_sgpr_kernarg_segment_ptr 1
		.amdhsa_user_sgpr_dispatch_id 0
		.amdhsa_user_sgpr_private_segment_size 0
		.amdhsa_wavefront_size32 1
		.amdhsa_uses_dynamic_stack 0
		.amdhsa_enable_private_segment 0
		.amdhsa_system_sgpr_workgroup_id_x 1
		.amdhsa_system_sgpr_workgroup_id_y 0
		.amdhsa_system_sgpr_workgroup_id_z 0
		.amdhsa_system_sgpr_workgroup_info 0
		.amdhsa_system_vgpr_workitem_id 0
		.amdhsa_next_free_vgpr 1
		.amdhsa_next_free_sgpr 1
		.amdhsa_reserve_vcc 0
		.amdhsa_float_round_mode_32 0
		.amdhsa_float_round_mode_16_64 0
		.amdhsa_float_denorm_mode_32 3
		.amdhsa_float_denorm_mode_16_64 3
		.amdhsa_dx10_clamp 1
		.amdhsa_ieee_mode 1
		.amdhsa_fp16_overflow 0
		.amdhsa_workgroup_processor_mode 1
		.amdhsa_memory_ordered 1
		.amdhsa_forward_progress 0
		.amdhsa_shared_vgpr_count 0
		.amdhsa_exception_fp_ieee_invalid_op 0
		.amdhsa_exception_fp_denorm_src 0
		.amdhsa_exception_fp_ieee_div_zero 0
		.amdhsa_exception_fp_ieee_overflow 0
		.amdhsa_exception_fp_ieee_underflow 0
		.amdhsa_exception_fp_ieee_inexact 0
		.amdhsa_exception_int_div_zero 0
	.end_amdhsa_kernel
	.section	.text._ZN7rocprim17ROCPRIM_400000_NS6detail17trampoline_kernelINS0_14default_configENS1_29reduce_by_key_config_selectorIyyN6thrust23THRUST_200600_302600_NS4plusIyEEEEZZNS1_33reduce_by_key_impl_wrapped_configILNS1_25lookback_scan_determinismE0ES3_S9_NS6_6detail15normal_iteratorINS6_10device_ptrIyEEEESG_SG_SG_PmS8_NS6_8equal_toIyEEEE10hipError_tPvRmT2_T3_mT4_T5_T6_T7_T8_P12ihipStream_tbENKUlT_T0_E_clISt17integral_constantIbLb0EES10_IbLb1EEEEDaSW_SX_EUlSW_E_NS1_11comp_targetILNS1_3genE8ELNS1_11target_archE1030ELNS1_3gpuE2ELNS1_3repE0EEENS1_30default_config_static_selectorELNS0_4arch9wavefront6targetE0EEEvT1_,"axG",@progbits,_ZN7rocprim17ROCPRIM_400000_NS6detail17trampoline_kernelINS0_14default_configENS1_29reduce_by_key_config_selectorIyyN6thrust23THRUST_200600_302600_NS4plusIyEEEEZZNS1_33reduce_by_key_impl_wrapped_configILNS1_25lookback_scan_determinismE0ES3_S9_NS6_6detail15normal_iteratorINS6_10device_ptrIyEEEESG_SG_SG_PmS8_NS6_8equal_toIyEEEE10hipError_tPvRmT2_T3_mT4_T5_T6_T7_T8_P12ihipStream_tbENKUlT_T0_E_clISt17integral_constantIbLb0EES10_IbLb1EEEEDaSW_SX_EUlSW_E_NS1_11comp_targetILNS1_3genE8ELNS1_11target_archE1030ELNS1_3gpuE2ELNS1_3repE0EEENS1_30default_config_static_selectorELNS0_4arch9wavefront6targetE0EEEvT1_,comdat
.Lfunc_end276:
	.size	_ZN7rocprim17ROCPRIM_400000_NS6detail17trampoline_kernelINS0_14default_configENS1_29reduce_by_key_config_selectorIyyN6thrust23THRUST_200600_302600_NS4plusIyEEEEZZNS1_33reduce_by_key_impl_wrapped_configILNS1_25lookback_scan_determinismE0ES3_S9_NS6_6detail15normal_iteratorINS6_10device_ptrIyEEEESG_SG_SG_PmS8_NS6_8equal_toIyEEEE10hipError_tPvRmT2_T3_mT4_T5_T6_T7_T8_P12ihipStream_tbENKUlT_T0_E_clISt17integral_constantIbLb0EES10_IbLb1EEEEDaSW_SX_EUlSW_E_NS1_11comp_targetILNS1_3genE8ELNS1_11target_archE1030ELNS1_3gpuE2ELNS1_3repE0EEENS1_30default_config_static_selectorELNS0_4arch9wavefront6targetE0EEEvT1_, .Lfunc_end276-_ZN7rocprim17ROCPRIM_400000_NS6detail17trampoline_kernelINS0_14default_configENS1_29reduce_by_key_config_selectorIyyN6thrust23THRUST_200600_302600_NS4plusIyEEEEZZNS1_33reduce_by_key_impl_wrapped_configILNS1_25lookback_scan_determinismE0ES3_S9_NS6_6detail15normal_iteratorINS6_10device_ptrIyEEEESG_SG_SG_PmS8_NS6_8equal_toIyEEEE10hipError_tPvRmT2_T3_mT4_T5_T6_T7_T8_P12ihipStream_tbENKUlT_T0_E_clISt17integral_constantIbLb0EES10_IbLb1EEEEDaSW_SX_EUlSW_E_NS1_11comp_targetILNS1_3genE8ELNS1_11target_archE1030ELNS1_3gpuE2ELNS1_3repE0EEENS1_30default_config_static_selectorELNS0_4arch9wavefront6targetE0EEEvT1_
                                        ; -- End function
	.section	.AMDGPU.csdata,"",@progbits
; Kernel info:
; codeLenInByte = 0
; NumSgprs: 0
; NumVgprs: 0
; ScratchSize: 0
; MemoryBound: 0
; FloatMode: 240
; IeeeMode: 1
; LDSByteSize: 0 bytes/workgroup (compile time only)
; SGPRBlocks: 0
; VGPRBlocks: 0
; NumSGPRsForWavesPerEU: 1
; NumVGPRsForWavesPerEU: 1
; Occupancy: 16
; WaveLimiterHint : 0
; COMPUTE_PGM_RSRC2:SCRATCH_EN: 0
; COMPUTE_PGM_RSRC2:USER_SGPR: 15
; COMPUTE_PGM_RSRC2:TRAP_HANDLER: 0
; COMPUTE_PGM_RSRC2:TGID_X_EN: 1
; COMPUTE_PGM_RSRC2:TGID_Y_EN: 0
; COMPUTE_PGM_RSRC2:TGID_Z_EN: 0
; COMPUTE_PGM_RSRC2:TIDIG_COMP_CNT: 0
	.section	.text._ZN7rocprim17ROCPRIM_400000_NS6detail17trampoline_kernelINS0_14default_configENS1_29reduce_by_key_config_selectorIyyN6thrust23THRUST_200600_302600_NS4plusIyEEEEZZNS1_33reduce_by_key_impl_wrapped_configILNS1_25lookback_scan_determinismE0ES3_S9_NS6_6detail15normal_iteratorINS6_10device_ptrIyEEEESG_SG_SG_PmS8_22is_equal_div_10_reduceIyEEE10hipError_tPvRmT2_T3_mT4_T5_T6_T7_T8_P12ihipStream_tbENKUlT_T0_E_clISt17integral_constantIbLb0EES11_EEDaSW_SX_EUlSW_E_NS1_11comp_targetILNS1_3genE0ELNS1_11target_archE4294967295ELNS1_3gpuE0ELNS1_3repE0EEENS1_30default_config_static_selectorELNS0_4arch9wavefront6targetE0EEEvT1_,"axG",@progbits,_ZN7rocprim17ROCPRIM_400000_NS6detail17trampoline_kernelINS0_14default_configENS1_29reduce_by_key_config_selectorIyyN6thrust23THRUST_200600_302600_NS4plusIyEEEEZZNS1_33reduce_by_key_impl_wrapped_configILNS1_25lookback_scan_determinismE0ES3_S9_NS6_6detail15normal_iteratorINS6_10device_ptrIyEEEESG_SG_SG_PmS8_22is_equal_div_10_reduceIyEEE10hipError_tPvRmT2_T3_mT4_T5_T6_T7_T8_P12ihipStream_tbENKUlT_T0_E_clISt17integral_constantIbLb0EES11_EEDaSW_SX_EUlSW_E_NS1_11comp_targetILNS1_3genE0ELNS1_11target_archE4294967295ELNS1_3gpuE0ELNS1_3repE0EEENS1_30default_config_static_selectorELNS0_4arch9wavefront6targetE0EEEvT1_,comdat
	.protected	_ZN7rocprim17ROCPRIM_400000_NS6detail17trampoline_kernelINS0_14default_configENS1_29reduce_by_key_config_selectorIyyN6thrust23THRUST_200600_302600_NS4plusIyEEEEZZNS1_33reduce_by_key_impl_wrapped_configILNS1_25lookback_scan_determinismE0ES3_S9_NS6_6detail15normal_iteratorINS6_10device_ptrIyEEEESG_SG_SG_PmS8_22is_equal_div_10_reduceIyEEE10hipError_tPvRmT2_T3_mT4_T5_T6_T7_T8_P12ihipStream_tbENKUlT_T0_E_clISt17integral_constantIbLb0EES11_EEDaSW_SX_EUlSW_E_NS1_11comp_targetILNS1_3genE0ELNS1_11target_archE4294967295ELNS1_3gpuE0ELNS1_3repE0EEENS1_30default_config_static_selectorELNS0_4arch9wavefront6targetE0EEEvT1_ ; -- Begin function _ZN7rocprim17ROCPRIM_400000_NS6detail17trampoline_kernelINS0_14default_configENS1_29reduce_by_key_config_selectorIyyN6thrust23THRUST_200600_302600_NS4plusIyEEEEZZNS1_33reduce_by_key_impl_wrapped_configILNS1_25lookback_scan_determinismE0ES3_S9_NS6_6detail15normal_iteratorINS6_10device_ptrIyEEEESG_SG_SG_PmS8_22is_equal_div_10_reduceIyEEE10hipError_tPvRmT2_T3_mT4_T5_T6_T7_T8_P12ihipStream_tbENKUlT_T0_E_clISt17integral_constantIbLb0EES11_EEDaSW_SX_EUlSW_E_NS1_11comp_targetILNS1_3genE0ELNS1_11target_archE4294967295ELNS1_3gpuE0ELNS1_3repE0EEENS1_30default_config_static_selectorELNS0_4arch9wavefront6targetE0EEEvT1_
	.globl	_ZN7rocprim17ROCPRIM_400000_NS6detail17trampoline_kernelINS0_14default_configENS1_29reduce_by_key_config_selectorIyyN6thrust23THRUST_200600_302600_NS4plusIyEEEEZZNS1_33reduce_by_key_impl_wrapped_configILNS1_25lookback_scan_determinismE0ES3_S9_NS6_6detail15normal_iteratorINS6_10device_ptrIyEEEESG_SG_SG_PmS8_22is_equal_div_10_reduceIyEEE10hipError_tPvRmT2_T3_mT4_T5_T6_T7_T8_P12ihipStream_tbENKUlT_T0_E_clISt17integral_constantIbLb0EES11_EEDaSW_SX_EUlSW_E_NS1_11comp_targetILNS1_3genE0ELNS1_11target_archE4294967295ELNS1_3gpuE0ELNS1_3repE0EEENS1_30default_config_static_selectorELNS0_4arch9wavefront6targetE0EEEvT1_
	.p2align	8
	.type	_ZN7rocprim17ROCPRIM_400000_NS6detail17trampoline_kernelINS0_14default_configENS1_29reduce_by_key_config_selectorIyyN6thrust23THRUST_200600_302600_NS4plusIyEEEEZZNS1_33reduce_by_key_impl_wrapped_configILNS1_25lookback_scan_determinismE0ES3_S9_NS6_6detail15normal_iteratorINS6_10device_ptrIyEEEESG_SG_SG_PmS8_22is_equal_div_10_reduceIyEEE10hipError_tPvRmT2_T3_mT4_T5_T6_T7_T8_P12ihipStream_tbENKUlT_T0_E_clISt17integral_constantIbLb0EES11_EEDaSW_SX_EUlSW_E_NS1_11comp_targetILNS1_3genE0ELNS1_11target_archE4294967295ELNS1_3gpuE0ELNS1_3repE0EEENS1_30default_config_static_selectorELNS0_4arch9wavefront6targetE0EEEvT1_,@function
_ZN7rocprim17ROCPRIM_400000_NS6detail17trampoline_kernelINS0_14default_configENS1_29reduce_by_key_config_selectorIyyN6thrust23THRUST_200600_302600_NS4plusIyEEEEZZNS1_33reduce_by_key_impl_wrapped_configILNS1_25lookback_scan_determinismE0ES3_S9_NS6_6detail15normal_iteratorINS6_10device_ptrIyEEEESG_SG_SG_PmS8_22is_equal_div_10_reduceIyEEE10hipError_tPvRmT2_T3_mT4_T5_T6_T7_T8_P12ihipStream_tbENKUlT_T0_E_clISt17integral_constantIbLb0EES11_EEDaSW_SX_EUlSW_E_NS1_11comp_targetILNS1_3genE0ELNS1_11target_archE4294967295ELNS1_3gpuE0ELNS1_3repE0EEENS1_30default_config_static_selectorELNS0_4arch9wavefront6targetE0EEEvT1_: ; @_ZN7rocprim17ROCPRIM_400000_NS6detail17trampoline_kernelINS0_14default_configENS1_29reduce_by_key_config_selectorIyyN6thrust23THRUST_200600_302600_NS4plusIyEEEEZZNS1_33reduce_by_key_impl_wrapped_configILNS1_25lookback_scan_determinismE0ES3_S9_NS6_6detail15normal_iteratorINS6_10device_ptrIyEEEESG_SG_SG_PmS8_22is_equal_div_10_reduceIyEEE10hipError_tPvRmT2_T3_mT4_T5_T6_T7_T8_P12ihipStream_tbENKUlT_T0_E_clISt17integral_constantIbLb0EES11_EEDaSW_SX_EUlSW_E_NS1_11comp_targetILNS1_3genE0ELNS1_11target_archE4294967295ELNS1_3gpuE0ELNS1_3repE0EEENS1_30default_config_static_selectorELNS0_4arch9wavefront6targetE0EEEvT1_
; %bb.0:
	.section	.rodata,"a",@progbits
	.p2align	6, 0x0
	.amdhsa_kernel _ZN7rocprim17ROCPRIM_400000_NS6detail17trampoline_kernelINS0_14default_configENS1_29reduce_by_key_config_selectorIyyN6thrust23THRUST_200600_302600_NS4plusIyEEEEZZNS1_33reduce_by_key_impl_wrapped_configILNS1_25lookback_scan_determinismE0ES3_S9_NS6_6detail15normal_iteratorINS6_10device_ptrIyEEEESG_SG_SG_PmS8_22is_equal_div_10_reduceIyEEE10hipError_tPvRmT2_T3_mT4_T5_T6_T7_T8_P12ihipStream_tbENKUlT_T0_E_clISt17integral_constantIbLb0EES11_EEDaSW_SX_EUlSW_E_NS1_11comp_targetILNS1_3genE0ELNS1_11target_archE4294967295ELNS1_3gpuE0ELNS1_3repE0EEENS1_30default_config_static_selectorELNS0_4arch9wavefront6targetE0EEEvT1_
		.amdhsa_group_segment_fixed_size 0
		.amdhsa_private_segment_fixed_size 0
		.amdhsa_kernarg_size 136
		.amdhsa_user_sgpr_count 15
		.amdhsa_user_sgpr_dispatch_ptr 0
		.amdhsa_user_sgpr_queue_ptr 0
		.amdhsa_user_sgpr_kernarg_segment_ptr 1
		.amdhsa_user_sgpr_dispatch_id 0
		.amdhsa_user_sgpr_private_segment_size 0
		.amdhsa_wavefront_size32 1
		.amdhsa_uses_dynamic_stack 0
		.amdhsa_enable_private_segment 0
		.amdhsa_system_sgpr_workgroup_id_x 1
		.amdhsa_system_sgpr_workgroup_id_y 0
		.amdhsa_system_sgpr_workgroup_id_z 0
		.amdhsa_system_sgpr_workgroup_info 0
		.amdhsa_system_vgpr_workitem_id 0
		.amdhsa_next_free_vgpr 1
		.amdhsa_next_free_sgpr 1
		.amdhsa_reserve_vcc 0
		.amdhsa_float_round_mode_32 0
		.amdhsa_float_round_mode_16_64 0
		.amdhsa_float_denorm_mode_32 3
		.amdhsa_float_denorm_mode_16_64 3
		.amdhsa_dx10_clamp 1
		.amdhsa_ieee_mode 1
		.amdhsa_fp16_overflow 0
		.amdhsa_workgroup_processor_mode 1
		.amdhsa_memory_ordered 1
		.amdhsa_forward_progress 0
		.amdhsa_shared_vgpr_count 0
		.amdhsa_exception_fp_ieee_invalid_op 0
		.amdhsa_exception_fp_denorm_src 0
		.amdhsa_exception_fp_ieee_div_zero 0
		.amdhsa_exception_fp_ieee_overflow 0
		.amdhsa_exception_fp_ieee_underflow 0
		.amdhsa_exception_fp_ieee_inexact 0
		.amdhsa_exception_int_div_zero 0
	.end_amdhsa_kernel
	.section	.text._ZN7rocprim17ROCPRIM_400000_NS6detail17trampoline_kernelINS0_14default_configENS1_29reduce_by_key_config_selectorIyyN6thrust23THRUST_200600_302600_NS4plusIyEEEEZZNS1_33reduce_by_key_impl_wrapped_configILNS1_25lookback_scan_determinismE0ES3_S9_NS6_6detail15normal_iteratorINS6_10device_ptrIyEEEESG_SG_SG_PmS8_22is_equal_div_10_reduceIyEEE10hipError_tPvRmT2_T3_mT4_T5_T6_T7_T8_P12ihipStream_tbENKUlT_T0_E_clISt17integral_constantIbLb0EES11_EEDaSW_SX_EUlSW_E_NS1_11comp_targetILNS1_3genE0ELNS1_11target_archE4294967295ELNS1_3gpuE0ELNS1_3repE0EEENS1_30default_config_static_selectorELNS0_4arch9wavefront6targetE0EEEvT1_,"axG",@progbits,_ZN7rocprim17ROCPRIM_400000_NS6detail17trampoline_kernelINS0_14default_configENS1_29reduce_by_key_config_selectorIyyN6thrust23THRUST_200600_302600_NS4plusIyEEEEZZNS1_33reduce_by_key_impl_wrapped_configILNS1_25lookback_scan_determinismE0ES3_S9_NS6_6detail15normal_iteratorINS6_10device_ptrIyEEEESG_SG_SG_PmS8_22is_equal_div_10_reduceIyEEE10hipError_tPvRmT2_T3_mT4_T5_T6_T7_T8_P12ihipStream_tbENKUlT_T0_E_clISt17integral_constantIbLb0EES11_EEDaSW_SX_EUlSW_E_NS1_11comp_targetILNS1_3genE0ELNS1_11target_archE4294967295ELNS1_3gpuE0ELNS1_3repE0EEENS1_30default_config_static_selectorELNS0_4arch9wavefront6targetE0EEEvT1_,comdat
.Lfunc_end277:
	.size	_ZN7rocprim17ROCPRIM_400000_NS6detail17trampoline_kernelINS0_14default_configENS1_29reduce_by_key_config_selectorIyyN6thrust23THRUST_200600_302600_NS4plusIyEEEEZZNS1_33reduce_by_key_impl_wrapped_configILNS1_25lookback_scan_determinismE0ES3_S9_NS6_6detail15normal_iteratorINS6_10device_ptrIyEEEESG_SG_SG_PmS8_22is_equal_div_10_reduceIyEEE10hipError_tPvRmT2_T3_mT4_T5_T6_T7_T8_P12ihipStream_tbENKUlT_T0_E_clISt17integral_constantIbLb0EES11_EEDaSW_SX_EUlSW_E_NS1_11comp_targetILNS1_3genE0ELNS1_11target_archE4294967295ELNS1_3gpuE0ELNS1_3repE0EEENS1_30default_config_static_selectorELNS0_4arch9wavefront6targetE0EEEvT1_, .Lfunc_end277-_ZN7rocprim17ROCPRIM_400000_NS6detail17trampoline_kernelINS0_14default_configENS1_29reduce_by_key_config_selectorIyyN6thrust23THRUST_200600_302600_NS4plusIyEEEEZZNS1_33reduce_by_key_impl_wrapped_configILNS1_25lookback_scan_determinismE0ES3_S9_NS6_6detail15normal_iteratorINS6_10device_ptrIyEEEESG_SG_SG_PmS8_22is_equal_div_10_reduceIyEEE10hipError_tPvRmT2_T3_mT4_T5_T6_T7_T8_P12ihipStream_tbENKUlT_T0_E_clISt17integral_constantIbLb0EES11_EEDaSW_SX_EUlSW_E_NS1_11comp_targetILNS1_3genE0ELNS1_11target_archE4294967295ELNS1_3gpuE0ELNS1_3repE0EEENS1_30default_config_static_selectorELNS0_4arch9wavefront6targetE0EEEvT1_
                                        ; -- End function
	.section	.AMDGPU.csdata,"",@progbits
; Kernel info:
; codeLenInByte = 0
; NumSgprs: 0
; NumVgprs: 0
; ScratchSize: 0
; MemoryBound: 0
; FloatMode: 240
; IeeeMode: 1
; LDSByteSize: 0 bytes/workgroup (compile time only)
; SGPRBlocks: 0
; VGPRBlocks: 0
; NumSGPRsForWavesPerEU: 1
; NumVGPRsForWavesPerEU: 1
; Occupancy: 16
; WaveLimiterHint : 0
; COMPUTE_PGM_RSRC2:SCRATCH_EN: 0
; COMPUTE_PGM_RSRC2:USER_SGPR: 15
; COMPUTE_PGM_RSRC2:TRAP_HANDLER: 0
; COMPUTE_PGM_RSRC2:TGID_X_EN: 1
; COMPUTE_PGM_RSRC2:TGID_Y_EN: 0
; COMPUTE_PGM_RSRC2:TGID_Z_EN: 0
; COMPUTE_PGM_RSRC2:TIDIG_COMP_CNT: 0
	.section	.text._ZN7rocprim17ROCPRIM_400000_NS6detail17trampoline_kernelINS0_14default_configENS1_29reduce_by_key_config_selectorIyyN6thrust23THRUST_200600_302600_NS4plusIyEEEEZZNS1_33reduce_by_key_impl_wrapped_configILNS1_25lookback_scan_determinismE0ES3_S9_NS6_6detail15normal_iteratorINS6_10device_ptrIyEEEESG_SG_SG_PmS8_22is_equal_div_10_reduceIyEEE10hipError_tPvRmT2_T3_mT4_T5_T6_T7_T8_P12ihipStream_tbENKUlT_T0_E_clISt17integral_constantIbLb0EES11_EEDaSW_SX_EUlSW_E_NS1_11comp_targetILNS1_3genE5ELNS1_11target_archE942ELNS1_3gpuE9ELNS1_3repE0EEENS1_30default_config_static_selectorELNS0_4arch9wavefront6targetE0EEEvT1_,"axG",@progbits,_ZN7rocprim17ROCPRIM_400000_NS6detail17trampoline_kernelINS0_14default_configENS1_29reduce_by_key_config_selectorIyyN6thrust23THRUST_200600_302600_NS4plusIyEEEEZZNS1_33reduce_by_key_impl_wrapped_configILNS1_25lookback_scan_determinismE0ES3_S9_NS6_6detail15normal_iteratorINS6_10device_ptrIyEEEESG_SG_SG_PmS8_22is_equal_div_10_reduceIyEEE10hipError_tPvRmT2_T3_mT4_T5_T6_T7_T8_P12ihipStream_tbENKUlT_T0_E_clISt17integral_constantIbLb0EES11_EEDaSW_SX_EUlSW_E_NS1_11comp_targetILNS1_3genE5ELNS1_11target_archE942ELNS1_3gpuE9ELNS1_3repE0EEENS1_30default_config_static_selectorELNS0_4arch9wavefront6targetE0EEEvT1_,comdat
	.protected	_ZN7rocprim17ROCPRIM_400000_NS6detail17trampoline_kernelINS0_14default_configENS1_29reduce_by_key_config_selectorIyyN6thrust23THRUST_200600_302600_NS4plusIyEEEEZZNS1_33reduce_by_key_impl_wrapped_configILNS1_25lookback_scan_determinismE0ES3_S9_NS6_6detail15normal_iteratorINS6_10device_ptrIyEEEESG_SG_SG_PmS8_22is_equal_div_10_reduceIyEEE10hipError_tPvRmT2_T3_mT4_T5_T6_T7_T8_P12ihipStream_tbENKUlT_T0_E_clISt17integral_constantIbLb0EES11_EEDaSW_SX_EUlSW_E_NS1_11comp_targetILNS1_3genE5ELNS1_11target_archE942ELNS1_3gpuE9ELNS1_3repE0EEENS1_30default_config_static_selectorELNS0_4arch9wavefront6targetE0EEEvT1_ ; -- Begin function _ZN7rocprim17ROCPRIM_400000_NS6detail17trampoline_kernelINS0_14default_configENS1_29reduce_by_key_config_selectorIyyN6thrust23THRUST_200600_302600_NS4plusIyEEEEZZNS1_33reduce_by_key_impl_wrapped_configILNS1_25lookback_scan_determinismE0ES3_S9_NS6_6detail15normal_iteratorINS6_10device_ptrIyEEEESG_SG_SG_PmS8_22is_equal_div_10_reduceIyEEE10hipError_tPvRmT2_T3_mT4_T5_T6_T7_T8_P12ihipStream_tbENKUlT_T0_E_clISt17integral_constantIbLb0EES11_EEDaSW_SX_EUlSW_E_NS1_11comp_targetILNS1_3genE5ELNS1_11target_archE942ELNS1_3gpuE9ELNS1_3repE0EEENS1_30default_config_static_selectorELNS0_4arch9wavefront6targetE0EEEvT1_
	.globl	_ZN7rocprim17ROCPRIM_400000_NS6detail17trampoline_kernelINS0_14default_configENS1_29reduce_by_key_config_selectorIyyN6thrust23THRUST_200600_302600_NS4plusIyEEEEZZNS1_33reduce_by_key_impl_wrapped_configILNS1_25lookback_scan_determinismE0ES3_S9_NS6_6detail15normal_iteratorINS6_10device_ptrIyEEEESG_SG_SG_PmS8_22is_equal_div_10_reduceIyEEE10hipError_tPvRmT2_T3_mT4_T5_T6_T7_T8_P12ihipStream_tbENKUlT_T0_E_clISt17integral_constantIbLb0EES11_EEDaSW_SX_EUlSW_E_NS1_11comp_targetILNS1_3genE5ELNS1_11target_archE942ELNS1_3gpuE9ELNS1_3repE0EEENS1_30default_config_static_selectorELNS0_4arch9wavefront6targetE0EEEvT1_
	.p2align	8
	.type	_ZN7rocprim17ROCPRIM_400000_NS6detail17trampoline_kernelINS0_14default_configENS1_29reduce_by_key_config_selectorIyyN6thrust23THRUST_200600_302600_NS4plusIyEEEEZZNS1_33reduce_by_key_impl_wrapped_configILNS1_25lookback_scan_determinismE0ES3_S9_NS6_6detail15normal_iteratorINS6_10device_ptrIyEEEESG_SG_SG_PmS8_22is_equal_div_10_reduceIyEEE10hipError_tPvRmT2_T3_mT4_T5_T6_T7_T8_P12ihipStream_tbENKUlT_T0_E_clISt17integral_constantIbLb0EES11_EEDaSW_SX_EUlSW_E_NS1_11comp_targetILNS1_3genE5ELNS1_11target_archE942ELNS1_3gpuE9ELNS1_3repE0EEENS1_30default_config_static_selectorELNS0_4arch9wavefront6targetE0EEEvT1_,@function
_ZN7rocprim17ROCPRIM_400000_NS6detail17trampoline_kernelINS0_14default_configENS1_29reduce_by_key_config_selectorIyyN6thrust23THRUST_200600_302600_NS4plusIyEEEEZZNS1_33reduce_by_key_impl_wrapped_configILNS1_25lookback_scan_determinismE0ES3_S9_NS6_6detail15normal_iteratorINS6_10device_ptrIyEEEESG_SG_SG_PmS8_22is_equal_div_10_reduceIyEEE10hipError_tPvRmT2_T3_mT4_T5_T6_T7_T8_P12ihipStream_tbENKUlT_T0_E_clISt17integral_constantIbLb0EES11_EEDaSW_SX_EUlSW_E_NS1_11comp_targetILNS1_3genE5ELNS1_11target_archE942ELNS1_3gpuE9ELNS1_3repE0EEENS1_30default_config_static_selectorELNS0_4arch9wavefront6targetE0EEEvT1_: ; @_ZN7rocprim17ROCPRIM_400000_NS6detail17trampoline_kernelINS0_14default_configENS1_29reduce_by_key_config_selectorIyyN6thrust23THRUST_200600_302600_NS4plusIyEEEEZZNS1_33reduce_by_key_impl_wrapped_configILNS1_25lookback_scan_determinismE0ES3_S9_NS6_6detail15normal_iteratorINS6_10device_ptrIyEEEESG_SG_SG_PmS8_22is_equal_div_10_reduceIyEEE10hipError_tPvRmT2_T3_mT4_T5_T6_T7_T8_P12ihipStream_tbENKUlT_T0_E_clISt17integral_constantIbLb0EES11_EEDaSW_SX_EUlSW_E_NS1_11comp_targetILNS1_3genE5ELNS1_11target_archE942ELNS1_3gpuE9ELNS1_3repE0EEENS1_30default_config_static_selectorELNS0_4arch9wavefront6targetE0EEEvT1_
; %bb.0:
	.section	.rodata,"a",@progbits
	.p2align	6, 0x0
	.amdhsa_kernel _ZN7rocprim17ROCPRIM_400000_NS6detail17trampoline_kernelINS0_14default_configENS1_29reduce_by_key_config_selectorIyyN6thrust23THRUST_200600_302600_NS4plusIyEEEEZZNS1_33reduce_by_key_impl_wrapped_configILNS1_25lookback_scan_determinismE0ES3_S9_NS6_6detail15normal_iteratorINS6_10device_ptrIyEEEESG_SG_SG_PmS8_22is_equal_div_10_reduceIyEEE10hipError_tPvRmT2_T3_mT4_T5_T6_T7_T8_P12ihipStream_tbENKUlT_T0_E_clISt17integral_constantIbLb0EES11_EEDaSW_SX_EUlSW_E_NS1_11comp_targetILNS1_3genE5ELNS1_11target_archE942ELNS1_3gpuE9ELNS1_3repE0EEENS1_30default_config_static_selectorELNS0_4arch9wavefront6targetE0EEEvT1_
		.amdhsa_group_segment_fixed_size 0
		.amdhsa_private_segment_fixed_size 0
		.amdhsa_kernarg_size 136
		.amdhsa_user_sgpr_count 15
		.amdhsa_user_sgpr_dispatch_ptr 0
		.amdhsa_user_sgpr_queue_ptr 0
		.amdhsa_user_sgpr_kernarg_segment_ptr 1
		.amdhsa_user_sgpr_dispatch_id 0
		.amdhsa_user_sgpr_private_segment_size 0
		.amdhsa_wavefront_size32 1
		.amdhsa_uses_dynamic_stack 0
		.amdhsa_enable_private_segment 0
		.amdhsa_system_sgpr_workgroup_id_x 1
		.amdhsa_system_sgpr_workgroup_id_y 0
		.amdhsa_system_sgpr_workgroup_id_z 0
		.amdhsa_system_sgpr_workgroup_info 0
		.amdhsa_system_vgpr_workitem_id 0
		.amdhsa_next_free_vgpr 1
		.amdhsa_next_free_sgpr 1
		.amdhsa_reserve_vcc 0
		.amdhsa_float_round_mode_32 0
		.amdhsa_float_round_mode_16_64 0
		.amdhsa_float_denorm_mode_32 3
		.amdhsa_float_denorm_mode_16_64 3
		.amdhsa_dx10_clamp 1
		.amdhsa_ieee_mode 1
		.amdhsa_fp16_overflow 0
		.amdhsa_workgroup_processor_mode 1
		.amdhsa_memory_ordered 1
		.amdhsa_forward_progress 0
		.amdhsa_shared_vgpr_count 0
		.amdhsa_exception_fp_ieee_invalid_op 0
		.amdhsa_exception_fp_denorm_src 0
		.amdhsa_exception_fp_ieee_div_zero 0
		.amdhsa_exception_fp_ieee_overflow 0
		.amdhsa_exception_fp_ieee_underflow 0
		.amdhsa_exception_fp_ieee_inexact 0
		.amdhsa_exception_int_div_zero 0
	.end_amdhsa_kernel
	.section	.text._ZN7rocprim17ROCPRIM_400000_NS6detail17trampoline_kernelINS0_14default_configENS1_29reduce_by_key_config_selectorIyyN6thrust23THRUST_200600_302600_NS4plusIyEEEEZZNS1_33reduce_by_key_impl_wrapped_configILNS1_25lookback_scan_determinismE0ES3_S9_NS6_6detail15normal_iteratorINS6_10device_ptrIyEEEESG_SG_SG_PmS8_22is_equal_div_10_reduceIyEEE10hipError_tPvRmT2_T3_mT4_T5_T6_T7_T8_P12ihipStream_tbENKUlT_T0_E_clISt17integral_constantIbLb0EES11_EEDaSW_SX_EUlSW_E_NS1_11comp_targetILNS1_3genE5ELNS1_11target_archE942ELNS1_3gpuE9ELNS1_3repE0EEENS1_30default_config_static_selectorELNS0_4arch9wavefront6targetE0EEEvT1_,"axG",@progbits,_ZN7rocprim17ROCPRIM_400000_NS6detail17trampoline_kernelINS0_14default_configENS1_29reduce_by_key_config_selectorIyyN6thrust23THRUST_200600_302600_NS4plusIyEEEEZZNS1_33reduce_by_key_impl_wrapped_configILNS1_25lookback_scan_determinismE0ES3_S9_NS6_6detail15normal_iteratorINS6_10device_ptrIyEEEESG_SG_SG_PmS8_22is_equal_div_10_reduceIyEEE10hipError_tPvRmT2_T3_mT4_T5_T6_T7_T8_P12ihipStream_tbENKUlT_T0_E_clISt17integral_constantIbLb0EES11_EEDaSW_SX_EUlSW_E_NS1_11comp_targetILNS1_3genE5ELNS1_11target_archE942ELNS1_3gpuE9ELNS1_3repE0EEENS1_30default_config_static_selectorELNS0_4arch9wavefront6targetE0EEEvT1_,comdat
.Lfunc_end278:
	.size	_ZN7rocprim17ROCPRIM_400000_NS6detail17trampoline_kernelINS0_14default_configENS1_29reduce_by_key_config_selectorIyyN6thrust23THRUST_200600_302600_NS4plusIyEEEEZZNS1_33reduce_by_key_impl_wrapped_configILNS1_25lookback_scan_determinismE0ES3_S9_NS6_6detail15normal_iteratorINS6_10device_ptrIyEEEESG_SG_SG_PmS8_22is_equal_div_10_reduceIyEEE10hipError_tPvRmT2_T3_mT4_T5_T6_T7_T8_P12ihipStream_tbENKUlT_T0_E_clISt17integral_constantIbLb0EES11_EEDaSW_SX_EUlSW_E_NS1_11comp_targetILNS1_3genE5ELNS1_11target_archE942ELNS1_3gpuE9ELNS1_3repE0EEENS1_30default_config_static_selectorELNS0_4arch9wavefront6targetE0EEEvT1_, .Lfunc_end278-_ZN7rocprim17ROCPRIM_400000_NS6detail17trampoline_kernelINS0_14default_configENS1_29reduce_by_key_config_selectorIyyN6thrust23THRUST_200600_302600_NS4plusIyEEEEZZNS1_33reduce_by_key_impl_wrapped_configILNS1_25lookback_scan_determinismE0ES3_S9_NS6_6detail15normal_iteratorINS6_10device_ptrIyEEEESG_SG_SG_PmS8_22is_equal_div_10_reduceIyEEE10hipError_tPvRmT2_T3_mT4_T5_T6_T7_T8_P12ihipStream_tbENKUlT_T0_E_clISt17integral_constantIbLb0EES11_EEDaSW_SX_EUlSW_E_NS1_11comp_targetILNS1_3genE5ELNS1_11target_archE942ELNS1_3gpuE9ELNS1_3repE0EEENS1_30default_config_static_selectorELNS0_4arch9wavefront6targetE0EEEvT1_
                                        ; -- End function
	.section	.AMDGPU.csdata,"",@progbits
; Kernel info:
; codeLenInByte = 0
; NumSgprs: 0
; NumVgprs: 0
; ScratchSize: 0
; MemoryBound: 0
; FloatMode: 240
; IeeeMode: 1
; LDSByteSize: 0 bytes/workgroup (compile time only)
; SGPRBlocks: 0
; VGPRBlocks: 0
; NumSGPRsForWavesPerEU: 1
; NumVGPRsForWavesPerEU: 1
; Occupancy: 16
; WaveLimiterHint : 0
; COMPUTE_PGM_RSRC2:SCRATCH_EN: 0
; COMPUTE_PGM_RSRC2:USER_SGPR: 15
; COMPUTE_PGM_RSRC2:TRAP_HANDLER: 0
; COMPUTE_PGM_RSRC2:TGID_X_EN: 1
; COMPUTE_PGM_RSRC2:TGID_Y_EN: 0
; COMPUTE_PGM_RSRC2:TGID_Z_EN: 0
; COMPUTE_PGM_RSRC2:TIDIG_COMP_CNT: 0
	.section	.text._ZN7rocprim17ROCPRIM_400000_NS6detail17trampoline_kernelINS0_14default_configENS1_29reduce_by_key_config_selectorIyyN6thrust23THRUST_200600_302600_NS4plusIyEEEEZZNS1_33reduce_by_key_impl_wrapped_configILNS1_25lookback_scan_determinismE0ES3_S9_NS6_6detail15normal_iteratorINS6_10device_ptrIyEEEESG_SG_SG_PmS8_22is_equal_div_10_reduceIyEEE10hipError_tPvRmT2_T3_mT4_T5_T6_T7_T8_P12ihipStream_tbENKUlT_T0_E_clISt17integral_constantIbLb0EES11_EEDaSW_SX_EUlSW_E_NS1_11comp_targetILNS1_3genE4ELNS1_11target_archE910ELNS1_3gpuE8ELNS1_3repE0EEENS1_30default_config_static_selectorELNS0_4arch9wavefront6targetE0EEEvT1_,"axG",@progbits,_ZN7rocprim17ROCPRIM_400000_NS6detail17trampoline_kernelINS0_14default_configENS1_29reduce_by_key_config_selectorIyyN6thrust23THRUST_200600_302600_NS4plusIyEEEEZZNS1_33reduce_by_key_impl_wrapped_configILNS1_25lookback_scan_determinismE0ES3_S9_NS6_6detail15normal_iteratorINS6_10device_ptrIyEEEESG_SG_SG_PmS8_22is_equal_div_10_reduceIyEEE10hipError_tPvRmT2_T3_mT4_T5_T6_T7_T8_P12ihipStream_tbENKUlT_T0_E_clISt17integral_constantIbLb0EES11_EEDaSW_SX_EUlSW_E_NS1_11comp_targetILNS1_3genE4ELNS1_11target_archE910ELNS1_3gpuE8ELNS1_3repE0EEENS1_30default_config_static_selectorELNS0_4arch9wavefront6targetE0EEEvT1_,comdat
	.protected	_ZN7rocprim17ROCPRIM_400000_NS6detail17trampoline_kernelINS0_14default_configENS1_29reduce_by_key_config_selectorIyyN6thrust23THRUST_200600_302600_NS4plusIyEEEEZZNS1_33reduce_by_key_impl_wrapped_configILNS1_25lookback_scan_determinismE0ES3_S9_NS6_6detail15normal_iteratorINS6_10device_ptrIyEEEESG_SG_SG_PmS8_22is_equal_div_10_reduceIyEEE10hipError_tPvRmT2_T3_mT4_T5_T6_T7_T8_P12ihipStream_tbENKUlT_T0_E_clISt17integral_constantIbLb0EES11_EEDaSW_SX_EUlSW_E_NS1_11comp_targetILNS1_3genE4ELNS1_11target_archE910ELNS1_3gpuE8ELNS1_3repE0EEENS1_30default_config_static_selectorELNS0_4arch9wavefront6targetE0EEEvT1_ ; -- Begin function _ZN7rocprim17ROCPRIM_400000_NS6detail17trampoline_kernelINS0_14default_configENS1_29reduce_by_key_config_selectorIyyN6thrust23THRUST_200600_302600_NS4plusIyEEEEZZNS1_33reduce_by_key_impl_wrapped_configILNS1_25lookback_scan_determinismE0ES3_S9_NS6_6detail15normal_iteratorINS6_10device_ptrIyEEEESG_SG_SG_PmS8_22is_equal_div_10_reduceIyEEE10hipError_tPvRmT2_T3_mT4_T5_T6_T7_T8_P12ihipStream_tbENKUlT_T0_E_clISt17integral_constantIbLb0EES11_EEDaSW_SX_EUlSW_E_NS1_11comp_targetILNS1_3genE4ELNS1_11target_archE910ELNS1_3gpuE8ELNS1_3repE0EEENS1_30default_config_static_selectorELNS0_4arch9wavefront6targetE0EEEvT1_
	.globl	_ZN7rocprim17ROCPRIM_400000_NS6detail17trampoline_kernelINS0_14default_configENS1_29reduce_by_key_config_selectorIyyN6thrust23THRUST_200600_302600_NS4plusIyEEEEZZNS1_33reduce_by_key_impl_wrapped_configILNS1_25lookback_scan_determinismE0ES3_S9_NS6_6detail15normal_iteratorINS6_10device_ptrIyEEEESG_SG_SG_PmS8_22is_equal_div_10_reduceIyEEE10hipError_tPvRmT2_T3_mT4_T5_T6_T7_T8_P12ihipStream_tbENKUlT_T0_E_clISt17integral_constantIbLb0EES11_EEDaSW_SX_EUlSW_E_NS1_11comp_targetILNS1_3genE4ELNS1_11target_archE910ELNS1_3gpuE8ELNS1_3repE0EEENS1_30default_config_static_selectorELNS0_4arch9wavefront6targetE0EEEvT1_
	.p2align	8
	.type	_ZN7rocprim17ROCPRIM_400000_NS6detail17trampoline_kernelINS0_14default_configENS1_29reduce_by_key_config_selectorIyyN6thrust23THRUST_200600_302600_NS4plusIyEEEEZZNS1_33reduce_by_key_impl_wrapped_configILNS1_25lookback_scan_determinismE0ES3_S9_NS6_6detail15normal_iteratorINS6_10device_ptrIyEEEESG_SG_SG_PmS8_22is_equal_div_10_reduceIyEEE10hipError_tPvRmT2_T3_mT4_T5_T6_T7_T8_P12ihipStream_tbENKUlT_T0_E_clISt17integral_constantIbLb0EES11_EEDaSW_SX_EUlSW_E_NS1_11comp_targetILNS1_3genE4ELNS1_11target_archE910ELNS1_3gpuE8ELNS1_3repE0EEENS1_30default_config_static_selectorELNS0_4arch9wavefront6targetE0EEEvT1_,@function
_ZN7rocprim17ROCPRIM_400000_NS6detail17trampoline_kernelINS0_14default_configENS1_29reduce_by_key_config_selectorIyyN6thrust23THRUST_200600_302600_NS4plusIyEEEEZZNS1_33reduce_by_key_impl_wrapped_configILNS1_25lookback_scan_determinismE0ES3_S9_NS6_6detail15normal_iteratorINS6_10device_ptrIyEEEESG_SG_SG_PmS8_22is_equal_div_10_reduceIyEEE10hipError_tPvRmT2_T3_mT4_T5_T6_T7_T8_P12ihipStream_tbENKUlT_T0_E_clISt17integral_constantIbLb0EES11_EEDaSW_SX_EUlSW_E_NS1_11comp_targetILNS1_3genE4ELNS1_11target_archE910ELNS1_3gpuE8ELNS1_3repE0EEENS1_30default_config_static_selectorELNS0_4arch9wavefront6targetE0EEEvT1_: ; @_ZN7rocprim17ROCPRIM_400000_NS6detail17trampoline_kernelINS0_14default_configENS1_29reduce_by_key_config_selectorIyyN6thrust23THRUST_200600_302600_NS4plusIyEEEEZZNS1_33reduce_by_key_impl_wrapped_configILNS1_25lookback_scan_determinismE0ES3_S9_NS6_6detail15normal_iteratorINS6_10device_ptrIyEEEESG_SG_SG_PmS8_22is_equal_div_10_reduceIyEEE10hipError_tPvRmT2_T3_mT4_T5_T6_T7_T8_P12ihipStream_tbENKUlT_T0_E_clISt17integral_constantIbLb0EES11_EEDaSW_SX_EUlSW_E_NS1_11comp_targetILNS1_3genE4ELNS1_11target_archE910ELNS1_3gpuE8ELNS1_3repE0EEENS1_30default_config_static_selectorELNS0_4arch9wavefront6targetE0EEEvT1_
; %bb.0:
	.section	.rodata,"a",@progbits
	.p2align	6, 0x0
	.amdhsa_kernel _ZN7rocprim17ROCPRIM_400000_NS6detail17trampoline_kernelINS0_14default_configENS1_29reduce_by_key_config_selectorIyyN6thrust23THRUST_200600_302600_NS4plusIyEEEEZZNS1_33reduce_by_key_impl_wrapped_configILNS1_25lookback_scan_determinismE0ES3_S9_NS6_6detail15normal_iteratorINS6_10device_ptrIyEEEESG_SG_SG_PmS8_22is_equal_div_10_reduceIyEEE10hipError_tPvRmT2_T3_mT4_T5_T6_T7_T8_P12ihipStream_tbENKUlT_T0_E_clISt17integral_constantIbLb0EES11_EEDaSW_SX_EUlSW_E_NS1_11comp_targetILNS1_3genE4ELNS1_11target_archE910ELNS1_3gpuE8ELNS1_3repE0EEENS1_30default_config_static_selectorELNS0_4arch9wavefront6targetE0EEEvT1_
		.amdhsa_group_segment_fixed_size 0
		.amdhsa_private_segment_fixed_size 0
		.amdhsa_kernarg_size 136
		.amdhsa_user_sgpr_count 15
		.amdhsa_user_sgpr_dispatch_ptr 0
		.amdhsa_user_sgpr_queue_ptr 0
		.amdhsa_user_sgpr_kernarg_segment_ptr 1
		.amdhsa_user_sgpr_dispatch_id 0
		.amdhsa_user_sgpr_private_segment_size 0
		.amdhsa_wavefront_size32 1
		.amdhsa_uses_dynamic_stack 0
		.amdhsa_enable_private_segment 0
		.amdhsa_system_sgpr_workgroup_id_x 1
		.amdhsa_system_sgpr_workgroup_id_y 0
		.amdhsa_system_sgpr_workgroup_id_z 0
		.amdhsa_system_sgpr_workgroup_info 0
		.amdhsa_system_vgpr_workitem_id 0
		.amdhsa_next_free_vgpr 1
		.amdhsa_next_free_sgpr 1
		.amdhsa_reserve_vcc 0
		.amdhsa_float_round_mode_32 0
		.amdhsa_float_round_mode_16_64 0
		.amdhsa_float_denorm_mode_32 3
		.amdhsa_float_denorm_mode_16_64 3
		.amdhsa_dx10_clamp 1
		.amdhsa_ieee_mode 1
		.amdhsa_fp16_overflow 0
		.amdhsa_workgroup_processor_mode 1
		.amdhsa_memory_ordered 1
		.amdhsa_forward_progress 0
		.amdhsa_shared_vgpr_count 0
		.amdhsa_exception_fp_ieee_invalid_op 0
		.amdhsa_exception_fp_denorm_src 0
		.amdhsa_exception_fp_ieee_div_zero 0
		.amdhsa_exception_fp_ieee_overflow 0
		.amdhsa_exception_fp_ieee_underflow 0
		.amdhsa_exception_fp_ieee_inexact 0
		.amdhsa_exception_int_div_zero 0
	.end_amdhsa_kernel
	.section	.text._ZN7rocprim17ROCPRIM_400000_NS6detail17trampoline_kernelINS0_14default_configENS1_29reduce_by_key_config_selectorIyyN6thrust23THRUST_200600_302600_NS4plusIyEEEEZZNS1_33reduce_by_key_impl_wrapped_configILNS1_25lookback_scan_determinismE0ES3_S9_NS6_6detail15normal_iteratorINS6_10device_ptrIyEEEESG_SG_SG_PmS8_22is_equal_div_10_reduceIyEEE10hipError_tPvRmT2_T3_mT4_T5_T6_T7_T8_P12ihipStream_tbENKUlT_T0_E_clISt17integral_constantIbLb0EES11_EEDaSW_SX_EUlSW_E_NS1_11comp_targetILNS1_3genE4ELNS1_11target_archE910ELNS1_3gpuE8ELNS1_3repE0EEENS1_30default_config_static_selectorELNS0_4arch9wavefront6targetE0EEEvT1_,"axG",@progbits,_ZN7rocprim17ROCPRIM_400000_NS6detail17trampoline_kernelINS0_14default_configENS1_29reduce_by_key_config_selectorIyyN6thrust23THRUST_200600_302600_NS4plusIyEEEEZZNS1_33reduce_by_key_impl_wrapped_configILNS1_25lookback_scan_determinismE0ES3_S9_NS6_6detail15normal_iteratorINS6_10device_ptrIyEEEESG_SG_SG_PmS8_22is_equal_div_10_reduceIyEEE10hipError_tPvRmT2_T3_mT4_T5_T6_T7_T8_P12ihipStream_tbENKUlT_T0_E_clISt17integral_constantIbLb0EES11_EEDaSW_SX_EUlSW_E_NS1_11comp_targetILNS1_3genE4ELNS1_11target_archE910ELNS1_3gpuE8ELNS1_3repE0EEENS1_30default_config_static_selectorELNS0_4arch9wavefront6targetE0EEEvT1_,comdat
.Lfunc_end279:
	.size	_ZN7rocprim17ROCPRIM_400000_NS6detail17trampoline_kernelINS0_14default_configENS1_29reduce_by_key_config_selectorIyyN6thrust23THRUST_200600_302600_NS4plusIyEEEEZZNS1_33reduce_by_key_impl_wrapped_configILNS1_25lookback_scan_determinismE0ES3_S9_NS6_6detail15normal_iteratorINS6_10device_ptrIyEEEESG_SG_SG_PmS8_22is_equal_div_10_reduceIyEEE10hipError_tPvRmT2_T3_mT4_T5_T6_T7_T8_P12ihipStream_tbENKUlT_T0_E_clISt17integral_constantIbLb0EES11_EEDaSW_SX_EUlSW_E_NS1_11comp_targetILNS1_3genE4ELNS1_11target_archE910ELNS1_3gpuE8ELNS1_3repE0EEENS1_30default_config_static_selectorELNS0_4arch9wavefront6targetE0EEEvT1_, .Lfunc_end279-_ZN7rocprim17ROCPRIM_400000_NS6detail17trampoline_kernelINS0_14default_configENS1_29reduce_by_key_config_selectorIyyN6thrust23THRUST_200600_302600_NS4plusIyEEEEZZNS1_33reduce_by_key_impl_wrapped_configILNS1_25lookback_scan_determinismE0ES3_S9_NS6_6detail15normal_iteratorINS6_10device_ptrIyEEEESG_SG_SG_PmS8_22is_equal_div_10_reduceIyEEE10hipError_tPvRmT2_T3_mT4_T5_T6_T7_T8_P12ihipStream_tbENKUlT_T0_E_clISt17integral_constantIbLb0EES11_EEDaSW_SX_EUlSW_E_NS1_11comp_targetILNS1_3genE4ELNS1_11target_archE910ELNS1_3gpuE8ELNS1_3repE0EEENS1_30default_config_static_selectorELNS0_4arch9wavefront6targetE0EEEvT1_
                                        ; -- End function
	.section	.AMDGPU.csdata,"",@progbits
; Kernel info:
; codeLenInByte = 0
; NumSgprs: 0
; NumVgprs: 0
; ScratchSize: 0
; MemoryBound: 0
; FloatMode: 240
; IeeeMode: 1
; LDSByteSize: 0 bytes/workgroup (compile time only)
; SGPRBlocks: 0
; VGPRBlocks: 0
; NumSGPRsForWavesPerEU: 1
; NumVGPRsForWavesPerEU: 1
; Occupancy: 16
; WaveLimiterHint : 0
; COMPUTE_PGM_RSRC2:SCRATCH_EN: 0
; COMPUTE_PGM_RSRC2:USER_SGPR: 15
; COMPUTE_PGM_RSRC2:TRAP_HANDLER: 0
; COMPUTE_PGM_RSRC2:TGID_X_EN: 1
; COMPUTE_PGM_RSRC2:TGID_Y_EN: 0
; COMPUTE_PGM_RSRC2:TGID_Z_EN: 0
; COMPUTE_PGM_RSRC2:TIDIG_COMP_CNT: 0
	.section	.text._ZN7rocprim17ROCPRIM_400000_NS6detail17trampoline_kernelINS0_14default_configENS1_29reduce_by_key_config_selectorIyyN6thrust23THRUST_200600_302600_NS4plusIyEEEEZZNS1_33reduce_by_key_impl_wrapped_configILNS1_25lookback_scan_determinismE0ES3_S9_NS6_6detail15normal_iteratorINS6_10device_ptrIyEEEESG_SG_SG_PmS8_22is_equal_div_10_reduceIyEEE10hipError_tPvRmT2_T3_mT4_T5_T6_T7_T8_P12ihipStream_tbENKUlT_T0_E_clISt17integral_constantIbLb0EES11_EEDaSW_SX_EUlSW_E_NS1_11comp_targetILNS1_3genE3ELNS1_11target_archE908ELNS1_3gpuE7ELNS1_3repE0EEENS1_30default_config_static_selectorELNS0_4arch9wavefront6targetE0EEEvT1_,"axG",@progbits,_ZN7rocprim17ROCPRIM_400000_NS6detail17trampoline_kernelINS0_14default_configENS1_29reduce_by_key_config_selectorIyyN6thrust23THRUST_200600_302600_NS4plusIyEEEEZZNS1_33reduce_by_key_impl_wrapped_configILNS1_25lookback_scan_determinismE0ES3_S9_NS6_6detail15normal_iteratorINS6_10device_ptrIyEEEESG_SG_SG_PmS8_22is_equal_div_10_reduceIyEEE10hipError_tPvRmT2_T3_mT4_T5_T6_T7_T8_P12ihipStream_tbENKUlT_T0_E_clISt17integral_constantIbLb0EES11_EEDaSW_SX_EUlSW_E_NS1_11comp_targetILNS1_3genE3ELNS1_11target_archE908ELNS1_3gpuE7ELNS1_3repE0EEENS1_30default_config_static_selectorELNS0_4arch9wavefront6targetE0EEEvT1_,comdat
	.protected	_ZN7rocprim17ROCPRIM_400000_NS6detail17trampoline_kernelINS0_14default_configENS1_29reduce_by_key_config_selectorIyyN6thrust23THRUST_200600_302600_NS4plusIyEEEEZZNS1_33reduce_by_key_impl_wrapped_configILNS1_25lookback_scan_determinismE0ES3_S9_NS6_6detail15normal_iteratorINS6_10device_ptrIyEEEESG_SG_SG_PmS8_22is_equal_div_10_reduceIyEEE10hipError_tPvRmT2_T3_mT4_T5_T6_T7_T8_P12ihipStream_tbENKUlT_T0_E_clISt17integral_constantIbLb0EES11_EEDaSW_SX_EUlSW_E_NS1_11comp_targetILNS1_3genE3ELNS1_11target_archE908ELNS1_3gpuE7ELNS1_3repE0EEENS1_30default_config_static_selectorELNS0_4arch9wavefront6targetE0EEEvT1_ ; -- Begin function _ZN7rocprim17ROCPRIM_400000_NS6detail17trampoline_kernelINS0_14default_configENS1_29reduce_by_key_config_selectorIyyN6thrust23THRUST_200600_302600_NS4plusIyEEEEZZNS1_33reduce_by_key_impl_wrapped_configILNS1_25lookback_scan_determinismE0ES3_S9_NS6_6detail15normal_iteratorINS6_10device_ptrIyEEEESG_SG_SG_PmS8_22is_equal_div_10_reduceIyEEE10hipError_tPvRmT2_T3_mT4_T5_T6_T7_T8_P12ihipStream_tbENKUlT_T0_E_clISt17integral_constantIbLb0EES11_EEDaSW_SX_EUlSW_E_NS1_11comp_targetILNS1_3genE3ELNS1_11target_archE908ELNS1_3gpuE7ELNS1_3repE0EEENS1_30default_config_static_selectorELNS0_4arch9wavefront6targetE0EEEvT1_
	.globl	_ZN7rocprim17ROCPRIM_400000_NS6detail17trampoline_kernelINS0_14default_configENS1_29reduce_by_key_config_selectorIyyN6thrust23THRUST_200600_302600_NS4plusIyEEEEZZNS1_33reduce_by_key_impl_wrapped_configILNS1_25lookback_scan_determinismE0ES3_S9_NS6_6detail15normal_iteratorINS6_10device_ptrIyEEEESG_SG_SG_PmS8_22is_equal_div_10_reduceIyEEE10hipError_tPvRmT2_T3_mT4_T5_T6_T7_T8_P12ihipStream_tbENKUlT_T0_E_clISt17integral_constantIbLb0EES11_EEDaSW_SX_EUlSW_E_NS1_11comp_targetILNS1_3genE3ELNS1_11target_archE908ELNS1_3gpuE7ELNS1_3repE0EEENS1_30default_config_static_selectorELNS0_4arch9wavefront6targetE0EEEvT1_
	.p2align	8
	.type	_ZN7rocprim17ROCPRIM_400000_NS6detail17trampoline_kernelINS0_14default_configENS1_29reduce_by_key_config_selectorIyyN6thrust23THRUST_200600_302600_NS4plusIyEEEEZZNS1_33reduce_by_key_impl_wrapped_configILNS1_25lookback_scan_determinismE0ES3_S9_NS6_6detail15normal_iteratorINS6_10device_ptrIyEEEESG_SG_SG_PmS8_22is_equal_div_10_reduceIyEEE10hipError_tPvRmT2_T3_mT4_T5_T6_T7_T8_P12ihipStream_tbENKUlT_T0_E_clISt17integral_constantIbLb0EES11_EEDaSW_SX_EUlSW_E_NS1_11comp_targetILNS1_3genE3ELNS1_11target_archE908ELNS1_3gpuE7ELNS1_3repE0EEENS1_30default_config_static_selectorELNS0_4arch9wavefront6targetE0EEEvT1_,@function
_ZN7rocprim17ROCPRIM_400000_NS6detail17trampoline_kernelINS0_14default_configENS1_29reduce_by_key_config_selectorIyyN6thrust23THRUST_200600_302600_NS4plusIyEEEEZZNS1_33reduce_by_key_impl_wrapped_configILNS1_25lookback_scan_determinismE0ES3_S9_NS6_6detail15normal_iteratorINS6_10device_ptrIyEEEESG_SG_SG_PmS8_22is_equal_div_10_reduceIyEEE10hipError_tPvRmT2_T3_mT4_T5_T6_T7_T8_P12ihipStream_tbENKUlT_T0_E_clISt17integral_constantIbLb0EES11_EEDaSW_SX_EUlSW_E_NS1_11comp_targetILNS1_3genE3ELNS1_11target_archE908ELNS1_3gpuE7ELNS1_3repE0EEENS1_30default_config_static_selectorELNS0_4arch9wavefront6targetE0EEEvT1_: ; @_ZN7rocprim17ROCPRIM_400000_NS6detail17trampoline_kernelINS0_14default_configENS1_29reduce_by_key_config_selectorIyyN6thrust23THRUST_200600_302600_NS4plusIyEEEEZZNS1_33reduce_by_key_impl_wrapped_configILNS1_25lookback_scan_determinismE0ES3_S9_NS6_6detail15normal_iteratorINS6_10device_ptrIyEEEESG_SG_SG_PmS8_22is_equal_div_10_reduceIyEEE10hipError_tPvRmT2_T3_mT4_T5_T6_T7_T8_P12ihipStream_tbENKUlT_T0_E_clISt17integral_constantIbLb0EES11_EEDaSW_SX_EUlSW_E_NS1_11comp_targetILNS1_3genE3ELNS1_11target_archE908ELNS1_3gpuE7ELNS1_3repE0EEENS1_30default_config_static_selectorELNS0_4arch9wavefront6targetE0EEEvT1_
; %bb.0:
	.section	.rodata,"a",@progbits
	.p2align	6, 0x0
	.amdhsa_kernel _ZN7rocprim17ROCPRIM_400000_NS6detail17trampoline_kernelINS0_14default_configENS1_29reduce_by_key_config_selectorIyyN6thrust23THRUST_200600_302600_NS4plusIyEEEEZZNS1_33reduce_by_key_impl_wrapped_configILNS1_25lookback_scan_determinismE0ES3_S9_NS6_6detail15normal_iteratorINS6_10device_ptrIyEEEESG_SG_SG_PmS8_22is_equal_div_10_reduceIyEEE10hipError_tPvRmT2_T3_mT4_T5_T6_T7_T8_P12ihipStream_tbENKUlT_T0_E_clISt17integral_constantIbLb0EES11_EEDaSW_SX_EUlSW_E_NS1_11comp_targetILNS1_3genE3ELNS1_11target_archE908ELNS1_3gpuE7ELNS1_3repE0EEENS1_30default_config_static_selectorELNS0_4arch9wavefront6targetE0EEEvT1_
		.amdhsa_group_segment_fixed_size 0
		.amdhsa_private_segment_fixed_size 0
		.amdhsa_kernarg_size 136
		.amdhsa_user_sgpr_count 15
		.amdhsa_user_sgpr_dispatch_ptr 0
		.amdhsa_user_sgpr_queue_ptr 0
		.amdhsa_user_sgpr_kernarg_segment_ptr 1
		.amdhsa_user_sgpr_dispatch_id 0
		.amdhsa_user_sgpr_private_segment_size 0
		.amdhsa_wavefront_size32 1
		.amdhsa_uses_dynamic_stack 0
		.amdhsa_enable_private_segment 0
		.amdhsa_system_sgpr_workgroup_id_x 1
		.amdhsa_system_sgpr_workgroup_id_y 0
		.amdhsa_system_sgpr_workgroup_id_z 0
		.amdhsa_system_sgpr_workgroup_info 0
		.amdhsa_system_vgpr_workitem_id 0
		.amdhsa_next_free_vgpr 1
		.amdhsa_next_free_sgpr 1
		.amdhsa_reserve_vcc 0
		.amdhsa_float_round_mode_32 0
		.amdhsa_float_round_mode_16_64 0
		.amdhsa_float_denorm_mode_32 3
		.amdhsa_float_denorm_mode_16_64 3
		.amdhsa_dx10_clamp 1
		.amdhsa_ieee_mode 1
		.amdhsa_fp16_overflow 0
		.amdhsa_workgroup_processor_mode 1
		.amdhsa_memory_ordered 1
		.amdhsa_forward_progress 0
		.amdhsa_shared_vgpr_count 0
		.amdhsa_exception_fp_ieee_invalid_op 0
		.amdhsa_exception_fp_denorm_src 0
		.amdhsa_exception_fp_ieee_div_zero 0
		.amdhsa_exception_fp_ieee_overflow 0
		.amdhsa_exception_fp_ieee_underflow 0
		.amdhsa_exception_fp_ieee_inexact 0
		.amdhsa_exception_int_div_zero 0
	.end_amdhsa_kernel
	.section	.text._ZN7rocprim17ROCPRIM_400000_NS6detail17trampoline_kernelINS0_14default_configENS1_29reduce_by_key_config_selectorIyyN6thrust23THRUST_200600_302600_NS4plusIyEEEEZZNS1_33reduce_by_key_impl_wrapped_configILNS1_25lookback_scan_determinismE0ES3_S9_NS6_6detail15normal_iteratorINS6_10device_ptrIyEEEESG_SG_SG_PmS8_22is_equal_div_10_reduceIyEEE10hipError_tPvRmT2_T3_mT4_T5_T6_T7_T8_P12ihipStream_tbENKUlT_T0_E_clISt17integral_constantIbLb0EES11_EEDaSW_SX_EUlSW_E_NS1_11comp_targetILNS1_3genE3ELNS1_11target_archE908ELNS1_3gpuE7ELNS1_3repE0EEENS1_30default_config_static_selectorELNS0_4arch9wavefront6targetE0EEEvT1_,"axG",@progbits,_ZN7rocprim17ROCPRIM_400000_NS6detail17trampoline_kernelINS0_14default_configENS1_29reduce_by_key_config_selectorIyyN6thrust23THRUST_200600_302600_NS4plusIyEEEEZZNS1_33reduce_by_key_impl_wrapped_configILNS1_25lookback_scan_determinismE0ES3_S9_NS6_6detail15normal_iteratorINS6_10device_ptrIyEEEESG_SG_SG_PmS8_22is_equal_div_10_reduceIyEEE10hipError_tPvRmT2_T3_mT4_T5_T6_T7_T8_P12ihipStream_tbENKUlT_T0_E_clISt17integral_constantIbLb0EES11_EEDaSW_SX_EUlSW_E_NS1_11comp_targetILNS1_3genE3ELNS1_11target_archE908ELNS1_3gpuE7ELNS1_3repE0EEENS1_30default_config_static_selectorELNS0_4arch9wavefront6targetE0EEEvT1_,comdat
.Lfunc_end280:
	.size	_ZN7rocprim17ROCPRIM_400000_NS6detail17trampoline_kernelINS0_14default_configENS1_29reduce_by_key_config_selectorIyyN6thrust23THRUST_200600_302600_NS4plusIyEEEEZZNS1_33reduce_by_key_impl_wrapped_configILNS1_25lookback_scan_determinismE0ES3_S9_NS6_6detail15normal_iteratorINS6_10device_ptrIyEEEESG_SG_SG_PmS8_22is_equal_div_10_reduceIyEEE10hipError_tPvRmT2_T3_mT4_T5_T6_T7_T8_P12ihipStream_tbENKUlT_T0_E_clISt17integral_constantIbLb0EES11_EEDaSW_SX_EUlSW_E_NS1_11comp_targetILNS1_3genE3ELNS1_11target_archE908ELNS1_3gpuE7ELNS1_3repE0EEENS1_30default_config_static_selectorELNS0_4arch9wavefront6targetE0EEEvT1_, .Lfunc_end280-_ZN7rocprim17ROCPRIM_400000_NS6detail17trampoline_kernelINS0_14default_configENS1_29reduce_by_key_config_selectorIyyN6thrust23THRUST_200600_302600_NS4plusIyEEEEZZNS1_33reduce_by_key_impl_wrapped_configILNS1_25lookback_scan_determinismE0ES3_S9_NS6_6detail15normal_iteratorINS6_10device_ptrIyEEEESG_SG_SG_PmS8_22is_equal_div_10_reduceIyEEE10hipError_tPvRmT2_T3_mT4_T5_T6_T7_T8_P12ihipStream_tbENKUlT_T0_E_clISt17integral_constantIbLb0EES11_EEDaSW_SX_EUlSW_E_NS1_11comp_targetILNS1_3genE3ELNS1_11target_archE908ELNS1_3gpuE7ELNS1_3repE0EEENS1_30default_config_static_selectorELNS0_4arch9wavefront6targetE0EEEvT1_
                                        ; -- End function
	.section	.AMDGPU.csdata,"",@progbits
; Kernel info:
; codeLenInByte = 0
; NumSgprs: 0
; NumVgprs: 0
; ScratchSize: 0
; MemoryBound: 0
; FloatMode: 240
; IeeeMode: 1
; LDSByteSize: 0 bytes/workgroup (compile time only)
; SGPRBlocks: 0
; VGPRBlocks: 0
; NumSGPRsForWavesPerEU: 1
; NumVGPRsForWavesPerEU: 1
; Occupancy: 16
; WaveLimiterHint : 0
; COMPUTE_PGM_RSRC2:SCRATCH_EN: 0
; COMPUTE_PGM_RSRC2:USER_SGPR: 15
; COMPUTE_PGM_RSRC2:TRAP_HANDLER: 0
; COMPUTE_PGM_RSRC2:TGID_X_EN: 1
; COMPUTE_PGM_RSRC2:TGID_Y_EN: 0
; COMPUTE_PGM_RSRC2:TGID_Z_EN: 0
; COMPUTE_PGM_RSRC2:TIDIG_COMP_CNT: 0
	.section	.text._ZN7rocprim17ROCPRIM_400000_NS6detail17trampoline_kernelINS0_14default_configENS1_29reduce_by_key_config_selectorIyyN6thrust23THRUST_200600_302600_NS4plusIyEEEEZZNS1_33reduce_by_key_impl_wrapped_configILNS1_25lookback_scan_determinismE0ES3_S9_NS6_6detail15normal_iteratorINS6_10device_ptrIyEEEESG_SG_SG_PmS8_22is_equal_div_10_reduceIyEEE10hipError_tPvRmT2_T3_mT4_T5_T6_T7_T8_P12ihipStream_tbENKUlT_T0_E_clISt17integral_constantIbLb0EES11_EEDaSW_SX_EUlSW_E_NS1_11comp_targetILNS1_3genE2ELNS1_11target_archE906ELNS1_3gpuE6ELNS1_3repE0EEENS1_30default_config_static_selectorELNS0_4arch9wavefront6targetE0EEEvT1_,"axG",@progbits,_ZN7rocprim17ROCPRIM_400000_NS6detail17trampoline_kernelINS0_14default_configENS1_29reduce_by_key_config_selectorIyyN6thrust23THRUST_200600_302600_NS4plusIyEEEEZZNS1_33reduce_by_key_impl_wrapped_configILNS1_25lookback_scan_determinismE0ES3_S9_NS6_6detail15normal_iteratorINS6_10device_ptrIyEEEESG_SG_SG_PmS8_22is_equal_div_10_reduceIyEEE10hipError_tPvRmT2_T3_mT4_T5_T6_T7_T8_P12ihipStream_tbENKUlT_T0_E_clISt17integral_constantIbLb0EES11_EEDaSW_SX_EUlSW_E_NS1_11comp_targetILNS1_3genE2ELNS1_11target_archE906ELNS1_3gpuE6ELNS1_3repE0EEENS1_30default_config_static_selectorELNS0_4arch9wavefront6targetE0EEEvT1_,comdat
	.protected	_ZN7rocprim17ROCPRIM_400000_NS6detail17trampoline_kernelINS0_14default_configENS1_29reduce_by_key_config_selectorIyyN6thrust23THRUST_200600_302600_NS4plusIyEEEEZZNS1_33reduce_by_key_impl_wrapped_configILNS1_25lookback_scan_determinismE0ES3_S9_NS6_6detail15normal_iteratorINS6_10device_ptrIyEEEESG_SG_SG_PmS8_22is_equal_div_10_reduceIyEEE10hipError_tPvRmT2_T3_mT4_T5_T6_T7_T8_P12ihipStream_tbENKUlT_T0_E_clISt17integral_constantIbLb0EES11_EEDaSW_SX_EUlSW_E_NS1_11comp_targetILNS1_3genE2ELNS1_11target_archE906ELNS1_3gpuE6ELNS1_3repE0EEENS1_30default_config_static_selectorELNS0_4arch9wavefront6targetE0EEEvT1_ ; -- Begin function _ZN7rocprim17ROCPRIM_400000_NS6detail17trampoline_kernelINS0_14default_configENS1_29reduce_by_key_config_selectorIyyN6thrust23THRUST_200600_302600_NS4plusIyEEEEZZNS1_33reduce_by_key_impl_wrapped_configILNS1_25lookback_scan_determinismE0ES3_S9_NS6_6detail15normal_iteratorINS6_10device_ptrIyEEEESG_SG_SG_PmS8_22is_equal_div_10_reduceIyEEE10hipError_tPvRmT2_T3_mT4_T5_T6_T7_T8_P12ihipStream_tbENKUlT_T0_E_clISt17integral_constantIbLb0EES11_EEDaSW_SX_EUlSW_E_NS1_11comp_targetILNS1_3genE2ELNS1_11target_archE906ELNS1_3gpuE6ELNS1_3repE0EEENS1_30default_config_static_selectorELNS0_4arch9wavefront6targetE0EEEvT1_
	.globl	_ZN7rocprim17ROCPRIM_400000_NS6detail17trampoline_kernelINS0_14default_configENS1_29reduce_by_key_config_selectorIyyN6thrust23THRUST_200600_302600_NS4plusIyEEEEZZNS1_33reduce_by_key_impl_wrapped_configILNS1_25lookback_scan_determinismE0ES3_S9_NS6_6detail15normal_iteratorINS6_10device_ptrIyEEEESG_SG_SG_PmS8_22is_equal_div_10_reduceIyEEE10hipError_tPvRmT2_T3_mT4_T5_T6_T7_T8_P12ihipStream_tbENKUlT_T0_E_clISt17integral_constantIbLb0EES11_EEDaSW_SX_EUlSW_E_NS1_11comp_targetILNS1_3genE2ELNS1_11target_archE906ELNS1_3gpuE6ELNS1_3repE0EEENS1_30default_config_static_selectorELNS0_4arch9wavefront6targetE0EEEvT1_
	.p2align	8
	.type	_ZN7rocprim17ROCPRIM_400000_NS6detail17trampoline_kernelINS0_14default_configENS1_29reduce_by_key_config_selectorIyyN6thrust23THRUST_200600_302600_NS4plusIyEEEEZZNS1_33reduce_by_key_impl_wrapped_configILNS1_25lookback_scan_determinismE0ES3_S9_NS6_6detail15normal_iteratorINS6_10device_ptrIyEEEESG_SG_SG_PmS8_22is_equal_div_10_reduceIyEEE10hipError_tPvRmT2_T3_mT4_T5_T6_T7_T8_P12ihipStream_tbENKUlT_T0_E_clISt17integral_constantIbLb0EES11_EEDaSW_SX_EUlSW_E_NS1_11comp_targetILNS1_3genE2ELNS1_11target_archE906ELNS1_3gpuE6ELNS1_3repE0EEENS1_30default_config_static_selectorELNS0_4arch9wavefront6targetE0EEEvT1_,@function
_ZN7rocprim17ROCPRIM_400000_NS6detail17trampoline_kernelINS0_14default_configENS1_29reduce_by_key_config_selectorIyyN6thrust23THRUST_200600_302600_NS4plusIyEEEEZZNS1_33reduce_by_key_impl_wrapped_configILNS1_25lookback_scan_determinismE0ES3_S9_NS6_6detail15normal_iteratorINS6_10device_ptrIyEEEESG_SG_SG_PmS8_22is_equal_div_10_reduceIyEEE10hipError_tPvRmT2_T3_mT4_T5_T6_T7_T8_P12ihipStream_tbENKUlT_T0_E_clISt17integral_constantIbLb0EES11_EEDaSW_SX_EUlSW_E_NS1_11comp_targetILNS1_3genE2ELNS1_11target_archE906ELNS1_3gpuE6ELNS1_3repE0EEENS1_30default_config_static_selectorELNS0_4arch9wavefront6targetE0EEEvT1_: ; @_ZN7rocprim17ROCPRIM_400000_NS6detail17trampoline_kernelINS0_14default_configENS1_29reduce_by_key_config_selectorIyyN6thrust23THRUST_200600_302600_NS4plusIyEEEEZZNS1_33reduce_by_key_impl_wrapped_configILNS1_25lookback_scan_determinismE0ES3_S9_NS6_6detail15normal_iteratorINS6_10device_ptrIyEEEESG_SG_SG_PmS8_22is_equal_div_10_reduceIyEEE10hipError_tPvRmT2_T3_mT4_T5_T6_T7_T8_P12ihipStream_tbENKUlT_T0_E_clISt17integral_constantIbLb0EES11_EEDaSW_SX_EUlSW_E_NS1_11comp_targetILNS1_3genE2ELNS1_11target_archE906ELNS1_3gpuE6ELNS1_3repE0EEENS1_30default_config_static_selectorELNS0_4arch9wavefront6targetE0EEEvT1_
; %bb.0:
	.section	.rodata,"a",@progbits
	.p2align	6, 0x0
	.amdhsa_kernel _ZN7rocprim17ROCPRIM_400000_NS6detail17trampoline_kernelINS0_14default_configENS1_29reduce_by_key_config_selectorIyyN6thrust23THRUST_200600_302600_NS4plusIyEEEEZZNS1_33reduce_by_key_impl_wrapped_configILNS1_25lookback_scan_determinismE0ES3_S9_NS6_6detail15normal_iteratorINS6_10device_ptrIyEEEESG_SG_SG_PmS8_22is_equal_div_10_reduceIyEEE10hipError_tPvRmT2_T3_mT4_T5_T6_T7_T8_P12ihipStream_tbENKUlT_T0_E_clISt17integral_constantIbLb0EES11_EEDaSW_SX_EUlSW_E_NS1_11comp_targetILNS1_3genE2ELNS1_11target_archE906ELNS1_3gpuE6ELNS1_3repE0EEENS1_30default_config_static_selectorELNS0_4arch9wavefront6targetE0EEEvT1_
		.amdhsa_group_segment_fixed_size 0
		.amdhsa_private_segment_fixed_size 0
		.amdhsa_kernarg_size 136
		.amdhsa_user_sgpr_count 15
		.amdhsa_user_sgpr_dispatch_ptr 0
		.amdhsa_user_sgpr_queue_ptr 0
		.amdhsa_user_sgpr_kernarg_segment_ptr 1
		.amdhsa_user_sgpr_dispatch_id 0
		.amdhsa_user_sgpr_private_segment_size 0
		.amdhsa_wavefront_size32 1
		.amdhsa_uses_dynamic_stack 0
		.amdhsa_enable_private_segment 0
		.amdhsa_system_sgpr_workgroup_id_x 1
		.amdhsa_system_sgpr_workgroup_id_y 0
		.amdhsa_system_sgpr_workgroup_id_z 0
		.amdhsa_system_sgpr_workgroup_info 0
		.amdhsa_system_vgpr_workitem_id 0
		.amdhsa_next_free_vgpr 1
		.amdhsa_next_free_sgpr 1
		.amdhsa_reserve_vcc 0
		.amdhsa_float_round_mode_32 0
		.amdhsa_float_round_mode_16_64 0
		.amdhsa_float_denorm_mode_32 3
		.amdhsa_float_denorm_mode_16_64 3
		.amdhsa_dx10_clamp 1
		.amdhsa_ieee_mode 1
		.amdhsa_fp16_overflow 0
		.amdhsa_workgroup_processor_mode 1
		.amdhsa_memory_ordered 1
		.amdhsa_forward_progress 0
		.amdhsa_shared_vgpr_count 0
		.amdhsa_exception_fp_ieee_invalid_op 0
		.amdhsa_exception_fp_denorm_src 0
		.amdhsa_exception_fp_ieee_div_zero 0
		.amdhsa_exception_fp_ieee_overflow 0
		.amdhsa_exception_fp_ieee_underflow 0
		.amdhsa_exception_fp_ieee_inexact 0
		.amdhsa_exception_int_div_zero 0
	.end_amdhsa_kernel
	.section	.text._ZN7rocprim17ROCPRIM_400000_NS6detail17trampoline_kernelINS0_14default_configENS1_29reduce_by_key_config_selectorIyyN6thrust23THRUST_200600_302600_NS4plusIyEEEEZZNS1_33reduce_by_key_impl_wrapped_configILNS1_25lookback_scan_determinismE0ES3_S9_NS6_6detail15normal_iteratorINS6_10device_ptrIyEEEESG_SG_SG_PmS8_22is_equal_div_10_reduceIyEEE10hipError_tPvRmT2_T3_mT4_T5_T6_T7_T8_P12ihipStream_tbENKUlT_T0_E_clISt17integral_constantIbLb0EES11_EEDaSW_SX_EUlSW_E_NS1_11comp_targetILNS1_3genE2ELNS1_11target_archE906ELNS1_3gpuE6ELNS1_3repE0EEENS1_30default_config_static_selectorELNS0_4arch9wavefront6targetE0EEEvT1_,"axG",@progbits,_ZN7rocprim17ROCPRIM_400000_NS6detail17trampoline_kernelINS0_14default_configENS1_29reduce_by_key_config_selectorIyyN6thrust23THRUST_200600_302600_NS4plusIyEEEEZZNS1_33reduce_by_key_impl_wrapped_configILNS1_25lookback_scan_determinismE0ES3_S9_NS6_6detail15normal_iteratorINS6_10device_ptrIyEEEESG_SG_SG_PmS8_22is_equal_div_10_reduceIyEEE10hipError_tPvRmT2_T3_mT4_T5_T6_T7_T8_P12ihipStream_tbENKUlT_T0_E_clISt17integral_constantIbLb0EES11_EEDaSW_SX_EUlSW_E_NS1_11comp_targetILNS1_3genE2ELNS1_11target_archE906ELNS1_3gpuE6ELNS1_3repE0EEENS1_30default_config_static_selectorELNS0_4arch9wavefront6targetE0EEEvT1_,comdat
.Lfunc_end281:
	.size	_ZN7rocprim17ROCPRIM_400000_NS6detail17trampoline_kernelINS0_14default_configENS1_29reduce_by_key_config_selectorIyyN6thrust23THRUST_200600_302600_NS4plusIyEEEEZZNS1_33reduce_by_key_impl_wrapped_configILNS1_25lookback_scan_determinismE0ES3_S9_NS6_6detail15normal_iteratorINS6_10device_ptrIyEEEESG_SG_SG_PmS8_22is_equal_div_10_reduceIyEEE10hipError_tPvRmT2_T3_mT4_T5_T6_T7_T8_P12ihipStream_tbENKUlT_T0_E_clISt17integral_constantIbLb0EES11_EEDaSW_SX_EUlSW_E_NS1_11comp_targetILNS1_3genE2ELNS1_11target_archE906ELNS1_3gpuE6ELNS1_3repE0EEENS1_30default_config_static_selectorELNS0_4arch9wavefront6targetE0EEEvT1_, .Lfunc_end281-_ZN7rocprim17ROCPRIM_400000_NS6detail17trampoline_kernelINS0_14default_configENS1_29reduce_by_key_config_selectorIyyN6thrust23THRUST_200600_302600_NS4plusIyEEEEZZNS1_33reduce_by_key_impl_wrapped_configILNS1_25lookback_scan_determinismE0ES3_S9_NS6_6detail15normal_iteratorINS6_10device_ptrIyEEEESG_SG_SG_PmS8_22is_equal_div_10_reduceIyEEE10hipError_tPvRmT2_T3_mT4_T5_T6_T7_T8_P12ihipStream_tbENKUlT_T0_E_clISt17integral_constantIbLb0EES11_EEDaSW_SX_EUlSW_E_NS1_11comp_targetILNS1_3genE2ELNS1_11target_archE906ELNS1_3gpuE6ELNS1_3repE0EEENS1_30default_config_static_selectorELNS0_4arch9wavefront6targetE0EEEvT1_
                                        ; -- End function
	.section	.AMDGPU.csdata,"",@progbits
; Kernel info:
; codeLenInByte = 0
; NumSgprs: 0
; NumVgprs: 0
; ScratchSize: 0
; MemoryBound: 0
; FloatMode: 240
; IeeeMode: 1
; LDSByteSize: 0 bytes/workgroup (compile time only)
; SGPRBlocks: 0
; VGPRBlocks: 0
; NumSGPRsForWavesPerEU: 1
; NumVGPRsForWavesPerEU: 1
; Occupancy: 16
; WaveLimiterHint : 0
; COMPUTE_PGM_RSRC2:SCRATCH_EN: 0
; COMPUTE_PGM_RSRC2:USER_SGPR: 15
; COMPUTE_PGM_RSRC2:TRAP_HANDLER: 0
; COMPUTE_PGM_RSRC2:TGID_X_EN: 1
; COMPUTE_PGM_RSRC2:TGID_Y_EN: 0
; COMPUTE_PGM_RSRC2:TGID_Z_EN: 0
; COMPUTE_PGM_RSRC2:TIDIG_COMP_CNT: 0
	.section	.text._ZN7rocprim17ROCPRIM_400000_NS6detail17trampoline_kernelINS0_14default_configENS1_29reduce_by_key_config_selectorIyyN6thrust23THRUST_200600_302600_NS4plusIyEEEEZZNS1_33reduce_by_key_impl_wrapped_configILNS1_25lookback_scan_determinismE0ES3_S9_NS6_6detail15normal_iteratorINS6_10device_ptrIyEEEESG_SG_SG_PmS8_22is_equal_div_10_reduceIyEEE10hipError_tPvRmT2_T3_mT4_T5_T6_T7_T8_P12ihipStream_tbENKUlT_T0_E_clISt17integral_constantIbLb0EES11_EEDaSW_SX_EUlSW_E_NS1_11comp_targetILNS1_3genE10ELNS1_11target_archE1201ELNS1_3gpuE5ELNS1_3repE0EEENS1_30default_config_static_selectorELNS0_4arch9wavefront6targetE0EEEvT1_,"axG",@progbits,_ZN7rocprim17ROCPRIM_400000_NS6detail17trampoline_kernelINS0_14default_configENS1_29reduce_by_key_config_selectorIyyN6thrust23THRUST_200600_302600_NS4plusIyEEEEZZNS1_33reduce_by_key_impl_wrapped_configILNS1_25lookback_scan_determinismE0ES3_S9_NS6_6detail15normal_iteratorINS6_10device_ptrIyEEEESG_SG_SG_PmS8_22is_equal_div_10_reduceIyEEE10hipError_tPvRmT2_T3_mT4_T5_T6_T7_T8_P12ihipStream_tbENKUlT_T0_E_clISt17integral_constantIbLb0EES11_EEDaSW_SX_EUlSW_E_NS1_11comp_targetILNS1_3genE10ELNS1_11target_archE1201ELNS1_3gpuE5ELNS1_3repE0EEENS1_30default_config_static_selectorELNS0_4arch9wavefront6targetE0EEEvT1_,comdat
	.protected	_ZN7rocprim17ROCPRIM_400000_NS6detail17trampoline_kernelINS0_14default_configENS1_29reduce_by_key_config_selectorIyyN6thrust23THRUST_200600_302600_NS4plusIyEEEEZZNS1_33reduce_by_key_impl_wrapped_configILNS1_25lookback_scan_determinismE0ES3_S9_NS6_6detail15normal_iteratorINS6_10device_ptrIyEEEESG_SG_SG_PmS8_22is_equal_div_10_reduceIyEEE10hipError_tPvRmT2_T3_mT4_T5_T6_T7_T8_P12ihipStream_tbENKUlT_T0_E_clISt17integral_constantIbLb0EES11_EEDaSW_SX_EUlSW_E_NS1_11comp_targetILNS1_3genE10ELNS1_11target_archE1201ELNS1_3gpuE5ELNS1_3repE0EEENS1_30default_config_static_selectorELNS0_4arch9wavefront6targetE0EEEvT1_ ; -- Begin function _ZN7rocprim17ROCPRIM_400000_NS6detail17trampoline_kernelINS0_14default_configENS1_29reduce_by_key_config_selectorIyyN6thrust23THRUST_200600_302600_NS4plusIyEEEEZZNS1_33reduce_by_key_impl_wrapped_configILNS1_25lookback_scan_determinismE0ES3_S9_NS6_6detail15normal_iteratorINS6_10device_ptrIyEEEESG_SG_SG_PmS8_22is_equal_div_10_reduceIyEEE10hipError_tPvRmT2_T3_mT4_T5_T6_T7_T8_P12ihipStream_tbENKUlT_T0_E_clISt17integral_constantIbLb0EES11_EEDaSW_SX_EUlSW_E_NS1_11comp_targetILNS1_3genE10ELNS1_11target_archE1201ELNS1_3gpuE5ELNS1_3repE0EEENS1_30default_config_static_selectorELNS0_4arch9wavefront6targetE0EEEvT1_
	.globl	_ZN7rocprim17ROCPRIM_400000_NS6detail17trampoline_kernelINS0_14default_configENS1_29reduce_by_key_config_selectorIyyN6thrust23THRUST_200600_302600_NS4plusIyEEEEZZNS1_33reduce_by_key_impl_wrapped_configILNS1_25lookback_scan_determinismE0ES3_S9_NS6_6detail15normal_iteratorINS6_10device_ptrIyEEEESG_SG_SG_PmS8_22is_equal_div_10_reduceIyEEE10hipError_tPvRmT2_T3_mT4_T5_T6_T7_T8_P12ihipStream_tbENKUlT_T0_E_clISt17integral_constantIbLb0EES11_EEDaSW_SX_EUlSW_E_NS1_11comp_targetILNS1_3genE10ELNS1_11target_archE1201ELNS1_3gpuE5ELNS1_3repE0EEENS1_30default_config_static_selectorELNS0_4arch9wavefront6targetE0EEEvT1_
	.p2align	8
	.type	_ZN7rocprim17ROCPRIM_400000_NS6detail17trampoline_kernelINS0_14default_configENS1_29reduce_by_key_config_selectorIyyN6thrust23THRUST_200600_302600_NS4plusIyEEEEZZNS1_33reduce_by_key_impl_wrapped_configILNS1_25lookback_scan_determinismE0ES3_S9_NS6_6detail15normal_iteratorINS6_10device_ptrIyEEEESG_SG_SG_PmS8_22is_equal_div_10_reduceIyEEE10hipError_tPvRmT2_T3_mT4_T5_T6_T7_T8_P12ihipStream_tbENKUlT_T0_E_clISt17integral_constantIbLb0EES11_EEDaSW_SX_EUlSW_E_NS1_11comp_targetILNS1_3genE10ELNS1_11target_archE1201ELNS1_3gpuE5ELNS1_3repE0EEENS1_30default_config_static_selectorELNS0_4arch9wavefront6targetE0EEEvT1_,@function
_ZN7rocprim17ROCPRIM_400000_NS6detail17trampoline_kernelINS0_14default_configENS1_29reduce_by_key_config_selectorIyyN6thrust23THRUST_200600_302600_NS4plusIyEEEEZZNS1_33reduce_by_key_impl_wrapped_configILNS1_25lookback_scan_determinismE0ES3_S9_NS6_6detail15normal_iteratorINS6_10device_ptrIyEEEESG_SG_SG_PmS8_22is_equal_div_10_reduceIyEEE10hipError_tPvRmT2_T3_mT4_T5_T6_T7_T8_P12ihipStream_tbENKUlT_T0_E_clISt17integral_constantIbLb0EES11_EEDaSW_SX_EUlSW_E_NS1_11comp_targetILNS1_3genE10ELNS1_11target_archE1201ELNS1_3gpuE5ELNS1_3repE0EEENS1_30default_config_static_selectorELNS0_4arch9wavefront6targetE0EEEvT1_: ; @_ZN7rocprim17ROCPRIM_400000_NS6detail17trampoline_kernelINS0_14default_configENS1_29reduce_by_key_config_selectorIyyN6thrust23THRUST_200600_302600_NS4plusIyEEEEZZNS1_33reduce_by_key_impl_wrapped_configILNS1_25lookback_scan_determinismE0ES3_S9_NS6_6detail15normal_iteratorINS6_10device_ptrIyEEEESG_SG_SG_PmS8_22is_equal_div_10_reduceIyEEE10hipError_tPvRmT2_T3_mT4_T5_T6_T7_T8_P12ihipStream_tbENKUlT_T0_E_clISt17integral_constantIbLb0EES11_EEDaSW_SX_EUlSW_E_NS1_11comp_targetILNS1_3genE10ELNS1_11target_archE1201ELNS1_3gpuE5ELNS1_3repE0EEENS1_30default_config_static_selectorELNS0_4arch9wavefront6targetE0EEEvT1_
; %bb.0:
	.section	.rodata,"a",@progbits
	.p2align	6, 0x0
	.amdhsa_kernel _ZN7rocprim17ROCPRIM_400000_NS6detail17trampoline_kernelINS0_14default_configENS1_29reduce_by_key_config_selectorIyyN6thrust23THRUST_200600_302600_NS4plusIyEEEEZZNS1_33reduce_by_key_impl_wrapped_configILNS1_25lookback_scan_determinismE0ES3_S9_NS6_6detail15normal_iteratorINS6_10device_ptrIyEEEESG_SG_SG_PmS8_22is_equal_div_10_reduceIyEEE10hipError_tPvRmT2_T3_mT4_T5_T6_T7_T8_P12ihipStream_tbENKUlT_T0_E_clISt17integral_constantIbLb0EES11_EEDaSW_SX_EUlSW_E_NS1_11comp_targetILNS1_3genE10ELNS1_11target_archE1201ELNS1_3gpuE5ELNS1_3repE0EEENS1_30default_config_static_selectorELNS0_4arch9wavefront6targetE0EEEvT1_
		.amdhsa_group_segment_fixed_size 0
		.amdhsa_private_segment_fixed_size 0
		.amdhsa_kernarg_size 136
		.amdhsa_user_sgpr_count 15
		.amdhsa_user_sgpr_dispatch_ptr 0
		.amdhsa_user_sgpr_queue_ptr 0
		.amdhsa_user_sgpr_kernarg_segment_ptr 1
		.amdhsa_user_sgpr_dispatch_id 0
		.amdhsa_user_sgpr_private_segment_size 0
		.amdhsa_wavefront_size32 1
		.amdhsa_uses_dynamic_stack 0
		.amdhsa_enable_private_segment 0
		.amdhsa_system_sgpr_workgroup_id_x 1
		.amdhsa_system_sgpr_workgroup_id_y 0
		.amdhsa_system_sgpr_workgroup_id_z 0
		.amdhsa_system_sgpr_workgroup_info 0
		.amdhsa_system_vgpr_workitem_id 0
		.amdhsa_next_free_vgpr 1
		.amdhsa_next_free_sgpr 1
		.amdhsa_reserve_vcc 0
		.amdhsa_float_round_mode_32 0
		.amdhsa_float_round_mode_16_64 0
		.amdhsa_float_denorm_mode_32 3
		.amdhsa_float_denorm_mode_16_64 3
		.amdhsa_dx10_clamp 1
		.amdhsa_ieee_mode 1
		.amdhsa_fp16_overflow 0
		.amdhsa_workgroup_processor_mode 1
		.amdhsa_memory_ordered 1
		.amdhsa_forward_progress 0
		.amdhsa_shared_vgpr_count 0
		.amdhsa_exception_fp_ieee_invalid_op 0
		.amdhsa_exception_fp_denorm_src 0
		.amdhsa_exception_fp_ieee_div_zero 0
		.amdhsa_exception_fp_ieee_overflow 0
		.amdhsa_exception_fp_ieee_underflow 0
		.amdhsa_exception_fp_ieee_inexact 0
		.amdhsa_exception_int_div_zero 0
	.end_amdhsa_kernel
	.section	.text._ZN7rocprim17ROCPRIM_400000_NS6detail17trampoline_kernelINS0_14default_configENS1_29reduce_by_key_config_selectorIyyN6thrust23THRUST_200600_302600_NS4plusIyEEEEZZNS1_33reduce_by_key_impl_wrapped_configILNS1_25lookback_scan_determinismE0ES3_S9_NS6_6detail15normal_iteratorINS6_10device_ptrIyEEEESG_SG_SG_PmS8_22is_equal_div_10_reduceIyEEE10hipError_tPvRmT2_T3_mT4_T5_T6_T7_T8_P12ihipStream_tbENKUlT_T0_E_clISt17integral_constantIbLb0EES11_EEDaSW_SX_EUlSW_E_NS1_11comp_targetILNS1_3genE10ELNS1_11target_archE1201ELNS1_3gpuE5ELNS1_3repE0EEENS1_30default_config_static_selectorELNS0_4arch9wavefront6targetE0EEEvT1_,"axG",@progbits,_ZN7rocprim17ROCPRIM_400000_NS6detail17trampoline_kernelINS0_14default_configENS1_29reduce_by_key_config_selectorIyyN6thrust23THRUST_200600_302600_NS4plusIyEEEEZZNS1_33reduce_by_key_impl_wrapped_configILNS1_25lookback_scan_determinismE0ES3_S9_NS6_6detail15normal_iteratorINS6_10device_ptrIyEEEESG_SG_SG_PmS8_22is_equal_div_10_reduceIyEEE10hipError_tPvRmT2_T3_mT4_T5_T6_T7_T8_P12ihipStream_tbENKUlT_T0_E_clISt17integral_constantIbLb0EES11_EEDaSW_SX_EUlSW_E_NS1_11comp_targetILNS1_3genE10ELNS1_11target_archE1201ELNS1_3gpuE5ELNS1_3repE0EEENS1_30default_config_static_selectorELNS0_4arch9wavefront6targetE0EEEvT1_,comdat
.Lfunc_end282:
	.size	_ZN7rocprim17ROCPRIM_400000_NS6detail17trampoline_kernelINS0_14default_configENS1_29reduce_by_key_config_selectorIyyN6thrust23THRUST_200600_302600_NS4plusIyEEEEZZNS1_33reduce_by_key_impl_wrapped_configILNS1_25lookback_scan_determinismE0ES3_S9_NS6_6detail15normal_iteratorINS6_10device_ptrIyEEEESG_SG_SG_PmS8_22is_equal_div_10_reduceIyEEE10hipError_tPvRmT2_T3_mT4_T5_T6_T7_T8_P12ihipStream_tbENKUlT_T0_E_clISt17integral_constantIbLb0EES11_EEDaSW_SX_EUlSW_E_NS1_11comp_targetILNS1_3genE10ELNS1_11target_archE1201ELNS1_3gpuE5ELNS1_3repE0EEENS1_30default_config_static_selectorELNS0_4arch9wavefront6targetE0EEEvT1_, .Lfunc_end282-_ZN7rocprim17ROCPRIM_400000_NS6detail17trampoline_kernelINS0_14default_configENS1_29reduce_by_key_config_selectorIyyN6thrust23THRUST_200600_302600_NS4plusIyEEEEZZNS1_33reduce_by_key_impl_wrapped_configILNS1_25lookback_scan_determinismE0ES3_S9_NS6_6detail15normal_iteratorINS6_10device_ptrIyEEEESG_SG_SG_PmS8_22is_equal_div_10_reduceIyEEE10hipError_tPvRmT2_T3_mT4_T5_T6_T7_T8_P12ihipStream_tbENKUlT_T0_E_clISt17integral_constantIbLb0EES11_EEDaSW_SX_EUlSW_E_NS1_11comp_targetILNS1_3genE10ELNS1_11target_archE1201ELNS1_3gpuE5ELNS1_3repE0EEENS1_30default_config_static_selectorELNS0_4arch9wavefront6targetE0EEEvT1_
                                        ; -- End function
	.section	.AMDGPU.csdata,"",@progbits
; Kernel info:
; codeLenInByte = 0
; NumSgprs: 0
; NumVgprs: 0
; ScratchSize: 0
; MemoryBound: 0
; FloatMode: 240
; IeeeMode: 1
; LDSByteSize: 0 bytes/workgroup (compile time only)
; SGPRBlocks: 0
; VGPRBlocks: 0
; NumSGPRsForWavesPerEU: 1
; NumVGPRsForWavesPerEU: 1
; Occupancy: 16
; WaveLimiterHint : 0
; COMPUTE_PGM_RSRC2:SCRATCH_EN: 0
; COMPUTE_PGM_RSRC2:USER_SGPR: 15
; COMPUTE_PGM_RSRC2:TRAP_HANDLER: 0
; COMPUTE_PGM_RSRC2:TGID_X_EN: 1
; COMPUTE_PGM_RSRC2:TGID_Y_EN: 0
; COMPUTE_PGM_RSRC2:TGID_Z_EN: 0
; COMPUTE_PGM_RSRC2:TIDIG_COMP_CNT: 0
	.section	.text._ZN7rocprim17ROCPRIM_400000_NS6detail17trampoline_kernelINS0_14default_configENS1_29reduce_by_key_config_selectorIyyN6thrust23THRUST_200600_302600_NS4plusIyEEEEZZNS1_33reduce_by_key_impl_wrapped_configILNS1_25lookback_scan_determinismE0ES3_S9_NS6_6detail15normal_iteratorINS6_10device_ptrIyEEEESG_SG_SG_PmS8_22is_equal_div_10_reduceIyEEE10hipError_tPvRmT2_T3_mT4_T5_T6_T7_T8_P12ihipStream_tbENKUlT_T0_E_clISt17integral_constantIbLb0EES11_EEDaSW_SX_EUlSW_E_NS1_11comp_targetILNS1_3genE10ELNS1_11target_archE1200ELNS1_3gpuE4ELNS1_3repE0EEENS1_30default_config_static_selectorELNS0_4arch9wavefront6targetE0EEEvT1_,"axG",@progbits,_ZN7rocprim17ROCPRIM_400000_NS6detail17trampoline_kernelINS0_14default_configENS1_29reduce_by_key_config_selectorIyyN6thrust23THRUST_200600_302600_NS4plusIyEEEEZZNS1_33reduce_by_key_impl_wrapped_configILNS1_25lookback_scan_determinismE0ES3_S9_NS6_6detail15normal_iteratorINS6_10device_ptrIyEEEESG_SG_SG_PmS8_22is_equal_div_10_reduceIyEEE10hipError_tPvRmT2_T3_mT4_T5_T6_T7_T8_P12ihipStream_tbENKUlT_T0_E_clISt17integral_constantIbLb0EES11_EEDaSW_SX_EUlSW_E_NS1_11comp_targetILNS1_3genE10ELNS1_11target_archE1200ELNS1_3gpuE4ELNS1_3repE0EEENS1_30default_config_static_selectorELNS0_4arch9wavefront6targetE0EEEvT1_,comdat
	.protected	_ZN7rocprim17ROCPRIM_400000_NS6detail17trampoline_kernelINS0_14default_configENS1_29reduce_by_key_config_selectorIyyN6thrust23THRUST_200600_302600_NS4plusIyEEEEZZNS1_33reduce_by_key_impl_wrapped_configILNS1_25lookback_scan_determinismE0ES3_S9_NS6_6detail15normal_iteratorINS6_10device_ptrIyEEEESG_SG_SG_PmS8_22is_equal_div_10_reduceIyEEE10hipError_tPvRmT2_T3_mT4_T5_T6_T7_T8_P12ihipStream_tbENKUlT_T0_E_clISt17integral_constantIbLb0EES11_EEDaSW_SX_EUlSW_E_NS1_11comp_targetILNS1_3genE10ELNS1_11target_archE1200ELNS1_3gpuE4ELNS1_3repE0EEENS1_30default_config_static_selectorELNS0_4arch9wavefront6targetE0EEEvT1_ ; -- Begin function _ZN7rocprim17ROCPRIM_400000_NS6detail17trampoline_kernelINS0_14default_configENS1_29reduce_by_key_config_selectorIyyN6thrust23THRUST_200600_302600_NS4plusIyEEEEZZNS1_33reduce_by_key_impl_wrapped_configILNS1_25lookback_scan_determinismE0ES3_S9_NS6_6detail15normal_iteratorINS6_10device_ptrIyEEEESG_SG_SG_PmS8_22is_equal_div_10_reduceIyEEE10hipError_tPvRmT2_T3_mT4_T5_T6_T7_T8_P12ihipStream_tbENKUlT_T0_E_clISt17integral_constantIbLb0EES11_EEDaSW_SX_EUlSW_E_NS1_11comp_targetILNS1_3genE10ELNS1_11target_archE1200ELNS1_3gpuE4ELNS1_3repE0EEENS1_30default_config_static_selectorELNS0_4arch9wavefront6targetE0EEEvT1_
	.globl	_ZN7rocprim17ROCPRIM_400000_NS6detail17trampoline_kernelINS0_14default_configENS1_29reduce_by_key_config_selectorIyyN6thrust23THRUST_200600_302600_NS4plusIyEEEEZZNS1_33reduce_by_key_impl_wrapped_configILNS1_25lookback_scan_determinismE0ES3_S9_NS6_6detail15normal_iteratorINS6_10device_ptrIyEEEESG_SG_SG_PmS8_22is_equal_div_10_reduceIyEEE10hipError_tPvRmT2_T3_mT4_T5_T6_T7_T8_P12ihipStream_tbENKUlT_T0_E_clISt17integral_constantIbLb0EES11_EEDaSW_SX_EUlSW_E_NS1_11comp_targetILNS1_3genE10ELNS1_11target_archE1200ELNS1_3gpuE4ELNS1_3repE0EEENS1_30default_config_static_selectorELNS0_4arch9wavefront6targetE0EEEvT1_
	.p2align	8
	.type	_ZN7rocprim17ROCPRIM_400000_NS6detail17trampoline_kernelINS0_14default_configENS1_29reduce_by_key_config_selectorIyyN6thrust23THRUST_200600_302600_NS4plusIyEEEEZZNS1_33reduce_by_key_impl_wrapped_configILNS1_25lookback_scan_determinismE0ES3_S9_NS6_6detail15normal_iteratorINS6_10device_ptrIyEEEESG_SG_SG_PmS8_22is_equal_div_10_reduceIyEEE10hipError_tPvRmT2_T3_mT4_T5_T6_T7_T8_P12ihipStream_tbENKUlT_T0_E_clISt17integral_constantIbLb0EES11_EEDaSW_SX_EUlSW_E_NS1_11comp_targetILNS1_3genE10ELNS1_11target_archE1200ELNS1_3gpuE4ELNS1_3repE0EEENS1_30default_config_static_selectorELNS0_4arch9wavefront6targetE0EEEvT1_,@function
_ZN7rocprim17ROCPRIM_400000_NS6detail17trampoline_kernelINS0_14default_configENS1_29reduce_by_key_config_selectorIyyN6thrust23THRUST_200600_302600_NS4plusIyEEEEZZNS1_33reduce_by_key_impl_wrapped_configILNS1_25lookback_scan_determinismE0ES3_S9_NS6_6detail15normal_iteratorINS6_10device_ptrIyEEEESG_SG_SG_PmS8_22is_equal_div_10_reduceIyEEE10hipError_tPvRmT2_T3_mT4_T5_T6_T7_T8_P12ihipStream_tbENKUlT_T0_E_clISt17integral_constantIbLb0EES11_EEDaSW_SX_EUlSW_E_NS1_11comp_targetILNS1_3genE10ELNS1_11target_archE1200ELNS1_3gpuE4ELNS1_3repE0EEENS1_30default_config_static_selectorELNS0_4arch9wavefront6targetE0EEEvT1_: ; @_ZN7rocprim17ROCPRIM_400000_NS6detail17trampoline_kernelINS0_14default_configENS1_29reduce_by_key_config_selectorIyyN6thrust23THRUST_200600_302600_NS4plusIyEEEEZZNS1_33reduce_by_key_impl_wrapped_configILNS1_25lookback_scan_determinismE0ES3_S9_NS6_6detail15normal_iteratorINS6_10device_ptrIyEEEESG_SG_SG_PmS8_22is_equal_div_10_reduceIyEEE10hipError_tPvRmT2_T3_mT4_T5_T6_T7_T8_P12ihipStream_tbENKUlT_T0_E_clISt17integral_constantIbLb0EES11_EEDaSW_SX_EUlSW_E_NS1_11comp_targetILNS1_3genE10ELNS1_11target_archE1200ELNS1_3gpuE4ELNS1_3repE0EEENS1_30default_config_static_selectorELNS0_4arch9wavefront6targetE0EEEvT1_
; %bb.0:
	.section	.rodata,"a",@progbits
	.p2align	6, 0x0
	.amdhsa_kernel _ZN7rocprim17ROCPRIM_400000_NS6detail17trampoline_kernelINS0_14default_configENS1_29reduce_by_key_config_selectorIyyN6thrust23THRUST_200600_302600_NS4plusIyEEEEZZNS1_33reduce_by_key_impl_wrapped_configILNS1_25lookback_scan_determinismE0ES3_S9_NS6_6detail15normal_iteratorINS6_10device_ptrIyEEEESG_SG_SG_PmS8_22is_equal_div_10_reduceIyEEE10hipError_tPvRmT2_T3_mT4_T5_T6_T7_T8_P12ihipStream_tbENKUlT_T0_E_clISt17integral_constantIbLb0EES11_EEDaSW_SX_EUlSW_E_NS1_11comp_targetILNS1_3genE10ELNS1_11target_archE1200ELNS1_3gpuE4ELNS1_3repE0EEENS1_30default_config_static_selectorELNS0_4arch9wavefront6targetE0EEEvT1_
		.amdhsa_group_segment_fixed_size 0
		.amdhsa_private_segment_fixed_size 0
		.amdhsa_kernarg_size 136
		.amdhsa_user_sgpr_count 15
		.amdhsa_user_sgpr_dispatch_ptr 0
		.amdhsa_user_sgpr_queue_ptr 0
		.amdhsa_user_sgpr_kernarg_segment_ptr 1
		.amdhsa_user_sgpr_dispatch_id 0
		.amdhsa_user_sgpr_private_segment_size 0
		.amdhsa_wavefront_size32 1
		.amdhsa_uses_dynamic_stack 0
		.amdhsa_enable_private_segment 0
		.amdhsa_system_sgpr_workgroup_id_x 1
		.amdhsa_system_sgpr_workgroup_id_y 0
		.amdhsa_system_sgpr_workgroup_id_z 0
		.amdhsa_system_sgpr_workgroup_info 0
		.amdhsa_system_vgpr_workitem_id 0
		.amdhsa_next_free_vgpr 1
		.amdhsa_next_free_sgpr 1
		.amdhsa_reserve_vcc 0
		.amdhsa_float_round_mode_32 0
		.amdhsa_float_round_mode_16_64 0
		.amdhsa_float_denorm_mode_32 3
		.amdhsa_float_denorm_mode_16_64 3
		.amdhsa_dx10_clamp 1
		.amdhsa_ieee_mode 1
		.amdhsa_fp16_overflow 0
		.amdhsa_workgroup_processor_mode 1
		.amdhsa_memory_ordered 1
		.amdhsa_forward_progress 0
		.amdhsa_shared_vgpr_count 0
		.amdhsa_exception_fp_ieee_invalid_op 0
		.amdhsa_exception_fp_denorm_src 0
		.amdhsa_exception_fp_ieee_div_zero 0
		.amdhsa_exception_fp_ieee_overflow 0
		.amdhsa_exception_fp_ieee_underflow 0
		.amdhsa_exception_fp_ieee_inexact 0
		.amdhsa_exception_int_div_zero 0
	.end_amdhsa_kernel
	.section	.text._ZN7rocprim17ROCPRIM_400000_NS6detail17trampoline_kernelINS0_14default_configENS1_29reduce_by_key_config_selectorIyyN6thrust23THRUST_200600_302600_NS4plusIyEEEEZZNS1_33reduce_by_key_impl_wrapped_configILNS1_25lookback_scan_determinismE0ES3_S9_NS6_6detail15normal_iteratorINS6_10device_ptrIyEEEESG_SG_SG_PmS8_22is_equal_div_10_reduceIyEEE10hipError_tPvRmT2_T3_mT4_T5_T6_T7_T8_P12ihipStream_tbENKUlT_T0_E_clISt17integral_constantIbLb0EES11_EEDaSW_SX_EUlSW_E_NS1_11comp_targetILNS1_3genE10ELNS1_11target_archE1200ELNS1_3gpuE4ELNS1_3repE0EEENS1_30default_config_static_selectorELNS0_4arch9wavefront6targetE0EEEvT1_,"axG",@progbits,_ZN7rocprim17ROCPRIM_400000_NS6detail17trampoline_kernelINS0_14default_configENS1_29reduce_by_key_config_selectorIyyN6thrust23THRUST_200600_302600_NS4plusIyEEEEZZNS1_33reduce_by_key_impl_wrapped_configILNS1_25lookback_scan_determinismE0ES3_S9_NS6_6detail15normal_iteratorINS6_10device_ptrIyEEEESG_SG_SG_PmS8_22is_equal_div_10_reduceIyEEE10hipError_tPvRmT2_T3_mT4_T5_T6_T7_T8_P12ihipStream_tbENKUlT_T0_E_clISt17integral_constantIbLb0EES11_EEDaSW_SX_EUlSW_E_NS1_11comp_targetILNS1_3genE10ELNS1_11target_archE1200ELNS1_3gpuE4ELNS1_3repE0EEENS1_30default_config_static_selectorELNS0_4arch9wavefront6targetE0EEEvT1_,comdat
.Lfunc_end283:
	.size	_ZN7rocprim17ROCPRIM_400000_NS6detail17trampoline_kernelINS0_14default_configENS1_29reduce_by_key_config_selectorIyyN6thrust23THRUST_200600_302600_NS4plusIyEEEEZZNS1_33reduce_by_key_impl_wrapped_configILNS1_25lookback_scan_determinismE0ES3_S9_NS6_6detail15normal_iteratorINS6_10device_ptrIyEEEESG_SG_SG_PmS8_22is_equal_div_10_reduceIyEEE10hipError_tPvRmT2_T3_mT4_T5_T6_T7_T8_P12ihipStream_tbENKUlT_T0_E_clISt17integral_constantIbLb0EES11_EEDaSW_SX_EUlSW_E_NS1_11comp_targetILNS1_3genE10ELNS1_11target_archE1200ELNS1_3gpuE4ELNS1_3repE0EEENS1_30default_config_static_selectorELNS0_4arch9wavefront6targetE0EEEvT1_, .Lfunc_end283-_ZN7rocprim17ROCPRIM_400000_NS6detail17trampoline_kernelINS0_14default_configENS1_29reduce_by_key_config_selectorIyyN6thrust23THRUST_200600_302600_NS4plusIyEEEEZZNS1_33reduce_by_key_impl_wrapped_configILNS1_25lookback_scan_determinismE0ES3_S9_NS6_6detail15normal_iteratorINS6_10device_ptrIyEEEESG_SG_SG_PmS8_22is_equal_div_10_reduceIyEEE10hipError_tPvRmT2_T3_mT4_T5_T6_T7_T8_P12ihipStream_tbENKUlT_T0_E_clISt17integral_constantIbLb0EES11_EEDaSW_SX_EUlSW_E_NS1_11comp_targetILNS1_3genE10ELNS1_11target_archE1200ELNS1_3gpuE4ELNS1_3repE0EEENS1_30default_config_static_selectorELNS0_4arch9wavefront6targetE0EEEvT1_
                                        ; -- End function
	.section	.AMDGPU.csdata,"",@progbits
; Kernel info:
; codeLenInByte = 0
; NumSgprs: 0
; NumVgprs: 0
; ScratchSize: 0
; MemoryBound: 0
; FloatMode: 240
; IeeeMode: 1
; LDSByteSize: 0 bytes/workgroup (compile time only)
; SGPRBlocks: 0
; VGPRBlocks: 0
; NumSGPRsForWavesPerEU: 1
; NumVGPRsForWavesPerEU: 1
; Occupancy: 16
; WaveLimiterHint : 0
; COMPUTE_PGM_RSRC2:SCRATCH_EN: 0
; COMPUTE_PGM_RSRC2:USER_SGPR: 15
; COMPUTE_PGM_RSRC2:TRAP_HANDLER: 0
; COMPUTE_PGM_RSRC2:TGID_X_EN: 1
; COMPUTE_PGM_RSRC2:TGID_Y_EN: 0
; COMPUTE_PGM_RSRC2:TGID_Z_EN: 0
; COMPUTE_PGM_RSRC2:TIDIG_COMP_CNT: 0
	.section	.text._ZN7rocprim17ROCPRIM_400000_NS6detail17trampoline_kernelINS0_14default_configENS1_29reduce_by_key_config_selectorIyyN6thrust23THRUST_200600_302600_NS4plusIyEEEEZZNS1_33reduce_by_key_impl_wrapped_configILNS1_25lookback_scan_determinismE0ES3_S9_NS6_6detail15normal_iteratorINS6_10device_ptrIyEEEESG_SG_SG_PmS8_22is_equal_div_10_reduceIyEEE10hipError_tPvRmT2_T3_mT4_T5_T6_T7_T8_P12ihipStream_tbENKUlT_T0_E_clISt17integral_constantIbLb0EES11_EEDaSW_SX_EUlSW_E_NS1_11comp_targetILNS1_3genE9ELNS1_11target_archE1100ELNS1_3gpuE3ELNS1_3repE0EEENS1_30default_config_static_selectorELNS0_4arch9wavefront6targetE0EEEvT1_,"axG",@progbits,_ZN7rocprim17ROCPRIM_400000_NS6detail17trampoline_kernelINS0_14default_configENS1_29reduce_by_key_config_selectorIyyN6thrust23THRUST_200600_302600_NS4plusIyEEEEZZNS1_33reduce_by_key_impl_wrapped_configILNS1_25lookback_scan_determinismE0ES3_S9_NS6_6detail15normal_iteratorINS6_10device_ptrIyEEEESG_SG_SG_PmS8_22is_equal_div_10_reduceIyEEE10hipError_tPvRmT2_T3_mT4_T5_T6_T7_T8_P12ihipStream_tbENKUlT_T0_E_clISt17integral_constantIbLb0EES11_EEDaSW_SX_EUlSW_E_NS1_11comp_targetILNS1_3genE9ELNS1_11target_archE1100ELNS1_3gpuE3ELNS1_3repE0EEENS1_30default_config_static_selectorELNS0_4arch9wavefront6targetE0EEEvT1_,comdat
	.protected	_ZN7rocprim17ROCPRIM_400000_NS6detail17trampoline_kernelINS0_14default_configENS1_29reduce_by_key_config_selectorIyyN6thrust23THRUST_200600_302600_NS4plusIyEEEEZZNS1_33reduce_by_key_impl_wrapped_configILNS1_25lookback_scan_determinismE0ES3_S9_NS6_6detail15normal_iteratorINS6_10device_ptrIyEEEESG_SG_SG_PmS8_22is_equal_div_10_reduceIyEEE10hipError_tPvRmT2_T3_mT4_T5_T6_T7_T8_P12ihipStream_tbENKUlT_T0_E_clISt17integral_constantIbLb0EES11_EEDaSW_SX_EUlSW_E_NS1_11comp_targetILNS1_3genE9ELNS1_11target_archE1100ELNS1_3gpuE3ELNS1_3repE0EEENS1_30default_config_static_selectorELNS0_4arch9wavefront6targetE0EEEvT1_ ; -- Begin function _ZN7rocprim17ROCPRIM_400000_NS6detail17trampoline_kernelINS0_14default_configENS1_29reduce_by_key_config_selectorIyyN6thrust23THRUST_200600_302600_NS4plusIyEEEEZZNS1_33reduce_by_key_impl_wrapped_configILNS1_25lookback_scan_determinismE0ES3_S9_NS6_6detail15normal_iteratorINS6_10device_ptrIyEEEESG_SG_SG_PmS8_22is_equal_div_10_reduceIyEEE10hipError_tPvRmT2_T3_mT4_T5_T6_T7_T8_P12ihipStream_tbENKUlT_T0_E_clISt17integral_constantIbLb0EES11_EEDaSW_SX_EUlSW_E_NS1_11comp_targetILNS1_3genE9ELNS1_11target_archE1100ELNS1_3gpuE3ELNS1_3repE0EEENS1_30default_config_static_selectorELNS0_4arch9wavefront6targetE0EEEvT1_
	.globl	_ZN7rocprim17ROCPRIM_400000_NS6detail17trampoline_kernelINS0_14default_configENS1_29reduce_by_key_config_selectorIyyN6thrust23THRUST_200600_302600_NS4plusIyEEEEZZNS1_33reduce_by_key_impl_wrapped_configILNS1_25lookback_scan_determinismE0ES3_S9_NS6_6detail15normal_iteratorINS6_10device_ptrIyEEEESG_SG_SG_PmS8_22is_equal_div_10_reduceIyEEE10hipError_tPvRmT2_T3_mT4_T5_T6_T7_T8_P12ihipStream_tbENKUlT_T0_E_clISt17integral_constantIbLb0EES11_EEDaSW_SX_EUlSW_E_NS1_11comp_targetILNS1_3genE9ELNS1_11target_archE1100ELNS1_3gpuE3ELNS1_3repE0EEENS1_30default_config_static_selectorELNS0_4arch9wavefront6targetE0EEEvT1_
	.p2align	8
	.type	_ZN7rocprim17ROCPRIM_400000_NS6detail17trampoline_kernelINS0_14default_configENS1_29reduce_by_key_config_selectorIyyN6thrust23THRUST_200600_302600_NS4plusIyEEEEZZNS1_33reduce_by_key_impl_wrapped_configILNS1_25lookback_scan_determinismE0ES3_S9_NS6_6detail15normal_iteratorINS6_10device_ptrIyEEEESG_SG_SG_PmS8_22is_equal_div_10_reduceIyEEE10hipError_tPvRmT2_T3_mT4_T5_T6_T7_T8_P12ihipStream_tbENKUlT_T0_E_clISt17integral_constantIbLb0EES11_EEDaSW_SX_EUlSW_E_NS1_11comp_targetILNS1_3genE9ELNS1_11target_archE1100ELNS1_3gpuE3ELNS1_3repE0EEENS1_30default_config_static_selectorELNS0_4arch9wavefront6targetE0EEEvT1_,@function
_ZN7rocprim17ROCPRIM_400000_NS6detail17trampoline_kernelINS0_14default_configENS1_29reduce_by_key_config_selectorIyyN6thrust23THRUST_200600_302600_NS4plusIyEEEEZZNS1_33reduce_by_key_impl_wrapped_configILNS1_25lookback_scan_determinismE0ES3_S9_NS6_6detail15normal_iteratorINS6_10device_ptrIyEEEESG_SG_SG_PmS8_22is_equal_div_10_reduceIyEEE10hipError_tPvRmT2_T3_mT4_T5_T6_T7_T8_P12ihipStream_tbENKUlT_T0_E_clISt17integral_constantIbLb0EES11_EEDaSW_SX_EUlSW_E_NS1_11comp_targetILNS1_3genE9ELNS1_11target_archE1100ELNS1_3gpuE3ELNS1_3repE0EEENS1_30default_config_static_selectorELNS0_4arch9wavefront6targetE0EEEvT1_: ; @_ZN7rocprim17ROCPRIM_400000_NS6detail17trampoline_kernelINS0_14default_configENS1_29reduce_by_key_config_selectorIyyN6thrust23THRUST_200600_302600_NS4plusIyEEEEZZNS1_33reduce_by_key_impl_wrapped_configILNS1_25lookback_scan_determinismE0ES3_S9_NS6_6detail15normal_iteratorINS6_10device_ptrIyEEEESG_SG_SG_PmS8_22is_equal_div_10_reduceIyEEE10hipError_tPvRmT2_T3_mT4_T5_T6_T7_T8_P12ihipStream_tbENKUlT_T0_E_clISt17integral_constantIbLb0EES11_EEDaSW_SX_EUlSW_E_NS1_11comp_targetILNS1_3genE9ELNS1_11target_archE1100ELNS1_3gpuE3ELNS1_3repE0EEENS1_30default_config_static_selectorELNS0_4arch9wavefront6targetE0EEEvT1_
; %bb.0:
	s_clause 0x2
	s_load_b256 s[36:43], s[0:1], 0x0
	s_load_b512 s[16:31], s[0:1], 0x38
	s_load_b128 s[44:47], s[0:1], 0x20
	s_mov_b32 s3, 0
	s_mul_i32 s2, s15, 0xf00
	s_waitcnt lgkmcnt(0)
	s_lshl_b64 s[4:5], s[38:39], 3
	s_mul_i32 s6, s24, s23
	s_add_u32 s10, s36, s4
	s_mul_hi_u32 s7, s24, s22
	s_addc_u32 s11, s37, s5
	s_add_u32 s12, s40, s4
	s_mul_i32 s8, s25, s22
	s_addc_u32 s13, s41, s5
	s_add_i32 s6, s7, s6
	s_lshl_b64 s[4:5], s[2:3], 3
	s_add_i32 s6, s6, s8
	s_add_u32 s14, s10, s4
	s_addc_u32 s36, s11, s5
	s_mul_i32 s9, s24, s22
	s_add_u32 s33, s12, s4
	s_addc_u32 s38, s13, s5
	s_add_u32 s34, s9, s15
	s_addc_u32 s35, s6, 0
	s_add_u32 s4, s26, -1
	s_addc_u32 s5, s27, -1
	s_mul_i32 s27, s4, 0xfffff100
	s_cmp_eq_u64 s[34:35], s[4:5]
	s_cselect_b32 s26, -1, 0
	s_cmp_lg_u64 s[34:35], s[4:5]
	s_cselect_b32 s37, -1, 0
	s_and_b32 vcc_lo, exec_lo, s26
	s_cbranch_vccnz .LBB284_2
; %bb.1:
	v_lshlrev_b32_e32 v62, 3, v0
	s_delay_alu instid0(VALU_DEP_1) | instskip(NEXT) | instid1(VALU_DEP_1)
	v_add_co_u32 v1, s2, s14, v62
	v_add_co_ci_u32_e64 v2, null, s36, 0, s2
	v_add_co_u32 v31, s2, s33, v62
	s_delay_alu instid0(VALU_DEP_3) | instskip(NEXT) | instid1(VALU_DEP_3)
	v_add_co_u32 v3, vcc_lo, 0x1000, v1
	v_add_co_ci_u32_e32 v4, vcc_lo, 0, v2, vcc_lo
	v_add_co_u32 v5, vcc_lo, 0x2000, v1
	v_add_co_ci_u32_e32 v6, vcc_lo, 0, v2, vcc_lo
	;; [unrolled: 2-line block ×6, first 2 shown]
	s_clause 0x7
	flat_load_b64 v[9:10], v[1:2]
	flat_load_b64 v[11:12], v[1:2] offset:2048
	flat_load_b64 v[13:14], v[3:4]
	flat_load_b64 v[3:4], v[3:4] offset:2048
	flat_load_b64 v[15:16], v[5:6]
	flat_load_b64 v[5:6], v[5:6] offset:2048
	flat_load_b64 v[17:18], v[7:8]
	flat_load_b64 v[7:8], v[7:8] offset:2048
	v_add_co_u32 v1, vcc_lo, 0x7000, v1
	v_add_co_ci_u32_e32 v2, vcc_lo, 0, v2, vcc_lo
	s_clause 0x6
	flat_load_b64 v[25:26], v[19:20]
	flat_load_b64 v[19:20], v[19:20] offset:2048
	flat_load_b64 v[27:28], v[21:22]
	flat_load_b64 v[21:22], v[21:22] offset:2048
	;; [unrolled: 2-line block ×3, first 2 shown]
	flat_load_b64 v[1:2], v[1:2]
	v_add_co_ci_u32_e64 v32, null, s38, 0, s2
	v_add_co_u32 v33, vcc_lo, 0x1000, v31
	v_mad_u32_u24 v61, 0x70, v0, v62
	s_delay_alu instid0(VALU_DEP_3)
	v_add_co_ci_u32_e32 v34, vcc_lo, 0, v32, vcc_lo
	v_add_co_u32 v35, vcc_lo, 0x2000, v31
	v_add_co_ci_u32_e32 v36, vcc_lo, 0, v32, vcc_lo
	v_add_co_u32 v37, vcc_lo, 0x3000, v31
	;; [unrolled: 2-line block ×6, first 2 shown]
	v_add_co_ci_u32_e32 v46, vcc_lo, 0, v32, vcc_lo
	s_waitcnt vmcnt(13) lgkmcnt(13)
	ds_store_2addr_stride64_b64 v62, v[9:10], v[11:12] offset1:4
	s_waitcnt vmcnt(11) lgkmcnt(12)
	ds_store_2addr_stride64_b64 v62, v[13:14], v[3:4] offset0:8 offset1:12
	s_waitcnt vmcnt(9) lgkmcnt(11)
	ds_store_2addr_stride64_b64 v62, v[15:16], v[5:6] offset0:16 offset1:20
	;; [unrolled: 2-line block ×6, first 2 shown]
	s_waitcnt vmcnt(0) lgkmcnt(7)
	ds_store_b64 v62, v[1:2] offset:28672
	s_waitcnt lgkmcnt(0)
	s_barrier
	buffer_gl0_inv
	ds_load_2addr_b64 v[25:28], v61 offset1:1
	ds_load_2addr_b64 v[21:24], v61 offset0:2 offset1:3
	ds_load_2addr_b64 v[17:20], v61 offset0:4 offset1:5
	;; [unrolled: 1-line block ×6, first 2 shown]
	ds_load_b64 v[57:58], v61 offset:112
	s_waitcnt lgkmcnt(0)
	s_barrier
	buffer_gl0_inv
	s_clause 0xe
	flat_load_b64 v[29:30], v[31:32]
	flat_load_b64 v[31:32], v[31:32] offset:2048
	flat_load_b64 v[47:48], v[33:34]
	flat_load_b64 v[33:34], v[33:34] offset:2048
	;; [unrolled: 2-line block ×7, first 2 shown]
	flat_load_b64 v[45:46], v[45:46]
	s_waitcnt vmcnt(13) lgkmcnt(13)
	ds_store_2addr_stride64_b64 v62, v[29:30], v[31:32] offset1:4
	s_waitcnt vmcnt(11) lgkmcnt(12)
	ds_store_2addr_stride64_b64 v62, v[47:48], v[33:34] offset0:8 offset1:12
	s_waitcnt vmcnt(9) lgkmcnt(11)
	ds_store_2addr_stride64_b64 v62, v[49:50], v[35:36] offset0:16 offset1:20
	;; [unrolled: 2-line block ×6, first 2 shown]
	s_waitcnt vmcnt(0) lgkmcnt(7)
	ds_store_b64 v62, v[45:46] offset:28672
	s_waitcnt lgkmcnt(0)
	s_barrier
	s_load_b64 s[24:25], s[0:1], 0x78
	s_and_not1_b32 vcc_lo, exec_lo, s3
	s_add_i32 s27, s27, s28
	s_cbranch_vccz .LBB284_3
	s_branch .LBB284_50
.LBB284_2:
                                        ; implicit-def: $vgpr61
                                        ; implicit-def: $vgpr25_vgpr26
                                        ; implicit-def: $vgpr21_vgpr22
                                        ; implicit-def: $vgpr17_vgpr18
                                        ; implicit-def: $vgpr13_vgpr14
                                        ; implicit-def: $vgpr9_vgpr10
                                        ; implicit-def: $vgpr5_vgpr6
                                        ; implicit-def: $vgpr1_vgpr2
                                        ; implicit-def: $vgpr57_vgpr58
	s_load_b64 s[24:25], s[0:1], 0x78
	s_add_i32 s27, s27, s28
.LBB284_3:
	s_delay_alu instid0(SALU_CYCLE_1)
	v_cmp_gt_u32_e32 vcc_lo, s27, v0
                                        ; implicit-def: $vgpr1_vgpr2
	s_and_saveexec_b32 s0, vcc_lo
	s_cbranch_execz .LBB284_5
; %bb.4:
	v_lshlrev_b32_e32 v1, 3, v0
	s_delay_alu instid0(VALU_DEP_1) | instskip(NEXT) | instid1(VALU_DEP_1)
	v_add_co_u32 v1, s1, s14, v1
	v_add_co_ci_u32_e64 v2, null, s36, 0, s1
	flat_load_b64 v[1:2], v[1:2]
.LBB284_5:
	s_or_b32 exec_lo, exec_lo, s0
	v_or_b32_e32 v3, 0x100, v0
	s_delay_alu instid0(VALU_DEP_1) | instskip(NEXT) | instid1(VALU_DEP_1)
	v_cmp_gt_u32_e64 s0, s27, v3
                                        ; implicit-def: $vgpr3_vgpr4
	s_and_saveexec_b32 s1, s0
	s_cbranch_execz .LBB284_7
; %bb.6:
	v_lshlrev_b32_e32 v3, 3, v0
	s_delay_alu instid0(VALU_DEP_1) | instskip(NEXT) | instid1(VALU_DEP_1)
	v_add_co_u32 v3, s2, s14, v3
	v_add_co_ci_u32_e64 v4, null, s36, 0, s2
	flat_load_b64 v[3:4], v[3:4] offset:2048
.LBB284_7:
	s_or_b32 exec_lo, exec_lo, s1
	v_or_b32_e32 v5, 0x200, v0
	s_delay_alu instid0(VALU_DEP_1) | instskip(SKIP_1) | instid1(VALU_DEP_2)
	v_cmp_gt_u32_e64 s1, s27, v5
	v_lshlrev_b32_e32 v35, 3, v5
                                        ; implicit-def: $vgpr5_vgpr6
	s_and_saveexec_b32 s2, s1
	s_cbranch_execz .LBB284_9
; %bb.8:
	s_delay_alu instid0(VALU_DEP_1) | instskip(NEXT) | instid1(VALU_DEP_1)
	v_add_co_u32 v5, s3, s14, v35
	v_add_co_ci_u32_e64 v6, null, s36, 0, s3
	flat_load_b64 v[5:6], v[5:6]
.LBB284_9:
	s_or_b32 exec_lo, exec_lo, s2
	v_or_b32_e32 v7, 0x300, v0
	s_delay_alu instid0(VALU_DEP_1) | instskip(SKIP_1) | instid1(VALU_DEP_2)
	v_cmp_gt_u32_e64 s2, s27, v7
	v_lshlrev_b32_e32 v37, 3, v7
                                        ; implicit-def: $vgpr7_vgpr8
	s_and_saveexec_b32 s3, s2
	s_cbranch_execz .LBB284_11
; %bb.10:
	s_delay_alu instid0(VALU_DEP_1) | instskip(NEXT) | instid1(VALU_DEP_1)
	v_add_co_u32 v7, s4, s14, v37
	v_add_co_ci_u32_e64 v8, null, s36, 0, s4
	flat_load_b64 v[7:8], v[7:8]
.LBB284_11:
	s_or_b32 exec_lo, exec_lo, s3
	v_or_b32_e32 v9, 0x400, v0
	s_delay_alu instid0(VALU_DEP_1) | instskip(SKIP_1) | instid1(VALU_DEP_2)
	v_cmp_gt_u32_e64 s3, s27, v9
	v_lshlrev_b32_e32 v39, 3, v9
                                        ; implicit-def: $vgpr9_vgpr10
	s_and_saveexec_b32 s4, s3
	s_cbranch_execz .LBB284_13
; %bb.12:
	s_delay_alu instid0(VALU_DEP_1) | instskip(NEXT) | instid1(VALU_DEP_1)
	v_add_co_u32 v9, s5, s14, v39
	v_add_co_ci_u32_e64 v10, null, s36, 0, s5
	flat_load_b64 v[9:10], v[9:10]
.LBB284_13:
	s_or_b32 exec_lo, exec_lo, s4
	v_or_b32_e32 v11, 0x500, v0
	s_delay_alu instid0(VALU_DEP_1) | instskip(SKIP_1) | instid1(VALU_DEP_2)
	v_cmp_gt_u32_e64 s4, s27, v11
	v_lshlrev_b32_e32 v41, 3, v11
                                        ; implicit-def: $vgpr11_vgpr12
	s_and_saveexec_b32 s5, s4
	s_cbranch_execz .LBB284_15
; %bb.14:
	s_delay_alu instid0(VALU_DEP_1) | instskip(NEXT) | instid1(VALU_DEP_1)
	v_add_co_u32 v11, s6, s14, v41
	v_add_co_ci_u32_e64 v12, null, s36, 0, s6
	flat_load_b64 v[11:12], v[11:12]
.LBB284_15:
	s_or_b32 exec_lo, exec_lo, s5
	v_or_b32_e32 v13, 0x600, v0
	s_delay_alu instid0(VALU_DEP_1) | instskip(SKIP_1) | instid1(VALU_DEP_2)
	v_cmp_gt_u32_e64 s5, s27, v13
	v_lshlrev_b32_e32 v43, 3, v13
                                        ; implicit-def: $vgpr13_vgpr14
	s_and_saveexec_b32 s6, s5
	s_cbranch_execz .LBB284_17
; %bb.16:
	s_delay_alu instid0(VALU_DEP_1) | instskip(NEXT) | instid1(VALU_DEP_1)
	v_add_co_u32 v13, s7, s14, v43
	v_add_co_ci_u32_e64 v14, null, s36, 0, s7
	flat_load_b64 v[13:14], v[13:14]
.LBB284_17:
	s_or_b32 exec_lo, exec_lo, s6
	v_or_b32_e32 v15, 0x700, v0
	s_delay_alu instid0(VALU_DEP_1) | instskip(SKIP_1) | instid1(VALU_DEP_2)
	v_cmp_gt_u32_e64 s6, s27, v15
	v_lshlrev_b32_e32 v45, 3, v15
                                        ; implicit-def: $vgpr15_vgpr16
	s_and_saveexec_b32 s7, s6
	s_cbranch_execz .LBB284_19
; %bb.18:
	s_delay_alu instid0(VALU_DEP_1) | instskip(NEXT) | instid1(VALU_DEP_1)
	v_add_co_u32 v15, s8, s14, v45
	v_add_co_ci_u32_e64 v16, null, s36, 0, s8
	flat_load_b64 v[15:16], v[15:16]
.LBB284_19:
	s_or_b32 exec_lo, exec_lo, s7
	v_or_b32_e32 v17, 0x800, v0
	s_delay_alu instid0(VALU_DEP_1) | instskip(SKIP_1) | instid1(VALU_DEP_2)
	v_cmp_gt_u32_e64 s7, s27, v17
	v_lshlrev_b32_e32 v47, 3, v17
                                        ; implicit-def: $vgpr17_vgpr18
	s_and_saveexec_b32 s8, s7
	s_cbranch_execz .LBB284_21
; %bb.20:
	s_delay_alu instid0(VALU_DEP_1) | instskip(NEXT) | instid1(VALU_DEP_1)
	v_add_co_u32 v17, s9, s14, v47
	v_add_co_ci_u32_e64 v18, null, s36, 0, s9
	flat_load_b64 v[17:18], v[17:18]
.LBB284_21:
	s_or_b32 exec_lo, exec_lo, s8
	v_or_b32_e32 v19, 0x900, v0
	s_delay_alu instid0(VALU_DEP_1) | instskip(SKIP_1) | instid1(VALU_DEP_2)
	v_cmp_gt_u32_e64 s8, s27, v19
	v_lshlrev_b32_e32 v49, 3, v19
                                        ; implicit-def: $vgpr19_vgpr20
	s_and_saveexec_b32 s9, s8
	s_cbranch_execz .LBB284_23
; %bb.22:
	s_delay_alu instid0(VALU_DEP_1) | instskip(NEXT) | instid1(VALU_DEP_1)
	v_add_co_u32 v19, s10, s14, v49
	v_add_co_ci_u32_e64 v20, null, s36, 0, s10
	flat_load_b64 v[19:20], v[19:20]
.LBB284_23:
	s_or_b32 exec_lo, exec_lo, s9
	v_or_b32_e32 v21, 0xa00, v0
	s_delay_alu instid0(VALU_DEP_1) | instskip(SKIP_1) | instid1(VALU_DEP_2)
	v_cmp_gt_u32_e64 s9, s27, v21
	v_lshlrev_b32_e32 v51, 3, v21
                                        ; implicit-def: $vgpr21_vgpr22
	s_and_saveexec_b32 s10, s9
	s_cbranch_execz .LBB284_25
; %bb.24:
	s_delay_alu instid0(VALU_DEP_1) | instskip(NEXT) | instid1(VALU_DEP_1)
	v_add_co_u32 v21, s11, s14, v51
	v_add_co_ci_u32_e64 v22, null, s36, 0, s11
	flat_load_b64 v[21:22], v[21:22]
.LBB284_25:
	s_or_b32 exec_lo, exec_lo, s10
	v_or_b32_e32 v23, 0xb00, v0
	s_delay_alu instid0(VALU_DEP_1) | instskip(SKIP_1) | instid1(VALU_DEP_2)
	v_cmp_gt_u32_e64 s10, s27, v23
	v_lshlrev_b32_e32 v53, 3, v23
                                        ; implicit-def: $vgpr23_vgpr24
	s_and_saveexec_b32 s11, s10
	s_cbranch_execz .LBB284_27
; %bb.26:
	s_delay_alu instid0(VALU_DEP_1) | instskip(NEXT) | instid1(VALU_DEP_1)
	v_add_co_u32 v23, s12, s14, v53
	v_add_co_ci_u32_e64 v24, null, s36, 0, s12
	flat_load_b64 v[23:24], v[23:24]
.LBB284_27:
	s_or_b32 exec_lo, exec_lo, s11
	v_or_b32_e32 v25, 0xc00, v0
	s_delay_alu instid0(VALU_DEP_1) | instskip(SKIP_1) | instid1(VALU_DEP_2)
	v_cmp_gt_u32_e64 s11, s27, v25
	v_lshlrev_b32_e32 v55, 3, v25
                                        ; implicit-def: $vgpr25_vgpr26
	s_and_saveexec_b32 s12, s11
	s_cbranch_execz .LBB284_29
; %bb.28:
	s_delay_alu instid0(VALU_DEP_1) | instskip(NEXT) | instid1(VALU_DEP_1)
	v_add_co_u32 v25, s13, s14, v55
	v_add_co_ci_u32_e64 v26, null, s36, 0, s13
	flat_load_b64 v[25:26], v[25:26]
.LBB284_29:
	s_or_b32 exec_lo, exec_lo, s12
	v_or_b32_e32 v27, 0xd00, v0
	s_delay_alu instid0(VALU_DEP_1) | instskip(SKIP_1) | instid1(VALU_DEP_2)
	v_cmp_gt_u32_e64 s12, s27, v27
	v_lshlrev_b32_e32 v59, 3, v27
                                        ; implicit-def: $vgpr27_vgpr28
	s_and_saveexec_b32 s13, s12
	s_cbranch_execz .LBB284_31
; %bb.30:
	s_delay_alu instid0(VALU_DEP_1) | instskip(NEXT) | instid1(VALU_DEP_1)
	v_add_co_u32 v27, s39, s14, v59
	v_add_co_ci_u32_e64 v28, null, s36, 0, s39
	flat_load_b64 v[27:28], v[27:28]
.LBB284_31:
	s_or_b32 exec_lo, exec_lo, s13
	v_or_b32_e32 v29, 0xe00, v0
	s_delay_alu instid0(VALU_DEP_1) | instskip(SKIP_1) | instid1(VALU_DEP_2)
	v_cmp_gt_u32_e64 s13, s27, v29
	v_lshlrev_b32_e32 v63, 3, v29
                                        ; implicit-def: $vgpr29_vgpr30
	s_and_saveexec_b32 s39, s13
	s_cbranch_execz .LBB284_33
; %bb.32:
	s_delay_alu instid0(VALU_DEP_1) | instskip(NEXT) | instid1(VALU_DEP_1)
	v_add_co_u32 v29, s40, s14, v63
	v_add_co_ci_u32_e64 v30, null, s36, 0, s40
	flat_load_b64 v[29:30], v[29:30]
.LBB284_33:
	s_or_b32 exec_lo, exec_lo, s39
	v_lshlrev_b32_e32 v62, 3, v0
	s_waitcnt vmcnt(0) lgkmcnt(0)
	ds_store_2addr_stride64_b64 v62, v[1:2], v[3:4] offset1:4
	ds_store_2addr_stride64_b64 v62, v[5:6], v[7:8] offset0:8 offset1:12
	ds_store_2addr_stride64_b64 v62, v[9:10], v[11:12] offset0:16 offset1:20
	;; [unrolled: 1-line block ×6, first 2 shown]
	v_mad_u32_u24 v61, 0x70, v0, v62
	ds_store_b64 v62, v[29:30] offset:28672
	s_waitcnt lgkmcnt(0)
	s_barrier
	buffer_gl0_inv
	ds_load_2addr_b64 v[25:28], v61 offset1:1
	ds_load_2addr_b64 v[21:24], v61 offset0:2 offset1:3
	ds_load_2addr_b64 v[17:20], v61 offset0:4 offset1:5
	;; [unrolled: 1-line block ×6, first 2 shown]
	ds_load_b64 v[57:58], v61 offset:112
	s_waitcnt lgkmcnt(0)
	s_barrier
	buffer_gl0_inv
                                        ; implicit-def: $vgpr29_vgpr30
	s_and_saveexec_b32 s39, vcc_lo
	s_cbranch_execnz .LBB284_57
; %bb.34:
	s_or_b32 exec_lo, exec_lo, s39
                                        ; implicit-def: $vgpr31_vgpr32
	s_and_saveexec_b32 s39, s0
	s_cbranch_execnz .LBB284_58
.LBB284_35:
	s_or_b32 exec_lo, exec_lo, s39
                                        ; implicit-def: $vgpr33_vgpr34
	s_and_saveexec_b32 s0, s1
	s_cbranch_execnz .LBB284_59
.LBB284_36:
	s_or_b32 exec_lo, exec_lo, s0
                                        ; implicit-def: $vgpr35_vgpr36
	s_and_saveexec_b32 s0, s2
	s_cbranch_execnz .LBB284_60
.LBB284_37:
	s_or_b32 exec_lo, exec_lo, s0
                                        ; implicit-def: $vgpr37_vgpr38
	s_and_saveexec_b32 s0, s3
	s_cbranch_execnz .LBB284_61
.LBB284_38:
	s_or_b32 exec_lo, exec_lo, s0
                                        ; implicit-def: $vgpr39_vgpr40
	s_and_saveexec_b32 s0, s4
	s_cbranch_execnz .LBB284_62
.LBB284_39:
	s_or_b32 exec_lo, exec_lo, s0
                                        ; implicit-def: $vgpr41_vgpr42
	s_and_saveexec_b32 s0, s5
	s_cbranch_execnz .LBB284_63
.LBB284_40:
	s_or_b32 exec_lo, exec_lo, s0
                                        ; implicit-def: $vgpr43_vgpr44
	s_and_saveexec_b32 s0, s6
	s_cbranch_execnz .LBB284_64
.LBB284_41:
	s_or_b32 exec_lo, exec_lo, s0
                                        ; implicit-def: $vgpr45_vgpr46
	s_and_saveexec_b32 s0, s7
	s_cbranch_execnz .LBB284_65
.LBB284_42:
	s_or_b32 exec_lo, exec_lo, s0
                                        ; implicit-def: $vgpr47_vgpr48
	s_and_saveexec_b32 s0, s8
	s_cbranch_execnz .LBB284_66
.LBB284_43:
	s_or_b32 exec_lo, exec_lo, s0
                                        ; implicit-def: $vgpr49_vgpr50
	s_and_saveexec_b32 s0, s9
	s_cbranch_execnz .LBB284_67
.LBB284_44:
	s_or_b32 exec_lo, exec_lo, s0
                                        ; implicit-def: $vgpr51_vgpr52
	s_and_saveexec_b32 s0, s10
	s_cbranch_execnz .LBB284_68
.LBB284_45:
	s_or_b32 exec_lo, exec_lo, s0
                                        ; implicit-def: $vgpr53_vgpr54
	s_and_saveexec_b32 s0, s11
	s_cbranch_execnz .LBB284_69
.LBB284_46:
	s_or_b32 exec_lo, exec_lo, s0
                                        ; implicit-def: $vgpr55_vgpr56
	s_and_saveexec_b32 s0, s12
	s_cbranch_execnz .LBB284_70
.LBB284_47:
	s_or_b32 exec_lo, exec_lo, s0
                                        ; implicit-def: $vgpr59_vgpr60
	s_and_saveexec_b32 s0, s13
	s_cbranch_execz .LBB284_49
.LBB284_48:
	v_add_co_u32 v59, s1, s33, v63
	s_delay_alu instid0(VALU_DEP_1)
	v_add_co_ci_u32_e64 v60, null, s38, 0, s1
	flat_load_b64 v[59:60], v[59:60]
.LBB284_49:
	s_or_b32 exec_lo, exec_lo, s0
	s_waitcnt vmcnt(0) lgkmcnt(0)
	ds_store_2addr_stride64_b64 v62, v[29:30], v[31:32] offset1:4
	ds_store_2addr_stride64_b64 v62, v[33:34], v[35:36] offset0:8 offset1:12
	ds_store_2addr_stride64_b64 v62, v[37:38], v[39:40] offset0:16 offset1:20
	;; [unrolled: 1-line block ×6, first 2 shown]
	ds_store_b64 v62, v[59:60] offset:28672
	s_waitcnt lgkmcnt(0)
	s_barrier
.LBB284_50:
	s_waitcnt lgkmcnt(0)
	buffer_gl0_inv
	ds_load_2addr_b64 v[53:56], v61 offset1:1
	ds_load_2addr_b64 v[49:52], v61 offset0:2 offset1:3
	ds_load_2addr_b64 v[45:48], v61 offset0:4 offset1:5
	;; [unrolled: 1-line block ×6, first 2 shown]
	ds_load_b64 v[73:74], v61 offset:112
	s_cmp_eq_u64 s[34:35], 0
	s_waitcnt lgkmcnt(0)
	s_cselect_b32 s33, -1, 0
	s_cmp_lg_u64 s[34:35], 0
	s_barrier
	s_cselect_b32 s38, -1, 0
	s_and_b32 vcc_lo, exec_lo, s37
	buffer_gl0_inv
	s_cbranch_vccz .LBB284_56
; %bb.51:
	s_and_b32 vcc_lo, exec_lo, s38
	s_cbranch_vccz .LBB284_71
; %bb.52:
	v_add_co_u32 v59, s0, -8, s14
	s_delay_alu instid0(VALU_DEP_1)
	v_add_co_ci_u32_e64 v60, null, -1, s36, s0
	v_mul_hi_i32 v61, 0x66666667, v3
	v_mul_hi_i32 v62, 0x66666667, v57
	;; [unrolled: 1-line block ×3, first 2 shown]
	flat_load_b64 v[59:60], v[59:60]
	v_mul_hi_i32 v67, 0x66666667, v7
	v_mul_hi_i32 v68, 0x66666667, v5
	;; [unrolled: 1-line block ×3, first 2 shown]
	s_waitcnt vmcnt(0) lgkmcnt(0)
	v_lshlrev_b32_e32 v60, 3, v0
	v_lshrrev_b32_e32 v64, 31, v61
	v_ashrrev_i32_e32 v61, 2, v61
	v_lshrrev_b32_e32 v65, 31, v62
	v_ashrrev_i32_e32 v62, 2, v62
	;; [unrolled: 2-line block ×3, first 2 shown]
	v_add_nc_u32_e32 v61, v61, v64
	v_mul_hi_i32 v64, 0x66666667, v11
	v_add_nc_u32_e32 v62, v62, v65
	v_lshrrev_b32_e32 v65, 31, v67
	v_add_nc_u32_e32 v63, v63, v66
	v_ashrrev_i32_e32 v66, 2, v67
	v_lshrrev_b32_e32 v67, 31, v68
	v_ashrrev_i32_e32 v68, 2, v68
	v_cmp_ne_u32_e32 vcc_lo, v61, v62
	v_lshrrev_b32_e32 v70, 31, v64
	v_ashrrev_i32_e32 v64, 2, v64
	v_cmp_ne_u32_e64 s0, v63, v61
	v_add_nc_u32_e32 v61, v66, v65
	v_add_nc_u32_e32 v62, v68, v67
	v_mul_hi_i32 v66, 0x66666667, v15
	v_mul_hi_i32 v68, 0x66666667, v13
	v_add_nc_u32_e32 v64, v64, v70
	v_lshrrev_b32_e32 v65, 31, v69
	v_ashrrev_i32_e32 v67, 2, v69
	v_cmp_ne_u32_e64 s1, v61, v63
	v_mul_hi_i32 v63, 0x66666667, v19
	v_cmp_ne_u32_e64 s2, v62, v61
	v_cmp_ne_u32_e64 s3, v64, v62
	v_add_nc_u32_e32 v61, v67, v65
	v_lshrrev_b32_e32 v62, 31, v66
	v_ashrrev_i32_e32 v65, 2, v66
	v_lshrrev_b32_e32 v66, 31, v68
	v_ashrrev_i32_e32 v67, 2, v68
	;; [unrolled: 2-line block ×3, first 2 shown]
	v_add_nc_u32_e32 v62, v65, v62
	v_cmp_ne_u32_e64 s4, v61, v64
	v_add_nc_u32_e32 v64, v67, v66
	v_mul_hi_i32 v65, 0x66666667, v17
	v_add_nc_u32_e32 v66, v63, v68
	v_cmp_ne_u32_e64 s5, v62, v61
	v_mul_hi_i32 v61, 0x66666667, v23
	v_cmp_ne_u32_e64 s6, v64, v62
	v_mul_hi_i32 v62, 0x66666667, v21
	v_mul_hi_i32 v63, 0x66666667, v27
	;; [unrolled: 1-line block ×3, first 2 shown]
	v_cmp_ne_u32_e64 s7, v66, v64
	v_lshrrev_b32_e32 v64, 31, v65
	v_ashrrev_i32_e32 v65, 2, v65
	v_lshrrev_b32_e32 v68, 31, v61
	v_ashrrev_i32_e32 v61, 2, v61
	;; [unrolled: 2-line block ×5, first 2 shown]
	v_add_nc_u32_e32 v64, v65, v64
	v_add_nc_u32_e32 v61, v61, v68
	;; [unrolled: 1-line block ×5, first 2 shown]
	v_cmp_ne_u32_e64 s12, v64, v66
	v_cmp_ne_u32_e64 s8, v61, v64
	;; [unrolled: 1-line block ×5, first 2 shown]
	s_mov_b32 s37, -1
	s_mov_b32 s39, 0
	s_mov_b32 s40, exec_lo
	ds_store_b64 v60, v[57:58]
	s_waitcnt lgkmcnt(0)
	s_barrier
	buffer_gl0_inv
	v_cmpx_ne_u32_e32 0, v0
	s_cbranch_execz .LBB284_54
; %bb.53:
	v_add_nc_u32_e32 v59, -8, v60
	ds_load_b64 v[59:60], v59
.LBB284_54:
	s_or_b32 exec_lo, exec_lo, s40
	s_waitcnt lgkmcnt(0)
	v_mul_hi_i32 v59, 0x66666667, v59
	v_cndmask_b32_e64 v111, 0, 1, vcc_lo
	v_cndmask_b32_e64 v76, 0, 1, s0
	v_cndmask_b32_e64 v112, 0, 1, s1
	;; [unrolled: 1-line block ×6, first 2 shown]
	v_lshrrev_b32_e32 v64, 31, v59
	v_ashrrev_i32_e32 v59, 2, v59
	v_cndmask_b32_e64 v66, 0, 1, s6
	v_cndmask_b32_e64 v65, 0, 1, s7
	;; [unrolled: 1-line block ×4, first 2 shown]
	v_add_nc_u32_e32 v59, v59, v64
	v_cndmask_b32_e64 v70, 0, 1, s9
	v_cndmask_b32_e64 v69, 0, 1, s10
	;; [unrolled: 1-line block ×3, first 2 shown]
	s_delay_alu instid0(VALU_DEP_4)
	v_cmp_ne_u32_e64 s2, v59, v63
	s_and_b32 vcc_lo, exec_lo, s39
	s_cbranch_vccnz .LBB284_72
.LBB284_55:
                                        ; implicit-def: $sgpr0
	s_branch .LBB284_75
.LBB284_56:
	s_mov_b32 s37, 0
                                        ; implicit-def: $sgpr2
                                        ; implicit-def: $vgpr111
                                        ; implicit-def: $vgpr76
                                        ; implicit-def: $vgpr112
                                        ; implicit-def: $vgpr60
                                        ; implicit-def: $vgpr113
                                        ; implicit-def: $vgpr62
                                        ; implicit-def: $vgpr61
                                        ; implicit-def: $vgpr66
                                        ; implicit-def: $vgpr65
                                        ; implicit-def: $vgpr68
                                        ; implicit-def: $vgpr67
                                        ; implicit-def: $vgpr70
                                        ; implicit-def: $vgpr69
                                        ; implicit-def: $vgpr72
                                        ; implicit-def: $vgpr64
                                        ; implicit-def: $sgpr0
	s_cbranch_execnz .LBB284_76
	s_branch .LBB284_111
.LBB284_57:
	v_add_co_u32 v29, s40, s33, v62
	s_delay_alu instid0(VALU_DEP_1)
	v_add_co_ci_u32_e64 v30, null, s38, 0, s40
	flat_load_b64 v[29:30], v[29:30]
	s_or_b32 exec_lo, exec_lo, s39
                                        ; implicit-def: $vgpr31_vgpr32
	s_and_saveexec_b32 s39, s0
	s_cbranch_execz .LBB284_35
.LBB284_58:
	v_add_co_u32 v31, s0, s33, v62
	s_delay_alu instid0(VALU_DEP_1)
	v_add_co_ci_u32_e64 v32, null, s38, 0, s0
	flat_load_b64 v[31:32], v[31:32] offset:2048
	s_or_b32 exec_lo, exec_lo, s39
                                        ; implicit-def: $vgpr33_vgpr34
	s_and_saveexec_b32 s0, s1
	s_cbranch_execz .LBB284_36
.LBB284_59:
	v_add_co_u32 v33, s1, s33, v35
	s_delay_alu instid0(VALU_DEP_1)
	v_add_co_ci_u32_e64 v34, null, s38, 0, s1
	flat_load_b64 v[33:34], v[33:34]
	s_or_b32 exec_lo, exec_lo, s0
                                        ; implicit-def: $vgpr35_vgpr36
	s_and_saveexec_b32 s0, s2
	s_cbranch_execz .LBB284_37
.LBB284_60:
	v_add_co_u32 v35, s1, s33, v37
	s_delay_alu instid0(VALU_DEP_1)
	v_add_co_ci_u32_e64 v36, null, s38, 0, s1
	flat_load_b64 v[35:36], v[35:36]
	s_or_b32 exec_lo, exec_lo, s0
                                        ; implicit-def: $vgpr37_vgpr38
	s_and_saveexec_b32 s0, s3
	s_cbranch_execz .LBB284_38
.LBB284_61:
	v_add_co_u32 v37, s1, s33, v39
	s_delay_alu instid0(VALU_DEP_1)
	v_add_co_ci_u32_e64 v38, null, s38, 0, s1
	flat_load_b64 v[37:38], v[37:38]
	s_or_b32 exec_lo, exec_lo, s0
                                        ; implicit-def: $vgpr39_vgpr40
	s_and_saveexec_b32 s0, s4
	s_cbranch_execz .LBB284_39
.LBB284_62:
	v_add_co_u32 v39, s1, s33, v41
	s_delay_alu instid0(VALU_DEP_1)
	v_add_co_ci_u32_e64 v40, null, s38, 0, s1
	flat_load_b64 v[39:40], v[39:40]
	s_or_b32 exec_lo, exec_lo, s0
                                        ; implicit-def: $vgpr41_vgpr42
	s_and_saveexec_b32 s0, s5
	s_cbranch_execz .LBB284_40
.LBB284_63:
	v_add_co_u32 v41, s1, s33, v43
	s_delay_alu instid0(VALU_DEP_1)
	v_add_co_ci_u32_e64 v42, null, s38, 0, s1
	flat_load_b64 v[41:42], v[41:42]
	s_or_b32 exec_lo, exec_lo, s0
                                        ; implicit-def: $vgpr43_vgpr44
	s_and_saveexec_b32 s0, s6
	s_cbranch_execz .LBB284_41
.LBB284_64:
	v_add_co_u32 v43, s1, s33, v45
	s_delay_alu instid0(VALU_DEP_1)
	v_add_co_ci_u32_e64 v44, null, s38, 0, s1
	flat_load_b64 v[43:44], v[43:44]
	s_or_b32 exec_lo, exec_lo, s0
                                        ; implicit-def: $vgpr45_vgpr46
	s_and_saveexec_b32 s0, s7
	s_cbranch_execz .LBB284_42
.LBB284_65:
	v_add_co_u32 v45, s1, s33, v47
	s_delay_alu instid0(VALU_DEP_1)
	v_add_co_ci_u32_e64 v46, null, s38, 0, s1
	flat_load_b64 v[45:46], v[45:46]
	s_or_b32 exec_lo, exec_lo, s0
                                        ; implicit-def: $vgpr47_vgpr48
	s_and_saveexec_b32 s0, s8
	s_cbranch_execz .LBB284_43
.LBB284_66:
	v_add_co_u32 v47, s1, s33, v49
	s_delay_alu instid0(VALU_DEP_1)
	v_add_co_ci_u32_e64 v48, null, s38, 0, s1
	flat_load_b64 v[47:48], v[47:48]
	s_or_b32 exec_lo, exec_lo, s0
                                        ; implicit-def: $vgpr49_vgpr50
	s_and_saveexec_b32 s0, s9
	s_cbranch_execz .LBB284_44
.LBB284_67:
	v_add_co_u32 v49, s1, s33, v51
	s_delay_alu instid0(VALU_DEP_1)
	v_add_co_ci_u32_e64 v50, null, s38, 0, s1
	flat_load_b64 v[49:50], v[49:50]
	s_or_b32 exec_lo, exec_lo, s0
                                        ; implicit-def: $vgpr51_vgpr52
	s_and_saveexec_b32 s0, s10
	s_cbranch_execz .LBB284_45
.LBB284_68:
	v_add_co_u32 v51, s1, s33, v53
	s_delay_alu instid0(VALU_DEP_1)
	v_add_co_ci_u32_e64 v52, null, s38, 0, s1
	flat_load_b64 v[51:52], v[51:52]
	s_or_b32 exec_lo, exec_lo, s0
                                        ; implicit-def: $vgpr53_vgpr54
	s_and_saveexec_b32 s0, s11
	s_cbranch_execz .LBB284_46
.LBB284_69:
	v_add_co_u32 v53, s1, s33, v55
	s_delay_alu instid0(VALU_DEP_1)
	v_add_co_ci_u32_e64 v54, null, s38, 0, s1
	flat_load_b64 v[53:54], v[53:54]
	s_or_b32 exec_lo, exec_lo, s0
                                        ; implicit-def: $vgpr55_vgpr56
	s_and_saveexec_b32 s0, s12
	s_cbranch_execz .LBB284_47
.LBB284_70:
	v_add_co_u32 v55, s1, s33, v59
	s_delay_alu instid0(VALU_DEP_1)
	v_add_co_ci_u32_e64 v56, null, s38, 0, s1
	flat_load_b64 v[55:56], v[55:56]
	s_or_b32 exec_lo, exec_lo, s0
                                        ; implicit-def: $vgpr59_vgpr60
	s_and_saveexec_b32 s0, s13
	s_cbranch_execnz .LBB284_48
	s_branch .LBB284_49
.LBB284_71:
	s_mov_b32 s37, 0
                                        ; implicit-def: $sgpr2
                                        ; implicit-def: $vgpr111
                                        ; implicit-def: $vgpr76
                                        ; implicit-def: $vgpr112
                                        ; implicit-def: $vgpr60
                                        ; implicit-def: $vgpr113
                                        ; implicit-def: $vgpr62
                                        ; implicit-def: $vgpr61
                                        ; implicit-def: $vgpr66
                                        ; implicit-def: $vgpr65
                                        ; implicit-def: $vgpr68
                                        ; implicit-def: $vgpr67
                                        ; implicit-def: $vgpr70
                                        ; implicit-def: $vgpr69
                                        ; implicit-def: $vgpr72
	s_cbranch_execz .LBB284_55
.LBB284_72:
	v_mul_hi_i32 v59, 0x66666667, v3
	v_mul_hi_i32 v60, 0x66666667, v57
	;; [unrolled: 1-line block ×8, first 2 shown]
	v_lshrrev_b32_e32 v64, 31, v59
	v_ashrrev_i32_e32 v65, 2, v59
	v_lshrrev_b32_e32 v66, 31, v60
	v_ashrrev_i32_e32 v60, 2, v60
	;; [unrolled: 2-line block ×3, first 2 shown]
	v_add_nc_u32_e32 v64, v65, v64
	v_lshrrev_b32_e32 v65, 31, v62
	v_add_nc_u32_e32 v60, v60, v66
	v_ashrrev_i32_e32 v62, 2, v62
	v_add_nc_u32_e32 v61, v61, v67
	v_mul_hi_i32 v67, 0x66666667, v11
	v_lshrrev_b32_e32 v66, 31, v63
	v_cmp_ne_u32_e32 vcc_lo, v64, v60
	v_ashrrev_i32_e32 v63, 2, v63
	v_add_nc_u32_e32 v60, v62, v65
	v_lshrrev_b32_e32 v65, 31, v68
	v_lshrrev_b32_e32 v75, 31, v70
	v_cndmask_b32_e64 v111, 0, 1, vcc_lo
	v_cmp_ne_u32_e32 vcc_lo, v61, v64
	v_add_nc_u32_e32 v62, v63, v66
	v_lshrrev_b32_e32 v63, 31, v67
	v_ashrrev_i32_e32 v64, 2, v67
	v_ashrrev_i32_e32 v66, 2, v68
	v_cndmask_b32_e64 v76, 0, 1, vcc_lo
	v_cmp_ne_u32_e32 vcc_lo, v60, v61
	v_mul_hi_i32 v67, 0x66666667, v15
	v_mul_hi_i32 v68, 0x66666667, v13
	v_add_nc_u32_e32 v61, v64, v63
	v_add_nc_u32_e32 v63, v66, v65
	v_cndmask_b32_e64 v112, 0, 1, vcc_lo
	v_cmp_ne_u32_e32 vcc_lo, v62, v60
	v_ashrrev_i32_e32 v70, 2, v70
	v_lshlrev_b32_e32 v59, 3, v0
	v_lshrrev_b32_e32 v64, 31, v67
	v_ashrrev_i32_e32 v65, 2, v67
	v_lshrrev_b32_e32 v66, 31, v68
	v_ashrrev_i32_e32 v67, 2, v68
	v_mul_hi_i32 v68, 0x66666667, v19
	v_cndmask_b32_e64 v60, 0, 1, vcc_lo
	v_cmp_ne_u32_e32 vcc_lo, v61, v62
	v_add_nc_u32_e32 v64, v65, v64
	v_add_nc_u32_e32 v65, v67, v66
	s_mov_b32 s0, exec_lo
	ds_store_b64 v59, v[57:58]
	v_cndmask_b32_e64 v113, 0, 1, vcc_lo
	v_cmp_ne_u32_e32 vcc_lo, v63, v61
	v_lshrrev_b32_e32 v66, 31, v68
	v_ashrrev_i32_e32 v67, 2, v68
	v_lshrrev_b32_e32 v68, 31, v69
	v_ashrrev_i32_e32 v69, 2, v69
	v_cndmask_b32_e64 v62, 0, 1, vcc_lo
	v_cmp_ne_u32_e32 vcc_lo, v64, v63
	v_add_nc_u32_e32 v63, v67, v66
	v_mul_hi_i32 v67, 0x66666667, v23
	s_waitcnt lgkmcnt(0)
	s_barrier
	v_cndmask_b32_e64 v61, 0, 1, vcc_lo
	v_cmp_ne_u32_e32 vcc_lo, v65, v64
	v_add_nc_u32_e32 v64, v69, v68
	v_mul_hi_i32 v69, 0x66666667, v21
	buffer_gl0_inv
	v_lshrrev_b32_e32 v71, 31, v67
	v_cndmask_b32_e64 v66, 0, 1, vcc_lo
	v_cmp_ne_u32_e32 vcc_lo, v63, v65
	v_ashrrev_i32_e32 v67, 2, v67
                                        ; implicit-def: $sgpr2
	v_lshrrev_b32_e32 v72, 31, v69
	v_cndmask_b32_e64 v65, 0, 1, vcc_lo
	v_cmp_ne_u32_e32 vcc_lo, v64, v63
	v_ashrrev_i32_e32 v69, 2, v69
	v_add_nc_u32_e32 v71, v67, v71
	v_mul_hi_i32 v63, 0x66666667, v25
	v_cndmask_b32_e64 v68, 0, 1, vcc_lo
	s_delay_alu instid0(VALU_DEP_4) | instskip(NEXT) | instid1(VALU_DEP_4)
	v_add_nc_u32_e32 v69, v69, v72
	v_cmp_ne_u32_e32 vcc_lo, v71, v64
	v_add_nc_u32_e32 v72, v70, v75
	v_lshrrev_b32_e32 v77, 31, v63
	v_ashrrev_i32_e32 v63, 2, v63
	v_cndmask_b32_e64 v67, 0, 1, vcc_lo
	v_cmp_ne_u32_e32 vcc_lo, v69, v71
	s_delay_alu instid0(VALU_DEP_3) | instskip(SKIP_3) | instid1(VALU_DEP_4)
	v_add_nc_u32_e32 v63, v63, v77
	v_cndmask_b32_e64 v70, 0, 1, vcc_lo
	v_cmp_ne_u32_e32 vcc_lo, v72, v69
	v_cndmask_b32_e64 v69, 0, 1, vcc_lo
	v_cmp_ne_u32_e32 vcc_lo, v63, v72
	v_cndmask_b32_e64 v72, 0, 1, vcc_lo
	v_cmpx_ne_u32_e32 0, v0
	s_xor_b32 s0, exec_lo, s0
	s_cbranch_execz .LBB284_74
; %bb.73:
	v_add_nc_u32_e32 v59, -8, v59
	s_or_b32 s37, s37, exec_lo
	ds_load_b32 v59, v59
	s_waitcnt lgkmcnt(0)
	v_mul_hi_i32 v59, 0x66666667, v59
	s_delay_alu instid0(VALU_DEP_1) | instskip(SKIP_1) | instid1(VALU_DEP_1)
	v_lshrrev_b32_e32 v64, 31, v59
	v_ashrrev_i32_e32 v59, 2, v59
	v_add_nc_u32_e32 v59, v59, v64
	s_delay_alu instid0(VALU_DEP_1)
	v_cmp_ne_u32_e32 vcc_lo, v59, v63
	s_and_b32 s2, vcc_lo, exec_lo
.LBB284_74:
	s_or_b32 exec_lo, exec_lo, s0
	s_mov_b32 s0, 1
.LBB284_75:
	v_mov_b32_e32 v64, v76
	s_branch .LBB284_111
.LBB284_76:
	s_mul_hi_u32 s0, s34, 0xfffff100
	s_mul_i32 s1, s35, 0xfffff100
	s_sub_i32 s0, s0, s34
	s_mul_i32 s2, s34, 0xfffff100
	v_mul_u32_u24_e32 v77, 15, v0
	v_mad_u32_u24 v63, v0, 15, 14
	s_add_i32 s1, s0, s1
	s_add_u32 s0, s2, s28
	s_addc_u32 s1, s1, s29
	s_and_b32 vcc_lo, exec_lo, s38
	s_cbranch_vccz .LBB284_244
; %bb.77:
	v_add_co_u32 v59, s2, -8, s14
	s_delay_alu instid0(VALU_DEP_1)
	v_add_co_ci_u32_e64 v60, null, -1, s36, s2
	v_dual_mov_b32 v76, 0 :: v_dual_mov_b32 v111, 0
	v_lshlrev_b32_e32 v78, 3, v0
	flat_load_b64 v[79:80], v[59:60]
	s_mov_b32 s2, exec_lo
	v_mov_b32_e32 v64, v76
	ds_store_b64 v78, v[57:58]
	v_cmpx_gt_u64_e64 s[0:1], v[63:64]
; %bb.78:
	v_mul_hi_i32 v59, 0x66666667, v3
	v_mul_hi_i32 v60, 0x66666667, v57
	s_delay_alu instid0(VALU_DEP_2) | instskip(SKIP_1) | instid1(VALU_DEP_3)
	v_lshrrev_b32_e32 v61, 31, v59
	v_ashrrev_i32_e32 v59, 2, v59
	v_lshrrev_b32_e32 v62, 31, v60
	v_ashrrev_i32_e32 v60, 2, v60
	s_delay_alu instid0(VALU_DEP_3) | instskip(NEXT) | instid1(VALU_DEP_2)
	v_add_nc_u32_e32 v59, v59, v61
	v_add_nc_u32_e32 v60, v60, v62
	s_delay_alu instid0(VALU_DEP_1)
	v_cmp_ne_u32_e32 vcc_lo, v59, v60
	v_cndmask_b32_e64 v111, 0, 1, vcc_lo
; %bb.79:
	s_or_b32 exec_lo, exec_lo, s2
	v_add_nc_u32_e32 v75, 13, v77
	s_mov_b32 s2, exec_lo
	s_delay_alu instid0(VALU_DEP_1)
	v_cmpx_gt_u64_e64 s[0:1], v[75:76]
; %bb.80:
	v_mul_hi_i32 v59, 0x66666667, v1
	v_mul_hi_i32 v60, 0x66666667, v3
	s_delay_alu instid0(VALU_DEP_2) | instskip(SKIP_1) | instid1(VALU_DEP_3)
	v_lshrrev_b32_e32 v61, 31, v59
	v_ashrrev_i32_e32 v59, 2, v59
	v_lshrrev_b32_e32 v62, 31, v60
	v_ashrrev_i32_e32 v60, 2, v60
	s_delay_alu instid0(VALU_DEP_3) | instskip(NEXT) | instid1(VALU_DEP_2)
	v_add_nc_u32_e32 v59, v59, v61
	v_add_nc_u32_e32 v60, v60, v62
	s_delay_alu instid0(VALU_DEP_1)
	v_cmp_ne_u32_e32 vcc_lo, v59, v60
	v_cndmask_b32_e64 v76, 0, 1, vcc_lo
; %bb.81:
	s_or_b32 exec_lo, exec_lo, s2
	v_dual_mov_b32 v60, 0 :: v_dual_add_nc_u32 v59, 12, v77
	v_mov_b32_e32 v112, 0
	s_mov_b32 s2, exec_lo
	s_delay_alu instid0(VALU_DEP_2)
	v_cmpx_gt_u64_e64 s[0:1], v[59:60]
; %bb.82:
	v_mul_hi_i32 v59, 0x66666667, v7
	v_mul_hi_i32 v61, 0x66666667, v1
	s_delay_alu instid0(VALU_DEP_2) | instskip(SKIP_1) | instid1(VALU_DEP_3)
	v_lshrrev_b32_e32 v62, 31, v59
	v_ashrrev_i32_e32 v59, 2, v59
	v_lshrrev_b32_e32 v64, 31, v61
	v_ashrrev_i32_e32 v61, 2, v61
	s_delay_alu instid0(VALU_DEP_3) | instskip(NEXT) | instid1(VALU_DEP_2)
	v_add_nc_u32_e32 v59, v59, v62
	v_add_nc_u32_e32 v61, v61, v64
	s_delay_alu instid0(VALU_DEP_1)
	v_cmp_ne_u32_e32 vcc_lo, v59, v61
	v_cndmask_b32_e64 v112, 0, 1, vcc_lo
; %bb.83:
	s_or_b32 exec_lo, exec_lo, s2
	v_add_nc_u32_e32 v59, 11, v77
	s_mov_b32 s2, exec_lo
	s_delay_alu instid0(VALU_DEP_1)
	v_cmpx_gt_u64_e64 s[0:1], v[59:60]
; %bb.84:
	v_mul_hi_i32 v59, 0x66666667, v5
	v_mul_hi_i32 v60, 0x66666667, v7
	s_delay_alu instid0(VALU_DEP_2) | instskip(SKIP_1) | instid1(VALU_DEP_3)
	v_lshrrev_b32_e32 v61, 31, v59
	v_ashrrev_i32_e32 v59, 2, v59
	v_lshrrev_b32_e32 v62, 31, v60
	v_ashrrev_i32_e32 v60, 2, v60
	s_delay_alu instid0(VALU_DEP_3) | instskip(NEXT) | instid1(VALU_DEP_2)
	v_add_nc_u32_e32 v59, v59, v61
	v_add_nc_u32_e32 v60, v60, v62
	s_delay_alu instid0(VALU_DEP_1)
	v_cmp_ne_u32_e32 vcc_lo, v59, v60
	v_cndmask_b32_e64 v60, 0, 1, vcc_lo
; %bb.85:
	s_or_b32 exec_lo, exec_lo, s2
	v_dual_mov_b32 v62, 0 :: v_dual_add_nc_u32 v61, 10, v77
	v_mov_b32_e32 v113, 0
	s_mov_b32 s2, exec_lo
	s_delay_alu instid0(VALU_DEP_2)
	;; [unrolled: 41-line block ×6, first 2 shown]
	v_cmpx_gt_u64_e64 s[0:1], v[71:72]
; %bb.102:
	v_mul_hi_i32 v59, 0x66666667, v27
	v_mul_hi_i32 v64, 0x66666667, v21
	s_delay_alu instid0(VALU_DEP_2) | instskip(SKIP_1) | instid1(VALU_DEP_3)
	v_lshrrev_b32_e32 v69, 31, v59
	v_ashrrev_i32_e32 v59, 2, v59
	v_lshrrev_b32_e32 v71, 31, v64
	v_ashrrev_i32_e32 v64, 2, v64
	s_delay_alu instid0(VALU_DEP_3) | instskip(NEXT) | instid1(VALU_DEP_2)
	v_add_nc_u32_e32 v59, v59, v69
	v_add_nc_u32_e32 v64, v64, v71
	s_delay_alu instid0(VALU_DEP_1)
	v_cmp_ne_u32_e32 vcc_lo, v59, v64
	v_cndmask_b32_e64 v69, 0, 1, vcc_lo
; %bb.103:
	s_or_b32 exec_lo, exec_lo, s2
	v_add_nc_u32_e32 v71, 1, v77
	s_mov_b32 s2, exec_lo
	s_delay_alu instid0(VALU_DEP_1)
	v_cmpx_gt_u64_e64 s[0:1], v[71:72]
; %bb.104:
	v_mul_hi_i32 v59, 0x66666667, v25
	v_mul_hi_i32 v64, 0x66666667, v27
	s_delay_alu instid0(VALU_DEP_2) | instskip(SKIP_1) | instid1(VALU_DEP_3)
	v_lshrrev_b32_e32 v71, 31, v59
	v_ashrrev_i32_e32 v59, 2, v59
	v_lshrrev_b32_e32 v72, 31, v64
	v_ashrrev_i32_e32 v64, 2, v64
	s_delay_alu instid0(VALU_DEP_3) | instskip(NEXT) | instid1(VALU_DEP_2)
	v_add_nc_u32_e32 v59, v59, v71
	v_add_nc_u32_e32 v64, v64, v72
	s_delay_alu instid0(VALU_DEP_1)
	v_cmp_ne_u32_e32 vcc_lo, v59, v64
	v_cndmask_b32_e64 v72, 0, 1, vcc_lo
; %bb.105:
	s_or_b32 exec_lo, exec_lo, s2
	s_mov_b32 s2, 0
	s_mov_b32 s3, exec_lo
	s_waitcnt vmcnt(0) lgkmcnt(0)
	s_barrier
	buffer_gl0_inv
	v_cmpx_ne_u32_e32 0, v0
	s_cbranch_execz .LBB284_107
; %bb.106:
	v_add_nc_u32_e32 v59, -8, v78
	ds_load_b64 v[79:80], v59
.LBB284_107:
	s_or_b32 exec_lo, exec_lo, s3
	v_mov_b32_e32 v78, 0
	s_mov_b32 s3, exec_lo
	s_delay_alu instid0(VALU_DEP_1)
	v_cmpx_gt_u64_e64 s[0:1], v[77:78]
	s_cbranch_execz .LBB284_109
; %bb.108:
	s_waitcnt lgkmcnt(0)
	v_mul_hi_i32 v59, 0x66666667, v79
	v_mul_hi_i32 v64, 0x66666667, v25
	s_delay_alu instid0(VALU_DEP_2) | instskip(SKIP_1) | instid1(VALU_DEP_3)
	v_lshrrev_b32_e32 v71, 31, v59
	v_ashrrev_i32_e32 v59, 2, v59
	v_lshrrev_b32_e32 v75, 31, v64
	v_ashrrev_i32_e32 v64, 2, v64
	s_delay_alu instid0(VALU_DEP_3) | instskip(NEXT) | instid1(VALU_DEP_2)
	v_add_nc_u32_e32 v59, v59, v71
	v_add_nc_u32_e32 v64, v64, v75
	s_delay_alu instid0(VALU_DEP_1)
	v_cmp_ne_u32_e32 vcc_lo, v59, v64
	s_and_b32 s2, vcc_lo, exec_lo
.LBB284_109:
	s_or_b32 exec_lo, exec_lo, s3
	s_mov_b32 s37, -1
.LBB284_110:
                                        ; implicit-def: $vgpr64
                                        ; implicit-def: $sgpr0
.LBB284_111:
	v_mov_b32_e32 v63, s0
	s_and_saveexec_b32 s0, s37
.LBB284_112:
	v_cndmask_b32_e64 v63, 0, 1, s2
	v_mov_b32_e32 v64, v76
.LBB284_113:
	s_or_b32 exec_lo, exec_lo, s0
	s_delay_alu instid0(VALU_DEP_1)
	v_add3_u32 v59, v72, v63, v69
	v_dual_mov_b32 v107, v53 :: v_dual_mov_b32 v108, v54
	v_cmp_eq_u32_e64 s12, 0, v72
	v_cmp_eq_u32_e64 s11, 0, v69
	;; [unrolled: 1-line block ×3, first 2 shown]
	v_add3_u32 v115, v59, v70, v67
	v_cmp_eq_u32_e64 s9, 0, v67
	v_cmp_eq_u32_e64 s8, 0, v68
	;; [unrolled: 1-line block ×10, first 2 shown]
	v_cmp_eq_u32_e32 vcc_lo, 0, v111
	v_mbcnt_lo_u32_b32 v114, -1, 0
	s_cmp_eq_u64 s[22:23], 0
	s_cselect_b32 s14, -1, 0
	s_cmp_lg_u32 s15, 0
	s_cbranch_scc0 .LBB284_176
; %bb.114:
	v_cndmask_b32_e64 v59, 0, v53, s12
	v_cndmask_b32_e64 v71, 0, v54, s12
	v_add3_u32 v75, v115, v68, v65
	s_delay_alu instid0(VALU_DEP_3) | instskip(NEXT) | instid1(VALU_DEP_1)
	v_add_co_u32 v59, s13, v59, v55
	v_add_co_ci_u32_e64 v71, s13, v71, v56, s13
	s_delay_alu instid0(VALU_DEP_3) | instskip(NEXT) | instid1(VALU_DEP_3)
	v_add3_u32 v75, v75, v66, v61
	v_cndmask_b32_e64 v59, 0, v59, s11
	s_delay_alu instid0(VALU_DEP_3) | instskip(NEXT) | instid1(VALU_DEP_3)
	v_cndmask_b32_e64 v71, 0, v71, s11
	v_add3_u32 v75, v75, v62, v113
	s_delay_alu instid0(VALU_DEP_3) | instskip(NEXT) | instid1(VALU_DEP_1)
	v_add_co_u32 v59, s13, v59, v49
	v_add_co_ci_u32_e64 v71, s13, v71, v50, s13
	s_delay_alu instid0(VALU_DEP_3) | instskip(NEXT) | instid1(VALU_DEP_3)
	v_add3_u32 v75, v75, v60, v112
	v_cndmask_b32_e64 v59, 0, v59, s10
	s_delay_alu instid0(VALU_DEP_3) | instskip(NEXT) | instid1(VALU_DEP_2)
	v_cndmask_b32_e64 v71, 0, v71, s10
	v_add_co_u32 v59, s13, v59, v51
	s_delay_alu instid0(VALU_DEP_1) | instskip(NEXT) | instid1(VALU_DEP_2)
	v_add_co_ci_u32_e64 v71, s13, v71, v52, s13
	v_cndmask_b32_e64 v59, 0, v59, s9
	s_delay_alu instid0(VALU_DEP_2) | instskip(NEXT) | instid1(VALU_DEP_2)
	v_cndmask_b32_e64 v71, 0, v71, s9
	v_add_co_u32 v59, s13, v59, v45
	s_delay_alu instid0(VALU_DEP_1) | instskip(NEXT) | instid1(VALU_DEP_2)
	v_add_co_ci_u32_e64 v71, s13, v71, v46, s13
	v_cndmask_b32_e64 v59, 0, v59, s8
	s_delay_alu instid0(VALU_DEP_2) | instskip(NEXT) | instid1(VALU_DEP_2)
	;; [unrolled: 6-line block ×10, first 2 shown]
	v_cndmask_b32_e64 v71, 0, v71, s0
	v_add_co_u32 v59, s13, v59, v31
	s_delay_alu instid0(VALU_DEP_1) | instskip(SKIP_1) | instid1(VALU_DEP_2)
	v_add_co_ci_u32_e64 v71, s13, v71, v32, s13
	s_mov_b32 s13, exec_lo
	v_cndmask_b32_e32 v59, 0, v59, vcc_lo
	s_delay_alu instid0(VALU_DEP_2) | instskip(SKIP_1) | instid1(VALU_DEP_3)
	v_cndmask_b32_e32 v76, 0, v71, vcc_lo
	v_add3_u32 v71, v75, v64, v111
	v_add_co_u32 v77, vcc_lo, v59, v73
	v_and_b32_e32 v59, 15, v114
	s_delay_alu instid0(VALU_DEP_4) | instskip(NEXT) | instid1(VALU_DEP_4)
	v_add_co_ci_u32_e32 v78, vcc_lo, v76, v74, vcc_lo
	v_mov_b32_dpp v75, v71 row_shr:1 row_mask:0xf bank_mask:0xf
	s_delay_alu instid0(VALU_DEP_4) | instskip(SKIP_1) | instid1(VALU_DEP_3)
	v_mov_b32_dpp v76, v77 row_shr:1 row_mask:0xf bank_mask:0xf
	s_waitcnt lgkmcnt(0)
	v_mov_b32_dpp v79, v78 row_shr:1 row_mask:0xf bank_mask:0xf
	v_cmpx_ne_u32_e32 0, v59
; %bb.115:
	v_cmp_eq_u32_e32 vcc_lo, 0, v71
	v_add_nc_u32_e32 v71, v75, v71
	s_delay_alu instid0(VALU_DEP_4) | instskip(NEXT) | instid1(VALU_DEP_1)
	v_dual_cndmask_b32 v79, 0, v79 :: v_dual_cndmask_b32 v76, 0, v76
	v_add_co_u32 v77, vcc_lo, v76, v77
	s_delay_alu instid0(VALU_DEP_2)
	v_add_co_ci_u32_e32 v78, vcc_lo, v79, v78, vcc_lo
; %bb.116:
	s_or_b32 exec_lo, exec_lo, s13
	v_mov_b32_dpp v75, v71 row_shr:2 row_mask:0xf bank_mask:0xf
	s_delay_alu instid0(VALU_DEP_3) | instskip(NEXT) | instid1(VALU_DEP_3)
	v_mov_b32_dpp v76, v77 row_shr:2 row_mask:0xf bank_mask:0xf
	v_mov_b32_dpp v79, v78 row_shr:2 row_mask:0xf bank_mask:0xf
	s_mov_b32 s13, exec_lo
	v_cmpx_lt_u32_e32 1, v59
; %bb.117:
	v_cmp_eq_u32_e32 vcc_lo, 0, v71
	v_add_nc_u32_e32 v71, v75, v71
	v_dual_cndmask_b32 v79, 0, v79 :: v_dual_cndmask_b32 v76, 0, v76
	s_delay_alu instid0(VALU_DEP_1) | instskip(NEXT) | instid1(VALU_DEP_2)
	v_add_co_u32 v77, vcc_lo, v76, v77
	v_add_co_ci_u32_e32 v78, vcc_lo, v79, v78, vcc_lo
; %bb.118:
	s_or_b32 exec_lo, exec_lo, s13
	v_mov_b32_dpp v75, v71 row_shr:4 row_mask:0xf bank_mask:0xf
	s_delay_alu instid0(VALU_DEP_3) | instskip(NEXT) | instid1(VALU_DEP_3)
	v_mov_b32_dpp v76, v77 row_shr:4 row_mask:0xf bank_mask:0xf
	v_mov_b32_dpp v79, v78 row_shr:4 row_mask:0xf bank_mask:0xf
	s_mov_b32 s13, exec_lo
	v_cmpx_lt_u32_e32 3, v59
; %bb.119:
	v_cmp_eq_u32_e32 vcc_lo, 0, v71
	v_add_nc_u32_e32 v71, v75, v71
	v_dual_cndmask_b32 v79, 0, v79 :: v_dual_cndmask_b32 v76, 0, v76
	s_delay_alu instid0(VALU_DEP_1) | instskip(NEXT) | instid1(VALU_DEP_2)
	v_add_co_u32 v77, vcc_lo, v76, v77
	;; [unrolled: 15-line block ×3, first 2 shown]
	v_add_co_ci_u32_e32 v78, vcc_lo, v59, v78, vcc_lo
; %bb.122:
	s_or_b32 exec_lo, exec_lo, s13
	ds_swizzle_b32 v59, v71 offset:swizzle(BROADCAST,32,15)
	ds_swizzle_b32 v75, v77 offset:swizzle(BROADCAST,32,15)
	;; [unrolled: 1-line block ×3, first 2 shown]
	v_and_b32_e32 v79, 16, v114
	s_mov_b32 s13, exec_lo
	s_delay_alu instid0(VALU_DEP_1)
	v_cmpx_ne_u32_e32 0, v79
	s_cbranch_execz .LBB284_124
; %bb.123:
	v_cmp_eq_u32_e32 vcc_lo, 0, v71
	s_waitcnt lgkmcnt(0)
	v_dual_cndmask_b32 v76, 0, v76 :: v_dual_add_nc_u32 v71, v59, v71
	v_cndmask_b32_e32 v75, 0, v75, vcc_lo
	s_delay_alu instid0(VALU_DEP_1) | instskip(NEXT) | instid1(VALU_DEP_3)
	v_add_co_u32 v77, vcc_lo, v75, v77
	v_add_co_ci_u32_e32 v78, vcc_lo, v76, v78, vcc_lo
.LBB284_124:
	s_or_b32 exec_lo, exec_lo, s13
	s_waitcnt lgkmcnt(1)
	v_lshrrev_b32_e32 v75, 5, v0
	v_or_b32_e32 v59, 31, v0
	s_mov_b32 s13, exec_lo
	s_delay_alu instid0(VALU_DEP_2) | instskip(NEXT) | instid1(VALU_DEP_2)
	v_lshlrev_b32_e32 v79, 4, v75
	v_cmpx_eq_u32_e64 v59, v0
	s_cbranch_execz .LBB284_126
; %bb.125:
	ds_store_b32 v79, v71 offset:4128
	ds_store_b64 v79, v[77:78] offset:4136
.LBB284_126:
	s_or_b32 exec_lo, exec_lo, s13
	s_delay_alu instid0(SALU_CYCLE_1)
	s_mov_b32 s13, exec_lo
	s_waitcnt lgkmcnt(0)
	s_barrier
	buffer_gl0_inv
	v_cmpx_gt_u32_e32 8, v0
	s_cbranch_execz .LBB284_134
; %bb.127:
	v_lshlrev_b32_e32 v59, 4, v0
	v_and_b32_e32 v81, 7, v114
	s_mov_b32 s22, exec_lo
	ds_load_b32 v80, v59 offset:4128
	ds_load_b64 v[75:76], v59 offset:4136
	s_waitcnt lgkmcnt(1)
	v_mov_b32_dpp v82, v80 row_shr:1 row_mask:0xf bank_mask:0xf
	s_waitcnt lgkmcnt(0)
	v_mov_b32_dpp v83, v75 row_shr:1 row_mask:0xf bank_mask:0xf
	v_mov_b32_dpp v84, v76 row_shr:1 row_mask:0xf bank_mask:0xf
	v_cmpx_ne_u32_e32 0, v81
; %bb.128:
	v_cmp_eq_u32_e32 vcc_lo, 0, v80
	v_add_nc_u32_e32 v80, v82, v80
	s_delay_alu instid0(VALU_DEP_4) | instskip(NEXT) | instid1(VALU_DEP_1)
	v_dual_cndmask_b32 v84, 0, v84 :: v_dual_cndmask_b32 v83, 0, v83
	v_add_co_u32 v75, vcc_lo, v83, v75
	s_delay_alu instid0(VALU_DEP_2)
	v_add_co_ci_u32_e32 v76, vcc_lo, v84, v76, vcc_lo
; %bb.129:
	s_or_b32 exec_lo, exec_lo, s22
	v_mov_b32_dpp v82, v80 row_shr:2 row_mask:0xf bank_mask:0xf
	s_delay_alu instid0(VALU_DEP_3) | instskip(NEXT) | instid1(VALU_DEP_3)
	v_mov_b32_dpp v83, v75 row_shr:2 row_mask:0xf bank_mask:0xf
	v_mov_b32_dpp v84, v76 row_shr:2 row_mask:0xf bank_mask:0xf
	s_mov_b32 s22, exec_lo
	v_cmpx_lt_u32_e32 1, v81
; %bb.130:
	v_cmp_eq_u32_e32 vcc_lo, 0, v80
	v_add_nc_u32_e32 v80, v82, v80
	v_dual_cndmask_b32 v84, 0, v84 :: v_dual_cndmask_b32 v83, 0, v83
	s_delay_alu instid0(VALU_DEP_1) | instskip(NEXT) | instid1(VALU_DEP_2)
	v_add_co_u32 v75, vcc_lo, v83, v75
	v_add_co_ci_u32_e32 v76, vcc_lo, v84, v76, vcc_lo
; %bb.131:
	s_or_b32 exec_lo, exec_lo, s22
	v_mov_b32_dpp v82, v80 row_shr:4 row_mask:0xf bank_mask:0xf
	s_delay_alu instid0(VALU_DEP_3) | instskip(NEXT) | instid1(VALU_DEP_3)
	v_mov_b32_dpp v83, v75 row_shr:4 row_mask:0xf bank_mask:0xf
	v_mov_b32_dpp v84, v76 row_shr:4 row_mask:0xf bank_mask:0xf
	s_mov_b32 s22, exec_lo
	v_cmpx_lt_u32_e32 3, v81
; %bb.132:
	v_cmp_eq_u32_e32 vcc_lo, 0, v80
	v_dual_cndmask_b32 v83, 0, v83 :: v_dual_add_nc_u32 v80, v82, v80
	v_cndmask_b32_e32 v81, 0, v84, vcc_lo
	s_delay_alu instid0(VALU_DEP_2) | instskip(NEXT) | instid1(VALU_DEP_2)
	v_add_co_u32 v75, vcc_lo, v83, v75
	v_add_co_ci_u32_e32 v76, vcc_lo, v81, v76, vcc_lo
; %bb.133:
	s_or_b32 exec_lo, exec_lo, s22
	ds_store_b32 v59, v80 offset:4128
	ds_store_b64 v59, v[75:76] offset:4136
.LBB284_134:
	s_or_b32 exec_lo, exec_lo, s13
	v_mov_b32_e32 v75, 0
	v_cmp_gt_u32_e32 vcc_lo, 32, v0
	v_dual_mov_b32 v76, 0 :: v_dual_mov_b32 v59, 0
	s_mov_b32 s22, exec_lo
	s_waitcnt lgkmcnt(0)
	s_barrier
	buffer_gl0_inv
	v_cmpx_lt_u32_e32 31, v0
	s_cbranch_execz .LBB284_136
; %bb.135:
	ds_load_b64 v[75:76], v79 offset:4120
	ds_load_b32 v59, v79 offset:4112
	v_cmp_eq_u32_e64 s13, 0, v71
	s_waitcnt lgkmcnt(1)
	s_delay_alu instid0(VALU_DEP_1) | instskip(SKIP_3) | instid1(VALU_DEP_3)
	v_cndmask_b32_e64 v80, 0, v75, s13
	v_cndmask_b32_e64 v79, 0, v76, s13
	s_waitcnt lgkmcnt(0)
	v_add_nc_u32_e32 v71, v59, v71
	v_add_co_u32 v77, s13, v80, v77
	s_delay_alu instid0(VALU_DEP_1)
	v_add_co_ci_u32_e64 v78, s13, v79, v78, s13
.LBB284_136:
	s_or_b32 exec_lo, exec_lo, s22
	v_add_nc_u32_e32 v79, -1, v114
	s_delay_alu instid0(VALU_DEP_1) | instskip(NEXT) | instid1(VALU_DEP_1)
	v_cmp_gt_i32_e64 s13, 0, v79
	v_cndmask_b32_e64 v79, v79, v114, s13
	v_cmp_eq_u32_e64 s13, 0, v114
	s_delay_alu instid0(VALU_DEP_2)
	v_lshlrev_b32_e32 v79, 2, v79
	ds_bpermute_b32 v86, v79, v71
	ds_bpermute_b32 v85, v79, v77
	;; [unrolled: 1-line block ×3, first 2 shown]
	s_and_saveexec_b32 s22, vcc_lo
	s_cbranch_execz .LBB284_175
; %bb.137:
	v_mov_b32_e32 v81, 0
	ds_load_b32 v87, v81 offset:4240
	ds_load_b64 v[77:78], v81 offset:4248
	s_and_saveexec_b32 s23, s13
	s_cbranch_execz .LBB284_139
; %bb.138:
	s_add_i32 s28, s15, 32
	s_mov_b32 s29, 0
	v_dual_mov_b32 v79, s28 :: v_dual_mov_b32 v80, 1
	s_lshl_b64 s[34:35], s[28:29], 4
	s_delay_alu instid0(SALU_CYCLE_1)
	s_add_u32 s28, s16, s34
	s_addc_u32 s29, s17, s35
	s_waitcnt lgkmcnt(1)
	global_store_b32 v81, v87, s[28:29]
	s_waitcnt lgkmcnt(0)
	global_store_b64 v81, v[77:78], s[28:29] offset:8
	s_waitcnt_vscnt null, 0x0
	buffer_gl1_inv
	buffer_gl0_inv
	global_store_b8 v79, v80, s[20:21]
.LBB284_139:
	s_or_b32 exec_lo, exec_lo, s23
	v_xad_u32 v79, v114, -1, s15
	s_mov_b32 s28, 0
	s_mov_b32 s23, exec_lo
	s_delay_alu instid0(VALU_DEP_1)
	v_add_nc_u32_e32 v80, 32, v79
	global_load_u8 v88, v80, s[20:21] glc
	s_waitcnt vmcnt(0)
	v_cmpx_eq_u16_e32 0, v88
	s_cbranch_execz .LBB284_143
; %bb.140:
	v_add_co_u32 v82, s29, s20, v80
	s_delay_alu instid0(VALU_DEP_1)
	v_add_co_ci_u32_e64 v83, null, s21, 0, s29
.LBB284_141:                            ; =>This Inner Loop Header: Depth=1
	global_load_u8 v88, v[82:83], off glc
	s_waitcnt vmcnt(0)
	v_cmp_ne_u16_e32 vcc_lo, 0, v88
	s_or_b32 s28, vcc_lo, s28
	s_delay_alu instid0(SALU_CYCLE_1)
	s_and_not1_b32 exec_lo, exec_lo, s28
	s_cbranch_execnz .LBB284_141
; %bb.142:
	s_or_b32 exec_lo, exec_lo, s28
.LBB284_143:
	s_delay_alu instid0(SALU_CYCLE_1)
	s_or_b32 exec_lo, exec_lo, s23
	v_dual_mov_b32 v82, s17 :: v_dual_mov_b32 v83, s16
	v_cmp_eq_u16_e32 vcc_lo, 1, v88
	v_lshlrev_b64 v[80:81], 4, v[80:81]
	s_waitcnt lgkmcnt(0)
	s_waitcnt_vscnt null, 0x0
	buffer_gl1_inv
	buffer_gl0_inv
	v_lshlrev_b32_e64 v90, v114, -1
	s_mov_b32 s23, exec_lo
	v_cndmask_b32_e32 v83, s18, v83, vcc_lo
	v_cndmask_b32_e32 v82, s19, v82, vcc_lo
	s_delay_alu instid0(VALU_DEP_2) | instskip(NEXT) | instid1(VALU_DEP_2)
	v_add_co_u32 v80, vcc_lo, v83, v80
	v_add_co_ci_u32_e32 v81, vcc_lo, v82, v81, vcc_lo
	v_cmp_ne_u32_e32 vcc_lo, 31, v114
	s_clause 0x1
	global_load_b32 v100, v[80:81], off
	global_load_b64 v[83:84], v[80:81], off offset:8
	v_add_co_ci_u32_e32 v80, vcc_lo, 0, v114, vcc_lo
	v_cmp_eq_u16_e32 vcc_lo, 2, v88
	s_delay_alu instid0(VALU_DEP_2) | instskip(SKIP_1) | instid1(VALU_DEP_1)
	v_lshlrev_b32_e32 v89, 2, v80
	v_and_or_b32 v80, vcc_lo, v90, 0x80000000
	v_ctz_i32_b32_e32 v80, v80
	s_waitcnt vmcnt(1)
	ds_bpermute_b32 v81, v89, v100
	s_waitcnt vmcnt(0)
	ds_bpermute_b32 v82, v89, v83
	ds_bpermute_b32 v91, v89, v84
	v_cmpx_lt_u32_e64 v114, v80
	s_cbranch_execz .LBB284_145
; %bb.144:
	v_cmp_eq_u32_e32 vcc_lo, 0, v100
	s_waitcnt lgkmcnt(0)
	v_dual_cndmask_b32 v91, 0, v91 :: v_dual_add_nc_u32 v100, v81, v100
	v_cndmask_b32_e32 v82, 0, v82, vcc_lo
	s_delay_alu instid0(VALU_DEP_1) | instskip(NEXT) | instid1(VALU_DEP_3)
	v_add_co_u32 v83, vcc_lo, v82, v83
	v_add_co_ci_u32_e32 v84, vcc_lo, v91, v84, vcc_lo
.LBB284_145:
	s_or_b32 exec_lo, exec_lo, s23
	v_cmp_gt_u32_e32 vcc_lo, 30, v114
	v_add_nc_u32_e32 v92, 2, v114
	s_mov_b32 s23, exec_lo
	s_waitcnt lgkmcnt(2)
	v_cndmask_b32_e64 v81, 0, 1, vcc_lo
	s_delay_alu instid0(VALU_DEP_1) | instskip(SKIP_1) | instid1(VALU_DEP_1)
	v_lshlrev_b32_e32 v81, 1, v81
	s_waitcnt lgkmcnt(0)
	v_add_lshl_u32 v91, v81, v114, 2
	ds_bpermute_b32 v81, v91, v100
	ds_bpermute_b32 v82, v91, v83
	ds_bpermute_b32 v93, v91, v84
	v_cmpx_le_u32_e64 v92, v80
	s_cbranch_execz .LBB284_147
; %bb.146:
	v_cmp_eq_u32_e32 vcc_lo, 0, v100
	s_waitcnt lgkmcnt(0)
	v_dual_cndmask_b32 v93, 0, v93 :: v_dual_add_nc_u32 v100, v81, v100
	v_cndmask_b32_e32 v82, 0, v82, vcc_lo
	s_delay_alu instid0(VALU_DEP_1) | instskip(NEXT) | instid1(VALU_DEP_3)
	v_add_co_u32 v83, vcc_lo, v82, v83
	v_add_co_ci_u32_e32 v84, vcc_lo, v93, v84, vcc_lo
.LBB284_147:
	s_or_b32 exec_lo, exec_lo, s23
	v_cmp_gt_u32_e32 vcc_lo, 28, v114
	v_add_nc_u32_e32 v94, 4, v114
	s_mov_b32 s23, exec_lo
	s_waitcnt lgkmcnt(2)
	v_cndmask_b32_e64 v81, 0, 1, vcc_lo
	s_delay_alu instid0(VALU_DEP_1) | instskip(SKIP_1) | instid1(VALU_DEP_1)
	v_lshlrev_b32_e32 v81, 2, v81
	s_waitcnt lgkmcnt(0)
	v_add_lshl_u32 v93, v81, v114, 2
	ds_bpermute_b32 v81, v93, v100
	ds_bpermute_b32 v82, v93, v83
	ds_bpermute_b32 v95, v93, v84
	v_cmpx_le_u32_e64 v94, v80
	s_cbranch_execz .LBB284_149
; %bb.148:
	v_cmp_eq_u32_e32 vcc_lo, 0, v100
	s_waitcnt lgkmcnt(0)
	v_dual_cndmask_b32 v95, 0, v95 :: v_dual_add_nc_u32 v100, v81, v100
	v_cndmask_b32_e32 v82, 0, v82, vcc_lo
	s_delay_alu instid0(VALU_DEP_1) | instskip(NEXT) | instid1(VALU_DEP_3)
	v_add_co_u32 v83, vcc_lo, v82, v83
	v_add_co_ci_u32_e32 v84, vcc_lo, v95, v84, vcc_lo
.LBB284_149:
	s_or_b32 exec_lo, exec_lo, s23
	v_cmp_gt_u32_e32 vcc_lo, 24, v114
	v_add_nc_u32_e32 v96, 8, v114
	s_mov_b32 s23, exec_lo
	s_waitcnt lgkmcnt(2)
	v_cndmask_b32_e64 v81, 0, 1, vcc_lo
	s_delay_alu instid0(VALU_DEP_1) | instskip(SKIP_1) | instid1(VALU_DEP_1)
	v_lshlrev_b32_e32 v81, 3, v81
	s_waitcnt lgkmcnt(0)
	v_add_lshl_u32 v95, v81, v114, 2
	ds_bpermute_b32 v81, v95, v100
	ds_bpermute_b32 v82, v95, v83
	ds_bpermute_b32 v97, v95, v84
	v_cmpx_le_u32_e64 v96, v80
	s_cbranch_execz .LBB284_151
; %bb.150:
	v_cmp_eq_u32_e32 vcc_lo, 0, v100
	s_waitcnt lgkmcnt(0)
	v_dual_cndmask_b32 v97, 0, v97 :: v_dual_add_nc_u32 v100, v81, v100
	v_cndmask_b32_e32 v82, 0, v82, vcc_lo
	s_delay_alu instid0(VALU_DEP_1) | instskip(NEXT) | instid1(VALU_DEP_3)
	v_add_co_u32 v83, vcc_lo, v82, v83
	v_add_co_ci_u32_e32 v84, vcc_lo, v97, v84, vcc_lo
.LBB284_151:
	s_or_b32 exec_lo, exec_lo, s23
	v_cmp_gt_u32_e32 vcc_lo, 16, v114
	v_add_nc_u32_e32 v99, 16, v114
	s_mov_b32 s23, exec_lo
	s_waitcnt lgkmcnt(2)
	v_cndmask_b32_e64 v81, 0, 1, vcc_lo
	s_delay_alu instid0(VALU_DEP_1) | instskip(NEXT) | instid1(VALU_DEP_1)
	v_lshlrev_b32_e32 v81, 4, v81
	v_add_lshl_u32 v98, v81, v114, 2
	ds_bpermute_b32 v81, v98, v100
	s_waitcnt lgkmcnt(2)
	ds_bpermute_b32 v82, v98, v83
	s_waitcnt lgkmcnt(2)
	ds_bpermute_b32 v97, v98, v84
	v_cmpx_le_u32_e64 v99, v80
	s_cbranch_execz .LBB284_153
; %bb.152:
	v_cmp_eq_u32_e32 vcc_lo, 0, v100
	s_waitcnt lgkmcnt(2)
	v_add_nc_u32_e32 v100, v81, v100
	s_waitcnt lgkmcnt(1)
	v_cndmask_b32_e32 v82, 0, v82, vcc_lo
	s_waitcnt lgkmcnt(0)
	v_cndmask_b32_e32 v80, 0, v97, vcc_lo
	s_delay_alu instid0(VALU_DEP_2) | instskip(NEXT) | instid1(VALU_DEP_2)
	v_add_co_u32 v83, vcc_lo, v82, v83
	v_add_co_ci_u32_e32 v84, vcc_lo, v80, v84, vcc_lo
.LBB284_153:
	s_or_b32 exec_lo, exec_lo, s23
	v_mov_b32_e32 v80, 0
	s_branch .LBB284_155
.LBB284_154:                            ;   in Loop: Header=BB284_155 Depth=1
	s_or_b32 exec_lo, exec_lo, s23
	v_cmp_eq_u32_e32 vcc_lo, 0, v97
	v_subrev_nc_u32_e32 v79, 32, v79
	v_add_nc_u32_e32 v100, v100, v97
	v_dual_cndmask_b32 v84, 0, v84 :: v_dual_cndmask_b32 v83, 0, v83
	s_delay_alu instid0(VALU_DEP_1) | instskip(NEXT) | instid1(VALU_DEP_2)
	v_add_co_u32 v83, vcc_lo, v83, v81
	v_add_co_ci_u32_e32 v84, vcc_lo, v84, v82, vcc_lo
.LBB284_155:                            ; =>This Loop Header: Depth=1
                                        ;     Child Loop BB284_158 Depth 2
	s_waitcnt lgkmcnt(2)
	v_and_b32_e32 v81, 0xff, v88
	s_waitcnt lgkmcnt(0)
	v_mov_b32_e32 v97, v100
	s_delay_alu instid0(VALU_DEP_2) | instskip(SKIP_2) | instid1(VALU_DEP_1)
	v_cmp_ne_u16_e32 vcc_lo, 2, v81
	v_cndmask_b32_e64 v81, 0, 1, vcc_lo
	;;#ASMSTART
	;;#ASMEND
	v_cmp_ne_u32_e32 vcc_lo, 0, v81
	v_dual_mov_b32 v81, v83 :: v_dual_mov_b32 v82, v84
	s_cmp_lg_u32 vcc_lo, exec_lo
	s_cbranch_scc1 .LBB284_170
; %bb.156:                              ;   in Loop: Header=BB284_155 Depth=1
	global_load_u8 v88, v79, s[20:21] glc
	s_mov_b32 s23, exec_lo
	s_waitcnt vmcnt(0)
	v_cmpx_eq_u16_e32 0, v88
	s_cbranch_execz .LBB284_160
; %bb.157:                              ;   in Loop: Header=BB284_155 Depth=1
	v_add_co_u32 v83, s28, s20, v79
	s_delay_alu instid0(VALU_DEP_1)
	v_add_co_ci_u32_e64 v84, null, s21, 0, s28
	s_mov_b32 s28, 0
.LBB284_158:                            ;   Parent Loop BB284_155 Depth=1
                                        ; =>  This Inner Loop Header: Depth=2
	global_load_u8 v88, v[83:84], off glc
	s_waitcnt vmcnt(0)
	v_cmp_ne_u16_e32 vcc_lo, 0, v88
	s_or_b32 s28, vcc_lo, s28
	s_delay_alu instid0(SALU_CYCLE_1)
	s_and_not1_b32 exec_lo, exec_lo, s28
	s_cbranch_execnz .LBB284_158
; %bb.159:                              ;   in Loop: Header=BB284_155 Depth=1
	s_or_b32 exec_lo, exec_lo, s28
.LBB284_160:                            ;   in Loop: Header=BB284_155 Depth=1
	s_delay_alu instid0(SALU_CYCLE_1)
	s_or_b32 exec_lo, exec_lo, s23
	v_dual_mov_b32 v100, s17 :: v_dual_mov_b32 v101, s16
	v_cmp_eq_u16_e32 vcc_lo, 1, v88
	v_lshlrev_b64 v[83:84], 4, v[79:80]
	buffer_gl1_inv
	buffer_gl0_inv
	s_mov_b32 s23, exec_lo
	v_cndmask_b32_e32 v101, s18, v101, vcc_lo
	v_cndmask_b32_e32 v100, s19, v100, vcc_lo
	s_delay_alu instid0(VALU_DEP_2) | instskip(NEXT) | instid1(VALU_DEP_2)
	v_add_co_u32 v83, vcc_lo, v101, v83
	v_add_co_ci_u32_e32 v84, vcc_lo, v100, v84, vcc_lo
	v_cmp_eq_u16_e32 vcc_lo, 2, v88
	s_clause 0x1
	global_load_b32 v100, v[83:84], off
	global_load_b64 v[83:84], v[83:84], off offset:8
	v_and_or_b32 v101, vcc_lo, v90, 0x80000000
	s_delay_alu instid0(VALU_DEP_1)
	v_ctz_i32_b32_e32 v101, v101
	s_waitcnt vmcnt(1)
	ds_bpermute_b32 v102, v89, v100
	s_waitcnt vmcnt(0)
	ds_bpermute_b32 v103, v89, v83
	ds_bpermute_b32 v104, v89, v84
	v_cmpx_lt_u32_e64 v114, v101
	s_cbranch_execz .LBB284_162
; %bb.161:                              ;   in Loop: Header=BB284_155 Depth=1
	v_cmp_eq_u32_e32 vcc_lo, 0, v100
	s_waitcnt lgkmcnt(2)
	v_add_nc_u32_e32 v100, v102, v100
	s_waitcnt lgkmcnt(0)
	v_dual_cndmask_b32 v104, 0, v104 :: v_dual_cndmask_b32 v103, 0, v103
	s_delay_alu instid0(VALU_DEP_1) | instskip(NEXT) | instid1(VALU_DEP_2)
	v_add_co_u32 v83, vcc_lo, v103, v83
	v_add_co_ci_u32_e32 v84, vcc_lo, v104, v84, vcc_lo
.LBB284_162:                            ;   in Loop: Header=BB284_155 Depth=1
	s_or_b32 exec_lo, exec_lo, s23
	s_waitcnt lgkmcnt(2)
	ds_bpermute_b32 v102, v91, v100
	s_waitcnt lgkmcnt(2)
	ds_bpermute_b32 v103, v91, v83
	s_waitcnt lgkmcnt(2)
	ds_bpermute_b32 v104, v91, v84
	s_mov_b32 s23, exec_lo
	v_cmpx_le_u32_e64 v92, v101
	s_cbranch_execz .LBB284_164
; %bb.163:                              ;   in Loop: Header=BB284_155 Depth=1
	v_cmp_eq_u32_e32 vcc_lo, 0, v100
	s_waitcnt lgkmcnt(2)
	v_add_nc_u32_e32 v100, v102, v100
	s_waitcnt lgkmcnt(0)
	v_dual_cndmask_b32 v104, 0, v104 :: v_dual_cndmask_b32 v103, 0, v103
	s_delay_alu instid0(VALU_DEP_1) | instskip(NEXT) | instid1(VALU_DEP_2)
	v_add_co_u32 v83, vcc_lo, v103, v83
	v_add_co_ci_u32_e32 v84, vcc_lo, v104, v84, vcc_lo
.LBB284_164:                            ;   in Loop: Header=BB284_155 Depth=1
	s_or_b32 exec_lo, exec_lo, s23
	s_waitcnt lgkmcnt(2)
	ds_bpermute_b32 v102, v93, v100
	s_waitcnt lgkmcnt(2)
	ds_bpermute_b32 v103, v93, v83
	s_waitcnt lgkmcnt(2)
	ds_bpermute_b32 v104, v93, v84
	s_mov_b32 s23, exec_lo
	v_cmpx_le_u32_e64 v94, v101
	;; [unrolled: 20-line block ×4, first 2 shown]
	s_cbranch_execz .LBB284_154
; %bb.169:                              ;   in Loop: Header=BB284_155 Depth=1
	v_cmp_eq_u32_e32 vcc_lo, 0, v100
	s_waitcnt lgkmcnt(1)
	v_dual_cndmask_b32 v103, 0, v103 :: v_dual_add_nc_u32 v100, v102, v100
	s_waitcnt lgkmcnt(0)
	v_cndmask_b32_e32 v101, 0, v104, vcc_lo
	s_delay_alu instid0(VALU_DEP_2) | instskip(NEXT) | instid1(VALU_DEP_2)
	v_add_co_u32 v83, vcc_lo, v103, v83
	v_add_co_ci_u32_e32 v84, vcc_lo, v101, v84, vcc_lo
	s_branch .LBB284_154
.LBB284_170:                            ;   in Loop: Header=BB284_155 Depth=1
                                        ; implicit-def: $vgpr83_vgpr84
                                        ; implicit-def: $vgpr100
                                        ; implicit-def: $vgpr88
	s_cbranch_execz .LBB284_155
; %bb.171:
	s_and_saveexec_b32 s16, s13
	s_cbranch_execz .LBB284_173
; %bb.172:
	v_cmp_eq_u32_e32 vcc_lo, 0, v87
	s_mov_b32 s29, 0
	s_add_i32 s28, s15, 32
	v_dual_mov_b32 v84, 0 :: v_dual_add_nc_u32 v83, v97, v87
	v_dual_cndmask_b32 v80, 0, v82 :: v_dual_cndmask_b32 v79, 0, v81
	s_lshl_b64 s[34:35], s[28:29], 4
	v_dual_mov_b32 v88, s28 :: v_dual_mov_b32 v89, 2
	s_add_u32 s34, s18, s34
	s_delay_alu instid0(VALU_DEP_2)
	v_add_co_u32 v79, vcc_lo, v79, v77
	v_add_co_ci_u32_e32 v80, vcc_lo, v80, v78, vcc_lo
	s_addc_u32 s35, s19, s35
	s_clause 0x1
	global_store_b32 v84, v83, s[34:35]
	global_store_b64 v84, v[79:80], s[34:35] offset:8
	s_waitcnt lgkmcnt(0)
	s_waitcnt_vscnt null, 0x0
	buffer_gl1_inv
	buffer_gl0_inv
	global_store_b8 v88, v89, s[20:21]
	ds_store_b32 v84, v87 offset:4096
	ds_store_b64 v84, v[77:78] offset:4104
	ds_store_b32 v84, v97 offset:4112
	ds_store_b64 v84, v[81:82] offset:4120
.LBB284_173:
	s_or_b32 exec_lo, exec_lo, s16
	v_cmp_eq_u32_e32 vcc_lo, 0, v0
	s_and_b32 exec_lo, exec_lo, vcc_lo
	s_cbranch_execz .LBB284_175
; %bb.174:
	v_mov_b32_e32 v77, 0
	ds_store_b32 v77, v97 offset:4240
	ds_store_b64 v77, v[81:82] offset:4248
.LBB284_175:
	s_or_b32 exec_lo, exec_lo, s22
	s_waitcnt lgkmcnt(2)
	v_cndmask_b32_e64 v59, v86, v59, s13
	s_waitcnt lgkmcnt(0)
	s_waitcnt_vscnt null, 0x0
	s_barrier
	buffer_gl0_inv
	v_cndmask_b32_e64 v75, v85, v75, s13
	v_cmp_eq_u32_e32 vcc_lo, 0, v59
	v_mov_b32_e32 v103, 0
	v_cndmask_b32_e64 v71, v71, v76, s13
	ds_load_b64 v[77:78], v103 offset:4248
	s_waitcnt lgkmcnt(0)
	v_dual_cndmask_b32 v80, 0, v77 :: v_dual_cndmask_b32 v79, 0, v78
	s_delay_alu instid0(VALU_DEP_1) | instskip(NEXT) | instid1(VALU_DEP_2)
	v_add_co_u32 v75, vcc_lo, v80, v75
	v_add_co_ci_u32_e32 v71, vcc_lo, v79, v71, vcc_lo
	v_cmp_eq_u32_e32 vcc_lo, 0, v0
	v_cndmask_b32_e64 v109, v59, 0, vcc_lo
	s_delay_alu instid0(VALU_DEP_4) | instskip(NEXT) | instid1(VALU_DEP_4)
	v_cndmask_b32_e32 v89, v75, v77, vcc_lo
	v_cndmask_b32_e32 v90, v71, v78, vcc_lo
	v_cmp_eq_u32_e32 vcc_lo, 0, v63
	ds_load_b32 v78, v103 offset:4240
	s_waitcnt lgkmcnt(0)
	s_barrier
	buffer_gl0_inv
	v_cndmask_b32_e32 v71, 0, v89, vcc_lo
	v_cndmask_b32_e32 v59, 0, v90, vcc_lo
	ds_load_b64 v[116:117], v103 offset:4104
	v_add_co_u32 v87, vcc_lo, v71, v53
	v_add_co_ci_u32_e32 v88, vcc_lo, v59, v54, vcc_lo
	s_delay_alu instid0(VALU_DEP_2) | instskip(NEXT) | instid1(VALU_DEP_2)
	v_cndmask_b32_e64 v59, 0, v87, s12
	v_cndmask_b32_e64 v71, 0, v88, s12
	s_delay_alu instid0(VALU_DEP_2) | instskip(NEXT) | instid1(VALU_DEP_2)
	v_add_co_u32 v93, vcc_lo, v59, v55
	v_add_co_ci_u32_e32 v94, vcc_lo, v71, v56, vcc_lo
	s_delay_alu instid0(VALU_DEP_2) | instskip(NEXT) | instid1(VALU_DEP_2)
	v_cndmask_b32_e64 v59, 0, v93, s11
	v_cndmask_b32_e64 v71, 0, v94, s11
	s_delay_alu instid0(VALU_DEP_2) | instskip(NEXT) | instid1(VALU_DEP_2)
	;; [unrolled: 6-line block ×9, first 2 shown]
	v_add_co_u32 v85, vcc_lo, v59, v39
	v_add_co_ci_u32_e32 v86, vcc_lo, v71, v40, vcc_lo
	ds_load_b32 v59, v103 offset:4096
	v_cndmask_b32_e64 v71, 0, v85, s3
	v_cndmask_b32_e64 v75, 0, v86, s3
	s_delay_alu instid0(VALU_DEP_2) | instskip(NEXT) | instid1(VALU_DEP_2)
	v_add_co_u32 v101, vcc_lo, v71, v33
	v_add_co_ci_u32_e32 v102, vcc_lo, v75, v34, vcc_lo
	ds_load_b64 v[75:76], v103 offset:4120
	v_cndmask_b32_e64 v71, 0, v101, s2
	v_cndmask_b32_e64 v77, 0, v102, s2
	s_delay_alu instid0(VALU_DEP_2) | instskip(NEXT) | instid1(VALU_DEP_2)
	v_add_co_u32 v105, vcc_lo, v71, v35
	v_add_co_ci_u32_e32 v106, vcc_lo, v77, v36, vcc_lo
	ds_load_b32 v77, v103 offset:4112
	v_cndmask_b32_e64 v71, 0, v105, s1
	s_waitcnt lgkmcnt(2)
	v_cmp_eq_u32_e32 vcc_lo, 0, v59
	v_cndmask_b32_e64 v104, 0, v106, s1
	s_delay_alu instid0(VALU_DEP_3) | instskip(NEXT) | instid1(VALU_DEP_1)
	v_add_co_u32 v103, s1, v71, v29
	v_add_co_ci_u32_e64 v104, s1, v104, v30, s1
	s_waitcnt lgkmcnt(1)
	v_dual_cndmask_b32 v75, 0, v75 :: v_dual_cndmask_b32 v76, 0, v76
	v_add_nc_u32_e32 v71, v78, v109
	s_delay_alu instid0(VALU_DEP_3) | instskip(SKIP_1) | instid1(VALU_DEP_4)
	v_cndmask_b32_e64 v110, 0, v104, s0
	v_cndmask_b32_e64 v109, 0, v103, s0
	v_add_co_u32 v75, vcc_lo, v75, v116
	v_add_co_ci_u32_e32 v76, vcc_lo, v76, v117, vcc_lo
	s_branch .LBB284_204
.LBB284_176:
                                        ; implicit-def: $vgpr59
                                        ; implicit-def: $vgpr75_vgpr76
                                        ; implicit-def: $vgpr77
                                        ; implicit-def: $vgpr89_vgpr90
                                        ; implicit-def: $vgpr87_vgpr88
                                        ; implicit-def: $vgpr93_vgpr94
                                        ; implicit-def: $vgpr97_vgpr98
                                        ; implicit-def: $vgpr79_vgpr80
                                        ; implicit-def: $vgpr83_vgpr84
                                        ; implicit-def: $vgpr91_vgpr92
                                        ; implicit-def: $vgpr95_vgpr96
                                        ; implicit-def: $vgpr99_vgpr100
                                        ; implicit-def: $vgpr81_vgpr82
                                        ; implicit-def: $vgpr85_vgpr86
                                        ; implicit-def: $vgpr101_vgpr102
                                        ; implicit-def: $vgpr105_vgpr106
                                        ; implicit-def: $vgpr103_vgpr104
                                        ; implicit-def: $vgpr109_vgpr110
                                        ; implicit-def: $vgpr71
	s_cbranch_execz .LBB284_204
; %bb.177:
	s_and_b32 s0, s14, exec_lo
	s_cselect_b32 s1, 0, s25
	s_cselect_b32 s0, 0, s24
	s_delay_alu instid0(SALU_CYCLE_1)
	s_cmp_eq_u64 s[0:1], 0
	s_cbranch_scc1 .LBB284_179
; %bb.178:
	v_mov_b32_e32 v59, 0
	global_load_b64 v[107:108], v59, s[0:1]
.LBB284_179:
	v_cmp_eq_u32_e64 s11, 0, v72
	v_cmp_eq_u32_e64 s10, 0, v69
	;; [unrolled: 1-line block ×5, first 2 shown]
	v_cndmask_b32_e64 v71, 0, v53, s11
	v_cndmask_b32_e64 v59, 0, v54, s11
	v_cmp_eq_u32_e64 s6, 0, v65
	v_cmp_eq_u32_e64 s5, 0, v66
	;; [unrolled: 1-line block ×3, first 2 shown]
	v_add_co_u32 v71, vcc_lo, v71, v55
	v_add_co_ci_u32_e32 v59, vcc_lo, v59, v56, vcc_lo
	v_cmp_eq_u32_e64 s3, 0, v62
	s_delay_alu instid0(VALU_DEP_3) | instskip(SKIP_1) | instid1(VALU_DEP_4)
	v_cndmask_b32_e64 v71, 0, v71, s10
	v_cmp_eq_u32_e64 s2, 0, v113
	v_cndmask_b32_e64 v59, 0, v59, s10
	v_cmp_eq_u32_e64 s1, 0, v112
	v_add3_u32 v75, v115, v68, v65
	v_add_co_u32 v71, vcc_lo, v71, v49
	s_delay_alu instid0(VALU_DEP_4) | instskip(NEXT) | instid1(VALU_DEP_3)
	v_add_co_ci_u32_e32 v59, vcc_lo, v59, v50, vcc_lo
	v_add3_u32 v75, v75, v66, v61
	s_delay_alu instid0(VALU_DEP_3) | instskip(SKIP_1) | instid1(VALU_DEP_3)
	v_cndmask_b32_e64 v71, 0, v71, s9
	s_mov_b32 s13, exec_lo
	v_cndmask_b32_e64 v59, 0, v59, s9
	s_delay_alu instid0(VALU_DEP_3) | instskip(NEXT) | instid1(VALU_DEP_3)
	v_add3_u32 v75, v75, v62, v113
	v_add_co_u32 v71, vcc_lo, v71, v51
	s_delay_alu instid0(VALU_DEP_3) | instskip(NEXT) | instid1(VALU_DEP_3)
	v_add_co_ci_u32_e32 v59, vcc_lo, v59, v52, vcc_lo
	v_add3_u32 v75, v75, v60, v112
	s_delay_alu instid0(VALU_DEP_3) | instskip(NEXT) | instid1(VALU_DEP_3)
	v_cndmask_b32_e64 v71, 0, v71, s8
	v_cndmask_b32_e64 v59, 0, v59, s8
	s_delay_alu instid0(VALU_DEP_2) | instskip(NEXT) | instid1(VALU_DEP_2)
	v_add_co_u32 v71, vcc_lo, v71, v45
	v_add_co_ci_u32_e32 v59, vcc_lo, v59, v46, vcc_lo
	s_delay_alu instid0(VALU_DEP_2) | instskip(NEXT) | instid1(VALU_DEP_2)
	v_cndmask_b32_e64 v71, 0, v71, s7
	v_cndmask_b32_e64 v59, 0, v59, s7
	s_delay_alu instid0(VALU_DEP_2) | instskip(NEXT) | instid1(VALU_DEP_2)
	v_add_co_u32 v71, vcc_lo, v71, v47
	v_add_co_ci_u32_e32 v59, vcc_lo, v59, v48, vcc_lo
	s_delay_alu instid0(VALU_DEP_2) | instskip(NEXT) | instid1(VALU_DEP_2)
	v_cndmask_b32_e64 v71, 0, v71, s6
	v_cndmask_b32_e64 v59, 0, v59, s6
	s_delay_alu instid0(VALU_DEP_2) | instskip(NEXT) | instid1(VALU_DEP_2)
	v_add_co_u32 v71, vcc_lo, v71, v41
	v_add_co_ci_u32_e32 v59, vcc_lo, v59, v42, vcc_lo
	s_delay_alu instid0(VALU_DEP_2) | instskip(NEXT) | instid1(VALU_DEP_2)
	v_cndmask_b32_e64 v71, 0, v71, s5
	v_cndmask_b32_e64 v59, 0, v59, s5
	s_delay_alu instid0(VALU_DEP_2) | instskip(NEXT) | instid1(VALU_DEP_2)
	v_add_co_u32 v71, vcc_lo, v71, v43
	v_add_co_ci_u32_e32 v59, vcc_lo, v59, v44, vcc_lo
	s_delay_alu instid0(VALU_DEP_2) | instskip(NEXT) | instid1(VALU_DEP_2)
	v_cndmask_b32_e64 v71, 0, v71, s4
	v_cndmask_b32_e64 v59, 0, v59, s4
	s_delay_alu instid0(VALU_DEP_2) | instskip(NEXT) | instid1(VALU_DEP_2)
	v_add_co_u32 v71, vcc_lo, v71, v37
	v_add_co_ci_u32_e32 v59, vcc_lo, v59, v38, vcc_lo
	s_delay_alu instid0(VALU_DEP_2) | instskip(NEXT) | instid1(VALU_DEP_2)
	v_cndmask_b32_e64 v71, 0, v71, s3
	v_cndmask_b32_e64 v59, 0, v59, s3
	s_delay_alu instid0(VALU_DEP_2) | instskip(NEXT) | instid1(VALU_DEP_2)
	v_add_co_u32 v71, vcc_lo, v71, v39
	v_add_co_ci_u32_e32 v59, vcc_lo, v59, v40, vcc_lo
	s_delay_alu instid0(VALU_DEP_2) | instskip(NEXT) | instid1(VALU_DEP_2)
	v_cndmask_b32_e64 v71, 0, v71, s2
	v_cndmask_b32_e64 v59, 0, v59, s2
	s_delay_alu instid0(VALU_DEP_2) | instskip(NEXT) | instid1(VALU_DEP_2)
	v_add_co_u32 v71, vcc_lo, v71, v33
	v_add_co_ci_u32_e32 v59, vcc_lo, v59, v34, vcc_lo
	v_cmp_eq_u32_e32 vcc_lo, 0, v60
	s_delay_alu instid0(VALU_DEP_3) | instskip(NEXT) | instid1(VALU_DEP_3)
	v_cndmask_b32_e32 v71, 0, v71, vcc_lo
	v_cndmask_b32_e32 v59, 0, v59, vcc_lo
	s_delay_alu instid0(VALU_DEP_2) | instskip(NEXT) | instid1(VALU_DEP_1)
	v_add_co_u32 v71, s0, v71, v35
	v_add_co_ci_u32_e64 v59, s0, v59, v36, s0
	s_delay_alu instid0(VALU_DEP_2) | instskip(NEXT) | instid1(VALU_DEP_2)
	v_cndmask_b32_e64 v71, 0, v71, s1
	v_cndmask_b32_e64 v59, 0, v59, s1
	s_delay_alu instid0(VALU_DEP_2) | instskip(NEXT) | instid1(VALU_DEP_1)
	v_add_co_u32 v71, s0, v71, v29
	v_add_co_ci_u32_e64 v59, s0, v59, v30, s0
	v_cmp_eq_u32_e64 s0, 0, v64
	s_delay_alu instid0(VALU_DEP_1) | instskip(NEXT) | instid1(VALU_DEP_3)
	v_cndmask_b32_e64 v71, 0, v71, s0
	v_cndmask_b32_e64 v59, 0, v59, s0
	s_delay_alu instid0(VALU_DEP_2) | instskip(NEXT) | instid1(VALU_DEP_1)
	v_add_co_u32 v71, s12, v71, v31
	v_add_co_ci_u32_e64 v59, s12, v59, v32, s12
	v_cmp_eq_u32_e64 s12, 0, v111
	s_delay_alu instid0(VALU_DEP_1) | instskip(NEXT) | instid1(VALU_DEP_3)
	v_cndmask_b32_e64 v71, 0, v71, s12
	v_cndmask_b32_e64 v76, 0, v59, s12
	v_add3_u32 v59, v75, v64, v111
	s_delay_alu instid0(VALU_DEP_3) | instskip(NEXT) | instid1(VALU_DEP_1)
	v_add_co_u32 v73, s12, v71, v73
	v_add_co_ci_u32_e64 v74, s12, v76, v74, s12
	v_and_b32_e32 v71, 15, v114
	s_delay_alu instid0(VALU_DEP_4) | instskip(NEXT) | instid1(VALU_DEP_4)
	v_mov_b32_dpp v75, v59 row_shr:1 row_mask:0xf bank_mask:0xf
	v_mov_b32_dpp v76, v73 row_shr:1 row_mask:0xf bank_mask:0xf
	s_waitcnt lgkmcnt(0)
	v_mov_b32_dpp v77, v74 row_shr:1 row_mask:0xf bank_mask:0xf
	v_cmpx_ne_u32_e32 0, v71
; %bb.180:
	v_cmp_eq_u32_e64 s12, 0, v59
	v_add_nc_u32_e32 v59, v75, v59
	s_delay_alu instid0(VALU_DEP_2) | instskip(SKIP_1) | instid1(VALU_DEP_2)
	v_cndmask_b32_e64 v76, 0, v76, s12
	v_cndmask_b32_e64 v77, 0, v77, s12
	v_add_co_u32 v73, s12, v76, v73
	s_delay_alu instid0(VALU_DEP_1)
	v_add_co_ci_u32_e64 v74, s12, v77, v74, s12
; %bb.181:
	s_or_b32 exec_lo, exec_lo, s13
	v_mov_b32_dpp v75, v59 row_shr:2 row_mask:0xf bank_mask:0xf
	s_delay_alu instid0(VALU_DEP_3) | instskip(NEXT) | instid1(VALU_DEP_3)
	v_mov_b32_dpp v76, v73 row_shr:2 row_mask:0xf bank_mask:0xf
	v_mov_b32_dpp v77, v74 row_shr:2 row_mask:0xf bank_mask:0xf
	s_mov_b32 s13, exec_lo
	v_cmpx_lt_u32_e32 1, v71
; %bb.182:
	v_cmp_eq_u32_e64 s12, 0, v59
	v_add_nc_u32_e32 v59, v75, v59
	s_delay_alu instid0(VALU_DEP_2) | instskip(SKIP_1) | instid1(VALU_DEP_2)
	v_cndmask_b32_e64 v76, 0, v76, s12
	v_cndmask_b32_e64 v77, 0, v77, s12
	v_add_co_u32 v73, s12, v76, v73
	s_delay_alu instid0(VALU_DEP_1)
	v_add_co_ci_u32_e64 v74, s12, v77, v74, s12
; %bb.183:
	s_or_b32 exec_lo, exec_lo, s13
	v_mov_b32_dpp v75, v59 row_shr:4 row_mask:0xf bank_mask:0xf
	s_delay_alu instid0(VALU_DEP_3) | instskip(NEXT) | instid1(VALU_DEP_3)
	v_mov_b32_dpp v76, v73 row_shr:4 row_mask:0xf bank_mask:0xf
	v_mov_b32_dpp v77, v74 row_shr:4 row_mask:0xf bank_mask:0xf
	s_mov_b32 s13, exec_lo
	v_cmpx_lt_u32_e32 3, v71
	;; [unrolled: 17-line block ×3, first 2 shown]
; %bb.186:
	v_cmp_eq_u32_e64 s12, 0, v59
	v_add_nc_u32_e32 v59, v75, v59
	s_delay_alu instid0(VALU_DEP_2) | instskip(SKIP_1) | instid1(VALU_DEP_2)
	v_cndmask_b32_e64 v76, 0, v76, s12
	v_cndmask_b32_e64 v71, 0, v77, s12
	v_add_co_u32 v73, s12, v76, v73
	s_delay_alu instid0(VALU_DEP_1)
	v_add_co_ci_u32_e64 v74, s12, v71, v74, s12
; %bb.187:
	s_or_b32 exec_lo, exec_lo, s13
	ds_swizzle_b32 v71, v59 offset:swizzle(BROADCAST,32,15)
	ds_swizzle_b32 v75, v73 offset:swizzle(BROADCAST,32,15)
	;; [unrolled: 1-line block ×3, first 2 shown]
	v_and_b32_e32 v77, 16, v114
	s_mov_b32 s13, exec_lo
	s_delay_alu instid0(VALU_DEP_1)
	v_cmpx_ne_u32_e32 0, v77
	s_cbranch_execz .LBB284_189
; %bb.188:
	v_cmp_eq_u32_e64 s12, 0, v59
	s_waitcnt lgkmcnt(2)
	v_add_nc_u32_e32 v59, v71, v59
	s_waitcnt lgkmcnt(1)
	s_delay_alu instid0(VALU_DEP_2) | instskip(SKIP_2) | instid1(VALU_DEP_2)
	v_cndmask_b32_e64 v75, 0, v75, s12
	s_waitcnt lgkmcnt(0)
	v_cndmask_b32_e64 v76, 0, v76, s12
	v_add_co_u32 v73, s12, v75, v73
	s_delay_alu instid0(VALU_DEP_1)
	v_add_co_ci_u32_e64 v74, s12, v76, v74, s12
.LBB284_189:
	s_or_b32 exec_lo, exec_lo, s13
	s_waitcnt lgkmcnt(2)
	v_or_b32_e32 v71, 31, v0
	s_waitcnt lgkmcnt(1)
	v_lshrrev_b32_e32 v75, 5, v0
	s_delay_alu instid0(VALU_DEP_2) | instskip(NEXT) | instid1(VALU_DEP_2)
	v_cmp_eq_u32_e64 s12, v71, v0
	v_lshlrev_b32_e32 v71, 4, v75
	s_delay_alu instid0(VALU_DEP_2)
	s_and_saveexec_b32 s13, s12
	s_cbranch_execz .LBB284_191
; %bb.190:
	ds_store_b32 v71, v59 offset:4128
	ds_store_b64 v71, v[73:74] offset:4136
.LBB284_191:
	s_or_b32 exec_lo, exec_lo, s13
	s_delay_alu instid0(SALU_CYCLE_1)
	s_mov_b32 s13, exec_lo
	s_waitcnt vmcnt(0) lgkmcnt(0)
	s_barrier
	buffer_gl0_inv
	v_cmpx_gt_u32_e32 8, v0
	s_cbranch_execz .LBB284_199
; %bb.192:
	v_lshlrev_b32_e32 v77, 4, v0
	v_and_b32_e32 v79, 7, v114
	s_mov_b32 s15, exec_lo
	ds_load_b32 v78, v77 offset:4128
	ds_load_b64 v[75:76], v77 offset:4136
	s_waitcnt lgkmcnt(1)
	v_mov_b32_dpp v80, v78 row_shr:1 row_mask:0xf bank_mask:0xf
	s_waitcnt lgkmcnt(0)
	v_mov_b32_dpp v81, v75 row_shr:1 row_mask:0xf bank_mask:0xf
	v_mov_b32_dpp v82, v76 row_shr:1 row_mask:0xf bank_mask:0xf
	v_cmpx_ne_u32_e32 0, v79
; %bb.193:
	v_cmp_eq_u32_e64 s12, 0, v78
	v_add_nc_u32_e32 v78, v80, v78
	s_delay_alu instid0(VALU_DEP_2) | instskip(SKIP_1) | instid1(VALU_DEP_2)
	v_cndmask_b32_e64 v81, 0, v81, s12
	v_cndmask_b32_e64 v82, 0, v82, s12
	v_add_co_u32 v75, s12, v81, v75
	s_delay_alu instid0(VALU_DEP_1)
	v_add_co_ci_u32_e64 v76, s12, v82, v76, s12
; %bb.194:
	s_or_b32 exec_lo, exec_lo, s15
	v_mov_b32_dpp v80, v78 row_shr:2 row_mask:0xf bank_mask:0xf
	s_delay_alu instid0(VALU_DEP_3) | instskip(NEXT) | instid1(VALU_DEP_3)
	v_mov_b32_dpp v81, v75 row_shr:2 row_mask:0xf bank_mask:0xf
	v_mov_b32_dpp v82, v76 row_shr:2 row_mask:0xf bank_mask:0xf
	s_mov_b32 s15, exec_lo
	v_cmpx_lt_u32_e32 1, v79
; %bb.195:
	v_cmp_eq_u32_e64 s12, 0, v78
	v_add_nc_u32_e32 v78, v80, v78
	s_delay_alu instid0(VALU_DEP_2) | instskip(SKIP_1) | instid1(VALU_DEP_2)
	v_cndmask_b32_e64 v81, 0, v81, s12
	v_cndmask_b32_e64 v82, 0, v82, s12
	v_add_co_u32 v75, s12, v81, v75
	s_delay_alu instid0(VALU_DEP_1)
	v_add_co_ci_u32_e64 v76, s12, v82, v76, s12
; %bb.196:
	s_or_b32 exec_lo, exec_lo, s15
	v_mov_b32_dpp v80, v78 row_shr:4 row_mask:0xf bank_mask:0xf
	s_delay_alu instid0(VALU_DEP_3) | instskip(NEXT) | instid1(VALU_DEP_3)
	v_mov_b32_dpp v81, v75 row_shr:4 row_mask:0xf bank_mask:0xf
	v_mov_b32_dpp v82, v76 row_shr:4 row_mask:0xf bank_mask:0xf
	s_mov_b32 s15, exec_lo
	v_cmpx_lt_u32_e32 3, v79
; %bb.197:
	v_cmp_eq_u32_e64 s12, 0, v78
	v_add_nc_u32_e32 v78, v80, v78
	s_delay_alu instid0(VALU_DEP_2) | instskip(SKIP_1) | instid1(VALU_DEP_2)
	v_cndmask_b32_e64 v81, 0, v81, s12
	v_cndmask_b32_e64 v79, 0, v82, s12
	v_add_co_u32 v75, s12, v81, v75
	s_delay_alu instid0(VALU_DEP_1)
	v_add_co_ci_u32_e64 v76, s12, v79, v76, s12
; %bb.198:
	s_or_b32 exec_lo, exec_lo, s15
	ds_store_b32 v77, v78 offset:4128
	ds_store_b64 v77, v[75:76] offset:4136
.LBB284_199:
	s_or_b32 exec_lo, exec_lo, s13
	v_dual_mov_b32 v77, 0 :: v_dual_mov_b32 v78, 0
	v_dual_mov_b32 v75, v107 :: v_dual_mov_b32 v76, v108
	s_mov_b32 s13, exec_lo
	s_waitcnt lgkmcnt(0)
	s_barrier
	buffer_gl0_inv
	v_cmpx_lt_u32_e32 31, v0
	s_cbranch_execz .LBB284_201
; %bb.200:
	ds_load_b32 v78, v71 offset:4112
	ds_load_b64 v[75:76], v71 offset:4120
	s_waitcnt lgkmcnt(1)
	v_cmp_eq_u32_e64 s12, 0, v78
	s_delay_alu instid0(VALU_DEP_1) | instskip(SKIP_2) | instid1(VALU_DEP_2)
	v_cndmask_b32_e64 v79, 0, v107, s12
	v_cndmask_b32_e64 v71, 0, v108, s12
	s_waitcnt lgkmcnt(0)
	v_add_co_u32 v75, s12, v79, v75
	s_delay_alu instid0(VALU_DEP_1)
	v_add_co_ci_u32_e64 v76, s12, v71, v76, s12
.LBB284_201:
	s_or_b32 exec_lo, exec_lo, s13
	v_add_nc_u32_e32 v71, -1, v114
	v_cmp_eq_u32_e64 s12, 0, v59
	v_add_nc_u32_e32 v59, v78, v59
	s_delay_alu instid0(VALU_DEP_3) | instskip(NEXT) | instid1(VALU_DEP_3)
	v_cmp_gt_i32_e64 s13, 0, v71
	v_cndmask_b32_e64 v80, 0, v75, s12
	v_cndmask_b32_e64 v79, 0, v76, s12
	s_delay_alu instid0(VALU_DEP_3) | instskip(NEXT) | instid1(VALU_DEP_3)
	v_cndmask_b32_e64 v71, v71, v114, s13
	v_add_co_u32 v73, s12, v80, v73
	s_delay_alu instid0(VALU_DEP_1) | instskip(NEXT) | instid1(VALU_DEP_3)
	v_add_co_ci_u32_e64 v74, s12, v79, v74, s12
	v_lshlrev_b32_e32 v71, 2, v71
	v_cmp_eq_u32_e64 s12, 0, v114
	v_cmp_eq_u32_e64 s13, 0, v63
	ds_bpermute_b32 v59, v71, v59
	ds_bpermute_b32 v74, v71, v74
	ds_bpermute_b32 v73, v71, v73
	s_waitcnt lgkmcnt(2)
	v_cndmask_b32_e64 v71, v59, v78, s12
	s_waitcnt lgkmcnt(1)
	v_cndmask_b32_e64 v90, v74, v76, s12
	s_waitcnt lgkmcnt(0)
	v_cndmask_b32_e64 v89, v73, v75, s12
	v_cmp_eq_u32_e64 s12, 0, v0
	s_delay_alu instid0(VALU_DEP_1) | instskip(SKIP_1) | instid1(VALU_DEP_2)
	v_cndmask_b32_e64 v59, v89, v107, s12
	v_cndmask_b32_e64 v73, v90, v108, s12
	;; [unrolled: 1-line block ×3, first 2 shown]
	s_delay_alu instid0(VALU_DEP_2) | instskip(NEXT) | instid1(VALU_DEP_2)
	v_cndmask_b32_e64 v73, 0, v73, s13
	v_add_co_u32 v87, s13, v59, v53
	s_delay_alu instid0(VALU_DEP_1) | instskip(SKIP_3) | instid1(VALU_DEP_2)
	v_add_co_ci_u32_e64 v88, s13, v73, v54, s13
	ds_load_b32 v59, v77 offset:4240
	v_cndmask_b32_e64 v53, 0, v87, s11
	v_cndmask_b32_e64 v54, 0, v88, s11
	v_add_co_u32 v93, s11, v53, v55
	s_delay_alu instid0(VALU_DEP_1) | instskip(NEXT) | instid1(VALU_DEP_2)
	v_add_co_ci_u32_e64 v94, s11, v54, v56, s11
	v_cndmask_b32_e64 v53, 0, v93, s10
	s_delay_alu instid0(VALU_DEP_2) | instskip(NEXT) | instid1(VALU_DEP_2)
	v_cndmask_b32_e64 v54, 0, v94, s10
	v_add_co_u32 v97, s10, v53, v49
	s_delay_alu instid0(VALU_DEP_1) | instskip(NEXT) | instid1(VALU_DEP_2)
	v_add_co_ci_u32_e64 v98, s10, v54, v50, s10
	v_cndmask_b32_e64 v49, 0, v97, s9
	s_delay_alu instid0(VALU_DEP_2) | instskip(NEXT) | instid1(VALU_DEP_2)
	;; [unrolled: 6-line block ×9, first 2 shown]
	v_cndmask_b32_e64 v38, 0, v86, s2
	v_add_co_u32 v101, s2, v37, v33
	s_delay_alu instid0(VALU_DEP_1) | instskip(SKIP_2) | instid1(VALU_DEP_1)
	v_add_co_ci_u32_e64 v102, s2, v38, v34, s2
	ds_load_b64 v[33:34], v77 offset:4248
	v_dual_cndmask_b32 v37, 0, v101 :: v_dual_cndmask_b32 v38, 0, v102
	v_add_co_u32 v105, vcc_lo, v37, v35
	s_delay_alu instid0(VALU_DEP_2) | instskip(SKIP_2) | instid1(VALU_DEP_3)
	v_add_co_ci_u32_e32 v106, vcc_lo, v38, v36, vcc_lo
	s_waitcnt lgkmcnt(1)
	v_cmp_eq_u32_e32 vcc_lo, 0, v59
	v_cndmask_b32_e64 v35, 0, v105, s1
	s_delay_alu instid0(VALU_DEP_3) | instskip(NEXT) | instid1(VALU_DEP_2)
	v_cndmask_b32_e64 v36, 0, v106, s1
	v_add_co_u32 v103, s1, v35, v29
	s_delay_alu instid0(VALU_DEP_1) | instskip(SKIP_1) | instid1(VALU_DEP_3)
	v_add_co_ci_u32_e64 v104, s1, v36, v30, s1
	v_dual_cndmask_b32 v30, 0, v107 :: v_dual_cndmask_b32 v29, 0, v108
	v_cndmask_b32_e64 v109, 0, v103, s0
	s_delay_alu instid0(VALU_DEP_3) | instskip(SKIP_1) | instid1(VALU_DEP_3)
	v_cndmask_b32_e64 v110, 0, v104, s0
	s_waitcnt lgkmcnt(0)
	v_add_co_u32 v75, vcc_lo, v30, v33
	v_add_co_ci_u32_e32 v76, vcc_lo, v29, v34, vcc_lo
	s_and_saveexec_b32 s0, s12
	s_cbranch_execz .LBB284_203
; %bb.202:
	v_mov_b32_e32 v89, v107
	v_dual_mov_b32 v71, 0 :: v_dual_mov_b32 v90, v108
	v_mov_b32_e32 v29, 2
	s_clause 0x1
	global_store_b32 v71, v59, s[18:19] offset:512
	global_store_b64 v71, v[75:76], s[18:19] offset:520
	s_waitcnt_vscnt null, 0x0
	buffer_gl1_inv
	buffer_gl0_inv
	global_store_b8 v71, v29, s[20:21] offset:32
.LBB284_203:
	s_or_b32 exec_lo, exec_lo, s0
	v_mov_b32_e32 v77, 0
.LBB284_204:
	v_mov_b32_e32 v29, 0
	s_and_b32 s0, s14, exec_lo
	v_mov_b32_e32 v30, 0
	s_cselect_b32 s1, 0, s31
	s_cselect_b32 s0, 0, s30
	s_waitcnt lgkmcnt(0)
	s_waitcnt_vscnt null, 0x0
	s_cmp_eq_u64 s[0:1], 0
	s_barrier
	buffer_gl0_inv
	s_cbranch_scc1 .LBB284_206
; %bb.205:
	v_mov_b32_e32 v29, 0
	global_load_b64 v[29:30], v29, s[0:1]
.LBB284_206:
	v_cmp_eq_u32_e32 vcc_lo, 0, v63
	v_add_nc_u32_e32 v48, v71, v63
	v_cmp_ne_u32_e64 s12, 0, v63
	v_cmp_ne_u32_e64 s11, 0, v72
	;; [unrolled: 1-line block ×3, first 2 shown]
	v_cndmask_b32_e64 v33, 1, 2, vcc_lo
	v_cmp_eq_u32_e32 vcc_lo, 0, v72
	v_add_nc_u32_e32 v50, v48, v72
	v_cmp_ne_u32_e64 s8, 0, v70
	v_cmp_ne_u32_e64 s14, 0, v67
	;; [unrolled: 1-line block ×3, first 2 shown]
	v_cndmask_b32_e64 v34, 1, 2, vcc_lo
	v_cmp_eq_u32_e32 vcc_lo, 0, v69
	v_add_nc_u32_e32 v49, v50, v69
	v_cmp_ne_u32_e64 s10, 0, v65
	s_delay_alu instid0(VALU_DEP_4)
	v_dual_mov_b32 v78, 0 :: v_dual_and_b32 v33, v34, v33
	v_cndmask_b32_e64 v35, 1, 2, vcc_lo
	v_cmp_eq_u32_e32 vcc_lo, 0, v70
	v_add_nc_u32_e32 v47, v49, v70
	v_cmp_ne_u32_e64 s7, 0, v66
	v_cmp_ne_u32_e64 s6, 0, v61
	v_and_b32_e32 v35, v33, v35
	v_cndmask_b32_e64 v36, 1, 2, vcc_lo
	v_cmp_eq_u32_e32 vcc_lo, 0, v67
	v_add_nc_u32_e32 v46, v47, v67
	s_waitcnt vmcnt(0)
	v_lshlrev_b64 v[33:34], 3, v[29:30]
	v_cmp_ne_u32_e64 s5, 0, v62
	v_and_b32_e32 v35, v35, v36
	v_cndmask_b32_e64 v37, 1, 2, vcc_lo
	v_cmp_eq_u32_e32 vcc_lo, 0, v68
	v_add_nc_u32_e32 v45, v46, v68
	v_cmp_ne_u32_e64 s4, 0, v113
	v_cmp_ne_u32_e64 s3, 0, v60
	v_and_b32_e32 v35, v35, v37
	v_cndmask_b32_e64 v36, 1, 2, vcc_lo
	v_cmp_eq_u32_e32 vcc_lo, 0, v65
	v_add_nc_u32_e32 v44, v45, v65
	v_cmp_ne_u32_e64 s2, 0, v112
	;; [unrolled: 6-line block ×3, first 2 shown]
	s_mov_b32 s16, -1
	v_and_b32_e32 v35, v35, v37
	v_cndmask_b32_e64 v36, 1, 2, vcc_lo
	v_cmp_eq_u32_e32 vcc_lo, 0, v61
	v_add_nc_u32_e32 v42, v43, v61
	s_delay_alu instid0(VALU_DEP_3) | instskip(SKIP_2) | instid1(VALU_DEP_4)
	v_and_b32_e32 v35, v35, v36
	v_cndmask_b32_e64 v37, 1, 2, vcc_lo
	v_cmp_eq_u32_e32 vcc_lo, 0, v62
	v_add_nc_u32_e32 v41, v42, v62
	s_delay_alu instid0(VALU_DEP_3) | instskip(SKIP_2) | instid1(VALU_DEP_4)
	v_and_b32_e32 v35, v35, v37
	v_cndmask_b32_e64 v36, 1, 2, vcc_lo
	v_cmp_eq_u32_e32 vcc_lo, 0, v113
	v_add_nc_u32_e32 v40, v41, v113
	s_delay_alu instid0(VALU_DEP_3) | instskip(SKIP_3) | instid1(VALU_DEP_3)
	v_and_b32_e32 v39, v35, v36
	v_cndmask_b32_e64 v37, 1, 2, vcc_lo
	v_cmp_eq_u32_e32 vcc_lo, 0, v60
	v_lshlrev_b64 v[35:36], 3, v[77:78]
	v_and_b32_e32 v37, v39, v37
	v_cndmask_b32_e64 v38, 1, 2, vcc_lo
	v_cmp_eq_u32_e32 vcc_lo, 0, v112
	v_add_nc_u32_e32 v39, v40, v60
	s_delay_alu instid0(VALU_DEP_3) | instskip(SKIP_3) | instid1(VALU_DEP_3)
	v_and_b32_e32 v54, v37, v38
	v_cndmask_b32_e64 v53, 1, 2, vcc_lo
	v_add_co_u32 v51, vcc_lo, s42, v33
	v_add_co_ci_u32_e32 v52, vcc_lo, s43, v34, vcc_lo
	v_and_b32_e32 v53, v54, v53
	s_delay_alu instid0(VALU_DEP_3) | instskip(NEXT) | instid1(VALU_DEP_3)
	v_add_co_u32 v51, vcc_lo, v51, v35
	v_add_co_ci_u32_e32 v52, vcc_lo, v52, v36, vcc_lo
	v_cmp_eq_u32_e32 vcc_lo, 0, v64
	v_add_nc_u32_e32 v38, v39, v112
	v_cndmask_b32_e64 v54, 1, 2, vcc_lo
	v_cmp_eq_u32_e32 vcc_lo, 0, v111
	s_delay_alu instid0(VALU_DEP_3) | instskip(NEXT) | instid1(VALU_DEP_3)
	v_add_nc_u32_e32 v37, v38, v64
	v_and_b32_e32 v53, v53, v54
	v_cndmask_b32_e64 v54, 1, 2, vcc_lo
	v_cmp_gt_u32_e32 vcc_lo, 0x100, v59
	s_delay_alu instid0(VALU_DEP_2) | instskip(NEXT) | instid1(VALU_DEP_1)
	v_and_b32_e32 v53, v53, v54
	v_cmp_gt_i16_e64 s15, 2, v53
	s_cbranch_vccz .LBB284_213
; %bb.207:
	s_delay_alu instid0(VALU_DEP_1)
	s_and_saveexec_b32 s16, s15
	s_cbranch_execz .LBB284_212
; %bb.208:
	s_mov_b32 s17, 0
	s_mov_b32 s15, exec_lo
	v_cmpx_ne_u16_e32 1, v53
	s_xor_b32 s15, exec_lo, s15
	s_cbranch_execnz .LBB284_278
; %bb.209:
	s_and_not1_saveexec_b32 s15, s15
	s_cbranch_execnz .LBB284_294
.LBB284_210:
	s_or_b32 exec_lo, exec_lo, s15
	s_delay_alu instid0(SALU_CYCLE_1)
	s_and_b32 exec_lo, exec_lo, s17
	s_cbranch_execz .LBB284_212
.LBB284_211:
	v_sub_nc_u32_e32 v54, v37, v77
	v_mov_b32_e32 v55, 0
	s_delay_alu instid0(VALU_DEP_1) | instskip(NEXT) | instid1(VALU_DEP_1)
	v_lshlrev_b64 v[54:55], 3, v[54:55]
	v_add_co_u32 v54, vcc_lo, v51, v54
	s_delay_alu instid0(VALU_DEP_2)
	v_add_co_ci_u32_e32 v55, vcc_lo, v52, v55, vcc_lo
	global_store_b64 v[54:55], v[57:58], off
.LBB284_212:
	s_or_b32 exec_lo, exec_lo, s16
	s_mov_b32 s16, 0
.LBB284_213:
	s_delay_alu instid0(SALU_CYCLE_1)
	s_and_b32 vcc_lo, exec_lo, s16
	s_cbranch_vccz .LBB284_223
; %bb.214:
	s_mov_b32 s15, exec_lo
	v_cmpx_gt_i16_e32 2, v53
	s_cbranch_execz .LBB284_219
; %bb.215:
	s_mov_b32 s17, 0
	s_mov_b32 s16, exec_lo
	v_cmpx_ne_u16_e32 1, v53
	s_xor_b32 s16, exec_lo, s16
	s_cbranch_execnz .LBB284_295
; %bb.216:
	s_and_not1_saveexec_b32 s0, s16
	s_cbranch_execnz .LBB284_311
.LBB284_217:
	s_or_b32 exec_lo, exec_lo, s0
	s_delay_alu instid0(SALU_CYCLE_1)
	s_and_b32 exec_lo, exec_lo, s17
	s_cbranch_execz .LBB284_219
.LBB284_218:
	v_sub_nc_u32_e32 v1, v37, v77
	s_delay_alu instid0(VALU_DEP_1)
	v_lshlrev_b32_e32 v1, 3, v1
	ds_store_b64 v1, v[57:58]
.LBB284_219:
	s_or_b32 exec_lo, exec_lo, s15
	s_delay_alu instid0(SALU_CYCLE_1)
	s_mov_b32 s1, exec_lo
	s_waitcnt lgkmcnt(0)
	s_waitcnt_vscnt null, 0x0
	s_barrier
	buffer_gl0_inv
	v_cmpx_lt_u32_e64 v0, v59
	s_cbranch_execz .LBB284_222
; %bb.220:
	v_dual_mov_b32 v2, 0 :: v_dual_lshlrev_b32 v3, 3, v0
	v_mov_b32_e32 v1, v0
	s_mov_b32 s2, 0
	.p2align	6
.LBB284_221:                            ; =>This Inner Loop Header: Depth=1
	ds_load_b64 v[4:5], v3
	v_lshlrev_b64 v[6:7], 3, v[1:2]
	v_add_nc_u32_e32 v1, 0x100, v1
	v_add_nc_u32_e32 v3, 0x800, v3
	s_delay_alu instid0(VALU_DEP_2) | instskip(NEXT) | instid1(VALU_DEP_4)
	v_cmp_ge_u32_e32 vcc_lo, v1, v59
	v_add_co_u32 v6, s0, v51, v6
	s_delay_alu instid0(VALU_DEP_1)
	v_add_co_ci_u32_e64 v7, s0, v52, v7, s0
	s_or_b32 s2, vcc_lo, s2
	s_waitcnt lgkmcnt(0)
	global_store_b64 v[6:7], v[4:5], off
	s_and_not1_b32 exec_lo, exec_lo, s2
	s_cbranch_execnz .LBB284_221
.LBB284_222:
	s_or_b32 exec_lo, exec_lo, s1
.LBB284_223:
	v_add_co_u32 v1, vcc_lo, v109, v31
	s_cmpk_lg_i32 s27, 0xf00
	v_add_co_ci_u32_e32 v2, vcc_lo, v110, v32, vcc_lo
	s_cselect_b32 s0, -1, 0
	v_cmp_eq_u32_e32 vcc_lo, 0, v0
	s_and_b32 s0, s26, s0
	v_cndmask_b32_e64 v8, 0, 1, s33
	v_mad_i32_i24 v5, v0, -15, s27
	v_cndmask_b32_e64 v4, 0, 1, s0
	s_mul_hi_u32 s0, s27, 0x88888889
	s_and_b32 s1, vcc_lo, s33
	s_lshr_b32 s0, s0, 3
	v_sub_nc_u32_e32 v3, v59, v8
	v_cndmask_b32_e64 v6, v63, 0, s1
	v_cmp_eq_u32_e32 vcc_lo, s0, v0
	v_cmp_ne_u32_e64 s0, 0, v5
	s_mov_b32 s16, -1
	s_waitcnt_vscnt null, 0x0
	s_barrier
	s_and_b32 vcc_lo, s26, vcc_lo
	v_add_nc_u32_e32 v3, v3, v4
	v_cndmask_b32_e64 v4, 1, v6, s0
	v_cmp_ne_u32_e64 s0, 1, v5
	buffer_gl0_inv
	v_cndmask_b32_e64 v7, 1, v72, s0
	v_cmp_ne_u32_e64 s0, 14, v5
	s_delay_alu instid0(VALU_DEP_1) | instskip(SKIP_1) | instid1(VALU_DEP_2)
	v_cndmask_b32_e64 v9, 1, v111, s0
	v_cmp_ne_u32_e64 s0, 2, v5
	v_dual_cndmask_b32 v12, v111, v9 :: v_dual_cndmask_b32 v9, v6, v4
	s_delay_alu instid0(VALU_DEP_2) | instskip(SKIP_1) | instid1(VALU_DEP_3)
	v_cndmask_b32_e64 v10, 1, v69, s0
	v_cmp_ne_u32_e64 s0, 3, v5
	v_cmp_ne_u32_e64 s14, 0, v9
	s_delay_alu instid0(VALU_DEP_3) | instskip(NEXT) | instid1(VALU_DEP_3)
	v_cndmask_b32_e32 v10, v69, v10, vcc_lo
	v_cndmask_b32_e64 v11, 1, v70, s0
	v_cmp_ne_u32_e64 s0, 4, v5
	s_delay_alu instid0(VALU_DEP_3) | instskip(NEXT) | instid1(VALU_DEP_2)
	v_cmp_ne_u32_e64 s12, 0, v10
	v_cndmask_b32_e64 v4, 1, v67, s0
	v_cmp_ne_u32_e64 s0, 5, v5
	s_delay_alu instid0(VALU_DEP_2) | instskip(NEXT) | instid1(VALU_DEP_2)
	v_dual_cndmask_b32 v13, v72, v7 :: v_dual_cndmask_b32 v18, v67, v4
	v_cndmask_b32_e64 v6, 1, v68, s0
	v_cmp_eq_u32_e64 s0, 0, v9
	s_delay_alu instid0(VALU_DEP_3) | instskip(NEXT) | instid1(VALU_DEP_4)
	v_cmp_ne_u32_e64 s13, 0, v13
	v_cmp_ne_u32_e64 s10, 0, v18
	s_delay_alu instid0(VALU_DEP_4) | instskip(NEXT) | instid1(VALU_DEP_4)
	v_cndmask_b32_e32 v19, v68, v6, vcc_lo
	v_cndmask_b32_e64 v7, 1, 2, s0
	v_cmp_eq_u32_e64 s0, 0, v13
	s_delay_alu instid0(VALU_DEP_1) | instskip(SKIP_1) | instid1(VALU_DEP_2)
	v_cndmask_b32_e64 v14, 1, 2, s0
	v_cmp_ne_u32_e64 s0, 6, v5
	v_and_b32_e32 v7, v14, v7
	s_delay_alu instid0(VALU_DEP_2) | instskip(SKIP_1) | instid1(VALU_DEP_2)
	v_cndmask_b32_e64 v15, 1, v65, s0
	v_cmp_eq_u32_e64 s0, 0, v10
	v_cndmask_b32_e32 v15, v65, v15, vcc_lo
	s_delay_alu instid0(VALU_DEP_2) | instskip(SKIP_1) | instid1(VALU_DEP_1)
	v_cndmask_b32_e64 v14, 1, 2, s0
	v_cmp_ne_u32_e64 s0, 7, v5
	v_cndmask_b32_e64 v16, 1, v66, s0
	v_cmp_ne_u32_e64 s0, 8, v5
	s_delay_alu instid0(VALU_DEP_2) | instskip(SKIP_1) | instid1(VALU_DEP_3)
	v_dual_cndmask_b32 v16, v66, v16 :: v_dual_and_b32 v7, v7, v14
	v_cndmask_b32_e32 v11, v70, v11, vcc_lo
	v_cndmask_b32_e64 v17, 1, v61, s0
	s_delay_alu instid0(VALU_DEP_3) | instskip(NEXT) | instid1(VALU_DEP_3)
	v_cmp_ne_u32_e64 s7, 0, v16
	v_cmp_eq_u32_e64 s0, 0, v11
	s_delay_alu instid0(VALU_DEP_3) | instskip(NEXT) | instid1(VALU_DEP_2)
	v_cndmask_b32_e32 v17, v61, v17, vcc_lo
	v_cndmask_b32_e64 v14, 1, 2, s0
	v_cmp_ne_u32_e64 s0, 9, v5
	s_delay_alu instid0(VALU_DEP_3) | instskip(NEXT) | instid1(VALU_DEP_3)
	v_cmp_ne_u32_e64 s6, 0, v17
	v_and_b32_e32 v6, v7, v14
	s_delay_alu instid0(VALU_DEP_3) | instskip(SKIP_2) | instid1(VALU_DEP_3)
	v_cndmask_b32_e64 v4, 1, v62, s0
	v_cmp_eq_u32_e64 s0, 0, v18
	v_cmp_ne_u32_e64 s11, 0, v11
	v_cndmask_b32_e32 v23, v62, v4, vcc_lo
	s_delay_alu instid0(VALU_DEP_3) | instskip(SKIP_1) | instid1(VALU_DEP_3)
	v_cndmask_b32_e64 v7, 1, 2, s0
	v_cmp_ne_u32_e64 s0, 10, v5
	v_cmp_ne_u32_e64 s5, 0, v23
	s_delay_alu instid0(VALU_DEP_3) | instskip(NEXT) | instid1(VALU_DEP_3)
	v_and_b32_e32 v6, v6, v7
	v_cndmask_b32_e64 v14, 1, v113, s0
	v_cmp_ne_u32_e64 s0, 12, v5
	v_cmp_ne_u32_e64 s9, 0, v19
	s_delay_alu instid0(VALU_DEP_3) | instskip(NEXT) | instid1(VALU_DEP_3)
	v_cndmask_b32_e32 v14, v113, v14, vcc_lo
	v_cndmask_b32_e64 v20, 1, v112, s0
	v_cmp_eq_u32_e64 s0, 0, v19
	s_delay_alu instid0(VALU_DEP_3) | instskip(NEXT) | instid1(VALU_DEP_3)
	v_cmp_ne_u32_e64 s4, 0, v14
	v_cndmask_b32_e32 v20, v112, v20, vcc_lo
	s_delay_alu instid0(VALU_DEP_3) | instskip(SKIP_1) | instid1(VALU_DEP_3)
	v_cndmask_b32_e64 v7, 1, 2, s0
	v_cmp_ne_u32_e64 s0, 13, v5
	v_cmp_ne_u32_e64 s2, 0, v20
	s_delay_alu instid0(VALU_DEP_2) | instskip(SKIP_1) | instid1(VALU_DEP_2)
	v_cndmask_b32_e64 v21, 1, v64, s0
	v_cmp_eq_u32_e64 s0, 0, v15
	v_dual_cndmask_b32 v21, v64, v21 :: v_dual_and_b32 v6, v6, v7
	s_delay_alu instid0(VALU_DEP_2) | instskip(SKIP_1) | instid1(VALU_DEP_3)
	v_cndmask_b32_e64 v7, 1, 2, s0
	v_cmp_ne_u32_e64 s0, 11, v5
	v_cmp_ne_u32_e64 s1, 0, v21
	s_delay_alu instid0(VALU_DEP_3) | instskip(NEXT) | instid1(VALU_DEP_3)
	v_and_b32_e32 v6, v6, v7
	v_cndmask_b32_e64 v5, 1, v60, s0
	v_cmp_eq_u32_e64 s0, 0, v16
	s_delay_alu instid0(VALU_DEP_2) | instskip(NEXT) | instid1(VALU_DEP_2)
	v_cndmask_b32_e32 v22, v60, v5, vcc_lo
	v_cndmask_b32_e64 v7, 1, 2, s0
	v_cmp_eq_u32_e32 vcc_lo, 0, v17
	v_cmp_ne_u32_e64 s8, 0, v15
	v_cmp_ne_u32_e64 s0, 0, v12
	;; [unrolled: 1-line block ×3, first 2 shown]
	v_and_b32_e32 v4, v6, v7
	v_cndmask_b32_e64 v5, 1, 2, vcc_lo
	v_add_co_u32 v6, vcc_lo, s44, v33
	v_add_co_ci_u32_e32 v7, vcc_lo, s45, v34, vcc_lo
	v_cmp_eq_u32_e32 vcc_lo, 0, v23
	s_delay_alu instid0(VALU_DEP_4)
	v_and_b32_e32 v24, v4, v5
	v_cndmask_b32_e64 v25, 1, 2, vcc_lo
	v_add_co_u32 v4, vcc_lo, v6, v35
	v_add_co_ci_u32_e32 v5, vcc_lo, v7, v36, vcc_lo
	v_lshlrev_b32_e32 v6, 3, v8
	v_cmp_eq_u32_e32 vcc_lo, 0, v14
	v_and_b32_e32 v7, v24, v25
	v_add_nc_u32_e32 v8, v77, v8
	v_cndmask_b32_e64 v24, 1, 2, vcc_lo
	v_add_co_u32 v6, vcc_lo, v6, v4
	v_add_co_ci_u32_e32 v25, vcc_lo, 0, v5, vcc_lo
	v_cmp_eq_u32_e32 vcc_lo, 0, v22
	s_delay_alu instid0(VALU_DEP_4) | instskip(SKIP_4) | instid1(VALU_DEP_4)
	v_and_b32_e32 v24, v7, v24
	v_cndmask_b32_e64 v26, 1, 2, vcc_lo
	v_add_co_u32 v6, vcc_lo, v6, -8
	v_add_co_ci_u32_e32 v7, vcc_lo, -1, v25, vcc_lo
	v_cmp_eq_u32_e32 vcc_lo, 0, v20
	v_and_b32_e32 v24, v24, v26
	v_cndmask_b32_e64 v25, 1, 2, vcc_lo
	v_cmp_eq_u32_e32 vcc_lo, 0, v21
	s_delay_alu instid0(VALU_DEP_2) | instskip(SKIP_2) | instid1(VALU_DEP_2)
	v_and_b32_e32 v9, v24, v25
	v_cndmask_b32_e64 v10, 1, 2, vcc_lo
	v_cmp_eq_u32_e32 vcc_lo, 0, v12
	v_and_b32_e32 v9, v9, v10
	v_cndmask_b32_e64 v10, 1, 2, vcc_lo
	v_cmp_gt_u32_e32 vcc_lo, 0x100, v3
	s_delay_alu instid0(VALU_DEP_2) | instskip(NEXT) | instid1(VALU_DEP_1)
	v_and_b32_e32 v9, v9, v10
	v_cmp_gt_i16_e64 s15, 2, v9
	s_cbranch_vccnz .LBB284_227
; %bb.224:
	s_and_b32 vcc_lo, exec_lo, s16
	s_cbranch_vccnz .LBB284_233
.LBB284_225:
	v_cmp_eq_u32_e32 vcc_lo, 0xff, v0
	s_and_b32 s0, vcc_lo, s26
	s_delay_alu instid0(SALU_CYCLE_1)
	s_and_saveexec_b32 s1, s0
	s_cbranch_execnz .LBB284_242
.LBB284_226:
	s_nop 0
	s_sendmsg sendmsg(MSG_DEALLOC_VGPRS)
	s_endpgm
.LBB284_227:
	s_delay_alu instid0(VALU_DEP_1)
	s_and_saveexec_b32 s16, s15
	s_cbranch_execz .LBB284_232
; %bb.228:
	s_mov_b32 s17, 0
	s_mov_b32 s15, exec_lo
	v_cmpx_ne_u16_e32 1, v9
	s_xor_b32 s15, exec_lo, s15
	s_cbranch_execnz .LBB284_312
; %bb.229:
	s_and_not1_saveexec_b32 s15, s15
	s_cbranch_execnz .LBB284_328
.LBB284_230:
	s_or_b32 exec_lo, exec_lo, s15
	s_delay_alu instid0(SALU_CYCLE_1)
	s_and_b32 exec_lo, exec_lo, s17
	s_cbranch_execz .LBB284_232
.LBB284_231:
	v_sub_nc_u32_e32 v10, v37, v8
	v_mov_b32_e32 v11, 0
	s_delay_alu instid0(VALU_DEP_1) | instskip(NEXT) | instid1(VALU_DEP_1)
	v_lshlrev_b64 v[10:11], 3, v[10:11]
	v_add_co_u32 v10, vcc_lo, v6, v10
	s_delay_alu instid0(VALU_DEP_2)
	v_add_co_ci_u32_e32 v11, vcc_lo, v7, v11, vcc_lo
	global_store_b64 v[10:11], v[1:2], off
.LBB284_232:
	s_or_b32 exec_lo, exec_lo, s16
	s_branch .LBB284_225
.LBB284_233:
	s_mov_b32 s15, exec_lo
	v_cmpx_gt_i16_e32 2, v9
	s_cbranch_execz .LBB284_238
; %bb.234:
	s_mov_b32 s17, 0
	s_mov_b32 s16, exec_lo
	v_cmpx_ne_u16_e32 1, v9
	s_xor_b32 s16, exec_lo, s16
	s_cbranch_execnz .LBB284_329
; %bb.235:
	s_and_not1_saveexec_b32 s0, s16
	s_cbranch_execnz .LBB284_345
.LBB284_236:
	s_or_b32 exec_lo, exec_lo, s0
	s_delay_alu instid0(SALU_CYCLE_1)
	s_and_b32 exec_lo, exec_lo, s17
	s_cbranch_execz .LBB284_238
.LBB284_237:
	v_sub_nc_u32_e32 v8, v37, v8
	s_delay_alu instid0(VALU_DEP_1)
	v_lshlrev_b32_e32 v8, 3, v8
	ds_store_b64 v8, v[1:2]
.LBB284_238:
	s_or_b32 exec_lo, exec_lo, s15
	s_delay_alu instid0(SALU_CYCLE_1)
	s_mov_b32 s1, exec_lo
	s_waitcnt lgkmcnt(0)
	s_waitcnt_vscnt null, 0x0
	s_barrier
	buffer_gl0_inv
	v_cmpx_lt_u32_e64 v0, v3
	s_cbranch_execz .LBB284_241
; %bb.239:
	v_dual_mov_b32 v1, v0 :: v_dual_lshlrev_b32 v8, 3, v0
	v_mov_b32_e32 v2, 0
	s_mov_b32 s2, 0
	.p2align	6
.LBB284_240:                            ; =>This Inner Loop Header: Depth=1
	ds_load_b64 v[9:10], v8
	v_lshlrev_b64 v[11:12], 3, v[1:2]
	v_add_nc_u32_e32 v1, 0x100, v1
	v_add_nc_u32_e32 v8, 0x800, v8
	s_delay_alu instid0(VALU_DEP_2) | instskip(NEXT) | instid1(VALU_DEP_4)
	v_cmp_ge_u32_e32 vcc_lo, v1, v3
	v_add_co_u32 v11, s0, v6, v11
	s_delay_alu instid0(VALU_DEP_1)
	v_add_co_ci_u32_e64 v12, s0, v7, v12, s0
	s_or_b32 s2, vcc_lo, s2
	s_waitcnt lgkmcnt(0)
	global_store_b64 v[11:12], v[9:10], off
	s_and_not1_b32 exec_lo, exec_lo, s2
	s_cbranch_execnz .LBB284_240
.LBB284_241:
	s_or_b32 exec_lo, exec_lo, s1
	v_cmp_eq_u32_e32 vcc_lo, 0xff, v0
	s_and_b32 s0, vcc_lo, s26
	s_delay_alu instid0(SALU_CYCLE_1)
	s_and_saveexec_b32 s1, s0
	s_cbranch_execz .LBB284_226
.LBB284_242:
	v_add_co_u32 v0, s0, v59, v77
	s_delay_alu instid0(VALU_DEP_1) | instskip(SKIP_1) | instid1(VALU_DEP_3)
	v_add_co_ci_u32_e64 v1, null, 0, 0, s0
	v_mov_b32_e32 v60, 0
	v_add_co_u32 v0, vcc_lo, v0, v29
	s_delay_alu instid0(VALU_DEP_3)
	v_add_co_ci_u32_e32 v1, vcc_lo, v1, v30, vcc_lo
	s_cmpk_lg_i32 s27, 0xf00
	global_store_b64 v60, v[0:1], s[46:47]
	s_cbranch_scc1 .LBB284_226
; %bb.243:
	v_lshlrev_b64 v[0:1], 3, v[59:60]
	s_delay_alu instid0(VALU_DEP_1) | instskip(NEXT) | instid1(VALU_DEP_2)
	v_add_co_u32 v0, vcc_lo, v4, v0
	v_add_co_ci_u32_e32 v1, vcc_lo, v5, v1, vcc_lo
	global_store_b64 v[0:1], v[75:76], off offset:-8
	s_nop 0
	s_sendmsg sendmsg(MSG_DEALLOC_VGPRS)
	s_endpgm
.LBB284_244:
                                        ; implicit-def: $sgpr2
                                        ; implicit-def: $vgpr111
                                        ; implicit-def: $vgpr76
                                        ; implicit-def: $vgpr112
                                        ; implicit-def: $vgpr60
                                        ; implicit-def: $vgpr113
                                        ; implicit-def: $vgpr62
                                        ; implicit-def: $vgpr61
                                        ; implicit-def: $vgpr66
                                        ; implicit-def: $vgpr65
                                        ; implicit-def: $vgpr68
                                        ; implicit-def: $vgpr67
                                        ; implicit-def: $vgpr70
                                        ; implicit-def: $vgpr69
                                        ; implicit-def: $vgpr72
	s_cbranch_execz .LBB284_110
; %bb.245:
	v_dual_mov_b32 v64, 0 :: v_dual_lshlrev_b32 v75, 3, v0
	v_mov_b32_e32 v111, 0
	s_mov_b32 s2, exec_lo
	ds_store_b64 v75, v[57:58]
	v_cmpx_gt_u64_e64 s[0:1], v[63:64]
; %bb.246:
	v_mul_hi_i32 v59, 0x66666667, v3
	v_mul_hi_i32 v60, 0x66666667, v57
	s_delay_alu instid0(VALU_DEP_2) | instskip(SKIP_1) | instid1(VALU_DEP_3)
	v_lshrrev_b32_e32 v61, 31, v59
	v_ashrrev_i32_e32 v59, 2, v59
	v_lshrrev_b32_e32 v62, 31, v60
	v_ashrrev_i32_e32 v60, 2, v60
	s_delay_alu instid0(VALU_DEP_3) | instskip(NEXT) | instid1(VALU_DEP_2)
	v_add_nc_u32_e32 v59, v59, v61
	v_add_nc_u32_e32 v60, v60, v62
	s_delay_alu instid0(VALU_DEP_1)
	v_cmp_ne_u32_e32 vcc_lo, v59, v60
	v_cndmask_b32_e64 v111, 0, 1, vcc_lo
; %bb.247:
	s_or_b32 exec_lo, exec_lo, s2
	v_add_nc_u32_e32 v63, 13, v77
	s_mov_b32 s2, exec_lo
	s_delay_alu instid0(VALU_DEP_1)
	v_cmpx_gt_u64_e64 s[0:1], v[63:64]
; %bb.248:
	v_mul_hi_i32 v59, 0x66666667, v1
	v_mul_hi_i32 v60, 0x66666667, v3
	s_delay_alu instid0(VALU_DEP_2) | instskip(SKIP_1) | instid1(VALU_DEP_3)
	v_lshrrev_b32_e32 v61, 31, v59
	v_ashrrev_i32_e32 v59, 2, v59
	v_lshrrev_b32_e32 v62, 31, v60
	v_ashrrev_i32_e32 v60, 2, v60
	s_delay_alu instid0(VALU_DEP_3) | instskip(NEXT) | instid1(VALU_DEP_2)
	v_add_nc_u32_e32 v59, v59, v61
	v_add_nc_u32_e32 v60, v60, v62
	s_delay_alu instid0(VALU_DEP_1)
	v_cmp_ne_u32_e32 vcc_lo, v59, v60
	v_cndmask_b32_e64 v64, 0, 1, vcc_lo
; %bb.249:
	s_or_b32 exec_lo, exec_lo, s2
	v_dual_mov_b32 v60, 0 :: v_dual_add_nc_u32 v59, 12, v77
	v_mov_b32_e32 v112, 0
	s_mov_b32 s2, exec_lo
	s_delay_alu instid0(VALU_DEP_2)
	v_cmpx_gt_u64_e64 s[0:1], v[59:60]
; %bb.250:
	v_mul_hi_i32 v59, 0x66666667, v7
	v_mul_hi_i32 v61, 0x66666667, v1
	s_delay_alu instid0(VALU_DEP_2) | instskip(SKIP_1) | instid1(VALU_DEP_3)
	v_lshrrev_b32_e32 v62, 31, v59
	v_ashrrev_i32_e32 v59, 2, v59
	v_lshrrev_b32_e32 v63, 31, v61
	v_ashrrev_i32_e32 v61, 2, v61
	s_delay_alu instid0(VALU_DEP_3) | instskip(NEXT) | instid1(VALU_DEP_2)
	v_add_nc_u32_e32 v59, v59, v62
	v_add_nc_u32_e32 v61, v61, v63
	s_delay_alu instid0(VALU_DEP_1)
	v_cmp_ne_u32_e32 vcc_lo, v59, v61
	v_cndmask_b32_e64 v112, 0, 1, vcc_lo
; %bb.251:
	s_or_b32 exec_lo, exec_lo, s2
	v_add_nc_u32_e32 v59, 11, v77
	s_mov_b32 s2, exec_lo
	s_delay_alu instid0(VALU_DEP_1)
	v_cmpx_gt_u64_e64 s[0:1], v[59:60]
; %bb.252:
	v_mul_hi_i32 v59, 0x66666667, v5
	v_mul_hi_i32 v60, 0x66666667, v7
	s_delay_alu instid0(VALU_DEP_2) | instskip(SKIP_1) | instid1(VALU_DEP_3)
	v_lshrrev_b32_e32 v61, 31, v59
	v_ashrrev_i32_e32 v59, 2, v59
	v_lshrrev_b32_e32 v62, 31, v60
	v_ashrrev_i32_e32 v60, 2, v60
	s_delay_alu instid0(VALU_DEP_3) | instskip(NEXT) | instid1(VALU_DEP_2)
	v_add_nc_u32_e32 v59, v59, v61
	v_add_nc_u32_e32 v60, v60, v62
	s_delay_alu instid0(VALU_DEP_1)
	v_cmp_ne_u32_e32 vcc_lo, v59, v60
	v_cndmask_b32_e64 v60, 0, 1, vcc_lo
; %bb.253:
	s_or_b32 exec_lo, exec_lo, s2
	v_dual_mov_b32 v62, 0 :: v_dual_add_nc_u32 v61, 10, v77
	v_mov_b32_e32 v113, 0
	s_mov_b32 s2, exec_lo
	s_delay_alu instid0(VALU_DEP_2)
	;; [unrolled: 41-line block ×6, first 2 shown]
	v_cmpx_gt_u64_e64 s[0:1], v[71:72]
; %bb.270:
	v_mul_hi_i32 v59, 0x66666667, v27
	v_mul_hi_i32 v63, 0x66666667, v21
	s_delay_alu instid0(VALU_DEP_2) | instskip(SKIP_1) | instid1(VALU_DEP_3)
	v_lshrrev_b32_e32 v69, 31, v59
	v_ashrrev_i32_e32 v59, 2, v59
	v_lshrrev_b32_e32 v71, 31, v63
	v_ashrrev_i32_e32 v63, 2, v63
	s_delay_alu instid0(VALU_DEP_3) | instskip(NEXT) | instid1(VALU_DEP_2)
	v_add_nc_u32_e32 v59, v59, v69
	v_add_nc_u32_e32 v63, v63, v71
	s_delay_alu instid0(VALU_DEP_1)
	v_cmp_ne_u32_e32 vcc_lo, v59, v63
	v_cndmask_b32_e64 v69, 0, 1, vcc_lo
; %bb.271:
	s_or_b32 exec_lo, exec_lo, s2
	v_add_nc_u32_e32 v71, 1, v77
	s_mov_b32 s2, exec_lo
	s_delay_alu instid0(VALU_DEP_1)
	v_cmpx_gt_u64_e64 s[0:1], v[71:72]
; %bb.272:
	v_mul_hi_i32 v59, 0x66666667, v25
	v_mul_hi_i32 v63, 0x66666667, v27
	s_delay_alu instid0(VALU_DEP_2) | instskip(SKIP_1) | instid1(VALU_DEP_3)
	v_lshrrev_b32_e32 v71, 31, v59
	v_ashrrev_i32_e32 v59, 2, v59
	v_lshrrev_b32_e32 v72, 31, v63
	v_ashrrev_i32_e32 v63, 2, v63
	s_delay_alu instid0(VALU_DEP_3) | instskip(NEXT) | instid1(VALU_DEP_2)
	v_add_nc_u32_e32 v59, v59, v71
	v_add_nc_u32_e32 v63, v63, v72
	s_delay_alu instid0(VALU_DEP_1)
	v_cmp_ne_u32_e32 vcc_lo, v59, v63
	v_cndmask_b32_e64 v72, 0, 1, vcc_lo
; %bb.273:
	s_or_b32 exec_lo, exec_lo, s2
	s_mov_b32 s4, 0
	s_mov_b32 s3, exec_lo
	s_waitcnt lgkmcnt(0)
	s_barrier
	buffer_gl0_inv
                                        ; implicit-def: $sgpr2
	v_cmpx_ne_u32_e32 0, v0
	s_cbranch_execz .LBB284_277
; %bb.274:
	v_mov_b32_e32 v78, 0
	s_delay_alu instid0(VALU_DEP_1)
	v_cmp_gt_u64_e32 vcc_lo, s[0:1], v[77:78]
	s_and_saveexec_b32 s0, vcc_lo
	s_cbranch_execz .LBB284_276
; %bb.275:
	v_add_nc_u32_e32 v59, -8, v75
	v_mul_hi_i32 v63, 0x66666667, v25
	ds_load_b32 v59, v59
	v_lshrrev_b32_e32 v71, 31, v63
	v_ashrrev_i32_e32 v63, 2, v63
	s_delay_alu instid0(VALU_DEP_1) | instskip(SKIP_2) | instid1(VALU_DEP_1)
	v_add_nc_u32_e32 v63, v63, v71
	s_waitcnt lgkmcnt(0)
	v_mul_hi_i32 v59, 0x66666667, v59
	v_lshrrev_b32_e32 v75, 31, v59
	v_ashrrev_i32_e32 v59, 2, v59
	s_delay_alu instid0(VALU_DEP_1) | instskip(NEXT) | instid1(VALU_DEP_1)
	v_add_nc_u32_e32 v59, v59, v75
	v_cmp_ne_u32_e32 vcc_lo, v59, v63
	s_and_b32 s4, vcc_lo, exec_lo
.LBB284_276:
	s_or_b32 exec_lo, exec_lo, s0
	s_delay_alu instid0(SALU_CYCLE_1)
	s_and_b32 s2, s4, exec_lo
	s_or_b32 s37, s37, exec_lo
.LBB284_277:
	s_or_b32 exec_lo, exec_lo, s3
	v_mov_b32_e32 v76, v64
	s_mov_b32 s0, 1
	s_delay_alu instid0(SALU_CYCLE_1)
	v_mov_b32_e32 v63, s0
	s_and_saveexec_b32 s0, s37
	s_cbranch_execnz .LBB284_112
	s_branch .LBB284_113
.LBB284_278:
	s_and_saveexec_b32 s17, s12
	s_cbranch_execnz .LBB284_346
; %bb.279:
	s_or_b32 exec_lo, exec_lo, s17
	s_and_saveexec_b32 s17, s11
	s_cbranch_execnz .LBB284_347
.LBB284_280:
	s_or_b32 exec_lo, exec_lo, s17
	s_and_saveexec_b32 s17, s9
	s_cbranch_execnz .LBB284_348
.LBB284_281:
	s_or_b32 exec_lo, exec_lo, s17
	s_and_saveexec_b32 s17, s8
	s_cbranch_execnz .LBB284_349
.LBB284_282:
	s_or_b32 exec_lo, exec_lo, s17
	s_and_saveexec_b32 s17, s14
	s_cbranch_execnz .LBB284_350
.LBB284_283:
	s_or_b32 exec_lo, exec_lo, s17
	s_and_saveexec_b32 s17, s13
	s_cbranch_execnz .LBB284_351
.LBB284_284:
	s_or_b32 exec_lo, exec_lo, s17
	s_and_saveexec_b32 s17, s10
	s_cbranch_execnz .LBB284_352
.LBB284_285:
	s_or_b32 exec_lo, exec_lo, s17
	s_and_saveexec_b32 s17, s7
	s_cbranch_execnz .LBB284_353
.LBB284_286:
	s_or_b32 exec_lo, exec_lo, s17
	s_and_saveexec_b32 s17, s6
	s_cbranch_execnz .LBB284_354
.LBB284_287:
	s_or_b32 exec_lo, exec_lo, s17
	s_and_saveexec_b32 s17, s5
	s_cbranch_execnz .LBB284_355
.LBB284_288:
	s_or_b32 exec_lo, exec_lo, s17
	s_and_saveexec_b32 s17, s4
	s_cbranch_execnz .LBB284_356
.LBB284_289:
	s_or_b32 exec_lo, exec_lo, s17
	s_and_saveexec_b32 s17, s3
	s_cbranch_execnz .LBB284_357
.LBB284_290:
	s_or_b32 exec_lo, exec_lo, s17
	s_and_saveexec_b32 s17, s2
	s_cbranch_execnz .LBB284_358
.LBB284_291:
	s_or_b32 exec_lo, exec_lo, s17
	s_and_saveexec_b32 s17, s1
	s_cbranch_execz .LBB284_293
.LBB284_292:
	v_sub_nc_u32_e32 v54, v38, v77
	v_mov_b32_e32 v55, 0
	s_delay_alu instid0(VALU_DEP_1) | instskip(NEXT) | instid1(VALU_DEP_1)
	v_lshlrev_b64 v[54:55], 3, v[54:55]
	v_add_co_u32 v54, vcc_lo, v51, v54
	s_delay_alu instid0(VALU_DEP_2)
	v_add_co_ci_u32_e32 v55, vcc_lo, v52, v55, vcc_lo
	global_store_b64 v[54:55], v[3:4], off
.LBB284_293:
	s_or_b32 exec_lo, exec_lo, s17
	s_delay_alu instid0(SALU_CYCLE_1)
	s_and_b32 s17, s0, exec_lo
	s_and_not1_saveexec_b32 s15, s15
	s_cbranch_execz .LBB284_210
.LBB284_294:
	v_sub_nc_u32_e32 v54, v71, v77
	v_mov_b32_e32 v55, 0
	s_or_b32 s17, s17, exec_lo
	s_delay_alu instid0(VALU_DEP_1) | instskip(SKIP_1) | instid1(VALU_DEP_1)
	v_lshlrev_b64 v[73:74], 3, v[54:55]
	v_sub_nc_u32_e32 v54, v48, v77
	v_lshlrev_b64 v[107:108], 3, v[54:55]
	v_sub_nc_u32_e32 v54, v50, v77
	s_delay_alu instid0(VALU_DEP_4) | instskip(SKIP_1) | instid1(VALU_DEP_3)
	v_add_co_u32 v73, vcc_lo, v51, v73
	v_add_co_ci_u32_e32 v74, vcc_lo, v52, v74, vcc_lo
	v_lshlrev_b64 v[114:115], 3, v[54:55]
	v_sub_nc_u32_e32 v54, v49, v77
	v_add_co_u32 v107, vcc_lo, v51, v107
	v_add_co_ci_u32_e32 v108, vcc_lo, v52, v108, vcc_lo
	global_store_b64 v[73:74], v[25:26], off
	v_lshlrev_b64 v[73:74], 3, v[54:55]
	v_sub_nc_u32_e32 v54, v47, v77
	global_store_b64 v[107:108], v[27:28], off
	v_add_co_u32 v107, vcc_lo, v51, v114
	v_add_co_ci_u32_e32 v108, vcc_lo, v52, v115, vcc_lo
	v_lshlrev_b64 v[114:115], 3, v[54:55]
	v_sub_nc_u32_e32 v54, v46, v77
	v_add_co_u32 v73, vcc_lo, v51, v73
	v_add_co_ci_u32_e32 v74, vcc_lo, v52, v74, vcc_lo
	s_delay_alu instid0(VALU_DEP_3) | instskip(SKIP_3) | instid1(VALU_DEP_3)
	v_lshlrev_b64 v[116:117], 3, v[54:55]
	v_sub_nc_u32_e32 v54, v45, v77
	v_add_co_u32 v114, vcc_lo, v51, v114
	v_add_co_ci_u32_e32 v115, vcc_lo, v52, v115, vcc_lo
	v_lshlrev_b64 v[118:119], 3, v[54:55]
	v_sub_nc_u32_e32 v54, v44, v77
	v_add_co_u32 v116, vcc_lo, v51, v116
	v_add_co_ci_u32_e32 v117, vcc_lo, v52, v117, vcc_lo
	s_clause 0x3
	global_store_b64 v[107:108], v[21:22], off
	global_store_b64 v[73:74], v[23:24], off
	;; [unrolled: 1-line block ×4, first 2 shown]
	v_lshlrev_b64 v[73:74], 3, v[54:55]
	v_sub_nc_u32_e32 v54, v43, v77
	v_add_co_u32 v107, vcc_lo, v51, v118
	v_add_co_ci_u32_e32 v108, vcc_lo, v52, v119, vcc_lo
	s_delay_alu instid0(VALU_DEP_3) | instskip(SKIP_3) | instid1(VALU_DEP_3)
	v_lshlrev_b64 v[114:115], 3, v[54:55]
	v_sub_nc_u32_e32 v54, v42, v77
	v_add_co_u32 v73, vcc_lo, v51, v73
	v_add_co_ci_u32_e32 v74, vcc_lo, v52, v74, vcc_lo
	v_lshlrev_b64 v[116:117], 3, v[54:55]
	v_sub_nc_u32_e32 v54, v41, v77
	v_add_co_u32 v114, vcc_lo, v51, v114
	v_add_co_ci_u32_e32 v115, vcc_lo, v52, v115, vcc_lo
	s_delay_alu instid0(VALU_DEP_3)
	v_lshlrev_b64 v[118:119], 3, v[54:55]
	v_sub_nc_u32_e32 v54, v40, v77
	v_add_co_u32 v116, vcc_lo, v51, v116
	v_add_co_ci_u32_e32 v117, vcc_lo, v52, v117, vcc_lo
	s_clause 0x3
	global_store_b64 v[107:108], v[13:14], off
	global_store_b64 v[73:74], v[15:16], off
	;; [unrolled: 1-line block ×4, first 2 shown]
	v_lshlrev_b64 v[73:74], 3, v[54:55]
	v_sub_nc_u32_e32 v54, v39, v77
	v_add_co_u32 v107, vcc_lo, v51, v118
	v_add_co_ci_u32_e32 v108, vcc_lo, v52, v119, vcc_lo
	s_delay_alu instid0(VALU_DEP_3) | instskip(SKIP_3) | instid1(VALU_DEP_3)
	v_lshlrev_b64 v[114:115], 3, v[54:55]
	v_sub_nc_u32_e32 v54, v38, v77
	v_add_co_u32 v73, vcc_lo, v51, v73
	v_add_co_ci_u32_e32 v74, vcc_lo, v52, v74, vcc_lo
	v_lshlrev_b64 v[54:55], 3, v[54:55]
	v_add_co_u32 v114, vcc_lo, v51, v114
	v_add_co_ci_u32_e32 v115, vcc_lo, v52, v115, vcc_lo
	s_clause 0x2
	global_store_b64 v[107:108], v[5:6], off
	global_store_b64 v[73:74], v[7:8], off
	;; [unrolled: 1-line block ×3, first 2 shown]
	v_add_co_u32 v54, vcc_lo, v51, v54
	v_add_co_ci_u32_e32 v55, vcc_lo, v52, v55, vcc_lo
	global_store_b64 v[54:55], v[3:4], off
	s_or_b32 exec_lo, exec_lo, s15
	s_delay_alu instid0(SALU_CYCLE_1)
	s_and_b32 exec_lo, exec_lo, s17
	s_cbranch_execnz .LBB284_211
	s_branch .LBB284_212
.LBB284_295:
	s_and_saveexec_b32 s17, s12
	s_cbranch_execnz .LBB284_359
; %bb.296:
	s_or_b32 exec_lo, exec_lo, s17
	s_and_saveexec_b32 s12, s11
	s_cbranch_execnz .LBB284_360
.LBB284_297:
	s_or_b32 exec_lo, exec_lo, s12
	s_and_saveexec_b32 s11, s9
	s_cbranch_execnz .LBB284_361
.LBB284_298:
	s_or_b32 exec_lo, exec_lo, s11
	s_and_saveexec_b32 s9, s8
	s_cbranch_execnz .LBB284_362
.LBB284_299:
	s_or_b32 exec_lo, exec_lo, s9
	s_and_saveexec_b32 s8, s14
	s_cbranch_execnz .LBB284_363
.LBB284_300:
	s_or_b32 exec_lo, exec_lo, s8
	s_and_saveexec_b32 s8, s13
	s_cbranch_execnz .LBB284_364
.LBB284_301:
	s_or_b32 exec_lo, exec_lo, s8
	s_and_saveexec_b32 s8, s10
	s_cbranch_execnz .LBB284_365
.LBB284_302:
	s_or_b32 exec_lo, exec_lo, s8
	s_and_saveexec_b32 s8, s7
	s_cbranch_execnz .LBB284_366
.LBB284_303:
	s_or_b32 exec_lo, exec_lo, s8
	s_and_saveexec_b32 s7, s6
	s_cbranch_execnz .LBB284_367
.LBB284_304:
	s_or_b32 exec_lo, exec_lo, s7
	s_and_saveexec_b32 s6, s5
	s_cbranch_execnz .LBB284_368
.LBB284_305:
	s_or_b32 exec_lo, exec_lo, s6
	s_and_saveexec_b32 s5, s4
	s_cbranch_execnz .LBB284_369
.LBB284_306:
	s_or_b32 exec_lo, exec_lo, s5
	s_and_saveexec_b32 s4, s3
	s_cbranch_execnz .LBB284_370
.LBB284_307:
	s_or_b32 exec_lo, exec_lo, s4
	s_and_saveexec_b32 s3, s2
	s_cbranch_execnz .LBB284_371
.LBB284_308:
	s_or_b32 exec_lo, exec_lo, s3
	s_and_saveexec_b32 s2, s1
	s_cbranch_execz .LBB284_310
.LBB284_309:
	v_sub_nc_u32_e32 v1, v38, v77
	s_delay_alu instid0(VALU_DEP_1)
	v_lshlrev_b32_e32 v1, 3, v1
	ds_store_b64 v1, v[3:4]
.LBB284_310:
	s_or_b32 exec_lo, exec_lo, s2
	s_delay_alu instid0(SALU_CYCLE_1)
	s_and_b32 s17, s0, exec_lo
                                        ; implicit-def: $vgpr25_vgpr26
                                        ; implicit-def: $vgpr21_vgpr22
                                        ; implicit-def: $vgpr17_vgpr18
                                        ; implicit-def: $vgpr13_vgpr14
                                        ; implicit-def: $vgpr9_vgpr10
                                        ; implicit-def: $vgpr5_vgpr6
                                        ; implicit-def: $vgpr1_vgpr2
	s_and_not1_saveexec_b32 s0, s16
	s_cbranch_execz .LBB284_217
.LBB284_311:
	v_sub_nc_u32_e32 v53, v71, v77
	v_sub_nc_u32_e32 v54, v48, v77
	;; [unrolled: 1-line block ×4, first 2 shown]
	s_or_b32 s17, s17, exec_lo
	v_lshlrev_b32_e32 v53, 3, v53
	v_lshlrev_b32_e32 v54, 3, v54
	;; [unrolled: 1-line block ×4, first 2 shown]
	ds_store_b64 v53, v[25:26]
	ds_store_b64 v54, v[27:28]
	;; [unrolled: 1-line block ×3, first 2 shown]
	v_sub_nc_u32_e32 v21, v47, v77
	v_sub_nc_u32_e32 v22, v46, v77
	ds_store_b64 v56, v[23:24]
	v_sub_nc_u32_e32 v23, v45, v77
	v_sub_nc_u32_e32 v24, v44, v77
	v_lshlrev_b32_e32 v21, 3, v21
	v_sub_nc_u32_e32 v25, v43, v77
	v_lshlrev_b32_e32 v22, 3, v22
	v_lshlrev_b32_e32 v23, 3, v23
	;; [unrolled: 1-line block ×3, first 2 shown]
	ds_store_b64 v21, v[17:18]
	v_lshlrev_b32_e32 v17, 3, v25
	ds_store_b64 v22, v[19:20]
	ds_store_b64 v23, v[13:14]
	;; [unrolled: 1-line block ×3, first 2 shown]
	v_sub_nc_u32_e32 v13, v42, v77
	v_sub_nc_u32_e32 v15, v38, v77
	v_sub_nc_u32_e32 v14, v39, v77
	ds_store_b64 v17, v[9:10]
	v_sub_nc_u32_e32 v9, v41, v77
	v_lshlrev_b32_e32 v13, 3, v13
	v_sub_nc_u32_e32 v10, v40, v77
	v_lshlrev_b32_e32 v14, 3, v14
	s_delay_alu instid0(VALU_DEP_4)
	v_lshlrev_b32_e32 v9, 3, v9
	ds_store_b64 v13, v[11:12]
	v_lshlrev_b32_e32 v11, 3, v15
	v_lshlrev_b32_e32 v10, 3, v10
	ds_store_b64 v9, v[5:6]
	ds_store_b64 v10, v[7:8]
	;; [unrolled: 1-line block ×4, first 2 shown]
	s_or_b32 exec_lo, exec_lo, s0
	s_delay_alu instid0(SALU_CYCLE_1)
	s_and_b32 exec_lo, exec_lo, s17
	s_cbranch_execnz .LBB284_218
	s_branch .LBB284_219
.LBB284_312:
	s_and_saveexec_b32 s17, s14
	s_cbranch_execnz .LBB284_372
; %bb.313:
	s_or_b32 exec_lo, exec_lo, s17
	s_and_saveexec_b32 s17, s13
	s_cbranch_execnz .LBB284_373
.LBB284_314:
	s_or_b32 exec_lo, exec_lo, s17
	s_and_saveexec_b32 s17, s12
	s_cbranch_execnz .LBB284_374
.LBB284_315:
	s_or_b32 exec_lo, exec_lo, s17
	s_and_saveexec_b32 s17, s11
	s_cbranch_execnz .LBB284_375
.LBB284_316:
	s_or_b32 exec_lo, exec_lo, s17
	s_and_saveexec_b32 s17, s10
	s_cbranch_execnz .LBB284_376
.LBB284_317:
	s_or_b32 exec_lo, exec_lo, s17
	s_and_saveexec_b32 s17, s9
	s_cbranch_execnz .LBB284_377
.LBB284_318:
	s_or_b32 exec_lo, exec_lo, s17
	s_and_saveexec_b32 s17, s8
	s_cbranch_execnz .LBB284_378
.LBB284_319:
	s_or_b32 exec_lo, exec_lo, s17
	s_and_saveexec_b32 s17, s7
	s_cbranch_execnz .LBB284_379
.LBB284_320:
	s_or_b32 exec_lo, exec_lo, s17
	s_and_saveexec_b32 s17, s6
	s_cbranch_execnz .LBB284_380
.LBB284_321:
	s_or_b32 exec_lo, exec_lo, s17
	s_and_saveexec_b32 s17, s5
	s_cbranch_execnz .LBB284_381
.LBB284_322:
	s_or_b32 exec_lo, exec_lo, s17
	s_and_saveexec_b32 s17, s4
	s_cbranch_execnz .LBB284_382
.LBB284_323:
	s_or_b32 exec_lo, exec_lo, s17
	s_and_saveexec_b32 s17, s3
	s_cbranch_execnz .LBB284_383
.LBB284_324:
	s_or_b32 exec_lo, exec_lo, s17
	s_and_saveexec_b32 s17, s2
	s_cbranch_execnz .LBB284_384
.LBB284_325:
	s_or_b32 exec_lo, exec_lo, s17
	s_and_saveexec_b32 s17, s1
	s_cbranch_execz .LBB284_327
.LBB284_326:
	v_sub_nc_u32_e32 v10, v38, v8
	v_mov_b32_e32 v11, 0
	s_delay_alu instid0(VALU_DEP_1) | instskip(NEXT) | instid1(VALU_DEP_1)
	v_lshlrev_b64 v[10:11], 3, v[10:11]
	v_add_co_u32 v10, vcc_lo, v6, v10
	s_delay_alu instid0(VALU_DEP_2)
	v_add_co_ci_u32_e32 v11, vcc_lo, v7, v11, vcc_lo
	global_store_b64 v[10:11], v[103:104], off
.LBB284_327:
	s_or_b32 exec_lo, exec_lo, s17
	s_delay_alu instid0(SALU_CYCLE_1)
	s_and_b32 s17, s0, exec_lo
	s_and_not1_saveexec_b32 s15, s15
	s_cbranch_execz .LBB284_230
.LBB284_328:
	v_sub_nc_u32_e32 v10, v71, v8
	v_mov_b32_e32 v11, 0
	s_or_b32 s17, s17, exec_lo
	s_delay_alu instid0(VALU_DEP_1) | instskip(SKIP_1) | instid1(VALU_DEP_1)
	v_lshlrev_b64 v[12:13], 3, v[10:11]
	v_sub_nc_u32_e32 v10, v48, v8
	v_lshlrev_b64 v[14:15], 3, v[10:11]
	v_sub_nc_u32_e32 v10, v50, v8
	s_delay_alu instid0(VALU_DEP_4) | instskip(SKIP_1) | instid1(VALU_DEP_3)
	v_add_co_u32 v12, vcc_lo, v6, v12
	v_add_co_ci_u32_e32 v13, vcc_lo, v7, v13, vcc_lo
	v_lshlrev_b64 v[16:17], 3, v[10:11]
	v_sub_nc_u32_e32 v10, v49, v8
	v_add_co_u32 v14, vcc_lo, v6, v14
	v_add_co_ci_u32_e32 v15, vcc_lo, v7, v15, vcc_lo
	global_store_b64 v[12:13], v[89:90], off
	v_lshlrev_b64 v[12:13], 3, v[10:11]
	v_sub_nc_u32_e32 v10, v47, v8
	global_store_b64 v[14:15], v[87:88], off
	v_add_co_u32 v14, vcc_lo, v6, v16
	v_add_co_ci_u32_e32 v15, vcc_lo, v7, v17, vcc_lo
	v_lshlrev_b64 v[16:17], 3, v[10:11]
	v_sub_nc_u32_e32 v10, v46, v8
	v_add_co_u32 v12, vcc_lo, v6, v12
	v_add_co_ci_u32_e32 v13, vcc_lo, v7, v13, vcc_lo
	s_delay_alu instid0(VALU_DEP_3) | instskip(SKIP_3) | instid1(VALU_DEP_3)
	v_lshlrev_b64 v[18:19], 3, v[10:11]
	v_sub_nc_u32_e32 v10, v45, v8
	v_add_co_u32 v16, vcc_lo, v6, v16
	v_add_co_ci_u32_e32 v17, vcc_lo, v7, v17, vcc_lo
	v_lshlrev_b64 v[20:21], 3, v[10:11]
	v_sub_nc_u32_e32 v10, v44, v8
	v_add_co_u32 v18, vcc_lo, v6, v18
	v_add_co_ci_u32_e32 v19, vcc_lo, v7, v19, vcc_lo
	s_clause 0x3
	global_store_b64 v[14:15], v[93:94], off
	global_store_b64 v[12:13], v[97:98], off
	;; [unrolled: 1-line block ×4, first 2 shown]
	v_lshlrev_b64 v[12:13], 3, v[10:11]
	v_sub_nc_u32_e32 v10, v43, v8
	v_add_co_u32 v14, vcc_lo, v6, v20
	v_add_co_ci_u32_e32 v15, vcc_lo, v7, v21, vcc_lo
	s_delay_alu instid0(VALU_DEP_3) | instskip(SKIP_3) | instid1(VALU_DEP_3)
	v_lshlrev_b64 v[16:17], 3, v[10:11]
	v_sub_nc_u32_e32 v10, v42, v8
	v_add_co_u32 v12, vcc_lo, v6, v12
	v_add_co_ci_u32_e32 v13, vcc_lo, v7, v13, vcc_lo
	v_lshlrev_b64 v[18:19], 3, v[10:11]
	v_sub_nc_u32_e32 v10, v41, v8
	v_add_co_u32 v16, vcc_lo, v6, v16
	v_add_co_ci_u32_e32 v17, vcc_lo, v7, v17, vcc_lo
	s_delay_alu instid0(VALU_DEP_3)
	v_lshlrev_b64 v[20:21], 3, v[10:11]
	v_sub_nc_u32_e32 v10, v40, v8
	v_add_co_u32 v18, vcc_lo, v6, v18
	v_add_co_ci_u32_e32 v19, vcc_lo, v7, v19, vcc_lo
	s_clause 0x3
	global_store_b64 v[14:15], v[91:92], off
	global_store_b64 v[12:13], v[95:96], off
	;; [unrolled: 1-line block ×4, first 2 shown]
	v_lshlrev_b64 v[12:13], 3, v[10:11]
	v_sub_nc_u32_e32 v10, v39, v8
	v_add_co_u32 v14, vcc_lo, v6, v20
	v_add_co_ci_u32_e32 v15, vcc_lo, v7, v21, vcc_lo
	s_delay_alu instid0(VALU_DEP_3) | instskip(SKIP_3) | instid1(VALU_DEP_3)
	v_lshlrev_b64 v[16:17], 3, v[10:11]
	v_sub_nc_u32_e32 v10, v38, v8
	v_add_co_u32 v12, vcc_lo, v6, v12
	v_add_co_ci_u32_e32 v13, vcc_lo, v7, v13, vcc_lo
	v_lshlrev_b64 v[10:11], 3, v[10:11]
	v_add_co_u32 v16, vcc_lo, v6, v16
	v_add_co_ci_u32_e32 v17, vcc_lo, v7, v17, vcc_lo
	s_clause 0x2
	global_store_b64 v[14:15], v[85:86], off
	global_store_b64 v[12:13], v[101:102], off
	;; [unrolled: 1-line block ×3, first 2 shown]
	v_add_co_u32 v10, vcc_lo, v6, v10
	v_add_co_ci_u32_e32 v11, vcc_lo, v7, v11, vcc_lo
	global_store_b64 v[10:11], v[103:104], off
	s_or_b32 exec_lo, exec_lo, s15
	s_delay_alu instid0(SALU_CYCLE_1)
	s_and_b32 exec_lo, exec_lo, s17
	s_cbranch_execnz .LBB284_231
	s_branch .LBB284_232
.LBB284_329:
	s_and_saveexec_b32 s17, s14
	s_cbranch_execnz .LBB284_385
; %bb.330:
	s_or_b32 exec_lo, exec_lo, s17
	s_and_saveexec_b32 s14, s13
	s_cbranch_execnz .LBB284_386
.LBB284_331:
	s_or_b32 exec_lo, exec_lo, s14
	s_and_saveexec_b32 s13, s12
	s_cbranch_execnz .LBB284_387
.LBB284_332:
	s_or_b32 exec_lo, exec_lo, s13
	s_and_saveexec_b32 s12, s11
	s_cbranch_execnz .LBB284_388
.LBB284_333:
	s_or_b32 exec_lo, exec_lo, s12
	s_and_saveexec_b32 s11, s10
	s_cbranch_execnz .LBB284_389
.LBB284_334:
	s_or_b32 exec_lo, exec_lo, s11
	s_and_saveexec_b32 s10, s9
	s_cbranch_execnz .LBB284_390
.LBB284_335:
	s_or_b32 exec_lo, exec_lo, s10
	s_and_saveexec_b32 s9, s8
	s_cbranch_execnz .LBB284_391
.LBB284_336:
	s_or_b32 exec_lo, exec_lo, s9
	s_and_saveexec_b32 s8, s7
	s_cbranch_execnz .LBB284_392
.LBB284_337:
	s_or_b32 exec_lo, exec_lo, s8
	s_and_saveexec_b32 s7, s6
	s_cbranch_execnz .LBB284_393
.LBB284_338:
	s_or_b32 exec_lo, exec_lo, s7
	s_and_saveexec_b32 s6, s5
	s_cbranch_execnz .LBB284_394
.LBB284_339:
	s_or_b32 exec_lo, exec_lo, s6
	s_and_saveexec_b32 s5, s4
	s_cbranch_execnz .LBB284_395
.LBB284_340:
	s_or_b32 exec_lo, exec_lo, s5
	s_and_saveexec_b32 s4, s3
	s_cbranch_execnz .LBB284_396
.LBB284_341:
	s_or_b32 exec_lo, exec_lo, s4
	s_and_saveexec_b32 s3, s2
	s_cbranch_execnz .LBB284_397
.LBB284_342:
	s_or_b32 exec_lo, exec_lo, s3
	s_and_saveexec_b32 s2, s1
	s_cbranch_execz .LBB284_344
.LBB284_343:
	v_sub_nc_u32_e32 v9, v38, v8
	s_delay_alu instid0(VALU_DEP_1)
	v_lshlrev_b32_e32 v9, 3, v9
	ds_store_b64 v9, v[103:104]
.LBB284_344:
	s_or_b32 exec_lo, exec_lo, s2
	s_delay_alu instid0(SALU_CYCLE_1)
	s_and_b32 s17, s0, exec_lo
                                        ; implicit-def: $vgpr89_vgpr90
                                        ; implicit-def: $vgpr87_vgpr88
                                        ; implicit-def: $vgpr93_vgpr94
                                        ; implicit-def: $vgpr97_vgpr98
                                        ; implicit-def: $vgpr79_vgpr80
                                        ; implicit-def: $vgpr83_vgpr84
                                        ; implicit-def: $vgpr91_vgpr92
                                        ; implicit-def: $vgpr95_vgpr96
                                        ; implicit-def: $vgpr99_vgpr100
                                        ; implicit-def: $vgpr81_vgpr82
                                        ; implicit-def: $vgpr85_vgpr86
                                        ; implicit-def: $vgpr101_vgpr102
                                        ; implicit-def: $vgpr105_vgpr106
                                        ; implicit-def: $vgpr103_vgpr104
                                        ; implicit-def: $vgpr71
                                        ; implicit-def: $vgpr48
                                        ; implicit-def: $vgpr50
                                        ; implicit-def: $vgpr49
                                        ; implicit-def: $vgpr47
                                        ; implicit-def: $vgpr46
                                        ; implicit-def: $vgpr45
                                        ; implicit-def: $vgpr44
                                        ; implicit-def: $vgpr43
                                        ; implicit-def: $vgpr42
                                        ; implicit-def: $vgpr41
                                        ; implicit-def: $vgpr40
                                        ; implicit-def: $vgpr39
                                        ; implicit-def: $vgpr38
	s_and_not1_saveexec_b32 s0, s16
	s_cbranch_execz .LBB284_236
.LBB284_345:
	v_sub_nc_u32_e32 v9, v71, v8
	v_sub_nc_u32_e32 v10, v48, v8
	;; [unrolled: 1-line block ×5, first 2 shown]
	v_lshlrev_b32_e32 v9, 3, v9
	v_lshlrev_b32_e32 v10, 3, v10
	;; [unrolled: 1-line block ×4, first 2 shown]
	s_or_b32 s17, s17, exec_lo
	ds_store_b64 v9, v[89:90]
	ds_store_b64 v10, v[87:88]
	;; [unrolled: 1-line block ×3, first 2 shown]
	v_sub_nc_u32_e32 v9, v47, v8
	v_sub_nc_u32_e32 v10, v46, v8
	;; [unrolled: 1-line block ×3, first 2 shown]
	ds_store_b64 v12, v[97:98]
	v_sub_nc_u32_e32 v12, v44, v8
	v_lshlrev_b32_e32 v9, 3, v9
	v_lshlrev_b32_e32 v10, 3, v10
	;; [unrolled: 1-line block ×3, first 2 shown]
	s_delay_alu instid0(VALU_DEP_4)
	v_lshlrev_b32_e32 v12, 3, v12
	ds_store_b64 v9, v[79:80]
	v_lshlrev_b32_e32 v9, 3, v13
	ds_store_b64 v10, v[83:84]
	ds_store_b64 v11, v[91:92]
	ds_store_b64 v12, v[95:96]
	v_sub_nc_u32_e32 v10, v42, v8
	v_sub_nc_u32_e32 v13, v38, v8
	v_sub_nc_u32_e32 v11, v40, v8
	ds_store_b64 v9, v[99:100]
	v_sub_nc_u32_e32 v9, v41, v8
	v_lshlrev_b32_e32 v10, 3, v10
	v_sub_nc_u32_e32 v12, v39, v8
	v_lshlrev_b32_e32 v11, 3, v11
	s_delay_alu instid0(VALU_DEP_4)
	v_lshlrev_b32_e32 v9, 3, v9
	ds_store_b64 v10, v[81:82]
	v_lshlrev_b32_e32 v10, 3, v13
	v_lshlrev_b32_e32 v12, 3, v12
	ds_store_b64 v9, v[85:86]
	ds_store_b64 v11, v[101:102]
	;; [unrolled: 1-line block ×4, first 2 shown]
	s_or_b32 exec_lo, exec_lo, s0
	s_delay_alu instid0(SALU_CYCLE_1)
	s_and_b32 exec_lo, exec_lo, s17
	s_cbranch_execnz .LBB284_237
	s_branch .LBB284_238
.LBB284_346:
	v_sub_nc_u32_e32 v54, v71, v77
	v_mov_b32_e32 v55, 0
	s_delay_alu instid0(VALU_DEP_1) | instskip(NEXT) | instid1(VALU_DEP_1)
	v_lshlrev_b64 v[54:55], 3, v[54:55]
	v_add_co_u32 v54, vcc_lo, v51, v54
	s_delay_alu instid0(VALU_DEP_2)
	v_add_co_ci_u32_e32 v55, vcc_lo, v52, v55, vcc_lo
	global_store_b64 v[54:55], v[25:26], off
	s_or_b32 exec_lo, exec_lo, s17
	s_and_saveexec_b32 s17, s11
	s_cbranch_execz .LBB284_280
.LBB284_347:
	v_sub_nc_u32_e32 v54, v48, v77
	v_mov_b32_e32 v55, 0
	s_delay_alu instid0(VALU_DEP_1) | instskip(NEXT) | instid1(VALU_DEP_1)
	v_lshlrev_b64 v[54:55], 3, v[54:55]
	v_add_co_u32 v54, vcc_lo, v51, v54
	s_delay_alu instid0(VALU_DEP_2)
	v_add_co_ci_u32_e32 v55, vcc_lo, v52, v55, vcc_lo
	global_store_b64 v[54:55], v[27:28], off
	s_or_b32 exec_lo, exec_lo, s17
	s_and_saveexec_b32 s17, s9
	s_cbranch_execz .LBB284_281
.LBB284_348:
	v_sub_nc_u32_e32 v54, v50, v77
	v_mov_b32_e32 v55, 0
	s_delay_alu instid0(VALU_DEP_1) | instskip(NEXT) | instid1(VALU_DEP_1)
	v_lshlrev_b64 v[54:55], 3, v[54:55]
	v_add_co_u32 v54, vcc_lo, v51, v54
	s_delay_alu instid0(VALU_DEP_2)
	v_add_co_ci_u32_e32 v55, vcc_lo, v52, v55, vcc_lo
	global_store_b64 v[54:55], v[21:22], off
	s_or_b32 exec_lo, exec_lo, s17
	s_and_saveexec_b32 s17, s8
	s_cbranch_execz .LBB284_282
.LBB284_349:
	v_sub_nc_u32_e32 v54, v49, v77
	v_mov_b32_e32 v55, 0
	s_delay_alu instid0(VALU_DEP_1) | instskip(NEXT) | instid1(VALU_DEP_1)
	v_lshlrev_b64 v[54:55], 3, v[54:55]
	v_add_co_u32 v54, vcc_lo, v51, v54
	s_delay_alu instid0(VALU_DEP_2)
	v_add_co_ci_u32_e32 v55, vcc_lo, v52, v55, vcc_lo
	global_store_b64 v[54:55], v[23:24], off
	s_or_b32 exec_lo, exec_lo, s17
	s_and_saveexec_b32 s17, s14
	s_cbranch_execz .LBB284_283
.LBB284_350:
	v_sub_nc_u32_e32 v54, v47, v77
	v_mov_b32_e32 v55, 0
	s_delay_alu instid0(VALU_DEP_1) | instskip(NEXT) | instid1(VALU_DEP_1)
	v_lshlrev_b64 v[54:55], 3, v[54:55]
	v_add_co_u32 v54, vcc_lo, v51, v54
	s_delay_alu instid0(VALU_DEP_2)
	v_add_co_ci_u32_e32 v55, vcc_lo, v52, v55, vcc_lo
	global_store_b64 v[54:55], v[17:18], off
	s_or_b32 exec_lo, exec_lo, s17
	s_and_saveexec_b32 s17, s13
	s_cbranch_execz .LBB284_284
.LBB284_351:
	v_sub_nc_u32_e32 v54, v46, v77
	v_mov_b32_e32 v55, 0
	s_delay_alu instid0(VALU_DEP_1) | instskip(NEXT) | instid1(VALU_DEP_1)
	v_lshlrev_b64 v[54:55], 3, v[54:55]
	v_add_co_u32 v54, vcc_lo, v51, v54
	s_delay_alu instid0(VALU_DEP_2)
	v_add_co_ci_u32_e32 v55, vcc_lo, v52, v55, vcc_lo
	global_store_b64 v[54:55], v[19:20], off
	s_or_b32 exec_lo, exec_lo, s17
	s_and_saveexec_b32 s17, s10
	s_cbranch_execz .LBB284_285
.LBB284_352:
	v_sub_nc_u32_e32 v54, v45, v77
	v_mov_b32_e32 v55, 0
	s_delay_alu instid0(VALU_DEP_1) | instskip(NEXT) | instid1(VALU_DEP_1)
	v_lshlrev_b64 v[54:55], 3, v[54:55]
	v_add_co_u32 v54, vcc_lo, v51, v54
	s_delay_alu instid0(VALU_DEP_2)
	v_add_co_ci_u32_e32 v55, vcc_lo, v52, v55, vcc_lo
	global_store_b64 v[54:55], v[13:14], off
	s_or_b32 exec_lo, exec_lo, s17
	s_and_saveexec_b32 s17, s7
	s_cbranch_execz .LBB284_286
.LBB284_353:
	v_sub_nc_u32_e32 v54, v44, v77
	v_mov_b32_e32 v55, 0
	s_delay_alu instid0(VALU_DEP_1) | instskip(NEXT) | instid1(VALU_DEP_1)
	v_lshlrev_b64 v[54:55], 3, v[54:55]
	v_add_co_u32 v54, vcc_lo, v51, v54
	s_delay_alu instid0(VALU_DEP_2)
	v_add_co_ci_u32_e32 v55, vcc_lo, v52, v55, vcc_lo
	global_store_b64 v[54:55], v[15:16], off
	s_or_b32 exec_lo, exec_lo, s17
	s_and_saveexec_b32 s17, s6
	s_cbranch_execz .LBB284_287
.LBB284_354:
	v_sub_nc_u32_e32 v54, v43, v77
	v_mov_b32_e32 v55, 0
	s_delay_alu instid0(VALU_DEP_1) | instskip(NEXT) | instid1(VALU_DEP_1)
	v_lshlrev_b64 v[54:55], 3, v[54:55]
	v_add_co_u32 v54, vcc_lo, v51, v54
	s_delay_alu instid0(VALU_DEP_2)
	v_add_co_ci_u32_e32 v55, vcc_lo, v52, v55, vcc_lo
	global_store_b64 v[54:55], v[9:10], off
	s_or_b32 exec_lo, exec_lo, s17
	s_and_saveexec_b32 s17, s5
	s_cbranch_execz .LBB284_288
.LBB284_355:
	v_sub_nc_u32_e32 v54, v42, v77
	v_mov_b32_e32 v55, 0
	s_delay_alu instid0(VALU_DEP_1) | instskip(NEXT) | instid1(VALU_DEP_1)
	v_lshlrev_b64 v[54:55], 3, v[54:55]
	v_add_co_u32 v54, vcc_lo, v51, v54
	s_delay_alu instid0(VALU_DEP_2)
	v_add_co_ci_u32_e32 v55, vcc_lo, v52, v55, vcc_lo
	global_store_b64 v[54:55], v[11:12], off
	s_or_b32 exec_lo, exec_lo, s17
	s_and_saveexec_b32 s17, s4
	s_cbranch_execz .LBB284_289
.LBB284_356:
	v_sub_nc_u32_e32 v54, v41, v77
	v_mov_b32_e32 v55, 0
	s_delay_alu instid0(VALU_DEP_1) | instskip(NEXT) | instid1(VALU_DEP_1)
	v_lshlrev_b64 v[54:55], 3, v[54:55]
	v_add_co_u32 v54, vcc_lo, v51, v54
	s_delay_alu instid0(VALU_DEP_2)
	v_add_co_ci_u32_e32 v55, vcc_lo, v52, v55, vcc_lo
	global_store_b64 v[54:55], v[5:6], off
	s_or_b32 exec_lo, exec_lo, s17
	s_and_saveexec_b32 s17, s3
	s_cbranch_execz .LBB284_290
.LBB284_357:
	v_sub_nc_u32_e32 v54, v40, v77
	v_mov_b32_e32 v55, 0
	s_delay_alu instid0(VALU_DEP_1) | instskip(NEXT) | instid1(VALU_DEP_1)
	v_lshlrev_b64 v[54:55], 3, v[54:55]
	v_add_co_u32 v54, vcc_lo, v51, v54
	s_delay_alu instid0(VALU_DEP_2)
	v_add_co_ci_u32_e32 v55, vcc_lo, v52, v55, vcc_lo
	global_store_b64 v[54:55], v[7:8], off
	s_or_b32 exec_lo, exec_lo, s17
	s_and_saveexec_b32 s17, s2
	s_cbranch_execz .LBB284_291
.LBB284_358:
	v_sub_nc_u32_e32 v54, v39, v77
	v_mov_b32_e32 v55, 0
	s_delay_alu instid0(VALU_DEP_1) | instskip(NEXT) | instid1(VALU_DEP_1)
	v_lshlrev_b64 v[54:55], 3, v[54:55]
	v_add_co_u32 v54, vcc_lo, v51, v54
	s_delay_alu instid0(VALU_DEP_2)
	v_add_co_ci_u32_e32 v55, vcc_lo, v52, v55, vcc_lo
	global_store_b64 v[54:55], v[1:2], off
	s_or_b32 exec_lo, exec_lo, s17
	s_and_saveexec_b32 s17, s1
	s_cbranch_execnz .LBB284_292
	s_branch .LBB284_293
.LBB284_359:
	v_sub_nc_u32_e32 v53, v71, v77
	s_delay_alu instid0(VALU_DEP_1)
	v_lshlrev_b32_e32 v53, 3, v53
	ds_store_b64 v53, v[25:26]
	s_or_b32 exec_lo, exec_lo, s17
	s_and_saveexec_b32 s12, s11
	s_cbranch_execz .LBB284_297
.LBB284_360:
	v_sub_nc_u32_e32 v25, v48, v77
	s_delay_alu instid0(VALU_DEP_1)
	v_lshlrev_b32_e32 v25, 3, v25
	ds_store_b64 v25, v[27:28]
	s_or_b32 exec_lo, exec_lo, s12
	s_and_saveexec_b32 s11, s9
	s_cbranch_execz .LBB284_298
.LBB284_361:
	v_sub_nc_u32_e32 v25, v50, v77
	s_delay_alu instid0(VALU_DEP_1)
	v_lshlrev_b32_e32 v25, 3, v25
	ds_store_b64 v25, v[21:22]
	s_or_b32 exec_lo, exec_lo, s11
	s_and_saveexec_b32 s9, s8
	s_cbranch_execz .LBB284_299
.LBB284_362:
	v_sub_nc_u32_e32 v21, v49, v77
	s_delay_alu instid0(VALU_DEP_1)
	v_lshlrev_b32_e32 v21, 3, v21
	ds_store_b64 v21, v[23:24]
	s_or_b32 exec_lo, exec_lo, s9
	s_and_saveexec_b32 s8, s14
	s_cbranch_execz .LBB284_300
.LBB284_363:
	v_sub_nc_u32_e32 v21, v47, v77
	s_delay_alu instid0(VALU_DEP_1)
	v_lshlrev_b32_e32 v21, 3, v21
	ds_store_b64 v21, v[17:18]
	s_or_b32 exec_lo, exec_lo, s8
	s_and_saveexec_b32 s8, s13
	s_cbranch_execz .LBB284_301
.LBB284_364:
	v_sub_nc_u32_e32 v17, v46, v77
	s_delay_alu instid0(VALU_DEP_1)
	v_lshlrev_b32_e32 v17, 3, v17
	ds_store_b64 v17, v[19:20]
	s_or_b32 exec_lo, exec_lo, s8
	s_and_saveexec_b32 s8, s10
	s_cbranch_execz .LBB284_302
.LBB284_365:
	v_sub_nc_u32_e32 v17, v45, v77
	s_delay_alu instid0(VALU_DEP_1)
	v_lshlrev_b32_e32 v17, 3, v17
	ds_store_b64 v17, v[13:14]
	s_or_b32 exec_lo, exec_lo, s8
	s_and_saveexec_b32 s8, s7
	s_cbranch_execz .LBB284_303
.LBB284_366:
	v_sub_nc_u32_e32 v13, v44, v77
	s_delay_alu instid0(VALU_DEP_1)
	v_lshlrev_b32_e32 v13, 3, v13
	ds_store_b64 v13, v[15:16]
	s_or_b32 exec_lo, exec_lo, s8
	s_and_saveexec_b32 s7, s6
	s_cbranch_execz .LBB284_304
.LBB284_367:
	v_sub_nc_u32_e32 v13, v43, v77
	s_delay_alu instid0(VALU_DEP_1)
	v_lshlrev_b32_e32 v13, 3, v13
	ds_store_b64 v13, v[9:10]
	s_or_b32 exec_lo, exec_lo, s7
	s_and_saveexec_b32 s6, s5
	s_cbranch_execz .LBB284_305
.LBB284_368:
	v_sub_nc_u32_e32 v9, v42, v77
	s_delay_alu instid0(VALU_DEP_1)
	v_lshlrev_b32_e32 v9, 3, v9
	ds_store_b64 v9, v[11:12]
	s_or_b32 exec_lo, exec_lo, s6
	s_and_saveexec_b32 s5, s4
	s_cbranch_execz .LBB284_306
.LBB284_369:
	v_sub_nc_u32_e32 v9, v41, v77
	s_delay_alu instid0(VALU_DEP_1)
	v_lshlrev_b32_e32 v9, 3, v9
	ds_store_b64 v9, v[5:6]
	s_or_b32 exec_lo, exec_lo, s5
	s_and_saveexec_b32 s4, s3
	s_cbranch_execz .LBB284_307
.LBB284_370:
	v_sub_nc_u32_e32 v5, v40, v77
	s_delay_alu instid0(VALU_DEP_1)
	v_lshlrev_b32_e32 v5, 3, v5
	ds_store_b64 v5, v[7:8]
	s_or_b32 exec_lo, exec_lo, s4
	s_and_saveexec_b32 s3, s2
	s_cbranch_execz .LBB284_308
.LBB284_371:
	v_sub_nc_u32_e32 v5, v39, v77
	s_delay_alu instid0(VALU_DEP_1)
	v_lshlrev_b32_e32 v5, 3, v5
	ds_store_b64 v5, v[1:2]
	s_or_b32 exec_lo, exec_lo, s3
	s_and_saveexec_b32 s2, s1
	s_cbranch_execnz .LBB284_309
	s_branch .LBB284_310
.LBB284_372:
	v_sub_nc_u32_e32 v10, v71, v8
	v_mov_b32_e32 v11, 0
	s_delay_alu instid0(VALU_DEP_1) | instskip(NEXT) | instid1(VALU_DEP_1)
	v_lshlrev_b64 v[10:11], 3, v[10:11]
	v_add_co_u32 v10, vcc_lo, v6, v10
	s_delay_alu instid0(VALU_DEP_2)
	v_add_co_ci_u32_e32 v11, vcc_lo, v7, v11, vcc_lo
	global_store_b64 v[10:11], v[89:90], off
	s_or_b32 exec_lo, exec_lo, s17
	s_and_saveexec_b32 s17, s13
	s_cbranch_execz .LBB284_314
.LBB284_373:
	v_sub_nc_u32_e32 v10, v48, v8
	v_mov_b32_e32 v11, 0
	s_delay_alu instid0(VALU_DEP_1) | instskip(NEXT) | instid1(VALU_DEP_1)
	v_lshlrev_b64 v[10:11], 3, v[10:11]
	v_add_co_u32 v10, vcc_lo, v6, v10
	s_delay_alu instid0(VALU_DEP_2)
	v_add_co_ci_u32_e32 v11, vcc_lo, v7, v11, vcc_lo
	global_store_b64 v[10:11], v[87:88], off
	s_or_b32 exec_lo, exec_lo, s17
	s_and_saveexec_b32 s17, s12
	s_cbranch_execz .LBB284_315
.LBB284_374:
	v_sub_nc_u32_e32 v10, v50, v8
	v_mov_b32_e32 v11, 0
	s_delay_alu instid0(VALU_DEP_1) | instskip(NEXT) | instid1(VALU_DEP_1)
	v_lshlrev_b64 v[10:11], 3, v[10:11]
	v_add_co_u32 v10, vcc_lo, v6, v10
	s_delay_alu instid0(VALU_DEP_2)
	v_add_co_ci_u32_e32 v11, vcc_lo, v7, v11, vcc_lo
	global_store_b64 v[10:11], v[93:94], off
	s_or_b32 exec_lo, exec_lo, s17
	s_and_saveexec_b32 s17, s11
	s_cbranch_execz .LBB284_316
.LBB284_375:
	v_sub_nc_u32_e32 v10, v49, v8
	v_mov_b32_e32 v11, 0
	s_delay_alu instid0(VALU_DEP_1) | instskip(NEXT) | instid1(VALU_DEP_1)
	v_lshlrev_b64 v[10:11], 3, v[10:11]
	v_add_co_u32 v10, vcc_lo, v6, v10
	s_delay_alu instid0(VALU_DEP_2)
	v_add_co_ci_u32_e32 v11, vcc_lo, v7, v11, vcc_lo
	global_store_b64 v[10:11], v[97:98], off
	s_or_b32 exec_lo, exec_lo, s17
	s_and_saveexec_b32 s17, s10
	s_cbranch_execz .LBB284_317
.LBB284_376:
	v_sub_nc_u32_e32 v10, v47, v8
	v_mov_b32_e32 v11, 0
	s_delay_alu instid0(VALU_DEP_1) | instskip(NEXT) | instid1(VALU_DEP_1)
	v_lshlrev_b64 v[10:11], 3, v[10:11]
	v_add_co_u32 v10, vcc_lo, v6, v10
	s_delay_alu instid0(VALU_DEP_2)
	v_add_co_ci_u32_e32 v11, vcc_lo, v7, v11, vcc_lo
	global_store_b64 v[10:11], v[79:80], off
	s_or_b32 exec_lo, exec_lo, s17
	s_and_saveexec_b32 s17, s9
	s_cbranch_execz .LBB284_318
.LBB284_377:
	v_sub_nc_u32_e32 v10, v46, v8
	v_mov_b32_e32 v11, 0
	s_delay_alu instid0(VALU_DEP_1) | instskip(NEXT) | instid1(VALU_DEP_1)
	v_lshlrev_b64 v[10:11], 3, v[10:11]
	v_add_co_u32 v10, vcc_lo, v6, v10
	s_delay_alu instid0(VALU_DEP_2)
	v_add_co_ci_u32_e32 v11, vcc_lo, v7, v11, vcc_lo
	global_store_b64 v[10:11], v[83:84], off
	s_or_b32 exec_lo, exec_lo, s17
	s_and_saveexec_b32 s17, s8
	s_cbranch_execz .LBB284_319
.LBB284_378:
	v_sub_nc_u32_e32 v10, v45, v8
	v_mov_b32_e32 v11, 0
	s_delay_alu instid0(VALU_DEP_1) | instskip(NEXT) | instid1(VALU_DEP_1)
	v_lshlrev_b64 v[10:11], 3, v[10:11]
	v_add_co_u32 v10, vcc_lo, v6, v10
	s_delay_alu instid0(VALU_DEP_2)
	v_add_co_ci_u32_e32 v11, vcc_lo, v7, v11, vcc_lo
	global_store_b64 v[10:11], v[91:92], off
	s_or_b32 exec_lo, exec_lo, s17
	s_and_saveexec_b32 s17, s7
	s_cbranch_execz .LBB284_320
.LBB284_379:
	v_sub_nc_u32_e32 v10, v44, v8
	v_mov_b32_e32 v11, 0
	s_delay_alu instid0(VALU_DEP_1) | instskip(NEXT) | instid1(VALU_DEP_1)
	v_lshlrev_b64 v[10:11], 3, v[10:11]
	v_add_co_u32 v10, vcc_lo, v6, v10
	s_delay_alu instid0(VALU_DEP_2)
	v_add_co_ci_u32_e32 v11, vcc_lo, v7, v11, vcc_lo
	global_store_b64 v[10:11], v[95:96], off
	s_or_b32 exec_lo, exec_lo, s17
	s_and_saveexec_b32 s17, s6
	s_cbranch_execz .LBB284_321
.LBB284_380:
	v_sub_nc_u32_e32 v10, v43, v8
	v_mov_b32_e32 v11, 0
	s_delay_alu instid0(VALU_DEP_1) | instskip(NEXT) | instid1(VALU_DEP_1)
	v_lshlrev_b64 v[10:11], 3, v[10:11]
	v_add_co_u32 v10, vcc_lo, v6, v10
	s_delay_alu instid0(VALU_DEP_2)
	v_add_co_ci_u32_e32 v11, vcc_lo, v7, v11, vcc_lo
	global_store_b64 v[10:11], v[99:100], off
	s_or_b32 exec_lo, exec_lo, s17
	s_and_saveexec_b32 s17, s5
	s_cbranch_execz .LBB284_322
.LBB284_381:
	v_sub_nc_u32_e32 v10, v42, v8
	v_mov_b32_e32 v11, 0
	s_delay_alu instid0(VALU_DEP_1) | instskip(NEXT) | instid1(VALU_DEP_1)
	v_lshlrev_b64 v[10:11], 3, v[10:11]
	v_add_co_u32 v10, vcc_lo, v6, v10
	s_delay_alu instid0(VALU_DEP_2)
	v_add_co_ci_u32_e32 v11, vcc_lo, v7, v11, vcc_lo
	global_store_b64 v[10:11], v[81:82], off
	s_or_b32 exec_lo, exec_lo, s17
	s_and_saveexec_b32 s17, s4
	s_cbranch_execz .LBB284_323
.LBB284_382:
	v_sub_nc_u32_e32 v10, v41, v8
	v_mov_b32_e32 v11, 0
	s_delay_alu instid0(VALU_DEP_1) | instskip(NEXT) | instid1(VALU_DEP_1)
	v_lshlrev_b64 v[10:11], 3, v[10:11]
	v_add_co_u32 v10, vcc_lo, v6, v10
	s_delay_alu instid0(VALU_DEP_2)
	v_add_co_ci_u32_e32 v11, vcc_lo, v7, v11, vcc_lo
	global_store_b64 v[10:11], v[85:86], off
	s_or_b32 exec_lo, exec_lo, s17
	s_and_saveexec_b32 s17, s3
	s_cbranch_execz .LBB284_324
.LBB284_383:
	v_sub_nc_u32_e32 v10, v40, v8
	v_mov_b32_e32 v11, 0
	s_delay_alu instid0(VALU_DEP_1) | instskip(NEXT) | instid1(VALU_DEP_1)
	v_lshlrev_b64 v[10:11], 3, v[10:11]
	v_add_co_u32 v10, vcc_lo, v6, v10
	s_delay_alu instid0(VALU_DEP_2)
	v_add_co_ci_u32_e32 v11, vcc_lo, v7, v11, vcc_lo
	global_store_b64 v[10:11], v[101:102], off
	s_or_b32 exec_lo, exec_lo, s17
	s_and_saveexec_b32 s17, s2
	s_cbranch_execz .LBB284_325
.LBB284_384:
	v_sub_nc_u32_e32 v10, v39, v8
	v_mov_b32_e32 v11, 0
	s_delay_alu instid0(VALU_DEP_1) | instskip(NEXT) | instid1(VALU_DEP_1)
	v_lshlrev_b64 v[10:11], 3, v[10:11]
	v_add_co_u32 v10, vcc_lo, v6, v10
	s_delay_alu instid0(VALU_DEP_2)
	v_add_co_ci_u32_e32 v11, vcc_lo, v7, v11, vcc_lo
	global_store_b64 v[10:11], v[105:106], off
	s_or_b32 exec_lo, exec_lo, s17
	s_and_saveexec_b32 s17, s1
	s_cbranch_execnz .LBB284_326
	s_branch .LBB284_327
.LBB284_385:
	v_sub_nc_u32_e32 v9, v71, v8
	s_delay_alu instid0(VALU_DEP_1)
	v_lshlrev_b32_e32 v9, 3, v9
	ds_store_b64 v9, v[89:90]
	s_or_b32 exec_lo, exec_lo, s17
	s_and_saveexec_b32 s14, s13
	s_cbranch_execz .LBB284_331
.LBB284_386:
	v_sub_nc_u32_e32 v9, v48, v8
	s_delay_alu instid0(VALU_DEP_1)
	v_lshlrev_b32_e32 v9, 3, v9
	ds_store_b64 v9, v[87:88]
	s_or_b32 exec_lo, exec_lo, s14
	s_and_saveexec_b32 s13, s12
	s_cbranch_execz .LBB284_332
.LBB284_387:
	v_sub_nc_u32_e32 v9, v50, v8
	s_delay_alu instid0(VALU_DEP_1)
	v_lshlrev_b32_e32 v9, 3, v9
	ds_store_b64 v9, v[93:94]
	s_or_b32 exec_lo, exec_lo, s13
	s_and_saveexec_b32 s12, s11
	s_cbranch_execz .LBB284_333
.LBB284_388:
	v_sub_nc_u32_e32 v9, v49, v8
	s_delay_alu instid0(VALU_DEP_1)
	v_lshlrev_b32_e32 v9, 3, v9
	ds_store_b64 v9, v[97:98]
	s_or_b32 exec_lo, exec_lo, s12
	s_and_saveexec_b32 s11, s10
	s_cbranch_execz .LBB284_334
.LBB284_389:
	v_sub_nc_u32_e32 v9, v47, v8
	s_delay_alu instid0(VALU_DEP_1)
	v_lshlrev_b32_e32 v9, 3, v9
	ds_store_b64 v9, v[79:80]
	s_or_b32 exec_lo, exec_lo, s11
	s_and_saveexec_b32 s10, s9
	s_cbranch_execz .LBB284_335
.LBB284_390:
	v_sub_nc_u32_e32 v9, v46, v8
	s_delay_alu instid0(VALU_DEP_1)
	v_lshlrev_b32_e32 v9, 3, v9
	ds_store_b64 v9, v[83:84]
	s_or_b32 exec_lo, exec_lo, s10
	s_and_saveexec_b32 s9, s8
	s_cbranch_execz .LBB284_336
.LBB284_391:
	v_sub_nc_u32_e32 v9, v45, v8
	s_delay_alu instid0(VALU_DEP_1)
	v_lshlrev_b32_e32 v9, 3, v9
	ds_store_b64 v9, v[91:92]
	s_or_b32 exec_lo, exec_lo, s9
	s_and_saveexec_b32 s8, s7
	s_cbranch_execz .LBB284_337
.LBB284_392:
	v_sub_nc_u32_e32 v9, v44, v8
	s_delay_alu instid0(VALU_DEP_1)
	v_lshlrev_b32_e32 v9, 3, v9
	ds_store_b64 v9, v[95:96]
	s_or_b32 exec_lo, exec_lo, s8
	s_and_saveexec_b32 s7, s6
	s_cbranch_execz .LBB284_338
.LBB284_393:
	v_sub_nc_u32_e32 v9, v43, v8
	s_delay_alu instid0(VALU_DEP_1)
	v_lshlrev_b32_e32 v9, 3, v9
	ds_store_b64 v9, v[99:100]
	s_or_b32 exec_lo, exec_lo, s7
	s_and_saveexec_b32 s6, s5
	s_cbranch_execz .LBB284_339
.LBB284_394:
	v_sub_nc_u32_e32 v9, v42, v8
	s_delay_alu instid0(VALU_DEP_1)
	v_lshlrev_b32_e32 v9, 3, v9
	ds_store_b64 v9, v[81:82]
	s_or_b32 exec_lo, exec_lo, s6
	s_and_saveexec_b32 s5, s4
	s_cbranch_execz .LBB284_340
.LBB284_395:
	v_sub_nc_u32_e32 v9, v41, v8
	s_delay_alu instid0(VALU_DEP_1)
	v_lshlrev_b32_e32 v9, 3, v9
	ds_store_b64 v9, v[85:86]
	s_or_b32 exec_lo, exec_lo, s5
	s_and_saveexec_b32 s4, s3
	s_cbranch_execz .LBB284_341
.LBB284_396:
	v_sub_nc_u32_e32 v9, v40, v8
	s_delay_alu instid0(VALU_DEP_1)
	v_lshlrev_b32_e32 v9, 3, v9
	ds_store_b64 v9, v[101:102]
	s_or_b32 exec_lo, exec_lo, s4
	s_and_saveexec_b32 s3, s2
	s_cbranch_execz .LBB284_342
.LBB284_397:
	v_sub_nc_u32_e32 v9, v39, v8
	s_delay_alu instid0(VALU_DEP_1)
	v_lshlrev_b32_e32 v9, 3, v9
	ds_store_b64 v9, v[105:106]
	s_or_b32 exec_lo, exec_lo, s3
	s_and_saveexec_b32 s2, s1
	s_cbranch_execnz .LBB284_343
	s_branch .LBB284_344
	.section	.rodata,"a",@progbits
	.p2align	6, 0x0
	.amdhsa_kernel _ZN7rocprim17ROCPRIM_400000_NS6detail17trampoline_kernelINS0_14default_configENS1_29reduce_by_key_config_selectorIyyN6thrust23THRUST_200600_302600_NS4plusIyEEEEZZNS1_33reduce_by_key_impl_wrapped_configILNS1_25lookback_scan_determinismE0ES3_S9_NS6_6detail15normal_iteratorINS6_10device_ptrIyEEEESG_SG_SG_PmS8_22is_equal_div_10_reduceIyEEE10hipError_tPvRmT2_T3_mT4_T5_T6_T7_T8_P12ihipStream_tbENKUlT_T0_E_clISt17integral_constantIbLb0EES11_EEDaSW_SX_EUlSW_E_NS1_11comp_targetILNS1_3genE9ELNS1_11target_archE1100ELNS1_3gpuE3ELNS1_3repE0EEENS1_30default_config_static_selectorELNS0_4arch9wavefront6targetE0EEEvT1_
		.amdhsa_group_segment_fixed_size 30720
		.amdhsa_private_segment_fixed_size 0
		.amdhsa_kernarg_size 136
		.amdhsa_user_sgpr_count 15
		.amdhsa_user_sgpr_dispatch_ptr 0
		.amdhsa_user_sgpr_queue_ptr 0
		.amdhsa_user_sgpr_kernarg_segment_ptr 1
		.amdhsa_user_sgpr_dispatch_id 0
		.amdhsa_user_sgpr_private_segment_size 0
		.amdhsa_wavefront_size32 1
		.amdhsa_uses_dynamic_stack 0
		.amdhsa_enable_private_segment 0
		.amdhsa_system_sgpr_workgroup_id_x 1
		.amdhsa_system_sgpr_workgroup_id_y 0
		.amdhsa_system_sgpr_workgroup_id_z 0
		.amdhsa_system_sgpr_workgroup_info 0
		.amdhsa_system_vgpr_workitem_id 0
		.amdhsa_next_free_vgpr 120
		.amdhsa_next_free_sgpr 48
		.amdhsa_reserve_vcc 1
		.amdhsa_float_round_mode_32 0
		.amdhsa_float_round_mode_16_64 0
		.amdhsa_float_denorm_mode_32 3
		.amdhsa_float_denorm_mode_16_64 3
		.amdhsa_dx10_clamp 1
		.amdhsa_ieee_mode 1
		.amdhsa_fp16_overflow 0
		.amdhsa_workgroup_processor_mode 1
		.amdhsa_memory_ordered 1
		.amdhsa_forward_progress 0
		.amdhsa_shared_vgpr_count 0
		.amdhsa_exception_fp_ieee_invalid_op 0
		.amdhsa_exception_fp_denorm_src 0
		.amdhsa_exception_fp_ieee_div_zero 0
		.amdhsa_exception_fp_ieee_overflow 0
		.amdhsa_exception_fp_ieee_underflow 0
		.amdhsa_exception_fp_ieee_inexact 0
		.amdhsa_exception_int_div_zero 0
	.end_amdhsa_kernel
	.section	.text._ZN7rocprim17ROCPRIM_400000_NS6detail17trampoline_kernelINS0_14default_configENS1_29reduce_by_key_config_selectorIyyN6thrust23THRUST_200600_302600_NS4plusIyEEEEZZNS1_33reduce_by_key_impl_wrapped_configILNS1_25lookback_scan_determinismE0ES3_S9_NS6_6detail15normal_iteratorINS6_10device_ptrIyEEEESG_SG_SG_PmS8_22is_equal_div_10_reduceIyEEE10hipError_tPvRmT2_T3_mT4_T5_T6_T7_T8_P12ihipStream_tbENKUlT_T0_E_clISt17integral_constantIbLb0EES11_EEDaSW_SX_EUlSW_E_NS1_11comp_targetILNS1_3genE9ELNS1_11target_archE1100ELNS1_3gpuE3ELNS1_3repE0EEENS1_30default_config_static_selectorELNS0_4arch9wavefront6targetE0EEEvT1_,"axG",@progbits,_ZN7rocprim17ROCPRIM_400000_NS6detail17trampoline_kernelINS0_14default_configENS1_29reduce_by_key_config_selectorIyyN6thrust23THRUST_200600_302600_NS4plusIyEEEEZZNS1_33reduce_by_key_impl_wrapped_configILNS1_25lookback_scan_determinismE0ES3_S9_NS6_6detail15normal_iteratorINS6_10device_ptrIyEEEESG_SG_SG_PmS8_22is_equal_div_10_reduceIyEEE10hipError_tPvRmT2_T3_mT4_T5_T6_T7_T8_P12ihipStream_tbENKUlT_T0_E_clISt17integral_constantIbLb0EES11_EEDaSW_SX_EUlSW_E_NS1_11comp_targetILNS1_3genE9ELNS1_11target_archE1100ELNS1_3gpuE3ELNS1_3repE0EEENS1_30default_config_static_selectorELNS0_4arch9wavefront6targetE0EEEvT1_,comdat
.Lfunc_end284:
	.size	_ZN7rocprim17ROCPRIM_400000_NS6detail17trampoline_kernelINS0_14default_configENS1_29reduce_by_key_config_selectorIyyN6thrust23THRUST_200600_302600_NS4plusIyEEEEZZNS1_33reduce_by_key_impl_wrapped_configILNS1_25lookback_scan_determinismE0ES3_S9_NS6_6detail15normal_iteratorINS6_10device_ptrIyEEEESG_SG_SG_PmS8_22is_equal_div_10_reduceIyEEE10hipError_tPvRmT2_T3_mT4_T5_T6_T7_T8_P12ihipStream_tbENKUlT_T0_E_clISt17integral_constantIbLb0EES11_EEDaSW_SX_EUlSW_E_NS1_11comp_targetILNS1_3genE9ELNS1_11target_archE1100ELNS1_3gpuE3ELNS1_3repE0EEENS1_30default_config_static_selectorELNS0_4arch9wavefront6targetE0EEEvT1_, .Lfunc_end284-_ZN7rocprim17ROCPRIM_400000_NS6detail17trampoline_kernelINS0_14default_configENS1_29reduce_by_key_config_selectorIyyN6thrust23THRUST_200600_302600_NS4plusIyEEEEZZNS1_33reduce_by_key_impl_wrapped_configILNS1_25lookback_scan_determinismE0ES3_S9_NS6_6detail15normal_iteratorINS6_10device_ptrIyEEEESG_SG_SG_PmS8_22is_equal_div_10_reduceIyEEE10hipError_tPvRmT2_T3_mT4_T5_T6_T7_T8_P12ihipStream_tbENKUlT_T0_E_clISt17integral_constantIbLb0EES11_EEDaSW_SX_EUlSW_E_NS1_11comp_targetILNS1_3genE9ELNS1_11target_archE1100ELNS1_3gpuE3ELNS1_3repE0EEENS1_30default_config_static_selectorELNS0_4arch9wavefront6targetE0EEEvT1_
                                        ; -- End function
	.section	.AMDGPU.csdata,"",@progbits
; Kernel info:
; codeLenInByte = 21732
; NumSgprs: 50
; NumVgprs: 120
; ScratchSize: 0
; MemoryBound: 0
; FloatMode: 240
; IeeeMode: 1
; LDSByteSize: 30720 bytes/workgroup (compile time only)
; SGPRBlocks: 6
; VGPRBlocks: 14
; NumSGPRsForWavesPerEU: 50
; NumVGPRsForWavesPerEU: 120
; Occupancy: 8
; WaveLimiterHint : 1
; COMPUTE_PGM_RSRC2:SCRATCH_EN: 0
; COMPUTE_PGM_RSRC2:USER_SGPR: 15
; COMPUTE_PGM_RSRC2:TRAP_HANDLER: 0
; COMPUTE_PGM_RSRC2:TGID_X_EN: 1
; COMPUTE_PGM_RSRC2:TGID_Y_EN: 0
; COMPUTE_PGM_RSRC2:TGID_Z_EN: 0
; COMPUTE_PGM_RSRC2:TIDIG_COMP_CNT: 0
	.section	.text._ZN7rocprim17ROCPRIM_400000_NS6detail17trampoline_kernelINS0_14default_configENS1_29reduce_by_key_config_selectorIyyN6thrust23THRUST_200600_302600_NS4plusIyEEEEZZNS1_33reduce_by_key_impl_wrapped_configILNS1_25lookback_scan_determinismE0ES3_S9_NS6_6detail15normal_iteratorINS6_10device_ptrIyEEEESG_SG_SG_PmS8_22is_equal_div_10_reduceIyEEE10hipError_tPvRmT2_T3_mT4_T5_T6_T7_T8_P12ihipStream_tbENKUlT_T0_E_clISt17integral_constantIbLb0EES11_EEDaSW_SX_EUlSW_E_NS1_11comp_targetILNS1_3genE8ELNS1_11target_archE1030ELNS1_3gpuE2ELNS1_3repE0EEENS1_30default_config_static_selectorELNS0_4arch9wavefront6targetE0EEEvT1_,"axG",@progbits,_ZN7rocprim17ROCPRIM_400000_NS6detail17trampoline_kernelINS0_14default_configENS1_29reduce_by_key_config_selectorIyyN6thrust23THRUST_200600_302600_NS4plusIyEEEEZZNS1_33reduce_by_key_impl_wrapped_configILNS1_25lookback_scan_determinismE0ES3_S9_NS6_6detail15normal_iteratorINS6_10device_ptrIyEEEESG_SG_SG_PmS8_22is_equal_div_10_reduceIyEEE10hipError_tPvRmT2_T3_mT4_T5_T6_T7_T8_P12ihipStream_tbENKUlT_T0_E_clISt17integral_constantIbLb0EES11_EEDaSW_SX_EUlSW_E_NS1_11comp_targetILNS1_3genE8ELNS1_11target_archE1030ELNS1_3gpuE2ELNS1_3repE0EEENS1_30default_config_static_selectorELNS0_4arch9wavefront6targetE0EEEvT1_,comdat
	.protected	_ZN7rocprim17ROCPRIM_400000_NS6detail17trampoline_kernelINS0_14default_configENS1_29reduce_by_key_config_selectorIyyN6thrust23THRUST_200600_302600_NS4plusIyEEEEZZNS1_33reduce_by_key_impl_wrapped_configILNS1_25lookback_scan_determinismE0ES3_S9_NS6_6detail15normal_iteratorINS6_10device_ptrIyEEEESG_SG_SG_PmS8_22is_equal_div_10_reduceIyEEE10hipError_tPvRmT2_T3_mT4_T5_T6_T7_T8_P12ihipStream_tbENKUlT_T0_E_clISt17integral_constantIbLb0EES11_EEDaSW_SX_EUlSW_E_NS1_11comp_targetILNS1_3genE8ELNS1_11target_archE1030ELNS1_3gpuE2ELNS1_3repE0EEENS1_30default_config_static_selectorELNS0_4arch9wavefront6targetE0EEEvT1_ ; -- Begin function _ZN7rocprim17ROCPRIM_400000_NS6detail17trampoline_kernelINS0_14default_configENS1_29reduce_by_key_config_selectorIyyN6thrust23THRUST_200600_302600_NS4plusIyEEEEZZNS1_33reduce_by_key_impl_wrapped_configILNS1_25lookback_scan_determinismE0ES3_S9_NS6_6detail15normal_iteratorINS6_10device_ptrIyEEEESG_SG_SG_PmS8_22is_equal_div_10_reduceIyEEE10hipError_tPvRmT2_T3_mT4_T5_T6_T7_T8_P12ihipStream_tbENKUlT_T0_E_clISt17integral_constantIbLb0EES11_EEDaSW_SX_EUlSW_E_NS1_11comp_targetILNS1_3genE8ELNS1_11target_archE1030ELNS1_3gpuE2ELNS1_3repE0EEENS1_30default_config_static_selectorELNS0_4arch9wavefront6targetE0EEEvT1_
	.globl	_ZN7rocprim17ROCPRIM_400000_NS6detail17trampoline_kernelINS0_14default_configENS1_29reduce_by_key_config_selectorIyyN6thrust23THRUST_200600_302600_NS4plusIyEEEEZZNS1_33reduce_by_key_impl_wrapped_configILNS1_25lookback_scan_determinismE0ES3_S9_NS6_6detail15normal_iteratorINS6_10device_ptrIyEEEESG_SG_SG_PmS8_22is_equal_div_10_reduceIyEEE10hipError_tPvRmT2_T3_mT4_T5_T6_T7_T8_P12ihipStream_tbENKUlT_T0_E_clISt17integral_constantIbLb0EES11_EEDaSW_SX_EUlSW_E_NS1_11comp_targetILNS1_3genE8ELNS1_11target_archE1030ELNS1_3gpuE2ELNS1_3repE0EEENS1_30default_config_static_selectorELNS0_4arch9wavefront6targetE0EEEvT1_
	.p2align	8
	.type	_ZN7rocprim17ROCPRIM_400000_NS6detail17trampoline_kernelINS0_14default_configENS1_29reduce_by_key_config_selectorIyyN6thrust23THRUST_200600_302600_NS4plusIyEEEEZZNS1_33reduce_by_key_impl_wrapped_configILNS1_25lookback_scan_determinismE0ES3_S9_NS6_6detail15normal_iteratorINS6_10device_ptrIyEEEESG_SG_SG_PmS8_22is_equal_div_10_reduceIyEEE10hipError_tPvRmT2_T3_mT4_T5_T6_T7_T8_P12ihipStream_tbENKUlT_T0_E_clISt17integral_constantIbLb0EES11_EEDaSW_SX_EUlSW_E_NS1_11comp_targetILNS1_3genE8ELNS1_11target_archE1030ELNS1_3gpuE2ELNS1_3repE0EEENS1_30default_config_static_selectorELNS0_4arch9wavefront6targetE0EEEvT1_,@function
_ZN7rocprim17ROCPRIM_400000_NS6detail17trampoline_kernelINS0_14default_configENS1_29reduce_by_key_config_selectorIyyN6thrust23THRUST_200600_302600_NS4plusIyEEEEZZNS1_33reduce_by_key_impl_wrapped_configILNS1_25lookback_scan_determinismE0ES3_S9_NS6_6detail15normal_iteratorINS6_10device_ptrIyEEEESG_SG_SG_PmS8_22is_equal_div_10_reduceIyEEE10hipError_tPvRmT2_T3_mT4_T5_T6_T7_T8_P12ihipStream_tbENKUlT_T0_E_clISt17integral_constantIbLb0EES11_EEDaSW_SX_EUlSW_E_NS1_11comp_targetILNS1_3genE8ELNS1_11target_archE1030ELNS1_3gpuE2ELNS1_3repE0EEENS1_30default_config_static_selectorELNS0_4arch9wavefront6targetE0EEEvT1_: ; @_ZN7rocprim17ROCPRIM_400000_NS6detail17trampoline_kernelINS0_14default_configENS1_29reduce_by_key_config_selectorIyyN6thrust23THRUST_200600_302600_NS4plusIyEEEEZZNS1_33reduce_by_key_impl_wrapped_configILNS1_25lookback_scan_determinismE0ES3_S9_NS6_6detail15normal_iteratorINS6_10device_ptrIyEEEESG_SG_SG_PmS8_22is_equal_div_10_reduceIyEEE10hipError_tPvRmT2_T3_mT4_T5_T6_T7_T8_P12ihipStream_tbENKUlT_T0_E_clISt17integral_constantIbLb0EES11_EEDaSW_SX_EUlSW_E_NS1_11comp_targetILNS1_3genE8ELNS1_11target_archE1030ELNS1_3gpuE2ELNS1_3repE0EEENS1_30default_config_static_selectorELNS0_4arch9wavefront6targetE0EEEvT1_
; %bb.0:
	.section	.rodata,"a",@progbits
	.p2align	6, 0x0
	.amdhsa_kernel _ZN7rocprim17ROCPRIM_400000_NS6detail17trampoline_kernelINS0_14default_configENS1_29reduce_by_key_config_selectorIyyN6thrust23THRUST_200600_302600_NS4plusIyEEEEZZNS1_33reduce_by_key_impl_wrapped_configILNS1_25lookback_scan_determinismE0ES3_S9_NS6_6detail15normal_iteratorINS6_10device_ptrIyEEEESG_SG_SG_PmS8_22is_equal_div_10_reduceIyEEE10hipError_tPvRmT2_T3_mT4_T5_T6_T7_T8_P12ihipStream_tbENKUlT_T0_E_clISt17integral_constantIbLb0EES11_EEDaSW_SX_EUlSW_E_NS1_11comp_targetILNS1_3genE8ELNS1_11target_archE1030ELNS1_3gpuE2ELNS1_3repE0EEENS1_30default_config_static_selectorELNS0_4arch9wavefront6targetE0EEEvT1_
		.amdhsa_group_segment_fixed_size 0
		.amdhsa_private_segment_fixed_size 0
		.amdhsa_kernarg_size 136
		.amdhsa_user_sgpr_count 15
		.amdhsa_user_sgpr_dispatch_ptr 0
		.amdhsa_user_sgpr_queue_ptr 0
		.amdhsa_user_sgpr_kernarg_segment_ptr 1
		.amdhsa_user_sgpr_dispatch_id 0
		.amdhsa_user_sgpr_private_segment_size 0
		.amdhsa_wavefront_size32 1
		.amdhsa_uses_dynamic_stack 0
		.amdhsa_enable_private_segment 0
		.amdhsa_system_sgpr_workgroup_id_x 1
		.amdhsa_system_sgpr_workgroup_id_y 0
		.amdhsa_system_sgpr_workgroup_id_z 0
		.amdhsa_system_sgpr_workgroup_info 0
		.amdhsa_system_vgpr_workitem_id 0
		.amdhsa_next_free_vgpr 1
		.amdhsa_next_free_sgpr 1
		.amdhsa_reserve_vcc 0
		.amdhsa_float_round_mode_32 0
		.amdhsa_float_round_mode_16_64 0
		.amdhsa_float_denorm_mode_32 3
		.amdhsa_float_denorm_mode_16_64 3
		.amdhsa_dx10_clamp 1
		.amdhsa_ieee_mode 1
		.amdhsa_fp16_overflow 0
		.amdhsa_workgroup_processor_mode 1
		.amdhsa_memory_ordered 1
		.amdhsa_forward_progress 0
		.amdhsa_shared_vgpr_count 0
		.amdhsa_exception_fp_ieee_invalid_op 0
		.amdhsa_exception_fp_denorm_src 0
		.amdhsa_exception_fp_ieee_div_zero 0
		.amdhsa_exception_fp_ieee_overflow 0
		.amdhsa_exception_fp_ieee_underflow 0
		.amdhsa_exception_fp_ieee_inexact 0
		.amdhsa_exception_int_div_zero 0
	.end_amdhsa_kernel
	.section	.text._ZN7rocprim17ROCPRIM_400000_NS6detail17trampoline_kernelINS0_14default_configENS1_29reduce_by_key_config_selectorIyyN6thrust23THRUST_200600_302600_NS4plusIyEEEEZZNS1_33reduce_by_key_impl_wrapped_configILNS1_25lookback_scan_determinismE0ES3_S9_NS6_6detail15normal_iteratorINS6_10device_ptrIyEEEESG_SG_SG_PmS8_22is_equal_div_10_reduceIyEEE10hipError_tPvRmT2_T3_mT4_T5_T6_T7_T8_P12ihipStream_tbENKUlT_T0_E_clISt17integral_constantIbLb0EES11_EEDaSW_SX_EUlSW_E_NS1_11comp_targetILNS1_3genE8ELNS1_11target_archE1030ELNS1_3gpuE2ELNS1_3repE0EEENS1_30default_config_static_selectorELNS0_4arch9wavefront6targetE0EEEvT1_,"axG",@progbits,_ZN7rocprim17ROCPRIM_400000_NS6detail17trampoline_kernelINS0_14default_configENS1_29reduce_by_key_config_selectorIyyN6thrust23THRUST_200600_302600_NS4plusIyEEEEZZNS1_33reduce_by_key_impl_wrapped_configILNS1_25lookback_scan_determinismE0ES3_S9_NS6_6detail15normal_iteratorINS6_10device_ptrIyEEEESG_SG_SG_PmS8_22is_equal_div_10_reduceIyEEE10hipError_tPvRmT2_T3_mT4_T5_T6_T7_T8_P12ihipStream_tbENKUlT_T0_E_clISt17integral_constantIbLb0EES11_EEDaSW_SX_EUlSW_E_NS1_11comp_targetILNS1_3genE8ELNS1_11target_archE1030ELNS1_3gpuE2ELNS1_3repE0EEENS1_30default_config_static_selectorELNS0_4arch9wavefront6targetE0EEEvT1_,comdat
.Lfunc_end285:
	.size	_ZN7rocprim17ROCPRIM_400000_NS6detail17trampoline_kernelINS0_14default_configENS1_29reduce_by_key_config_selectorIyyN6thrust23THRUST_200600_302600_NS4plusIyEEEEZZNS1_33reduce_by_key_impl_wrapped_configILNS1_25lookback_scan_determinismE0ES3_S9_NS6_6detail15normal_iteratorINS6_10device_ptrIyEEEESG_SG_SG_PmS8_22is_equal_div_10_reduceIyEEE10hipError_tPvRmT2_T3_mT4_T5_T6_T7_T8_P12ihipStream_tbENKUlT_T0_E_clISt17integral_constantIbLb0EES11_EEDaSW_SX_EUlSW_E_NS1_11comp_targetILNS1_3genE8ELNS1_11target_archE1030ELNS1_3gpuE2ELNS1_3repE0EEENS1_30default_config_static_selectorELNS0_4arch9wavefront6targetE0EEEvT1_, .Lfunc_end285-_ZN7rocprim17ROCPRIM_400000_NS6detail17trampoline_kernelINS0_14default_configENS1_29reduce_by_key_config_selectorIyyN6thrust23THRUST_200600_302600_NS4plusIyEEEEZZNS1_33reduce_by_key_impl_wrapped_configILNS1_25lookback_scan_determinismE0ES3_S9_NS6_6detail15normal_iteratorINS6_10device_ptrIyEEEESG_SG_SG_PmS8_22is_equal_div_10_reduceIyEEE10hipError_tPvRmT2_T3_mT4_T5_T6_T7_T8_P12ihipStream_tbENKUlT_T0_E_clISt17integral_constantIbLb0EES11_EEDaSW_SX_EUlSW_E_NS1_11comp_targetILNS1_3genE8ELNS1_11target_archE1030ELNS1_3gpuE2ELNS1_3repE0EEENS1_30default_config_static_selectorELNS0_4arch9wavefront6targetE0EEEvT1_
                                        ; -- End function
	.section	.AMDGPU.csdata,"",@progbits
; Kernel info:
; codeLenInByte = 0
; NumSgprs: 0
; NumVgprs: 0
; ScratchSize: 0
; MemoryBound: 0
; FloatMode: 240
; IeeeMode: 1
; LDSByteSize: 0 bytes/workgroup (compile time only)
; SGPRBlocks: 0
; VGPRBlocks: 0
; NumSGPRsForWavesPerEU: 1
; NumVGPRsForWavesPerEU: 1
; Occupancy: 16
; WaveLimiterHint : 0
; COMPUTE_PGM_RSRC2:SCRATCH_EN: 0
; COMPUTE_PGM_RSRC2:USER_SGPR: 15
; COMPUTE_PGM_RSRC2:TRAP_HANDLER: 0
; COMPUTE_PGM_RSRC2:TGID_X_EN: 1
; COMPUTE_PGM_RSRC2:TGID_Y_EN: 0
; COMPUTE_PGM_RSRC2:TGID_Z_EN: 0
; COMPUTE_PGM_RSRC2:TIDIG_COMP_CNT: 0
	.section	.text._ZN7rocprim17ROCPRIM_400000_NS6detail17trampoline_kernelINS0_14default_configENS1_29reduce_by_key_config_selectorIyyN6thrust23THRUST_200600_302600_NS4plusIyEEEEZZNS1_33reduce_by_key_impl_wrapped_configILNS1_25lookback_scan_determinismE0ES3_S9_NS6_6detail15normal_iteratorINS6_10device_ptrIyEEEESG_SG_SG_PmS8_22is_equal_div_10_reduceIyEEE10hipError_tPvRmT2_T3_mT4_T5_T6_T7_T8_P12ihipStream_tbENKUlT_T0_E_clISt17integral_constantIbLb1EES11_EEDaSW_SX_EUlSW_E_NS1_11comp_targetILNS1_3genE0ELNS1_11target_archE4294967295ELNS1_3gpuE0ELNS1_3repE0EEENS1_30default_config_static_selectorELNS0_4arch9wavefront6targetE0EEEvT1_,"axG",@progbits,_ZN7rocprim17ROCPRIM_400000_NS6detail17trampoline_kernelINS0_14default_configENS1_29reduce_by_key_config_selectorIyyN6thrust23THRUST_200600_302600_NS4plusIyEEEEZZNS1_33reduce_by_key_impl_wrapped_configILNS1_25lookback_scan_determinismE0ES3_S9_NS6_6detail15normal_iteratorINS6_10device_ptrIyEEEESG_SG_SG_PmS8_22is_equal_div_10_reduceIyEEE10hipError_tPvRmT2_T3_mT4_T5_T6_T7_T8_P12ihipStream_tbENKUlT_T0_E_clISt17integral_constantIbLb1EES11_EEDaSW_SX_EUlSW_E_NS1_11comp_targetILNS1_3genE0ELNS1_11target_archE4294967295ELNS1_3gpuE0ELNS1_3repE0EEENS1_30default_config_static_selectorELNS0_4arch9wavefront6targetE0EEEvT1_,comdat
	.protected	_ZN7rocprim17ROCPRIM_400000_NS6detail17trampoline_kernelINS0_14default_configENS1_29reduce_by_key_config_selectorIyyN6thrust23THRUST_200600_302600_NS4plusIyEEEEZZNS1_33reduce_by_key_impl_wrapped_configILNS1_25lookback_scan_determinismE0ES3_S9_NS6_6detail15normal_iteratorINS6_10device_ptrIyEEEESG_SG_SG_PmS8_22is_equal_div_10_reduceIyEEE10hipError_tPvRmT2_T3_mT4_T5_T6_T7_T8_P12ihipStream_tbENKUlT_T0_E_clISt17integral_constantIbLb1EES11_EEDaSW_SX_EUlSW_E_NS1_11comp_targetILNS1_3genE0ELNS1_11target_archE4294967295ELNS1_3gpuE0ELNS1_3repE0EEENS1_30default_config_static_selectorELNS0_4arch9wavefront6targetE0EEEvT1_ ; -- Begin function _ZN7rocprim17ROCPRIM_400000_NS6detail17trampoline_kernelINS0_14default_configENS1_29reduce_by_key_config_selectorIyyN6thrust23THRUST_200600_302600_NS4plusIyEEEEZZNS1_33reduce_by_key_impl_wrapped_configILNS1_25lookback_scan_determinismE0ES3_S9_NS6_6detail15normal_iteratorINS6_10device_ptrIyEEEESG_SG_SG_PmS8_22is_equal_div_10_reduceIyEEE10hipError_tPvRmT2_T3_mT4_T5_T6_T7_T8_P12ihipStream_tbENKUlT_T0_E_clISt17integral_constantIbLb1EES11_EEDaSW_SX_EUlSW_E_NS1_11comp_targetILNS1_3genE0ELNS1_11target_archE4294967295ELNS1_3gpuE0ELNS1_3repE0EEENS1_30default_config_static_selectorELNS0_4arch9wavefront6targetE0EEEvT1_
	.globl	_ZN7rocprim17ROCPRIM_400000_NS6detail17trampoline_kernelINS0_14default_configENS1_29reduce_by_key_config_selectorIyyN6thrust23THRUST_200600_302600_NS4plusIyEEEEZZNS1_33reduce_by_key_impl_wrapped_configILNS1_25lookback_scan_determinismE0ES3_S9_NS6_6detail15normal_iteratorINS6_10device_ptrIyEEEESG_SG_SG_PmS8_22is_equal_div_10_reduceIyEEE10hipError_tPvRmT2_T3_mT4_T5_T6_T7_T8_P12ihipStream_tbENKUlT_T0_E_clISt17integral_constantIbLb1EES11_EEDaSW_SX_EUlSW_E_NS1_11comp_targetILNS1_3genE0ELNS1_11target_archE4294967295ELNS1_3gpuE0ELNS1_3repE0EEENS1_30default_config_static_selectorELNS0_4arch9wavefront6targetE0EEEvT1_
	.p2align	8
	.type	_ZN7rocprim17ROCPRIM_400000_NS6detail17trampoline_kernelINS0_14default_configENS1_29reduce_by_key_config_selectorIyyN6thrust23THRUST_200600_302600_NS4plusIyEEEEZZNS1_33reduce_by_key_impl_wrapped_configILNS1_25lookback_scan_determinismE0ES3_S9_NS6_6detail15normal_iteratorINS6_10device_ptrIyEEEESG_SG_SG_PmS8_22is_equal_div_10_reduceIyEEE10hipError_tPvRmT2_T3_mT4_T5_T6_T7_T8_P12ihipStream_tbENKUlT_T0_E_clISt17integral_constantIbLb1EES11_EEDaSW_SX_EUlSW_E_NS1_11comp_targetILNS1_3genE0ELNS1_11target_archE4294967295ELNS1_3gpuE0ELNS1_3repE0EEENS1_30default_config_static_selectorELNS0_4arch9wavefront6targetE0EEEvT1_,@function
_ZN7rocprim17ROCPRIM_400000_NS6detail17trampoline_kernelINS0_14default_configENS1_29reduce_by_key_config_selectorIyyN6thrust23THRUST_200600_302600_NS4plusIyEEEEZZNS1_33reduce_by_key_impl_wrapped_configILNS1_25lookback_scan_determinismE0ES3_S9_NS6_6detail15normal_iteratorINS6_10device_ptrIyEEEESG_SG_SG_PmS8_22is_equal_div_10_reduceIyEEE10hipError_tPvRmT2_T3_mT4_T5_T6_T7_T8_P12ihipStream_tbENKUlT_T0_E_clISt17integral_constantIbLb1EES11_EEDaSW_SX_EUlSW_E_NS1_11comp_targetILNS1_3genE0ELNS1_11target_archE4294967295ELNS1_3gpuE0ELNS1_3repE0EEENS1_30default_config_static_selectorELNS0_4arch9wavefront6targetE0EEEvT1_: ; @_ZN7rocprim17ROCPRIM_400000_NS6detail17trampoline_kernelINS0_14default_configENS1_29reduce_by_key_config_selectorIyyN6thrust23THRUST_200600_302600_NS4plusIyEEEEZZNS1_33reduce_by_key_impl_wrapped_configILNS1_25lookback_scan_determinismE0ES3_S9_NS6_6detail15normal_iteratorINS6_10device_ptrIyEEEESG_SG_SG_PmS8_22is_equal_div_10_reduceIyEEE10hipError_tPvRmT2_T3_mT4_T5_T6_T7_T8_P12ihipStream_tbENKUlT_T0_E_clISt17integral_constantIbLb1EES11_EEDaSW_SX_EUlSW_E_NS1_11comp_targetILNS1_3genE0ELNS1_11target_archE4294967295ELNS1_3gpuE0ELNS1_3repE0EEENS1_30default_config_static_selectorELNS0_4arch9wavefront6targetE0EEEvT1_
; %bb.0:
	.section	.rodata,"a",@progbits
	.p2align	6, 0x0
	.amdhsa_kernel _ZN7rocprim17ROCPRIM_400000_NS6detail17trampoline_kernelINS0_14default_configENS1_29reduce_by_key_config_selectorIyyN6thrust23THRUST_200600_302600_NS4plusIyEEEEZZNS1_33reduce_by_key_impl_wrapped_configILNS1_25lookback_scan_determinismE0ES3_S9_NS6_6detail15normal_iteratorINS6_10device_ptrIyEEEESG_SG_SG_PmS8_22is_equal_div_10_reduceIyEEE10hipError_tPvRmT2_T3_mT4_T5_T6_T7_T8_P12ihipStream_tbENKUlT_T0_E_clISt17integral_constantIbLb1EES11_EEDaSW_SX_EUlSW_E_NS1_11comp_targetILNS1_3genE0ELNS1_11target_archE4294967295ELNS1_3gpuE0ELNS1_3repE0EEENS1_30default_config_static_selectorELNS0_4arch9wavefront6targetE0EEEvT1_
		.amdhsa_group_segment_fixed_size 0
		.amdhsa_private_segment_fixed_size 0
		.amdhsa_kernarg_size 136
		.amdhsa_user_sgpr_count 15
		.amdhsa_user_sgpr_dispatch_ptr 0
		.amdhsa_user_sgpr_queue_ptr 0
		.amdhsa_user_sgpr_kernarg_segment_ptr 1
		.amdhsa_user_sgpr_dispatch_id 0
		.amdhsa_user_sgpr_private_segment_size 0
		.amdhsa_wavefront_size32 1
		.amdhsa_uses_dynamic_stack 0
		.amdhsa_enable_private_segment 0
		.amdhsa_system_sgpr_workgroup_id_x 1
		.amdhsa_system_sgpr_workgroup_id_y 0
		.amdhsa_system_sgpr_workgroup_id_z 0
		.amdhsa_system_sgpr_workgroup_info 0
		.amdhsa_system_vgpr_workitem_id 0
		.amdhsa_next_free_vgpr 1
		.amdhsa_next_free_sgpr 1
		.amdhsa_reserve_vcc 0
		.amdhsa_float_round_mode_32 0
		.amdhsa_float_round_mode_16_64 0
		.amdhsa_float_denorm_mode_32 3
		.amdhsa_float_denorm_mode_16_64 3
		.amdhsa_dx10_clamp 1
		.amdhsa_ieee_mode 1
		.amdhsa_fp16_overflow 0
		.amdhsa_workgroup_processor_mode 1
		.amdhsa_memory_ordered 1
		.amdhsa_forward_progress 0
		.amdhsa_shared_vgpr_count 0
		.amdhsa_exception_fp_ieee_invalid_op 0
		.amdhsa_exception_fp_denorm_src 0
		.amdhsa_exception_fp_ieee_div_zero 0
		.amdhsa_exception_fp_ieee_overflow 0
		.amdhsa_exception_fp_ieee_underflow 0
		.amdhsa_exception_fp_ieee_inexact 0
		.amdhsa_exception_int_div_zero 0
	.end_amdhsa_kernel
	.section	.text._ZN7rocprim17ROCPRIM_400000_NS6detail17trampoline_kernelINS0_14default_configENS1_29reduce_by_key_config_selectorIyyN6thrust23THRUST_200600_302600_NS4plusIyEEEEZZNS1_33reduce_by_key_impl_wrapped_configILNS1_25lookback_scan_determinismE0ES3_S9_NS6_6detail15normal_iteratorINS6_10device_ptrIyEEEESG_SG_SG_PmS8_22is_equal_div_10_reduceIyEEE10hipError_tPvRmT2_T3_mT4_T5_T6_T7_T8_P12ihipStream_tbENKUlT_T0_E_clISt17integral_constantIbLb1EES11_EEDaSW_SX_EUlSW_E_NS1_11comp_targetILNS1_3genE0ELNS1_11target_archE4294967295ELNS1_3gpuE0ELNS1_3repE0EEENS1_30default_config_static_selectorELNS0_4arch9wavefront6targetE0EEEvT1_,"axG",@progbits,_ZN7rocprim17ROCPRIM_400000_NS6detail17trampoline_kernelINS0_14default_configENS1_29reduce_by_key_config_selectorIyyN6thrust23THRUST_200600_302600_NS4plusIyEEEEZZNS1_33reduce_by_key_impl_wrapped_configILNS1_25lookback_scan_determinismE0ES3_S9_NS6_6detail15normal_iteratorINS6_10device_ptrIyEEEESG_SG_SG_PmS8_22is_equal_div_10_reduceIyEEE10hipError_tPvRmT2_T3_mT4_T5_T6_T7_T8_P12ihipStream_tbENKUlT_T0_E_clISt17integral_constantIbLb1EES11_EEDaSW_SX_EUlSW_E_NS1_11comp_targetILNS1_3genE0ELNS1_11target_archE4294967295ELNS1_3gpuE0ELNS1_3repE0EEENS1_30default_config_static_selectorELNS0_4arch9wavefront6targetE0EEEvT1_,comdat
.Lfunc_end286:
	.size	_ZN7rocprim17ROCPRIM_400000_NS6detail17trampoline_kernelINS0_14default_configENS1_29reduce_by_key_config_selectorIyyN6thrust23THRUST_200600_302600_NS4plusIyEEEEZZNS1_33reduce_by_key_impl_wrapped_configILNS1_25lookback_scan_determinismE0ES3_S9_NS6_6detail15normal_iteratorINS6_10device_ptrIyEEEESG_SG_SG_PmS8_22is_equal_div_10_reduceIyEEE10hipError_tPvRmT2_T3_mT4_T5_T6_T7_T8_P12ihipStream_tbENKUlT_T0_E_clISt17integral_constantIbLb1EES11_EEDaSW_SX_EUlSW_E_NS1_11comp_targetILNS1_3genE0ELNS1_11target_archE4294967295ELNS1_3gpuE0ELNS1_3repE0EEENS1_30default_config_static_selectorELNS0_4arch9wavefront6targetE0EEEvT1_, .Lfunc_end286-_ZN7rocprim17ROCPRIM_400000_NS6detail17trampoline_kernelINS0_14default_configENS1_29reduce_by_key_config_selectorIyyN6thrust23THRUST_200600_302600_NS4plusIyEEEEZZNS1_33reduce_by_key_impl_wrapped_configILNS1_25lookback_scan_determinismE0ES3_S9_NS6_6detail15normal_iteratorINS6_10device_ptrIyEEEESG_SG_SG_PmS8_22is_equal_div_10_reduceIyEEE10hipError_tPvRmT2_T3_mT4_T5_T6_T7_T8_P12ihipStream_tbENKUlT_T0_E_clISt17integral_constantIbLb1EES11_EEDaSW_SX_EUlSW_E_NS1_11comp_targetILNS1_3genE0ELNS1_11target_archE4294967295ELNS1_3gpuE0ELNS1_3repE0EEENS1_30default_config_static_selectorELNS0_4arch9wavefront6targetE0EEEvT1_
                                        ; -- End function
	.section	.AMDGPU.csdata,"",@progbits
; Kernel info:
; codeLenInByte = 0
; NumSgprs: 0
; NumVgprs: 0
; ScratchSize: 0
; MemoryBound: 0
; FloatMode: 240
; IeeeMode: 1
; LDSByteSize: 0 bytes/workgroup (compile time only)
; SGPRBlocks: 0
; VGPRBlocks: 0
; NumSGPRsForWavesPerEU: 1
; NumVGPRsForWavesPerEU: 1
; Occupancy: 16
; WaveLimiterHint : 0
; COMPUTE_PGM_RSRC2:SCRATCH_EN: 0
; COMPUTE_PGM_RSRC2:USER_SGPR: 15
; COMPUTE_PGM_RSRC2:TRAP_HANDLER: 0
; COMPUTE_PGM_RSRC2:TGID_X_EN: 1
; COMPUTE_PGM_RSRC2:TGID_Y_EN: 0
; COMPUTE_PGM_RSRC2:TGID_Z_EN: 0
; COMPUTE_PGM_RSRC2:TIDIG_COMP_CNT: 0
	.section	.text._ZN7rocprim17ROCPRIM_400000_NS6detail17trampoline_kernelINS0_14default_configENS1_29reduce_by_key_config_selectorIyyN6thrust23THRUST_200600_302600_NS4plusIyEEEEZZNS1_33reduce_by_key_impl_wrapped_configILNS1_25lookback_scan_determinismE0ES3_S9_NS6_6detail15normal_iteratorINS6_10device_ptrIyEEEESG_SG_SG_PmS8_22is_equal_div_10_reduceIyEEE10hipError_tPvRmT2_T3_mT4_T5_T6_T7_T8_P12ihipStream_tbENKUlT_T0_E_clISt17integral_constantIbLb1EES11_EEDaSW_SX_EUlSW_E_NS1_11comp_targetILNS1_3genE5ELNS1_11target_archE942ELNS1_3gpuE9ELNS1_3repE0EEENS1_30default_config_static_selectorELNS0_4arch9wavefront6targetE0EEEvT1_,"axG",@progbits,_ZN7rocprim17ROCPRIM_400000_NS6detail17trampoline_kernelINS0_14default_configENS1_29reduce_by_key_config_selectorIyyN6thrust23THRUST_200600_302600_NS4plusIyEEEEZZNS1_33reduce_by_key_impl_wrapped_configILNS1_25lookback_scan_determinismE0ES3_S9_NS6_6detail15normal_iteratorINS6_10device_ptrIyEEEESG_SG_SG_PmS8_22is_equal_div_10_reduceIyEEE10hipError_tPvRmT2_T3_mT4_T5_T6_T7_T8_P12ihipStream_tbENKUlT_T0_E_clISt17integral_constantIbLb1EES11_EEDaSW_SX_EUlSW_E_NS1_11comp_targetILNS1_3genE5ELNS1_11target_archE942ELNS1_3gpuE9ELNS1_3repE0EEENS1_30default_config_static_selectorELNS0_4arch9wavefront6targetE0EEEvT1_,comdat
	.protected	_ZN7rocprim17ROCPRIM_400000_NS6detail17trampoline_kernelINS0_14default_configENS1_29reduce_by_key_config_selectorIyyN6thrust23THRUST_200600_302600_NS4plusIyEEEEZZNS1_33reduce_by_key_impl_wrapped_configILNS1_25lookback_scan_determinismE0ES3_S9_NS6_6detail15normal_iteratorINS6_10device_ptrIyEEEESG_SG_SG_PmS8_22is_equal_div_10_reduceIyEEE10hipError_tPvRmT2_T3_mT4_T5_T6_T7_T8_P12ihipStream_tbENKUlT_T0_E_clISt17integral_constantIbLb1EES11_EEDaSW_SX_EUlSW_E_NS1_11comp_targetILNS1_3genE5ELNS1_11target_archE942ELNS1_3gpuE9ELNS1_3repE0EEENS1_30default_config_static_selectorELNS0_4arch9wavefront6targetE0EEEvT1_ ; -- Begin function _ZN7rocprim17ROCPRIM_400000_NS6detail17trampoline_kernelINS0_14default_configENS1_29reduce_by_key_config_selectorIyyN6thrust23THRUST_200600_302600_NS4plusIyEEEEZZNS1_33reduce_by_key_impl_wrapped_configILNS1_25lookback_scan_determinismE0ES3_S9_NS6_6detail15normal_iteratorINS6_10device_ptrIyEEEESG_SG_SG_PmS8_22is_equal_div_10_reduceIyEEE10hipError_tPvRmT2_T3_mT4_T5_T6_T7_T8_P12ihipStream_tbENKUlT_T0_E_clISt17integral_constantIbLb1EES11_EEDaSW_SX_EUlSW_E_NS1_11comp_targetILNS1_3genE5ELNS1_11target_archE942ELNS1_3gpuE9ELNS1_3repE0EEENS1_30default_config_static_selectorELNS0_4arch9wavefront6targetE0EEEvT1_
	.globl	_ZN7rocprim17ROCPRIM_400000_NS6detail17trampoline_kernelINS0_14default_configENS1_29reduce_by_key_config_selectorIyyN6thrust23THRUST_200600_302600_NS4plusIyEEEEZZNS1_33reduce_by_key_impl_wrapped_configILNS1_25lookback_scan_determinismE0ES3_S9_NS6_6detail15normal_iteratorINS6_10device_ptrIyEEEESG_SG_SG_PmS8_22is_equal_div_10_reduceIyEEE10hipError_tPvRmT2_T3_mT4_T5_T6_T7_T8_P12ihipStream_tbENKUlT_T0_E_clISt17integral_constantIbLb1EES11_EEDaSW_SX_EUlSW_E_NS1_11comp_targetILNS1_3genE5ELNS1_11target_archE942ELNS1_3gpuE9ELNS1_3repE0EEENS1_30default_config_static_selectorELNS0_4arch9wavefront6targetE0EEEvT1_
	.p2align	8
	.type	_ZN7rocprim17ROCPRIM_400000_NS6detail17trampoline_kernelINS0_14default_configENS1_29reduce_by_key_config_selectorIyyN6thrust23THRUST_200600_302600_NS4plusIyEEEEZZNS1_33reduce_by_key_impl_wrapped_configILNS1_25lookback_scan_determinismE0ES3_S9_NS6_6detail15normal_iteratorINS6_10device_ptrIyEEEESG_SG_SG_PmS8_22is_equal_div_10_reduceIyEEE10hipError_tPvRmT2_T3_mT4_T5_T6_T7_T8_P12ihipStream_tbENKUlT_T0_E_clISt17integral_constantIbLb1EES11_EEDaSW_SX_EUlSW_E_NS1_11comp_targetILNS1_3genE5ELNS1_11target_archE942ELNS1_3gpuE9ELNS1_3repE0EEENS1_30default_config_static_selectorELNS0_4arch9wavefront6targetE0EEEvT1_,@function
_ZN7rocprim17ROCPRIM_400000_NS6detail17trampoline_kernelINS0_14default_configENS1_29reduce_by_key_config_selectorIyyN6thrust23THRUST_200600_302600_NS4plusIyEEEEZZNS1_33reduce_by_key_impl_wrapped_configILNS1_25lookback_scan_determinismE0ES3_S9_NS6_6detail15normal_iteratorINS6_10device_ptrIyEEEESG_SG_SG_PmS8_22is_equal_div_10_reduceIyEEE10hipError_tPvRmT2_T3_mT4_T5_T6_T7_T8_P12ihipStream_tbENKUlT_T0_E_clISt17integral_constantIbLb1EES11_EEDaSW_SX_EUlSW_E_NS1_11comp_targetILNS1_3genE5ELNS1_11target_archE942ELNS1_3gpuE9ELNS1_3repE0EEENS1_30default_config_static_selectorELNS0_4arch9wavefront6targetE0EEEvT1_: ; @_ZN7rocprim17ROCPRIM_400000_NS6detail17trampoline_kernelINS0_14default_configENS1_29reduce_by_key_config_selectorIyyN6thrust23THRUST_200600_302600_NS4plusIyEEEEZZNS1_33reduce_by_key_impl_wrapped_configILNS1_25lookback_scan_determinismE0ES3_S9_NS6_6detail15normal_iteratorINS6_10device_ptrIyEEEESG_SG_SG_PmS8_22is_equal_div_10_reduceIyEEE10hipError_tPvRmT2_T3_mT4_T5_T6_T7_T8_P12ihipStream_tbENKUlT_T0_E_clISt17integral_constantIbLb1EES11_EEDaSW_SX_EUlSW_E_NS1_11comp_targetILNS1_3genE5ELNS1_11target_archE942ELNS1_3gpuE9ELNS1_3repE0EEENS1_30default_config_static_selectorELNS0_4arch9wavefront6targetE0EEEvT1_
; %bb.0:
	.section	.rodata,"a",@progbits
	.p2align	6, 0x0
	.amdhsa_kernel _ZN7rocprim17ROCPRIM_400000_NS6detail17trampoline_kernelINS0_14default_configENS1_29reduce_by_key_config_selectorIyyN6thrust23THRUST_200600_302600_NS4plusIyEEEEZZNS1_33reduce_by_key_impl_wrapped_configILNS1_25lookback_scan_determinismE0ES3_S9_NS6_6detail15normal_iteratorINS6_10device_ptrIyEEEESG_SG_SG_PmS8_22is_equal_div_10_reduceIyEEE10hipError_tPvRmT2_T3_mT4_T5_T6_T7_T8_P12ihipStream_tbENKUlT_T0_E_clISt17integral_constantIbLb1EES11_EEDaSW_SX_EUlSW_E_NS1_11comp_targetILNS1_3genE5ELNS1_11target_archE942ELNS1_3gpuE9ELNS1_3repE0EEENS1_30default_config_static_selectorELNS0_4arch9wavefront6targetE0EEEvT1_
		.amdhsa_group_segment_fixed_size 0
		.amdhsa_private_segment_fixed_size 0
		.amdhsa_kernarg_size 136
		.amdhsa_user_sgpr_count 15
		.amdhsa_user_sgpr_dispatch_ptr 0
		.amdhsa_user_sgpr_queue_ptr 0
		.amdhsa_user_sgpr_kernarg_segment_ptr 1
		.amdhsa_user_sgpr_dispatch_id 0
		.amdhsa_user_sgpr_private_segment_size 0
		.amdhsa_wavefront_size32 1
		.amdhsa_uses_dynamic_stack 0
		.amdhsa_enable_private_segment 0
		.amdhsa_system_sgpr_workgroup_id_x 1
		.amdhsa_system_sgpr_workgroup_id_y 0
		.amdhsa_system_sgpr_workgroup_id_z 0
		.amdhsa_system_sgpr_workgroup_info 0
		.amdhsa_system_vgpr_workitem_id 0
		.amdhsa_next_free_vgpr 1
		.amdhsa_next_free_sgpr 1
		.amdhsa_reserve_vcc 0
		.amdhsa_float_round_mode_32 0
		.amdhsa_float_round_mode_16_64 0
		.amdhsa_float_denorm_mode_32 3
		.amdhsa_float_denorm_mode_16_64 3
		.amdhsa_dx10_clamp 1
		.amdhsa_ieee_mode 1
		.amdhsa_fp16_overflow 0
		.amdhsa_workgroup_processor_mode 1
		.amdhsa_memory_ordered 1
		.amdhsa_forward_progress 0
		.amdhsa_shared_vgpr_count 0
		.amdhsa_exception_fp_ieee_invalid_op 0
		.amdhsa_exception_fp_denorm_src 0
		.amdhsa_exception_fp_ieee_div_zero 0
		.amdhsa_exception_fp_ieee_overflow 0
		.amdhsa_exception_fp_ieee_underflow 0
		.amdhsa_exception_fp_ieee_inexact 0
		.amdhsa_exception_int_div_zero 0
	.end_amdhsa_kernel
	.section	.text._ZN7rocprim17ROCPRIM_400000_NS6detail17trampoline_kernelINS0_14default_configENS1_29reduce_by_key_config_selectorIyyN6thrust23THRUST_200600_302600_NS4plusIyEEEEZZNS1_33reduce_by_key_impl_wrapped_configILNS1_25lookback_scan_determinismE0ES3_S9_NS6_6detail15normal_iteratorINS6_10device_ptrIyEEEESG_SG_SG_PmS8_22is_equal_div_10_reduceIyEEE10hipError_tPvRmT2_T3_mT4_T5_T6_T7_T8_P12ihipStream_tbENKUlT_T0_E_clISt17integral_constantIbLb1EES11_EEDaSW_SX_EUlSW_E_NS1_11comp_targetILNS1_3genE5ELNS1_11target_archE942ELNS1_3gpuE9ELNS1_3repE0EEENS1_30default_config_static_selectorELNS0_4arch9wavefront6targetE0EEEvT1_,"axG",@progbits,_ZN7rocprim17ROCPRIM_400000_NS6detail17trampoline_kernelINS0_14default_configENS1_29reduce_by_key_config_selectorIyyN6thrust23THRUST_200600_302600_NS4plusIyEEEEZZNS1_33reduce_by_key_impl_wrapped_configILNS1_25lookback_scan_determinismE0ES3_S9_NS6_6detail15normal_iteratorINS6_10device_ptrIyEEEESG_SG_SG_PmS8_22is_equal_div_10_reduceIyEEE10hipError_tPvRmT2_T3_mT4_T5_T6_T7_T8_P12ihipStream_tbENKUlT_T0_E_clISt17integral_constantIbLb1EES11_EEDaSW_SX_EUlSW_E_NS1_11comp_targetILNS1_3genE5ELNS1_11target_archE942ELNS1_3gpuE9ELNS1_3repE0EEENS1_30default_config_static_selectorELNS0_4arch9wavefront6targetE0EEEvT1_,comdat
.Lfunc_end287:
	.size	_ZN7rocprim17ROCPRIM_400000_NS6detail17trampoline_kernelINS0_14default_configENS1_29reduce_by_key_config_selectorIyyN6thrust23THRUST_200600_302600_NS4plusIyEEEEZZNS1_33reduce_by_key_impl_wrapped_configILNS1_25lookback_scan_determinismE0ES3_S9_NS6_6detail15normal_iteratorINS6_10device_ptrIyEEEESG_SG_SG_PmS8_22is_equal_div_10_reduceIyEEE10hipError_tPvRmT2_T3_mT4_T5_T6_T7_T8_P12ihipStream_tbENKUlT_T0_E_clISt17integral_constantIbLb1EES11_EEDaSW_SX_EUlSW_E_NS1_11comp_targetILNS1_3genE5ELNS1_11target_archE942ELNS1_3gpuE9ELNS1_3repE0EEENS1_30default_config_static_selectorELNS0_4arch9wavefront6targetE0EEEvT1_, .Lfunc_end287-_ZN7rocprim17ROCPRIM_400000_NS6detail17trampoline_kernelINS0_14default_configENS1_29reduce_by_key_config_selectorIyyN6thrust23THRUST_200600_302600_NS4plusIyEEEEZZNS1_33reduce_by_key_impl_wrapped_configILNS1_25lookback_scan_determinismE0ES3_S9_NS6_6detail15normal_iteratorINS6_10device_ptrIyEEEESG_SG_SG_PmS8_22is_equal_div_10_reduceIyEEE10hipError_tPvRmT2_T3_mT4_T5_T6_T7_T8_P12ihipStream_tbENKUlT_T0_E_clISt17integral_constantIbLb1EES11_EEDaSW_SX_EUlSW_E_NS1_11comp_targetILNS1_3genE5ELNS1_11target_archE942ELNS1_3gpuE9ELNS1_3repE0EEENS1_30default_config_static_selectorELNS0_4arch9wavefront6targetE0EEEvT1_
                                        ; -- End function
	.section	.AMDGPU.csdata,"",@progbits
; Kernel info:
; codeLenInByte = 0
; NumSgprs: 0
; NumVgprs: 0
; ScratchSize: 0
; MemoryBound: 0
; FloatMode: 240
; IeeeMode: 1
; LDSByteSize: 0 bytes/workgroup (compile time only)
; SGPRBlocks: 0
; VGPRBlocks: 0
; NumSGPRsForWavesPerEU: 1
; NumVGPRsForWavesPerEU: 1
; Occupancy: 16
; WaveLimiterHint : 0
; COMPUTE_PGM_RSRC2:SCRATCH_EN: 0
; COMPUTE_PGM_RSRC2:USER_SGPR: 15
; COMPUTE_PGM_RSRC2:TRAP_HANDLER: 0
; COMPUTE_PGM_RSRC2:TGID_X_EN: 1
; COMPUTE_PGM_RSRC2:TGID_Y_EN: 0
; COMPUTE_PGM_RSRC2:TGID_Z_EN: 0
; COMPUTE_PGM_RSRC2:TIDIG_COMP_CNT: 0
	.section	.text._ZN7rocprim17ROCPRIM_400000_NS6detail17trampoline_kernelINS0_14default_configENS1_29reduce_by_key_config_selectorIyyN6thrust23THRUST_200600_302600_NS4plusIyEEEEZZNS1_33reduce_by_key_impl_wrapped_configILNS1_25lookback_scan_determinismE0ES3_S9_NS6_6detail15normal_iteratorINS6_10device_ptrIyEEEESG_SG_SG_PmS8_22is_equal_div_10_reduceIyEEE10hipError_tPvRmT2_T3_mT4_T5_T6_T7_T8_P12ihipStream_tbENKUlT_T0_E_clISt17integral_constantIbLb1EES11_EEDaSW_SX_EUlSW_E_NS1_11comp_targetILNS1_3genE4ELNS1_11target_archE910ELNS1_3gpuE8ELNS1_3repE0EEENS1_30default_config_static_selectorELNS0_4arch9wavefront6targetE0EEEvT1_,"axG",@progbits,_ZN7rocprim17ROCPRIM_400000_NS6detail17trampoline_kernelINS0_14default_configENS1_29reduce_by_key_config_selectorIyyN6thrust23THRUST_200600_302600_NS4plusIyEEEEZZNS1_33reduce_by_key_impl_wrapped_configILNS1_25lookback_scan_determinismE0ES3_S9_NS6_6detail15normal_iteratorINS6_10device_ptrIyEEEESG_SG_SG_PmS8_22is_equal_div_10_reduceIyEEE10hipError_tPvRmT2_T3_mT4_T5_T6_T7_T8_P12ihipStream_tbENKUlT_T0_E_clISt17integral_constantIbLb1EES11_EEDaSW_SX_EUlSW_E_NS1_11comp_targetILNS1_3genE4ELNS1_11target_archE910ELNS1_3gpuE8ELNS1_3repE0EEENS1_30default_config_static_selectorELNS0_4arch9wavefront6targetE0EEEvT1_,comdat
	.protected	_ZN7rocprim17ROCPRIM_400000_NS6detail17trampoline_kernelINS0_14default_configENS1_29reduce_by_key_config_selectorIyyN6thrust23THRUST_200600_302600_NS4plusIyEEEEZZNS1_33reduce_by_key_impl_wrapped_configILNS1_25lookback_scan_determinismE0ES3_S9_NS6_6detail15normal_iteratorINS6_10device_ptrIyEEEESG_SG_SG_PmS8_22is_equal_div_10_reduceIyEEE10hipError_tPvRmT2_T3_mT4_T5_T6_T7_T8_P12ihipStream_tbENKUlT_T0_E_clISt17integral_constantIbLb1EES11_EEDaSW_SX_EUlSW_E_NS1_11comp_targetILNS1_3genE4ELNS1_11target_archE910ELNS1_3gpuE8ELNS1_3repE0EEENS1_30default_config_static_selectorELNS0_4arch9wavefront6targetE0EEEvT1_ ; -- Begin function _ZN7rocprim17ROCPRIM_400000_NS6detail17trampoline_kernelINS0_14default_configENS1_29reduce_by_key_config_selectorIyyN6thrust23THRUST_200600_302600_NS4plusIyEEEEZZNS1_33reduce_by_key_impl_wrapped_configILNS1_25lookback_scan_determinismE0ES3_S9_NS6_6detail15normal_iteratorINS6_10device_ptrIyEEEESG_SG_SG_PmS8_22is_equal_div_10_reduceIyEEE10hipError_tPvRmT2_T3_mT4_T5_T6_T7_T8_P12ihipStream_tbENKUlT_T0_E_clISt17integral_constantIbLb1EES11_EEDaSW_SX_EUlSW_E_NS1_11comp_targetILNS1_3genE4ELNS1_11target_archE910ELNS1_3gpuE8ELNS1_3repE0EEENS1_30default_config_static_selectorELNS0_4arch9wavefront6targetE0EEEvT1_
	.globl	_ZN7rocprim17ROCPRIM_400000_NS6detail17trampoline_kernelINS0_14default_configENS1_29reduce_by_key_config_selectorIyyN6thrust23THRUST_200600_302600_NS4plusIyEEEEZZNS1_33reduce_by_key_impl_wrapped_configILNS1_25lookback_scan_determinismE0ES3_S9_NS6_6detail15normal_iteratorINS6_10device_ptrIyEEEESG_SG_SG_PmS8_22is_equal_div_10_reduceIyEEE10hipError_tPvRmT2_T3_mT4_T5_T6_T7_T8_P12ihipStream_tbENKUlT_T0_E_clISt17integral_constantIbLb1EES11_EEDaSW_SX_EUlSW_E_NS1_11comp_targetILNS1_3genE4ELNS1_11target_archE910ELNS1_3gpuE8ELNS1_3repE0EEENS1_30default_config_static_selectorELNS0_4arch9wavefront6targetE0EEEvT1_
	.p2align	8
	.type	_ZN7rocprim17ROCPRIM_400000_NS6detail17trampoline_kernelINS0_14default_configENS1_29reduce_by_key_config_selectorIyyN6thrust23THRUST_200600_302600_NS4plusIyEEEEZZNS1_33reduce_by_key_impl_wrapped_configILNS1_25lookback_scan_determinismE0ES3_S9_NS6_6detail15normal_iteratorINS6_10device_ptrIyEEEESG_SG_SG_PmS8_22is_equal_div_10_reduceIyEEE10hipError_tPvRmT2_T3_mT4_T5_T6_T7_T8_P12ihipStream_tbENKUlT_T0_E_clISt17integral_constantIbLb1EES11_EEDaSW_SX_EUlSW_E_NS1_11comp_targetILNS1_3genE4ELNS1_11target_archE910ELNS1_3gpuE8ELNS1_3repE0EEENS1_30default_config_static_selectorELNS0_4arch9wavefront6targetE0EEEvT1_,@function
_ZN7rocprim17ROCPRIM_400000_NS6detail17trampoline_kernelINS0_14default_configENS1_29reduce_by_key_config_selectorIyyN6thrust23THRUST_200600_302600_NS4plusIyEEEEZZNS1_33reduce_by_key_impl_wrapped_configILNS1_25lookback_scan_determinismE0ES3_S9_NS6_6detail15normal_iteratorINS6_10device_ptrIyEEEESG_SG_SG_PmS8_22is_equal_div_10_reduceIyEEE10hipError_tPvRmT2_T3_mT4_T5_T6_T7_T8_P12ihipStream_tbENKUlT_T0_E_clISt17integral_constantIbLb1EES11_EEDaSW_SX_EUlSW_E_NS1_11comp_targetILNS1_3genE4ELNS1_11target_archE910ELNS1_3gpuE8ELNS1_3repE0EEENS1_30default_config_static_selectorELNS0_4arch9wavefront6targetE0EEEvT1_: ; @_ZN7rocprim17ROCPRIM_400000_NS6detail17trampoline_kernelINS0_14default_configENS1_29reduce_by_key_config_selectorIyyN6thrust23THRUST_200600_302600_NS4plusIyEEEEZZNS1_33reduce_by_key_impl_wrapped_configILNS1_25lookback_scan_determinismE0ES3_S9_NS6_6detail15normal_iteratorINS6_10device_ptrIyEEEESG_SG_SG_PmS8_22is_equal_div_10_reduceIyEEE10hipError_tPvRmT2_T3_mT4_T5_T6_T7_T8_P12ihipStream_tbENKUlT_T0_E_clISt17integral_constantIbLb1EES11_EEDaSW_SX_EUlSW_E_NS1_11comp_targetILNS1_3genE4ELNS1_11target_archE910ELNS1_3gpuE8ELNS1_3repE0EEENS1_30default_config_static_selectorELNS0_4arch9wavefront6targetE0EEEvT1_
; %bb.0:
	.section	.rodata,"a",@progbits
	.p2align	6, 0x0
	.amdhsa_kernel _ZN7rocprim17ROCPRIM_400000_NS6detail17trampoline_kernelINS0_14default_configENS1_29reduce_by_key_config_selectorIyyN6thrust23THRUST_200600_302600_NS4plusIyEEEEZZNS1_33reduce_by_key_impl_wrapped_configILNS1_25lookback_scan_determinismE0ES3_S9_NS6_6detail15normal_iteratorINS6_10device_ptrIyEEEESG_SG_SG_PmS8_22is_equal_div_10_reduceIyEEE10hipError_tPvRmT2_T3_mT4_T5_T6_T7_T8_P12ihipStream_tbENKUlT_T0_E_clISt17integral_constantIbLb1EES11_EEDaSW_SX_EUlSW_E_NS1_11comp_targetILNS1_3genE4ELNS1_11target_archE910ELNS1_3gpuE8ELNS1_3repE0EEENS1_30default_config_static_selectorELNS0_4arch9wavefront6targetE0EEEvT1_
		.amdhsa_group_segment_fixed_size 0
		.amdhsa_private_segment_fixed_size 0
		.amdhsa_kernarg_size 136
		.amdhsa_user_sgpr_count 15
		.amdhsa_user_sgpr_dispatch_ptr 0
		.amdhsa_user_sgpr_queue_ptr 0
		.amdhsa_user_sgpr_kernarg_segment_ptr 1
		.amdhsa_user_sgpr_dispatch_id 0
		.amdhsa_user_sgpr_private_segment_size 0
		.amdhsa_wavefront_size32 1
		.amdhsa_uses_dynamic_stack 0
		.amdhsa_enable_private_segment 0
		.amdhsa_system_sgpr_workgroup_id_x 1
		.amdhsa_system_sgpr_workgroup_id_y 0
		.amdhsa_system_sgpr_workgroup_id_z 0
		.amdhsa_system_sgpr_workgroup_info 0
		.amdhsa_system_vgpr_workitem_id 0
		.amdhsa_next_free_vgpr 1
		.amdhsa_next_free_sgpr 1
		.amdhsa_reserve_vcc 0
		.amdhsa_float_round_mode_32 0
		.amdhsa_float_round_mode_16_64 0
		.amdhsa_float_denorm_mode_32 3
		.amdhsa_float_denorm_mode_16_64 3
		.amdhsa_dx10_clamp 1
		.amdhsa_ieee_mode 1
		.amdhsa_fp16_overflow 0
		.amdhsa_workgroup_processor_mode 1
		.amdhsa_memory_ordered 1
		.amdhsa_forward_progress 0
		.amdhsa_shared_vgpr_count 0
		.amdhsa_exception_fp_ieee_invalid_op 0
		.amdhsa_exception_fp_denorm_src 0
		.amdhsa_exception_fp_ieee_div_zero 0
		.amdhsa_exception_fp_ieee_overflow 0
		.amdhsa_exception_fp_ieee_underflow 0
		.amdhsa_exception_fp_ieee_inexact 0
		.amdhsa_exception_int_div_zero 0
	.end_amdhsa_kernel
	.section	.text._ZN7rocprim17ROCPRIM_400000_NS6detail17trampoline_kernelINS0_14default_configENS1_29reduce_by_key_config_selectorIyyN6thrust23THRUST_200600_302600_NS4plusIyEEEEZZNS1_33reduce_by_key_impl_wrapped_configILNS1_25lookback_scan_determinismE0ES3_S9_NS6_6detail15normal_iteratorINS6_10device_ptrIyEEEESG_SG_SG_PmS8_22is_equal_div_10_reduceIyEEE10hipError_tPvRmT2_T3_mT4_T5_T6_T7_T8_P12ihipStream_tbENKUlT_T0_E_clISt17integral_constantIbLb1EES11_EEDaSW_SX_EUlSW_E_NS1_11comp_targetILNS1_3genE4ELNS1_11target_archE910ELNS1_3gpuE8ELNS1_3repE0EEENS1_30default_config_static_selectorELNS0_4arch9wavefront6targetE0EEEvT1_,"axG",@progbits,_ZN7rocprim17ROCPRIM_400000_NS6detail17trampoline_kernelINS0_14default_configENS1_29reduce_by_key_config_selectorIyyN6thrust23THRUST_200600_302600_NS4plusIyEEEEZZNS1_33reduce_by_key_impl_wrapped_configILNS1_25lookback_scan_determinismE0ES3_S9_NS6_6detail15normal_iteratorINS6_10device_ptrIyEEEESG_SG_SG_PmS8_22is_equal_div_10_reduceIyEEE10hipError_tPvRmT2_T3_mT4_T5_T6_T7_T8_P12ihipStream_tbENKUlT_T0_E_clISt17integral_constantIbLb1EES11_EEDaSW_SX_EUlSW_E_NS1_11comp_targetILNS1_3genE4ELNS1_11target_archE910ELNS1_3gpuE8ELNS1_3repE0EEENS1_30default_config_static_selectorELNS0_4arch9wavefront6targetE0EEEvT1_,comdat
.Lfunc_end288:
	.size	_ZN7rocprim17ROCPRIM_400000_NS6detail17trampoline_kernelINS0_14default_configENS1_29reduce_by_key_config_selectorIyyN6thrust23THRUST_200600_302600_NS4plusIyEEEEZZNS1_33reduce_by_key_impl_wrapped_configILNS1_25lookback_scan_determinismE0ES3_S9_NS6_6detail15normal_iteratorINS6_10device_ptrIyEEEESG_SG_SG_PmS8_22is_equal_div_10_reduceIyEEE10hipError_tPvRmT2_T3_mT4_T5_T6_T7_T8_P12ihipStream_tbENKUlT_T0_E_clISt17integral_constantIbLb1EES11_EEDaSW_SX_EUlSW_E_NS1_11comp_targetILNS1_3genE4ELNS1_11target_archE910ELNS1_3gpuE8ELNS1_3repE0EEENS1_30default_config_static_selectorELNS0_4arch9wavefront6targetE0EEEvT1_, .Lfunc_end288-_ZN7rocprim17ROCPRIM_400000_NS6detail17trampoline_kernelINS0_14default_configENS1_29reduce_by_key_config_selectorIyyN6thrust23THRUST_200600_302600_NS4plusIyEEEEZZNS1_33reduce_by_key_impl_wrapped_configILNS1_25lookback_scan_determinismE0ES3_S9_NS6_6detail15normal_iteratorINS6_10device_ptrIyEEEESG_SG_SG_PmS8_22is_equal_div_10_reduceIyEEE10hipError_tPvRmT2_T3_mT4_T5_T6_T7_T8_P12ihipStream_tbENKUlT_T0_E_clISt17integral_constantIbLb1EES11_EEDaSW_SX_EUlSW_E_NS1_11comp_targetILNS1_3genE4ELNS1_11target_archE910ELNS1_3gpuE8ELNS1_3repE0EEENS1_30default_config_static_selectorELNS0_4arch9wavefront6targetE0EEEvT1_
                                        ; -- End function
	.section	.AMDGPU.csdata,"",@progbits
; Kernel info:
; codeLenInByte = 0
; NumSgprs: 0
; NumVgprs: 0
; ScratchSize: 0
; MemoryBound: 0
; FloatMode: 240
; IeeeMode: 1
; LDSByteSize: 0 bytes/workgroup (compile time only)
; SGPRBlocks: 0
; VGPRBlocks: 0
; NumSGPRsForWavesPerEU: 1
; NumVGPRsForWavesPerEU: 1
; Occupancy: 16
; WaveLimiterHint : 0
; COMPUTE_PGM_RSRC2:SCRATCH_EN: 0
; COMPUTE_PGM_RSRC2:USER_SGPR: 15
; COMPUTE_PGM_RSRC2:TRAP_HANDLER: 0
; COMPUTE_PGM_RSRC2:TGID_X_EN: 1
; COMPUTE_PGM_RSRC2:TGID_Y_EN: 0
; COMPUTE_PGM_RSRC2:TGID_Z_EN: 0
; COMPUTE_PGM_RSRC2:TIDIG_COMP_CNT: 0
	.section	.text._ZN7rocprim17ROCPRIM_400000_NS6detail17trampoline_kernelINS0_14default_configENS1_29reduce_by_key_config_selectorIyyN6thrust23THRUST_200600_302600_NS4plusIyEEEEZZNS1_33reduce_by_key_impl_wrapped_configILNS1_25lookback_scan_determinismE0ES3_S9_NS6_6detail15normal_iteratorINS6_10device_ptrIyEEEESG_SG_SG_PmS8_22is_equal_div_10_reduceIyEEE10hipError_tPvRmT2_T3_mT4_T5_T6_T7_T8_P12ihipStream_tbENKUlT_T0_E_clISt17integral_constantIbLb1EES11_EEDaSW_SX_EUlSW_E_NS1_11comp_targetILNS1_3genE3ELNS1_11target_archE908ELNS1_3gpuE7ELNS1_3repE0EEENS1_30default_config_static_selectorELNS0_4arch9wavefront6targetE0EEEvT1_,"axG",@progbits,_ZN7rocprim17ROCPRIM_400000_NS6detail17trampoline_kernelINS0_14default_configENS1_29reduce_by_key_config_selectorIyyN6thrust23THRUST_200600_302600_NS4plusIyEEEEZZNS1_33reduce_by_key_impl_wrapped_configILNS1_25lookback_scan_determinismE0ES3_S9_NS6_6detail15normal_iteratorINS6_10device_ptrIyEEEESG_SG_SG_PmS8_22is_equal_div_10_reduceIyEEE10hipError_tPvRmT2_T3_mT4_T5_T6_T7_T8_P12ihipStream_tbENKUlT_T0_E_clISt17integral_constantIbLb1EES11_EEDaSW_SX_EUlSW_E_NS1_11comp_targetILNS1_3genE3ELNS1_11target_archE908ELNS1_3gpuE7ELNS1_3repE0EEENS1_30default_config_static_selectorELNS0_4arch9wavefront6targetE0EEEvT1_,comdat
	.protected	_ZN7rocprim17ROCPRIM_400000_NS6detail17trampoline_kernelINS0_14default_configENS1_29reduce_by_key_config_selectorIyyN6thrust23THRUST_200600_302600_NS4plusIyEEEEZZNS1_33reduce_by_key_impl_wrapped_configILNS1_25lookback_scan_determinismE0ES3_S9_NS6_6detail15normal_iteratorINS6_10device_ptrIyEEEESG_SG_SG_PmS8_22is_equal_div_10_reduceIyEEE10hipError_tPvRmT2_T3_mT4_T5_T6_T7_T8_P12ihipStream_tbENKUlT_T0_E_clISt17integral_constantIbLb1EES11_EEDaSW_SX_EUlSW_E_NS1_11comp_targetILNS1_3genE3ELNS1_11target_archE908ELNS1_3gpuE7ELNS1_3repE0EEENS1_30default_config_static_selectorELNS0_4arch9wavefront6targetE0EEEvT1_ ; -- Begin function _ZN7rocprim17ROCPRIM_400000_NS6detail17trampoline_kernelINS0_14default_configENS1_29reduce_by_key_config_selectorIyyN6thrust23THRUST_200600_302600_NS4plusIyEEEEZZNS1_33reduce_by_key_impl_wrapped_configILNS1_25lookback_scan_determinismE0ES3_S9_NS6_6detail15normal_iteratorINS6_10device_ptrIyEEEESG_SG_SG_PmS8_22is_equal_div_10_reduceIyEEE10hipError_tPvRmT2_T3_mT4_T5_T6_T7_T8_P12ihipStream_tbENKUlT_T0_E_clISt17integral_constantIbLb1EES11_EEDaSW_SX_EUlSW_E_NS1_11comp_targetILNS1_3genE3ELNS1_11target_archE908ELNS1_3gpuE7ELNS1_3repE0EEENS1_30default_config_static_selectorELNS0_4arch9wavefront6targetE0EEEvT1_
	.globl	_ZN7rocprim17ROCPRIM_400000_NS6detail17trampoline_kernelINS0_14default_configENS1_29reduce_by_key_config_selectorIyyN6thrust23THRUST_200600_302600_NS4plusIyEEEEZZNS1_33reduce_by_key_impl_wrapped_configILNS1_25lookback_scan_determinismE0ES3_S9_NS6_6detail15normal_iteratorINS6_10device_ptrIyEEEESG_SG_SG_PmS8_22is_equal_div_10_reduceIyEEE10hipError_tPvRmT2_T3_mT4_T5_T6_T7_T8_P12ihipStream_tbENKUlT_T0_E_clISt17integral_constantIbLb1EES11_EEDaSW_SX_EUlSW_E_NS1_11comp_targetILNS1_3genE3ELNS1_11target_archE908ELNS1_3gpuE7ELNS1_3repE0EEENS1_30default_config_static_selectorELNS0_4arch9wavefront6targetE0EEEvT1_
	.p2align	8
	.type	_ZN7rocprim17ROCPRIM_400000_NS6detail17trampoline_kernelINS0_14default_configENS1_29reduce_by_key_config_selectorIyyN6thrust23THRUST_200600_302600_NS4plusIyEEEEZZNS1_33reduce_by_key_impl_wrapped_configILNS1_25lookback_scan_determinismE0ES3_S9_NS6_6detail15normal_iteratorINS6_10device_ptrIyEEEESG_SG_SG_PmS8_22is_equal_div_10_reduceIyEEE10hipError_tPvRmT2_T3_mT4_T5_T6_T7_T8_P12ihipStream_tbENKUlT_T0_E_clISt17integral_constantIbLb1EES11_EEDaSW_SX_EUlSW_E_NS1_11comp_targetILNS1_3genE3ELNS1_11target_archE908ELNS1_3gpuE7ELNS1_3repE0EEENS1_30default_config_static_selectorELNS0_4arch9wavefront6targetE0EEEvT1_,@function
_ZN7rocprim17ROCPRIM_400000_NS6detail17trampoline_kernelINS0_14default_configENS1_29reduce_by_key_config_selectorIyyN6thrust23THRUST_200600_302600_NS4plusIyEEEEZZNS1_33reduce_by_key_impl_wrapped_configILNS1_25lookback_scan_determinismE0ES3_S9_NS6_6detail15normal_iteratorINS6_10device_ptrIyEEEESG_SG_SG_PmS8_22is_equal_div_10_reduceIyEEE10hipError_tPvRmT2_T3_mT4_T5_T6_T7_T8_P12ihipStream_tbENKUlT_T0_E_clISt17integral_constantIbLb1EES11_EEDaSW_SX_EUlSW_E_NS1_11comp_targetILNS1_3genE3ELNS1_11target_archE908ELNS1_3gpuE7ELNS1_3repE0EEENS1_30default_config_static_selectorELNS0_4arch9wavefront6targetE0EEEvT1_: ; @_ZN7rocprim17ROCPRIM_400000_NS6detail17trampoline_kernelINS0_14default_configENS1_29reduce_by_key_config_selectorIyyN6thrust23THRUST_200600_302600_NS4plusIyEEEEZZNS1_33reduce_by_key_impl_wrapped_configILNS1_25lookback_scan_determinismE0ES3_S9_NS6_6detail15normal_iteratorINS6_10device_ptrIyEEEESG_SG_SG_PmS8_22is_equal_div_10_reduceIyEEE10hipError_tPvRmT2_T3_mT4_T5_T6_T7_T8_P12ihipStream_tbENKUlT_T0_E_clISt17integral_constantIbLb1EES11_EEDaSW_SX_EUlSW_E_NS1_11comp_targetILNS1_3genE3ELNS1_11target_archE908ELNS1_3gpuE7ELNS1_3repE0EEENS1_30default_config_static_selectorELNS0_4arch9wavefront6targetE0EEEvT1_
; %bb.0:
	.section	.rodata,"a",@progbits
	.p2align	6, 0x0
	.amdhsa_kernel _ZN7rocprim17ROCPRIM_400000_NS6detail17trampoline_kernelINS0_14default_configENS1_29reduce_by_key_config_selectorIyyN6thrust23THRUST_200600_302600_NS4plusIyEEEEZZNS1_33reduce_by_key_impl_wrapped_configILNS1_25lookback_scan_determinismE0ES3_S9_NS6_6detail15normal_iteratorINS6_10device_ptrIyEEEESG_SG_SG_PmS8_22is_equal_div_10_reduceIyEEE10hipError_tPvRmT2_T3_mT4_T5_T6_T7_T8_P12ihipStream_tbENKUlT_T0_E_clISt17integral_constantIbLb1EES11_EEDaSW_SX_EUlSW_E_NS1_11comp_targetILNS1_3genE3ELNS1_11target_archE908ELNS1_3gpuE7ELNS1_3repE0EEENS1_30default_config_static_selectorELNS0_4arch9wavefront6targetE0EEEvT1_
		.amdhsa_group_segment_fixed_size 0
		.amdhsa_private_segment_fixed_size 0
		.amdhsa_kernarg_size 136
		.amdhsa_user_sgpr_count 15
		.amdhsa_user_sgpr_dispatch_ptr 0
		.amdhsa_user_sgpr_queue_ptr 0
		.amdhsa_user_sgpr_kernarg_segment_ptr 1
		.amdhsa_user_sgpr_dispatch_id 0
		.amdhsa_user_sgpr_private_segment_size 0
		.amdhsa_wavefront_size32 1
		.amdhsa_uses_dynamic_stack 0
		.amdhsa_enable_private_segment 0
		.amdhsa_system_sgpr_workgroup_id_x 1
		.amdhsa_system_sgpr_workgroup_id_y 0
		.amdhsa_system_sgpr_workgroup_id_z 0
		.amdhsa_system_sgpr_workgroup_info 0
		.amdhsa_system_vgpr_workitem_id 0
		.amdhsa_next_free_vgpr 1
		.amdhsa_next_free_sgpr 1
		.amdhsa_reserve_vcc 0
		.amdhsa_float_round_mode_32 0
		.amdhsa_float_round_mode_16_64 0
		.amdhsa_float_denorm_mode_32 3
		.amdhsa_float_denorm_mode_16_64 3
		.amdhsa_dx10_clamp 1
		.amdhsa_ieee_mode 1
		.amdhsa_fp16_overflow 0
		.amdhsa_workgroup_processor_mode 1
		.amdhsa_memory_ordered 1
		.amdhsa_forward_progress 0
		.amdhsa_shared_vgpr_count 0
		.amdhsa_exception_fp_ieee_invalid_op 0
		.amdhsa_exception_fp_denorm_src 0
		.amdhsa_exception_fp_ieee_div_zero 0
		.amdhsa_exception_fp_ieee_overflow 0
		.amdhsa_exception_fp_ieee_underflow 0
		.amdhsa_exception_fp_ieee_inexact 0
		.amdhsa_exception_int_div_zero 0
	.end_amdhsa_kernel
	.section	.text._ZN7rocprim17ROCPRIM_400000_NS6detail17trampoline_kernelINS0_14default_configENS1_29reduce_by_key_config_selectorIyyN6thrust23THRUST_200600_302600_NS4plusIyEEEEZZNS1_33reduce_by_key_impl_wrapped_configILNS1_25lookback_scan_determinismE0ES3_S9_NS6_6detail15normal_iteratorINS6_10device_ptrIyEEEESG_SG_SG_PmS8_22is_equal_div_10_reduceIyEEE10hipError_tPvRmT2_T3_mT4_T5_T6_T7_T8_P12ihipStream_tbENKUlT_T0_E_clISt17integral_constantIbLb1EES11_EEDaSW_SX_EUlSW_E_NS1_11comp_targetILNS1_3genE3ELNS1_11target_archE908ELNS1_3gpuE7ELNS1_3repE0EEENS1_30default_config_static_selectorELNS0_4arch9wavefront6targetE0EEEvT1_,"axG",@progbits,_ZN7rocprim17ROCPRIM_400000_NS6detail17trampoline_kernelINS0_14default_configENS1_29reduce_by_key_config_selectorIyyN6thrust23THRUST_200600_302600_NS4plusIyEEEEZZNS1_33reduce_by_key_impl_wrapped_configILNS1_25lookback_scan_determinismE0ES3_S9_NS6_6detail15normal_iteratorINS6_10device_ptrIyEEEESG_SG_SG_PmS8_22is_equal_div_10_reduceIyEEE10hipError_tPvRmT2_T3_mT4_T5_T6_T7_T8_P12ihipStream_tbENKUlT_T0_E_clISt17integral_constantIbLb1EES11_EEDaSW_SX_EUlSW_E_NS1_11comp_targetILNS1_3genE3ELNS1_11target_archE908ELNS1_3gpuE7ELNS1_3repE0EEENS1_30default_config_static_selectorELNS0_4arch9wavefront6targetE0EEEvT1_,comdat
.Lfunc_end289:
	.size	_ZN7rocprim17ROCPRIM_400000_NS6detail17trampoline_kernelINS0_14default_configENS1_29reduce_by_key_config_selectorIyyN6thrust23THRUST_200600_302600_NS4plusIyEEEEZZNS1_33reduce_by_key_impl_wrapped_configILNS1_25lookback_scan_determinismE0ES3_S9_NS6_6detail15normal_iteratorINS6_10device_ptrIyEEEESG_SG_SG_PmS8_22is_equal_div_10_reduceIyEEE10hipError_tPvRmT2_T3_mT4_T5_T6_T7_T8_P12ihipStream_tbENKUlT_T0_E_clISt17integral_constantIbLb1EES11_EEDaSW_SX_EUlSW_E_NS1_11comp_targetILNS1_3genE3ELNS1_11target_archE908ELNS1_3gpuE7ELNS1_3repE0EEENS1_30default_config_static_selectorELNS0_4arch9wavefront6targetE0EEEvT1_, .Lfunc_end289-_ZN7rocprim17ROCPRIM_400000_NS6detail17trampoline_kernelINS0_14default_configENS1_29reduce_by_key_config_selectorIyyN6thrust23THRUST_200600_302600_NS4plusIyEEEEZZNS1_33reduce_by_key_impl_wrapped_configILNS1_25lookback_scan_determinismE0ES3_S9_NS6_6detail15normal_iteratorINS6_10device_ptrIyEEEESG_SG_SG_PmS8_22is_equal_div_10_reduceIyEEE10hipError_tPvRmT2_T3_mT4_T5_T6_T7_T8_P12ihipStream_tbENKUlT_T0_E_clISt17integral_constantIbLb1EES11_EEDaSW_SX_EUlSW_E_NS1_11comp_targetILNS1_3genE3ELNS1_11target_archE908ELNS1_3gpuE7ELNS1_3repE0EEENS1_30default_config_static_selectorELNS0_4arch9wavefront6targetE0EEEvT1_
                                        ; -- End function
	.section	.AMDGPU.csdata,"",@progbits
; Kernel info:
; codeLenInByte = 0
; NumSgprs: 0
; NumVgprs: 0
; ScratchSize: 0
; MemoryBound: 0
; FloatMode: 240
; IeeeMode: 1
; LDSByteSize: 0 bytes/workgroup (compile time only)
; SGPRBlocks: 0
; VGPRBlocks: 0
; NumSGPRsForWavesPerEU: 1
; NumVGPRsForWavesPerEU: 1
; Occupancy: 16
; WaveLimiterHint : 0
; COMPUTE_PGM_RSRC2:SCRATCH_EN: 0
; COMPUTE_PGM_RSRC2:USER_SGPR: 15
; COMPUTE_PGM_RSRC2:TRAP_HANDLER: 0
; COMPUTE_PGM_RSRC2:TGID_X_EN: 1
; COMPUTE_PGM_RSRC2:TGID_Y_EN: 0
; COMPUTE_PGM_RSRC2:TGID_Z_EN: 0
; COMPUTE_PGM_RSRC2:TIDIG_COMP_CNT: 0
	.section	.text._ZN7rocprim17ROCPRIM_400000_NS6detail17trampoline_kernelINS0_14default_configENS1_29reduce_by_key_config_selectorIyyN6thrust23THRUST_200600_302600_NS4plusIyEEEEZZNS1_33reduce_by_key_impl_wrapped_configILNS1_25lookback_scan_determinismE0ES3_S9_NS6_6detail15normal_iteratorINS6_10device_ptrIyEEEESG_SG_SG_PmS8_22is_equal_div_10_reduceIyEEE10hipError_tPvRmT2_T3_mT4_T5_T6_T7_T8_P12ihipStream_tbENKUlT_T0_E_clISt17integral_constantIbLb1EES11_EEDaSW_SX_EUlSW_E_NS1_11comp_targetILNS1_3genE2ELNS1_11target_archE906ELNS1_3gpuE6ELNS1_3repE0EEENS1_30default_config_static_selectorELNS0_4arch9wavefront6targetE0EEEvT1_,"axG",@progbits,_ZN7rocprim17ROCPRIM_400000_NS6detail17trampoline_kernelINS0_14default_configENS1_29reduce_by_key_config_selectorIyyN6thrust23THRUST_200600_302600_NS4plusIyEEEEZZNS1_33reduce_by_key_impl_wrapped_configILNS1_25lookback_scan_determinismE0ES3_S9_NS6_6detail15normal_iteratorINS6_10device_ptrIyEEEESG_SG_SG_PmS8_22is_equal_div_10_reduceIyEEE10hipError_tPvRmT2_T3_mT4_T5_T6_T7_T8_P12ihipStream_tbENKUlT_T0_E_clISt17integral_constantIbLb1EES11_EEDaSW_SX_EUlSW_E_NS1_11comp_targetILNS1_3genE2ELNS1_11target_archE906ELNS1_3gpuE6ELNS1_3repE0EEENS1_30default_config_static_selectorELNS0_4arch9wavefront6targetE0EEEvT1_,comdat
	.protected	_ZN7rocprim17ROCPRIM_400000_NS6detail17trampoline_kernelINS0_14default_configENS1_29reduce_by_key_config_selectorIyyN6thrust23THRUST_200600_302600_NS4plusIyEEEEZZNS1_33reduce_by_key_impl_wrapped_configILNS1_25lookback_scan_determinismE0ES3_S9_NS6_6detail15normal_iteratorINS6_10device_ptrIyEEEESG_SG_SG_PmS8_22is_equal_div_10_reduceIyEEE10hipError_tPvRmT2_T3_mT4_T5_T6_T7_T8_P12ihipStream_tbENKUlT_T0_E_clISt17integral_constantIbLb1EES11_EEDaSW_SX_EUlSW_E_NS1_11comp_targetILNS1_3genE2ELNS1_11target_archE906ELNS1_3gpuE6ELNS1_3repE0EEENS1_30default_config_static_selectorELNS0_4arch9wavefront6targetE0EEEvT1_ ; -- Begin function _ZN7rocprim17ROCPRIM_400000_NS6detail17trampoline_kernelINS0_14default_configENS1_29reduce_by_key_config_selectorIyyN6thrust23THRUST_200600_302600_NS4plusIyEEEEZZNS1_33reduce_by_key_impl_wrapped_configILNS1_25lookback_scan_determinismE0ES3_S9_NS6_6detail15normal_iteratorINS6_10device_ptrIyEEEESG_SG_SG_PmS8_22is_equal_div_10_reduceIyEEE10hipError_tPvRmT2_T3_mT4_T5_T6_T7_T8_P12ihipStream_tbENKUlT_T0_E_clISt17integral_constantIbLb1EES11_EEDaSW_SX_EUlSW_E_NS1_11comp_targetILNS1_3genE2ELNS1_11target_archE906ELNS1_3gpuE6ELNS1_3repE0EEENS1_30default_config_static_selectorELNS0_4arch9wavefront6targetE0EEEvT1_
	.globl	_ZN7rocprim17ROCPRIM_400000_NS6detail17trampoline_kernelINS0_14default_configENS1_29reduce_by_key_config_selectorIyyN6thrust23THRUST_200600_302600_NS4plusIyEEEEZZNS1_33reduce_by_key_impl_wrapped_configILNS1_25lookback_scan_determinismE0ES3_S9_NS6_6detail15normal_iteratorINS6_10device_ptrIyEEEESG_SG_SG_PmS8_22is_equal_div_10_reduceIyEEE10hipError_tPvRmT2_T3_mT4_T5_T6_T7_T8_P12ihipStream_tbENKUlT_T0_E_clISt17integral_constantIbLb1EES11_EEDaSW_SX_EUlSW_E_NS1_11comp_targetILNS1_3genE2ELNS1_11target_archE906ELNS1_3gpuE6ELNS1_3repE0EEENS1_30default_config_static_selectorELNS0_4arch9wavefront6targetE0EEEvT1_
	.p2align	8
	.type	_ZN7rocprim17ROCPRIM_400000_NS6detail17trampoline_kernelINS0_14default_configENS1_29reduce_by_key_config_selectorIyyN6thrust23THRUST_200600_302600_NS4plusIyEEEEZZNS1_33reduce_by_key_impl_wrapped_configILNS1_25lookback_scan_determinismE0ES3_S9_NS6_6detail15normal_iteratorINS6_10device_ptrIyEEEESG_SG_SG_PmS8_22is_equal_div_10_reduceIyEEE10hipError_tPvRmT2_T3_mT4_T5_T6_T7_T8_P12ihipStream_tbENKUlT_T0_E_clISt17integral_constantIbLb1EES11_EEDaSW_SX_EUlSW_E_NS1_11comp_targetILNS1_3genE2ELNS1_11target_archE906ELNS1_3gpuE6ELNS1_3repE0EEENS1_30default_config_static_selectorELNS0_4arch9wavefront6targetE0EEEvT1_,@function
_ZN7rocprim17ROCPRIM_400000_NS6detail17trampoline_kernelINS0_14default_configENS1_29reduce_by_key_config_selectorIyyN6thrust23THRUST_200600_302600_NS4plusIyEEEEZZNS1_33reduce_by_key_impl_wrapped_configILNS1_25lookback_scan_determinismE0ES3_S9_NS6_6detail15normal_iteratorINS6_10device_ptrIyEEEESG_SG_SG_PmS8_22is_equal_div_10_reduceIyEEE10hipError_tPvRmT2_T3_mT4_T5_T6_T7_T8_P12ihipStream_tbENKUlT_T0_E_clISt17integral_constantIbLb1EES11_EEDaSW_SX_EUlSW_E_NS1_11comp_targetILNS1_3genE2ELNS1_11target_archE906ELNS1_3gpuE6ELNS1_3repE0EEENS1_30default_config_static_selectorELNS0_4arch9wavefront6targetE0EEEvT1_: ; @_ZN7rocprim17ROCPRIM_400000_NS6detail17trampoline_kernelINS0_14default_configENS1_29reduce_by_key_config_selectorIyyN6thrust23THRUST_200600_302600_NS4plusIyEEEEZZNS1_33reduce_by_key_impl_wrapped_configILNS1_25lookback_scan_determinismE0ES3_S9_NS6_6detail15normal_iteratorINS6_10device_ptrIyEEEESG_SG_SG_PmS8_22is_equal_div_10_reduceIyEEE10hipError_tPvRmT2_T3_mT4_T5_T6_T7_T8_P12ihipStream_tbENKUlT_T0_E_clISt17integral_constantIbLb1EES11_EEDaSW_SX_EUlSW_E_NS1_11comp_targetILNS1_3genE2ELNS1_11target_archE906ELNS1_3gpuE6ELNS1_3repE0EEENS1_30default_config_static_selectorELNS0_4arch9wavefront6targetE0EEEvT1_
; %bb.0:
	.section	.rodata,"a",@progbits
	.p2align	6, 0x0
	.amdhsa_kernel _ZN7rocprim17ROCPRIM_400000_NS6detail17trampoline_kernelINS0_14default_configENS1_29reduce_by_key_config_selectorIyyN6thrust23THRUST_200600_302600_NS4plusIyEEEEZZNS1_33reduce_by_key_impl_wrapped_configILNS1_25lookback_scan_determinismE0ES3_S9_NS6_6detail15normal_iteratorINS6_10device_ptrIyEEEESG_SG_SG_PmS8_22is_equal_div_10_reduceIyEEE10hipError_tPvRmT2_T3_mT4_T5_T6_T7_T8_P12ihipStream_tbENKUlT_T0_E_clISt17integral_constantIbLb1EES11_EEDaSW_SX_EUlSW_E_NS1_11comp_targetILNS1_3genE2ELNS1_11target_archE906ELNS1_3gpuE6ELNS1_3repE0EEENS1_30default_config_static_selectorELNS0_4arch9wavefront6targetE0EEEvT1_
		.amdhsa_group_segment_fixed_size 0
		.amdhsa_private_segment_fixed_size 0
		.amdhsa_kernarg_size 136
		.amdhsa_user_sgpr_count 15
		.amdhsa_user_sgpr_dispatch_ptr 0
		.amdhsa_user_sgpr_queue_ptr 0
		.amdhsa_user_sgpr_kernarg_segment_ptr 1
		.amdhsa_user_sgpr_dispatch_id 0
		.amdhsa_user_sgpr_private_segment_size 0
		.amdhsa_wavefront_size32 1
		.amdhsa_uses_dynamic_stack 0
		.amdhsa_enable_private_segment 0
		.amdhsa_system_sgpr_workgroup_id_x 1
		.amdhsa_system_sgpr_workgroup_id_y 0
		.amdhsa_system_sgpr_workgroup_id_z 0
		.amdhsa_system_sgpr_workgroup_info 0
		.amdhsa_system_vgpr_workitem_id 0
		.amdhsa_next_free_vgpr 1
		.amdhsa_next_free_sgpr 1
		.amdhsa_reserve_vcc 0
		.amdhsa_float_round_mode_32 0
		.amdhsa_float_round_mode_16_64 0
		.amdhsa_float_denorm_mode_32 3
		.amdhsa_float_denorm_mode_16_64 3
		.amdhsa_dx10_clamp 1
		.amdhsa_ieee_mode 1
		.amdhsa_fp16_overflow 0
		.amdhsa_workgroup_processor_mode 1
		.amdhsa_memory_ordered 1
		.amdhsa_forward_progress 0
		.amdhsa_shared_vgpr_count 0
		.amdhsa_exception_fp_ieee_invalid_op 0
		.amdhsa_exception_fp_denorm_src 0
		.amdhsa_exception_fp_ieee_div_zero 0
		.amdhsa_exception_fp_ieee_overflow 0
		.amdhsa_exception_fp_ieee_underflow 0
		.amdhsa_exception_fp_ieee_inexact 0
		.amdhsa_exception_int_div_zero 0
	.end_amdhsa_kernel
	.section	.text._ZN7rocprim17ROCPRIM_400000_NS6detail17trampoline_kernelINS0_14default_configENS1_29reduce_by_key_config_selectorIyyN6thrust23THRUST_200600_302600_NS4plusIyEEEEZZNS1_33reduce_by_key_impl_wrapped_configILNS1_25lookback_scan_determinismE0ES3_S9_NS6_6detail15normal_iteratorINS6_10device_ptrIyEEEESG_SG_SG_PmS8_22is_equal_div_10_reduceIyEEE10hipError_tPvRmT2_T3_mT4_T5_T6_T7_T8_P12ihipStream_tbENKUlT_T0_E_clISt17integral_constantIbLb1EES11_EEDaSW_SX_EUlSW_E_NS1_11comp_targetILNS1_3genE2ELNS1_11target_archE906ELNS1_3gpuE6ELNS1_3repE0EEENS1_30default_config_static_selectorELNS0_4arch9wavefront6targetE0EEEvT1_,"axG",@progbits,_ZN7rocprim17ROCPRIM_400000_NS6detail17trampoline_kernelINS0_14default_configENS1_29reduce_by_key_config_selectorIyyN6thrust23THRUST_200600_302600_NS4plusIyEEEEZZNS1_33reduce_by_key_impl_wrapped_configILNS1_25lookback_scan_determinismE0ES3_S9_NS6_6detail15normal_iteratorINS6_10device_ptrIyEEEESG_SG_SG_PmS8_22is_equal_div_10_reduceIyEEE10hipError_tPvRmT2_T3_mT4_T5_T6_T7_T8_P12ihipStream_tbENKUlT_T0_E_clISt17integral_constantIbLb1EES11_EEDaSW_SX_EUlSW_E_NS1_11comp_targetILNS1_3genE2ELNS1_11target_archE906ELNS1_3gpuE6ELNS1_3repE0EEENS1_30default_config_static_selectorELNS0_4arch9wavefront6targetE0EEEvT1_,comdat
.Lfunc_end290:
	.size	_ZN7rocprim17ROCPRIM_400000_NS6detail17trampoline_kernelINS0_14default_configENS1_29reduce_by_key_config_selectorIyyN6thrust23THRUST_200600_302600_NS4plusIyEEEEZZNS1_33reduce_by_key_impl_wrapped_configILNS1_25lookback_scan_determinismE0ES3_S9_NS6_6detail15normal_iteratorINS6_10device_ptrIyEEEESG_SG_SG_PmS8_22is_equal_div_10_reduceIyEEE10hipError_tPvRmT2_T3_mT4_T5_T6_T7_T8_P12ihipStream_tbENKUlT_T0_E_clISt17integral_constantIbLb1EES11_EEDaSW_SX_EUlSW_E_NS1_11comp_targetILNS1_3genE2ELNS1_11target_archE906ELNS1_3gpuE6ELNS1_3repE0EEENS1_30default_config_static_selectorELNS0_4arch9wavefront6targetE0EEEvT1_, .Lfunc_end290-_ZN7rocprim17ROCPRIM_400000_NS6detail17trampoline_kernelINS0_14default_configENS1_29reduce_by_key_config_selectorIyyN6thrust23THRUST_200600_302600_NS4plusIyEEEEZZNS1_33reduce_by_key_impl_wrapped_configILNS1_25lookback_scan_determinismE0ES3_S9_NS6_6detail15normal_iteratorINS6_10device_ptrIyEEEESG_SG_SG_PmS8_22is_equal_div_10_reduceIyEEE10hipError_tPvRmT2_T3_mT4_T5_T6_T7_T8_P12ihipStream_tbENKUlT_T0_E_clISt17integral_constantIbLb1EES11_EEDaSW_SX_EUlSW_E_NS1_11comp_targetILNS1_3genE2ELNS1_11target_archE906ELNS1_3gpuE6ELNS1_3repE0EEENS1_30default_config_static_selectorELNS0_4arch9wavefront6targetE0EEEvT1_
                                        ; -- End function
	.section	.AMDGPU.csdata,"",@progbits
; Kernel info:
; codeLenInByte = 0
; NumSgprs: 0
; NumVgprs: 0
; ScratchSize: 0
; MemoryBound: 0
; FloatMode: 240
; IeeeMode: 1
; LDSByteSize: 0 bytes/workgroup (compile time only)
; SGPRBlocks: 0
; VGPRBlocks: 0
; NumSGPRsForWavesPerEU: 1
; NumVGPRsForWavesPerEU: 1
; Occupancy: 16
; WaveLimiterHint : 0
; COMPUTE_PGM_RSRC2:SCRATCH_EN: 0
; COMPUTE_PGM_RSRC2:USER_SGPR: 15
; COMPUTE_PGM_RSRC2:TRAP_HANDLER: 0
; COMPUTE_PGM_RSRC2:TGID_X_EN: 1
; COMPUTE_PGM_RSRC2:TGID_Y_EN: 0
; COMPUTE_PGM_RSRC2:TGID_Z_EN: 0
; COMPUTE_PGM_RSRC2:TIDIG_COMP_CNT: 0
	.section	.text._ZN7rocprim17ROCPRIM_400000_NS6detail17trampoline_kernelINS0_14default_configENS1_29reduce_by_key_config_selectorIyyN6thrust23THRUST_200600_302600_NS4plusIyEEEEZZNS1_33reduce_by_key_impl_wrapped_configILNS1_25lookback_scan_determinismE0ES3_S9_NS6_6detail15normal_iteratorINS6_10device_ptrIyEEEESG_SG_SG_PmS8_22is_equal_div_10_reduceIyEEE10hipError_tPvRmT2_T3_mT4_T5_T6_T7_T8_P12ihipStream_tbENKUlT_T0_E_clISt17integral_constantIbLb1EES11_EEDaSW_SX_EUlSW_E_NS1_11comp_targetILNS1_3genE10ELNS1_11target_archE1201ELNS1_3gpuE5ELNS1_3repE0EEENS1_30default_config_static_selectorELNS0_4arch9wavefront6targetE0EEEvT1_,"axG",@progbits,_ZN7rocprim17ROCPRIM_400000_NS6detail17trampoline_kernelINS0_14default_configENS1_29reduce_by_key_config_selectorIyyN6thrust23THRUST_200600_302600_NS4plusIyEEEEZZNS1_33reduce_by_key_impl_wrapped_configILNS1_25lookback_scan_determinismE0ES3_S9_NS6_6detail15normal_iteratorINS6_10device_ptrIyEEEESG_SG_SG_PmS8_22is_equal_div_10_reduceIyEEE10hipError_tPvRmT2_T3_mT4_T5_T6_T7_T8_P12ihipStream_tbENKUlT_T0_E_clISt17integral_constantIbLb1EES11_EEDaSW_SX_EUlSW_E_NS1_11comp_targetILNS1_3genE10ELNS1_11target_archE1201ELNS1_3gpuE5ELNS1_3repE0EEENS1_30default_config_static_selectorELNS0_4arch9wavefront6targetE0EEEvT1_,comdat
	.protected	_ZN7rocprim17ROCPRIM_400000_NS6detail17trampoline_kernelINS0_14default_configENS1_29reduce_by_key_config_selectorIyyN6thrust23THRUST_200600_302600_NS4plusIyEEEEZZNS1_33reduce_by_key_impl_wrapped_configILNS1_25lookback_scan_determinismE0ES3_S9_NS6_6detail15normal_iteratorINS6_10device_ptrIyEEEESG_SG_SG_PmS8_22is_equal_div_10_reduceIyEEE10hipError_tPvRmT2_T3_mT4_T5_T6_T7_T8_P12ihipStream_tbENKUlT_T0_E_clISt17integral_constantIbLb1EES11_EEDaSW_SX_EUlSW_E_NS1_11comp_targetILNS1_3genE10ELNS1_11target_archE1201ELNS1_3gpuE5ELNS1_3repE0EEENS1_30default_config_static_selectorELNS0_4arch9wavefront6targetE0EEEvT1_ ; -- Begin function _ZN7rocprim17ROCPRIM_400000_NS6detail17trampoline_kernelINS0_14default_configENS1_29reduce_by_key_config_selectorIyyN6thrust23THRUST_200600_302600_NS4plusIyEEEEZZNS1_33reduce_by_key_impl_wrapped_configILNS1_25lookback_scan_determinismE0ES3_S9_NS6_6detail15normal_iteratorINS6_10device_ptrIyEEEESG_SG_SG_PmS8_22is_equal_div_10_reduceIyEEE10hipError_tPvRmT2_T3_mT4_T5_T6_T7_T8_P12ihipStream_tbENKUlT_T0_E_clISt17integral_constantIbLb1EES11_EEDaSW_SX_EUlSW_E_NS1_11comp_targetILNS1_3genE10ELNS1_11target_archE1201ELNS1_3gpuE5ELNS1_3repE0EEENS1_30default_config_static_selectorELNS0_4arch9wavefront6targetE0EEEvT1_
	.globl	_ZN7rocprim17ROCPRIM_400000_NS6detail17trampoline_kernelINS0_14default_configENS1_29reduce_by_key_config_selectorIyyN6thrust23THRUST_200600_302600_NS4plusIyEEEEZZNS1_33reduce_by_key_impl_wrapped_configILNS1_25lookback_scan_determinismE0ES3_S9_NS6_6detail15normal_iteratorINS6_10device_ptrIyEEEESG_SG_SG_PmS8_22is_equal_div_10_reduceIyEEE10hipError_tPvRmT2_T3_mT4_T5_T6_T7_T8_P12ihipStream_tbENKUlT_T0_E_clISt17integral_constantIbLb1EES11_EEDaSW_SX_EUlSW_E_NS1_11comp_targetILNS1_3genE10ELNS1_11target_archE1201ELNS1_3gpuE5ELNS1_3repE0EEENS1_30default_config_static_selectorELNS0_4arch9wavefront6targetE0EEEvT1_
	.p2align	8
	.type	_ZN7rocprim17ROCPRIM_400000_NS6detail17trampoline_kernelINS0_14default_configENS1_29reduce_by_key_config_selectorIyyN6thrust23THRUST_200600_302600_NS4plusIyEEEEZZNS1_33reduce_by_key_impl_wrapped_configILNS1_25lookback_scan_determinismE0ES3_S9_NS6_6detail15normal_iteratorINS6_10device_ptrIyEEEESG_SG_SG_PmS8_22is_equal_div_10_reduceIyEEE10hipError_tPvRmT2_T3_mT4_T5_T6_T7_T8_P12ihipStream_tbENKUlT_T0_E_clISt17integral_constantIbLb1EES11_EEDaSW_SX_EUlSW_E_NS1_11comp_targetILNS1_3genE10ELNS1_11target_archE1201ELNS1_3gpuE5ELNS1_3repE0EEENS1_30default_config_static_selectorELNS0_4arch9wavefront6targetE0EEEvT1_,@function
_ZN7rocprim17ROCPRIM_400000_NS6detail17trampoline_kernelINS0_14default_configENS1_29reduce_by_key_config_selectorIyyN6thrust23THRUST_200600_302600_NS4plusIyEEEEZZNS1_33reduce_by_key_impl_wrapped_configILNS1_25lookback_scan_determinismE0ES3_S9_NS6_6detail15normal_iteratorINS6_10device_ptrIyEEEESG_SG_SG_PmS8_22is_equal_div_10_reduceIyEEE10hipError_tPvRmT2_T3_mT4_T5_T6_T7_T8_P12ihipStream_tbENKUlT_T0_E_clISt17integral_constantIbLb1EES11_EEDaSW_SX_EUlSW_E_NS1_11comp_targetILNS1_3genE10ELNS1_11target_archE1201ELNS1_3gpuE5ELNS1_3repE0EEENS1_30default_config_static_selectorELNS0_4arch9wavefront6targetE0EEEvT1_: ; @_ZN7rocprim17ROCPRIM_400000_NS6detail17trampoline_kernelINS0_14default_configENS1_29reduce_by_key_config_selectorIyyN6thrust23THRUST_200600_302600_NS4plusIyEEEEZZNS1_33reduce_by_key_impl_wrapped_configILNS1_25lookback_scan_determinismE0ES3_S9_NS6_6detail15normal_iteratorINS6_10device_ptrIyEEEESG_SG_SG_PmS8_22is_equal_div_10_reduceIyEEE10hipError_tPvRmT2_T3_mT4_T5_T6_T7_T8_P12ihipStream_tbENKUlT_T0_E_clISt17integral_constantIbLb1EES11_EEDaSW_SX_EUlSW_E_NS1_11comp_targetILNS1_3genE10ELNS1_11target_archE1201ELNS1_3gpuE5ELNS1_3repE0EEENS1_30default_config_static_selectorELNS0_4arch9wavefront6targetE0EEEvT1_
; %bb.0:
	.section	.rodata,"a",@progbits
	.p2align	6, 0x0
	.amdhsa_kernel _ZN7rocprim17ROCPRIM_400000_NS6detail17trampoline_kernelINS0_14default_configENS1_29reduce_by_key_config_selectorIyyN6thrust23THRUST_200600_302600_NS4plusIyEEEEZZNS1_33reduce_by_key_impl_wrapped_configILNS1_25lookback_scan_determinismE0ES3_S9_NS6_6detail15normal_iteratorINS6_10device_ptrIyEEEESG_SG_SG_PmS8_22is_equal_div_10_reduceIyEEE10hipError_tPvRmT2_T3_mT4_T5_T6_T7_T8_P12ihipStream_tbENKUlT_T0_E_clISt17integral_constantIbLb1EES11_EEDaSW_SX_EUlSW_E_NS1_11comp_targetILNS1_3genE10ELNS1_11target_archE1201ELNS1_3gpuE5ELNS1_3repE0EEENS1_30default_config_static_selectorELNS0_4arch9wavefront6targetE0EEEvT1_
		.amdhsa_group_segment_fixed_size 0
		.amdhsa_private_segment_fixed_size 0
		.amdhsa_kernarg_size 136
		.amdhsa_user_sgpr_count 15
		.amdhsa_user_sgpr_dispatch_ptr 0
		.amdhsa_user_sgpr_queue_ptr 0
		.amdhsa_user_sgpr_kernarg_segment_ptr 1
		.amdhsa_user_sgpr_dispatch_id 0
		.amdhsa_user_sgpr_private_segment_size 0
		.amdhsa_wavefront_size32 1
		.amdhsa_uses_dynamic_stack 0
		.amdhsa_enable_private_segment 0
		.amdhsa_system_sgpr_workgroup_id_x 1
		.amdhsa_system_sgpr_workgroup_id_y 0
		.amdhsa_system_sgpr_workgroup_id_z 0
		.amdhsa_system_sgpr_workgroup_info 0
		.amdhsa_system_vgpr_workitem_id 0
		.amdhsa_next_free_vgpr 1
		.amdhsa_next_free_sgpr 1
		.amdhsa_reserve_vcc 0
		.amdhsa_float_round_mode_32 0
		.amdhsa_float_round_mode_16_64 0
		.amdhsa_float_denorm_mode_32 3
		.amdhsa_float_denorm_mode_16_64 3
		.amdhsa_dx10_clamp 1
		.amdhsa_ieee_mode 1
		.amdhsa_fp16_overflow 0
		.amdhsa_workgroup_processor_mode 1
		.amdhsa_memory_ordered 1
		.amdhsa_forward_progress 0
		.amdhsa_shared_vgpr_count 0
		.amdhsa_exception_fp_ieee_invalid_op 0
		.amdhsa_exception_fp_denorm_src 0
		.amdhsa_exception_fp_ieee_div_zero 0
		.amdhsa_exception_fp_ieee_overflow 0
		.amdhsa_exception_fp_ieee_underflow 0
		.amdhsa_exception_fp_ieee_inexact 0
		.amdhsa_exception_int_div_zero 0
	.end_amdhsa_kernel
	.section	.text._ZN7rocprim17ROCPRIM_400000_NS6detail17trampoline_kernelINS0_14default_configENS1_29reduce_by_key_config_selectorIyyN6thrust23THRUST_200600_302600_NS4plusIyEEEEZZNS1_33reduce_by_key_impl_wrapped_configILNS1_25lookback_scan_determinismE0ES3_S9_NS6_6detail15normal_iteratorINS6_10device_ptrIyEEEESG_SG_SG_PmS8_22is_equal_div_10_reduceIyEEE10hipError_tPvRmT2_T3_mT4_T5_T6_T7_T8_P12ihipStream_tbENKUlT_T0_E_clISt17integral_constantIbLb1EES11_EEDaSW_SX_EUlSW_E_NS1_11comp_targetILNS1_3genE10ELNS1_11target_archE1201ELNS1_3gpuE5ELNS1_3repE0EEENS1_30default_config_static_selectorELNS0_4arch9wavefront6targetE0EEEvT1_,"axG",@progbits,_ZN7rocprim17ROCPRIM_400000_NS6detail17trampoline_kernelINS0_14default_configENS1_29reduce_by_key_config_selectorIyyN6thrust23THRUST_200600_302600_NS4plusIyEEEEZZNS1_33reduce_by_key_impl_wrapped_configILNS1_25lookback_scan_determinismE0ES3_S9_NS6_6detail15normal_iteratorINS6_10device_ptrIyEEEESG_SG_SG_PmS8_22is_equal_div_10_reduceIyEEE10hipError_tPvRmT2_T3_mT4_T5_T6_T7_T8_P12ihipStream_tbENKUlT_T0_E_clISt17integral_constantIbLb1EES11_EEDaSW_SX_EUlSW_E_NS1_11comp_targetILNS1_3genE10ELNS1_11target_archE1201ELNS1_3gpuE5ELNS1_3repE0EEENS1_30default_config_static_selectorELNS0_4arch9wavefront6targetE0EEEvT1_,comdat
.Lfunc_end291:
	.size	_ZN7rocprim17ROCPRIM_400000_NS6detail17trampoline_kernelINS0_14default_configENS1_29reduce_by_key_config_selectorIyyN6thrust23THRUST_200600_302600_NS4plusIyEEEEZZNS1_33reduce_by_key_impl_wrapped_configILNS1_25lookback_scan_determinismE0ES3_S9_NS6_6detail15normal_iteratorINS6_10device_ptrIyEEEESG_SG_SG_PmS8_22is_equal_div_10_reduceIyEEE10hipError_tPvRmT2_T3_mT4_T5_T6_T7_T8_P12ihipStream_tbENKUlT_T0_E_clISt17integral_constantIbLb1EES11_EEDaSW_SX_EUlSW_E_NS1_11comp_targetILNS1_3genE10ELNS1_11target_archE1201ELNS1_3gpuE5ELNS1_3repE0EEENS1_30default_config_static_selectorELNS0_4arch9wavefront6targetE0EEEvT1_, .Lfunc_end291-_ZN7rocprim17ROCPRIM_400000_NS6detail17trampoline_kernelINS0_14default_configENS1_29reduce_by_key_config_selectorIyyN6thrust23THRUST_200600_302600_NS4plusIyEEEEZZNS1_33reduce_by_key_impl_wrapped_configILNS1_25lookback_scan_determinismE0ES3_S9_NS6_6detail15normal_iteratorINS6_10device_ptrIyEEEESG_SG_SG_PmS8_22is_equal_div_10_reduceIyEEE10hipError_tPvRmT2_T3_mT4_T5_T6_T7_T8_P12ihipStream_tbENKUlT_T0_E_clISt17integral_constantIbLb1EES11_EEDaSW_SX_EUlSW_E_NS1_11comp_targetILNS1_3genE10ELNS1_11target_archE1201ELNS1_3gpuE5ELNS1_3repE0EEENS1_30default_config_static_selectorELNS0_4arch9wavefront6targetE0EEEvT1_
                                        ; -- End function
	.section	.AMDGPU.csdata,"",@progbits
; Kernel info:
; codeLenInByte = 0
; NumSgprs: 0
; NumVgprs: 0
; ScratchSize: 0
; MemoryBound: 0
; FloatMode: 240
; IeeeMode: 1
; LDSByteSize: 0 bytes/workgroup (compile time only)
; SGPRBlocks: 0
; VGPRBlocks: 0
; NumSGPRsForWavesPerEU: 1
; NumVGPRsForWavesPerEU: 1
; Occupancy: 16
; WaveLimiterHint : 0
; COMPUTE_PGM_RSRC2:SCRATCH_EN: 0
; COMPUTE_PGM_RSRC2:USER_SGPR: 15
; COMPUTE_PGM_RSRC2:TRAP_HANDLER: 0
; COMPUTE_PGM_RSRC2:TGID_X_EN: 1
; COMPUTE_PGM_RSRC2:TGID_Y_EN: 0
; COMPUTE_PGM_RSRC2:TGID_Z_EN: 0
; COMPUTE_PGM_RSRC2:TIDIG_COMP_CNT: 0
	.section	.text._ZN7rocprim17ROCPRIM_400000_NS6detail17trampoline_kernelINS0_14default_configENS1_29reduce_by_key_config_selectorIyyN6thrust23THRUST_200600_302600_NS4plusIyEEEEZZNS1_33reduce_by_key_impl_wrapped_configILNS1_25lookback_scan_determinismE0ES3_S9_NS6_6detail15normal_iteratorINS6_10device_ptrIyEEEESG_SG_SG_PmS8_22is_equal_div_10_reduceIyEEE10hipError_tPvRmT2_T3_mT4_T5_T6_T7_T8_P12ihipStream_tbENKUlT_T0_E_clISt17integral_constantIbLb1EES11_EEDaSW_SX_EUlSW_E_NS1_11comp_targetILNS1_3genE10ELNS1_11target_archE1200ELNS1_3gpuE4ELNS1_3repE0EEENS1_30default_config_static_selectorELNS0_4arch9wavefront6targetE0EEEvT1_,"axG",@progbits,_ZN7rocprim17ROCPRIM_400000_NS6detail17trampoline_kernelINS0_14default_configENS1_29reduce_by_key_config_selectorIyyN6thrust23THRUST_200600_302600_NS4plusIyEEEEZZNS1_33reduce_by_key_impl_wrapped_configILNS1_25lookback_scan_determinismE0ES3_S9_NS6_6detail15normal_iteratorINS6_10device_ptrIyEEEESG_SG_SG_PmS8_22is_equal_div_10_reduceIyEEE10hipError_tPvRmT2_T3_mT4_T5_T6_T7_T8_P12ihipStream_tbENKUlT_T0_E_clISt17integral_constantIbLb1EES11_EEDaSW_SX_EUlSW_E_NS1_11comp_targetILNS1_3genE10ELNS1_11target_archE1200ELNS1_3gpuE4ELNS1_3repE0EEENS1_30default_config_static_selectorELNS0_4arch9wavefront6targetE0EEEvT1_,comdat
	.protected	_ZN7rocprim17ROCPRIM_400000_NS6detail17trampoline_kernelINS0_14default_configENS1_29reduce_by_key_config_selectorIyyN6thrust23THRUST_200600_302600_NS4plusIyEEEEZZNS1_33reduce_by_key_impl_wrapped_configILNS1_25lookback_scan_determinismE0ES3_S9_NS6_6detail15normal_iteratorINS6_10device_ptrIyEEEESG_SG_SG_PmS8_22is_equal_div_10_reduceIyEEE10hipError_tPvRmT2_T3_mT4_T5_T6_T7_T8_P12ihipStream_tbENKUlT_T0_E_clISt17integral_constantIbLb1EES11_EEDaSW_SX_EUlSW_E_NS1_11comp_targetILNS1_3genE10ELNS1_11target_archE1200ELNS1_3gpuE4ELNS1_3repE0EEENS1_30default_config_static_selectorELNS0_4arch9wavefront6targetE0EEEvT1_ ; -- Begin function _ZN7rocprim17ROCPRIM_400000_NS6detail17trampoline_kernelINS0_14default_configENS1_29reduce_by_key_config_selectorIyyN6thrust23THRUST_200600_302600_NS4plusIyEEEEZZNS1_33reduce_by_key_impl_wrapped_configILNS1_25lookback_scan_determinismE0ES3_S9_NS6_6detail15normal_iteratorINS6_10device_ptrIyEEEESG_SG_SG_PmS8_22is_equal_div_10_reduceIyEEE10hipError_tPvRmT2_T3_mT4_T5_T6_T7_T8_P12ihipStream_tbENKUlT_T0_E_clISt17integral_constantIbLb1EES11_EEDaSW_SX_EUlSW_E_NS1_11comp_targetILNS1_3genE10ELNS1_11target_archE1200ELNS1_3gpuE4ELNS1_3repE0EEENS1_30default_config_static_selectorELNS0_4arch9wavefront6targetE0EEEvT1_
	.globl	_ZN7rocprim17ROCPRIM_400000_NS6detail17trampoline_kernelINS0_14default_configENS1_29reduce_by_key_config_selectorIyyN6thrust23THRUST_200600_302600_NS4plusIyEEEEZZNS1_33reduce_by_key_impl_wrapped_configILNS1_25lookback_scan_determinismE0ES3_S9_NS6_6detail15normal_iteratorINS6_10device_ptrIyEEEESG_SG_SG_PmS8_22is_equal_div_10_reduceIyEEE10hipError_tPvRmT2_T3_mT4_T5_T6_T7_T8_P12ihipStream_tbENKUlT_T0_E_clISt17integral_constantIbLb1EES11_EEDaSW_SX_EUlSW_E_NS1_11comp_targetILNS1_3genE10ELNS1_11target_archE1200ELNS1_3gpuE4ELNS1_3repE0EEENS1_30default_config_static_selectorELNS0_4arch9wavefront6targetE0EEEvT1_
	.p2align	8
	.type	_ZN7rocprim17ROCPRIM_400000_NS6detail17trampoline_kernelINS0_14default_configENS1_29reduce_by_key_config_selectorIyyN6thrust23THRUST_200600_302600_NS4plusIyEEEEZZNS1_33reduce_by_key_impl_wrapped_configILNS1_25lookback_scan_determinismE0ES3_S9_NS6_6detail15normal_iteratorINS6_10device_ptrIyEEEESG_SG_SG_PmS8_22is_equal_div_10_reduceIyEEE10hipError_tPvRmT2_T3_mT4_T5_T6_T7_T8_P12ihipStream_tbENKUlT_T0_E_clISt17integral_constantIbLb1EES11_EEDaSW_SX_EUlSW_E_NS1_11comp_targetILNS1_3genE10ELNS1_11target_archE1200ELNS1_3gpuE4ELNS1_3repE0EEENS1_30default_config_static_selectorELNS0_4arch9wavefront6targetE0EEEvT1_,@function
_ZN7rocprim17ROCPRIM_400000_NS6detail17trampoline_kernelINS0_14default_configENS1_29reduce_by_key_config_selectorIyyN6thrust23THRUST_200600_302600_NS4plusIyEEEEZZNS1_33reduce_by_key_impl_wrapped_configILNS1_25lookback_scan_determinismE0ES3_S9_NS6_6detail15normal_iteratorINS6_10device_ptrIyEEEESG_SG_SG_PmS8_22is_equal_div_10_reduceIyEEE10hipError_tPvRmT2_T3_mT4_T5_T6_T7_T8_P12ihipStream_tbENKUlT_T0_E_clISt17integral_constantIbLb1EES11_EEDaSW_SX_EUlSW_E_NS1_11comp_targetILNS1_3genE10ELNS1_11target_archE1200ELNS1_3gpuE4ELNS1_3repE0EEENS1_30default_config_static_selectorELNS0_4arch9wavefront6targetE0EEEvT1_: ; @_ZN7rocprim17ROCPRIM_400000_NS6detail17trampoline_kernelINS0_14default_configENS1_29reduce_by_key_config_selectorIyyN6thrust23THRUST_200600_302600_NS4plusIyEEEEZZNS1_33reduce_by_key_impl_wrapped_configILNS1_25lookback_scan_determinismE0ES3_S9_NS6_6detail15normal_iteratorINS6_10device_ptrIyEEEESG_SG_SG_PmS8_22is_equal_div_10_reduceIyEEE10hipError_tPvRmT2_T3_mT4_T5_T6_T7_T8_P12ihipStream_tbENKUlT_T0_E_clISt17integral_constantIbLb1EES11_EEDaSW_SX_EUlSW_E_NS1_11comp_targetILNS1_3genE10ELNS1_11target_archE1200ELNS1_3gpuE4ELNS1_3repE0EEENS1_30default_config_static_selectorELNS0_4arch9wavefront6targetE0EEEvT1_
; %bb.0:
	.section	.rodata,"a",@progbits
	.p2align	6, 0x0
	.amdhsa_kernel _ZN7rocprim17ROCPRIM_400000_NS6detail17trampoline_kernelINS0_14default_configENS1_29reduce_by_key_config_selectorIyyN6thrust23THRUST_200600_302600_NS4plusIyEEEEZZNS1_33reduce_by_key_impl_wrapped_configILNS1_25lookback_scan_determinismE0ES3_S9_NS6_6detail15normal_iteratorINS6_10device_ptrIyEEEESG_SG_SG_PmS8_22is_equal_div_10_reduceIyEEE10hipError_tPvRmT2_T3_mT4_T5_T6_T7_T8_P12ihipStream_tbENKUlT_T0_E_clISt17integral_constantIbLb1EES11_EEDaSW_SX_EUlSW_E_NS1_11comp_targetILNS1_3genE10ELNS1_11target_archE1200ELNS1_3gpuE4ELNS1_3repE0EEENS1_30default_config_static_selectorELNS0_4arch9wavefront6targetE0EEEvT1_
		.amdhsa_group_segment_fixed_size 0
		.amdhsa_private_segment_fixed_size 0
		.amdhsa_kernarg_size 136
		.amdhsa_user_sgpr_count 15
		.amdhsa_user_sgpr_dispatch_ptr 0
		.amdhsa_user_sgpr_queue_ptr 0
		.amdhsa_user_sgpr_kernarg_segment_ptr 1
		.amdhsa_user_sgpr_dispatch_id 0
		.amdhsa_user_sgpr_private_segment_size 0
		.amdhsa_wavefront_size32 1
		.amdhsa_uses_dynamic_stack 0
		.amdhsa_enable_private_segment 0
		.amdhsa_system_sgpr_workgroup_id_x 1
		.amdhsa_system_sgpr_workgroup_id_y 0
		.amdhsa_system_sgpr_workgroup_id_z 0
		.amdhsa_system_sgpr_workgroup_info 0
		.amdhsa_system_vgpr_workitem_id 0
		.amdhsa_next_free_vgpr 1
		.amdhsa_next_free_sgpr 1
		.amdhsa_reserve_vcc 0
		.amdhsa_float_round_mode_32 0
		.amdhsa_float_round_mode_16_64 0
		.amdhsa_float_denorm_mode_32 3
		.amdhsa_float_denorm_mode_16_64 3
		.amdhsa_dx10_clamp 1
		.amdhsa_ieee_mode 1
		.amdhsa_fp16_overflow 0
		.amdhsa_workgroup_processor_mode 1
		.amdhsa_memory_ordered 1
		.amdhsa_forward_progress 0
		.amdhsa_shared_vgpr_count 0
		.amdhsa_exception_fp_ieee_invalid_op 0
		.amdhsa_exception_fp_denorm_src 0
		.amdhsa_exception_fp_ieee_div_zero 0
		.amdhsa_exception_fp_ieee_overflow 0
		.amdhsa_exception_fp_ieee_underflow 0
		.amdhsa_exception_fp_ieee_inexact 0
		.amdhsa_exception_int_div_zero 0
	.end_amdhsa_kernel
	.section	.text._ZN7rocprim17ROCPRIM_400000_NS6detail17trampoline_kernelINS0_14default_configENS1_29reduce_by_key_config_selectorIyyN6thrust23THRUST_200600_302600_NS4plusIyEEEEZZNS1_33reduce_by_key_impl_wrapped_configILNS1_25lookback_scan_determinismE0ES3_S9_NS6_6detail15normal_iteratorINS6_10device_ptrIyEEEESG_SG_SG_PmS8_22is_equal_div_10_reduceIyEEE10hipError_tPvRmT2_T3_mT4_T5_T6_T7_T8_P12ihipStream_tbENKUlT_T0_E_clISt17integral_constantIbLb1EES11_EEDaSW_SX_EUlSW_E_NS1_11comp_targetILNS1_3genE10ELNS1_11target_archE1200ELNS1_3gpuE4ELNS1_3repE0EEENS1_30default_config_static_selectorELNS0_4arch9wavefront6targetE0EEEvT1_,"axG",@progbits,_ZN7rocprim17ROCPRIM_400000_NS6detail17trampoline_kernelINS0_14default_configENS1_29reduce_by_key_config_selectorIyyN6thrust23THRUST_200600_302600_NS4plusIyEEEEZZNS1_33reduce_by_key_impl_wrapped_configILNS1_25lookback_scan_determinismE0ES3_S9_NS6_6detail15normal_iteratorINS6_10device_ptrIyEEEESG_SG_SG_PmS8_22is_equal_div_10_reduceIyEEE10hipError_tPvRmT2_T3_mT4_T5_T6_T7_T8_P12ihipStream_tbENKUlT_T0_E_clISt17integral_constantIbLb1EES11_EEDaSW_SX_EUlSW_E_NS1_11comp_targetILNS1_3genE10ELNS1_11target_archE1200ELNS1_3gpuE4ELNS1_3repE0EEENS1_30default_config_static_selectorELNS0_4arch9wavefront6targetE0EEEvT1_,comdat
.Lfunc_end292:
	.size	_ZN7rocprim17ROCPRIM_400000_NS6detail17trampoline_kernelINS0_14default_configENS1_29reduce_by_key_config_selectorIyyN6thrust23THRUST_200600_302600_NS4plusIyEEEEZZNS1_33reduce_by_key_impl_wrapped_configILNS1_25lookback_scan_determinismE0ES3_S9_NS6_6detail15normal_iteratorINS6_10device_ptrIyEEEESG_SG_SG_PmS8_22is_equal_div_10_reduceIyEEE10hipError_tPvRmT2_T3_mT4_T5_T6_T7_T8_P12ihipStream_tbENKUlT_T0_E_clISt17integral_constantIbLb1EES11_EEDaSW_SX_EUlSW_E_NS1_11comp_targetILNS1_3genE10ELNS1_11target_archE1200ELNS1_3gpuE4ELNS1_3repE0EEENS1_30default_config_static_selectorELNS0_4arch9wavefront6targetE0EEEvT1_, .Lfunc_end292-_ZN7rocprim17ROCPRIM_400000_NS6detail17trampoline_kernelINS0_14default_configENS1_29reduce_by_key_config_selectorIyyN6thrust23THRUST_200600_302600_NS4plusIyEEEEZZNS1_33reduce_by_key_impl_wrapped_configILNS1_25lookback_scan_determinismE0ES3_S9_NS6_6detail15normal_iteratorINS6_10device_ptrIyEEEESG_SG_SG_PmS8_22is_equal_div_10_reduceIyEEE10hipError_tPvRmT2_T3_mT4_T5_T6_T7_T8_P12ihipStream_tbENKUlT_T0_E_clISt17integral_constantIbLb1EES11_EEDaSW_SX_EUlSW_E_NS1_11comp_targetILNS1_3genE10ELNS1_11target_archE1200ELNS1_3gpuE4ELNS1_3repE0EEENS1_30default_config_static_selectorELNS0_4arch9wavefront6targetE0EEEvT1_
                                        ; -- End function
	.section	.AMDGPU.csdata,"",@progbits
; Kernel info:
; codeLenInByte = 0
; NumSgprs: 0
; NumVgprs: 0
; ScratchSize: 0
; MemoryBound: 0
; FloatMode: 240
; IeeeMode: 1
; LDSByteSize: 0 bytes/workgroup (compile time only)
; SGPRBlocks: 0
; VGPRBlocks: 0
; NumSGPRsForWavesPerEU: 1
; NumVGPRsForWavesPerEU: 1
; Occupancy: 16
; WaveLimiterHint : 0
; COMPUTE_PGM_RSRC2:SCRATCH_EN: 0
; COMPUTE_PGM_RSRC2:USER_SGPR: 15
; COMPUTE_PGM_RSRC2:TRAP_HANDLER: 0
; COMPUTE_PGM_RSRC2:TGID_X_EN: 1
; COMPUTE_PGM_RSRC2:TGID_Y_EN: 0
; COMPUTE_PGM_RSRC2:TGID_Z_EN: 0
; COMPUTE_PGM_RSRC2:TIDIG_COMP_CNT: 0
	.section	.text._ZN7rocprim17ROCPRIM_400000_NS6detail17trampoline_kernelINS0_14default_configENS1_29reduce_by_key_config_selectorIyyN6thrust23THRUST_200600_302600_NS4plusIyEEEEZZNS1_33reduce_by_key_impl_wrapped_configILNS1_25lookback_scan_determinismE0ES3_S9_NS6_6detail15normal_iteratorINS6_10device_ptrIyEEEESG_SG_SG_PmS8_22is_equal_div_10_reduceIyEEE10hipError_tPvRmT2_T3_mT4_T5_T6_T7_T8_P12ihipStream_tbENKUlT_T0_E_clISt17integral_constantIbLb1EES11_EEDaSW_SX_EUlSW_E_NS1_11comp_targetILNS1_3genE9ELNS1_11target_archE1100ELNS1_3gpuE3ELNS1_3repE0EEENS1_30default_config_static_selectorELNS0_4arch9wavefront6targetE0EEEvT1_,"axG",@progbits,_ZN7rocprim17ROCPRIM_400000_NS6detail17trampoline_kernelINS0_14default_configENS1_29reduce_by_key_config_selectorIyyN6thrust23THRUST_200600_302600_NS4plusIyEEEEZZNS1_33reduce_by_key_impl_wrapped_configILNS1_25lookback_scan_determinismE0ES3_S9_NS6_6detail15normal_iteratorINS6_10device_ptrIyEEEESG_SG_SG_PmS8_22is_equal_div_10_reduceIyEEE10hipError_tPvRmT2_T3_mT4_T5_T6_T7_T8_P12ihipStream_tbENKUlT_T0_E_clISt17integral_constantIbLb1EES11_EEDaSW_SX_EUlSW_E_NS1_11comp_targetILNS1_3genE9ELNS1_11target_archE1100ELNS1_3gpuE3ELNS1_3repE0EEENS1_30default_config_static_selectorELNS0_4arch9wavefront6targetE0EEEvT1_,comdat
	.protected	_ZN7rocprim17ROCPRIM_400000_NS6detail17trampoline_kernelINS0_14default_configENS1_29reduce_by_key_config_selectorIyyN6thrust23THRUST_200600_302600_NS4plusIyEEEEZZNS1_33reduce_by_key_impl_wrapped_configILNS1_25lookback_scan_determinismE0ES3_S9_NS6_6detail15normal_iteratorINS6_10device_ptrIyEEEESG_SG_SG_PmS8_22is_equal_div_10_reduceIyEEE10hipError_tPvRmT2_T3_mT4_T5_T6_T7_T8_P12ihipStream_tbENKUlT_T0_E_clISt17integral_constantIbLb1EES11_EEDaSW_SX_EUlSW_E_NS1_11comp_targetILNS1_3genE9ELNS1_11target_archE1100ELNS1_3gpuE3ELNS1_3repE0EEENS1_30default_config_static_selectorELNS0_4arch9wavefront6targetE0EEEvT1_ ; -- Begin function _ZN7rocprim17ROCPRIM_400000_NS6detail17trampoline_kernelINS0_14default_configENS1_29reduce_by_key_config_selectorIyyN6thrust23THRUST_200600_302600_NS4plusIyEEEEZZNS1_33reduce_by_key_impl_wrapped_configILNS1_25lookback_scan_determinismE0ES3_S9_NS6_6detail15normal_iteratorINS6_10device_ptrIyEEEESG_SG_SG_PmS8_22is_equal_div_10_reduceIyEEE10hipError_tPvRmT2_T3_mT4_T5_T6_T7_T8_P12ihipStream_tbENKUlT_T0_E_clISt17integral_constantIbLb1EES11_EEDaSW_SX_EUlSW_E_NS1_11comp_targetILNS1_3genE9ELNS1_11target_archE1100ELNS1_3gpuE3ELNS1_3repE0EEENS1_30default_config_static_selectorELNS0_4arch9wavefront6targetE0EEEvT1_
	.globl	_ZN7rocprim17ROCPRIM_400000_NS6detail17trampoline_kernelINS0_14default_configENS1_29reduce_by_key_config_selectorIyyN6thrust23THRUST_200600_302600_NS4plusIyEEEEZZNS1_33reduce_by_key_impl_wrapped_configILNS1_25lookback_scan_determinismE0ES3_S9_NS6_6detail15normal_iteratorINS6_10device_ptrIyEEEESG_SG_SG_PmS8_22is_equal_div_10_reduceIyEEE10hipError_tPvRmT2_T3_mT4_T5_T6_T7_T8_P12ihipStream_tbENKUlT_T0_E_clISt17integral_constantIbLb1EES11_EEDaSW_SX_EUlSW_E_NS1_11comp_targetILNS1_3genE9ELNS1_11target_archE1100ELNS1_3gpuE3ELNS1_3repE0EEENS1_30default_config_static_selectorELNS0_4arch9wavefront6targetE0EEEvT1_
	.p2align	8
	.type	_ZN7rocprim17ROCPRIM_400000_NS6detail17trampoline_kernelINS0_14default_configENS1_29reduce_by_key_config_selectorIyyN6thrust23THRUST_200600_302600_NS4plusIyEEEEZZNS1_33reduce_by_key_impl_wrapped_configILNS1_25lookback_scan_determinismE0ES3_S9_NS6_6detail15normal_iteratorINS6_10device_ptrIyEEEESG_SG_SG_PmS8_22is_equal_div_10_reduceIyEEE10hipError_tPvRmT2_T3_mT4_T5_T6_T7_T8_P12ihipStream_tbENKUlT_T0_E_clISt17integral_constantIbLb1EES11_EEDaSW_SX_EUlSW_E_NS1_11comp_targetILNS1_3genE9ELNS1_11target_archE1100ELNS1_3gpuE3ELNS1_3repE0EEENS1_30default_config_static_selectorELNS0_4arch9wavefront6targetE0EEEvT1_,@function
_ZN7rocprim17ROCPRIM_400000_NS6detail17trampoline_kernelINS0_14default_configENS1_29reduce_by_key_config_selectorIyyN6thrust23THRUST_200600_302600_NS4plusIyEEEEZZNS1_33reduce_by_key_impl_wrapped_configILNS1_25lookback_scan_determinismE0ES3_S9_NS6_6detail15normal_iteratorINS6_10device_ptrIyEEEESG_SG_SG_PmS8_22is_equal_div_10_reduceIyEEE10hipError_tPvRmT2_T3_mT4_T5_T6_T7_T8_P12ihipStream_tbENKUlT_T0_E_clISt17integral_constantIbLb1EES11_EEDaSW_SX_EUlSW_E_NS1_11comp_targetILNS1_3genE9ELNS1_11target_archE1100ELNS1_3gpuE3ELNS1_3repE0EEENS1_30default_config_static_selectorELNS0_4arch9wavefront6targetE0EEEvT1_: ; @_ZN7rocprim17ROCPRIM_400000_NS6detail17trampoline_kernelINS0_14default_configENS1_29reduce_by_key_config_selectorIyyN6thrust23THRUST_200600_302600_NS4plusIyEEEEZZNS1_33reduce_by_key_impl_wrapped_configILNS1_25lookback_scan_determinismE0ES3_S9_NS6_6detail15normal_iteratorINS6_10device_ptrIyEEEESG_SG_SG_PmS8_22is_equal_div_10_reduceIyEEE10hipError_tPvRmT2_T3_mT4_T5_T6_T7_T8_P12ihipStream_tbENKUlT_T0_E_clISt17integral_constantIbLb1EES11_EEDaSW_SX_EUlSW_E_NS1_11comp_targetILNS1_3genE9ELNS1_11target_archE1100ELNS1_3gpuE3ELNS1_3repE0EEENS1_30default_config_static_selectorELNS0_4arch9wavefront6targetE0EEEvT1_
; %bb.0:
	s_clause 0x2
	s_load_b256 s[12:19], s[0:1], 0x0
	s_load_b128 s[20:23], s[0:1], 0x20
	s_load_b64 s[24:25], s[0:1], 0x78
	v_cmp_ne_u32_e64 s3, 0, v0
	v_cmp_eq_u32_e64 s2, 0, v0
	s_delay_alu instid0(VALU_DEP_1)
	s_and_saveexec_b32 s4, s2
	s_cbranch_execz .LBB293_4
; %bb.1:
	s_mov_b32 s6, exec_lo
	s_mov_b32 s5, exec_lo
	v_mbcnt_lo_u32_b32 v1, s6, 0
                                        ; implicit-def: $vgpr2
	s_delay_alu instid0(VALU_DEP_1)
	v_cmpx_eq_u32_e32 0, v1
	s_cbranch_execz .LBB293_3
; %bb.2:
	s_load_b64 s[8:9], s[0:1], 0x80
	s_bcnt1_i32_b32 s6, s6
	s_delay_alu instid0(SALU_CYCLE_1)
	v_dual_mov_b32 v2, 0 :: v_dual_mov_b32 v3, s6
	s_waitcnt lgkmcnt(0)
	global_atomic_add_u32 v2, v2, v3, s[8:9] glc
.LBB293_3:
	s_or_b32 exec_lo, exec_lo, s5
	s_waitcnt vmcnt(0)
	v_readfirstlane_b32 s5, v2
	s_delay_alu instid0(VALU_DEP_1)
	v_dual_mov_b32 v2, 0 :: v_dual_add_nc_u32 v1, s5, v1
	ds_store_b32 v2, v1
.LBB293_4:
	s_or_b32 exec_lo, exec_lo, s4
	v_mov_b32_e32 v2, 0
	s_waitcnt lgkmcnt(0)
	s_barrier
	buffer_gl0_inv
	s_load_b512 s[36:51], s[0:1], 0x38
	ds_load_b32 v1, v2
	s_lshl_b64 s[4:5], s[14:15], 3
	s_mov_b32 s0, 0
	s_add_u32 s9, s12, s4
	s_addc_u32 s10, s13, s5
	s_add_u32 s11, s16, s4
	s_addc_u32 s12, s17, s5
	s_waitcnt lgkmcnt(0)
	s_barrier
	buffer_gl0_inv
	s_mul_i32 s1, s44, s43
	v_readfirstlane_b32 s30, v1
	v_mul_lo_u32 v1, 0xf00, v1
	s_mul_hi_u32 s6, s44, s42
	s_mul_i32 s7, s45, s42
	s_add_i32 s1, s6, s1
	s_mul_i32 s8, s44, s42
	s_add_i32 s1, s1, s7
	s_add_u32 s26, s8, s30
	s_addc_u32 s27, s1, 0
	v_lshlrev_b64 v[1:2], 3, v[1:2]
	s_add_u32 s4, s46, -1
	s_addc_u32 s5, s47, -1
	s_mul_i32 s28, s4, 0xfffff100
	s_cmp_eq_u64 s[26:27], s[4:5]
	s_delay_alu instid0(VALU_DEP_1)
	v_add_co_u32 v71, vcc_lo, s9, v1
	v_add_co_ci_u32_e32 v75, vcc_lo, s10, v2, vcc_lo
	v_add_co_u32 v61, vcc_lo, s11, v1
	v_add_co_ci_u32_e32 v62, vcc_lo, s12, v2, vcc_lo
	s_cselect_b32 s17, -1, 0
	s_cmp_lg_u64 s[26:27], s[4:5]
	s_cselect_b32 s31, -1, 0
	s_and_b32 vcc_lo, exec_lo, s17
	s_cbranch_vccnz .LBB293_6
; %bb.5:
	v_lshlrev_b32_e32 v64, 3, v0
	s_delay_alu instid0(VALU_DEP_1) | instskip(SKIP_2) | instid1(VALU_DEP_3)
	v_add_co_u32 v1, vcc_lo, v71, v64
	v_add_co_ci_u32_e32 v2, vcc_lo, 0, v75, vcc_lo
	v_mad_u32_u24 v63, 0x70, v0, v64
	v_add_co_u32 v3, vcc_lo, 0x1000, v1
	s_delay_alu instid0(VALU_DEP_3)
	v_add_co_ci_u32_e32 v4, vcc_lo, 0, v2, vcc_lo
	v_add_co_u32 v5, vcc_lo, 0x2000, v1
	v_add_co_ci_u32_e32 v6, vcc_lo, 0, v2, vcc_lo
	v_add_co_u32 v7, vcc_lo, 0x3000, v1
	;; [unrolled: 2-line block ×5, first 2 shown]
	v_add_co_ci_u32_e32 v24, vcc_lo, 0, v2, vcc_lo
	s_clause 0x7
	flat_load_b64 v[9:10], v[1:2]
	flat_load_b64 v[11:12], v[1:2] offset:2048
	flat_load_b64 v[13:14], v[3:4]
	flat_load_b64 v[3:4], v[3:4] offset:2048
	;; [unrolled: 2-line block ×4, first 2 shown]
	v_add_co_u32 v1, vcc_lo, 0x7000, v1
	v_add_co_ci_u32_e32 v2, vcc_lo, 0, v2, vcc_lo
	s_clause 0x6
	flat_load_b64 v[25:26], v[19:20]
	flat_load_b64 v[19:20], v[19:20] offset:2048
	flat_load_b64 v[27:28], v[21:22]
	flat_load_b64 v[21:22], v[21:22] offset:2048
	;; [unrolled: 2-line block ×3, first 2 shown]
	flat_load_b64 v[1:2], v[1:2]
	v_add_co_u32 v31, vcc_lo, v61, v64
	v_add_co_ci_u32_e32 v32, vcc_lo, 0, v62, vcc_lo
	s_waitcnt vmcnt(13) lgkmcnt(13)
	ds_store_2addr_stride64_b64 v64, v[9:10], v[11:12] offset1:4
	s_waitcnt vmcnt(11) lgkmcnt(12)
	ds_store_2addr_stride64_b64 v64, v[13:14], v[3:4] offset0:8 offset1:12
	s_waitcnt vmcnt(9) lgkmcnt(11)
	ds_store_2addr_stride64_b64 v64, v[15:16], v[5:6] offset0:16 offset1:20
	s_waitcnt vmcnt(7) lgkmcnt(10)
	ds_store_2addr_stride64_b64 v64, v[17:18], v[7:8] offset0:24 offset1:28
	s_waitcnt vmcnt(5) lgkmcnt(9)
	ds_store_2addr_stride64_b64 v64, v[25:26], v[19:20] offset0:32 offset1:36
	s_waitcnt vmcnt(3) lgkmcnt(8)
	ds_store_2addr_stride64_b64 v64, v[27:28], v[21:22] offset0:40 offset1:44
	s_waitcnt vmcnt(1) lgkmcnt(7)
	ds_store_2addr_stride64_b64 v64, v[29:30], v[23:24] offset0:48 offset1:52
	s_waitcnt vmcnt(0) lgkmcnt(7)
	ds_store_b64 v64, v[1:2] offset:28672
	v_add_co_u32 v33, vcc_lo, 0x1000, v31
	v_add_co_ci_u32_e32 v34, vcc_lo, 0, v32, vcc_lo
	v_add_co_u32 v35, vcc_lo, 0x2000, v31
	v_add_co_ci_u32_e32 v36, vcc_lo, 0, v32, vcc_lo
	;; [unrolled: 2-line block ×7, first 2 shown]
	s_waitcnt lgkmcnt(0)
	s_barrier
	buffer_gl0_inv
	ds_load_2addr_b64 v[25:28], v63 offset1:1
	ds_load_2addr_b64 v[21:24], v63 offset0:2 offset1:3
	ds_load_2addr_b64 v[17:20], v63 offset0:4 offset1:5
	ds_load_2addr_b64 v[13:16], v63 offset0:6 offset1:7
	ds_load_2addr_b64 v[9:12], v63 offset0:8 offset1:9
	ds_load_2addr_b64 v[5:8], v63 offset0:10 offset1:11
	ds_load_2addr_b64 v[1:4], v63 offset0:12 offset1:13
	ds_load_b64 v[57:58], v63 offset:112
	s_waitcnt lgkmcnt(0)
	s_barrier
	buffer_gl0_inv
	s_clause 0xe
	flat_load_b64 v[29:30], v[31:32]
	flat_load_b64 v[31:32], v[31:32] offset:2048
	flat_load_b64 v[47:48], v[33:34]
	flat_load_b64 v[33:34], v[33:34] offset:2048
	;; [unrolled: 2-line block ×7, first 2 shown]
	flat_load_b64 v[45:46], v[45:46]
	s_waitcnt vmcnt(13) lgkmcnt(13)
	ds_store_2addr_stride64_b64 v64, v[29:30], v[31:32] offset1:4
	s_waitcnt vmcnt(11) lgkmcnt(12)
	ds_store_2addr_stride64_b64 v64, v[47:48], v[33:34] offset0:8 offset1:12
	s_waitcnt vmcnt(9) lgkmcnt(11)
	ds_store_2addr_stride64_b64 v64, v[49:50], v[35:36] offset0:16 offset1:20
	;; [unrolled: 2-line block ×6, first 2 shown]
	s_waitcnt vmcnt(0) lgkmcnt(7)
	ds_store_b64 v64, v[45:46] offset:28672
	s_waitcnt lgkmcnt(0)
	s_barrier
	s_and_not1_b32 vcc_lo, exec_lo, s0
	s_add_i32 s28, s28, s48
	s_cbranch_vccz .LBB293_7
	s_branch .LBB293_54
.LBB293_6:
                                        ; implicit-def: $vgpr63
                                        ; implicit-def: $vgpr25_vgpr26
                                        ; implicit-def: $vgpr21_vgpr22
                                        ; implicit-def: $vgpr17_vgpr18
                                        ; implicit-def: $vgpr13_vgpr14
                                        ; implicit-def: $vgpr9_vgpr10
                                        ; implicit-def: $vgpr5_vgpr6
                                        ; implicit-def: $vgpr1_vgpr2
                                        ; implicit-def: $vgpr57_vgpr58
	s_add_i32 s28, s28, s48
.LBB293_7:
	s_delay_alu instid0(SALU_CYCLE_1)
	v_cmp_gt_u32_e32 vcc_lo, s28, v0
                                        ; implicit-def: $vgpr1_vgpr2
	s_and_saveexec_b32 s1, vcc_lo
	s_cbranch_execz .LBB293_9
; %bb.8:
	v_lshlrev_b32_e32 v1, 3, v0
	s_delay_alu instid0(VALU_DEP_1) | instskip(NEXT) | instid1(VALU_DEP_1)
	v_add_co_u32 v1, s0, v71, v1
	v_add_co_ci_u32_e64 v2, s0, 0, v75, s0
	flat_load_b64 v[1:2], v[1:2]
.LBB293_9:
	s_or_b32 exec_lo, exec_lo, s1
	v_or_b32_e32 v3, 0x100, v0
	s_delay_alu instid0(VALU_DEP_1) | instskip(NEXT) | instid1(VALU_DEP_1)
	v_cmp_gt_u32_e64 s0, s28, v3
                                        ; implicit-def: $vgpr3_vgpr4
	s_and_saveexec_b32 s4, s0
	s_cbranch_execz .LBB293_11
; %bb.10:
	v_lshlrev_b32_e32 v3, 3, v0
	s_delay_alu instid0(VALU_DEP_1) | instskip(NEXT) | instid1(VALU_DEP_1)
	v_add_co_u32 v3, s1, v71, v3
	v_add_co_ci_u32_e64 v4, s1, 0, v75, s1
	flat_load_b64 v[3:4], v[3:4] offset:2048
.LBB293_11:
	s_or_b32 exec_lo, exec_lo, s4
	v_or_b32_e32 v35, 0x200, v0
                                        ; implicit-def: $vgpr5_vgpr6
	s_delay_alu instid0(VALU_DEP_1) | instskip(NEXT) | instid1(VALU_DEP_1)
	v_cmp_gt_u32_e64 s1, s28, v35
	s_and_saveexec_b32 s5, s1
	s_cbranch_execz .LBB293_13
; %bb.12:
	v_lshlrev_b32_e32 v5, 3, v35
	s_delay_alu instid0(VALU_DEP_1) | instskip(NEXT) | instid1(VALU_DEP_1)
	v_add_co_u32 v5, s4, v71, v5
	v_add_co_ci_u32_e64 v6, s4, 0, v75, s4
	flat_load_b64 v[5:6], v[5:6]
.LBB293_13:
	s_or_b32 exec_lo, exec_lo, s5
	v_or_b32_e32 v37, 0x300, v0
                                        ; implicit-def: $vgpr7_vgpr8
	s_delay_alu instid0(VALU_DEP_1) | instskip(NEXT) | instid1(VALU_DEP_1)
	v_cmp_gt_u32_e64 s4, s28, v37
	s_and_saveexec_b32 s6, s4
	s_cbranch_execz .LBB293_15
; %bb.14:
	v_lshlrev_b32_e32 v7, 3, v37
	s_delay_alu instid0(VALU_DEP_1) | instskip(NEXT) | instid1(VALU_DEP_1)
	v_add_co_u32 v7, s5, v71, v7
	v_add_co_ci_u32_e64 v8, s5, 0, v75, s5
	flat_load_b64 v[7:8], v[7:8]
.LBB293_15:
	s_or_b32 exec_lo, exec_lo, s6
	v_or_b32_e32 v39, 0x400, v0
                                        ; implicit-def: $vgpr9_vgpr10
	s_delay_alu instid0(VALU_DEP_1) | instskip(NEXT) | instid1(VALU_DEP_1)
	v_cmp_gt_u32_e64 s5, s28, v39
	s_and_saveexec_b32 s7, s5
	s_cbranch_execz .LBB293_17
; %bb.16:
	v_lshlrev_b32_e32 v9, 3, v39
	s_delay_alu instid0(VALU_DEP_1) | instskip(NEXT) | instid1(VALU_DEP_1)
	v_add_co_u32 v9, s6, v71, v9
	v_add_co_ci_u32_e64 v10, s6, 0, v75, s6
	flat_load_b64 v[9:10], v[9:10]
.LBB293_17:
	s_or_b32 exec_lo, exec_lo, s7
	v_or_b32_e32 v41, 0x500, v0
                                        ; implicit-def: $vgpr11_vgpr12
	s_delay_alu instid0(VALU_DEP_1) | instskip(NEXT) | instid1(VALU_DEP_1)
	v_cmp_gt_u32_e64 s6, s28, v41
	s_and_saveexec_b32 s8, s6
	s_cbranch_execz .LBB293_19
; %bb.18:
	v_lshlrev_b32_e32 v11, 3, v41
	s_delay_alu instid0(VALU_DEP_1) | instskip(NEXT) | instid1(VALU_DEP_1)
	v_add_co_u32 v11, s7, v71, v11
	v_add_co_ci_u32_e64 v12, s7, 0, v75, s7
	flat_load_b64 v[11:12], v[11:12]
.LBB293_19:
	s_or_b32 exec_lo, exec_lo, s8
	v_or_b32_e32 v43, 0x600, v0
                                        ; implicit-def: $vgpr13_vgpr14
	s_delay_alu instid0(VALU_DEP_1) | instskip(NEXT) | instid1(VALU_DEP_1)
	v_cmp_gt_u32_e64 s7, s28, v43
	s_and_saveexec_b32 s9, s7
	s_cbranch_execz .LBB293_21
; %bb.20:
	v_lshlrev_b32_e32 v13, 3, v43
	s_delay_alu instid0(VALU_DEP_1) | instskip(NEXT) | instid1(VALU_DEP_1)
	v_add_co_u32 v13, s8, v71, v13
	v_add_co_ci_u32_e64 v14, s8, 0, v75, s8
	flat_load_b64 v[13:14], v[13:14]
.LBB293_21:
	s_or_b32 exec_lo, exec_lo, s9
	v_or_b32_e32 v45, 0x700, v0
                                        ; implicit-def: $vgpr15_vgpr16
	s_delay_alu instid0(VALU_DEP_1) | instskip(NEXT) | instid1(VALU_DEP_1)
	v_cmp_gt_u32_e64 s8, s28, v45
	s_and_saveexec_b32 s10, s8
	s_cbranch_execz .LBB293_23
; %bb.22:
	v_lshlrev_b32_e32 v15, 3, v45
	s_delay_alu instid0(VALU_DEP_1) | instskip(NEXT) | instid1(VALU_DEP_1)
	v_add_co_u32 v15, s9, v71, v15
	v_add_co_ci_u32_e64 v16, s9, 0, v75, s9
	flat_load_b64 v[15:16], v[15:16]
.LBB293_23:
	s_or_b32 exec_lo, exec_lo, s10
	v_or_b32_e32 v47, 0x800, v0
                                        ; implicit-def: $vgpr17_vgpr18
	s_delay_alu instid0(VALU_DEP_1) | instskip(NEXT) | instid1(VALU_DEP_1)
	v_cmp_gt_u32_e64 s9, s28, v47
	s_and_saveexec_b32 s11, s9
	s_cbranch_execz .LBB293_25
; %bb.24:
	v_lshlrev_b32_e32 v17, 3, v47
	s_delay_alu instid0(VALU_DEP_1) | instskip(NEXT) | instid1(VALU_DEP_1)
	v_add_co_u32 v17, s10, v71, v17
	v_add_co_ci_u32_e64 v18, s10, 0, v75, s10
	flat_load_b64 v[17:18], v[17:18]
.LBB293_25:
	s_or_b32 exec_lo, exec_lo, s11
	v_or_b32_e32 v49, 0x900, v0
                                        ; implicit-def: $vgpr19_vgpr20
	s_delay_alu instid0(VALU_DEP_1) | instskip(NEXT) | instid1(VALU_DEP_1)
	v_cmp_gt_u32_e64 s10, s28, v49
	s_and_saveexec_b32 s12, s10
	s_cbranch_execz .LBB293_27
; %bb.26:
	v_lshlrev_b32_e32 v19, 3, v49
	s_delay_alu instid0(VALU_DEP_1) | instskip(NEXT) | instid1(VALU_DEP_1)
	v_add_co_u32 v19, s11, v71, v19
	v_add_co_ci_u32_e64 v20, s11, 0, v75, s11
	flat_load_b64 v[19:20], v[19:20]
.LBB293_27:
	s_or_b32 exec_lo, exec_lo, s12
	v_or_b32_e32 v51, 0xa00, v0
                                        ; implicit-def: $vgpr21_vgpr22
	s_delay_alu instid0(VALU_DEP_1) | instskip(NEXT) | instid1(VALU_DEP_1)
	v_cmp_gt_u32_e64 s11, s28, v51
	s_and_saveexec_b32 s13, s11
	s_cbranch_execz .LBB293_29
; %bb.28:
	v_lshlrev_b32_e32 v21, 3, v51
	s_delay_alu instid0(VALU_DEP_1) | instskip(NEXT) | instid1(VALU_DEP_1)
	v_add_co_u32 v21, s12, v71, v21
	v_add_co_ci_u32_e64 v22, s12, 0, v75, s12
	flat_load_b64 v[21:22], v[21:22]
.LBB293_29:
	s_or_b32 exec_lo, exec_lo, s13
	v_or_b32_e32 v53, 0xb00, v0
                                        ; implicit-def: $vgpr23_vgpr24
	s_delay_alu instid0(VALU_DEP_1) | instskip(NEXT) | instid1(VALU_DEP_1)
	v_cmp_gt_u32_e64 s12, s28, v53
	s_and_saveexec_b32 s14, s12
	s_cbranch_execz .LBB293_31
; %bb.30:
	v_lshlrev_b32_e32 v23, 3, v53
	s_delay_alu instid0(VALU_DEP_1) | instskip(NEXT) | instid1(VALU_DEP_1)
	v_add_co_u32 v23, s13, v71, v23
	v_add_co_ci_u32_e64 v24, s13, 0, v75, s13
	flat_load_b64 v[23:24], v[23:24]
.LBB293_31:
	s_or_b32 exec_lo, exec_lo, s14
	v_or_b32_e32 v55, 0xc00, v0
                                        ; implicit-def: $vgpr25_vgpr26
	s_delay_alu instid0(VALU_DEP_1) | instskip(NEXT) | instid1(VALU_DEP_1)
	v_cmp_gt_u32_e64 s13, s28, v55
	s_and_saveexec_b32 s15, s13
	s_cbranch_execz .LBB293_33
; %bb.32:
	v_lshlrev_b32_e32 v25, 3, v55
	s_delay_alu instid0(VALU_DEP_1) | instskip(NEXT) | instid1(VALU_DEP_1)
	v_add_co_u32 v25, s14, v71, v25
	v_add_co_ci_u32_e64 v26, s14, 0, v75, s14
	flat_load_b64 v[25:26], v[25:26]
.LBB293_33:
	s_or_b32 exec_lo, exec_lo, s15
	v_or_b32_e32 v59, 0xd00, v0
                                        ; implicit-def: $vgpr27_vgpr28
	s_delay_alu instid0(VALU_DEP_1) | instskip(NEXT) | instid1(VALU_DEP_1)
	v_cmp_gt_u32_e64 s14, s28, v59
	s_and_saveexec_b32 s16, s14
	s_cbranch_execz .LBB293_35
; %bb.34:
	v_lshlrev_b32_e32 v27, 3, v59
	s_delay_alu instid0(VALU_DEP_1) | instskip(NEXT) | instid1(VALU_DEP_1)
	v_add_co_u32 v27, s15, v71, v27
	v_add_co_ci_u32_e64 v28, s15, 0, v75, s15
	flat_load_b64 v[27:28], v[27:28]
.LBB293_35:
	s_or_b32 exec_lo, exec_lo, s16
	v_or_b32_e32 v65, 0xe00, v0
                                        ; implicit-def: $vgpr29_vgpr30
	s_delay_alu instid0(VALU_DEP_1) | instskip(NEXT) | instid1(VALU_DEP_1)
	v_cmp_gt_u32_e64 s15, s28, v65
	s_and_saveexec_b32 s29, s15
	s_cbranch_execz .LBB293_37
; %bb.36:
	v_lshlrev_b32_e32 v29, 3, v65
	s_delay_alu instid0(VALU_DEP_1) | instskip(NEXT) | instid1(VALU_DEP_1)
	v_add_co_u32 v29, s16, v71, v29
	v_add_co_ci_u32_e64 v30, s16, 0, v75, s16
	flat_load_b64 v[29:30], v[29:30]
.LBB293_37:
	s_or_b32 exec_lo, exec_lo, s29
	v_lshlrev_b32_e32 v64, 3, v0
	s_waitcnt vmcnt(0) lgkmcnt(0)
	ds_store_2addr_stride64_b64 v64, v[1:2], v[3:4] offset1:4
	ds_store_2addr_stride64_b64 v64, v[5:6], v[7:8] offset0:8 offset1:12
	ds_store_2addr_stride64_b64 v64, v[9:10], v[11:12] offset0:16 offset1:20
	;; [unrolled: 1-line block ×6, first 2 shown]
	v_mad_u32_u24 v63, 0x70, v0, v64
	ds_store_b64 v64, v[29:30] offset:28672
	s_waitcnt lgkmcnt(0)
	s_barrier
	buffer_gl0_inv
	ds_load_2addr_b64 v[25:28], v63 offset1:1
	ds_load_2addr_b64 v[21:24], v63 offset0:2 offset1:3
	ds_load_2addr_b64 v[17:20], v63 offset0:4 offset1:5
	;; [unrolled: 1-line block ×6, first 2 shown]
	ds_load_b64 v[57:58], v63 offset:112
	s_waitcnt lgkmcnt(0)
	s_barrier
	buffer_gl0_inv
                                        ; implicit-def: $vgpr29_vgpr30
	s_and_saveexec_b32 s16, vcc_lo
	s_cbranch_execnz .LBB293_61
; %bb.38:
	s_or_b32 exec_lo, exec_lo, s16
                                        ; implicit-def: $vgpr31_vgpr32
	s_and_saveexec_b32 s16, s0
	s_cbranch_execnz .LBB293_62
.LBB293_39:
	s_or_b32 exec_lo, exec_lo, s16
                                        ; implicit-def: $vgpr33_vgpr34
	s_and_saveexec_b32 s0, s1
	s_cbranch_execnz .LBB293_63
.LBB293_40:
	s_or_b32 exec_lo, exec_lo, s0
                                        ; implicit-def: $vgpr35_vgpr36
	s_and_saveexec_b32 s0, s4
	s_cbranch_execnz .LBB293_64
.LBB293_41:
	s_or_b32 exec_lo, exec_lo, s0
                                        ; implicit-def: $vgpr37_vgpr38
	s_and_saveexec_b32 s0, s5
	s_cbranch_execnz .LBB293_65
.LBB293_42:
	s_or_b32 exec_lo, exec_lo, s0
                                        ; implicit-def: $vgpr39_vgpr40
	s_and_saveexec_b32 s0, s6
	s_cbranch_execnz .LBB293_66
.LBB293_43:
	s_or_b32 exec_lo, exec_lo, s0
                                        ; implicit-def: $vgpr41_vgpr42
	s_and_saveexec_b32 s0, s7
	s_cbranch_execnz .LBB293_67
.LBB293_44:
	s_or_b32 exec_lo, exec_lo, s0
                                        ; implicit-def: $vgpr43_vgpr44
	s_and_saveexec_b32 s0, s8
	s_cbranch_execnz .LBB293_68
.LBB293_45:
	s_or_b32 exec_lo, exec_lo, s0
                                        ; implicit-def: $vgpr45_vgpr46
	s_and_saveexec_b32 s0, s9
	s_cbranch_execnz .LBB293_69
.LBB293_46:
	s_or_b32 exec_lo, exec_lo, s0
                                        ; implicit-def: $vgpr47_vgpr48
	s_and_saveexec_b32 s0, s10
	s_cbranch_execnz .LBB293_70
.LBB293_47:
	s_or_b32 exec_lo, exec_lo, s0
                                        ; implicit-def: $vgpr49_vgpr50
	s_and_saveexec_b32 s0, s11
	s_cbranch_execnz .LBB293_71
.LBB293_48:
	s_or_b32 exec_lo, exec_lo, s0
                                        ; implicit-def: $vgpr51_vgpr52
	s_and_saveexec_b32 s0, s12
	s_cbranch_execnz .LBB293_72
.LBB293_49:
	s_or_b32 exec_lo, exec_lo, s0
                                        ; implicit-def: $vgpr53_vgpr54
	s_and_saveexec_b32 s0, s13
	s_cbranch_execnz .LBB293_73
.LBB293_50:
	s_or_b32 exec_lo, exec_lo, s0
                                        ; implicit-def: $vgpr55_vgpr56
	s_and_saveexec_b32 s0, s14
	s_cbranch_execnz .LBB293_74
.LBB293_51:
	s_or_b32 exec_lo, exec_lo, s0
                                        ; implicit-def: $vgpr59_vgpr60
	s_and_saveexec_b32 s0, s15
	s_cbranch_execz .LBB293_53
.LBB293_52:
	v_lshlrev_b32_e32 v59, 3, v65
	s_delay_alu instid0(VALU_DEP_1)
	v_add_co_u32 v59, vcc_lo, v61, v59
	v_add_co_ci_u32_e32 v60, vcc_lo, 0, v62, vcc_lo
	flat_load_b64 v[59:60], v[59:60]
.LBB293_53:
	s_or_b32 exec_lo, exec_lo, s0
	s_waitcnt vmcnt(0) lgkmcnt(0)
	ds_store_2addr_stride64_b64 v64, v[29:30], v[31:32] offset1:4
	ds_store_2addr_stride64_b64 v64, v[33:34], v[35:36] offset0:8 offset1:12
	ds_store_2addr_stride64_b64 v64, v[37:38], v[39:40] offset0:16 offset1:20
	;; [unrolled: 1-line block ×6, first 2 shown]
	ds_store_b64 v64, v[59:60] offset:28672
	s_waitcnt lgkmcnt(0)
	s_barrier
.LBB293_54:
	buffer_gl0_inv
	ds_load_2addr_b64 v[53:56], v63 offset1:1
	ds_load_2addr_b64 v[49:52], v63 offset0:2 offset1:3
	ds_load_2addr_b64 v[45:48], v63 offset0:4 offset1:5
	;; [unrolled: 1-line block ×6, first 2 shown]
	ds_load_b64 v[73:74], v63 offset:112
	s_cmp_eq_u64 s[26:27], 0
	s_waitcnt lgkmcnt(0)
	s_cselect_b32 s29, -1, 0
	s_cmp_lg_u64 s[26:27], 0
	s_barrier
	s_cselect_b32 s16, -1, 0
	s_and_b32 vcc_lo, exec_lo, s31
	buffer_gl0_inv
	s_cbranch_vccz .LBB293_60
; %bb.55:
	s_and_b32 vcc_lo, exec_lo, s16
	s_cbranch_vccz .LBB293_75
; %bb.56:
	v_add_co_u32 v59, vcc_lo, -8, v71
	v_add_co_ci_u32_e32 v60, vcc_lo, -1, v75, vcc_lo
	v_mul_hi_i32 v61, 0x66666667, v57
	v_mul_hi_i32 v62, 0x66666667, v1
	;; [unrolled: 1-line block ×3, first 2 shown]
	flat_load_b64 v[59:60], v[59:60]
	s_waitcnt vmcnt(0) lgkmcnt(0)
	v_mul_hi_i32 v60, 0x66666667, v3
	v_mul_hi_i32 v68, 0x66666667, v5
	v_mul_hi_i32 v69, 0x66666667, v9
	s_mov_b32 s15, -1
	v_lshrrev_b32_e32 v65, 31, v61
	v_ashrrev_i32_e32 v61, 2, v61
	v_lshrrev_b32_e32 v66, 31, v62
	v_ashrrev_i32_e32 v62, 2, v62
	;; [unrolled: 2-line block ×3, first 2 shown]
	v_add_nc_u32_e32 v61, v61, v65
	v_lshrrev_b32_e32 v65, 31, v67
	v_add_nc_u32_e32 v62, v62, v66
	v_ashrrev_i32_e32 v66, 2, v67
	v_add_nc_u32_e32 v63, v64, v63
	v_mul_hi_i32 v64, 0x66666667, v11
	v_lshrrev_b32_e32 v67, 31, v68
	v_ashrrev_i32_e32 v68, 2, v68
	v_lshlrev_b32_e32 v60, 3, v0
	v_cmp_ne_u32_e32 vcc_lo, v63, v61
	v_add_nc_u32_e32 v61, v66, v65
	v_cmp_ne_u32_e64 s0, v62, v63
	v_add_nc_u32_e32 v63, v68, v67
	v_lshrrev_b32_e32 v70, 31, v64
	v_ashrrev_i32_e32 v64, 2, v64
	v_mul_hi_i32 v66, 0x66666667, v15
	v_mul_hi_i32 v68, 0x66666667, v13
	v_cmp_ne_u32_e64 s1, v61, v62
	v_mul_hi_i32 v62, 0x66666667, v19
	v_add_nc_u32_e32 v64, v64, v70
	v_lshrrev_b32_e32 v65, 31, v69
	v_ashrrev_i32_e32 v67, 2, v69
	v_cmp_ne_u32_e64 s4, v63, v61
	ds_store_b64 v60, v[57:58]
	v_cmp_ne_u32_e64 s5, v64, v63
	v_lshrrev_b32_e32 v63, 31, v66
	v_add_nc_u32_e32 v61, v67, v65
	v_ashrrev_i32_e32 v65, 2, v66
	v_lshrrev_b32_e32 v66, 31, v68
	v_ashrrev_i32_e32 v67, 2, v68
	v_lshrrev_b32_e32 v68, 31, v62
	v_ashrrev_i32_e32 v62, 2, v62
	v_add_nc_u32_e32 v63, v65, v63
	v_cmp_ne_u32_e64 s6, v61, v64
	v_add_nc_u32_e32 v64, v67, v66
	v_mul_hi_i32 v65, 0x66666667, v17
	v_add_nc_u32_e32 v62, v62, v68
	v_cmp_ne_u32_e64 s7, v63, v61
	v_mul_hi_i32 v61, 0x66666667, v23
	v_cmp_ne_u32_e64 s8, v64, v63
	v_mul_hi_i32 v63, 0x66666667, v21
	;; [unrolled: 2-line block ×3, first 2 shown]
	v_mul_hi_i32 v67, 0x66666667, v25
	v_lshrrev_b32_e32 v66, 31, v65
	v_ashrrev_i32_e32 v65, 2, v65
	v_lshrrev_b32_e32 v68, 31, v61
	v_ashrrev_i32_e32 v61, 2, v61
	;; [unrolled: 2-line block ×5, first 2 shown]
	v_add_nc_u32_e32 v65, v65, v66
	v_add_nc_u32_e32 v61, v61, v68
	;; [unrolled: 1-line block ×5, first 2 shown]
	v_cmp_ne_u32_e64 s14, v65, v62
	v_cmp_ne_u32_e64 s10, v61, v65
	;; [unrolled: 1-line block ×5, first 2 shown]
	s_waitcnt lgkmcnt(0)
	s_barrier
	buffer_gl0_inv
	s_and_saveexec_b32 s31, s3
	s_cbranch_execz .LBB293_58
; %bb.57:
	v_add_nc_u32_e32 v59, -8, v60
	ds_load_b64 v[59:60], v59
.LBB293_58:
	s_or_b32 exec_lo, exec_lo, s31
	s_waitcnt lgkmcnt(0)
	v_mul_hi_i32 v59, 0x66666667, v59
	v_cndmask_b32_e64 v111, 0, 1, vcc_lo
	v_cndmask_b32_e64 v60, 0, 1, s0
	v_cndmask_b32_e64 v112, 0, 1, s1
	;; [unrolled: 1-line block ×6, first 2 shown]
	v_lshrrev_b32_e32 v67, 31, v59
	v_ashrrev_i32_e32 v59, 2, v59
	v_cndmask_b32_e64 v66, 0, 1, s8
	v_cndmask_b32_e64 v65, 0, 1, s9
	;; [unrolled: 1-line block ×4, first 2 shown]
	v_add_nc_u32_e32 v59, v59, v67
	v_cndmask_b32_e64 v67, 0, 1, s10
	v_cndmask_b32_e64 v69, 0, 1, s12
	;; [unrolled: 1-line block ×3, first 2 shown]
	s_delay_alu instid0(VALU_DEP_4)
	v_cmp_ne_u32_e64 s4, v59, v76
.LBB293_59:
                                        ; implicit-def: $sgpr0
	s_branch .LBB293_114
.LBB293_60:
	s_mov_b32 s15, 0
                                        ; implicit-def: $sgpr4
                                        ; implicit-def: $vgpr111
                                        ; implicit-def: $vgpr60
                                        ; implicit-def: $vgpr112
                                        ; implicit-def: $vgpr62
                                        ; implicit-def: $vgpr61
                                        ; implicit-def: $vgpr64
                                        ; implicit-def: $vgpr63
                                        ; implicit-def: $vgpr66
                                        ; implicit-def: $vgpr65
                                        ; implicit-def: $vgpr68
                                        ; implicit-def: $vgpr67
                                        ; implicit-def: $vgpr70
                                        ; implicit-def: $vgpr69
                                        ; implicit-def: $vgpr72
                                        ; implicit-def: $sgpr0
	s_cbranch_execnz .LBB293_79
	s_branch .LBB293_114
.LBB293_61:
	v_add_co_u32 v29, vcc_lo, v61, v64
	v_add_co_ci_u32_e32 v30, vcc_lo, 0, v62, vcc_lo
	flat_load_b64 v[29:30], v[29:30]
	s_or_b32 exec_lo, exec_lo, s16
                                        ; implicit-def: $vgpr31_vgpr32
	s_and_saveexec_b32 s16, s0
	s_cbranch_execz .LBB293_39
.LBB293_62:
	v_add_co_u32 v31, vcc_lo, v61, v64
	v_add_co_ci_u32_e32 v32, vcc_lo, 0, v62, vcc_lo
	flat_load_b64 v[31:32], v[31:32] offset:2048
	s_or_b32 exec_lo, exec_lo, s16
                                        ; implicit-def: $vgpr33_vgpr34
	s_and_saveexec_b32 s0, s1
	s_cbranch_execz .LBB293_40
.LBB293_63:
	v_lshlrev_b32_e32 v33, 3, v35
	s_delay_alu instid0(VALU_DEP_1)
	v_add_co_u32 v33, vcc_lo, v61, v33
	v_add_co_ci_u32_e32 v34, vcc_lo, 0, v62, vcc_lo
	flat_load_b64 v[33:34], v[33:34]
	s_or_b32 exec_lo, exec_lo, s0
                                        ; implicit-def: $vgpr35_vgpr36
	s_and_saveexec_b32 s0, s4
	s_cbranch_execz .LBB293_41
.LBB293_64:
	v_lshlrev_b32_e32 v35, 3, v37
	s_delay_alu instid0(VALU_DEP_1)
	v_add_co_u32 v35, vcc_lo, v61, v35
	v_add_co_ci_u32_e32 v36, vcc_lo, 0, v62, vcc_lo
	flat_load_b64 v[35:36], v[35:36]
	s_or_b32 exec_lo, exec_lo, s0
                                        ; implicit-def: $vgpr37_vgpr38
	s_and_saveexec_b32 s0, s5
	s_cbranch_execz .LBB293_42
.LBB293_65:
	v_lshlrev_b32_e32 v37, 3, v39
	s_delay_alu instid0(VALU_DEP_1)
	v_add_co_u32 v37, vcc_lo, v61, v37
	v_add_co_ci_u32_e32 v38, vcc_lo, 0, v62, vcc_lo
	flat_load_b64 v[37:38], v[37:38]
	s_or_b32 exec_lo, exec_lo, s0
                                        ; implicit-def: $vgpr39_vgpr40
	s_and_saveexec_b32 s0, s6
	s_cbranch_execz .LBB293_43
.LBB293_66:
	v_lshlrev_b32_e32 v39, 3, v41
	s_delay_alu instid0(VALU_DEP_1)
	v_add_co_u32 v39, vcc_lo, v61, v39
	v_add_co_ci_u32_e32 v40, vcc_lo, 0, v62, vcc_lo
	flat_load_b64 v[39:40], v[39:40]
	s_or_b32 exec_lo, exec_lo, s0
                                        ; implicit-def: $vgpr41_vgpr42
	s_and_saveexec_b32 s0, s7
	s_cbranch_execz .LBB293_44
.LBB293_67:
	v_lshlrev_b32_e32 v41, 3, v43
	s_delay_alu instid0(VALU_DEP_1)
	v_add_co_u32 v41, vcc_lo, v61, v41
	v_add_co_ci_u32_e32 v42, vcc_lo, 0, v62, vcc_lo
	flat_load_b64 v[41:42], v[41:42]
	s_or_b32 exec_lo, exec_lo, s0
                                        ; implicit-def: $vgpr43_vgpr44
	s_and_saveexec_b32 s0, s8
	s_cbranch_execz .LBB293_45
.LBB293_68:
	v_lshlrev_b32_e32 v43, 3, v45
	s_delay_alu instid0(VALU_DEP_1)
	v_add_co_u32 v43, vcc_lo, v61, v43
	v_add_co_ci_u32_e32 v44, vcc_lo, 0, v62, vcc_lo
	flat_load_b64 v[43:44], v[43:44]
	s_or_b32 exec_lo, exec_lo, s0
                                        ; implicit-def: $vgpr45_vgpr46
	s_and_saveexec_b32 s0, s9
	s_cbranch_execz .LBB293_46
.LBB293_69:
	v_lshlrev_b32_e32 v45, 3, v47
	s_delay_alu instid0(VALU_DEP_1)
	v_add_co_u32 v45, vcc_lo, v61, v45
	v_add_co_ci_u32_e32 v46, vcc_lo, 0, v62, vcc_lo
	flat_load_b64 v[45:46], v[45:46]
	s_or_b32 exec_lo, exec_lo, s0
                                        ; implicit-def: $vgpr47_vgpr48
	s_and_saveexec_b32 s0, s10
	s_cbranch_execz .LBB293_47
.LBB293_70:
	v_lshlrev_b32_e32 v47, 3, v49
	s_delay_alu instid0(VALU_DEP_1)
	v_add_co_u32 v47, vcc_lo, v61, v47
	v_add_co_ci_u32_e32 v48, vcc_lo, 0, v62, vcc_lo
	flat_load_b64 v[47:48], v[47:48]
	s_or_b32 exec_lo, exec_lo, s0
                                        ; implicit-def: $vgpr49_vgpr50
	s_and_saveexec_b32 s0, s11
	s_cbranch_execz .LBB293_48
.LBB293_71:
	v_lshlrev_b32_e32 v49, 3, v51
	s_delay_alu instid0(VALU_DEP_1)
	v_add_co_u32 v49, vcc_lo, v61, v49
	v_add_co_ci_u32_e32 v50, vcc_lo, 0, v62, vcc_lo
	flat_load_b64 v[49:50], v[49:50]
	s_or_b32 exec_lo, exec_lo, s0
                                        ; implicit-def: $vgpr51_vgpr52
	s_and_saveexec_b32 s0, s12
	s_cbranch_execz .LBB293_49
.LBB293_72:
	v_lshlrev_b32_e32 v51, 3, v53
	s_delay_alu instid0(VALU_DEP_1)
	v_add_co_u32 v51, vcc_lo, v61, v51
	v_add_co_ci_u32_e32 v52, vcc_lo, 0, v62, vcc_lo
	flat_load_b64 v[51:52], v[51:52]
	s_or_b32 exec_lo, exec_lo, s0
                                        ; implicit-def: $vgpr53_vgpr54
	s_and_saveexec_b32 s0, s13
	s_cbranch_execz .LBB293_50
.LBB293_73:
	v_lshlrev_b32_e32 v53, 3, v55
	s_delay_alu instid0(VALU_DEP_1)
	v_add_co_u32 v53, vcc_lo, v61, v53
	v_add_co_ci_u32_e32 v54, vcc_lo, 0, v62, vcc_lo
	flat_load_b64 v[53:54], v[53:54]
	s_or_b32 exec_lo, exec_lo, s0
                                        ; implicit-def: $vgpr55_vgpr56
	s_and_saveexec_b32 s0, s14
	s_cbranch_execz .LBB293_51
.LBB293_74:
	v_lshlrev_b32_e32 v55, 3, v59
	s_delay_alu instid0(VALU_DEP_1)
	v_add_co_u32 v55, vcc_lo, v61, v55
	v_add_co_ci_u32_e32 v56, vcc_lo, 0, v62, vcc_lo
	flat_load_b64 v[55:56], v[55:56]
	s_or_b32 exec_lo, exec_lo, s0
                                        ; implicit-def: $vgpr59_vgpr60
	s_and_saveexec_b32 s0, s15
	s_cbranch_execnz .LBB293_52
	s_branch .LBB293_53
.LBB293_75:
	s_mov_b32 s15, 0
                                        ; implicit-def: $sgpr4
                                        ; implicit-def: $vgpr111
                                        ; implicit-def: $vgpr60
                                        ; implicit-def: $vgpr112
                                        ; implicit-def: $vgpr62
                                        ; implicit-def: $vgpr61
                                        ; implicit-def: $vgpr64
                                        ; implicit-def: $vgpr63
                                        ; implicit-def: $vgpr66
                                        ; implicit-def: $vgpr65
                                        ; implicit-def: $vgpr68
                                        ; implicit-def: $vgpr67
                                        ; implicit-def: $vgpr70
                                        ; implicit-def: $vgpr69
                                        ; implicit-def: $vgpr72
	s_cbranch_execz .LBB293_59
; %bb.76:
	v_mul_hi_i32 v59, 0x66666667, v3
	v_mul_hi_i32 v60, 0x66666667, v57
	;; [unrolled: 1-line block ×8, first 2 shown]
	v_lshrrev_b32_e32 v64, 31, v59
	v_ashrrev_i32_e32 v65, 2, v59
	v_lshrrev_b32_e32 v66, 31, v60
	v_ashrrev_i32_e32 v60, 2, v60
	;; [unrolled: 2-line block ×3, first 2 shown]
	v_add_nc_u32_e32 v64, v65, v64
	v_lshrrev_b32_e32 v65, 31, v62
	v_add_nc_u32_e32 v60, v60, v66
	v_ashrrev_i32_e32 v62, 2, v62
	v_add_nc_u32_e32 v61, v61, v67
	v_mul_hi_i32 v67, 0x66666667, v11
	v_lshrrev_b32_e32 v66, 31, v63
	v_cmp_ne_u32_e32 vcc_lo, v64, v60
	v_ashrrev_i32_e32 v63, 2, v63
	v_add_nc_u32_e32 v62, v62, v65
	v_mul_hi_i32 v72, 0x66666667, v17
	v_mul_hi_i32 v76, 0x66666667, v25
	v_cndmask_b32_e64 v111, 0, 1, vcc_lo
	v_cmp_ne_u32_e32 vcc_lo, v61, v64
	v_add_nc_u32_e32 v63, v63, v66
	v_lshrrev_b32_e32 v64, 31, v67
	v_ashrrev_i32_e32 v65, 2, v67
	v_lshrrev_b32_e32 v66, 31, v68
	v_cndmask_b32_e64 v60, 0, 1, vcc_lo
	v_cmp_ne_u32_e32 vcc_lo, v62, v61
	v_ashrrev_i32_e32 v67, 2, v68
	v_mul_hi_i32 v68, 0x66666667, v15
	v_add_nc_u32_e32 v64, v65, v64
	v_lshlrev_b32_e32 v59, 3, v0
	v_cndmask_b32_e64 v112, 0, 1, vcc_lo
	v_cmp_ne_u32_e32 vcc_lo, v63, v62
	v_add_nc_u32_e32 v65, v67, v66
                                        ; implicit-def: $sgpr4
	ds_store_b64 v59, v[57:58]
	v_lshrrev_b32_e32 v66, 31, v68
	v_cndmask_b32_e64 v62, 0, 1, vcc_lo
	v_ashrrev_i32_e32 v67, 2, v68
	v_cmp_ne_u32_e32 vcc_lo, v64, v63
	v_lshrrev_b32_e32 v68, 31, v69
	v_ashrrev_i32_e32 v69, 2, v69
	s_waitcnt lgkmcnt(0)
	v_add_nc_u32_e32 v66, v67, v66
	v_cndmask_b32_e64 v61, 0, 1, vcc_lo
	v_cmp_ne_u32_e32 vcc_lo, v65, v64
	v_add_nc_u32_e32 v67, v69, v68
	v_lshrrev_b32_e32 v68, 31, v70
	v_ashrrev_i32_e32 v69, 2, v70
	v_lshrrev_b32_e32 v70, 31, v72
	v_ashrrev_i32_e32 v72, 2, v72
	v_cndmask_b32_e64 v64, 0, 1, vcc_lo
	v_cmp_ne_u32_e32 vcc_lo, v66, v65
	v_add_nc_u32_e32 v68, v69, v68
	s_barrier
	v_add_nc_u32_e32 v69, v72, v70
	v_mul_hi_i32 v70, 0x66666667, v23
	v_cndmask_b32_e64 v63, 0, 1, vcc_lo
	v_cmp_ne_u32_e32 vcc_lo, v67, v66
	v_mul_hi_i32 v72, 0x66666667, v21
	buffer_gl0_inv
	v_cndmask_b32_e64 v66, 0, 1, vcc_lo
	v_cmp_ne_u32_e32 vcc_lo, v68, v67
	v_lshrrev_b32_e32 v77, 31, v70
	v_ashrrev_i32_e32 v70, 2, v70
	v_mul_hi_i32 v67, 0x66666667, v27
	v_lshrrev_b32_e32 v78, 31, v72
	v_cndmask_b32_e64 v65, 0, 1, vcc_lo
	v_cmp_ne_u32_e32 vcc_lo, v69, v68
	v_ashrrev_i32_e32 v72, 2, v72
	v_add_nc_u32_e32 v70, v70, v77
	v_lshrrev_b32_e32 v77, 31, v76
	v_ashrrev_i32_e32 v76, 2, v76
	v_cndmask_b32_e64 v68, 0, 1, vcc_lo
	v_lshrrev_b32_e32 v79, 31, v67
	v_ashrrev_i32_e32 v67, 2, v67
	v_add_nc_u32_e32 v72, v72, v78
	v_cmp_ne_u32_e32 vcc_lo, v70, v69
	v_add_nc_u32_e32 v76, v76, v77
	s_delay_alu instid0(VALU_DEP_4) | instskip(SKIP_3) | instid1(VALU_DEP_4)
	v_add_nc_u32_e32 v78, v67, v79
	v_cndmask_b32_e64 v67, 0, 1, vcc_lo
	v_cmp_ne_u32_e32 vcc_lo, v72, v70
	v_cndmask_b32_e64 v70, 0, 1, vcc_lo
	v_cmp_ne_u32_e32 vcc_lo, v78, v72
	;; [unrolled: 2-line block ×3, first 2 shown]
	v_cndmask_b32_e64 v72, 0, 1, vcc_lo
	s_and_saveexec_b32 s0, s3
	s_delay_alu instid0(SALU_CYCLE_1)
	s_xor_b32 s0, exec_lo, s0
	s_cbranch_execz .LBB293_78
; %bb.77:
	v_add_nc_u32_e32 v59, -8, v59
	s_or_b32 s15, s15, exec_lo
	ds_load_b32 v59, v59
	s_waitcnt lgkmcnt(0)
	v_mul_hi_i32 v59, 0x66666667, v59
	s_delay_alu instid0(VALU_DEP_1) | instskip(SKIP_1) | instid1(VALU_DEP_1)
	v_lshrrev_b32_e32 v77, 31, v59
	v_ashrrev_i32_e32 v59, 2, v59
	v_add_nc_u32_e32 v59, v59, v77
	s_delay_alu instid0(VALU_DEP_1)
	v_cmp_ne_u32_e32 vcc_lo, v59, v76
	s_and_b32 s4, vcc_lo, exec_lo
.LBB293_78:
	s_or_b32 exec_lo, exec_lo, s0
	s_mov_b32 s0, 1
	s_branch .LBB293_114
.LBB293_79:
	s_mul_hi_u32 s0, s26, 0xfffff100
	s_mul_i32 s1, s27, 0xfffff100
	s_sub_i32 s0, s0, s26
	s_mul_i32 s4, s26, 0xfffff100
	s_add_i32 s1, s0, s1
	s_add_u32 s0, s4, s48
	s_addc_u32 s1, s1, s49
	s_and_b32 vcc_lo, exec_lo, s16
	s_cbranch_vccz .LBB293_251
; %bb.80:
	v_add_co_u32 v59, vcc_lo, -8, v71
	v_add_co_ci_u32_e32 v60, vcc_lo, -1, v75, vcc_lo
	v_mul_u32_u24_e32 v77, 15, v0
	s_mov_b32 s4, exec_lo
	v_mov_b32_e32 v111, 0
	flat_load_b64 v[75:76], v[59:60]
	v_mad_u32_u24 v59, v0, 15, 14
	v_mov_b32_e32 v60, 0
	s_waitcnt vmcnt(0) lgkmcnt(0)
	v_lshlrev_b32_e32 v76, 3, v0
	ds_store_b64 v76, v[57:58]
	v_cmpx_gt_u64_e64 s[0:1], v[59:60]
; %bb.81:
	v_mul_hi_i32 v59, 0x66666667, v3
	v_mul_hi_i32 v61, 0x66666667, v57
	s_delay_alu instid0(VALU_DEP_2) | instskip(SKIP_1) | instid1(VALU_DEP_3)
	v_lshrrev_b32_e32 v62, 31, v59
	v_ashrrev_i32_e32 v59, 2, v59
	v_lshrrev_b32_e32 v63, 31, v61
	v_ashrrev_i32_e32 v61, 2, v61
	s_delay_alu instid0(VALU_DEP_3) | instskip(NEXT) | instid1(VALU_DEP_2)
	v_add_nc_u32_e32 v59, v59, v62
	v_add_nc_u32_e32 v61, v61, v63
	s_delay_alu instid0(VALU_DEP_1)
	v_cmp_ne_u32_e32 vcc_lo, v59, v61
	v_cndmask_b32_e64 v111, 0, 1, vcc_lo
; %bb.82:
	s_or_b32 exec_lo, exec_lo, s4
	v_add_nc_u32_e32 v59, 13, v77
	s_mov_b32 s4, exec_lo
	s_delay_alu instid0(VALU_DEP_1)
	v_cmpx_gt_u64_e64 s[0:1], v[59:60]
; %bb.83:
	v_mul_hi_i32 v59, 0x66666667, v1
	v_mul_hi_i32 v60, 0x66666667, v3
	s_delay_alu instid0(VALU_DEP_2) | instskip(SKIP_1) | instid1(VALU_DEP_3)
	v_lshrrev_b32_e32 v61, 31, v59
	v_ashrrev_i32_e32 v59, 2, v59
	v_lshrrev_b32_e32 v62, 31, v60
	v_ashrrev_i32_e32 v60, 2, v60
	s_delay_alu instid0(VALU_DEP_3) | instskip(NEXT) | instid1(VALU_DEP_2)
	v_add_nc_u32_e32 v59, v59, v61
	v_add_nc_u32_e32 v60, v60, v62
	s_delay_alu instid0(VALU_DEP_1)
	v_cmp_ne_u32_e32 vcc_lo, v59, v60
	v_cndmask_b32_e64 v60, 0, 1, vcc_lo
; %bb.84:
	s_or_b32 exec_lo, exec_lo, s4
	v_dual_mov_b32 v62, 0 :: v_dual_add_nc_u32 v61, 12, v77
	v_mov_b32_e32 v112, 0
	s_mov_b32 s4, exec_lo
	s_delay_alu instid0(VALU_DEP_2)
	v_cmpx_gt_u64_e64 s[0:1], v[61:62]
; %bb.85:
	v_mul_hi_i32 v59, 0x66666667, v7
	v_mul_hi_i32 v61, 0x66666667, v1
	s_delay_alu instid0(VALU_DEP_2) | instskip(SKIP_1) | instid1(VALU_DEP_3)
	v_lshrrev_b32_e32 v63, 31, v59
	v_ashrrev_i32_e32 v59, 2, v59
	v_lshrrev_b32_e32 v64, 31, v61
	v_ashrrev_i32_e32 v61, 2, v61
	s_delay_alu instid0(VALU_DEP_3) | instskip(NEXT) | instid1(VALU_DEP_2)
	v_add_nc_u32_e32 v59, v59, v63
	v_add_nc_u32_e32 v61, v61, v64
	s_delay_alu instid0(VALU_DEP_1)
	v_cmp_ne_u32_e32 vcc_lo, v59, v61
	v_cndmask_b32_e64 v112, 0, 1, vcc_lo
; %bb.86:
	s_or_b32 exec_lo, exec_lo, s4
	v_add_nc_u32_e32 v61, 11, v77
	s_mov_b32 s4, exec_lo
	s_delay_alu instid0(VALU_DEP_1)
	v_cmpx_gt_u64_e64 s[0:1], v[61:62]
; %bb.87:
	v_mul_hi_i32 v59, 0x66666667, v5
	v_mul_hi_i32 v61, 0x66666667, v7
	s_delay_alu instid0(VALU_DEP_2) | instskip(SKIP_1) | instid1(VALU_DEP_3)
	v_lshrrev_b32_e32 v62, 31, v59
	v_ashrrev_i32_e32 v59, 2, v59
	v_lshrrev_b32_e32 v63, 31, v61
	v_ashrrev_i32_e32 v61, 2, v61
	s_delay_alu instid0(VALU_DEP_3) | instskip(NEXT) | instid1(VALU_DEP_2)
	v_add_nc_u32_e32 v59, v59, v62
	v_add_nc_u32_e32 v61, v61, v63
	s_delay_alu instid0(VALU_DEP_1)
	v_cmp_ne_u32_e32 vcc_lo, v59, v61
	v_cndmask_b32_e64 v62, 0, 1, vcc_lo
; %bb.88:
	s_or_b32 exec_lo, exec_lo, s4
	v_dual_mov_b32 v64, 0 :: v_dual_add_nc_u32 v63, 10, v77
	v_mov_b32_e32 v61, 0
	s_mov_b32 s4, exec_lo
	s_delay_alu instid0(VALU_DEP_2)
	;; [unrolled: 41-line block ×6, first 2 shown]
	v_cmpx_gt_u64_e64 s[0:1], v[71:72]
; %bb.105:
	v_mul_hi_i32 v59, 0x66666667, v27
	v_mul_hi_i32 v69, 0x66666667, v21
	s_delay_alu instid0(VALU_DEP_2) | instskip(SKIP_1) | instid1(VALU_DEP_3)
	v_lshrrev_b32_e32 v71, 31, v59
	v_ashrrev_i32_e32 v59, 2, v59
	v_lshrrev_b32_e32 v78, 31, v69
	v_ashrrev_i32_e32 v69, 2, v69
	s_delay_alu instid0(VALU_DEP_3) | instskip(NEXT) | instid1(VALU_DEP_2)
	v_add_nc_u32_e32 v59, v59, v71
	v_add_nc_u32_e32 v69, v69, v78
	s_delay_alu instid0(VALU_DEP_1)
	v_cmp_ne_u32_e32 vcc_lo, v59, v69
	v_cndmask_b32_e64 v69, 0, 1, vcc_lo
; %bb.106:
	s_or_b32 exec_lo, exec_lo, s4
	v_add_nc_u32_e32 v71, 1, v77
	s_mov_b32 s4, exec_lo
	s_delay_alu instid0(VALU_DEP_1)
	v_cmpx_gt_u64_e64 s[0:1], v[71:72]
; %bb.107:
	v_mul_hi_i32 v59, 0x66666667, v25
	v_mul_hi_i32 v71, 0x66666667, v27
	s_delay_alu instid0(VALU_DEP_2) | instskip(SKIP_1) | instid1(VALU_DEP_3)
	v_lshrrev_b32_e32 v72, 31, v59
	v_ashrrev_i32_e32 v59, 2, v59
	v_lshrrev_b32_e32 v78, 31, v71
	v_ashrrev_i32_e32 v71, 2, v71
	s_delay_alu instid0(VALU_DEP_3) | instskip(NEXT) | instid1(VALU_DEP_2)
	v_add_nc_u32_e32 v59, v59, v72
	v_add_nc_u32_e32 v71, v71, v78
	s_delay_alu instid0(VALU_DEP_1)
	v_cmp_ne_u32_e32 vcc_lo, v59, v71
	v_cndmask_b32_e64 v72, 0, 1, vcc_lo
; %bb.108:
	s_or_b32 exec_lo, exec_lo, s4
	s_waitcnt lgkmcnt(0)
	s_barrier
	buffer_gl0_inv
	s_and_saveexec_b32 s4, s3
	s_cbranch_execz .LBB293_110
; %bb.109:
	v_add_nc_u32_e32 v59, -8, v76
	ds_load_b64 v[75:76], v59
.LBB293_110:
	s_or_b32 exec_lo, exec_lo, s4
	v_mov_b32_e32 v78, 0
	s_mov_b32 s5, 0
	s_mov_b32 s4, 0
	s_mov_b32 s6, exec_lo
	s_delay_alu instid0(VALU_DEP_1)
	v_cmpx_gt_u64_e64 s[0:1], v[77:78]
	s_cbranch_execz .LBB293_112
; %bb.111:
	s_waitcnt lgkmcnt(0)
	v_mul_hi_i32 v59, 0x66666667, v75
	v_mul_hi_i32 v71, 0x66666667, v25
	s_delay_alu instid0(VALU_DEP_2) | instskip(SKIP_1) | instid1(VALU_DEP_3)
	v_lshrrev_b32_e32 v75, 31, v59
	v_ashrrev_i32_e32 v59, 2, v59
	v_lshrrev_b32_e32 v76, 31, v71
	v_ashrrev_i32_e32 v71, 2, v71
	s_delay_alu instid0(VALU_DEP_3) | instskip(NEXT) | instid1(VALU_DEP_2)
	v_add_nc_u32_e32 v59, v59, v75
	v_add_nc_u32_e32 v71, v71, v76
	s_delay_alu instid0(VALU_DEP_1)
	v_cmp_ne_u32_e32 vcc_lo, v59, v71
	s_and_b32 s4, vcc_lo, exec_lo
.LBB293_112:
	s_or_b32 exec_lo, exec_lo, s6
	s_mov_b32 s15, -1
	s_and_b32 vcc_lo, exec_lo, s5
	s_cbranch_vccnz .LBB293_252
.LBB293_113:
                                        ; implicit-def: $sgpr0
.LBB293_114:
	v_mov_b32_e32 v71, s0
	s_and_saveexec_b32 s0, s15
.LBB293_115:
	s_delay_alu instid0(VALU_DEP_2)
	v_cndmask_b32_e64 v71, 0, 1, s4
.LBB293_116:
	s_or_b32 exec_lo, exec_lo, s0
	s_delay_alu instid0(VALU_DEP_1)
	v_add3_u32 v59, v72, v71, v69
	v_dual_mov_b32 v107, v53 :: v_dual_mov_b32 v108, v54
	v_cmp_eq_u32_e64 s13, 0, v72
	v_cmp_eq_u32_e64 s12, 0, v69
	;; [unrolled: 1-line block ×3, first 2 shown]
	v_add3_u32 v115, v59, v70, v67
	v_cmp_eq_u32_e64 s10, 0, v67
	v_cmp_eq_u32_e64 s9, 0, v68
	;; [unrolled: 1-line block ×10, first 2 shown]
	v_cmp_eq_u32_e32 vcc_lo, 0, v111
	v_mbcnt_lo_u32_b32 v114, -1, 0
	s_cmp_eq_u64 s[42:43], 0
	s_cselect_b32 s15, -1, 0
	s_cmp_lg_u32 s30, 0
	s_cbranch_scc0 .LBB293_183
; %bb.117:
	v_cndmask_b32_e64 v59, 0, v53, s13
	s_waitcnt lgkmcnt(0)
	v_cndmask_b32_e64 v75, 0, v54, s13
	v_add3_u32 v76, v115, v68, v65
	s_delay_alu instid0(VALU_DEP_3) | instskip(NEXT) | instid1(VALU_DEP_1)
	v_add_co_u32 v59, s14, v59, v55
	v_add_co_ci_u32_e64 v75, s14, v75, v56, s14
	s_delay_alu instid0(VALU_DEP_3) | instskip(NEXT) | instid1(VALU_DEP_3)
	v_add3_u32 v76, v76, v66, v63
	v_cndmask_b32_e64 v59, 0, v59, s12
	s_delay_alu instid0(VALU_DEP_3) | instskip(NEXT) | instid1(VALU_DEP_3)
	v_cndmask_b32_e64 v75, 0, v75, s12
	v_add3_u32 v76, v76, v64, v61
	s_delay_alu instid0(VALU_DEP_3) | instskip(NEXT) | instid1(VALU_DEP_1)
	v_add_co_u32 v59, s14, v59, v49
	v_add_co_ci_u32_e64 v75, s14, v75, v50, s14
	s_delay_alu instid0(VALU_DEP_3) | instskip(NEXT) | instid1(VALU_DEP_3)
	v_add3_u32 v76, v76, v62, v112
	v_cndmask_b32_e64 v59, 0, v59, s11
	s_delay_alu instid0(VALU_DEP_3) | instskip(NEXT) | instid1(VALU_DEP_3)
	v_cndmask_b32_e64 v75, 0, v75, s11
	v_add3_u32 v79, v76, v60, v111
	s_delay_alu instid0(VALU_DEP_3) | instskip(NEXT) | instid1(VALU_DEP_1)
	v_add_co_u32 v59, s14, v59, v51
	v_add_co_ci_u32_e64 v75, s14, v75, v52, s14
	s_delay_alu instid0(VALU_DEP_2) | instskip(NEXT) | instid1(VALU_DEP_2)
	v_cndmask_b32_e64 v59, 0, v59, s10
	v_cndmask_b32_e64 v75, 0, v75, s10
	s_delay_alu instid0(VALU_DEP_2) | instskip(NEXT) | instid1(VALU_DEP_1)
	v_add_co_u32 v59, s14, v59, v45
	v_add_co_ci_u32_e64 v75, s14, v75, v46, s14
	s_delay_alu instid0(VALU_DEP_2) | instskip(NEXT) | instid1(VALU_DEP_2)
	v_cndmask_b32_e64 v59, 0, v59, s9
	v_cndmask_b32_e64 v75, 0, v75, s9
	s_delay_alu instid0(VALU_DEP_2) | instskip(NEXT) | instid1(VALU_DEP_1)
	;; [unrolled: 6-line block ×10, first 2 shown]
	v_add_co_u32 v59, s14, v59, v31
	v_add_co_ci_u32_e64 v75, s14, v75, v32, s14
	s_mov_b32 s14, exec_lo
	s_delay_alu instid0(VALU_DEP_2) | instskip(NEXT) | instid1(VALU_DEP_2)
	v_cndmask_b32_e32 v59, 0, v59, vcc_lo
	v_cndmask_b32_e32 v75, 0, v75, vcc_lo
	s_delay_alu instid0(VALU_DEP_2) | instskip(NEXT) | instid1(VALU_DEP_2)
	v_add_co_u32 v77, vcc_lo, v59, v73
	v_add_co_ci_u32_e32 v78, vcc_lo, v75, v74, vcc_lo
	v_and_b32_e32 v59, 15, v114
	v_mov_b32_dpp v75, v79 row_shr:1 row_mask:0xf bank_mask:0xf
	s_delay_alu instid0(VALU_DEP_4) | instskip(NEXT) | instid1(VALU_DEP_4)
	v_mov_b32_dpp v76, v77 row_shr:1 row_mask:0xf bank_mask:0xf
	v_mov_b32_dpp v80, v78 row_shr:1 row_mask:0xf bank_mask:0xf
	s_delay_alu instid0(VALU_DEP_4)
	v_cmpx_ne_u32_e32 0, v59
; %bb.118:
	v_cmp_eq_u32_e32 vcc_lo, 0, v79
	s_delay_alu instid0(VALU_DEP_4) | instskip(NEXT) | instid1(VALU_DEP_4)
	v_dual_cndmask_b32 v76, 0, v76 :: v_dual_add_nc_u32 v79, v75, v79
	v_cndmask_b32_e32 v80, 0, v80, vcc_lo
	s_delay_alu instid0(VALU_DEP_2) | instskip(NEXT) | instid1(VALU_DEP_2)
	v_add_co_u32 v77, vcc_lo, v76, v77
	v_add_co_ci_u32_e32 v78, vcc_lo, v80, v78, vcc_lo
; %bb.119:
	s_or_b32 exec_lo, exec_lo, s14
	v_mov_b32_dpp v75, v79 row_shr:2 row_mask:0xf bank_mask:0xf
	s_delay_alu instid0(VALU_DEP_3) | instskip(NEXT) | instid1(VALU_DEP_3)
	v_mov_b32_dpp v76, v77 row_shr:2 row_mask:0xf bank_mask:0xf
	v_mov_b32_dpp v80, v78 row_shr:2 row_mask:0xf bank_mask:0xf
	s_mov_b32 s14, exec_lo
	v_cmpx_lt_u32_e32 1, v59
; %bb.120:
	v_cmp_eq_u32_e32 vcc_lo, 0, v79
	v_dual_cndmask_b32 v76, 0, v76 :: v_dual_add_nc_u32 v79, v75, v79
	v_cndmask_b32_e32 v80, 0, v80, vcc_lo
	s_delay_alu instid0(VALU_DEP_2) | instskip(NEXT) | instid1(VALU_DEP_2)
	v_add_co_u32 v77, vcc_lo, v76, v77
	v_add_co_ci_u32_e32 v78, vcc_lo, v80, v78, vcc_lo
; %bb.121:
	s_or_b32 exec_lo, exec_lo, s14
	v_mov_b32_dpp v75, v79 row_shr:4 row_mask:0xf bank_mask:0xf
	s_delay_alu instid0(VALU_DEP_3) | instskip(NEXT) | instid1(VALU_DEP_3)
	v_mov_b32_dpp v76, v77 row_shr:4 row_mask:0xf bank_mask:0xf
	v_mov_b32_dpp v80, v78 row_shr:4 row_mask:0xf bank_mask:0xf
	s_mov_b32 s14, exec_lo
	v_cmpx_lt_u32_e32 3, v59
; %bb.122:
	v_cmp_eq_u32_e32 vcc_lo, 0, v79
	;; [unrolled: 15-line block ×3, first 2 shown]
	v_dual_cndmask_b32 v76, 0, v76 :: v_dual_add_nc_u32 v79, v75, v79
	v_cndmask_b32_e32 v59, 0, v80, vcc_lo
	s_delay_alu instid0(VALU_DEP_2) | instskip(NEXT) | instid1(VALU_DEP_2)
	v_add_co_u32 v77, vcc_lo, v76, v77
	v_add_co_ci_u32_e32 v78, vcc_lo, v59, v78, vcc_lo
; %bb.125:
	s_or_b32 exec_lo, exec_lo, s14
	ds_swizzle_b32 v59, v79 offset:swizzle(BROADCAST,32,15)
	ds_swizzle_b32 v75, v77 offset:swizzle(BROADCAST,32,15)
	;; [unrolled: 1-line block ×3, first 2 shown]
	v_and_b32_e32 v80, 16, v114
	s_mov_b32 s14, exec_lo
	s_delay_alu instid0(VALU_DEP_1)
	v_cmpx_ne_u32_e32 0, v80
	s_cbranch_execz .LBB293_127
; %bb.126:
	v_cmp_eq_u32_e32 vcc_lo, 0, v79
	s_waitcnt lgkmcnt(0)
	v_dual_cndmask_b32 v76, 0, v76 :: v_dual_add_nc_u32 v79, v59, v79
	v_cndmask_b32_e32 v75, 0, v75, vcc_lo
	s_delay_alu instid0(VALU_DEP_1) | instskip(NEXT) | instid1(VALU_DEP_3)
	v_add_co_u32 v77, vcc_lo, v75, v77
	v_add_co_ci_u32_e32 v78, vcc_lo, v76, v78, vcc_lo
.LBB293_127:
	s_or_b32 exec_lo, exec_lo, s14
	s_waitcnt lgkmcnt(1)
	v_lshrrev_b32_e32 v75, 5, v0
	v_or_b32_e32 v59, 31, v0
	s_mov_b32 s14, exec_lo
	s_delay_alu instid0(VALU_DEP_2) | instskip(NEXT) | instid1(VALU_DEP_2)
	v_lshlrev_b32_e32 v80, 4, v75
	v_cmpx_eq_u32_e64 v59, v0
	s_cbranch_execz .LBB293_129
; %bb.128:
	ds_store_b32 v80, v79 offset:4128
	ds_store_b64 v80, v[77:78] offset:4136
.LBB293_129:
	s_or_b32 exec_lo, exec_lo, s14
	s_delay_alu instid0(SALU_CYCLE_1)
	s_mov_b32 s14, exec_lo
	s_waitcnt lgkmcnt(0)
	s_barrier
	buffer_gl0_inv
	v_cmpx_gt_u32_e32 8, v0
	s_cbranch_execz .LBB293_137
; %bb.130:
	v_lshlrev_b32_e32 v59, 4, v0
	v_and_b32_e32 v82, 7, v114
	s_mov_b32 s16, exec_lo
	ds_load_b32 v81, v59 offset:4128
	ds_load_b64 v[75:76], v59 offset:4136
	s_waitcnt lgkmcnt(1)
	v_mov_b32_dpp v83, v81 row_shr:1 row_mask:0xf bank_mask:0xf
	s_waitcnt lgkmcnt(0)
	v_mov_b32_dpp v84, v75 row_shr:1 row_mask:0xf bank_mask:0xf
	v_mov_b32_dpp v85, v76 row_shr:1 row_mask:0xf bank_mask:0xf
	v_cmpx_ne_u32_e32 0, v82
; %bb.131:
	v_cmp_eq_u32_e32 vcc_lo, 0, v81
	v_add_nc_u32_e32 v81, v83, v81
	s_delay_alu instid0(VALU_DEP_4) | instskip(NEXT) | instid1(VALU_DEP_1)
	v_dual_cndmask_b32 v85, 0, v85 :: v_dual_cndmask_b32 v84, 0, v84
	v_add_co_u32 v75, vcc_lo, v84, v75
	s_delay_alu instid0(VALU_DEP_2)
	v_add_co_ci_u32_e32 v76, vcc_lo, v85, v76, vcc_lo
; %bb.132:
	s_or_b32 exec_lo, exec_lo, s16
	v_mov_b32_dpp v83, v81 row_shr:2 row_mask:0xf bank_mask:0xf
	s_delay_alu instid0(VALU_DEP_3) | instskip(NEXT) | instid1(VALU_DEP_3)
	v_mov_b32_dpp v84, v75 row_shr:2 row_mask:0xf bank_mask:0xf
	v_mov_b32_dpp v85, v76 row_shr:2 row_mask:0xf bank_mask:0xf
	s_mov_b32 s16, exec_lo
	v_cmpx_lt_u32_e32 1, v82
; %bb.133:
	v_cmp_eq_u32_e32 vcc_lo, 0, v81
	v_add_nc_u32_e32 v81, v83, v81
	v_dual_cndmask_b32 v85, 0, v85 :: v_dual_cndmask_b32 v84, 0, v84
	s_delay_alu instid0(VALU_DEP_1) | instskip(NEXT) | instid1(VALU_DEP_2)
	v_add_co_u32 v75, vcc_lo, v84, v75
	v_add_co_ci_u32_e32 v76, vcc_lo, v85, v76, vcc_lo
; %bb.134:
	s_or_b32 exec_lo, exec_lo, s16
	v_mov_b32_dpp v83, v81 row_shr:4 row_mask:0xf bank_mask:0xf
	s_delay_alu instid0(VALU_DEP_3) | instskip(NEXT) | instid1(VALU_DEP_3)
	v_mov_b32_dpp v84, v75 row_shr:4 row_mask:0xf bank_mask:0xf
	v_mov_b32_dpp v85, v76 row_shr:4 row_mask:0xf bank_mask:0xf
	s_mov_b32 s16, exec_lo
	v_cmpx_lt_u32_e32 3, v82
; %bb.135:
	v_cmp_eq_u32_e32 vcc_lo, 0, v81
	v_dual_cndmask_b32 v84, 0, v84 :: v_dual_add_nc_u32 v81, v83, v81
	v_cndmask_b32_e32 v82, 0, v85, vcc_lo
	s_delay_alu instid0(VALU_DEP_2) | instskip(NEXT) | instid1(VALU_DEP_2)
	v_add_co_u32 v75, vcc_lo, v84, v75
	v_add_co_ci_u32_e32 v76, vcc_lo, v82, v76, vcc_lo
; %bb.136:
	s_or_b32 exec_lo, exec_lo, s16
	ds_store_b32 v59, v81 offset:4128
	ds_store_b64 v59, v[75:76] offset:4136
.LBB293_137:
	s_or_b32 exec_lo, exec_lo, s14
	v_mov_b32_e32 v75, 0
	v_cmp_gt_u32_e32 vcc_lo, 32, v0
	v_dual_mov_b32 v76, 0 :: v_dual_mov_b32 v59, 0
	s_mov_b32 s16, exec_lo
	s_waitcnt lgkmcnt(0)
	s_barrier
	buffer_gl0_inv
	v_cmpx_lt_u32_e32 31, v0
	s_cbranch_execz .LBB293_139
; %bb.138:
	ds_load_b64 v[75:76], v80 offset:4120
	ds_load_b32 v59, v80 offset:4112
	v_cmp_eq_u32_e64 s14, 0, v79
	s_waitcnt lgkmcnt(1)
	s_delay_alu instid0(VALU_DEP_1) | instskip(SKIP_3) | instid1(VALU_DEP_3)
	v_cndmask_b32_e64 v81, 0, v75, s14
	v_cndmask_b32_e64 v80, 0, v76, s14
	s_waitcnt lgkmcnt(0)
	v_add_nc_u32_e32 v79, v59, v79
	v_add_co_u32 v77, s14, v81, v77
	s_delay_alu instid0(VALU_DEP_1)
	v_add_co_ci_u32_e64 v78, s14, v80, v78, s14
.LBB293_139:
	s_or_b32 exec_lo, exec_lo, s16
	v_add_nc_u32_e32 v80, -1, v114
	s_delay_alu instid0(VALU_DEP_1) | instskip(NEXT) | instid1(VALU_DEP_1)
	v_cmp_gt_i32_e64 s14, 0, v80
	v_cndmask_b32_e64 v80, v80, v114, s14
	v_cmp_eq_u32_e64 s14, 0, v114
	s_delay_alu instid0(VALU_DEP_2)
	v_lshlrev_b32_e32 v80, 2, v80
	ds_bpermute_b32 v87, v80, v79
	ds_bpermute_b32 v86, v80, v77
	ds_bpermute_b32 v85, v80, v78
	s_and_saveexec_b32 s16, vcc_lo
	s_cbranch_execz .LBB293_182
; %bb.140:
	v_mov_b32_e32 v81, 0
	ds_load_b32 v88, v81 offset:4240
	ds_load_b64 v[77:78], v81 offset:4248
	s_and_saveexec_b32 s26, s14
	s_cbranch_execz .LBB293_142
; %bb.141:
	s_add_i32 s34, s30, 32
	s_mov_b32 s35, 0
	v_dual_mov_b32 v79, s34 :: v_dual_mov_b32 v80, 1
	s_lshl_b64 s[42:43], s[34:35], 4
	s_delay_alu instid0(SALU_CYCLE_1)
	s_add_u32 s34, s36, s42
	s_addc_u32 s35, s37, s43
	s_waitcnt lgkmcnt(1)
	global_store_b32 v81, v88, s[34:35]
	s_waitcnt lgkmcnt(0)
	global_store_b64 v81, v[77:78], s[34:35] offset:8
	s_waitcnt_vscnt null, 0x0
	buffer_gl1_inv
	buffer_gl0_inv
	global_store_b8 v79, v80, s[40:41]
.LBB293_142:
	s_or_b32 exec_lo, exec_lo, s26
	v_xad_u32 v79, v114, -1, s30
	s_mov_b32 s27, 0
	s_mov_b32 s26, exec_lo
	s_delay_alu instid0(VALU_DEP_1)
	v_add_nc_u32_e32 v80, 32, v79
	global_load_u8 v89, v80, s[40:41] glc
	s_waitcnt vmcnt(0)
	v_cmpx_eq_u16_e32 0, v89
	s_cbranch_execz .LBB293_148
; %bb.143:
	v_add_co_u32 v82, s31, s40, v80
	s_delay_alu instid0(VALU_DEP_1)
	v_add_co_ci_u32_e64 v83, null, s41, 0, s31
	s_mov_b32 s31, 1
.LBB293_144:                            ; =>This Loop Header: Depth=1
                                        ;     Child Loop BB293_145 Depth 2
	s_delay_alu instid0(SALU_CYCLE_1)
	s_max_u32 s33, s31, 1
.LBB293_145:                            ;   Parent Loop BB293_144 Depth=1
                                        ; =>  This Inner Loop Header: Depth=2
	s_delay_alu instid0(SALU_CYCLE_1)
	s_add_i32 s33, s33, -1
	s_sleep 1
	s_cmp_eq_u32 s33, 0
	s_cbranch_scc0 .LBB293_145
; %bb.146:                              ;   in Loop: Header=BB293_144 Depth=1
	global_load_u8 v89, v[82:83], off glc
	s_cmp_lt_u32 s31, 32
	s_cselect_b32 s33, -1, 0
	s_delay_alu instid0(SALU_CYCLE_1) | instskip(SKIP_4) | instid1(SALU_CYCLE_1)
	s_cmp_lg_u32 s33, 0
	s_addc_u32 s31, s31, 0
	s_waitcnt vmcnt(0)
	v_cmp_ne_u16_e32 vcc_lo, 0, v89
	s_or_b32 s27, vcc_lo, s27
	s_and_not1_b32 exec_lo, exec_lo, s27
	s_cbranch_execnz .LBB293_144
; %bb.147:
	s_or_b32 exec_lo, exec_lo, s27
.LBB293_148:
	s_delay_alu instid0(SALU_CYCLE_1)
	s_or_b32 exec_lo, exec_lo, s26
	v_dual_mov_b32 v82, s37 :: v_dual_mov_b32 v83, s36
	v_cmp_eq_u16_e32 vcc_lo, 1, v89
	v_lshlrev_b64 v[80:81], 4, v[80:81]
	s_waitcnt lgkmcnt(0)
	s_waitcnt_vscnt null, 0x0
	buffer_gl1_inv
	buffer_gl0_inv
	v_lshlrev_b32_e64 v91, v114, -1
	s_mov_b32 s26, exec_lo
	v_cndmask_b32_e32 v83, s38, v83, vcc_lo
	v_cndmask_b32_e32 v82, s39, v82, vcc_lo
	s_delay_alu instid0(VALU_DEP_2) | instskip(NEXT) | instid1(VALU_DEP_2)
	v_add_co_u32 v80, vcc_lo, v83, v80
	v_add_co_ci_u32_e32 v81, vcc_lo, v82, v81, vcc_lo
	v_cmp_ne_u32_e32 vcc_lo, 31, v114
	s_clause 0x1
	global_load_b32 v101, v[80:81], off
	global_load_b64 v[83:84], v[80:81], off offset:8
	v_add_co_ci_u32_e32 v80, vcc_lo, 0, v114, vcc_lo
	v_cmp_eq_u16_e32 vcc_lo, 2, v89
	s_delay_alu instid0(VALU_DEP_2) | instskip(SKIP_1) | instid1(VALU_DEP_1)
	v_lshlrev_b32_e32 v90, 2, v80
	v_and_or_b32 v80, vcc_lo, v91, 0x80000000
	v_ctz_i32_b32_e32 v80, v80
	s_waitcnt vmcnt(1)
	ds_bpermute_b32 v81, v90, v101
	s_waitcnt vmcnt(0)
	ds_bpermute_b32 v82, v90, v83
	ds_bpermute_b32 v92, v90, v84
	v_cmpx_lt_u32_e64 v114, v80
	s_cbranch_execz .LBB293_150
; %bb.149:
	v_cmp_eq_u32_e32 vcc_lo, 0, v101
	s_waitcnt lgkmcnt(1)
	v_dual_cndmask_b32 v82, 0, v82 :: v_dual_add_nc_u32 v101, v81, v101
	s_waitcnt lgkmcnt(0)
	v_cndmask_b32_e32 v92, 0, v92, vcc_lo
	s_delay_alu instid0(VALU_DEP_2) | instskip(NEXT) | instid1(VALU_DEP_2)
	v_add_co_u32 v83, vcc_lo, v82, v83
	v_add_co_ci_u32_e32 v84, vcc_lo, v92, v84, vcc_lo
.LBB293_150:
	s_or_b32 exec_lo, exec_lo, s26
	v_cmp_gt_u32_e32 vcc_lo, 30, v114
	v_add_nc_u32_e32 v93, 2, v114
	s_mov_b32 s26, exec_lo
	s_waitcnt lgkmcnt(2)
	v_cndmask_b32_e64 v81, 0, 1, vcc_lo
	s_delay_alu instid0(VALU_DEP_1) | instskip(SKIP_1) | instid1(VALU_DEP_1)
	v_lshlrev_b32_e32 v81, 1, v81
	s_waitcnt lgkmcnt(0)
	v_add_lshl_u32 v92, v81, v114, 2
	ds_bpermute_b32 v81, v92, v101
	ds_bpermute_b32 v82, v92, v83
	ds_bpermute_b32 v94, v92, v84
	v_cmpx_le_u32_e64 v93, v80
	s_cbranch_execz .LBB293_152
; %bb.151:
	v_cmp_eq_u32_e32 vcc_lo, 0, v101
	s_waitcnt lgkmcnt(1)
	v_dual_cndmask_b32 v82, 0, v82 :: v_dual_add_nc_u32 v101, v81, v101
	s_waitcnt lgkmcnt(0)
	v_cndmask_b32_e32 v94, 0, v94, vcc_lo
	s_delay_alu instid0(VALU_DEP_2) | instskip(NEXT) | instid1(VALU_DEP_2)
	v_add_co_u32 v83, vcc_lo, v82, v83
	v_add_co_ci_u32_e32 v84, vcc_lo, v94, v84, vcc_lo
.LBB293_152:
	s_or_b32 exec_lo, exec_lo, s26
	v_cmp_gt_u32_e32 vcc_lo, 28, v114
	v_add_nc_u32_e32 v95, 4, v114
	s_mov_b32 s26, exec_lo
	s_waitcnt lgkmcnt(2)
	v_cndmask_b32_e64 v81, 0, 1, vcc_lo
	s_delay_alu instid0(VALU_DEP_1) | instskip(SKIP_1) | instid1(VALU_DEP_1)
	v_lshlrev_b32_e32 v81, 2, v81
	s_waitcnt lgkmcnt(0)
	v_add_lshl_u32 v94, v81, v114, 2
	ds_bpermute_b32 v81, v94, v101
	ds_bpermute_b32 v82, v94, v83
	ds_bpermute_b32 v96, v94, v84
	v_cmpx_le_u32_e64 v95, v80
	;; [unrolled: 25-line block ×3, first 2 shown]
	s_cbranch_execz .LBB293_156
; %bb.155:
	v_cmp_eq_u32_e32 vcc_lo, 0, v101
	s_waitcnt lgkmcnt(1)
	v_dual_cndmask_b32 v82, 0, v82 :: v_dual_add_nc_u32 v101, v81, v101
	s_waitcnt lgkmcnt(0)
	v_cndmask_b32_e32 v98, 0, v98, vcc_lo
	s_delay_alu instid0(VALU_DEP_2) | instskip(NEXT) | instid1(VALU_DEP_2)
	v_add_co_u32 v83, vcc_lo, v82, v83
	v_add_co_ci_u32_e32 v84, vcc_lo, v98, v84, vcc_lo
.LBB293_156:
	s_or_b32 exec_lo, exec_lo, s26
	v_cmp_gt_u32_e32 vcc_lo, 16, v114
	v_add_nc_u32_e32 v100, 16, v114
	s_mov_b32 s26, exec_lo
	s_waitcnt lgkmcnt(2)
	v_cndmask_b32_e64 v81, 0, 1, vcc_lo
	s_delay_alu instid0(VALU_DEP_1) | instskip(NEXT) | instid1(VALU_DEP_1)
	v_lshlrev_b32_e32 v81, 4, v81
	v_add_lshl_u32 v99, v81, v114, 2
	ds_bpermute_b32 v81, v99, v101
	s_waitcnt lgkmcnt(2)
	ds_bpermute_b32 v82, v99, v83
	s_waitcnt lgkmcnt(2)
	ds_bpermute_b32 v98, v99, v84
	v_cmpx_le_u32_e64 v100, v80
	s_cbranch_execz .LBB293_158
; %bb.157:
	v_cmp_eq_u32_e32 vcc_lo, 0, v101
	s_waitcnt lgkmcnt(1)
	v_dual_cndmask_b32 v82, 0, v82 :: v_dual_add_nc_u32 v101, v81, v101
	s_waitcnt lgkmcnt(0)
	v_cndmask_b32_e32 v80, 0, v98, vcc_lo
	s_delay_alu instid0(VALU_DEP_2) | instskip(NEXT) | instid1(VALU_DEP_2)
	v_add_co_u32 v83, vcc_lo, v82, v83
	v_add_co_ci_u32_e32 v84, vcc_lo, v80, v84, vcc_lo
.LBB293_158:
	s_or_b32 exec_lo, exec_lo, s26
	v_mov_b32_e32 v80, 0
	s_branch .LBB293_160
.LBB293_159:                            ;   in Loop: Header=BB293_160 Depth=1
	s_or_b32 exec_lo, exec_lo, s26
	v_cmp_eq_u32_e32 vcc_lo, 0, v98
	v_subrev_nc_u32_e32 v79, 32, v79
	v_add_nc_u32_e32 v101, v101, v98
	v_dual_cndmask_b32 v84, 0, v84 :: v_dual_cndmask_b32 v83, 0, v83
	s_delay_alu instid0(VALU_DEP_1) | instskip(NEXT) | instid1(VALU_DEP_2)
	v_add_co_u32 v83, vcc_lo, v83, v81
	v_add_co_ci_u32_e32 v84, vcc_lo, v84, v82, vcc_lo
.LBB293_160:                            ; =>This Loop Header: Depth=1
                                        ;     Child Loop BB293_163 Depth 2
                                        ;       Child Loop BB293_164 Depth 3
	s_waitcnt lgkmcnt(0)
	v_dual_mov_b32 v98, v101 :: v_dual_and_b32 v81, 0xff, v89
	s_delay_alu instid0(VALU_DEP_1) | instskip(SKIP_2) | instid1(VALU_DEP_1)
	v_cmp_ne_u16_e32 vcc_lo, 2, v81
	v_cndmask_b32_e64 v81, 0, 1, vcc_lo
	;;#ASMSTART
	;;#ASMEND
	v_cmp_ne_u32_e32 vcc_lo, 0, v81
	v_dual_mov_b32 v81, v83 :: v_dual_mov_b32 v82, v84
	s_cmp_lg_u32 vcc_lo, exec_lo
	s_cbranch_scc1 .LBB293_177
; %bb.161:                              ;   in Loop: Header=BB293_160 Depth=1
	global_load_u8 v89, v79, s[40:41] glc
	s_mov_b32 s26, exec_lo
	s_waitcnt vmcnt(0)
	v_cmpx_eq_u16_e32 0, v89
	s_cbranch_execz .LBB293_167
; %bb.162:                              ;   in Loop: Header=BB293_160 Depth=1
	v_add_co_u32 v83, s27, s40, v79
	s_delay_alu instid0(VALU_DEP_1)
	v_add_co_ci_u32_e64 v84, null, s41, 0, s27
	s_mov_b32 s31, 1
	s_mov_b32 s27, 0
.LBB293_163:                            ;   Parent Loop BB293_160 Depth=1
                                        ; =>  This Loop Header: Depth=2
                                        ;       Child Loop BB293_164 Depth 3
	s_max_u32 s33, s31, 1
.LBB293_164:                            ;   Parent Loop BB293_160 Depth=1
                                        ;     Parent Loop BB293_163 Depth=2
                                        ; =>    This Inner Loop Header: Depth=3
	s_delay_alu instid0(SALU_CYCLE_1)
	s_add_i32 s33, s33, -1
	s_sleep 1
	s_cmp_eq_u32 s33, 0
	s_cbranch_scc0 .LBB293_164
; %bb.165:                              ;   in Loop: Header=BB293_163 Depth=2
	global_load_u8 v89, v[83:84], off glc
	s_cmp_lt_u32 s31, 32
	s_cselect_b32 s33, -1, 0
	s_delay_alu instid0(SALU_CYCLE_1) | instskip(SKIP_4) | instid1(SALU_CYCLE_1)
	s_cmp_lg_u32 s33, 0
	s_addc_u32 s31, s31, 0
	s_waitcnt vmcnt(0)
	v_cmp_ne_u16_e32 vcc_lo, 0, v89
	s_or_b32 s27, vcc_lo, s27
	s_and_not1_b32 exec_lo, exec_lo, s27
	s_cbranch_execnz .LBB293_163
; %bb.166:                              ;   in Loop: Header=BB293_160 Depth=1
	s_or_b32 exec_lo, exec_lo, s27
.LBB293_167:                            ;   in Loop: Header=BB293_160 Depth=1
	s_delay_alu instid0(SALU_CYCLE_1)
	s_or_b32 exec_lo, exec_lo, s26
	v_dual_mov_b32 v101, s37 :: v_dual_mov_b32 v102, s36
	v_cmp_eq_u16_e32 vcc_lo, 1, v89
	v_lshlrev_b64 v[83:84], 4, v[79:80]
	buffer_gl1_inv
	buffer_gl0_inv
	s_mov_b32 s26, exec_lo
	v_cndmask_b32_e32 v102, s38, v102, vcc_lo
	v_cndmask_b32_e32 v101, s39, v101, vcc_lo
	s_delay_alu instid0(VALU_DEP_2) | instskip(NEXT) | instid1(VALU_DEP_2)
	v_add_co_u32 v83, vcc_lo, v102, v83
	v_add_co_ci_u32_e32 v84, vcc_lo, v101, v84, vcc_lo
	v_cmp_eq_u16_e32 vcc_lo, 2, v89
	s_clause 0x1
	global_load_b32 v101, v[83:84], off
	global_load_b64 v[83:84], v[83:84], off offset:8
	v_and_or_b32 v102, vcc_lo, v91, 0x80000000
	s_delay_alu instid0(VALU_DEP_1)
	v_ctz_i32_b32_e32 v102, v102
	s_waitcnt vmcnt(1)
	ds_bpermute_b32 v103, v90, v101
	s_waitcnt vmcnt(0)
	ds_bpermute_b32 v104, v90, v83
	ds_bpermute_b32 v105, v90, v84
	v_cmpx_lt_u32_e64 v114, v102
	s_cbranch_execz .LBB293_169
; %bb.168:                              ;   in Loop: Header=BB293_160 Depth=1
	v_cmp_eq_u32_e32 vcc_lo, 0, v101
	s_waitcnt lgkmcnt(2)
	v_add_nc_u32_e32 v101, v103, v101
	s_waitcnt lgkmcnt(0)
	v_dual_cndmask_b32 v105, 0, v105 :: v_dual_cndmask_b32 v104, 0, v104
	s_delay_alu instid0(VALU_DEP_1) | instskip(NEXT) | instid1(VALU_DEP_2)
	v_add_co_u32 v83, vcc_lo, v104, v83
	v_add_co_ci_u32_e32 v84, vcc_lo, v105, v84, vcc_lo
.LBB293_169:                            ;   in Loop: Header=BB293_160 Depth=1
	s_or_b32 exec_lo, exec_lo, s26
	s_waitcnt lgkmcnt(2)
	ds_bpermute_b32 v103, v92, v101
	s_waitcnt lgkmcnt(2)
	ds_bpermute_b32 v104, v92, v83
	s_waitcnt lgkmcnt(2)
	ds_bpermute_b32 v105, v92, v84
	s_mov_b32 s26, exec_lo
	v_cmpx_le_u32_e64 v93, v102
	s_cbranch_execz .LBB293_171
; %bb.170:                              ;   in Loop: Header=BB293_160 Depth=1
	v_cmp_eq_u32_e32 vcc_lo, 0, v101
	s_waitcnt lgkmcnt(2)
	v_add_nc_u32_e32 v101, v103, v101
	s_waitcnt lgkmcnt(0)
	v_dual_cndmask_b32 v105, 0, v105 :: v_dual_cndmask_b32 v104, 0, v104
	s_delay_alu instid0(VALU_DEP_1) | instskip(NEXT) | instid1(VALU_DEP_2)
	v_add_co_u32 v83, vcc_lo, v104, v83
	v_add_co_ci_u32_e32 v84, vcc_lo, v105, v84, vcc_lo
.LBB293_171:                            ;   in Loop: Header=BB293_160 Depth=1
	s_or_b32 exec_lo, exec_lo, s26
	s_waitcnt lgkmcnt(2)
	ds_bpermute_b32 v103, v94, v101
	s_waitcnt lgkmcnt(2)
	ds_bpermute_b32 v104, v94, v83
	s_waitcnt lgkmcnt(2)
	ds_bpermute_b32 v105, v94, v84
	s_mov_b32 s26, exec_lo
	v_cmpx_le_u32_e64 v95, v102
	s_cbranch_execz .LBB293_173
; %bb.172:                              ;   in Loop: Header=BB293_160 Depth=1
	v_cmp_eq_u32_e32 vcc_lo, 0, v101
	s_waitcnt lgkmcnt(2)
	v_add_nc_u32_e32 v101, v103, v101
	s_waitcnt lgkmcnt(0)
	v_dual_cndmask_b32 v105, 0, v105 :: v_dual_cndmask_b32 v104, 0, v104
	s_delay_alu instid0(VALU_DEP_1) | instskip(NEXT) | instid1(VALU_DEP_2)
	v_add_co_u32 v83, vcc_lo, v104, v83
	v_add_co_ci_u32_e32 v84, vcc_lo, v105, v84, vcc_lo
.LBB293_173:                            ;   in Loop: Header=BB293_160 Depth=1
	s_or_b32 exec_lo, exec_lo, s26
	s_waitcnt lgkmcnt(2)
	ds_bpermute_b32 v103, v96, v101
	s_waitcnt lgkmcnt(2)
	ds_bpermute_b32 v104, v96, v83
	s_waitcnt lgkmcnt(2)
	ds_bpermute_b32 v105, v96, v84
	s_mov_b32 s26, exec_lo
	v_cmpx_le_u32_e64 v97, v102
	s_cbranch_execz .LBB293_175
; %bb.174:                              ;   in Loop: Header=BB293_160 Depth=1
	v_cmp_eq_u32_e32 vcc_lo, 0, v101
	s_waitcnt lgkmcnt(2)
	v_add_nc_u32_e32 v101, v103, v101
	s_waitcnt lgkmcnt(0)
	v_dual_cndmask_b32 v105, 0, v105 :: v_dual_cndmask_b32 v104, 0, v104
	s_delay_alu instid0(VALU_DEP_1) | instskip(NEXT) | instid1(VALU_DEP_2)
	v_add_co_u32 v83, vcc_lo, v104, v83
	v_add_co_ci_u32_e32 v84, vcc_lo, v105, v84, vcc_lo
.LBB293_175:                            ;   in Loop: Header=BB293_160 Depth=1
	s_or_b32 exec_lo, exec_lo, s26
	s_waitcnt lgkmcnt(2)
	ds_bpermute_b32 v103, v99, v101
	s_waitcnt lgkmcnt(2)
	ds_bpermute_b32 v104, v99, v83
	s_waitcnt lgkmcnt(2)
	ds_bpermute_b32 v105, v99, v84
	s_mov_b32 s26, exec_lo
	v_cmpx_le_u32_e64 v100, v102
	s_cbranch_execz .LBB293_159
; %bb.176:                              ;   in Loop: Header=BB293_160 Depth=1
	v_cmp_eq_u32_e32 vcc_lo, 0, v101
	s_waitcnt lgkmcnt(1)
	v_dual_cndmask_b32 v104, 0, v104 :: v_dual_add_nc_u32 v101, v103, v101
	s_waitcnt lgkmcnt(0)
	v_cndmask_b32_e32 v102, 0, v105, vcc_lo
	s_delay_alu instid0(VALU_DEP_2) | instskip(NEXT) | instid1(VALU_DEP_2)
	v_add_co_u32 v83, vcc_lo, v104, v83
	v_add_co_ci_u32_e32 v84, vcc_lo, v102, v84, vcc_lo
	s_branch .LBB293_159
.LBB293_177:                            ;   in Loop: Header=BB293_160 Depth=1
                                        ; implicit-def: $vgpr83_vgpr84
                                        ; implicit-def: $vgpr101
                                        ; implicit-def: $vgpr89
	s_cbranch_execz .LBB293_160
; %bb.178:
	s_and_saveexec_b32 s26, s14
	s_cbranch_execz .LBB293_180
; %bb.179:
	v_cmp_eq_u32_e32 vcc_lo, 0, v88
	s_mov_b32 s31, 0
	s_add_i32 s30, s30, 32
	v_dual_mov_b32 v84, 0 :: v_dual_add_nc_u32 v83, v98, v88
	v_dual_cndmask_b32 v80, 0, v82 :: v_dual_cndmask_b32 v79, 0, v81
	s_lshl_b64 s[34:35], s[30:31], 4
	v_dual_mov_b32 v89, s30 :: v_dual_mov_b32 v90, 2
	s_add_u32 s34, s38, s34
	s_delay_alu instid0(VALU_DEP_2)
	v_add_co_u32 v79, vcc_lo, v79, v77
	v_add_co_ci_u32_e32 v80, vcc_lo, v80, v78, vcc_lo
	s_addc_u32 s35, s39, s35
	s_clause 0x1
	global_store_b32 v84, v83, s[34:35]
	global_store_b64 v84, v[79:80], s[34:35] offset:8
	s_waitcnt lgkmcnt(0)
	s_waitcnt_vscnt null, 0x0
	buffer_gl1_inv
	buffer_gl0_inv
	global_store_b8 v89, v90, s[40:41]
	ds_store_b32 v84, v88 offset:4096
	ds_store_b64 v84, v[77:78] offset:4104
	ds_store_b32 v84, v98 offset:4112
	ds_store_b64 v84, v[81:82] offset:4120
.LBB293_180:
	s_or_b32 exec_lo, exec_lo, s26
	s_delay_alu instid0(SALU_CYCLE_1)
	s_and_b32 exec_lo, exec_lo, s2
	s_cbranch_execz .LBB293_182
; %bb.181:
	v_mov_b32_e32 v77, 0
	ds_store_b32 v77, v98 offset:4240
	ds_store_b64 v77, v[81:82] offset:4248
.LBB293_182:
	s_or_b32 exec_lo, exec_lo, s16
	s_waitcnt lgkmcnt(0)
	v_mov_b32_e32 v105, 0
	s_waitcnt_vscnt null, 0x0
	s_barrier
	buffer_gl0_inv
	v_cndmask_b32_e64 v106, v87, v59, s14
	ds_load_b64 v[77:78], v105 offset:4248
	v_cndmask_b32_e64 v59, v86, v75, s14
	v_cndmask_b32_e64 v76, v85, v76, s14
	v_cmp_eq_u32_e32 vcc_lo, 0, v106
	v_cndmask_b32_e64 v109, v106, 0, s2
	s_waitcnt lgkmcnt(0)
	v_cndmask_b32_e32 v79, 0, v77, vcc_lo
	v_cndmask_b32_e32 v75, 0, v78, vcc_lo
	s_delay_alu instid0(VALU_DEP_2) | instskip(NEXT) | instid1(VALU_DEP_2)
	v_add_co_u32 v59, vcc_lo, v79, v59
	v_add_co_ci_u32_e32 v75, vcc_lo, v75, v76, vcc_lo
	v_cmp_eq_u32_e32 vcc_lo, 0, v71
	s_delay_alu instid0(VALU_DEP_3) | instskip(NEXT) | instid1(VALU_DEP_3)
	v_cndmask_b32_e64 v91, v59, v77, s2
	v_cndmask_b32_e64 v92, v75, v78, s2
	ds_load_b32 v78, v105 offset:4240
	s_waitcnt lgkmcnt(0)
	v_cndmask_b32_e32 v75, 0, v91, vcc_lo
	s_barrier
	v_cndmask_b32_e32 v59, 0, v92, vcc_lo
	buffer_gl0_inv
	ds_load_b64 v[116:117], v105 offset:4104
	v_add_co_u32 v87, vcc_lo, v75, v53
	v_add_co_ci_u32_e32 v88, vcc_lo, v59, v54, vcc_lo
	s_delay_alu instid0(VALU_DEP_2) | instskip(NEXT) | instid1(VALU_DEP_2)
	v_cndmask_b32_e64 v59, 0, v87, s13
	v_cndmask_b32_e64 v75, 0, v88, s13
	s_delay_alu instid0(VALU_DEP_2) | instskip(NEXT) | instid1(VALU_DEP_2)
	v_add_co_u32 v93, vcc_lo, v59, v55
	v_add_co_ci_u32_e32 v94, vcc_lo, v75, v56, vcc_lo
	v_add_nc_u32_e32 v113, v78, v109
	s_delay_alu instid0(VALU_DEP_3) | instskip(NEXT) | instid1(VALU_DEP_3)
	v_cndmask_b32_e64 v59, 0, v93, s12
	v_cndmask_b32_e64 v75, 0, v94, s12
	s_delay_alu instid0(VALU_DEP_2) | instskip(NEXT) | instid1(VALU_DEP_2)
	v_add_co_u32 v97, vcc_lo, v59, v49
	v_add_co_ci_u32_e32 v98, vcc_lo, v75, v50, vcc_lo
	s_delay_alu instid0(VALU_DEP_2) | instskip(NEXT) | instid1(VALU_DEP_2)
	v_cndmask_b32_e64 v59, 0, v97, s11
	v_cndmask_b32_e64 v75, 0, v98, s11
	s_delay_alu instid0(VALU_DEP_2) | instskip(NEXT) | instid1(VALU_DEP_2)
	v_add_co_u32 v79, vcc_lo, v59, v51
	v_add_co_ci_u32_e32 v80, vcc_lo, v75, v52, vcc_lo
	s_delay_alu instid0(VALU_DEP_2) | instskip(NEXT) | instid1(VALU_DEP_2)
	;; [unrolled: 6-line block ×7, first 2 shown]
	v_cndmask_b32_e64 v59, 0, v81, s5
	v_cndmask_b32_e64 v75, 0, v82, s5
	s_delay_alu instid0(VALU_DEP_2) | instskip(NEXT) | instid1(VALU_DEP_2)
	v_add_co_u32 v85, vcc_lo, v59, v39
	v_add_co_ci_u32_e32 v86, vcc_lo, v75, v40, vcc_lo
	ds_load_b32 v59, v105 offset:4096
	v_cndmask_b32_e64 v75, 0, v85, s4
	v_cndmask_b32_e64 v76, 0, v86, s4
	s_delay_alu instid0(VALU_DEP_2) | instskip(NEXT) | instid1(VALU_DEP_2)
	v_add_co_u32 v101, vcc_lo, v75, v33
	v_add_co_ci_u32_e32 v102, vcc_lo, v76, v34, vcc_lo
	ds_load_b64 v[75:76], v105 offset:4120
	v_cndmask_b32_e64 v77, 0, v101, s3
	v_cndmask_b32_e64 v104, 0, v102, s3
	s_delay_alu instid0(VALU_DEP_2)
	v_add_co_u32 v103, vcc_lo, v77, v35
	ds_load_b32 v77, v105 offset:4112
	v_add_co_ci_u32_e32 v104, vcc_lo, v104, v36, vcc_lo
	v_cndmask_b32_e64 v105, 0, v103, s1
	s_waitcnt lgkmcnt(2)
	v_cmp_eq_u32_e32 vcc_lo, 0, v59
	s_delay_alu instid0(VALU_DEP_3) | instskip(NEXT) | instid1(VALU_DEP_3)
	v_cndmask_b32_e64 v106, 0, v104, s1
	v_add_co_u32 v105, s1, v105, v29
	s_delay_alu instid0(VALU_DEP_1) | instskip(SKIP_2) | instid1(VALU_DEP_3)
	v_add_co_ci_u32_e64 v106, s1, v106, v30, s1
	s_waitcnt lgkmcnt(1)
	v_dual_cndmask_b32 v75, 0, v75 :: v_dual_cndmask_b32 v76, 0, v76
	v_cndmask_b32_e64 v109, 0, v105, s0
	s_delay_alu instid0(VALU_DEP_3) | instskip(NEXT) | instid1(VALU_DEP_3)
	v_cndmask_b32_e64 v110, 0, v106, s0
	v_add_co_u32 v75, vcc_lo, v75, v116
	s_delay_alu instid0(VALU_DEP_4)
	v_add_co_ci_u32_e32 v76, vcc_lo, v76, v117, vcc_lo
	s_branch .LBB293_211
.LBB293_183:
                                        ; implicit-def: $vgpr59
                                        ; implicit-def: $vgpr75_vgpr76
                                        ; implicit-def: $vgpr77
                                        ; implicit-def: $vgpr91_vgpr92
                                        ; implicit-def: $vgpr87_vgpr88
                                        ; implicit-def: $vgpr93_vgpr94
                                        ; implicit-def: $vgpr97_vgpr98
                                        ; implicit-def: $vgpr79_vgpr80
                                        ; implicit-def: $vgpr83_vgpr84
                                        ; implicit-def: $vgpr89_vgpr90
                                        ; implicit-def: $vgpr95_vgpr96
                                        ; implicit-def: $vgpr99_vgpr100
                                        ; implicit-def: $vgpr81_vgpr82
                                        ; implicit-def: $vgpr85_vgpr86
                                        ; implicit-def: $vgpr101_vgpr102
                                        ; implicit-def: $vgpr103_vgpr104
                                        ; implicit-def: $vgpr105_vgpr106
                                        ; implicit-def: $vgpr109_vgpr110
                                        ; implicit-def: $vgpr113
	s_cbranch_execz .LBB293_211
; %bb.184:
	s_and_b32 s0, s15, exec_lo
	s_cselect_b32 s1, 0, s25
	s_cselect_b32 s0, 0, s24
	s_delay_alu instid0(SALU_CYCLE_1)
	s_cmp_eq_u64 s[0:1], 0
	s_cbranch_scc1 .LBB293_186
; %bb.185:
	v_mov_b32_e32 v59, 0
	global_load_b64 v[107:108], v59, s[0:1]
.LBB293_186:
	v_cmp_eq_u32_e64 s12, 0, v72
	v_cmp_eq_u32_e64 s11, 0, v69
	;; [unrolled: 1-line block ×5, first 2 shown]
	s_waitcnt lgkmcnt(0)
	v_cndmask_b32_e64 v75, 0, v53, s12
	v_cndmask_b32_e64 v59, 0, v54, s12
	v_cmp_eq_u32_e64 s7, 0, v65
	v_cmp_eq_u32_e64 s6, 0, v66
	;; [unrolled: 1-line block ×3, first 2 shown]
	v_add_co_u32 v75, vcc_lo, v75, v55
	v_add_co_ci_u32_e32 v59, vcc_lo, v59, v56, vcc_lo
	v_cmp_eq_u32_e64 s4, 0, v64
	s_delay_alu instid0(VALU_DEP_3) | instskip(SKIP_1) | instid1(VALU_DEP_4)
	v_cndmask_b32_e64 v75, 0, v75, s11
	v_cmp_eq_u32_e64 s3, 0, v61
	v_cndmask_b32_e64 v59, 0, v59, s11
	v_cmp_eq_u32_e64 s1, 0, v112
	v_add3_u32 v76, v115, v68, v65
	v_add_co_u32 v75, vcc_lo, v75, v49
	s_delay_alu instid0(VALU_DEP_4) | instskip(NEXT) | instid1(VALU_DEP_3)
	v_add_co_ci_u32_e32 v59, vcc_lo, v59, v50, vcc_lo
	v_add3_u32 v76, v76, v66, v63
	s_delay_alu instid0(VALU_DEP_3) | instskip(SKIP_1) | instid1(VALU_DEP_3)
	v_cndmask_b32_e64 v75, 0, v75, s10
	s_mov_b32 s14, exec_lo
	v_cndmask_b32_e64 v59, 0, v59, s10
	s_delay_alu instid0(VALU_DEP_3) | instskip(NEXT) | instid1(VALU_DEP_3)
	v_add3_u32 v76, v76, v64, v61
	v_add_co_u32 v75, vcc_lo, v75, v51
	s_delay_alu instid0(VALU_DEP_3) | instskip(NEXT) | instid1(VALU_DEP_3)
	v_add_co_ci_u32_e32 v59, vcc_lo, v59, v52, vcc_lo
	v_add3_u32 v76, v76, v62, v112
	s_delay_alu instid0(VALU_DEP_3) | instskip(NEXT) | instid1(VALU_DEP_3)
	v_cndmask_b32_e64 v75, 0, v75, s9
	v_cndmask_b32_e64 v59, 0, v59, s9
	s_delay_alu instid0(VALU_DEP_2) | instskip(NEXT) | instid1(VALU_DEP_2)
	v_add_co_u32 v75, vcc_lo, v75, v45
	v_add_co_ci_u32_e32 v59, vcc_lo, v59, v46, vcc_lo
	s_delay_alu instid0(VALU_DEP_2) | instskip(NEXT) | instid1(VALU_DEP_2)
	v_cndmask_b32_e64 v75, 0, v75, s8
	v_cndmask_b32_e64 v59, 0, v59, s8
	s_delay_alu instid0(VALU_DEP_2) | instskip(NEXT) | instid1(VALU_DEP_2)
	v_add_co_u32 v75, vcc_lo, v75, v47
	v_add_co_ci_u32_e32 v59, vcc_lo, v59, v48, vcc_lo
	s_delay_alu instid0(VALU_DEP_2) | instskip(NEXT) | instid1(VALU_DEP_2)
	;; [unrolled: 6-line block ×6, first 2 shown]
	v_cndmask_b32_e64 v75, 0, v75, s3
	v_cndmask_b32_e64 v59, 0, v59, s3
	s_delay_alu instid0(VALU_DEP_2) | instskip(NEXT) | instid1(VALU_DEP_2)
	v_add_co_u32 v75, vcc_lo, v75, v33
	v_add_co_ci_u32_e32 v59, vcc_lo, v59, v34, vcc_lo
	v_cmp_eq_u32_e32 vcc_lo, 0, v62
	s_delay_alu instid0(VALU_DEP_3) | instskip(NEXT) | instid1(VALU_DEP_3)
	v_cndmask_b32_e32 v75, 0, v75, vcc_lo
	v_cndmask_b32_e32 v59, 0, v59, vcc_lo
	s_delay_alu instid0(VALU_DEP_2) | instskip(NEXT) | instid1(VALU_DEP_1)
	v_add_co_u32 v75, s0, v75, v35
	v_add_co_ci_u32_e64 v59, s0, v59, v36, s0
	s_delay_alu instid0(VALU_DEP_2) | instskip(NEXT) | instid1(VALU_DEP_2)
	v_cndmask_b32_e64 v75, 0, v75, s1
	v_cndmask_b32_e64 v59, 0, v59, s1
	s_delay_alu instid0(VALU_DEP_2) | instskip(NEXT) | instid1(VALU_DEP_1)
	v_add_co_u32 v75, s0, v75, v29
	v_add_co_ci_u32_e64 v59, s0, v59, v30, s0
	v_cmp_eq_u32_e64 s0, 0, v60
	s_delay_alu instid0(VALU_DEP_1) | instskip(NEXT) | instid1(VALU_DEP_3)
	v_cndmask_b32_e64 v75, 0, v75, s0
	v_cndmask_b32_e64 v59, 0, v59, s0
	s_delay_alu instid0(VALU_DEP_2) | instskip(NEXT) | instid1(VALU_DEP_1)
	v_add_co_u32 v75, s13, v75, v31
	v_add_co_ci_u32_e64 v59, s13, v59, v32, s13
	v_cmp_eq_u32_e64 s13, 0, v111
	s_delay_alu instid0(VALU_DEP_1) | instskip(NEXT) | instid1(VALU_DEP_3)
	v_cndmask_b32_e64 v75, 0, v75, s13
	v_cndmask_b32_e64 v77, 0, v59, s13
	v_add3_u32 v59, v76, v60, v111
	s_delay_alu instid0(VALU_DEP_3) | instskip(NEXT) | instid1(VALU_DEP_1)
	v_add_co_u32 v73, s13, v75, v73
	v_add_co_ci_u32_e64 v74, s13, v77, v74, s13
	v_and_b32_e32 v75, 15, v114
	s_delay_alu instid0(VALU_DEP_4) | instskip(NEXT) | instid1(VALU_DEP_4)
	v_mov_b32_dpp v76, v59 row_shr:1 row_mask:0xf bank_mask:0xf
	v_mov_b32_dpp v77, v73 row_shr:1 row_mask:0xf bank_mask:0xf
	s_delay_alu instid0(VALU_DEP_4) | instskip(NEXT) | instid1(VALU_DEP_4)
	v_mov_b32_dpp v78, v74 row_shr:1 row_mask:0xf bank_mask:0xf
	v_cmpx_ne_u32_e32 0, v75
; %bb.187:
	v_cmp_eq_u32_e64 s13, 0, v59
	v_add_nc_u32_e32 v59, v76, v59
	s_delay_alu instid0(VALU_DEP_2) | instskip(SKIP_1) | instid1(VALU_DEP_2)
	v_cndmask_b32_e64 v77, 0, v77, s13
	v_cndmask_b32_e64 v78, 0, v78, s13
	v_add_co_u32 v73, s13, v77, v73
	s_delay_alu instid0(VALU_DEP_1)
	v_add_co_ci_u32_e64 v74, s13, v78, v74, s13
; %bb.188:
	s_or_b32 exec_lo, exec_lo, s14
	v_mov_b32_dpp v76, v59 row_shr:2 row_mask:0xf bank_mask:0xf
	s_delay_alu instid0(VALU_DEP_3) | instskip(NEXT) | instid1(VALU_DEP_3)
	v_mov_b32_dpp v77, v73 row_shr:2 row_mask:0xf bank_mask:0xf
	v_mov_b32_dpp v78, v74 row_shr:2 row_mask:0xf bank_mask:0xf
	s_mov_b32 s14, exec_lo
	v_cmpx_lt_u32_e32 1, v75
; %bb.189:
	v_cmp_eq_u32_e64 s13, 0, v59
	v_add_nc_u32_e32 v59, v76, v59
	s_delay_alu instid0(VALU_DEP_2) | instskip(SKIP_1) | instid1(VALU_DEP_2)
	v_cndmask_b32_e64 v77, 0, v77, s13
	v_cndmask_b32_e64 v78, 0, v78, s13
	v_add_co_u32 v73, s13, v77, v73
	s_delay_alu instid0(VALU_DEP_1)
	v_add_co_ci_u32_e64 v74, s13, v78, v74, s13
; %bb.190:
	s_or_b32 exec_lo, exec_lo, s14
	v_mov_b32_dpp v76, v59 row_shr:4 row_mask:0xf bank_mask:0xf
	s_delay_alu instid0(VALU_DEP_3) | instskip(NEXT) | instid1(VALU_DEP_3)
	v_mov_b32_dpp v77, v73 row_shr:4 row_mask:0xf bank_mask:0xf
	v_mov_b32_dpp v78, v74 row_shr:4 row_mask:0xf bank_mask:0xf
	s_mov_b32 s14, exec_lo
	v_cmpx_lt_u32_e32 3, v75
	;; [unrolled: 17-line block ×3, first 2 shown]
; %bb.193:
	v_cmp_eq_u32_e64 s13, 0, v59
	v_add_nc_u32_e32 v59, v76, v59
	s_delay_alu instid0(VALU_DEP_2) | instskip(SKIP_1) | instid1(VALU_DEP_2)
	v_cndmask_b32_e64 v77, 0, v77, s13
	v_cndmask_b32_e64 v75, 0, v78, s13
	v_add_co_u32 v73, s13, v77, v73
	s_delay_alu instid0(VALU_DEP_1)
	v_add_co_ci_u32_e64 v74, s13, v75, v74, s13
; %bb.194:
	s_or_b32 exec_lo, exec_lo, s14
	ds_swizzle_b32 v75, v59 offset:swizzle(BROADCAST,32,15)
	ds_swizzle_b32 v76, v73 offset:swizzle(BROADCAST,32,15)
	;; [unrolled: 1-line block ×3, first 2 shown]
	v_and_b32_e32 v78, 16, v114
	s_mov_b32 s14, exec_lo
	s_delay_alu instid0(VALU_DEP_1)
	v_cmpx_ne_u32_e32 0, v78
	s_cbranch_execz .LBB293_196
; %bb.195:
	v_cmp_eq_u32_e64 s13, 0, v59
	s_waitcnt lgkmcnt(2)
	v_add_nc_u32_e32 v59, v75, v59
	s_waitcnt lgkmcnt(1)
	s_delay_alu instid0(VALU_DEP_2) | instskip(SKIP_2) | instid1(VALU_DEP_2)
	v_cndmask_b32_e64 v76, 0, v76, s13
	s_waitcnt lgkmcnt(0)
	v_cndmask_b32_e64 v77, 0, v77, s13
	v_add_co_u32 v73, s13, v76, v73
	s_delay_alu instid0(VALU_DEP_1)
	v_add_co_ci_u32_e64 v74, s13, v77, v74, s13
.LBB293_196:
	s_or_b32 exec_lo, exec_lo, s14
	s_waitcnt lgkmcnt(2)
	v_or_b32_e32 v75, 31, v0
	s_waitcnt lgkmcnt(0)
	v_lshrrev_b32_e32 v77, 5, v0
	s_mov_b32 s14, exec_lo
	s_delay_alu instid0(VALU_DEP_2)
	v_cmpx_eq_u32_e64 v75, v0
	s_cbranch_execz .LBB293_198
; %bb.197:
	s_delay_alu instid0(VALU_DEP_2)
	v_lshlrev_b32_e32 v75, 4, v77
	ds_store_b32 v75, v59 offset:4128
	ds_store_b64 v75, v[73:74] offset:4136
.LBB293_198:
	s_or_b32 exec_lo, exec_lo, s14
	s_delay_alu instid0(SALU_CYCLE_1)
	s_mov_b32 s14, exec_lo
	s_waitcnt vmcnt(0) lgkmcnt(0)
	s_barrier
	buffer_gl0_inv
	v_cmpx_gt_u32_e32 8, v0
	s_cbranch_execz .LBB293_206
; %bb.199:
	v_lshlrev_b32_e32 v78, 4, v0
	v_and_b32_e32 v80, 7, v114
	s_mov_b32 s16, exec_lo
	ds_load_b32 v79, v78 offset:4128
	ds_load_b64 v[75:76], v78 offset:4136
	s_waitcnt lgkmcnt(1)
	v_mov_b32_dpp v81, v79 row_shr:1 row_mask:0xf bank_mask:0xf
	s_waitcnt lgkmcnt(0)
	v_mov_b32_dpp v82, v75 row_shr:1 row_mask:0xf bank_mask:0xf
	v_mov_b32_dpp v83, v76 row_shr:1 row_mask:0xf bank_mask:0xf
	v_cmpx_ne_u32_e32 0, v80
; %bb.200:
	v_cmp_eq_u32_e64 s13, 0, v79
	v_add_nc_u32_e32 v79, v81, v79
	s_delay_alu instid0(VALU_DEP_2) | instskip(SKIP_1) | instid1(VALU_DEP_2)
	v_cndmask_b32_e64 v82, 0, v82, s13
	v_cndmask_b32_e64 v83, 0, v83, s13
	v_add_co_u32 v75, s13, v82, v75
	s_delay_alu instid0(VALU_DEP_1)
	v_add_co_ci_u32_e64 v76, s13, v83, v76, s13
; %bb.201:
	s_or_b32 exec_lo, exec_lo, s16
	v_mov_b32_dpp v81, v79 row_shr:2 row_mask:0xf bank_mask:0xf
	s_delay_alu instid0(VALU_DEP_3) | instskip(NEXT) | instid1(VALU_DEP_3)
	v_mov_b32_dpp v82, v75 row_shr:2 row_mask:0xf bank_mask:0xf
	v_mov_b32_dpp v83, v76 row_shr:2 row_mask:0xf bank_mask:0xf
	s_mov_b32 s16, exec_lo
	v_cmpx_lt_u32_e32 1, v80
; %bb.202:
	v_cmp_eq_u32_e64 s13, 0, v79
	v_add_nc_u32_e32 v79, v81, v79
	s_delay_alu instid0(VALU_DEP_2) | instskip(SKIP_1) | instid1(VALU_DEP_2)
	v_cndmask_b32_e64 v82, 0, v82, s13
	v_cndmask_b32_e64 v83, 0, v83, s13
	v_add_co_u32 v75, s13, v82, v75
	s_delay_alu instid0(VALU_DEP_1)
	v_add_co_ci_u32_e64 v76, s13, v83, v76, s13
; %bb.203:
	s_or_b32 exec_lo, exec_lo, s16
	v_mov_b32_dpp v81, v79 row_shr:4 row_mask:0xf bank_mask:0xf
	s_delay_alu instid0(VALU_DEP_3) | instskip(NEXT) | instid1(VALU_DEP_3)
	v_mov_b32_dpp v82, v75 row_shr:4 row_mask:0xf bank_mask:0xf
	v_mov_b32_dpp v83, v76 row_shr:4 row_mask:0xf bank_mask:0xf
	s_mov_b32 s16, exec_lo
	v_cmpx_lt_u32_e32 3, v80
; %bb.204:
	v_cmp_eq_u32_e64 s13, 0, v79
	v_add_nc_u32_e32 v79, v81, v79
	s_delay_alu instid0(VALU_DEP_2) | instskip(SKIP_1) | instid1(VALU_DEP_2)
	v_cndmask_b32_e64 v82, 0, v82, s13
	v_cndmask_b32_e64 v80, 0, v83, s13
	v_add_co_u32 v75, s13, v82, v75
	s_delay_alu instid0(VALU_DEP_1)
	v_add_co_ci_u32_e64 v76, s13, v80, v76, s13
; %bb.205:
	s_or_b32 exec_lo, exec_lo, s16
	ds_store_b32 v78, v79 offset:4128
	ds_store_b64 v78, v[75:76] offset:4136
.LBB293_206:
	s_or_b32 exec_lo, exec_lo, s14
	v_dual_mov_b32 v78, 0 :: v_dual_mov_b32 v79, 0
	v_dual_mov_b32 v75, v107 :: v_dual_mov_b32 v76, v108
	s_mov_b32 s14, exec_lo
	s_waitcnt lgkmcnt(0)
	s_barrier
	buffer_gl0_inv
	v_cmpx_lt_u32_e32 31, v0
	s_cbranch_execz .LBB293_208
; %bb.207:
	v_lshlrev_b32_e32 v75, 4, v77
	ds_load_b32 v79, v75 offset:4112
	ds_load_b64 v[75:76], v75 offset:4120
	s_waitcnt lgkmcnt(1)
	v_cmp_eq_u32_e64 s13, 0, v79
	s_delay_alu instid0(VALU_DEP_1) | instskip(SKIP_2) | instid1(VALU_DEP_2)
	v_cndmask_b32_e64 v80, 0, v107, s13
	v_cndmask_b32_e64 v77, 0, v108, s13
	s_waitcnt lgkmcnt(0)
	v_add_co_u32 v75, s13, v80, v75
	s_delay_alu instid0(VALU_DEP_1)
	v_add_co_ci_u32_e64 v76, s13, v77, v76, s13
.LBB293_208:
	s_or_b32 exec_lo, exec_lo, s14
	v_add_nc_u32_e32 v77, -1, v114
	v_cmp_eq_u32_e64 s13, 0, v59
	v_add_nc_u32_e32 v59, v79, v59
	s_delay_alu instid0(VALU_DEP_3) | instskip(NEXT) | instid1(VALU_DEP_3)
	v_cmp_gt_i32_e64 s14, 0, v77
	v_cndmask_b32_e64 v81, 0, v75, s13
	v_cndmask_b32_e64 v80, 0, v76, s13
	s_delay_alu instid0(VALU_DEP_3) | instskip(NEXT) | instid1(VALU_DEP_3)
	v_cndmask_b32_e64 v77, v77, v114, s14
	v_add_co_u32 v73, s13, v81, v73
	s_delay_alu instid0(VALU_DEP_1) | instskip(NEXT) | instid1(VALU_DEP_3)
	v_add_co_ci_u32_e64 v74, s13, v80, v74, s13
	v_lshlrev_b32_e32 v77, 2, v77
	v_cmp_eq_u32_e64 s13, 0, v114
	ds_bpermute_b32 v73, v77, v73
	ds_bpermute_b32 v74, v77, v74
	;; [unrolled: 1-line block ×3, first 2 shown]
	s_waitcnt lgkmcnt(2)
	v_cndmask_b32_e64 v91, v73, v75, s13
	s_waitcnt lgkmcnt(1)
	v_cndmask_b32_e64 v92, v74, v76, s13
	;; [unrolled: 2-line block ×3, first 2 shown]
	v_cmp_eq_u32_e64 s13, 0, v71
	v_cndmask_b32_e64 v59, v91, v107, s2
	v_cndmask_b32_e64 v73, v92, v108, s2
	s_delay_alu instid0(VALU_DEP_2) | instskip(NEXT) | instid1(VALU_DEP_2)
	v_cndmask_b32_e64 v59, 0, v59, s13
	v_cndmask_b32_e64 v73, 0, v73, s13
	s_delay_alu instid0(VALU_DEP_2) | instskip(NEXT) | instid1(VALU_DEP_1)
	v_add_co_u32 v87, s13, v59, v53
	v_add_co_ci_u32_e64 v88, s13, v73, v54, s13
	ds_load_b32 v59, v78 offset:4240
	v_cndmask_b32_e64 v53, 0, v87, s12
	v_cndmask_b32_e64 v54, 0, v88, s12
	s_delay_alu instid0(VALU_DEP_2) | instskip(NEXT) | instid1(VALU_DEP_1)
	v_add_co_u32 v93, s12, v53, v55
	v_add_co_ci_u32_e64 v94, s12, v54, v56, s12
	s_delay_alu instid0(VALU_DEP_2) | instskip(NEXT) | instid1(VALU_DEP_2)
	v_cndmask_b32_e64 v53, 0, v93, s11
	v_cndmask_b32_e64 v54, 0, v94, s11
	s_delay_alu instid0(VALU_DEP_2) | instskip(NEXT) | instid1(VALU_DEP_1)
	v_add_co_u32 v97, s11, v53, v49
	v_add_co_ci_u32_e64 v98, s11, v54, v50, s11
	s_delay_alu instid0(VALU_DEP_2) | instskip(NEXT) | instid1(VALU_DEP_2)
	;; [unrolled: 6-line block ×9, first 2 shown]
	v_cndmask_b32_e64 v37, 0, v85, s3
	v_cndmask_b32_e64 v38, 0, v86, s3
	s_delay_alu instid0(VALU_DEP_2) | instskip(NEXT) | instid1(VALU_DEP_1)
	v_add_co_u32 v101, s3, v37, v33
	v_add_co_ci_u32_e64 v102, s3, v38, v34, s3
	ds_load_b64 v[33:34], v78 offset:4248
	v_dual_cndmask_b32 v37, 0, v101 :: v_dual_cndmask_b32 v38, 0, v102
	s_delay_alu instid0(VALU_DEP_1) | instskip(NEXT) | instid1(VALU_DEP_2)
	v_add_co_u32 v103, vcc_lo, v37, v35
	v_add_co_ci_u32_e32 v104, vcc_lo, v38, v36, vcc_lo
	s_waitcnt lgkmcnt(1)
	v_cmp_eq_u32_e32 vcc_lo, 0, v59
	s_delay_alu instid0(VALU_DEP_3) | instskip(NEXT) | instid1(VALU_DEP_3)
	v_cndmask_b32_e64 v35, 0, v103, s1
	v_cndmask_b32_e64 v36, 0, v104, s1
	s_delay_alu instid0(VALU_DEP_2) | instskip(NEXT) | instid1(VALU_DEP_1)
	v_add_co_u32 v105, s1, v35, v29
	v_add_co_ci_u32_e64 v106, s1, v36, v30, s1
	v_dual_cndmask_b32 v30, 0, v107 :: v_dual_cndmask_b32 v29, 0, v108
	s_delay_alu instid0(VALU_DEP_3) | instskip(NEXT) | instid1(VALU_DEP_3)
	v_cndmask_b32_e64 v109, 0, v105, s0
	v_cndmask_b32_e64 v110, 0, v106, s0
	s_waitcnt lgkmcnt(0)
	s_delay_alu instid0(VALU_DEP_3)
	v_add_co_u32 v75, vcc_lo, v30, v33
	v_add_co_ci_u32_e32 v76, vcc_lo, v29, v34, vcc_lo
	s_and_saveexec_b32 s0, s2
	s_cbranch_execz .LBB293_210
; %bb.209:
	v_mov_b32_e32 v91, v107
	v_dual_mov_b32 v113, 0 :: v_dual_mov_b32 v92, v108
	v_mov_b32_e32 v29, 2
	s_clause 0x1
	global_store_b32 v113, v59, s[38:39] offset:512
	global_store_b64 v113, v[75:76], s[38:39] offset:520
	s_waitcnt_vscnt null, 0x0
	buffer_gl1_inv
	buffer_gl0_inv
	global_store_b8 v113, v29, s[40:41] offset:32
.LBB293_210:
	s_or_b32 exec_lo, exec_lo, s0
	v_mov_b32_e32 v77, 0
.LBB293_211:
	v_mov_b32_e32 v29, 0
	s_and_b32 s0, s15, exec_lo
	v_mov_b32_e32 v30, 0
	s_cselect_b32 s1, 0, s51
	s_cselect_b32 s0, 0, s50
	s_waitcnt lgkmcnt(0)
	s_waitcnt_vscnt null, 0x0
	s_cmp_eq_u64 s[0:1], 0
	s_barrier
	buffer_gl0_inv
	s_cbranch_scc1 .LBB293_213
; %bb.212:
	v_mov_b32_e32 v29, 0
	global_load_b64 v[29:30], v29, s[0:1]
.LBB293_213:
	v_cmp_eq_u32_e32 vcc_lo, 0, v71
	v_add_nc_u32_e32 v48, v113, v71
	v_cmp_ne_u32_e64 s13, 0, v71
	v_cmp_ne_u32_e64 s12, 0, v72
	;; [unrolled: 1-line block ×3, first 2 shown]
	v_cndmask_b32_e64 v33, 1, 2, vcc_lo
	v_cmp_eq_u32_e32 vcc_lo, 0, v72
	v_add_nc_u32_e32 v50, v48, v72
	v_cmp_ne_u32_e64 s9, 0, v70
	v_cmp_ne_u32_e64 s15, 0, v67
	v_cmp_ne_u32_e64 s14, 0, v68
	v_cndmask_b32_e64 v34, 1, 2, vcc_lo
	v_cmp_eq_u32_e32 vcc_lo, 0, v69
	v_add_nc_u32_e32 v49, v50, v69
	v_cmp_ne_u32_e64 s11, 0, v65
	s_delay_alu instid0(VALU_DEP_4)
	v_dual_mov_b32 v78, 0 :: v_dual_and_b32 v33, v34, v33
	v_cndmask_b32_e64 v35, 1, 2, vcc_lo
	v_cmp_eq_u32_e32 vcc_lo, 0, v70
	v_add_nc_u32_e32 v47, v49, v70
	v_cmp_ne_u32_e64 s8, 0, v66
	v_cmp_ne_u32_e64 s7, 0, v63
	v_and_b32_e32 v35, v33, v35
	v_cndmask_b32_e64 v36, 1, 2, vcc_lo
	v_cmp_eq_u32_e32 vcc_lo, 0, v67
	v_add_nc_u32_e32 v46, v47, v67
	s_waitcnt vmcnt(0)
	v_lshlrev_b64 v[33:34], 3, v[29:30]
	v_cmp_ne_u32_e64 s6, 0, v64
	v_and_b32_e32 v35, v35, v36
	v_cndmask_b32_e64 v37, 1, 2, vcc_lo
	v_cmp_eq_u32_e32 vcc_lo, 0, v68
	v_add_nc_u32_e32 v45, v46, v68
	v_cmp_ne_u32_e64 s5, 0, v61
	v_cmp_ne_u32_e64 s4, 0, v62
	v_and_b32_e32 v35, v35, v37
	v_cndmask_b32_e64 v36, 1, 2, vcc_lo
	v_cmp_eq_u32_e32 vcc_lo, 0, v65
	v_add_nc_u32_e32 v44, v45, v65
	v_cmp_ne_u32_e64 s3, 0, v112
	;; [unrolled: 6-line block ×3, first 2 shown]
	s_delay_alu instid0(VALU_DEP_4) | instskip(SKIP_3) | instid1(VALU_DEP_3)
	v_and_b32_e32 v35, v35, v37
	v_cndmask_b32_e64 v36, 1, 2, vcc_lo
	v_cmp_eq_u32_e32 vcc_lo, 0, v63
	v_add_nc_u32_e32 v42, v43, v63
	v_and_b32_e32 v35, v35, v36
	v_cndmask_b32_e64 v37, 1, 2, vcc_lo
	v_cmp_eq_u32_e32 vcc_lo, 0, v64
	s_delay_alu instid0(VALU_DEP_4) | instskip(NEXT) | instid1(VALU_DEP_3)
	v_add_nc_u32_e32 v41, v42, v64
	v_and_b32_e32 v35, v35, v37
	v_cndmask_b32_e64 v36, 1, 2, vcc_lo
	v_cmp_eq_u32_e32 vcc_lo, 0, v61
	s_delay_alu instid0(VALU_DEP_4) | instskip(NEXT) | instid1(VALU_DEP_3)
	v_add_nc_u32_e32 v40, v41, v61
	v_and_b32_e32 v39, v35, v36
	v_cndmask_b32_e64 v37, 1, 2, vcc_lo
	v_cmp_eq_u32_e32 vcc_lo, 0, v62
	v_lshlrev_b64 v[35:36], 3, v[77:78]
	s_delay_alu instid0(VALU_DEP_3) | instskip(SKIP_3) | instid1(VALU_DEP_3)
	v_and_b32_e32 v37, v39, v37
	v_cndmask_b32_e64 v38, 1, 2, vcc_lo
	v_cmp_eq_u32_e32 vcc_lo, 0, v112
	v_add_nc_u32_e32 v39, v40, v62
	v_and_b32_e32 v54, v37, v38
	v_cndmask_b32_e64 v53, 1, 2, vcc_lo
	v_add_co_u32 v51, vcc_lo, s18, v33
	v_add_co_ci_u32_e32 v52, vcc_lo, s19, v34, vcc_lo
	s_delay_alu instid0(VALU_DEP_3) | instskip(NEXT) | instid1(VALU_DEP_3)
	v_and_b32_e32 v53, v54, v53
	v_add_co_u32 v51, vcc_lo, v51, v35
	s_delay_alu instid0(VALU_DEP_3)
	v_add_co_ci_u32_e32 v52, vcc_lo, v52, v36, vcc_lo
	v_cmp_eq_u32_e32 vcc_lo, 0, v60
	v_add_nc_u32_e32 v38, v39, v112
	s_mov_b32 s18, -1
	v_cndmask_b32_e64 v54, 1, 2, vcc_lo
	v_cmp_eq_u32_e32 vcc_lo, 0, v111
	s_delay_alu instid0(VALU_DEP_3) | instskip(NEXT) | instid1(VALU_DEP_3)
	v_add_nc_u32_e32 v37, v38, v60
	v_and_b32_e32 v53, v53, v54
	v_cndmask_b32_e64 v54, 1, 2, vcc_lo
	v_cmp_gt_u32_e32 vcc_lo, 0x100, v59
	s_delay_alu instid0(VALU_DEP_2) | instskip(NEXT) | instid1(VALU_DEP_1)
	v_and_b32_e32 v53, v53, v54
	v_cmp_gt_i16_e64 s16, 2, v53
	s_cbranch_vccz .LBB293_220
; %bb.214:
	s_delay_alu instid0(VALU_DEP_1)
	s_and_saveexec_b32 s18, s16
	s_cbranch_execz .LBB293_219
; %bb.215:
	s_mov_b32 s19, 0
	s_mov_b32 s16, exec_lo
	v_cmpx_ne_u16_e32 1, v53
	s_xor_b32 s16, exec_lo, s16
	s_cbranch_execnz .LBB293_285
; %bb.216:
	s_and_not1_saveexec_b32 s16, s16
	s_cbranch_execnz .LBB293_301
.LBB293_217:
	s_or_b32 exec_lo, exec_lo, s16
	s_delay_alu instid0(SALU_CYCLE_1)
	s_and_b32 exec_lo, exec_lo, s19
	s_cbranch_execz .LBB293_219
.LBB293_218:
	v_sub_nc_u32_e32 v54, v37, v77
	v_mov_b32_e32 v55, 0
	s_delay_alu instid0(VALU_DEP_1) | instskip(NEXT) | instid1(VALU_DEP_1)
	v_lshlrev_b64 v[54:55], 3, v[54:55]
	v_add_co_u32 v54, vcc_lo, v51, v54
	s_delay_alu instid0(VALU_DEP_2)
	v_add_co_ci_u32_e32 v55, vcc_lo, v52, v55, vcc_lo
	global_store_b64 v[54:55], v[57:58], off
.LBB293_219:
	s_or_b32 exec_lo, exec_lo, s18
	s_mov_b32 s18, 0
.LBB293_220:
	s_delay_alu instid0(SALU_CYCLE_1)
	s_and_b32 vcc_lo, exec_lo, s18
	s_cbranch_vccz .LBB293_230
; %bb.221:
	s_mov_b32 s16, exec_lo
	v_cmpx_gt_i16_e32 2, v53
	s_cbranch_execz .LBB293_226
; %bb.222:
	s_mov_b32 s19, 0
	s_mov_b32 s18, exec_lo
	v_cmpx_ne_u16_e32 1, v53
	s_xor_b32 s18, exec_lo, s18
	s_cbranch_execnz .LBB293_302
; %bb.223:
	s_and_not1_saveexec_b32 s0, s18
	s_cbranch_execnz .LBB293_318
.LBB293_224:
	s_or_b32 exec_lo, exec_lo, s0
	s_delay_alu instid0(SALU_CYCLE_1)
	s_and_b32 exec_lo, exec_lo, s19
	s_cbranch_execz .LBB293_226
.LBB293_225:
	v_sub_nc_u32_e32 v1, v37, v77
	s_delay_alu instid0(VALU_DEP_1)
	v_lshlrev_b32_e32 v1, 3, v1
	ds_store_b64 v1, v[57:58]
.LBB293_226:
	s_or_b32 exec_lo, exec_lo, s16
	s_delay_alu instid0(SALU_CYCLE_1)
	s_mov_b32 s1, exec_lo
	s_waitcnt lgkmcnt(0)
	s_waitcnt_vscnt null, 0x0
	s_barrier
	buffer_gl0_inv
	v_cmpx_lt_u32_e64 v0, v59
	s_cbranch_execz .LBB293_229
; %bb.227:
	v_dual_mov_b32 v2, 0 :: v_dual_lshlrev_b32 v3, 3, v0
	v_mov_b32_e32 v1, v0
	s_mov_b32 s3, 0
	.p2align	6
.LBB293_228:                            ; =>This Inner Loop Header: Depth=1
	ds_load_b64 v[4:5], v3
	v_lshlrev_b64 v[6:7], 3, v[1:2]
	v_add_nc_u32_e32 v1, 0x100, v1
	v_add_nc_u32_e32 v3, 0x800, v3
	s_delay_alu instid0(VALU_DEP_2) | instskip(NEXT) | instid1(VALU_DEP_4)
	v_cmp_ge_u32_e32 vcc_lo, v1, v59
	v_add_co_u32 v6, s0, v51, v6
	s_delay_alu instid0(VALU_DEP_1)
	v_add_co_ci_u32_e64 v7, s0, v52, v7, s0
	s_or_b32 s3, vcc_lo, s3
	s_waitcnt lgkmcnt(0)
	global_store_b64 v[6:7], v[4:5], off
	s_and_not1_b32 exec_lo, exec_lo, s3
	s_cbranch_execnz .LBB293_228
.LBB293_229:
	s_or_b32 exec_lo, exec_lo, s1
.LBB293_230:
	s_cmpk_lg_i32 s28, 0xf00
	v_cndmask_b32_e64 v8, 0, 1, s29
	s_cselect_b32 s0, -1, 0
	v_mad_i32_i24 v5, v0, -15, s28
	s_and_b32 s0, s0, s17
	v_add_co_u32 v1, vcc_lo, v109, v31
	v_cndmask_b32_e64 v4, 0, 1, s0
	s_mul_hi_u32 s0, s28, 0x88888889
	s_and_b32 s1, s2, s29
	s_lshr_b32 s0, s0, 3
	v_add_co_ci_u32_e32 v2, vcc_lo, v110, v32, vcc_lo
	v_sub_nc_u32_e32 v3, v59, v8
	v_cndmask_b32_e64 v6, v71, 0, s1
	v_cmp_eq_u32_e32 vcc_lo, s0, v0
	v_cmp_ne_u32_e64 s0, 0, v5
	s_mov_b32 s16, -1
	s_waitcnt_vscnt null, 0x0
	s_barrier
	s_and_b32 vcc_lo, vcc_lo, s17
	v_add_nc_u32_e32 v3, v3, v4
	v_cndmask_b32_e64 v4, 1, v6, s0
	v_cmp_ne_u32_e64 s0, 1, v5
	buffer_gl0_inv
	v_cndmask_b32_e64 v7, 1, v72, s0
	v_cmp_ne_u32_e64 s0, 14, v5
	s_delay_alu instid0(VALU_DEP_1) | instskip(SKIP_1) | instid1(VALU_DEP_2)
	v_cndmask_b32_e64 v9, 1, v111, s0
	v_cmp_ne_u32_e64 s0, 2, v5
	v_dual_cndmask_b32 v12, v111, v9 :: v_dual_cndmask_b32 v9, v6, v4
	s_delay_alu instid0(VALU_DEP_2) | instskip(SKIP_1) | instid1(VALU_DEP_3)
	v_cndmask_b32_e64 v10, 1, v69, s0
	v_cmp_ne_u32_e64 s0, 3, v5
	v_cmp_ne_u32_e64 s14, 0, v9
	s_delay_alu instid0(VALU_DEP_3) | instskip(NEXT) | instid1(VALU_DEP_3)
	v_cndmask_b32_e32 v10, v69, v10, vcc_lo
	v_cndmask_b32_e64 v11, 1, v70, s0
	v_cmp_ne_u32_e64 s0, 4, v5
	s_delay_alu instid0(VALU_DEP_3) | instskip(NEXT) | instid1(VALU_DEP_2)
	v_cmp_ne_u32_e64 s12, 0, v10
	v_cndmask_b32_e64 v4, 1, v67, s0
	v_cmp_ne_u32_e64 s0, 5, v5
	s_delay_alu instid0(VALU_DEP_2) | instskip(NEXT) | instid1(VALU_DEP_2)
	v_dual_cndmask_b32 v13, v72, v7 :: v_dual_cndmask_b32 v18, v67, v4
	v_cndmask_b32_e64 v6, 1, v68, s0
	v_cmp_eq_u32_e64 s0, 0, v9
	s_delay_alu instid0(VALU_DEP_3) | instskip(NEXT) | instid1(VALU_DEP_4)
	v_cmp_ne_u32_e64 s13, 0, v13
	v_cmp_ne_u32_e64 s10, 0, v18
	s_delay_alu instid0(VALU_DEP_4) | instskip(NEXT) | instid1(VALU_DEP_4)
	v_cndmask_b32_e32 v19, v68, v6, vcc_lo
	v_cndmask_b32_e64 v7, 1, 2, s0
	v_cmp_eq_u32_e64 s0, 0, v13
	s_delay_alu instid0(VALU_DEP_1) | instskip(SKIP_1) | instid1(VALU_DEP_2)
	v_cndmask_b32_e64 v14, 1, 2, s0
	v_cmp_ne_u32_e64 s0, 6, v5
	v_and_b32_e32 v7, v14, v7
	s_delay_alu instid0(VALU_DEP_2) | instskip(SKIP_1) | instid1(VALU_DEP_2)
	v_cndmask_b32_e64 v15, 1, v65, s0
	v_cmp_eq_u32_e64 s0, 0, v10
	v_cndmask_b32_e32 v15, v65, v15, vcc_lo
	s_delay_alu instid0(VALU_DEP_2) | instskip(SKIP_1) | instid1(VALU_DEP_1)
	v_cndmask_b32_e64 v14, 1, 2, s0
	v_cmp_ne_u32_e64 s0, 7, v5
	v_cndmask_b32_e64 v16, 1, v66, s0
	v_cmp_ne_u32_e64 s0, 8, v5
	s_delay_alu instid0(VALU_DEP_2) | instskip(SKIP_1) | instid1(VALU_DEP_3)
	v_dual_cndmask_b32 v16, v66, v16 :: v_dual_and_b32 v7, v7, v14
	v_cndmask_b32_e32 v11, v70, v11, vcc_lo
	v_cndmask_b32_e64 v17, 1, v63, s0
	s_delay_alu instid0(VALU_DEP_3) | instskip(NEXT) | instid1(VALU_DEP_3)
	v_cmp_ne_u32_e64 s7, 0, v16
	v_cmp_eq_u32_e64 s0, 0, v11
	s_delay_alu instid0(VALU_DEP_3) | instskip(NEXT) | instid1(VALU_DEP_2)
	v_cndmask_b32_e32 v17, v63, v17, vcc_lo
	v_cndmask_b32_e64 v14, 1, 2, s0
	v_cmp_ne_u32_e64 s0, 9, v5
	s_delay_alu instid0(VALU_DEP_3) | instskip(NEXT) | instid1(VALU_DEP_3)
	v_cmp_ne_u32_e64 s6, 0, v17
	v_and_b32_e32 v6, v7, v14
	s_delay_alu instid0(VALU_DEP_3) | instskip(SKIP_2) | instid1(VALU_DEP_3)
	v_cndmask_b32_e64 v4, 1, v64, s0
	v_cmp_eq_u32_e64 s0, 0, v18
	v_cmp_ne_u32_e64 s11, 0, v11
	v_cndmask_b32_e32 v23, v64, v4, vcc_lo
	s_delay_alu instid0(VALU_DEP_3) | instskip(SKIP_1) | instid1(VALU_DEP_3)
	v_cndmask_b32_e64 v7, 1, 2, s0
	v_cmp_ne_u32_e64 s0, 10, v5
	v_cmp_ne_u32_e64 s5, 0, v23
	s_delay_alu instid0(VALU_DEP_3) | instskip(NEXT) | instid1(VALU_DEP_3)
	v_and_b32_e32 v6, v6, v7
	v_cndmask_b32_e64 v14, 1, v61, s0
	v_cmp_ne_u32_e64 s0, 12, v5
	v_cmp_ne_u32_e64 s9, 0, v19
	s_delay_alu instid0(VALU_DEP_3) | instskip(NEXT) | instid1(VALU_DEP_3)
	v_cndmask_b32_e32 v14, v61, v14, vcc_lo
	v_cndmask_b32_e64 v20, 1, v112, s0
	v_cmp_eq_u32_e64 s0, 0, v19
	s_delay_alu instid0(VALU_DEP_3) | instskip(NEXT) | instid1(VALU_DEP_3)
	v_cmp_ne_u32_e64 s4, 0, v14
	v_cndmask_b32_e32 v20, v112, v20, vcc_lo
	s_delay_alu instid0(VALU_DEP_3) | instskip(SKIP_1) | instid1(VALU_DEP_3)
	v_cndmask_b32_e64 v7, 1, 2, s0
	v_cmp_ne_u32_e64 s0, 13, v5
	v_cmp_ne_u32_e64 s2, 0, v20
	s_delay_alu instid0(VALU_DEP_2) | instskip(SKIP_1) | instid1(VALU_DEP_2)
	v_cndmask_b32_e64 v21, 1, v60, s0
	v_cmp_eq_u32_e64 s0, 0, v15
	v_dual_cndmask_b32 v21, v60, v21 :: v_dual_and_b32 v6, v6, v7
	s_delay_alu instid0(VALU_DEP_2) | instskip(SKIP_1) | instid1(VALU_DEP_3)
	v_cndmask_b32_e64 v7, 1, 2, s0
	v_cmp_ne_u32_e64 s0, 11, v5
	v_cmp_ne_u32_e64 s1, 0, v21
	s_delay_alu instid0(VALU_DEP_3) | instskip(NEXT) | instid1(VALU_DEP_3)
	v_and_b32_e32 v6, v6, v7
	v_cndmask_b32_e64 v5, 1, v62, s0
	v_cmp_eq_u32_e64 s0, 0, v16
	s_delay_alu instid0(VALU_DEP_2) | instskip(NEXT) | instid1(VALU_DEP_2)
	v_cndmask_b32_e32 v22, v62, v5, vcc_lo
	v_cndmask_b32_e64 v7, 1, 2, s0
	v_cmp_eq_u32_e32 vcc_lo, 0, v17
	v_cmp_ne_u32_e64 s8, 0, v15
	v_cmp_ne_u32_e64 s0, 0, v12
	;; [unrolled: 1-line block ×3, first 2 shown]
	v_and_b32_e32 v4, v6, v7
	v_cndmask_b32_e64 v5, 1, 2, vcc_lo
	v_add_co_u32 v6, vcc_lo, s20, v33
	v_add_co_ci_u32_e32 v7, vcc_lo, s21, v34, vcc_lo
	v_cmp_eq_u32_e32 vcc_lo, 0, v23
	s_delay_alu instid0(VALU_DEP_4)
	v_and_b32_e32 v24, v4, v5
	v_cndmask_b32_e64 v25, 1, 2, vcc_lo
	v_add_co_u32 v4, vcc_lo, v6, v35
	v_add_co_ci_u32_e32 v5, vcc_lo, v7, v36, vcc_lo
	v_lshlrev_b32_e32 v6, 3, v8
	v_cmp_eq_u32_e32 vcc_lo, 0, v14
	v_and_b32_e32 v7, v24, v25
	v_add_nc_u32_e32 v8, v77, v8
	v_cndmask_b32_e64 v24, 1, 2, vcc_lo
	v_add_co_u32 v6, vcc_lo, v6, v4
	v_add_co_ci_u32_e32 v25, vcc_lo, 0, v5, vcc_lo
	v_cmp_eq_u32_e32 vcc_lo, 0, v22
	s_delay_alu instid0(VALU_DEP_4) | instskip(SKIP_4) | instid1(VALU_DEP_4)
	v_and_b32_e32 v24, v7, v24
	v_cndmask_b32_e64 v26, 1, 2, vcc_lo
	v_add_co_u32 v6, vcc_lo, v6, -8
	v_add_co_ci_u32_e32 v7, vcc_lo, -1, v25, vcc_lo
	v_cmp_eq_u32_e32 vcc_lo, 0, v20
	v_and_b32_e32 v24, v24, v26
	v_cndmask_b32_e64 v25, 1, 2, vcc_lo
	v_cmp_eq_u32_e32 vcc_lo, 0, v21
	s_delay_alu instid0(VALU_DEP_2) | instskip(SKIP_2) | instid1(VALU_DEP_2)
	v_and_b32_e32 v9, v24, v25
	v_cndmask_b32_e64 v10, 1, 2, vcc_lo
	v_cmp_eq_u32_e32 vcc_lo, 0, v12
	v_and_b32_e32 v9, v9, v10
	v_cndmask_b32_e64 v10, 1, 2, vcc_lo
	v_cmp_gt_u32_e32 vcc_lo, 0x100, v3
	s_delay_alu instid0(VALU_DEP_2) | instskip(NEXT) | instid1(VALU_DEP_1)
	v_and_b32_e32 v9, v9, v10
	v_cmp_gt_i16_e64 s15, 2, v9
	s_cbranch_vccnz .LBB293_234
; %bb.231:
	s_and_b32 vcc_lo, exec_lo, s16
	s_cbranch_vccnz .LBB293_240
.LBB293_232:
	v_cmp_eq_u32_e32 vcc_lo, 0xff, v0
	s_and_b32 s0, vcc_lo, s17
	s_delay_alu instid0(SALU_CYCLE_1)
	s_and_saveexec_b32 s1, s0
	s_cbranch_execnz .LBB293_249
.LBB293_233:
	s_nop 0
	s_sendmsg sendmsg(MSG_DEALLOC_VGPRS)
	s_endpgm
.LBB293_234:
	s_delay_alu instid0(VALU_DEP_1)
	s_and_saveexec_b32 s16, s15
	s_cbranch_execz .LBB293_239
; %bb.235:
	s_mov_b32 s18, 0
	s_mov_b32 s15, exec_lo
	v_cmpx_ne_u16_e32 1, v9
	s_xor_b32 s15, exec_lo, s15
	s_cbranch_execnz .LBB293_319
; %bb.236:
	s_and_not1_saveexec_b32 s15, s15
	s_cbranch_execnz .LBB293_335
.LBB293_237:
	s_or_b32 exec_lo, exec_lo, s15
	s_delay_alu instid0(SALU_CYCLE_1)
	s_and_b32 exec_lo, exec_lo, s18
	s_cbranch_execz .LBB293_239
.LBB293_238:
	v_sub_nc_u32_e32 v10, v37, v8
	v_mov_b32_e32 v11, 0
	s_delay_alu instid0(VALU_DEP_1) | instskip(NEXT) | instid1(VALU_DEP_1)
	v_lshlrev_b64 v[10:11], 3, v[10:11]
	v_add_co_u32 v10, vcc_lo, v6, v10
	s_delay_alu instid0(VALU_DEP_2)
	v_add_co_ci_u32_e32 v11, vcc_lo, v7, v11, vcc_lo
	global_store_b64 v[10:11], v[1:2], off
.LBB293_239:
	s_or_b32 exec_lo, exec_lo, s16
	s_branch .LBB293_232
.LBB293_240:
	s_mov_b32 s15, exec_lo
	v_cmpx_gt_i16_e32 2, v9
	s_cbranch_execz .LBB293_245
; %bb.241:
	s_mov_b32 s18, 0
	s_mov_b32 s16, exec_lo
	v_cmpx_ne_u16_e32 1, v9
	s_xor_b32 s16, exec_lo, s16
	s_cbranch_execnz .LBB293_336
; %bb.242:
	s_and_not1_saveexec_b32 s0, s16
	s_cbranch_execnz .LBB293_352
.LBB293_243:
	s_or_b32 exec_lo, exec_lo, s0
	s_delay_alu instid0(SALU_CYCLE_1)
	s_and_b32 exec_lo, exec_lo, s18
	s_cbranch_execz .LBB293_245
.LBB293_244:
	v_sub_nc_u32_e32 v8, v37, v8
	s_delay_alu instid0(VALU_DEP_1)
	v_lshlrev_b32_e32 v8, 3, v8
	ds_store_b64 v8, v[1:2]
.LBB293_245:
	s_or_b32 exec_lo, exec_lo, s15
	s_delay_alu instid0(SALU_CYCLE_1)
	s_mov_b32 s1, exec_lo
	s_waitcnt lgkmcnt(0)
	s_waitcnt_vscnt null, 0x0
	s_barrier
	buffer_gl0_inv
	v_cmpx_lt_u32_e64 v0, v3
	s_cbranch_execz .LBB293_248
; %bb.246:
	v_dual_mov_b32 v1, v0 :: v_dual_lshlrev_b32 v8, 3, v0
	v_mov_b32_e32 v2, 0
	s_mov_b32 s2, 0
	.p2align	6
.LBB293_247:                            ; =>This Inner Loop Header: Depth=1
	ds_load_b64 v[9:10], v8
	v_lshlrev_b64 v[11:12], 3, v[1:2]
	v_add_nc_u32_e32 v1, 0x100, v1
	v_add_nc_u32_e32 v8, 0x800, v8
	s_delay_alu instid0(VALU_DEP_2) | instskip(NEXT) | instid1(VALU_DEP_4)
	v_cmp_ge_u32_e32 vcc_lo, v1, v3
	v_add_co_u32 v11, s0, v6, v11
	s_delay_alu instid0(VALU_DEP_1)
	v_add_co_ci_u32_e64 v12, s0, v7, v12, s0
	s_or_b32 s2, vcc_lo, s2
	s_waitcnt lgkmcnt(0)
	global_store_b64 v[11:12], v[9:10], off
	s_and_not1_b32 exec_lo, exec_lo, s2
	s_cbranch_execnz .LBB293_247
.LBB293_248:
	s_or_b32 exec_lo, exec_lo, s1
	v_cmp_eq_u32_e32 vcc_lo, 0xff, v0
	s_and_b32 s0, vcc_lo, s17
	s_delay_alu instid0(SALU_CYCLE_1)
	s_and_saveexec_b32 s1, s0
	s_cbranch_execz .LBB293_233
.LBB293_249:
	v_add_co_u32 v0, s0, v59, v77
	s_delay_alu instid0(VALU_DEP_1) | instskip(SKIP_1) | instid1(VALU_DEP_3)
	v_add_co_ci_u32_e64 v1, null, 0, 0, s0
	v_mov_b32_e32 v60, 0
	v_add_co_u32 v0, vcc_lo, v0, v29
	s_delay_alu instid0(VALU_DEP_3)
	v_add_co_ci_u32_e32 v1, vcc_lo, v1, v30, vcc_lo
	s_cmpk_lg_i32 s28, 0xf00
	global_store_b64 v60, v[0:1], s[22:23]
	s_cbranch_scc1 .LBB293_233
; %bb.250:
	v_lshlrev_b64 v[0:1], 3, v[59:60]
	s_delay_alu instid0(VALU_DEP_1) | instskip(NEXT) | instid1(VALU_DEP_2)
	v_add_co_u32 v0, vcc_lo, v4, v0
	v_add_co_ci_u32_e32 v1, vcc_lo, v5, v1, vcc_lo
	global_store_b64 v[0:1], v[75:76], off offset:-8
	s_nop 0
	s_sendmsg sendmsg(MSG_DEALLOC_VGPRS)
	s_endpgm
.LBB293_251:
                                        ; implicit-def: $sgpr4
                                        ; implicit-def: $vgpr111
                                        ; implicit-def: $vgpr60
                                        ; implicit-def: $vgpr112
                                        ; implicit-def: $vgpr62
                                        ; implicit-def: $vgpr61
                                        ; implicit-def: $vgpr64
                                        ; implicit-def: $vgpr63
                                        ; implicit-def: $vgpr66
                                        ; implicit-def: $vgpr65
                                        ; implicit-def: $vgpr68
                                        ; implicit-def: $vgpr67
                                        ; implicit-def: $vgpr70
                                        ; implicit-def: $vgpr69
                                        ; implicit-def: $vgpr72
	s_cbranch_execz .LBB293_113
.LBB293_252:
	v_mad_u32_u24 v59, v0, 15, 14
	v_dual_mov_b32 v60, 0 :: v_dual_lshlrev_b32 v77, 3, v0
	s_waitcnt lgkmcnt(0)
	v_mul_u32_u24_e32 v75, 15, v0
	v_mov_b32_e32 v111, 0
	s_mov_b32 s4, exec_lo
	ds_store_b64 v77, v[57:58]
	v_cmpx_gt_u64_e64 s[0:1], v[59:60]
; %bb.253:
	v_mul_hi_i32 v59, 0x66666667, v3
	v_mul_hi_i32 v61, 0x66666667, v57
	s_delay_alu instid0(VALU_DEP_2) | instskip(SKIP_1) | instid1(VALU_DEP_3)
	v_lshrrev_b32_e32 v62, 31, v59
	v_ashrrev_i32_e32 v59, 2, v59
	v_lshrrev_b32_e32 v63, 31, v61
	v_ashrrev_i32_e32 v61, 2, v61
	s_delay_alu instid0(VALU_DEP_3) | instskip(NEXT) | instid1(VALU_DEP_2)
	v_add_nc_u32_e32 v59, v59, v62
	v_add_nc_u32_e32 v61, v61, v63
	s_delay_alu instid0(VALU_DEP_1)
	v_cmp_ne_u32_e32 vcc_lo, v59, v61
	v_cndmask_b32_e64 v111, 0, 1, vcc_lo
; %bb.254:
	s_or_b32 exec_lo, exec_lo, s4
	v_add_nc_u32_e32 v59, 13, v75
	s_mov_b32 s4, exec_lo
	s_delay_alu instid0(VALU_DEP_1)
	v_cmpx_gt_u64_e64 s[0:1], v[59:60]
; %bb.255:
	v_mul_hi_i32 v59, 0x66666667, v1
	v_mul_hi_i32 v60, 0x66666667, v3
	s_delay_alu instid0(VALU_DEP_2) | instskip(SKIP_1) | instid1(VALU_DEP_3)
	v_lshrrev_b32_e32 v61, 31, v59
	v_ashrrev_i32_e32 v59, 2, v59
	v_lshrrev_b32_e32 v62, 31, v60
	v_ashrrev_i32_e32 v60, 2, v60
	s_delay_alu instid0(VALU_DEP_3) | instskip(NEXT) | instid1(VALU_DEP_2)
	v_add_nc_u32_e32 v59, v59, v61
	v_add_nc_u32_e32 v60, v60, v62
	s_delay_alu instid0(VALU_DEP_1)
	v_cmp_ne_u32_e32 vcc_lo, v59, v60
	v_cndmask_b32_e64 v60, 0, 1, vcc_lo
; %bb.256:
	s_or_b32 exec_lo, exec_lo, s4
	v_dual_mov_b32 v62, 0 :: v_dual_add_nc_u32 v61, 12, v75
	v_mov_b32_e32 v112, 0
	s_mov_b32 s4, exec_lo
	s_delay_alu instid0(VALU_DEP_2)
	v_cmpx_gt_u64_e64 s[0:1], v[61:62]
; %bb.257:
	v_mul_hi_i32 v59, 0x66666667, v7
	v_mul_hi_i32 v61, 0x66666667, v1
	s_delay_alu instid0(VALU_DEP_2) | instskip(SKIP_1) | instid1(VALU_DEP_3)
	v_lshrrev_b32_e32 v63, 31, v59
	v_ashrrev_i32_e32 v59, 2, v59
	v_lshrrev_b32_e32 v64, 31, v61
	v_ashrrev_i32_e32 v61, 2, v61
	s_delay_alu instid0(VALU_DEP_3) | instskip(NEXT) | instid1(VALU_DEP_2)
	v_add_nc_u32_e32 v59, v59, v63
	v_add_nc_u32_e32 v61, v61, v64
	s_delay_alu instid0(VALU_DEP_1)
	v_cmp_ne_u32_e32 vcc_lo, v59, v61
	v_cndmask_b32_e64 v112, 0, 1, vcc_lo
; %bb.258:
	s_or_b32 exec_lo, exec_lo, s4
	v_add_nc_u32_e32 v61, 11, v75
	s_mov_b32 s4, exec_lo
	s_delay_alu instid0(VALU_DEP_1)
	v_cmpx_gt_u64_e64 s[0:1], v[61:62]
; %bb.259:
	v_mul_hi_i32 v59, 0x66666667, v5
	v_mul_hi_i32 v61, 0x66666667, v7
	s_delay_alu instid0(VALU_DEP_2) | instskip(SKIP_1) | instid1(VALU_DEP_3)
	v_lshrrev_b32_e32 v62, 31, v59
	v_ashrrev_i32_e32 v59, 2, v59
	v_lshrrev_b32_e32 v63, 31, v61
	v_ashrrev_i32_e32 v61, 2, v61
	s_delay_alu instid0(VALU_DEP_3) | instskip(NEXT) | instid1(VALU_DEP_2)
	v_add_nc_u32_e32 v59, v59, v62
	v_add_nc_u32_e32 v61, v61, v63
	s_delay_alu instid0(VALU_DEP_1)
	v_cmp_ne_u32_e32 vcc_lo, v59, v61
	v_cndmask_b32_e64 v62, 0, 1, vcc_lo
; %bb.260:
	s_or_b32 exec_lo, exec_lo, s4
	v_dual_mov_b32 v64, 0 :: v_dual_add_nc_u32 v63, 10, v75
	v_mov_b32_e32 v61, 0
	s_mov_b32 s4, exec_lo
	s_delay_alu instid0(VALU_DEP_2)
	;; [unrolled: 41-line block ×6, first 2 shown]
	v_cmpx_gt_u64_e64 s[0:1], v[71:72]
; %bb.277:
	v_mul_hi_i32 v59, 0x66666667, v27
	v_mul_hi_i32 v69, 0x66666667, v21
	s_delay_alu instid0(VALU_DEP_2) | instskip(SKIP_1) | instid1(VALU_DEP_3)
	v_lshrrev_b32_e32 v71, 31, v59
	v_ashrrev_i32_e32 v59, 2, v59
	v_lshrrev_b32_e32 v76, 31, v69
	v_ashrrev_i32_e32 v69, 2, v69
	s_delay_alu instid0(VALU_DEP_3) | instskip(NEXT) | instid1(VALU_DEP_2)
	v_add_nc_u32_e32 v59, v59, v71
	v_add_nc_u32_e32 v69, v69, v76
	s_delay_alu instid0(VALU_DEP_1)
	v_cmp_ne_u32_e32 vcc_lo, v59, v69
	v_cndmask_b32_e64 v69, 0, 1, vcc_lo
; %bb.278:
	s_or_b32 exec_lo, exec_lo, s4
	v_add_nc_u32_e32 v71, 1, v75
	s_mov_b32 s4, exec_lo
	s_delay_alu instid0(VALU_DEP_1)
	v_cmpx_gt_u64_e64 s[0:1], v[71:72]
; %bb.279:
	v_mul_hi_i32 v59, 0x66666667, v25
	v_mul_hi_i32 v71, 0x66666667, v27
	s_delay_alu instid0(VALU_DEP_2) | instskip(SKIP_1) | instid1(VALU_DEP_3)
	v_lshrrev_b32_e32 v72, 31, v59
	v_ashrrev_i32_e32 v59, 2, v59
	v_lshrrev_b32_e32 v76, 31, v71
	v_ashrrev_i32_e32 v71, 2, v71
	s_delay_alu instid0(VALU_DEP_3) | instskip(NEXT) | instid1(VALU_DEP_2)
	v_add_nc_u32_e32 v59, v59, v72
	v_add_nc_u32_e32 v71, v71, v76
	s_delay_alu instid0(VALU_DEP_1)
	v_cmp_ne_u32_e32 vcc_lo, v59, v71
	v_cndmask_b32_e64 v72, 0, 1, vcc_lo
; %bb.280:
	s_or_b32 exec_lo, exec_lo, s4
	s_waitcnt lgkmcnt(0)
	s_barrier
	buffer_gl0_inv
                                        ; implicit-def: $sgpr4
	s_and_saveexec_b32 s5, s3
	s_cbranch_execz .LBB293_284
; %bb.281:
	v_mov_b32_e32 v76, 0
	s_delay_alu instid0(VALU_DEP_1)
	v_cmp_gt_u64_e32 vcc_lo, s[0:1], v[75:76]
	s_mov_b32 s1, 0
	s_and_saveexec_b32 s0, vcc_lo
	s_cbranch_execz .LBB293_283
; %bb.282:
	v_add_nc_u32_e32 v59, -8, v77
	v_mul_hi_i32 v71, 0x66666667, v25
	ds_load_b32 v59, v59
	v_lshrrev_b32_e32 v75, 31, v71
	v_ashrrev_i32_e32 v71, 2, v71
	s_delay_alu instid0(VALU_DEP_1) | instskip(SKIP_2) | instid1(VALU_DEP_1)
	v_add_nc_u32_e32 v71, v71, v75
	s_waitcnt lgkmcnt(0)
	v_mul_hi_i32 v59, 0x66666667, v59
	v_lshrrev_b32_e32 v76, 31, v59
	v_ashrrev_i32_e32 v59, 2, v59
	s_delay_alu instid0(VALU_DEP_1) | instskip(NEXT) | instid1(VALU_DEP_1)
	v_add_nc_u32_e32 v59, v59, v76
	v_cmp_ne_u32_e32 vcc_lo, v59, v71
	s_and_b32 s1, vcc_lo, exec_lo
.LBB293_283:
	s_or_b32 exec_lo, exec_lo, s0
	s_delay_alu instid0(SALU_CYCLE_1)
	s_and_b32 s4, s1, exec_lo
	s_or_b32 s15, s15, exec_lo
.LBB293_284:
	s_or_b32 exec_lo, exec_lo, s5
	s_mov_b32 s0, 1
	s_delay_alu instid0(SALU_CYCLE_1)
	v_mov_b32_e32 v71, s0
	s_and_saveexec_b32 s0, s15
	s_cbranch_execnz .LBB293_115
	s_branch .LBB293_116
.LBB293_285:
	s_and_saveexec_b32 s19, s13
	s_cbranch_execnz .LBB293_353
; %bb.286:
	s_or_b32 exec_lo, exec_lo, s19
	s_and_saveexec_b32 s19, s12
	s_cbranch_execnz .LBB293_354
.LBB293_287:
	s_or_b32 exec_lo, exec_lo, s19
	s_and_saveexec_b32 s19, s10
	s_cbranch_execnz .LBB293_355
.LBB293_288:
	s_or_b32 exec_lo, exec_lo, s19
	s_and_saveexec_b32 s19, s9
	s_cbranch_execnz .LBB293_356
.LBB293_289:
	s_or_b32 exec_lo, exec_lo, s19
	s_and_saveexec_b32 s19, s15
	s_cbranch_execnz .LBB293_357
.LBB293_290:
	s_or_b32 exec_lo, exec_lo, s19
	s_and_saveexec_b32 s19, s14
	s_cbranch_execnz .LBB293_358
.LBB293_291:
	s_or_b32 exec_lo, exec_lo, s19
	s_and_saveexec_b32 s19, s11
	s_cbranch_execnz .LBB293_359
.LBB293_292:
	s_or_b32 exec_lo, exec_lo, s19
	s_and_saveexec_b32 s19, s8
	s_cbranch_execnz .LBB293_360
.LBB293_293:
	s_or_b32 exec_lo, exec_lo, s19
	s_and_saveexec_b32 s19, s7
	s_cbranch_execnz .LBB293_361
.LBB293_294:
	s_or_b32 exec_lo, exec_lo, s19
	s_and_saveexec_b32 s19, s6
	s_cbranch_execnz .LBB293_362
.LBB293_295:
	s_or_b32 exec_lo, exec_lo, s19
	s_and_saveexec_b32 s19, s5
	s_cbranch_execnz .LBB293_363
.LBB293_296:
	s_or_b32 exec_lo, exec_lo, s19
	s_and_saveexec_b32 s19, s4
	s_cbranch_execnz .LBB293_364
.LBB293_297:
	s_or_b32 exec_lo, exec_lo, s19
	s_and_saveexec_b32 s19, s3
	s_cbranch_execnz .LBB293_365
.LBB293_298:
	s_or_b32 exec_lo, exec_lo, s19
	s_and_saveexec_b32 s19, s1
	s_cbranch_execz .LBB293_300
.LBB293_299:
	v_sub_nc_u32_e32 v54, v38, v77
	v_mov_b32_e32 v55, 0
	s_delay_alu instid0(VALU_DEP_1) | instskip(NEXT) | instid1(VALU_DEP_1)
	v_lshlrev_b64 v[54:55], 3, v[54:55]
	v_add_co_u32 v54, vcc_lo, v51, v54
	s_delay_alu instid0(VALU_DEP_2)
	v_add_co_ci_u32_e32 v55, vcc_lo, v52, v55, vcc_lo
	global_store_b64 v[54:55], v[3:4], off
.LBB293_300:
	s_or_b32 exec_lo, exec_lo, s19
	s_delay_alu instid0(SALU_CYCLE_1)
	s_and_b32 s19, s0, exec_lo
	s_and_not1_saveexec_b32 s16, s16
	s_cbranch_execz .LBB293_217
.LBB293_301:
	v_sub_nc_u32_e32 v54, v113, v77
	v_mov_b32_e32 v55, 0
	s_or_b32 s19, s19, exec_lo
	s_delay_alu instid0(VALU_DEP_1) | instskip(SKIP_1) | instid1(VALU_DEP_1)
	v_lshlrev_b64 v[73:74], 3, v[54:55]
	v_sub_nc_u32_e32 v54, v48, v77
	v_lshlrev_b64 v[107:108], 3, v[54:55]
	v_sub_nc_u32_e32 v54, v50, v77
	s_delay_alu instid0(VALU_DEP_4) | instskip(SKIP_1) | instid1(VALU_DEP_3)
	v_add_co_u32 v73, vcc_lo, v51, v73
	v_add_co_ci_u32_e32 v74, vcc_lo, v52, v74, vcc_lo
	v_lshlrev_b64 v[114:115], 3, v[54:55]
	v_sub_nc_u32_e32 v54, v49, v77
	v_add_co_u32 v107, vcc_lo, v51, v107
	v_add_co_ci_u32_e32 v108, vcc_lo, v52, v108, vcc_lo
	global_store_b64 v[73:74], v[25:26], off
	v_lshlrev_b64 v[73:74], 3, v[54:55]
	v_sub_nc_u32_e32 v54, v47, v77
	global_store_b64 v[107:108], v[27:28], off
	v_add_co_u32 v107, vcc_lo, v51, v114
	v_add_co_ci_u32_e32 v108, vcc_lo, v52, v115, vcc_lo
	v_lshlrev_b64 v[114:115], 3, v[54:55]
	v_sub_nc_u32_e32 v54, v46, v77
	v_add_co_u32 v73, vcc_lo, v51, v73
	v_add_co_ci_u32_e32 v74, vcc_lo, v52, v74, vcc_lo
	s_delay_alu instid0(VALU_DEP_3) | instskip(SKIP_3) | instid1(VALU_DEP_3)
	v_lshlrev_b64 v[116:117], 3, v[54:55]
	v_sub_nc_u32_e32 v54, v45, v77
	v_add_co_u32 v114, vcc_lo, v51, v114
	v_add_co_ci_u32_e32 v115, vcc_lo, v52, v115, vcc_lo
	v_lshlrev_b64 v[118:119], 3, v[54:55]
	v_sub_nc_u32_e32 v54, v44, v77
	v_add_co_u32 v116, vcc_lo, v51, v116
	v_add_co_ci_u32_e32 v117, vcc_lo, v52, v117, vcc_lo
	s_clause 0x3
	global_store_b64 v[107:108], v[21:22], off
	global_store_b64 v[73:74], v[23:24], off
	global_store_b64 v[114:115], v[17:18], off
	global_store_b64 v[116:117], v[19:20], off
	v_lshlrev_b64 v[73:74], 3, v[54:55]
	v_sub_nc_u32_e32 v54, v43, v77
	v_add_co_u32 v107, vcc_lo, v51, v118
	v_add_co_ci_u32_e32 v108, vcc_lo, v52, v119, vcc_lo
	s_delay_alu instid0(VALU_DEP_3) | instskip(SKIP_3) | instid1(VALU_DEP_3)
	v_lshlrev_b64 v[114:115], 3, v[54:55]
	v_sub_nc_u32_e32 v54, v42, v77
	v_add_co_u32 v73, vcc_lo, v51, v73
	v_add_co_ci_u32_e32 v74, vcc_lo, v52, v74, vcc_lo
	v_lshlrev_b64 v[116:117], 3, v[54:55]
	v_sub_nc_u32_e32 v54, v41, v77
	v_add_co_u32 v114, vcc_lo, v51, v114
	v_add_co_ci_u32_e32 v115, vcc_lo, v52, v115, vcc_lo
	s_delay_alu instid0(VALU_DEP_3)
	v_lshlrev_b64 v[118:119], 3, v[54:55]
	v_sub_nc_u32_e32 v54, v40, v77
	v_add_co_u32 v116, vcc_lo, v51, v116
	v_add_co_ci_u32_e32 v117, vcc_lo, v52, v117, vcc_lo
	s_clause 0x3
	global_store_b64 v[107:108], v[13:14], off
	global_store_b64 v[73:74], v[15:16], off
	;; [unrolled: 1-line block ×4, first 2 shown]
	v_lshlrev_b64 v[73:74], 3, v[54:55]
	v_sub_nc_u32_e32 v54, v39, v77
	v_add_co_u32 v107, vcc_lo, v51, v118
	v_add_co_ci_u32_e32 v108, vcc_lo, v52, v119, vcc_lo
	s_delay_alu instid0(VALU_DEP_3) | instskip(SKIP_3) | instid1(VALU_DEP_3)
	v_lshlrev_b64 v[114:115], 3, v[54:55]
	v_sub_nc_u32_e32 v54, v38, v77
	v_add_co_u32 v73, vcc_lo, v51, v73
	v_add_co_ci_u32_e32 v74, vcc_lo, v52, v74, vcc_lo
	v_lshlrev_b64 v[54:55], 3, v[54:55]
	v_add_co_u32 v114, vcc_lo, v51, v114
	v_add_co_ci_u32_e32 v115, vcc_lo, v52, v115, vcc_lo
	s_clause 0x2
	global_store_b64 v[107:108], v[5:6], off
	global_store_b64 v[73:74], v[7:8], off
	;; [unrolled: 1-line block ×3, first 2 shown]
	v_add_co_u32 v54, vcc_lo, v51, v54
	v_add_co_ci_u32_e32 v55, vcc_lo, v52, v55, vcc_lo
	global_store_b64 v[54:55], v[3:4], off
	s_or_b32 exec_lo, exec_lo, s16
	s_delay_alu instid0(SALU_CYCLE_1)
	s_and_b32 exec_lo, exec_lo, s19
	s_cbranch_execnz .LBB293_218
	s_branch .LBB293_219
.LBB293_302:
	s_and_saveexec_b32 s19, s13
	s_cbranch_execnz .LBB293_366
; %bb.303:
	s_or_b32 exec_lo, exec_lo, s19
	s_and_saveexec_b32 s13, s12
	s_cbranch_execnz .LBB293_367
.LBB293_304:
	s_or_b32 exec_lo, exec_lo, s13
	s_and_saveexec_b32 s12, s10
	s_cbranch_execnz .LBB293_368
.LBB293_305:
	s_or_b32 exec_lo, exec_lo, s12
	s_and_saveexec_b32 s10, s9
	s_cbranch_execnz .LBB293_369
.LBB293_306:
	s_or_b32 exec_lo, exec_lo, s10
	s_and_saveexec_b32 s9, s15
	s_cbranch_execnz .LBB293_370
.LBB293_307:
	s_or_b32 exec_lo, exec_lo, s9
	s_and_saveexec_b32 s9, s14
	s_cbranch_execnz .LBB293_371
.LBB293_308:
	s_or_b32 exec_lo, exec_lo, s9
	s_and_saveexec_b32 s9, s11
	s_cbranch_execnz .LBB293_372
.LBB293_309:
	s_or_b32 exec_lo, exec_lo, s9
	s_and_saveexec_b32 s9, s8
	s_cbranch_execnz .LBB293_373
.LBB293_310:
	s_or_b32 exec_lo, exec_lo, s9
	s_and_saveexec_b32 s8, s7
	s_cbranch_execnz .LBB293_374
.LBB293_311:
	s_or_b32 exec_lo, exec_lo, s8
	s_and_saveexec_b32 s7, s6
	s_cbranch_execnz .LBB293_375
.LBB293_312:
	s_or_b32 exec_lo, exec_lo, s7
	s_and_saveexec_b32 s6, s5
	s_cbranch_execnz .LBB293_376
.LBB293_313:
	s_or_b32 exec_lo, exec_lo, s6
	s_and_saveexec_b32 s5, s4
	s_cbranch_execnz .LBB293_377
.LBB293_314:
	s_or_b32 exec_lo, exec_lo, s5
	s_and_saveexec_b32 s4, s3
	s_cbranch_execnz .LBB293_378
.LBB293_315:
	s_or_b32 exec_lo, exec_lo, s4
	s_and_saveexec_b32 s3, s1
	s_cbranch_execz .LBB293_317
.LBB293_316:
	v_sub_nc_u32_e32 v1, v38, v77
	s_delay_alu instid0(VALU_DEP_1)
	v_lshlrev_b32_e32 v1, 3, v1
	ds_store_b64 v1, v[3:4]
.LBB293_317:
	s_or_b32 exec_lo, exec_lo, s3
	s_delay_alu instid0(SALU_CYCLE_1)
	s_and_b32 s19, s0, exec_lo
                                        ; implicit-def: $vgpr25_vgpr26
                                        ; implicit-def: $vgpr21_vgpr22
                                        ; implicit-def: $vgpr17_vgpr18
                                        ; implicit-def: $vgpr13_vgpr14
                                        ; implicit-def: $vgpr9_vgpr10
                                        ; implicit-def: $vgpr5_vgpr6
                                        ; implicit-def: $vgpr1_vgpr2
	s_and_not1_saveexec_b32 s0, s18
	s_cbranch_execz .LBB293_224
.LBB293_318:
	v_sub_nc_u32_e32 v53, v113, v77
	v_sub_nc_u32_e32 v54, v48, v77
	;; [unrolled: 1-line block ×4, first 2 shown]
	s_or_b32 s19, s19, exec_lo
	v_lshlrev_b32_e32 v53, 3, v53
	v_lshlrev_b32_e32 v54, 3, v54
	;; [unrolled: 1-line block ×4, first 2 shown]
	ds_store_b64 v53, v[25:26]
	ds_store_b64 v54, v[27:28]
	;; [unrolled: 1-line block ×3, first 2 shown]
	v_sub_nc_u32_e32 v21, v47, v77
	v_sub_nc_u32_e32 v22, v46, v77
	ds_store_b64 v56, v[23:24]
	v_sub_nc_u32_e32 v23, v45, v77
	v_sub_nc_u32_e32 v24, v44, v77
	v_lshlrev_b32_e32 v21, 3, v21
	v_sub_nc_u32_e32 v25, v43, v77
	v_lshlrev_b32_e32 v22, 3, v22
	v_lshlrev_b32_e32 v23, 3, v23
	v_lshlrev_b32_e32 v24, 3, v24
	ds_store_b64 v21, v[17:18]
	v_lshlrev_b32_e32 v17, 3, v25
	ds_store_b64 v22, v[19:20]
	ds_store_b64 v23, v[13:14]
	;; [unrolled: 1-line block ×3, first 2 shown]
	v_sub_nc_u32_e32 v13, v42, v77
	v_sub_nc_u32_e32 v15, v38, v77
	;; [unrolled: 1-line block ×3, first 2 shown]
	ds_store_b64 v17, v[9:10]
	v_sub_nc_u32_e32 v9, v41, v77
	v_lshlrev_b32_e32 v13, 3, v13
	v_sub_nc_u32_e32 v10, v40, v77
	v_lshlrev_b32_e32 v14, 3, v14
	s_delay_alu instid0(VALU_DEP_4)
	v_lshlrev_b32_e32 v9, 3, v9
	ds_store_b64 v13, v[11:12]
	v_lshlrev_b32_e32 v11, 3, v15
	v_lshlrev_b32_e32 v10, 3, v10
	ds_store_b64 v9, v[5:6]
	ds_store_b64 v10, v[7:8]
	;; [unrolled: 1-line block ×4, first 2 shown]
	s_or_b32 exec_lo, exec_lo, s0
	s_delay_alu instid0(SALU_CYCLE_1)
	s_and_b32 exec_lo, exec_lo, s19
	s_cbranch_execnz .LBB293_225
	s_branch .LBB293_226
.LBB293_319:
	s_and_saveexec_b32 s18, s14
	s_cbranch_execnz .LBB293_379
; %bb.320:
	s_or_b32 exec_lo, exec_lo, s18
	s_and_saveexec_b32 s18, s13
	s_cbranch_execnz .LBB293_380
.LBB293_321:
	s_or_b32 exec_lo, exec_lo, s18
	s_and_saveexec_b32 s18, s12
	s_cbranch_execnz .LBB293_381
.LBB293_322:
	s_or_b32 exec_lo, exec_lo, s18
	s_and_saveexec_b32 s18, s11
	s_cbranch_execnz .LBB293_382
.LBB293_323:
	s_or_b32 exec_lo, exec_lo, s18
	s_and_saveexec_b32 s18, s10
	s_cbranch_execnz .LBB293_383
.LBB293_324:
	s_or_b32 exec_lo, exec_lo, s18
	s_and_saveexec_b32 s18, s9
	s_cbranch_execnz .LBB293_384
.LBB293_325:
	s_or_b32 exec_lo, exec_lo, s18
	s_and_saveexec_b32 s18, s8
	s_cbranch_execnz .LBB293_385
.LBB293_326:
	s_or_b32 exec_lo, exec_lo, s18
	s_and_saveexec_b32 s18, s7
	s_cbranch_execnz .LBB293_386
.LBB293_327:
	s_or_b32 exec_lo, exec_lo, s18
	s_and_saveexec_b32 s18, s6
	s_cbranch_execnz .LBB293_387
.LBB293_328:
	s_or_b32 exec_lo, exec_lo, s18
	s_and_saveexec_b32 s18, s5
	s_cbranch_execnz .LBB293_388
.LBB293_329:
	s_or_b32 exec_lo, exec_lo, s18
	s_and_saveexec_b32 s18, s4
	s_cbranch_execnz .LBB293_389
.LBB293_330:
	s_or_b32 exec_lo, exec_lo, s18
	s_and_saveexec_b32 s18, s3
	s_cbranch_execnz .LBB293_390
.LBB293_331:
	s_or_b32 exec_lo, exec_lo, s18
	s_and_saveexec_b32 s18, s2
	s_cbranch_execnz .LBB293_391
.LBB293_332:
	s_or_b32 exec_lo, exec_lo, s18
	s_and_saveexec_b32 s18, s1
	s_cbranch_execz .LBB293_334
.LBB293_333:
	v_sub_nc_u32_e32 v10, v38, v8
	v_mov_b32_e32 v11, 0
	s_delay_alu instid0(VALU_DEP_1) | instskip(NEXT) | instid1(VALU_DEP_1)
	v_lshlrev_b64 v[10:11], 3, v[10:11]
	v_add_co_u32 v10, vcc_lo, v6, v10
	s_delay_alu instid0(VALU_DEP_2)
	v_add_co_ci_u32_e32 v11, vcc_lo, v7, v11, vcc_lo
	global_store_b64 v[10:11], v[105:106], off
.LBB293_334:
	s_or_b32 exec_lo, exec_lo, s18
	s_delay_alu instid0(SALU_CYCLE_1)
	s_and_b32 s18, s0, exec_lo
	s_and_not1_saveexec_b32 s15, s15
	s_cbranch_execz .LBB293_237
.LBB293_335:
	v_sub_nc_u32_e32 v10, v113, v8
	v_mov_b32_e32 v11, 0
	s_or_b32 s18, s18, exec_lo
	s_delay_alu instid0(VALU_DEP_1) | instskip(SKIP_1) | instid1(VALU_DEP_1)
	v_lshlrev_b64 v[12:13], 3, v[10:11]
	v_sub_nc_u32_e32 v10, v48, v8
	v_lshlrev_b64 v[14:15], 3, v[10:11]
	v_sub_nc_u32_e32 v10, v50, v8
	s_delay_alu instid0(VALU_DEP_4) | instskip(SKIP_1) | instid1(VALU_DEP_3)
	v_add_co_u32 v12, vcc_lo, v6, v12
	v_add_co_ci_u32_e32 v13, vcc_lo, v7, v13, vcc_lo
	v_lshlrev_b64 v[16:17], 3, v[10:11]
	v_sub_nc_u32_e32 v10, v49, v8
	v_add_co_u32 v14, vcc_lo, v6, v14
	v_add_co_ci_u32_e32 v15, vcc_lo, v7, v15, vcc_lo
	global_store_b64 v[12:13], v[91:92], off
	v_lshlrev_b64 v[12:13], 3, v[10:11]
	v_sub_nc_u32_e32 v10, v47, v8
	global_store_b64 v[14:15], v[87:88], off
	v_add_co_u32 v14, vcc_lo, v6, v16
	v_add_co_ci_u32_e32 v15, vcc_lo, v7, v17, vcc_lo
	v_lshlrev_b64 v[16:17], 3, v[10:11]
	v_sub_nc_u32_e32 v10, v46, v8
	v_add_co_u32 v12, vcc_lo, v6, v12
	v_add_co_ci_u32_e32 v13, vcc_lo, v7, v13, vcc_lo
	s_delay_alu instid0(VALU_DEP_3) | instskip(SKIP_3) | instid1(VALU_DEP_3)
	v_lshlrev_b64 v[18:19], 3, v[10:11]
	v_sub_nc_u32_e32 v10, v45, v8
	v_add_co_u32 v16, vcc_lo, v6, v16
	v_add_co_ci_u32_e32 v17, vcc_lo, v7, v17, vcc_lo
	v_lshlrev_b64 v[20:21], 3, v[10:11]
	v_sub_nc_u32_e32 v10, v44, v8
	v_add_co_u32 v18, vcc_lo, v6, v18
	v_add_co_ci_u32_e32 v19, vcc_lo, v7, v19, vcc_lo
	s_clause 0x3
	global_store_b64 v[14:15], v[93:94], off
	global_store_b64 v[12:13], v[97:98], off
	;; [unrolled: 1-line block ×4, first 2 shown]
	v_lshlrev_b64 v[12:13], 3, v[10:11]
	v_sub_nc_u32_e32 v10, v43, v8
	v_add_co_u32 v14, vcc_lo, v6, v20
	v_add_co_ci_u32_e32 v15, vcc_lo, v7, v21, vcc_lo
	s_delay_alu instid0(VALU_DEP_3) | instskip(SKIP_3) | instid1(VALU_DEP_3)
	v_lshlrev_b64 v[16:17], 3, v[10:11]
	v_sub_nc_u32_e32 v10, v42, v8
	v_add_co_u32 v12, vcc_lo, v6, v12
	v_add_co_ci_u32_e32 v13, vcc_lo, v7, v13, vcc_lo
	v_lshlrev_b64 v[18:19], 3, v[10:11]
	v_sub_nc_u32_e32 v10, v41, v8
	v_add_co_u32 v16, vcc_lo, v6, v16
	v_add_co_ci_u32_e32 v17, vcc_lo, v7, v17, vcc_lo
	s_delay_alu instid0(VALU_DEP_3)
	v_lshlrev_b64 v[20:21], 3, v[10:11]
	v_sub_nc_u32_e32 v10, v40, v8
	v_add_co_u32 v18, vcc_lo, v6, v18
	v_add_co_ci_u32_e32 v19, vcc_lo, v7, v19, vcc_lo
	s_clause 0x3
	global_store_b64 v[14:15], v[89:90], off
	global_store_b64 v[12:13], v[95:96], off
	;; [unrolled: 1-line block ×4, first 2 shown]
	v_lshlrev_b64 v[12:13], 3, v[10:11]
	v_sub_nc_u32_e32 v10, v39, v8
	v_add_co_u32 v14, vcc_lo, v6, v20
	v_add_co_ci_u32_e32 v15, vcc_lo, v7, v21, vcc_lo
	s_delay_alu instid0(VALU_DEP_3) | instskip(SKIP_3) | instid1(VALU_DEP_3)
	v_lshlrev_b64 v[16:17], 3, v[10:11]
	v_sub_nc_u32_e32 v10, v38, v8
	v_add_co_u32 v12, vcc_lo, v6, v12
	v_add_co_ci_u32_e32 v13, vcc_lo, v7, v13, vcc_lo
	v_lshlrev_b64 v[10:11], 3, v[10:11]
	v_add_co_u32 v16, vcc_lo, v6, v16
	v_add_co_ci_u32_e32 v17, vcc_lo, v7, v17, vcc_lo
	s_clause 0x2
	global_store_b64 v[14:15], v[85:86], off
	global_store_b64 v[12:13], v[101:102], off
	;; [unrolled: 1-line block ×3, first 2 shown]
	v_add_co_u32 v10, vcc_lo, v6, v10
	v_add_co_ci_u32_e32 v11, vcc_lo, v7, v11, vcc_lo
	global_store_b64 v[10:11], v[105:106], off
	s_or_b32 exec_lo, exec_lo, s15
	s_delay_alu instid0(SALU_CYCLE_1)
	s_and_b32 exec_lo, exec_lo, s18
	s_cbranch_execnz .LBB293_238
	s_branch .LBB293_239
.LBB293_336:
	s_and_saveexec_b32 s18, s14
	s_cbranch_execnz .LBB293_392
; %bb.337:
	s_or_b32 exec_lo, exec_lo, s18
	s_and_saveexec_b32 s14, s13
	s_cbranch_execnz .LBB293_393
.LBB293_338:
	s_or_b32 exec_lo, exec_lo, s14
	s_and_saveexec_b32 s13, s12
	s_cbranch_execnz .LBB293_394
.LBB293_339:
	s_or_b32 exec_lo, exec_lo, s13
	s_and_saveexec_b32 s12, s11
	s_cbranch_execnz .LBB293_395
.LBB293_340:
	s_or_b32 exec_lo, exec_lo, s12
	s_and_saveexec_b32 s11, s10
	s_cbranch_execnz .LBB293_396
.LBB293_341:
	s_or_b32 exec_lo, exec_lo, s11
	s_and_saveexec_b32 s10, s9
	s_cbranch_execnz .LBB293_397
.LBB293_342:
	s_or_b32 exec_lo, exec_lo, s10
	s_and_saveexec_b32 s9, s8
	s_cbranch_execnz .LBB293_398
.LBB293_343:
	s_or_b32 exec_lo, exec_lo, s9
	s_and_saveexec_b32 s8, s7
	s_cbranch_execnz .LBB293_399
.LBB293_344:
	s_or_b32 exec_lo, exec_lo, s8
	s_and_saveexec_b32 s7, s6
	s_cbranch_execnz .LBB293_400
.LBB293_345:
	s_or_b32 exec_lo, exec_lo, s7
	s_and_saveexec_b32 s6, s5
	s_cbranch_execnz .LBB293_401
.LBB293_346:
	s_or_b32 exec_lo, exec_lo, s6
	s_and_saveexec_b32 s5, s4
	s_cbranch_execnz .LBB293_402
.LBB293_347:
	s_or_b32 exec_lo, exec_lo, s5
	s_and_saveexec_b32 s4, s3
	s_cbranch_execnz .LBB293_403
.LBB293_348:
	s_or_b32 exec_lo, exec_lo, s4
	s_and_saveexec_b32 s3, s2
	s_cbranch_execnz .LBB293_404
.LBB293_349:
	s_or_b32 exec_lo, exec_lo, s3
	s_and_saveexec_b32 s2, s1
	s_cbranch_execz .LBB293_351
.LBB293_350:
	v_sub_nc_u32_e32 v9, v38, v8
	s_delay_alu instid0(VALU_DEP_1)
	v_lshlrev_b32_e32 v9, 3, v9
	ds_store_b64 v9, v[105:106]
.LBB293_351:
	s_or_b32 exec_lo, exec_lo, s2
	s_delay_alu instid0(SALU_CYCLE_1)
	s_and_b32 s18, s0, exec_lo
                                        ; implicit-def: $vgpr91_vgpr92
                                        ; implicit-def: $vgpr87_vgpr88
                                        ; implicit-def: $vgpr93_vgpr94
                                        ; implicit-def: $vgpr97_vgpr98
                                        ; implicit-def: $vgpr79_vgpr80
                                        ; implicit-def: $vgpr83_vgpr84
                                        ; implicit-def: $vgpr89_vgpr90
                                        ; implicit-def: $vgpr95_vgpr96
                                        ; implicit-def: $vgpr99_vgpr100
                                        ; implicit-def: $vgpr81_vgpr82
                                        ; implicit-def: $vgpr85_vgpr86
                                        ; implicit-def: $vgpr101_vgpr102
                                        ; implicit-def: $vgpr103_vgpr104
                                        ; implicit-def: $vgpr105_vgpr106
                                        ; implicit-def: $vgpr113
                                        ; implicit-def: $vgpr48
                                        ; implicit-def: $vgpr50
                                        ; implicit-def: $vgpr49
                                        ; implicit-def: $vgpr47
                                        ; implicit-def: $vgpr46
                                        ; implicit-def: $vgpr45
                                        ; implicit-def: $vgpr44
                                        ; implicit-def: $vgpr43
                                        ; implicit-def: $vgpr42
                                        ; implicit-def: $vgpr41
                                        ; implicit-def: $vgpr40
                                        ; implicit-def: $vgpr39
                                        ; implicit-def: $vgpr38
	s_and_not1_saveexec_b32 s0, s16
	s_cbranch_execz .LBB293_243
.LBB293_352:
	v_sub_nc_u32_e32 v9, v113, v8
	v_sub_nc_u32_e32 v10, v48, v8
	;; [unrolled: 1-line block ×5, first 2 shown]
	v_lshlrev_b32_e32 v9, 3, v9
	v_lshlrev_b32_e32 v10, 3, v10
	;; [unrolled: 1-line block ×4, first 2 shown]
	s_or_b32 s18, s18, exec_lo
	ds_store_b64 v9, v[91:92]
	ds_store_b64 v10, v[87:88]
	;; [unrolled: 1-line block ×3, first 2 shown]
	v_sub_nc_u32_e32 v9, v47, v8
	v_sub_nc_u32_e32 v10, v46, v8
	;; [unrolled: 1-line block ×3, first 2 shown]
	ds_store_b64 v12, v[97:98]
	v_sub_nc_u32_e32 v12, v44, v8
	v_lshlrev_b32_e32 v9, 3, v9
	v_lshlrev_b32_e32 v10, 3, v10
	;; [unrolled: 1-line block ×3, first 2 shown]
	s_delay_alu instid0(VALU_DEP_4)
	v_lshlrev_b32_e32 v12, 3, v12
	ds_store_b64 v9, v[79:80]
	v_lshlrev_b32_e32 v9, 3, v13
	ds_store_b64 v10, v[83:84]
	ds_store_b64 v11, v[89:90]
	;; [unrolled: 1-line block ×3, first 2 shown]
	v_sub_nc_u32_e32 v10, v42, v8
	v_sub_nc_u32_e32 v13, v38, v8
	;; [unrolled: 1-line block ×3, first 2 shown]
	ds_store_b64 v9, v[99:100]
	v_sub_nc_u32_e32 v9, v41, v8
	v_lshlrev_b32_e32 v10, 3, v10
	v_sub_nc_u32_e32 v12, v39, v8
	v_lshlrev_b32_e32 v11, 3, v11
	s_delay_alu instid0(VALU_DEP_4)
	v_lshlrev_b32_e32 v9, 3, v9
	ds_store_b64 v10, v[81:82]
	v_lshlrev_b32_e32 v10, 3, v13
	v_lshlrev_b32_e32 v12, 3, v12
	ds_store_b64 v9, v[85:86]
	ds_store_b64 v11, v[101:102]
	;; [unrolled: 1-line block ×4, first 2 shown]
	s_or_b32 exec_lo, exec_lo, s0
	s_delay_alu instid0(SALU_CYCLE_1)
	s_and_b32 exec_lo, exec_lo, s18
	s_cbranch_execnz .LBB293_244
	s_branch .LBB293_245
.LBB293_353:
	v_sub_nc_u32_e32 v54, v113, v77
	v_mov_b32_e32 v55, 0
	s_delay_alu instid0(VALU_DEP_1) | instskip(NEXT) | instid1(VALU_DEP_1)
	v_lshlrev_b64 v[54:55], 3, v[54:55]
	v_add_co_u32 v54, vcc_lo, v51, v54
	s_delay_alu instid0(VALU_DEP_2)
	v_add_co_ci_u32_e32 v55, vcc_lo, v52, v55, vcc_lo
	global_store_b64 v[54:55], v[25:26], off
	s_or_b32 exec_lo, exec_lo, s19
	s_and_saveexec_b32 s19, s12
	s_cbranch_execz .LBB293_287
.LBB293_354:
	v_sub_nc_u32_e32 v54, v48, v77
	v_mov_b32_e32 v55, 0
	s_delay_alu instid0(VALU_DEP_1) | instskip(NEXT) | instid1(VALU_DEP_1)
	v_lshlrev_b64 v[54:55], 3, v[54:55]
	v_add_co_u32 v54, vcc_lo, v51, v54
	s_delay_alu instid0(VALU_DEP_2)
	v_add_co_ci_u32_e32 v55, vcc_lo, v52, v55, vcc_lo
	global_store_b64 v[54:55], v[27:28], off
	s_or_b32 exec_lo, exec_lo, s19
	s_and_saveexec_b32 s19, s10
	s_cbranch_execz .LBB293_288
.LBB293_355:
	v_sub_nc_u32_e32 v54, v50, v77
	v_mov_b32_e32 v55, 0
	s_delay_alu instid0(VALU_DEP_1) | instskip(NEXT) | instid1(VALU_DEP_1)
	v_lshlrev_b64 v[54:55], 3, v[54:55]
	v_add_co_u32 v54, vcc_lo, v51, v54
	s_delay_alu instid0(VALU_DEP_2)
	v_add_co_ci_u32_e32 v55, vcc_lo, v52, v55, vcc_lo
	global_store_b64 v[54:55], v[21:22], off
	s_or_b32 exec_lo, exec_lo, s19
	s_and_saveexec_b32 s19, s9
	s_cbranch_execz .LBB293_289
.LBB293_356:
	v_sub_nc_u32_e32 v54, v49, v77
	v_mov_b32_e32 v55, 0
	s_delay_alu instid0(VALU_DEP_1) | instskip(NEXT) | instid1(VALU_DEP_1)
	v_lshlrev_b64 v[54:55], 3, v[54:55]
	v_add_co_u32 v54, vcc_lo, v51, v54
	s_delay_alu instid0(VALU_DEP_2)
	v_add_co_ci_u32_e32 v55, vcc_lo, v52, v55, vcc_lo
	global_store_b64 v[54:55], v[23:24], off
	s_or_b32 exec_lo, exec_lo, s19
	s_and_saveexec_b32 s19, s15
	s_cbranch_execz .LBB293_290
.LBB293_357:
	v_sub_nc_u32_e32 v54, v47, v77
	v_mov_b32_e32 v55, 0
	s_delay_alu instid0(VALU_DEP_1) | instskip(NEXT) | instid1(VALU_DEP_1)
	v_lshlrev_b64 v[54:55], 3, v[54:55]
	v_add_co_u32 v54, vcc_lo, v51, v54
	s_delay_alu instid0(VALU_DEP_2)
	v_add_co_ci_u32_e32 v55, vcc_lo, v52, v55, vcc_lo
	global_store_b64 v[54:55], v[17:18], off
	s_or_b32 exec_lo, exec_lo, s19
	s_and_saveexec_b32 s19, s14
	s_cbranch_execz .LBB293_291
.LBB293_358:
	v_sub_nc_u32_e32 v54, v46, v77
	v_mov_b32_e32 v55, 0
	s_delay_alu instid0(VALU_DEP_1) | instskip(NEXT) | instid1(VALU_DEP_1)
	v_lshlrev_b64 v[54:55], 3, v[54:55]
	v_add_co_u32 v54, vcc_lo, v51, v54
	s_delay_alu instid0(VALU_DEP_2)
	v_add_co_ci_u32_e32 v55, vcc_lo, v52, v55, vcc_lo
	global_store_b64 v[54:55], v[19:20], off
	s_or_b32 exec_lo, exec_lo, s19
	s_and_saveexec_b32 s19, s11
	s_cbranch_execz .LBB293_292
.LBB293_359:
	v_sub_nc_u32_e32 v54, v45, v77
	v_mov_b32_e32 v55, 0
	s_delay_alu instid0(VALU_DEP_1) | instskip(NEXT) | instid1(VALU_DEP_1)
	v_lshlrev_b64 v[54:55], 3, v[54:55]
	v_add_co_u32 v54, vcc_lo, v51, v54
	s_delay_alu instid0(VALU_DEP_2)
	v_add_co_ci_u32_e32 v55, vcc_lo, v52, v55, vcc_lo
	global_store_b64 v[54:55], v[13:14], off
	s_or_b32 exec_lo, exec_lo, s19
	s_and_saveexec_b32 s19, s8
	s_cbranch_execz .LBB293_293
.LBB293_360:
	v_sub_nc_u32_e32 v54, v44, v77
	v_mov_b32_e32 v55, 0
	s_delay_alu instid0(VALU_DEP_1) | instskip(NEXT) | instid1(VALU_DEP_1)
	v_lshlrev_b64 v[54:55], 3, v[54:55]
	v_add_co_u32 v54, vcc_lo, v51, v54
	s_delay_alu instid0(VALU_DEP_2)
	v_add_co_ci_u32_e32 v55, vcc_lo, v52, v55, vcc_lo
	global_store_b64 v[54:55], v[15:16], off
	s_or_b32 exec_lo, exec_lo, s19
	s_and_saveexec_b32 s19, s7
	s_cbranch_execz .LBB293_294
.LBB293_361:
	v_sub_nc_u32_e32 v54, v43, v77
	v_mov_b32_e32 v55, 0
	s_delay_alu instid0(VALU_DEP_1) | instskip(NEXT) | instid1(VALU_DEP_1)
	v_lshlrev_b64 v[54:55], 3, v[54:55]
	v_add_co_u32 v54, vcc_lo, v51, v54
	s_delay_alu instid0(VALU_DEP_2)
	v_add_co_ci_u32_e32 v55, vcc_lo, v52, v55, vcc_lo
	global_store_b64 v[54:55], v[9:10], off
	s_or_b32 exec_lo, exec_lo, s19
	s_and_saveexec_b32 s19, s6
	s_cbranch_execz .LBB293_295
.LBB293_362:
	v_sub_nc_u32_e32 v54, v42, v77
	v_mov_b32_e32 v55, 0
	s_delay_alu instid0(VALU_DEP_1) | instskip(NEXT) | instid1(VALU_DEP_1)
	v_lshlrev_b64 v[54:55], 3, v[54:55]
	v_add_co_u32 v54, vcc_lo, v51, v54
	s_delay_alu instid0(VALU_DEP_2)
	v_add_co_ci_u32_e32 v55, vcc_lo, v52, v55, vcc_lo
	global_store_b64 v[54:55], v[11:12], off
	s_or_b32 exec_lo, exec_lo, s19
	s_and_saveexec_b32 s19, s5
	s_cbranch_execz .LBB293_296
.LBB293_363:
	v_sub_nc_u32_e32 v54, v41, v77
	v_mov_b32_e32 v55, 0
	s_delay_alu instid0(VALU_DEP_1) | instskip(NEXT) | instid1(VALU_DEP_1)
	v_lshlrev_b64 v[54:55], 3, v[54:55]
	v_add_co_u32 v54, vcc_lo, v51, v54
	s_delay_alu instid0(VALU_DEP_2)
	v_add_co_ci_u32_e32 v55, vcc_lo, v52, v55, vcc_lo
	global_store_b64 v[54:55], v[5:6], off
	s_or_b32 exec_lo, exec_lo, s19
	s_and_saveexec_b32 s19, s4
	s_cbranch_execz .LBB293_297
.LBB293_364:
	v_sub_nc_u32_e32 v54, v40, v77
	v_mov_b32_e32 v55, 0
	s_delay_alu instid0(VALU_DEP_1) | instskip(NEXT) | instid1(VALU_DEP_1)
	v_lshlrev_b64 v[54:55], 3, v[54:55]
	v_add_co_u32 v54, vcc_lo, v51, v54
	s_delay_alu instid0(VALU_DEP_2)
	v_add_co_ci_u32_e32 v55, vcc_lo, v52, v55, vcc_lo
	global_store_b64 v[54:55], v[7:8], off
	s_or_b32 exec_lo, exec_lo, s19
	s_and_saveexec_b32 s19, s3
	s_cbranch_execz .LBB293_298
.LBB293_365:
	v_sub_nc_u32_e32 v54, v39, v77
	v_mov_b32_e32 v55, 0
	s_delay_alu instid0(VALU_DEP_1) | instskip(NEXT) | instid1(VALU_DEP_1)
	v_lshlrev_b64 v[54:55], 3, v[54:55]
	v_add_co_u32 v54, vcc_lo, v51, v54
	s_delay_alu instid0(VALU_DEP_2)
	v_add_co_ci_u32_e32 v55, vcc_lo, v52, v55, vcc_lo
	global_store_b64 v[54:55], v[1:2], off
	s_or_b32 exec_lo, exec_lo, s19
	s_and_saveexec_b32 s19, s1
	s_cbranch_execnz .LBB293_299
	s_branch .LBB293_300
.LBB293_366:
	v_sub_nc_u32_e32 v53, v113, v77
	s_delay_alu instid0(VALU_DEP_1)
	v_lshlrev_b32_e32 v53, 3, v53
	ds_store_b64 v53, v[25:26]
	s_or_b32 exec_lo, exec_lo, s19
	s_and_saveexec_b32 s13, s12
	s_cbranch_execz .LBB293_304
.LBB293_367:
	v_sub_nc_u32_e32 v25, v48, v77
	s_delay_alu instid0(VALU_DEP_1)
	v_lshlrev_b32_e32 v25, 3, v25
	ds_store_b64 v25, v[27:28]
	s_or_b32 exec_lo, exec_lo, s13
	s_and_saveexec_b32 s12, s10
	s_cbranch_execz .LBB293_305
.LBB293_368:
	v_sub_nc_u32_e32 v25, v50, v77
	s_delay_alu instid0(VALU_DEP_1)
	v_lshlrev_b32_e32 v25, 3, v25
	ds_store_b64 v25, v[21:22]
	s_or_b32 exec_lo, exec_lo, s12
	s_and_saveexec_b32 s10, s9
	s_cbranch_execz .LBB293_306
.LBB293_369:
	v_sub_nc_u32_e32 v21, v49, v77
	s_delay_alu instid0(VALU_DEP_1)
	v_lshlrev_b32_e32 v21, 3, v21
	ds_store_b64 v21, v[23:24]
	s_or_b32 exec_lo, exec_lo, s10
	s_and_saveexec_b32 s9, s15
	s_cbranch_execz .LBB293_307
.LBB293_370:
	v_sub_nc_u32_e32 v21, v47, v77
	s_delay_alu instid0(VALU_DEP_1)
	v_lshlrev_b32_e32 v21, 3, v21
	ds_store_b64 v21, v[17:18]
	s_or_b32 exec_lo, exec_lo, s9
	s_and_saveexec_b32 s9, s14
	s_cbranch_execz .LBB293_308
.LBB293_371:
	v_sub_nc_u32_e32 v17, v46, v77
	s_delay_alu instid0(VALU_DEP_1)
	v_lshlrev_b32_e32 v17, 3, v17
	ds_store_b64 v17, v[19:20]
	s_or_b32 exec_lo, exec_lo, s9
	s_and_saveexec_b32 s9, s11
	s_cbranch_execz .LBB293_309
.LBB293_372:
	v_sub_nc_u32_e32 v17, v45, v77
	s_delay_alu instid0(VALU_DEP_1)
	v_lshlrev_b32_e32 v17, 3, v17
	ds_store_b64 v17, v[13:14]
	s_or_b32 exec_lo, exec_lo, s9
	s_and_saveexec_b32 s9, s8
	s_cbranch_execz .LBB293_310
.LBB293_373:
	v_sub_nc_u32_e32 v13, v44, v77
	s_delay_alu instid0(VALU_DEP_1)
	v_lshlrev_b32_e32 v13, 3, v13
	ds_store_b64 v13, v[15:16]
	s_or_b32 exec_lo, exec_lo, s9
	s_and_saveexec_b32 s8, s7
	s_cbranch_execz .LBB293_311
.LBB293_374:
	v_sub_nc_u32_e32 v13, v43, v77
	s_delay_alu instid0(VALU_DEP_1)
	v_lshlrev_b32_e32 v13, 3, v13
	ds_store_b64 v13, v[9:10]
	s_or_b32 exec_lo, exec_lo, s8
	s_and_saveexec_b32 s7, s6
	s_cbranch_execz .LBB293_312
.LBB293_375:
	v_sub_nc_u32_e32 v9, v42, v77
	s_delay_alu instid0(VALU_DEP_1)
	v_lshlrev_b32_e32 v9, 3, v9
	ds_store_b64 v9, v[11:12]
	s_or_b32 exec_lo, exec_lo, s7
	s_and_saveexec_b32 s6, s5
	s_cbranch_execz .LBB293_313
.LBB293_376:
	v_sub_nc_u32_e32 v9, v41, v77
	s_delay_alu instid0(VALU_DEP_1)
	v_lshlrev_b32_e32 v9, 3, v9
	ds_store_b64 v9, v[5:6]
	s_or_b32 exec_lo, exec_lo, s6
	s_and_saveexec_b32 s5, s4
	s_cbranch_execz .LBB293_314
.LBB293_377:
	v_sub_nc_u32_e32 v5, v40, v77
	s_delay_alu instid0(VALU_DEP_1)
	v_lshlrev_b32_e32 v5, 3, v5
	ds_store_b64 v5, v[7:8]
	s_or_b32 exec_lo, exec_lo, s5
	s_and_saveexec_b32 s4, s3
	s_cbranch_execz .LBB293_315
.LBB293_378:
	v_sub_nc_u32_e32 v5, v39, v77
	s_delay_alu instid0(VALU_DEP_1)
	v_lshlrev_b32_e32 v5, 3, v5
	ds_store_b64 v5, v[1:2]
	s_or_b32 exec_lo, exec_lo, s4
	s_and_saveexec_b32 s3, s1
	s_cbranch_execnz .LBB293_316
	s_branch .LBB293_317
.LBB293_379:
	v_sub_nc_u32_e32 v10, v113, v8
	v_mov_b32_e32 v11, 0
	s_delay_alu instid0(VALU_DEP_1) | instskip(NEXT) | instid1(VALU_DEP_1)
	v_lshlrev_b64 v[10:11], 3, v[10:11]
	v_add_co_u32 v10, vcc_lo, v6, v10
	s_delay_alu instid0(VALU_DEP_2)
	v_add_co_ci_u32_e32 v11, vcc_lo, v7, v11, vcc_lo
	global_store_b64 v[10:11], v[91:92], off
	s_or_b32 exec_lo, exec_lo, s18
	s_and_saveexec_b32 s18, s13
	s_cbranch_execz .LBB293_321
.LBB293_380:
	v_sub_nc_u32_e32 v10, v48, v8
	v_mov_b32_e32 v11, 0
	s_delay_alu instid0(VALU_DEP_1) | instskip(NEXT) | instid1(VALU_DEP_1)
	v_lshlrev_b64 v[10:11], 3, v[10:11]
	v_add_co_u32 v10, vcc_lo, v6, v10
	s_delay_alu instid0(VALU_DEP_2)
	v_add_co_ci_u32_e32 v11, vcc_lo, v7, v11, vcc_lo
	global_store_b64 v[10:11], v[87:88], off
	s_or_b32 exec_lo, exec_lo, s18
	s_and_saveexec_b32 s18, s12
	s_cbranch_execz .LBB293_322
.LBB293_381:
	v_sub_nc_u32_e32 v10, v50, v8
	v_mov_b32_e32 v11, 0
	s_delay_alu instid0(VALU_DEP_1) | instskip(NEXT) | instid1(VALU_DEP_1)
	v_lshlrev_b64 v[10:11], 3, v[10:11]
	v_add_co_u32 v10, vcc_lo, v6, v10
	s_delay_alu instid0(VALU_DEP_2)
	v_add_co_ci_u32_e32 v11, vcc_lo, v7, v11, vcc_lo
	global_store_b64 v[10:11], v[93:94], off
	s_or_b32 exec_lo, exec_lo, s18
	s_and_saveexec_b32 s18, s11
	s_cbranch_execz .LBB293_323
.LBB293_382:
	v_sub_nc_u32_e32 v10, v49, v8
	v_mov_b32_e32 v11, 0
	s_delay_alu instid0(VALU_DEP_1) | instskip(NEXT) | instid1(VALU_DEP_1)
	v_lshlrev_b64 v[10:11], 3, v[10:11]
	v_add_co_u32 v10, vcc_lo, v6, v10
	s_delay_alu instid0(VALU_DEP_2)
	v_add_co_ci_u32_e32 v11, vcc_lo, v7, v11, vcc_lo
	global_store_b64 v[10:11], v[97:98], off
	s_or_b32 exec_lo, exec_lo, s18
	s_and_saveexec_b32 s18, s10
	s_cbranch_execz .LBB293_324
.LBB293_383:
	v_sub_nc_u32_e32 v10, v47, v8
	v_mov_b32_e32 v11, 0
	s_delay_alu instid0(VALU_DEP_1) | instskip(NEXT) | instid1(VALU_DEP_1)
	v_lshlrev_b64 v[10:11], 3, v[10:11]
	v_add_co_u32 v10, vcc_lo, v6, v10
	s_delay_alu instid0(VALU_DEP_2)
	v_add_co_ci_u32_e32 v11, vcc_lo, v7, v11, vcc_lo
	global_store_b64 v[10:11], v[79:80], off
	s_or_b32 exec_lo, exec_lo, s18
	s_and_saveexec_b32 s18, s9
	s_cbranch_execz .LBB293_325
.LBB293_384:
	v_sub_nc_u32_e32 v10, v46, v8
	v_mov_b32_e32 v11, 0
	s_delay_alu instid0(VALU_DEP_1) | instskip(NEXT) | instid1(VALU_DEP_1)
	v_lshlrev_b64 v[10:11], 3, v[10:11]
	v_add_co_u32 v10, vcc_lo, v6, v10
	s_delay_alu instid0(VALU_DEP_2)
	v_add_co_ci_u32_e32 v11, vcc_lo, v7, v11, vcc_lo
	global_store_b64 v[10:11], v[83:84], off
	s_or_b32 exec_lo, exec_lo, s18
	s_and_saveexec_b32 s18, s8
	s_cbranch_execz .LBB293_326
.LBB293_385:
	v_sub_nc_u32_e32 v10, v45, v8
	v_mov_b32_e32 v11, 0
	s_delay_alu instid0(VALU_DEP_1) | instskip(NEXT) | instid1(VALU_DEP_1)
	v_lshlrev_b64 v[10:11], 3, v[10:11]
	v_add_co_u32 v10, vcc_lo, v6, v10
	s_delay_alu instid0(VALU_DEP_2)
	v_add_co_ci_u32_e32 v11, vcc_lo, v7, v11, vcc_lo
	global_store_b64 v[10:11], v[89:90], off
	s_or_b32 exec_lo, exec_lo, s18
	s_and_saveexec_b32 s18, s7
	s_cbranch_execz .LBB293_327
.LBB293_386:
	v_sub_nc_u32_e32 v10, v44, v8
	v_mov_b32_e32 v11, 0
	s_delay_alu instid0(VALU_DEP_1) | instskip(NEXT) | instid1(VALU_DEP_1)
	v_lshlrev_b64 v[10:11], 3, v[10:11]
	v_add_co_u32 v10, vcc_lo, v6, v10
	s_delay_alu instid0(VALU_DEP_2)
	v_add_co_ci_u32_e32 v11, vcc_lo, v7, v11, vcc_lo
	global_store_b64 v[10:11], v[95:96], off
	s_or_b32 exec_lo, exec_lo, s18
	s_and_saveexec_b32 s18, s6
	s_cbranch_execz .LBB293_328
.LBB293_387:
	v_sub_nc_u32_e32 v10, v43, v8
	v_mov_b32_e32 v11, 0
	s_delay_alu instid0(VALU_DEP_1) | instskip(NEXT) | instid1(VALU_DEP_1)
	v_lshlrev_b64 v[10:11], 3, v[10:11]
	v_add_co_u32 v10, vcc_lo, v6, v10
	s_delay_alu instid0(VALU_DEP_2)
	v_add_co_ci_u32_e32 v11, vcc_lo, v7, v11, vcc_lo
	global_store_b64 v[10:11], v[99:100], off
	s_or_b32 exec_lo, exec_lo, s18
	s_and_saveexec_b32 s18, s5
	s_cbranch_execz .LBB293_329
.LBB293_388:
	v_sub_nc_u32_e32 v10, v42, v8
	v_mov_b32_e32 v11, 0
	s_delay_alu instid0(VALU_DEP_1) | instskip(NEXT) | instid1(VALU_DEP_1)
	v_lshlrev_b64 v[10:11], 3, v[10:11]
	v_add_co_u32 v10, vcc_lo, v6, v10
	s_delay_alu instid0(VALU_DEP_2)
	v_add_co_ci_u32_e32 v11, vcc_lo, v7, v11, vcc_lo
	global_store_b64 v[10:11], v[81:82], off
	s_or_b32 exec_lo, exec_lo, s18
	s_and_saveexec_b32 s18, s4
	s_cbranch_execz .LBB293_330
.LBB293_389:
	v_sub_nc_u32_e32 v10, v41, v8
	v_mov_b32_e32 v11, 0
	s_delay_alu instid0(VALU_DEP_1) | instskip(NEXT) | instid1(VALU_DEP_1)
	v_lshlrev_b64 v[10:11], 3, v[10:11]
	v_add_co_u32 v10, vcc_lo, v6, v10
	s_delay_alu instid0(VALU_DEP_2)
	v_add_co_ci_u32_e32 v11, vcc_lo, v7, v11, vcc_lo
	global_store_b64 v[10:11], v[85:86], off
	s_or_b32 exec_lo, exec_lo, s18
	s_and_saveexec_b32 s18, s3
	s_cbranch_execz .LBB293_331
.LBB293_390:
	v_sub_nc_u32_e32 v10, v40, v8
	v_mov_b32_e32 v11, 0
	s_delay_alu instid0(VALU_DEP_1) | instskip(NEXT) | instid1(VALU_DEP_1)
	v_lshlrev_b64 v[10:11], 3, v[10:11]
	v_add_co_u32 v10, vcc_lo, v6, v10
	s_delay_alu instid0(VALU_DEP_2)
	v_add_co_ci_u32_e32 v11, vcc_lo, v7, v11, vcc_lo
	global_store_b64 v[10:11], v[101:102], off
	s_or_b32 exec_lo, exec_lo, s18
	s_and_saveexec_b32 s18, s2
	s_cbranch_execz .LBB293_332
.LBB293_391:
	v_sub_nc_u32_e32 v10, v39, v8
	v_mov_b32_e32 v11, 0
	s_delay_alu instid0(VALU_DEP_1) | instskip(NEXT) | instid1(VALU_DEP_1)
	v_lshlrev_b64 v[10:11], 3, v[10:11]
	v_add_co_u32 v10, vcc_lo, v6, v10
	s_delay_alu instid0(VALU_DEP_2)
	v_add_co_ci_u32_e32 v11, vcc_lo, v7, v11, vcc_lo
	global_store_b64 v[10:11], v[103:104], off
	s_or_b32 exec_lo, exec_lo, s18
	s_and_saveexec_b32 s18, s1
	s_cbranch_execnz .LBB293_333
	s_branch .LBB293_334
.LBB293_392:
	v_sub_nc_u32_e32 v9, v113, v8
	s_delay_alu instid0(VALU_DEP_1)
	v_lshlrev_b32_e32 v9, 3, v9
	ds_store_b64 v9, v[91:92]
	s_or_b32 exec_lo, exec_lo, s18
	s_and_saveexec_b32 s14, s13
	s_cbranch_execz .LBB293_338
.LBB293_393:
	v_sub_nc_u32_e32 v9, v48, v8
	s_delay_alu instid0(VALU_DEP_1)
	v_lshlrev_b32_e32 v9, 3, v9
	ds_store_b64 v9, v[87:88]
	s_or_b32 exec_lo, exec_lo, s14
	s_and_saveexec_b32 s13, s12
	s_cbranch_execz .LBB293_339
.LBB293_394:
	v_sub_nc_u32_e32 v9, v50, v8
	s_delay_alu instid0(VALU_DEP_1)
	v_lshlrev_b32_e32 v9, 3, v9
	ds_store_b64 v9, v[93:94]
	s_or_b32 exec_lo, exec_lo, s13
	s_and_saveexec_b32 s12, s11
	s_cbranch_execz .LBB293_340
.LBB293_395:
	v_sub_nc_u32_e32 v9, v49, v8
	s_delay_alu instid0(VALU_DEP_1)
	v_lshlrev_b32_e32 v9, 3, v9
	ds_store_b64 v9, v[97:98]
	s_or_b32 exec_lo, exec_lo, s12
	s_and_saveexec_b32 s11, s10
	s_cbranch_execz .LBB293_341
.LBB293_396:
	v_sub_nc_u32_e32 v9, v47, v8
	s_delay_alu instid0(VALU_DEP_1)
	v_lshlrev_b32_e32 v9, 3, v9
	ds_store_b64 v9, v[79:80]
	s_or_b32 exec_lo, exec_lo, s11
	s_and_saveexec_b32 s10, s9
	s_cbranch_execz .LBB293_342
.LBB293_397:
	v_sub_nc_u32_e32 v9, v46, v8
	s_delay_alu instid0(VALU_DEP_1)
	v_lshlrev_b32_e32 v9, 3, v9
	ds_store_b64 v9, v[83:84]
	s_or_b32 exec_lo, exec_lo, s10
	s_and_saveexec_b32 s9, s8
	s_cbranch_execz .LBB293_343
.LBB293_398:
	v_sub_nc_u32_e32 v9, v45, v8
	s_delay_alu instid0(VALU_DEP_1)
	v_lshlrev_b32_e32 v9, 3, v9
	ds_store_b64 v9, v[89:90]
	s_or_b32 exec_lo, exec_lo, s9
	s_and_saveexec_b32 s8, s7
	s_cbranch_execz .LBB293_344
.LBB293_399:
	v_sub_nc_u32_e32 v9, v44, v8
	s_delay_alu instid0(VALU_DEP_1)
	v_lshlrev_b32_e32 v9, 3, v9
	ds_store_b64 v9, v[95:96]
	s_or_b32 exec_lo, exec_lo, s8
	s_and_saveexec_b32 s7, s6
	s_cbranch_execz .LBB293_345
.LBB293_400:
	v_sub_nc_u32_e32 v9, v43, v8
	s_delay_alu instid0(VALU_DEP_1)
	v_lshlrev_b32_e32 v9, 3, v9
	ds_store_b64 v9, v[99:100]
	s_or_b32 exec_lo, exec_lo, s7
	s_and_saveexec_b32 s6, s5
	s_cbranch_execz .LBB293_346
.LBB293_401:
	v_sub_nc_u32_e32 v9, v42, v8
	s_delay_alu instid0(VALU_DEP_1)
	v_lshlrev_b32_e32 v9, 3, v9
	ds_store_b64 v9, v[81:82]
	s_or_b32 exec_lo, exec_lo, s6
	s_and_saveexec_b32 s5, s4
	s_cbranch_execz .LBB293_347
.LBB293_402:
	v_sub_nc_u32_e32 v9, v41, v8
	s_delay_alu instid0(VALU_DEP_1)
	v_lshlrev_b32_e32 v9, 3, v9
	ds_store_b64 v9, v[85:86]
	s_or_b32 exec_lo, exec_lo, s5
	s_and_saveexec_b32 s4, s3
	s_cbranch_execz .LBB293_348
.LBB293_403:
	v_sub_nc_u32_e32 v9, v40, v8
	s_delay_alu instid0(VALU_DEP_1)
	v_lshlrev_b32_e32 v9, 3, v9
	ds_store_b64 v9, v[101:102]
	s_or_b32 exec_lo, exec_lo, s4
	s_and_saveexec_b32 s3, s2
	s_cbranch_execz .LBB293_349
.LBB293_404:
	v_sub_nc_u32_e32 v9, v39, v8
	s_delay_alu instid0(VALU_DEP_1)
	v_lshlrev_b32_e32 v9, 3, v9
	ds_store_b64 v9, v[103:104]
	s_or_b32 exec_lo, exec_lo, s3
	s_and_saveexec_b32 s2, s1
	s_cbranch_execnz .LBB293_350
	s_branch .LBB293_351
	.section	.rodata,"a",@progbits
	.p2align	6, 0x0
	.amdhsa_kernel _ZN7rocprim17ROCPRIM_400000_NS6detail17trampoline_kernelINS0_14default_configENS1_29reduce_by_key_config_selectorIyyN6thrust23THRUST_200600_302600_NS4plusIyEEEEZZNS1_33reduce_by_key_impl_wrapped_configILNS1_25lookback_scan_determinismE0ES3_S9_NS6_6detail15normal_iteratorINS6_10device_ptrIyEEEESG_SG_SG_PmS8_22is_equal_div_10_reduceIyEEE10hipError_tPvRmT2_T3_mT4_T5_T6_T7_T8_P12ihipStream_tbENKUlT_T0_E_clISt17integral_constantIbLb1EES11_EEDaSW_SX_EUlSW_E_NS1_11comp_targetILNS1_3genE9ELNS1_11target_archE1100ELNS1_3gpuE3ELNS1_3repE0EEENS1_30default_config_static_selectorELNS0_4arch9wavefront6targetE0EEEvT1_
		.amdhsa_group_segment_fixed_size 30720
		.amdhsa_private_segment_fixed_size 0
		.amdhsa_kernarg_size 136
		.amdhsa_user_sgpr_count 15
		.amdhsa_user_sgpr_dispatch_ptr 0
		.amdhsa_user_sgpr_queue_ptr 0
		.amdhsa_user_sgpr_kernarg_segment_ptr 1
		.amdhsa_user_sgpr_dispatch_id 0
		.amdhsa_user_sgpr_private_segment_size 0
		.amdhsa_wavefront_size32 1
		.amdhsa_uses_dynamic_stack 0
		.amdhsa_enable_private_segment 0
		.amdhsa_system_sgpr_workgroup_id_x 1
		.amdhsa_system_sgpr_workgroup_id_y 0
		.amdhsa_system_sgpr_workgroup_id_z 0
		.amdhsa_system_sgpr_workgroup_info 0
		.amdhsa_system_vgpr_workitem_id 0
		.amdhsa_next_free_vgpr 120
		.amdhsa_next_free_sgpr 52
		.amdhsa_reserve_vcc 1
		.amdhsa_float_round_mode_32 0
		.amdhsa_float_round_mode_16_64 0
		.amdhsa_float_denorm_mode_32 3
		.amdhsa_float_denorm_mode_16_64 3
		.amdhsa_dx10_clamp 1
		.amdhsa_ieee_mode 1
		.amdhsa_fp16_overflow 0
		.amdhsa_workgroup_processor_mode 1
		.amdhsa_memory_ordered 1
		.amdhsa_forward_progress 0
		.amdhsa_shared_vgpr_count 0
		.amdhsa_exception_fp_ieee_invalid_op 0
		.amdhsa_exception_fp_denorm_src 0
		.amdhsa_exception_fp_ieee_div_zero 0
		.amdhsa_exception_fp_ieee_overflow 0
		.amdhsa_exception_fp_ieee_underflow 0
		.amdhsa_exception_fp_ieee_inexact 0
		.amdhsa_exception_int_div_zero 0
	.end_amdhsa_kernel
	.section	.text._ZN7rocprim17ROCPRIM_400000_NS6detail17trampoline_kernelINS0_14default_configENS1_29reduce_by_key_config_selectorIyyN6thrust23THRUST_200600_302600_NS4plusIyEEEEZZNS1_33reduce_by_key_impl_wrapped_configILNS1_25lookback_scan_determinismE0ES3_S9_NS6_6detail15normal_iteratorINS6_10device_ptrIyEEEESG_SG_SG_PmS8_22is_equal_div_10_reduceIyEEE10hipError_tPvRmT2_T3_mT4_T5_T6_T7_T8_P12ihipStream_tbENKUlT_T0_E_clISt17integral_constantIbLb1EES11_EEDaSW_SX_EUlSW_E_NS1_11comp_targetILNS1_3genE9ELNS1_11target_archE1100ELNS1_3gpuE3ELNS1_3repE0EEENS1_30default_config_static_selectorELNS0_4arch9wavefront6targetE0EEEvT1_,"axG",@progbits,_ZN7rocprim17ROCPRIM_400000_NS6detail17trampoline_kernelINS0_14default_configENS1_29reduce_by_key_config_selectorIyyN6thrust23THRUST_200600_302600_NS4plusIyEEEEZZNS1_33reduce_by_key_impl_wrapped_configILNS1_25lookback_scan_determinismE0ES3_S9_NS6_6detail15normal_iteratorINS6_10device_ptrIyEEEESG_SG_SG_PmS8_22is_equal_div_10_reduceIyEEE10hipError_tPvRmT2_T3_mT4_T5_T6_T7_T8_P12ihipStream_tbENKUlT_T0_E_clISt17integral_constantIbLb1EES11_EEDaSW_SX_EUlSW_E_NS1_11comp_targetILNS1_3genE9ELNS1_11target_archE1100ELNS1_3gpuE3ELNS1_3repE0EEENS1_30default_config_static_selectorELNS0_4arch9wavefront6targetE0EEEvT1_,comdat
.Lfunc_end293:
	.size	_ZN7rocprim17ROCPRIM_400000_NS6detail17trampoline_kernelINS0_14default_configENS1_29reduce_by_key_config_selectorIyyN6thrust23THRUST_200600_302600_NS4plusIyEEEEZZNS1_33reduce_by_key_impl_wrapped_configILNS1_25lookback_scan_determinismE0ES3_S9_NS6_6detail15normal_iteratorINS6_10device_ptrIyEEEESG_SG_SG_PmS8_22is_equal_div_10_reduceIyEEE10hipError_tPvRmT2_T3_mT4_T5_T6_T7_T8_P12ihipStream_tbENKUlT_T0_E_clISt17integral_constantIbLb1EES11_EEDaSW_SX_EUlSW_E_NS1_11comp_targetILNS1_3genE9ELNS1_11target_archE1100ELNS1_3gpuE3ELNS1_3repE0EEENS1_30default_config_static_selectorELNS0_4arch9wavefront6targetE0EEEvT1_, .Lfunc_end293-_ZN7rocprim17ROCPRIM_400000_NS6detail17trampoline_kernelINS0_14default_configENS1_29reduce_by_key_config_selectorIyyN6thrust23THRUST_200600_302600_NS4plusIyEEEEZZNS1_33reduce_by_key_impl_wrapped_configILNS1_25lookback_scan_determinismE0ES3_S9_NS6_6detail15normal_iteratorINS6_10device_ptrIyEEEESG_SG_SG_PmS8_22is_equal_div_10_reduceIyEEE10hipError_tPvRmT2_T3_mT4_T5_T6_T7_T8_P12ihipStream_tbENKUlT_T0_E_clISt17integral_constantIbLb1EES11_EEDaSW_SX_EUlSW_E_NS1_11comp_targetILNS1_3genE9ELNS1_11target_archE1100ELNS1_3gpuE3ELNS1_3repE0EEENS1_30default_config_static_selectorELNS0_4arch9wavefront6targetE0EEEvT1_
                                        ; -- End function
	.section	.AMDGPU.csdata,"",@progbits
; Kernel info:
; codeLenInByte = 21972
; NumSgprs: 54
; NumVgprs: 120
; ScratchSize: 0
; MemoryBound: 0
; FloatMode: 240
; IeeeMode: 1
; LDSByteSize: 30720 bytes/workgroup (compile time only)
; SGPRBlocks: 6
; VGPRBlocks: 14
; NumSGPRsForWavesPerEU: 54
; NumVGPRsForWavesPerEU: 120
; Occupancy: 8
; WaveLimiterHint : 1
; COMPUTE_PGM_RSRC2:SCRATCH_EN: 0
; COMPUTE_PGM_RSRC2:USER_SGPR: 15
; COMPUTE_PGM_RSRC2:TRAP_HANDLER: 0
; COMPUTE_PGM_RSRC2:TGID_X_EN: 1
; COMPUTE_PGM_RSRC2:TGID_Y_EN: 0
; COMPUTE_PGM_RSRC2:TGID_Z_EN: 0
; COMPUTE_PGM_RSRC2:TIDIG_COMP_CNT: 0
	.section	.text._ZN7rocprim17ROCPRIM_400000_NS6detail17trampoline_kernelINS0_14default_configENS1_29reduce_by_key_config_selectorIyyN6thrust23THRUST_200600_302600_NS4plusIyEEEEZZNS1_33reduce_by_key_impl_wrapped_configILNS1_25lookback_scan_determinismE0ES3_S9_NS6_6detail15normal_iteratorINS6_10device_ptrIyEEEESG_SG_SG_PmS8_22is_equal_div_10_reduceIyEEE10hipError_tPvRmT2_T3_mT4_T5_T6_T7_T8_P12ihipStream_tbENKUlT_T0_E_clISt17integral_constantIbLb1EES11_EEDaSW_SX_EUlSW_E_NS1_11comp_targetILNS1_3genE8ELNS1_11target_archE1030ELNS1_3gpuE2ELNS1_3repE0EEENS1_30default_config_static_selectorELNS0_4arch9wavefront6targetE0EEEvT1_,"axG",@progbits,_ZN7rocprim17ROCPRIM_400000_NS6detail17trampoline_kernelINS0_14default_configENS1_29reduce_by_key_config_selectorIyyN6thrust23THRUST_200600_302600_NS4plusIyEEEEZZNS1_33reduce_by_key_impl_wrapped_configILNS1_25lookback_scan_determinismE0ES3_S9_NS6_6detail15normal_iteratorINS6_10device_ptrIyEEEESG_SG_SG_PmS8_22is_equal_div_10_reduceIyEEE10hipError_tPvRmT2_T3_mT4_T5_T6_T7_T8_P12ihipStream_tbENKUlT_T0_E_clISt17integral_constantIbLb1EES11_EEDaSW_SX_EUlSW_E_NS1_11comp_targetILNS1_3genE8ELNS1_11target_archE1030ELNS1_3gpuE2ELNS1_3repE0EEENS1_30default_config_static_selectorELNS0_4arch9wavefront6targetE0EEEvT1_,comdat
	.protected	_ZN7rocprim17ROCPRIM_400000_NS6detail17trampoline_kernelINS0_14default_configENS1_29reduce_by_key_config_selectorIyyN6thrust23THRUST_200600_302600_NS4plusIyEEEEZZNS1_33reduce_by_key_impl_wrapped_configILNS1_25lookback_scan_determinismE0ES3_S9_NS6_6detail15normal_iteratorINS6_10device_ptrIyEEEESG_SG_SG_PmS8_22is_equal_div_10_reduceIyEEE10hipError_tPvRmT2_T3_mT4_T5_T6_T7_T8_P12ihipStream_tbENKUlT_T0_E_clISt17integral_constantIbLb1EES11_EEDaSW_SX_EUlSW_E_NS1_11comp_targetILNS1_3genE8ELNS1_11target_archE1030ELNS1_3gpuE2ELNS1_3repE0EEENS1_30default_config_static_selectorELNS0_4arch9wavefront6targetE0EEEvT1_ ; -- Begin function _ZN7rocprim17ROCPRIM_400000_NS6detail17trampoline_kernelINS0_14default_configENS1_29reduce_by_key_config_selectorIyyN6thrust23THRUST_200600_302600_NS4plusIyEEEEZZNS1_33reduce_by_key_impl_wrapped_configILNS1_25lookback_scan_determinismE0ES3_S9_NS6_6detail15normal_iteratorINS6_10device_ptrIyEEEESG_SG_SG_PmS8_22is_equal_div_10_reduceIyEEE10hipError_tPvRmT2_T3_mT4_T5_T6_T7_T8_P12ihipStream_tbENKUlT_T0_E_clISt17integral_constantIbLb1EES11_EEDaSW_SX_EUlSW_E_NS1_11comp_targetILNS1_3genE8ELNS1_11target_archE1030ELNS1_3gpuE2ELNS1_3repE0EEENS1_30default_config_static_selectorELNS0_4arch9wavefront6targetE0EEEvT1_
	.globl	_ZN7rocprim17ROCPRIM_400000_NS6detail17trampoline_kernelINS0_14default_configENS1_29reduce_by_key_config_selectorIyyN6thrust23THRUST_200600_302600_NS4plusIyEEEEZZNS1_33reduce_by_key_impl_wrapped_configILNS1_25lookback_scan_determinismE0ES3_S9_NS6_6detail15normal_iteratorINS6_10device_ptrIyEEEESG_SG_SG_PmS8_22is_equal_div_10_reduceIyEEE10hipError_tPvRmT2_T3_mT4_T5_T6_T7_T8_P12ihipStream_tbENKUlT_T0_E_clISt17integral_constantIbLb1EES11_EEDaSW_SX_EUlSW_E_NS1_11comp_targetILNS1_3genE8ELNS1_11target_archE1030ELNS1_3gpuE2ELNS1_3repE0EEENS1_30default_config_static_selectorELNS0_4arch9wavefront6targetE0EEEvT1_
	.p2align	8
	.type	_ZN7rocprim17ROCPRIM_400000_NS6detail17trampoline_kernelINS0_14default_configENS1_29reduce_by_key_config_selectorIyyN6thrust23THRUST_200600_302600_NS4plusIyEEEEZZNS1_33reduce_by_key_impl_wrapped_configILNS1_25lookback_scan_determinismE0ES3_S9_NS6_6detail15normal_iteratorINS6_10device_ptrIyEEEESG_SG_SG_PmS8_22is_equal_div_10_reduceIyEEE10hipError_tPvRmT2_T3_mT4_T5_T6_T7_T8_P12ihipStream_tbENKUlT_T0_E_clISt17integral_constantIbLb1EES11_EEDaSW_SX_EUlSW_E_NS1_11comp_targetILNS1_3genE8ELNS1_11target_archE1030ELNS1_3gpuE2ELNS1_3repE0EEENS1_30default_config_static_selectorELNS0_4arch9wavefront6targetE0EEEvT1_,@function
_ZN7rocprim17ROCPRIM_400000_NS6detail17trampoline_kernelINS0_14default_configENS1_29reduce_by_key_config_selectorIyyN6thrust23THRUST_200600_302600_NS4plusIyEEEEZZNS1_33reduce_by_key_impl_wrapped_configILNS1_25lookback_scan_determinismE0ES3_S9_NS6_6detail15normal_iteratorINS6_10device_ptrIyEEEESG_SG_SG_PmS8_22is_equal_div_10_reduceIyEEE10hipError_tPvRmT2_T3_mT4_T5_T6_T7_T8_P12ihipStream_tbENKUlT_T0_E_clISt17integral_constantIbLb1EES11_EEDaSW_SX_EUlSW_E_NS1_11comp_targetILNS1_3genE8ELNS1_11target_archE1030ELNS1_3gpuE2ELNS1_3repE0EEENS1_30default_config_static_selectorELNS0_4arch9wavefront6targetE0EEEvT1_: ; @_ZN7rocprim17ROCPRIM_400000_NS6detail17trampoline_kernelINS0_14default_configENS1_29reduce_by_key_config_selectorIyyN6thrust23THRUST_200600_302600_NS4plusIyEEEEZZNS1_33reduce_by_key_impl_wrapped_configILNS1_25lookback_scan_determinismE0ES3_S9_NS6_6detail15normal_iteratorINS6_10device_ptrIyEEEESG_SG_SG_PmS8_22is_equal_div_10_reduceIyEEE10hipError_tPvRmT2_T3_mT4_T5_T6_T7_T8_P12ihipStream_tbENKUlT_T0_E_clISt17integral_constantIbLb1EES11_EEDaSW_SX_EUlSW_E_NS1_11comp_targetILNS1_3genE8ELNS1_11target_archE1030ELNS1_3gpuE2ELNS1_3repE0EEENS1_30default_config_static_selectorELNS0_4arch9wavefront6targetE0EEEvT1_
; %bb.0:
	.section	.rodata,"a",@progbits
	.p2align	6, 0x0
	.amdhsa_kernel _ZN7rocprim17ROCPRIM_400000_NS6detail17trampoline_kernelINS0_14default_configENS1_29reduce_by_key_config_selectorIyyN6thrust23THRUST_200600_302600_NS4plusIyEEEEZZNS1_33reduce_by_key_impl_wrapped_configILNS1_25lookback_scan_determinismE0ES3_S9_NS6_6detail15normal_iteratorINS6_10device_ptrIyEEEESG_SG_SG_PmS8_22is_equal_div_10_reduceIyEEE10hipError_tPvRmT2_T3_mT4_T5_T6_T7_T8_P12ihipStream_tbENKUlT_T0_E_clISt17integral_constantIbLb1EES11_EEDaSW_SX_EUlSW_E_NS1_11comp_targetILNS1_3genE8ELNS1_11target_archE1030ELNS1_3gpuE2ELNS1_3repE0EEENS1_30default_config_static_selectorELNS0_4arch9wavefront6targetE0EEEvT1_
		.amdhsa_group_segment_fixed_size 0
		.amdhsa_private_segment_fixed_size 0
		.amdhsa_kernarg_size 136
		.amdhsa_user_sgpr_count 15
		.amdhsa_user_sgpr_dispatch_ptr 0
		.amdhsa_user_sgpr_queue_ptr 0
		.amdhsa_user_sgpr_kernarg_segment_ptr 1
		.amdhsa_user_sgpr_dispatch_id 0
		.amdhsa_user_sgpr_private_segment_size 0
		.amdhsa_wavefront_size32 1
		.amdhsa_uses_dynamic_stack 0
		.amdhsa_enable_private_segment 0
		.amdhsa_system_sgpr_workgroup_id_x 1
		.amdhsa_system_sgpr_workgroup_id_y 0
		.amdhsa_system_sgpr_workgroup_id_z 0
		.amdhsa_system_sgpr_workgroup_info 0
		.amdhsa_system_vgpr_workitem_id 0
		.amdhsa_next_free_vgpr 1
		.amdhsa_next_free_sgpr 1
		.amdhsa_reserve_vcc 0
		.amdhsa_float_round_mode_32 0
		.amdhsa_float_round_mode_16_64 0
		.amdhsa_float_denorm_mode_32 3
		.amdhsa_float_denorm_mode_16_64 3
		.amdhsa_dx10_clamp 1
		.amdhsa_ieee_mode 1
		.amdhsa_fp16_overflow 0
		.amdhsa_workgroup_processor_mode 1
		.amdhsa_memory_ordered 1
		.amdhsa_forward_progress 0
		.amdhsa_shared_vgpr_count 0
		.amdhsa_exception_fp_ieee_invalid_op 0
		.amdhsa_exception_fp_denorm_src 0
		.amdhsa_exception_fp_ieee_div_zero 0
		.amdhsa_exception_fp_ieee_overflow 0
		.amdhsa_exception_fp_ieee_underflow 0
		.amdhsa_exception_fp_ieee_inexact 0
		.amdhsa_exception_int_div_zero 0
	.end_amdhsa_kernel
	.section	.text._ZN7rocprim17ROCPRIM_400000_NS6detail17trampoline_kernelINS0_14default_configENS1_29reduce_by_key_config_selectorIyyN6thrust23THRUST_200600_302600_NS4plusIyEEEEZZNS1_33reduce_by_key_impl_wrapped_configILNS1_25lookback_scan_determinismE0ES3_S9_NS6_6detail15normal_iteratorINS6_10device_ptrIyEEEESG_SG_SG_PmS8_22is_equal_div_10_reduceIyEEE10hipError_tPvRmT2_T3_mT4_T5_T6_T7_T8_P12ihipStream_tbENKUlT_T0_E_clISt17integral_constantIbLb1EES11_EEDaSW_SX_EUlSW_E_NS1_11comp_targetILNS1_3genE8ELNS1_11target_archE1030ELNS1_3gpuE2ELNS1_3repE0EEENS1_30default_config_static_selectorELNS0_4arch9wavefront6targetE0EEEvT1_,"axG",@progbits,_ZN7rocprim17ROCPRIM_400000_NS6detail17trampoline_kernelINS0_14default_configENS1_29reduce_by_key_config_selectorIyyN6thrust23THRUST_200600_302600_NS4plusIyEEEEZZNS1_33reduce_by_key_impl_wrapped_configILNS1_25lookback_scan_determinismE0ES3_S9_NS6_6detail15normal_iteratorINS6_10device_ptrIyEEEESG_SG_SG_PmS8_22is_equal_div_10_reduceIyEEE10hipError_tPvRmT2_T3_mT4_T5_T6_T7_T8_P12ihipStream_tbENKUlT_T0_E_clISt17integral_constantIbLb1EES11_EEDaSW_SX_EUlSW_E_NS1_11comp_targetILNS1_3genE8ELNS1_11target_archE1030ELNS1_3gpuE2ELNS1_3repE0EEENS1_30default_config_static_selectorELNS0_4arch9wavefront6targetE0EEEvT1_,comdat
.Lfunc_end294:
	.size	_ZN7rocprim17ROCPRIM_400000_NS6detail17trampoline_kernelINS0_14default_configENS1_29reduce_by_key_config_selectorIyyN6thrust23THRUST_200600_302600_NS4plusIyEEEEZZNS1_33reduce_by_key_impl_wrapped_configILNS1_25lookback_scan_determinismE0ES3_S9_NS6_6detail15normal_iteratorINS6_10device_ptrIyEEEESG_SG_SG_PmS8_22is_equal_div_10_reduceIyEEE10hipError_tPvRmT2_T3_mT4_T5_T6_T7_T8_P12ihipStream_tbENKUlT_T0_E_clISt17integral_constantIbLb1EES11_EEDaSW_SX_EUlSW_E_NS1_11comp_targetILNS1_3genE8ELNS1_11target_archE1030ELNS1_3gpuE2ELNS1_3repE0EEENS1_30default_config_static_selectorELNS0_4arch9wavefront6targetE0EEEvT1_, .Lfunc_end294-_ZN7rocprim17ROCPRIM_400000_NS6detail17trampoline_kernelINS0_14default_configENS1_29reduce_by_key_config_selectorIyyN6thrust23THRUST_200600_302600_NS4plusIyEEEEZZNS1_33reduce_by_key_impl_wrapped_configILNS1_25lookback_scan_determinismE0ES3_S9_NS6_6detail15normal_iteratorINS6_10device_ptrIyEEEESG_SG_SG_PmS8_22is_equal_div_10_reduceIyEEE10hipError_tPvRmT2_T3_mT4_T5_T6_T7_T8_P12ihipStream_tbENKUlT_T0_E_clISt17integral_constantIbLb1EES11_EEDaSW_SX_EUlSW_E_NS1_11comp_targetILNS1_3genE8ELNS1_11target_archE1030ELNS1_3gpuE2ELNS1_3repE0EEENS1_30default_config_static_selectorELNS0_4arch9wavefront6targetE0EEEvT1_
                                        ; -- End function
	.section	.AMDGPU.csdata,"",@progbits
; Kernel info:
; codeLenInByte = 0
; NumSgprs: 0
; NumVgprs: 0
; ScratchSize: 0
; MemoryBound: 0
; FloatMode: 240
; IeeeMode: 1
; LDSByteSize: 0 bytes/workgroup (compile time only)
; SGPRBlocks: 0
; VGPRBlocks: 0
; NumSGPRsForWavesPerEU: 1
; NumVGPRsForWavesPerEU: 1
; Occupancy: 16
; WaveLimiterHint : 0
; COMPUTE_PGM_RSRC2:SCRATCH_EN: 0
; COMPUTE_PGM_RSRC2:USER_SGPR: 15
; COMPUTE_PGM_RSRC2:TRAP_HANDLER: 0
; COMPUTE_PGM_RSRC2:TGID_X_EN: 1
; COMPUTE_PGM_RSRC2:TGID_Y_EN: 0
; COMPUTE_PGM_RSRC2:TGID_Z_EN: 0
; COMPUTE_PGM_RSRC2:TIDIG_COMP_CNT: 0
	.section	.text._ZN7rocprim17ROCPRIM_400000_NS6detail17trampoline_kernelINS0_14default_configENS1_29reduce_by_key_config_selectorIyyN6thrust23THRUST_200600_302600_NS4plusIyEEEEZZNS1_33reduce_by_key_impl_wrapped_configILNS1_25lookback_scan_determinismE0ES3_S9_NS6_6detail15normal_iteratorINS6_10device_ptrIyEEEESG_SG_SG_PmS8_22is_equal_div_10_reduceIyEEE10hipError_tPvRmT2_T3_mT4_T5_T6_T7_T8_P12ihipStream_tbENKUlT_T0_E_clISt17integral_constantIbLb1EES10_IbLb0EEEEDaSW_SX_EUlSW_E_NS1_11comp_targetILNS1_3genE0ELNS1_11target_archE4294967295ELNS1_3gpuE0ELNS1_3repE0EEENS1_30default_config_static_selectorELNS0_4arch9wavefront6targetE0EEEvT1_,"axG",@progbits,_ZN7rocprim17ROCPRIM_400000_NS6detail17trampoline_kernelINS0_14default_configENS1_29reduce_by_key_config_selectorIyyN6thrust23THRUST_200600_302600_NS4plusIyEEEEZZNS1_33reduce_by_key_impl_wrapped_configILNS1_25lookback_scan_determinismE0ES3_S9_NS6_6detail15normal_iteratorINS6_10device_ptrIyEEEESG_SG_SG_PmS8_22is_equal_div_10_reduceIyEEE10hipError_tPvRmT2_T3_mT4_T5_T6_T7_T8_P12ihipStream_tbENKUlT_T0_E_clISt17integral_constantIbLb1EES10_IbLb0EEEEDaSW_SX_EUlSW_E_NS1_11comp_targetILNS1_3genE0ELNS1_11target_archE4294967295ELNS1_3gpuE0ELNS1_3repE0EEENS1_30default_config_static_selectorELNS0_4arch9wavefront6targetE0EEEvT1_,comdat
	.protected	_ZN7rocprim17ROCPRIM_400000_NS6detail17trampoline_kernelINS0_14default_configENS1_29reduce_by_key_config_selectorIyyN6thrust23THRUST_200600_302600_NS4plusIyEEEEZZNS1_33reduce_by_key_impl_wrapped_configILNS1_25lookback_scan_determinismE0ES3_S9_NS6_6detail15normal_iteratorINS6_10device_ptrIyEEEESG_SG_SG_PmS8_22is_equal_div_10_reduceIyEEE10hipError_tPvRmT2_T3_mT4_T5_T6_T7_T8_P12ihipStream_tbENKUlT_T0_E_clISt17integral_constantIbLb1EES10_IbLb0EEEEDaSW_SX_EUlSW_E_NS1_11comp_targetILNS1_3genE0ELNS1_11target_archE4294967295ELNS1_3gpuE0ELNS1_3repE0EEENS1_30default_config_static_selectorELNS0_4arch9wavefront6targetE0EEEvT1_ ; -- Begin function _ZN7rocprim17ROCPRIM_400000_NS6detail17trampoline_kernelINS0_14default_configENS1_29reduce_by_key_config_selectorIyyN6thrust23THRUST_200600_302600_NS4plusIyEEEEZZNS1_33reduce_by_key_impl_wrapped_configILNS1_25lookback_scan_determinismE0ES3_S9_NS6_6detail15normal_iteratorINS6_10device_ptrIyEEEESG_SG_SG_PmS8_22is_equal_div_10_reduceIyEEE10hipError_tPvRmT2_T3_mT4_T5_T6_T7_T8_P12ihipStream_tbENKUlT_T0_E_clISt17integral_constantIbLb1EES10_IbLb0EEEEDaSW_SX_EUlSW_E_NS1_11comp_targetILNS1_3genE0ELNS1_11target_archE4294967295ELNS1_3gpuE0ELNS1_3repE0EEENS1_30default_config_static_selectorELNS0_4arch9wavefront6targetE0EEEvT1_
	.globl	_ZN7rocprim17ROCPRIM_400000_NS6detail17trampoline_kernelINS0_14default_configENS1_29reduce_by_key_config_selectorIyyN6thrust23THRUST_200600_302600_NS4plusIyEEEEZZNS1_33reduce_by_key_impl_wrapped_configILNS1_25lookback_scan_determinismE0ES3_S9_NS6_6detail15normal_iteratorINS6_10device_ptrIyEEEESG_SG_SG_PmS8_22is_equal_div_10_reduceIyEEE10hipError_tPvRmT2_T3_mT4_T5_T6_T7_T8_P12ihipStream_tbENKUlT_T0_E_clISt17integral_constantIbLb1EES10_IbLb0EEEEDaSW_SX_EUlSW_E_NS1_11comp_targetILNS1_3genE0ELNS1_11target_archE4294967295ELNS1_3gpuE0ELNS1_3repE0EEENS1_30default_config_static_selectorELNS0_4arch9wavefront6targetE0EEEvT1_
	.p2align	8
	.type	_ZN7rocprim17ROCPRIM_400000_NS6detail17trampoline_kernelINS0_14default_configENS1_29reduce_by_key_config_selectorIyyN6thrust23THRUST_200600_302600_NS4plusIyEEEEZZNS1_33reduce_by_key_impl_wrapped_configILNS1_25lookback_scan_determinismE0ES3_S9_NS6_6detail15normal_iteratorINS6_10device_ptrIyEEEESG_SG_SG_PmS8_22is_equal_div_10_reduceIyEEE10hipError_tPvRmT2_T3_mT4_T5_T6_T7_T8_P12ihipStream_tbENKUlT_T0_E_clISt17integral_constantIbLb1EES10_IbLb0EEEEDaSW_SX_EUlSW_E_NS1_11comp_targetILNS1_3genE0ELNS1_11target_archE4294967295ELNS1_3gpuE0ELNS1_3repE0EEENS1_30default_config_static_selectorELNS0_4arch9wavefront6targetE0EEEvT1_,@function
_ZN7rocprim17ROCPRIM_400000_NS6detail17trampoline_kernelINS0_14default_configENS1_29reduce_by_key_config_selectorIyyN6thrust23THRUST_200600_302600_NS4plusIyEEEEZZNS1_33reduce_by_key_impl_wrapped_configILNS1_25lookback_scan_determinismE0ES3_S9_NS6_6detail15normal_iteratorINS6_10device_ptrIyEEEESG_SG_SG_PmS8_22is_equal_div_10_reduceIyEEE10hipError_tPvRmT2_T3_mT4_T5_T6_T7_T8_P12ihipStream_tbENKUlT_T0_E_clISt17integral_constantIbLb1EES10_IbLb0EEEEDaSW_SX_EUlSW_E_NS1_11comp_targetILNS1_3genE0ELNS1_11target_archE4294967295ELNS1_3gpuE0ELNS1_3repE0EEENS1_30default_config_static_selectorELNS0_4arch9wavefront6targetE0EEEvT1_: ; @_ZN7rocprim17ROCPRIM_400000_NS6detail17trampoline_kernelINS0_14default_configENS1_29reduce_by_key_config_selectorIyyN6thrust23THRUST_200600_302600_NS4plusIyEEEEZZNS1_33reduce_by_key_impl_wrapped_configILNS1_25lookback_scan_determinismE0ES3_S9_NS6_6detail15normal_iteratorINS6_10device_ptrIyEEEESG_SG_SG_PmS8_22is_equal_div_10_reduceIyEEE10hipError_tPvRmT2_T3_mT4_T5_T6_T7_T8_P12ihipStream_tbENKUlT_T0_E_clISt17integral_constantIbLb1EES10_IbLb0EEEEDaSW_SX_EUlSW_E_NS1_11comp_targetILNS1_3genE0ELNS1_11target_archE4294967295ELNS1_3gpuE0ELNS1_3repE0EEENS1_30default_config_static_selectorELNS0_4arch9wavefront6targetE0EEEvT1_
; %bb.0:
	.section	.rodata,"a",@progbits
	.p2align	6, 0x0
	.amdhsa_kernel _ZN7rocprim17ROCPRIM_400000_NS6detail17trampoline_kernelINS0_14default_configENS1_29reduce_by_key_config_selectorIyyN6thrust23THRUST_200600_302600_NS4plusIyEEEEZZNS1_33reduce_by_key_impl_wrapped_configILNS1_25lookback_scan_determinismE0ES3_S9_NS6_6detail15normal_iteratorINS6_10device_ptrIyEEEESG_SG_SG_PmS8_22is_equal_div_10_reduceIyEEE10hipError_tPvRmT2_T3_mT4_T5_T6_T7_T8_P12ihipStream_tbENKUlT_T0_E_clISt17integral_constantIbLb1EES10_IbLb0EEEEDaSW_SX_EUlSW_E_NS1_11comp_targetILNS1_3genE0ELNS1_11target_archE4294967295ELNS1_3gpuE0ELNS1_3repE0EEENS1_30default_config_static_selectorELNS0_4arch9wavefront6targetE0EEEvT1_
		.amdhsa_group_segment_fixed_size 0
		.amdhsa_private_segment_fixed_size 0
		.amdhsa_kernarg_size 136
		.amdhsa_user_sgpr_count 15
		.amdhsa_user_sgpr_dispatch_ptr 0
		.amdhsa_user_sgpr_queue_ptr 0
		.amdhsa_user_sgpr_kernarg_segment_ptr 1
		.amdhsa_user_sgpr_dispatch_id 0
		.amdhsa_user_sgpr_private_segment_size 0
		.amdhsa_wavefront_size32 1
		.amdhsa_uses_dynamic_stack 0
		.amdhsa_enable_private_segment 0
		.amdhsa_system_sgpr_workgroup_id_x 1
		.amdhsa_system_sgpr_workgroup_id_y 0
		.amdhsa_system_sgpr_workgroup_id_z 0
		.amdhsa_system_sgpr_workgroup_info 0
		.amdhsa_system_vgpr_workitem_id 0
		.amdhsa_next_free_vgpr 1
		.amdhsa_next_free_sgpr 1
		.amdhsa_reserve_vcc 0
		.amdhsa_float_round_mode_32 0
		.amdhsa_float_round_mode_16_64 0
		.amdhsa_float_denorm_mode_32 3
		.amdhsa_float_denorm_mode_16_64 3
		.amdhsa_dx10_clamp 1
		.amdhsa_ieee_mode 1
		.amdhsa_fp16_overflow 0
		.amdhsa_workgroup_processor_mode 1
		.amdhsa_memory_ordered 1
		.amdhsa_forward_progress 0
		.amdhsa_shared_vgpr_count 0
		.amdhsa_exception_fp_ieee_invalid_op 0
		.amdhsa_exception_fp_denorm_src 0
		.amdhsa_exception_fp_ieee_div_zero 0
		.amdhsa_exception_fp_ieee_overflow 0
		.amdhsa_exception_fp_ieee_underflow 0
		.amdhsa_exception_fp_ieee_inexact 0
		.amdhsa_exception_int_div_zero 0
	.end_amdhsa_kernel
	.section	.text._ZN7rocprim17ROCPRIM_400000_NS6detail17trampoline_kernelINS0_14default_configENS1_29reduce_by_key_config_selectorIyyN6thrust23THRUST_200600_302600_NS4plusIyEEEEZZNS1_33reduce_by_key_impl_wrapped_configILNS1_25lookback_scan_determinismE0ES3_S9_NS6_6detail15normal_iteratorINS6_10device_ptrIyEEEESG_SG_SG_PmS8_22is_equal_div_10_reduceIyEEE10hipError_tPvRmT2_T3_mT4_T5_T6_T7_T8_P12ihipStream_tbENKUlT_T0_E_clISt17integral_constantIbLb1EES10_IbLb0EEEEDaSW_SX_EUlSW_E_NS1_11comp_targetILNS1_3genE0ELNS1_11target_archE4294967295ELNS1_3gpuE0ELNS1_3repE0EEENS1_30default_config_static_selectorELNS0_4arch9wavefront6targetE0EEEvT1_,"axG",@progbits,_ZN7rocprim17ROCPRIM_400000_NS6detail17trampoline_kernelINS0_14default_configENS1_29reduce_by_key_config_selectorIyyN6thrust23THRUST_200600_302600_NS4plusIyEEEEZZNS1_33reduce_by_key_impl_wrapped_configILNS1_25lookback_scan_determinismE0ES3_S9_NS6_6detail15normal_iteratorINS6_10device_ptrIyEEEESG_SG_SG_PmS8_22is_equal_div_10_reduceIyEEE10hipError_tPvRmT2_T3_mT4_T5_T6_T7_T8_P12ihipStream_tbENKUlT_T0_E_clISt17integral_constantIbLb1EES10_IbLb0EEEEDaSW_SX_EUlSW_E_NS1_11comp_targetILNS1_3genE0ELNS1_11target_archE4294967295ELNS1_3gpuE0ELNS1_3repE0EEENS1_30default_config_static_selectorELNS0_4arch9wavefront6targetE0EEEvT1_,comdat
.Lfunc_end295:
	.size	_ZN7rocprim17ROCPRIM_400000_NS6detail17trampoline_kernelINS0_14default_configENS1_29reduce_by_key_config_selectorIyyN6thrust23THRUST_200600_302600_NS4plusIyEEEEZZNS1_33reduce_by_key_impl_wrapped_configILNS1_25lookback_scan_determinismE0ES3_S9_NS6_6detail15normal_iteratorINS6_10device_ptrIyEEEESG_SG_SG_PmS8_22is_equal_div_10_reduceIyEEE10hipError_tPvRmT2_T3_mT4_T5_T6_T7_T8_P12ihipStream_tbENKUlT_T0_E_clISt17integral_constantIbLb1EES10_IbLb0EEEEDaSW_SX_EUlSW_E_NS1_11comp_targetILNS1_3genE0ELNS1_11target_archE4294967295ELNS1_3gpuE0ELNS1_3repE0EEENS1_30default_config_static_selectorELNS0_4arch9wavefront6targetE0EEEvT1_, .Lfunc_end295-_ZN7rocprim17ROCPRIM_400000_NS6detail17trampoline_kernelINS0_14default_configENS1_29reduce_by_key_config_selectorIyyN6thrust23THRUST_200600_302600_NS4plusIyEEEEZZNS1_33reduce_by_key_impl_wrapped_configILNS1_25lookback_scan_determinismE0ES3_S9_NS6_6detail15normal_iteratorINS6_10device_ptrIyEEEESG_SG_SG_PmS8_22is_equal_div_10_reduceIyEEE10hipError_tPvRmT2_T3_mT4_T5_T6_T7_T8_P12ihipStream_tbENKUlT_T0_E_clISt17integral_constantIbLb1EES10_IbLb0EEEEDaSW_SX_EUlSW_E_NS1_11comp_targetILNS1_3genE0ELNS1_11target_archE4294967295ELNS1_3gpuE0ELNS1_3repE0EEENS1_30default_config_static_selectorELNS0_4arch9wavefront6targetE0EEEvT1_
                                        ; -- End function
	.section	.AMDGPU.csdata,"",@progbits
; Kernel info:
; codeLenInByte = 0
; NumSgprs: 0
; NumVgprs: 0
; ScratchSize: 0
; MemoryBound: 0
; FloatMode: 240
; IeeeMode: 1
; LDSByteSize: 0 bytes/workgroup (compile time only)
; SGPRBlocks: 0
; VGPRBlocks: 0
; NumSGPRsForWavesPerEU: 1
; NumVGPRsForWavesPerEU: 1
; Occupancy: 16
; WaveLimiterHint : 0
; COMPUTE_PGM_RSRC2:SCRATCH_EN: 0
; COMPUTE_PGM_RSRC2:USER_SGPR: 15
; COMPUTE_PGM_RSRC2:TRAP_HANDLER: 0
; COMPUTE_PGM_RSRC2:TGID_X_EN: 1
; COMPUTE_PGM_RSRC2:TGID_Y_EN: 0
; COMPUTE_PGM_RSRC2:TGID_Z_EN: 0
; COMPUTE_PGM_RSRC2:TIDIG_COMP_CNT: 0
	.section	.text._ZN7rocprim17ROCPRIM_400000_NS6detail17trampoline_kernelINS0_14default_configENS1_29reduce_by_key_config_selectorIyyN6thrust23THRUST_200600_302600_NS4plusIyEEEEZZNS1_33reduce_by_key_impl_wrapped_configILNS1_25lookback_scan_determinismE0ES3_S9_NS6_6detail15normal_iteratorINS6_10device_ptrIyEEEESG_SG_SG_PmS8_22is_equal_div_10_reduceIyEEE10hipError_tPvRmT2_T3_mT4_T5_T6_T7_T8_P12ihipStream_tbENKUlT_T0_E_clISt17integral_constantIbLb1EES10_IbLb0EEEEDaSW_SX_EUlSW_E_NS1_11comp_targetILNS1_3genE5ELNS1_11target_archE942ELNS1_3gpuE9ELNS1_3repE0EEENS1_30default_config_static_selectorELNS0_4arch9wavefront6targetE0EEEvT1_,"axG",@progbits,_ZN7rocprim17ROCPRIM_400000_NS6detail17trampoline_kernelINS0_14default_configENS1_29reduce_by_key_config_selectorIyyN6thrust23THRUST_200600_302600_NS4plusIyEEEEZZNS1_33reduce_by_key_impl_wrapped_configILNS1_25lookback_scan_determinismE0ES3_S9_NS6_6detail15normal_iteratorINS6_10device_ptrIyEEEESG_SG_SG_PmS8_22is_equal_div_10_reduceIyEEE10hipError_tPvRmT2_T3_mT4_T5_T6_T7_T8_P12ihipStream_tbENKUlT_T0_E_clISt17integral_constantIbLb1EES10_IbLb0EEEEDaSW_SX_EUlSW_E_NS1_11comp_targetILNS1_3genE5ELNS1_11target_archE942ELNS1_3gpuE9ELNS1_3repE0EEENS1_30default_config_static_selectorELNS0_4arch9wavefront6targetE0EEEvT1_,comdat
	.protected	_ZN7rocprim17ROCPRIM_400000_NS6detail17trampoline_kernelINS0_14default_configENS1_29reduce_by_key_config_selectorIyyN6thrust23THRUST_200600_302600_NS4plusIyEEEEZZNS1_33reduce_by_key_impl_wrapped_configILNS1_25lookback_scan_determinismE0ES3_S9_NS6_6detail15normal_iteratorINS6_10device_ptrIyEEEESG_SG_SG_PmS8_22is_equal_div_10_reduceIyEEE10hipError_tPvRmT2_T3_mT4_T5_T6_T7_T8_P12ihipStream_tbENKUlT_T0_E_clISt17integral_constantIbLb1EES10_IbLb0EEEEDaSW_SX_EUlSW_E_NS1_11comp_targetILNS1_3genE5ELNS1_11target_archE942ELNS1_3gpuE9ELNS1_3repE0EEENS1_30default_config_static_selectorELNS0_4arch9wavefront6targetE0EEEvT1_ ; -- Begin function _ZN7rocprim17ROCPRIM_400000_NS6detail17trampoline_kernelINS0_14default_configENS1_29reduce_by_key_config_selectorIyyN6thrust23THRUST_200600_302600_NS4plusIyEEEEZZNS1_33reduce_by_key_impl_wrapped_configILNS1_25lookback_scan_determinismE0ES3_S9_NS6_6detail15normal_iteratorINS6_10device_ptrIyEEEESG_SG_SG_PmS8_22is_equal_div_10_reduceIyEEE10hipError_tPvRmT2_T3_mT4_T5_T6_T7_T8_P12ihipStream_tbENKUlT_T0_E_clISt17integral_constantIbLb1EES10_IbLb0EEEEDaSW_SX_EUlSW_E_NS1_11comp_targetILNS1_3genE5ELNS1_11target_archE942ELNS1_3gpuE9ELNS1_3repE0EEENS1_30default_config_static_selectorELNS0_4arch9wavefront6targetE0EEEvT1_
	.globl	_ZN7rocprim17ROCPRIM_400000_NS6detail17trampoline_kernelINS0_14default_configENS1_29reduce_by_key_config_selectorIyyN6thrust23THRUST_200600_302600_NS4plusIyEEEEZZNS1_33reduce_by_key_impl_wrapped_configILNS1_25lookback_scan_determinismE0ES3_S9_NS6_6detail15normal_iteratorINS6_10device_ptrIyEEEESG_SG_SG_PmS8_22is_equal_div_10_reduceIyEEE10hipError_tPvRmT2_T3_mT4_T5_T6_T7_T8_P12ihipStream_tbENKUlT_T0_E_clISt17integral_constantIbLb1EES10_IbLb0EEEEDaSW_SX_EUlSW_E_NS1_11comp_targetILNS1_3genE5ELNS1_11target_archE942ELNS1_3gpuE9ELNS1_3repE0EEENS1_30default_config_static_selectorELNS0_4arch9wavefront6targetE0EEEvT1_
	.p2align	8
	.type	_ZN7rocprim17ROCPRIM_400000_NS6detail17trampoline_kernelINS0_14default_configENS1_29reduce_by_key_config_selectorIyyN6thrust23THRUST_200600_302600_NS4plusIyEEEEZZNS1_33reduce_by_key_impl_wrapped_configILNS1_25lookback_scan_determinismE0ES3_S9_NS6_6detail15normal_iteratorINS6_10device_ptrIyEEEESG_SG_SG_PmS8_22is_equal_div_10_reduceIyEEE10hipError_tPvRmT2_T3_mT4_T5_T6_T7_T8_P12ihipStream_tbENKUlT_T0_E_clISt17integral_constantIbLb1EES10_IbLb0EEEEDaSW_SX_EUlSW_E_NS1_11comp_targetILNS1_3genE5ELNS1_11target_archE942ELNS1_3gpuE9ELNS1_3repE0EEENS1_30default_config_static_selectorELNS0_4arch9wavefront6targetE0EEEvT1_,@function
_ZN7rocprim17ROCPRIM_400000_NS6detail17trampoline_kernelINS0_14default_configENS1_29reduce_by_key_config_selectorIyyN6thrust23THRUST_200600_302600_NS4plusIyEEEEZZNS1_33reduce_by_key_impl_wrapped_configILNS1_25lookback_scan_determinismE0ES3_S9_NS6_6detail15normal_iteratorINS6_10device_ptrIyEEEESG_SG_SG_PmS8_22is_equal_div_10_reduceIyEEE10hipError_tPvRmT2_T3_mT4_T5_T6_T7_T8_P12ihipStream_tbENKUlT_T0_E_clISt17integral_constantIbLb1EES10_IbLb0EEEEDaSW_SX_EUlSW_E_NS1_11comp_targetILNS1_3genE5ELNS1_11target_archE942ELNS1_3gpuE9ELNS1_3repE0EEENS1_30default_config_static_selectorELNS0_4arch9wavefront6targetE0EEEvT1_: ; @_ZN7rocprim17ROCPRIM_400000_NS6detail17trampoline_kernelINS0_14default_configENS1_29reduce_by_key_config_selectorIyyN6thrust23THRUST_200600_302600_NS4plusIyEEEEZZNS1_33reduce_by_key_impl_wrapped_configILNS1_25lookback_scan_determinismE0ES3_S9_NS6_6detail15normal_iteratorINS6_10device_ptrIyEEEESG_SG_SG_PmS8_22is_equal_div_10_reduceIyEEE10hipError_tPvRmT2_T3_mT4_T5_T6_T7_T8_P12ihipStream_tbENKUlT_T0_E_clISt17integral_constantIbLb1EES10_IbLb0EEEEDaSW_SX_EUlSW_E_NS1_11comp_targetILNS1_3genE5ELNS1_11target_archE942ELNS1_3gpuE9ELNS1_3repE0EEENS1_30default_config_static_selectorELNS0_4arch9wavefront6targetE0EEEvT1_
; %bb.0:
	.section	.rodata,"a",@progbits
	.p2align	6, 0x0
	.amdhsa_kernel _ZN7rocprim17ROCPRIM_400000_NS6detail17trampoline_kernelINS0_14default_configENS1_29reduce_by_key_config_selectorIyyN6thrust23THRUST_200600_302600_NS4plusIyEEEEZZNS1_33reduce_by_key_impl_wrapped_configILNS1_25lookback_scan_determinismE0ES3_S9_NS6_6detail15normal_iteratorINS6_10device_ptrIyEEEESG_SG_SG_PmS8_22is_equal_div_10_reduceIyEEE10hipError_tPvRmT2_T3_mT4_T5_T6_T7_T8_P12ihipStream_tbENKUlT_T0_E_clISt17integral_constantIbLb1EES10_IbLb0EEEEDaSW_SX_EUlSW_E_NS1_11comp_targetILNS1_3genE5ELNS1_11target_archE942ELNS1_3gpuE9ELNS1_3repE0EEENS1_30default_config_static_selectorELNS0_4arch9wavefront6targetE0EEEvT1_
		.amdhsa_group_segment_fixed_size 0
		.amdhsa_private_segment_fixed_size 0
		.amdhsa_kernarg_size 136
		.amdhsa_user_sgpr_count 15
		.amdhsa_user_sgpr_dispatch_ptr 0
		.amdhsa_user_sgpr_queue_ptr 0
		.amdhsa_user_sgpr_kernarg_segment_ptr 1
		.amdhsa_user_sgpr_dispatch_id 0
		.amdhsa_user_sgpr_private_segment_size 0
		.amdhsa_wavefront_size32 1
		.amdhsa_uses_dynamic_stack 0
		.amdhsa_enable_private_segment 0
		.amdhsa_system_sgpr_workgroup_id_x 1
		.amdhsa_system_sgpr_workgroup_id_y 0
		.amdhsa_system_sgpr_workgroup_id_z 0
		.amdhsa_system_sgpr_workgroup_info 0
		.amdhsa_system_vgpr_workitem_id 0
		.amdhsa_next_free_vgpr 1
		.amdhsa_next_free_sgpr 1
		.amdhsa_reserve_vcc 0
		.amdhsa_float_round_mode_32 0
		.amdhsa_float_round_mode_16_64 0
		.amdhsa_float_denorm_mode_32 3
		.amdhsa_float_denorm_mode_16_64 3
		.amdhsa_dx10_clamp 1
		.amdhsa_ieee_mode 1
		.amdhsa_fp16_overflow 0
		.amdhsa_workgroup_processor_mode 1
		.amdhsa_memory_ordered 1
		.amdhsa_forward_progress 0
		.amdhsa_shared_vgpr_count 0
		.amdhsa_exception_fp_ieee_invalid_op 0
		.amdhsa_exception_fp_denorm_src 0
		.amdhsa_exception_fp_ieee_div_zero 0
		.amdhsa_exception_fp_ieee_overflow 0
		.amdhsa_exception_fp_ieee_underflow 0
		.amdhsa_exception_fp_ieee_inexact 0
		.amdhsa_exception_int_div_zero 0
	.end_amdhsa_kernel
	.section	.text._ZN7rocprim17ROCPRIM_400000_NS6detail17trampoline_kernelINS0_14default_configENS1_29reduce_by_key_config_selectorIyyN6thrust23THRUST_200600_302600_NS4plusIyEEEEZZNS1_33reduce_by_key_impl_wrapped_configILNS1_25lookback_scan_determinismE0ES3_S9_NS6_6detail15normal_iteratorINS6_10device_ptrIyEEEESG_SG_SG_PmS8_22is_equal_div_10_reduceIyEEE10hipError_tPvRmT2_T3_mT4_T5_T6_T7_T8_P12ihipStream_tbENKUlT_T0_E_clISt17integral_constantIbLb1EES10_IbLb0EEEEDaSW_SX_EUlSW_E_NS1_11comp_targetILNS1_3genE5ELNS1_11target_archE942ELNS1_3gpuE9ELNS1_3repE0EEENS1_30default_config_static_selectorELNS0_4arch9wavefront6targetE0EEEvT1_,"axG",@progbits,_ZN7rocprim17ROCPRIM_400000_NS6detail17trampoline_kernelINS0_14default_configENS1_29reduce_by_key_config_selectorIyyN6thrust23THRUST_200600_302600_NS4plusIyEEEEZZNS1_33reduce_by_key_impl_wrapped_configILNS1_25lookback_scan_determinismE0ES3_S9_NS6_6detail15normal_iteratorINS6_10device_ptrIyEEEESG_SG_SG_PmS8_22is_equal_div_10_reduceIyEEE10hipError_tPvRmT2_T3_mT4_T5_T6_T7_T8_P12ihipStream_tbENKUlT_T0_E_clISt17integral_constantIbLb1EES10_IbLb0EEEEDaSW_SX_EUlSW_E_NS1_11comp_targetILNS1_3genE5ELNS1_11target_archE942ELNS1_3gpuE9ELNS1_3repE0EEENS1_30default_config_static_selectorELNS0_4arch9wavefront6targetE0EEEvT1_,comdat
.Lfunc_end296:
	.size	_ZN7rocprim17ROCPRIM_400000_NS6detail17trampoline_kernelINS0_14default_configENS1_29reduce_by_key_config_selectorIyyN6thrust23THRUST_200600_302600_NS4plusIyEEEEZZNS1_33reduce_by_key_impl_wrapped_configILNS1_25lookback_scan_determinismE0ES3_S9_NS6_6detail15normal_iteratorINS6_10device_ptrIyEEEESG_SG_SG_PmS8_22is_equal_div_10_reduceIyEEE10hipError_tPvRmT2_T3_mT4_T5_T6_T7_T8_P12ihipStream_tbENKUlT_T0_E_clISt17integral_constantIbLb1EES10_IbLb0EEEEDaSW_SX_EUlSW_E_NS1_11comp_targetILNS1_3genE5ELNS1_11target_archE942ELNS1_3gpuE9ELNS1_3repE0EEENS1_30default_config_static_selectorELNS0_4arch9wavefront6targetE0EEEvT1_, .Lfunc_end296-_ZN7rocprim17ROCPRIM_400000_NS6detail17trampoline_kernelINS0_14default_configENS1_29reduce_by_key_config_selectorIyyN6thrust23THRUST_200600_302600_NS4plusIyEEEEZZNS1_33reduce_by_key_impl_wrapped_configILNS1_25lookback_scan_determinismE0ES3_S9_NS6_6detail15normal_iteratorINS6_10device_ptrIyEEEESG_SG_SG_PmS8_22is_equal_div_10_reduceIyEEE10hipError_tPvRmT2_T3_mT4_T5_T6_T7_T8_P12ihipStream_tbENKUlT_T0_E_clISt17integral_constantIbLb1EES10_IbLb0EEEEDaSW_SX_EUlSW_E_NS1_11comp_targetILNS1_3genE5ELNS1_11target_archE942ELNS1_3gpuE9ELNS1_3repE0EEENS1_30default_config_static_selectorELNS0_4arch9wavefront6targetE0EEEvT1_
                                        ; -- End function
	.section	.AMDGPU.csdata,"",@progbits
; Kernel info:
; codeLenInByte = 0
; NumSgprs: 0
; NumVgprs: 0
; ScratchSize: 0
; MemoryBound: 0
; FloatMode: 240
; IeeeMode: 1
; LDSByteSize: 0 bytes/workgroup (compile time only)
; SGPRBlocks: 0
; VGPRBlocks: 0
; NumSGPRsForWavesPerEU: 1
; NumVGPRsForWavesPerEU: 1
; Occupancy: 16
; WaveLimiterHint : 0
; COMPUTE_PGM_RSRC2:SCRATCH_EN: 0
; COMPUTE_PGM_RSRC2:USER_SGPR: 15
; COMPUTE_PGM_RSRC2:TRAP_HANDLER: 0
; COMPUTE_PGM_RSRC2:TGID_X_EN: 1
; COMPUTE_PGM_RSRC2:TGID_Y_EN: 0
; COMPUTE_PGM_RSRC2:TGID_Z_EN: 0
; COMPUTE_PGM_RSRC2:TIDIG_COMP_CNT: 0
	.section	.text._ZN7rocprim17ROCPRIM_400000_NS6detail17trampoline_kernelINS0_14default_configENS1_29reduce_by_key_config_selectorIyyN6thrust23THRUST_200600_302600_NS4plusIyEEEEZZNS1_33reduce_by_key_impl_wrapped_configILNS1_25lookback_scan_determinismE0ES3_S9_NS6_6detail15normal_iteratorINS6_10device_ptrIyEEEESG_SG_SG_PmS8_22is_equal_div_10_reduceIyEEE10hipError_tPvRmT2_T3_mT4_T5_T6_T7_T8_P12ihipStream_tbENKUlT_T0_E_clISt17integral_constantIbLb1EES10_IbLb0EEEEDaSW_SX_EUlSW_E_NS1_11comp_targetILNS1_3genE4ELNS1_11target_archE910ELNS1_3gpuE8ELNS1_3repE0EEENS1_30default_config_static_selectorELNS0_4arch9wavefront6targetE0EEEvT1_,"axG",@progbits,_ZN7rocprim17ROCPRIM_400000_NS6detail17trampoline_kernelINS0_14default_configENS1_29reduce_by_key_config_selectorIyyN6thrust23THRUST_200600_302600_NS4plusIyEEEEZZNS1_33reduce_by_key_impl_wrapped_configILNS1_25lookback_scan_determinismE0ES3_S9_NS6_6detail15normal_iteratorINS6_10device_ptrIyEEEESG_SG_SG_PmS8_22is_equal_div_10_reduceIyEEE10hipError_tPvRmT2_T3_mT4_T5_T6_T7_T8_P12ihipStream_tbENKUlT_T0_E_clISt17integral_constantIbLb1EES10_IbLb0EEEEDaSW_SX_EUlSW_E_NS1_11comp_targetILNS1_3genE4ELNS1_11target_archE910ELNS1_3gpuE8ELNS1_3repE0EEENS1_30default_config_static_selectorELNS0_4arch9wavefront6targetE0EEEvT1_,comdat
	.protected	_ZN7rocprim17ROCPRIM_400000_NS6detail17trampoline_kernelINS0_14default_configENS1_29reduce_by_key_config_selectorIyyN6thrust23THRUST_200600_302600_NS4plusIyEEEEZZNS1_33reduce_by_key_impl_wrapped_configILNS1_25lookback_scan_determinismE0ES3_S9_NS6_6detail15normal_iteratorINS6_10device_ptrIyEEEESG_SG_SG_PmS8_22is_equal_div_10_reduceIyEEE10hipError_tPvRmT2_T3_mT4_T5_T6_T7_T8_P12ihipStream_tbENKUlT_T0_E_clISt17integral_constantIbLb1EES10_IbLb0EEEEDaSW_SX_EUlSW_E_NS1_11comp_targetILNS1_3genE4ELNS1_11target_archE910ELNS1_3gpuE8ELNS1_3repE0EEENS1_30default_config_static_selectorELNS0_4arch9wavefront6targetE0EEEvT1_ ; -- Begin function _ZN7rocprim17ROCPRIM_400000_NS6detail17trampoline_kernelINS0_14default_configENS1_29reduce_by_key_config_selectorIyyN6thrust23THRUST_200600_302600_NS4plusIyEEEEZZNS1_33reduce_by_key_impl_wrapped_configILNS1_25lookback_scan_determinismE0ES3_S9_NS6_6detail15normal_iteratorINS6_10device_ptrIyEEEESG_SG_SG_PmS8_22is_equal_div_10_reduceIyEEE10hipError_tPvRmT2_T3_mT4_T5_T6_T7_T8_P12ihipStream_tbENKUlT_T0_E_clISt17integral_constantIbLb1EES10_IbLb0EEEEDaSW_SX_EUlSW_E_NS1_11comp_targetILNS1_3genE4ELNS1_11target_archE910ELNS1_3gpuE8ELNS1_3repE0EEENS1_30default_config_static_selectorELNS0_4arch9wavefront6targetE0EEEvT1_
	.globl	_ZN7rocprim17ROCPRIM_400000_NS6detail17trampoline_kernelINS0_14default_configENS1_29reduce_by_key_config_selectorIyyN6thrust23THRUST_200600_302600_NS4plusIyEEEEZZNS1_33reduce_by_key_impl_wrapped_configILNS1_25lookback_scan_determinismE0ES3_S9_NS6_6detail15normal_iteratorINS6_10device_ptrIyEEEESG_SG_SG_PmS8_22is_equal_div_10_reduceIyEEE10hipError_tPvRmT2_T3_mT4_T5_T6_T7_T8_P12ihipStream_tbENKUlT_T0_E_clISt17integral_constantIbLb1EES10_IbLb0EEEEDaSW_SX_EUlSW_E_NS1_11comp_targetILNS1_3genE4ELNS1_11target_archE910ELNS1_3gpuE8ELNS1_3repE0EEENS1_30default_config_static_selectorELNS0_4arch9wavefront6targetE0EEEvT1_
	.p2align	8
	.type	_ZN7rocprim17ROCPRIM_400000_NS6detail17trampoline_kernelINS0_14default_configENS1_29reduce_by_key_config_selectorIyyN6thrust23THRUST_200600_302600_NS4plusIyEEEEZZNS1_33reduce_by_key_impl_wrapped_configILNS1_25lookback_scan_determinismE0ES3_S9_NS6_6detail15normal_iteratorINS6_10device_ptrIyEEEESG_SG_SG_PmS8_22is_equal_div_10_reduceIyEEE10hipError_tPvRmT2_T3_mT4_T5_T6_T7_T8_P12ihipStream_tbENKUlT_T0_E_clISt17integral_constantIbLb1EES10_IbLb0EEEEDaSW_SX_EUlSW_E_NS1_11comp_targetILNS1_3genE4ELNS1_11target_archE910ELNS1_3gpuE8ELNS1_3repE0EEENS1_30default_config_static_selectorELNS0_4arch9wavefront6targetE0EEEvT1_,@function
_ZN7rocprim17ROCPRIM_400000_NS6detail17trampoline_kernelINS0_14default_configENS1_29reduce_by_key_config_selectorIyyN6thrust23THRUST_200600_302600_NS4plusIyEEEEZZNS1_33reduce_by_key_impl_wrapped_configILNS1_25lookback_scan_determinismE0ES3_S9_NS6_6detail15normal_iteratorINS6_10device_ptrIyEEEESG_SG_SG_PmS8_22is_equal_div_10_reduceIyEEE10hipError_tPvRmT2_T3_mT4_T5_T6_T7_T8_P12ihipStream_tbENKUlT_T0_E_clISt17integral_constantIbLb1EES10_IbLb0EEEEDaSW_SX_EUlSW_E_NS1_11comp_targetILNS1_3genE4ELNS1_11target_archE910ELNS1_3gpuE8ELNS1_3repE0EEENS1_30default_config_static_selectorELNS0_4arch9wavefront6targetE0EEEvT1_: ; @_ZN7rocprim17ROCPRIM_400000_NS6detail17trampoline_kernelINS0_14default_configENS1_29reduce_by_key_config_selectorIyyN6thrust23THRUST_200600_302600_NS4plusIyEEEEZZNS1_33reduce_by_key_impl_wrapped_configILNS1_25lookback_scan_determinismE0ES3_S9_NS6_6detail15normal_iteratorINS6_10device_ptrIyEEEESG_SG_SG_PmS8_22is_equal_div_10_reduceIyEEE10hipError_tPvRmT2_T3_mT4_T5_T6_T7_T8_P12ihipStream_tbENKUlT_T0_E_clISt17integral_constantIbLb1EES10_IbLb0EEEEDaSW_SX_EUlSW_E_NS1_11comp_targetILNS1_3genE4ELNS1_11target_archE910ELNS1_3gpuE8ELNS1_3repE0EEENS1_30default_config_static_selectorELNS0_4arch9wavefront6targetE0EEEvT1_
; %bb.0:
	.section	.rodata,"a",@progbits
	.p2align	6, 0x0
	.amdhsa_kernel _ZN7rocprim17ROCPRIM_400000_NS6detail17trampoline_kernelINS0_14default_configENS1_29reduce_by_key_config_selectorIyyN6thrust23THRUST_200600_302600_NS4plusIyEEEEZZNS1_33reduce_by_key_impl_wrapped_configILNS1_25lookback_scan_determinismE0ES3_S9_NS6_6detail15normal_iteratorINS6_10device_ptrIyEEEESG_SG_SG_PmS8_22is_equal_div_10_reduceIyEEE10hipError_tPvRmT2_T3_mT4_T5_T6_T7_T8_P12ihipStream_tbENKUlT_T0_E_clISt17integral_constantIbLb1EES10_IbLb0EEEEDaSW_SX_EUlSW_E_NS1_11comp_targetILNS1_3genE4ELNS1_11target_archE910ELNS1_3gpuE8ELNS1_3repE0EEENS1_30default_config_static_selectorELNS0_4arch9wavefront6targetE0EEEvT1_
		.amdhsa_group_segment_fixed_size 0
		.amdhsa_private_segment_fixed_size 0
		.amdhsa_kernarg_size 136
		.amdhsa_user_sgpr_count 15
		.amdhsa_user_sgpr_dispatch_ptr 0
		.amdhsa_user_sgpr_queue_ptr 0
		.amdhsa_user_sgpr_kernarg_segment_ptr 1
		.amdhsa_user_sgpr_dispatch_id 0
		.amdhsa_user_sgpr_private_segment_size 0
		.amdhsa_wavefront_size32 1
		.amdhsa_uses_dynamic_stack 0
		.amdhsa_enable_private_segment 0
		.amdhsa_system_sgpr_workgroup_id_x 1
		.amdhsa_system_sgpr_workgroup_id_y 0
		.amdhsa_system_sgpr_workgroup_id_z 0
		.amdhsa_system_sgpr_workgroup_info 0
		.amdhsa_system_vgpr_workitem_id 0
		.amdhsa_next_free_vgpr 1
		.amdhsa_next_free_sgpr 1
		.amdhsa_reserve_vcc 0
		.amdhsa_float_round_mode_32 0
		.amdhsa_float_round_mode_16_64 0
		.amdhsa_float_denorm_mode_32 3
		.amdhsa_float_denorm_mode_16_64 3
		.amdhsa_dx10_clamp 1
		.amdhsa_ieee_mode 1
		.amdhsa_fp16_overflow 0
		.amdhsa_workgroup_processor_mode 1
		.amdhsa_memory_ordered 1
		.amdhsa_forward_progress 0
		.amdhsa_shared_vgpr_count 0
		.amdhsa_exception_fp_ieee_invalid_op 0
		.amdhsa_exception_fp_denorm_src 0
		.amdhsa_exception_fp_ieee_div_zero 0
		.amdhsa_exception_fp_ieee_overflow 0
		.amdhsa_exception_fp_ieee_underflow 0
		.amdhsa_exception_fp_ieee_inexact 0
		.amdhsa_exception_int_div_zero 0
	.end_amdhsa_kernel
	.section	.text._ZN7rocprim17ROCPRIM_400000_NS6detail17trampoline_kernelINS0_14default_configENS1_29reduce_by_key_config_selectorIyyN6thrust23THRUST_200600_302600_NS4plusIyEEEEZZNS1_33reduce_by_key_impl_wrapped_configILNS1_25lookback_scan_determinismE0ES3_S9_NS6_6detail15normal_iteratorINS6_10device_ptrIyEEEESG_SG_SG_PmS8_22is_equal_div_10_reduceIyEEE10hipError_tPvRmT2_T3_mT4_T5_T6_T7_T8_P12ihipStream_tbENKUlT_T0_E_clISt17integral_constantIbLb1EES10_IbLb0EEEEDaSW_SX_EUlSW_E_NS1_11comp_targetILNS1_3genE4ELNS1_11target_archE910ELNS1_3gpuE8ELNS1_3repE0EEENS1_30default_config_static_selectorELNS0_4arch9wavefront6targetE0EEEvT1_,"axG",@progbits,_ZN7rocprim17ROCPRIM_400000_NS6detail17trampoline_kernelINS0_14default_configENS1_29reduce_by_key_config_selectorIyyN6thrust23THRUST_200600_302600_NS4plusIyEEEEZZNS1_33reduce_by_key_impl_wrapped_configILNS1_25lookback_scan_determinismE0ES3_S9_NS6_6detail15normal_iteratorINS6_10device_ptrIyEEEESG_SG_SG_PmS8_22is_equal_div_10_reduceIyEEE10hipError_tPvRmT2_T3_mT4_T5_T6_T7_T8_P12ihipStream_tbENKUlT_T0_E_clISt17integral_constantIbLb1EES10_IbLb0EEEEDaSW_SX_EUlSW_E_NS1_11comp_targetILNS1_3genE4ELNS1_11target_archE910ELNS1_3gpuE8ELNS1_3repE0EEENS1_30default_config_static_selectorELNS0_4arch9wavefront6targetE0EEEvT1_,comdat
.Lfunc_end297:
	.size	_ZN7rocprim17ROCPRIM_400000_NS6detail17trampoline_kernelINS0_14default_configENS1_29reduce_by_key_config_selectorIyyN6thrust23THRUST_200600_302600_NS4plusIyEEEEZZNS1_33reduce_by_key_impl_wrapped_configILNS1_25lookback_scan_determinismE0ES3_S9_NS6_6detail15normal_iteratorINS6_10device_ptrIyEEEESG_SG_SG_PmS8_22is_equal_div_10_reduceIyEEE10hipError_tPvRmT2_T3_mT4_T5_T6_T7_T8_P12ihipStream_tbENKUlT_T0_E_clISt17integral_constantIbLb1EES10_IbLb0EEEEDaSW_SX_EUlSW_E_NS1_11comp_targetILNS1_3genE4ELNS1_11target_archE910ELNS1_3gpuE8ELNS1_3repE0EEENS1_30default_config_static_selectorELNS0_4arch9wavefront6targetE0EEEvT1_, .Lfunc_end297-_ZN7rocprim17ROCPRIM_400000_NS6detail17trampoline_kernelINS0_14default_configENS1_29reduce_by_key_config_selectorIyyN6thrust23THRUST_200600_302600_NS4plusIyEEEEZZNS1_33reduce_by_key_impl_wrapped_configILNS1_25lookback_scan_determinismE0ES3_S9_NS6_6detail15normal_iteratorINS6_10device_ptrIyEEEESG_SG_SG_PmS8_22is_equal_div_10_reduceIyEEE10hipError_tPvRmT2_T3_mT4_T5_T6_T7_T8_P12ihipStream_tbENKUlT_T0_E_clISt17integral_constantIbLb1EES10_IbLb0EEEEDaSW_SX_EUlSW_E_NS1_11comp_targetILNS1_3genE4ELNS1_11target_archE910ELNS1_3gpuE8ELNS1_3repE0EEENS1_30default_config_static_selectorELNS0_4arch9wavefront6targetE0EEEvT1_
                                        ; -- End function
	.section	.AMDGPU.csdata,"",@progbits
; Kernel info:
; codeLenInByte = 0
; NumSgprs: 0
; NumVgprs: 0
; ScratchSize: 0
; MemoryBound: 0
; FloatMode: 240
; IeeeMode: 1
; LDSByteSize: 0 bytes/workgroup (compile time only)
; SGPRBlocks: 0
; VGPRBlocks: 0
; NumSGPRsForWavesPerEU: 1
; NumVGPRsForWavesPerEU: 1
; Occupancy: 16
; WaveLimiterHint : 0
; COMPUTE_PGM_RSRC2:SCRATCH_EN: 0
; COMPUTE_PGM_RSRC2:USER_SGPR: 15
; COMPUTE_PGM_RSRC2:TRAP_HANDLER: 0
; COMPUTE_PGM_RSRC2:TGID_X_EN: 1
; COMPUTE_PGM_RSRC2:TGID_Y_EN: 0
; COMPUTE_PGM_RSRC2:TGID_Z_EN: 0
; COMPUTE_PGM_RSRC2:TIDIG_COMP_CNT: 0
	.section	.text._ZN7rocprim17ROCPRIM_400000_NS6detail17trampoline_kernelINS0_14default_configENS1_29reduce_by_key_config_selectorIyyN6thrust23THRUST_200600_302600_NS4plusIyEEEEZZNS1_33reduce_by_key_impl_wrapped_configILNS1_25lookback_scan_determinismE0ES3_S9_NS6_6detail15normal_iteratorINS6_10device_ptrIyEEEESG_SG_SG_PmS8_22is_equal_div_10_reduceIyEEE10hipError_tPvRmT2_T3_mT4_T5_T6_T7_T8_P12ihipStream_tbENKUlT_T0_E_clISt17integral_constantIbLb1EES10_IbLb0EEEEDaSW_SX_EUlSW_E_NS1_11comp_targetILNS1_3genE3ELNS1_11target_archE908ELNS1_3gpuE7ELNS1_3repE0EEENS1_30default_config_static_selectorELNS0_4arch9wavefront6targetE0EEEvT1_,"axG",@progbits,_ZN7rocprim17ROCPRIM_400000_NS6detail17trampoline_kernelINS0_14default_configENS1_29reduce_by_key_config_selectorIyyN6thrust23THRUST_200600_302600_NS4plusIyEEEEZZNS1_33reduce_by_key_impl_wrapped_configILNS1_25lookback_scan_determinismE0ES3_S9_NS6_6detail15normal_iteratorINS6_10device_ptrIyEEEESG_SG_SG_PmS8_22is_equal_div_10_reduceIyEEE10hipError_tPvRmT2_T3_mT4_T5_T6_T7_T8_P12ihipStream_tbENKUlT_T0_E_clISt17integral_constantIbLb1EES10_IbLb0EEEEDaSW_SX_EUlSW_E_NS1_11comp_targetILNS1_3genE3ELNS1_11target_archE908ELNS1_3gpuE7ELNS1_3repE0EEENS1_30default_config_static_selectorELNS0_4arch9wavefront6targetE0EEEvT1_,comdat
	.protected	_ZN7rocprim17ROCPRIM_400000_NS6detail17trampoline_kernelINS0_14default_configENS1_29reduce_by_key_config_selectorIyyN6thrust23THRUST_200600_302600_NS4plusIyEEEEZZNS1_33reduce_by_key_impl_wrapped_configILNS1_25lookback_scan_determinismE0ES3_S9_NS6_6detail15normal_iteratorINS6_10device_ptrIyEEEESG_SG_SG_PmS8_22is_equal_div_10_reduceIyEEE10hipError_tPvRmT2_T3_mT4_T5_T6_T7_T8_P12ihipStream_tbENKUlT_T0_E_clISt17integral_constantIbLb1EES10_IbLb0EEEEDaSW_SX_EUlSW_E_NS1_11comp_targetILNS1_3genE3ELNS1_11target_archE908ELNS1_3gpuE7ELNS1_3repE0EEENS1_30default_config_static_selectorELNS0_4arch9wavefront6targetE0EEEvT1_ ; -- Begin function _ZN7rocprim17ROCPRIM_400000_NS6detail17trampoline_kernelINS0_14default_configENS1_29reduce_by_key_config_selectorIyyN6thrust23THRUST_200600_302600_NS4plusIyEEEEZZNS1_33reduce_by_key_impl_wrapped_configILNS1_25lookback_scan_determinismE0ES3_S9_NS6_6detail15normal_iteratorINS6_10device_ptrIyEEEESG_SG_SG_PmS8_22is_equal_div_10_reduceIyEEE10hipError_tPvRmT2_T3_mT4_T5_T6_T7_T8_P12ihipStream_tbENKUlT_T0_E_clISt17integral_constantIbLb1EES10_IbLb0EEEEDaSW_SX_EUlSW_E_NS1_11comp_targetILNS1_3genE3ELNS1_11target_archE908ELNS1_3gpuE7ELNS1_3repE0EEENS1_30default_config_static_selectorELNS0_4arch9wavefront6targetE0EEEvT1_
	.globl	_ZN7rocprim17ROCPRIM_400000_NS6detail17trampoline_kernelINS0_14default_configENS1_29reduce_by_key_config_selectorIyyN6thrust23THRUST_200600_302600_NS4plusIyEEEEZZNS1_33reduce_by_key_impl_wrapped_configILNS1_25lookback_scan_determinismE0ES3_S9_NS6_6detail15normal_iteratorINS6_10device_ptrIyEEEESG_SG_SG_PmS8_22is_equal_div_10_reduceIyEEE10hipError_tPvRmT2_T3_mT4_T5_T6_T7_T8_P12ihipStream_tbENKUlT_T0_E_clISt17integral_constantIbLb1EES10_IbLb0EEEEDaSW_SX_EUlSW_E_NS1_11comp_targetILNS1_3genE3ELNS1_11target_archE908ELNS1_3gpuE7ELNS1_3repE0EEENS1_30default_config_static_selectorELNS0_4arch9wavefront6targetE0EEEvT1_
	.p2align	8
	.type	_ZN7rocprim17ROCPRIM_400000_NS6detail17trampoline_kernelINS0_14default_configENS1_29reduce_by_key_config_selectorIyyN6thrust23THRUST_200600_302600_NS4plusIyEEEEZZNS1_33reduce_by_key_impl_wrapped_configILNS1_25lookback_scan_determinismE0ES3_S9_NS6_6detail15normal_iteratorINS6_10device_ptrIyEEEESG_SG_SG_PmS8_22is_equal_div_10_reduceIyEEE10hipError_tPvRmT2_T3_mT4_T5_T6_T7_T8_P12ihipStream_tbENKUlT_T0_E_clISt17integral_constantIbLb1EES10_IbLb0EEEEDaSW_SX_EUlSW_E_NS1_11comp_targetILNS1_3genE3ELNS1_11target_archE908ELNS1_3gpuE7ELNS1_3repE0EEENS1_30default_config_static_selectorELNS0_4arch9wavefront6targetE0EEEvT1_,@function
_ZN7rocprim17ROCPRIM_400000_NS6detail17trampoline_kernelINS0_14default_configENS1_29reduce_by_key_config_selectorIyyN6thrust23THRUST_200600_302600_NS4plusIyEEEEZZNS1_33reduce_by_key_impl_wrapped_configILNS1_25lookback_scan_determinismE0ES3_S9_NS6_6detail15normal_iteratorINS6_10device_ptrIyEEEESG_SG_SG_PmS8_22is_equal_div_10_reduceIyEEE10hipError_tPvRmT2_T3_mT4_T5_T6_T7_T8_P12ihipStream_tbENKUlT_T0_E_clISt17integral_constantIbLb1EES10_IbLb0EEEEDaSW_SX_EUlSW_E_NS1_11comp_targetILNS1_3genE3ELNS1_11target_archE908ELNS1_3gpuE7ELNS1_3repE0EEENS1_30default_config_static_selectorELNS0_4arch9wavefront6targetE0EEEvT1_: ; @_ZN7rocprim17ROCPRIM_400000_NS6detail17trampoline_kernelINS0_14default_configENS1_29reduce_by_key_config_selectorIyyN6thrust23THRUST_200600_302600_NS4plusIyEEEEZZNS1_33reduce_by_key_impl_wrapped_configILNS1_25lookback_scan_determinismE0ES3_S9_NS6_6detail15normal_iteratorINS6_10device_ptrIyEEEESG_SG_SG_PmS8_22is_equal_div_10_reduceIyEEE10hipError_tPvRmT2_T3_mT4_T5_T6_T7_T8_P12ihipStream_tbENKUlT_T0_E_clISt17integral_constantIbLb1EES10_IbLb0EEEEDaSW_SX_EUlSW_E_NS1_11comp_targetILNS1_3genE3ELNS1_11target_archE908ELNS1_3gpuE7ELNS1_3repE0EEENS1_30default_config_static_selectorELNS0_4arch9wavefront6targetE0EEEvT1_
; %bb.0:
	.section	.rodata,"a",@progbits
	.p2align	6, 0x0
	.amdhsa_kernel _ZN7rocprim17ROCPRIM_400000_NS6detail17trampoline_kernelINS0_14default_configENS1_29reduce_by_key_config_selectorIyyN6thrust23THRUST_200600_302600_NS4plusIyEEEEZZNS1_33reduce_by_key_impl_wrapped_configILNS1_25lookback_scan_determinismE0ES3_S9_NS6_6detail15normal_iteratorINS6_10device_ptrIyEEEESG_SG_SG_PmS8_22is_equal_div_10_reduceIyEEE10hipError_tPvRmT2_T3_mT4_T5_T6_T7_T8_P12ihipStream_tbENKUlT_T0_E_clISt17integral_constantIbLb1EES10_IbLb0EEEEDaSW_SX_EUlSW_E_NS1_11comp_targetILNS1_3genE3ELNS1_11target_archE908ELNS1_3gpuE7ELNS1_3repE0EEENS1_30default_config_static_selectorELNS0_4arch9wavefront6targetE0EEEvT1_
		.amdhsa_group_segment_fixed_size 0
		.amdhsa_private_segment_fixed_size 0
		.amdhsa_kernarg_size 136
		.amdhsa_user_sgpr_count 15
		.amdhsa_user_sgpr_dispatch_ptr 0
		.amdhsa_user_sgpr_queue_ptr 0
		.amdhsa_user_sgpr_kernarg_segment_ptr 1
		.amdhsa_user_sgpr_dispatch_id 0
		.amdhsa_user_sgpr_private_segment_size 0
		.amdhsa_wavefront_size32 1
		.amdhsa_uses_dynamic_stack 0
		.amdhsa_enable_private_segment 0
		.amdhsa_system_sgpr_workgroup_id_x 1
		.amdhsa_system_sgpr_workgroup_id_y 0
		.amdhsa_system_sgpr_workgroup_id_z 0
		.amdhsa_system_sgpr_workgroup_info 0
		.amdhsa_system_vgpr_workitem_id 0
		.amdhsa_next_free_vgpr 1
		.amdhsa_next_free_sgpr 1
		.amdhsa_reserve_vcc 0
		.amdhsa_float_round_mode_32 0
		.amdhsa_float_round_mode_16_64 0
		.amdhsa_float_denorm_mode_32 3
		.amdhsa_float_denorm_mode_16_64 3
		.amdhsa_dx10_clamp 1
		.amdhsa_ieee_mode 1
		.amdhsa_fp16_overflow 0
		.amdhsa_workgroup_processor_mode 1
		.amdhsa_memory_ordered 1
		.amdhsa_forward_progress 0
		.amdhsa_shared_vgpr_count 0
		.amdhsa_exception_fp_ieee_invalid_op 0
		.amdhsa_exception_fp_denorm_src 0
		.amdhsa_exception_fp_ieee_div_zero 0
		.amdhsa_exception_fp_ieee_overflow 0
		.amdhsa_exception_fp_ieee_underflow 0
		.amdhsa_exception_fp_ieee_inexact 0
		.amdhsa_exception_int_div_zero 0
	.end_amdhsa_kernel
	.section	.text._ZN7rocprim17ROCPRIM_400000_NS6detail17trampoline_kernelINS0_14default_configENS1_29reduce_by_key_config_selectorIyyN6thrust23THRUST_200600_302600_NS4plusIyEEEEZZNS1_33reduce_by_key_impl_wrapped_configILNS1_25lookback_scan_determinismE0ES3_S9_NS6_6detail15normal_iteratorINS6_10device_ptrIyEEEESG_SG_SG_PmS8_22is_equal_div_10_reduceIyEEE10hipError_tPvRmT2_T3_mT4_T5_T6_T7_T8_P12ihipStream_tbENKUlT_T0_E_clISt17integral_constantIbLb1EES10_IbLb0EEEEDaSW_SX_EUlSW_E_NS1_11comp_targetILNS1_3genE3ELNS1_11target_archE908ELNS1_3gpuE7ELNS1_3repE0EEENS1_30default_config_static_selectorELNS0_4arch9wavefront6targetE0EEEvT1_,"axG",@progbits,_ZN7rocprim17ROCPRIM_400000_NS6detail17trampoline_kernelINS0_14default_configENS1_29reduce_by_key_config_selectorIyyN6thrust23THRUST_200600_302600_NS4plusIyEEEEZZNS1_33reduce_by_key_impl_wrapped_configILNS1_25lookback_scan_determinismE0ES3_S9_NS6_6detail15normal_iteratorINS6_10device_ptrIyEEEESG_SG_SG_PmS8_22is_equal_div_10_reduceIyEEE10hipError_tPvRmT2_T3_mT4_T5_T6_T7_T8_P12ihipStream_tbENKUlT_T0_E_clISt17integral_constantIbLb1EES10_IbLb0EEEEDaSW_SX_EUlSW_E_NS1_11comp_targetILNS1_3genE3ELNS1_11target_archE908ELNS1_3gpuE7ELNS1_3repE0EEENS1_30default_config_static_selectorELNS0_4arch9wavefront6targetE0EEEvT1_,comdat
.Lfunc_end298:
	.size	_ZN7rocprim17ROCPRIM_400000_NS6detail17trampoline_kernelINS0_14default_configENS1_29reduce_by_key_config_selectorIyyN6thrust23THRUST_200600_302600_NS4plusIyEEEEZZNS1_33reduce_by_key_impl_wrapped_configILNS1_25lookback_scan_determinismE0ES3_S9_NS6_6detail15normal_iteratorINS6_10device_ptrIyEEEESG_SG_SG_PmS8_22is_equal_div_10_reduceIyEEE10hipError_tPvRmT2_T3_mT4_T5_T6_T7_T8_P12ihipStream_tbENKUlT_T0_E_clISt17integral_constantIbLb1EES10_IbLb0EEEEDaSW_SX_EUlSW_E_NS1_11comp_targetILNS1_3genE3ELNS1_11target_archE908ELNS1_3gpuE7ELNS1_3repE0EEENS1_30default_config_static_selectorELNS0_4arch9wavefront6targetE0EEEvT1_, .Lfunc_end298-_ZN7rocprim17ROCPRIM_400000_NS6detail17trampoline_kernelINS0_14default_configENS1_29reduce_by_key_config_selectorIyyN6thrust23THRUST_200600_302600_NS4plusIyEEEEZZNS1_33reduce_by_key_impl_wrapped_configILNS1_25lookback_scan_determinismE0ES3_S9_NS6_6detail15normal_iteratorINS6_10device_ptrIyEEEESG_SG_SG_PmS8_22is_equal_div_10_reduceIyEEE10hipError_tPvRmT2_T3_mT4_T5_T6_T7_T8_P12ihipStream_tbENKUlT_T0_E_clISt17integral_constantIbLb1EES10_IbLb0EEEEDaSW_SX_EUlSW_E_NS1_11comp_targetILNS1_3genE3ELNS1_11target_archE908ELNS1_3gpuE7ELNS1_3repE0EEENS1_30default_config_static_selectorELNS0_4arch9wavefront6targetE0EEEvT1_
                                        ; -- End function
	.section	.AMDGPU.csdata,"",@progbits
; Kernel info:
; codeLenInByte = 0
; NumSgprs: 0
; NumVgprs: 0
; ScratchSize: 0
; MemoryBound: 0
; FloatMode: 240
; IeeeMode: 1
; LDSByteSize: 0 bytes/workgroup (compile time only)
; SGPRBlocks: 0
; VGPRBlocks: 0
; NumSGPRsForWavesPerEU: 1
; NumVGPRsForWavesPerEU: 1
; Occupancy: 16
; WaveLimiterHint : 0
; COMPUTE_PGM_RSRC2:SCRATCH_EN: 0
; COMPUTE_PGM_RSRC2:USER_SGPR: 15
; COMPUTE_PGM_RSRC2:TRAP_HANDLER: 0
; COMPUTE_PGM_RSRC2:TGID_X_EN: 1
; COMPUTE_PGM_RSRC2:TGID_Y_EN: 0
; COMPUTE_PGM_RSRC2:TGID_Z_EN: 0
; COMPUTE_PGM_RSRC2:TIDIG_COMP_CNT: 0
	.section	.text._ZN7rocprim17ROCPRIM_400000_NS6detail17trampoline_kernelINS0_14default_configENS1_29reduce_by_key_config_selectorIyyN6thrust23THRUST_200600_302600_NS4plusIyEEEEZZNS1_33reduce_by_key_impl_wrapped_configILNS1_25lookback_scan_determinismE0ES3_S9_NS6_6detail15normal_iteratorINS6_10device_ptrIyEEEESG_SG_SG_PmS8_22is_equal_div_10_reduceIyEEE10hipError_tPvRmT2_T3_mT4_T5_T6_T7_T8_P12ihipStream_tbENKUlT_T0_E_clISt17integral_constantIbLb1EES10_IbLb0EEEEDaSW_SX_EUlSW_E_NS1_11comp_targetILNS1_3genE2ELNS1_11target_archE906ELNS1_3gpuE6ELNS1_3repE0EEENS1_30default_config_static_selectorELNS0_4arch9wavefront6targetE0EEEvT1_,"axG",@progbits,_ZN7rocprim17ROCPRIM_400000_NS6detail17trampoline_kernelINS0_14default_configENS1_29reduce_by_key_config_selectorIyyN6thrust23THRUST_200600_302600_NS4plusIyEEEEZZNS1_33reduce_by_key_impl_wrapped_configILNS1_25lookback_scan_determinismE0ES3_S9_NS6_6detail15normal_iteratorINS6_10device_ptrIyEEEESG_SG_SG_PmS8_22is_equal_div_10_reduceIyEEE10hipError_tPvRmT2_T3_mT4_T5_T6_T7_T8_P12ihipStream_tbENKUlT_T0_E_clISt17integral_constantIbLb1EES10_IbLb0EEEEDaSW_SX_EUlSW_E_NS1_11comp_targetILNS1_3genE2ELNS1_11target_archE906ELNS1_3gpuE6ELNS1_3repE0EEENS1_30default_config_static_selectorELNS0_4arch9wavefront6targetE0EEEvT1_,comdat
	.protected	_ZN7rocprim17ROCPRIM_400000_NS6detail17trampoline_kernelINS0_14default_configENS1_29reduce_by_key_config_selectorIyyN6thrust23THRUST_200600_302600_NS4plusIyEEEEZZNS1_33reduce_by_key_impl_wrapped_configILNS1_25lookback_scan_determinismE0ES3_S9_NS6_6detail15normal_iteratorINS6_10device_ptrIyEEEESG_SG_SG_PmS8_22is_equal_div_10_reduceIyEEE10hipError_tPvRmT2_T3_mT4_T5_T6_T7_T8_P12ihipStream_tbENKUlT_T0_E_clISt17integral_constantIbLb1EES10_IbLb0EEEEDaSW_SX_EUlSW_E_NS1_11comp_targetILNS1_3genE2ELNS1_11target_archE906ELNS1_3gpuE6ELNS1_3repE0EEENS1_30default_config_static_selectorELNS0_4arch9wavefront6targetE0EEEvT1_ ; -- Begin function _ZN7rocprim17ROCPRIM_400000_NS6detail17trampoline_kernelINS0_14default_configENS1_29reduce_by_key_config_selectorIyyN6thrust23THRUST_200600_302600_NS4plusIyEEEEZZNS1_33reduce_by_key_impl_wrapped_configILNS1_25lookback_scan_determinismE0ES3_S9_NS6_6detail15normal_iteratorINS6_10device_ptrIyEEEESG_SG_SG_PmS8_22is_equal_div_10_reduceIyEEE10hipError_tPvRmT2_T3_mT4_T5_T6_T7_T8_P12ihipStream_tbENKUlT_T0_E_clISt17integral_constantIbLb1EES10_IbLb0EEEEDaSW_SX_EUlSW_E_NS1_11comp_targetILNS1_3genE2ELNS1_11target_archE906ELNS1_3gpuE6ELNS1_3repE0EEENS1_30default_config_static_selectorELNS0_4arch9wavefront6targetE0EEEvT1_
	.globl	_ZN7rocprim17ROCPRIM_400000_NS6detail17trampoline_kernelINS0_14default_configENS1_29reduce_by_key_config_selectorIyyN6thrust23THRUST_200600_302600_NS4plusIyEEEEZZNS1_33reduce_by_key_impl_wrapped_configILNS1_25lookback_scan_determinismE0ES3_S9_NS6_6detail15normal_iteratorINS6_10device_ptrIyEEEESG_SG_SG_PmS8_22is_equal_div_10_reduceIyEEE10hipError_tPvRmT2_T3_mT4_T5_T6_T7_T8_P12ihipStream_tbENKUlT_T0_E_clISt17integral_constantIbLb1EES10_IbLb0EEEEDaSW_SX_EUlSW_E_NS1_11comp_targetILNS1_3genE2ELNS1_11target_archE906ELNS1_3gpuE6ELNS1_3repE0EEENS1_30default_config_static_selectorELNS0_4arch9wavefront6targetE0EEEvT1_
	.p2align	8
	.type	_ZN7rocprim17ROCPRIM_400000_NS6detail17trampoline_kernelINS0_14default_configENS1_29reduce_by_key_config_selectorIyyN6thrust23THRUST_200600_302600_NS4plusIyEEEEZZNS1_33reduce_by_key_impl_wrapped_configILNS1_25lookback_scan_determinismE0ES3_S9_NS6_6detail15normal_iteratorINS6_10device_ptrIyEEEESG_SG_SG_PmS8_22is_equal_div_10_reduceIyEEE10hipError_tPvRmT2_T3_mT4_T5_T6_T7_T8_P12ihipStream_tbENKUlT_T0_E_clISt17integral_constantIbLb1EES10_IbLb0EEEEDaSW_SX_EUlSW_E_NS1_11comp_targetILNS1_3genE2ELNS1_11target_archE906ELNS1_3gpuE6ELNS1_3repE0EEENS1_30default_config_static_selectorELNS0_4arch9wavefront6targetE0EEEvT1_,@function
_ZN7rocprim17ROCPRIM_400000_NS6detail17trampoline_kernelINS0_14default_configENS1_29reduce_by_key_config_selectorIyyN6thrust23THRUST_200600_302600_NS4plusIyEEEEZZNS1_33reduce_by_key_impl_wrapped_configILNS1_25lookback_scan_determinismE0ES3_S9_NS6_6detail15normal_iteratorINS6_10device_ptrIyEEEESG_SG_SG_PmS8_22is_equal_div_10_reduceIyEEE10hipError_tPvRmT2_T3_mT4_T5_T6_T7_T8_P12ihipStream_tbENKUlT_T0_E_clISt17integral_constantIbLb1EES10_IbLb0EEEEDaSW_SX_EUlSW_E_NS1_11comp_targetILNS1_3genE2ELNS1_11target_archE906ELNS1_3gpuE6ELNS1_3repE0EEENS1_30default_config_static_selectorELNS0_4arch9wavefront6targetE0EEEvT1_: ; @_ZN7rocprim17ROCPRIM_400000_NS6detail17trampoline_kernelINS0_14default_configENS1_29reduce_by_key_config_selectorIyyN6thrust23THRUST_200600_302600_NS4plusIyEEEEZZNS1_33reduce_by_key_impl_wrapped_configILNS1_25lookback_scan_determinismE0ES3_S9_NS6_6detail15normal_iteratorINS6_10device_ptrIyEEEESG_SG_SG_PmS8_22is_equal_div_10_reduceIyEEE10hipError_tPvRmT2_T3_mT4_T5_T6_T7_T8_P12ihipStream_tbENKUlT_T0_E_clISt17integral_constantIbLb1EES10_IbLb0EEEEDaSW_SX_EUlSW_E_NS1_11comp_targetILNS1_3genE2ELNS1_11target_archE906ELNS1_3gpuE6ELNS1_3repE0EEENS1_30default_config_static_selectorELNS0_4arch9wavefront6targetE0EEEvT1_
; %bb.0:
	.section	.rodata,"a",@progbits
	.p2align	6, 0x0
	.amdhsa_kernel _ZN7rocprim17ROCPRIM_400000_NS6detail17trampoline_kernelINS0_14default_configENS1_29reduce_by_key_config_selectorIyyN6thrust23THRUST_200600_302600_NS4plusIyEEEEZZNS1_33reduce_by_key_impl_wrapped_configILNS1_25lookback_scan_determinismE0ES3_S9_NS6_6detail15normal_iteratorINS6_10device_ptrIyEEEESG_SG_SG_PmS8_22is_equal_div_10_reduceIyEEE10hipError_tPvRmT2_T3_mT4_T5_T6_T7_T8_P12ihipStream_tbENKUlT_T0_E_clISt17integral_constantIbLb1EES10_IbLb0EEEEDaSW_SX_EUlSW_E_NS1_11comp_targetILNS1_3genE2ELNS1_11target_archE906ELNS1_3gpuE6ELNS1_3repE0EEENS1_30default_config_static_selectorELNS0_4arch9wavefront6targetE0EEEvT1_
		.amdhsa_group_segment_fixed_size 0
		.amdhsa_private_segment_fixed_size 0
		.amdhsa_kernarg_size 136
		.amdhsa_user_sgpr_count 15
		.amdhsa_user_sgpr_dispatch_ptr 0
		.amdhsa_user_sgpr_queue_ptr 0
		.amdhsa_user_sgpr_kernarg_segment_ptr 1
		.amdhsa_user_sgpr_dispatch_id 0
		.amdhsa_user_sgpr_private_segment_size 0
		.amdhsa_wavefront_size32 1
		.amdhsa_uses_dynamic_stack 0
		.amdhsa_enable_private_segment 0
		.amdhsa_system_sgpr_workgroup_id_x 1
		.amdhsa_system_sgpr_workgroup_id_y 0
		.amdhsa_system_sgpr_workgroup_id_z 0
		.amdhsa_system_sgpr_workgroup_info 0
		.amdhsa_system_vgpr_workitem_id 0
		.amdhsa_next_free_vgpr 1
		.amdhsa_next_free_sgpr 1
		.amdhsa_reserve_vcc 0
		.amdhsa_float_round_mode_32 0
		.amdhsa_float_round_mode_16_64 0
		.amdhsa_float_denorm_mode_32 3
		.amdhsa_float_denorm_mode_16_64 3
		.amdhsa_dx10_clamp 1
		.amdhsa_ieee_mode 1
		.amdhsa_fp16_overflow 0
		.amdhsa_workgroup_processor_mode 1
		.amdhsa_memory_ordered 1
		.amdhsa_forward_progress 0
		.amdhsa_shared_vgpr_count 0
		.amdhsa_exception_fp_ieee_invalid_op 0
		.amdhsa_exception_fp_denorm_src 0
		.amdhsa_exception_fp_ieee_div_zero 0
		.amdhsa_exception_fp_ieee_overflow 0
		.amdhsa_exception_fp_ieee_underflow 0
		.amdhsa_exception_fp_ieee_inexact 0
		.amdhsa_exception_int_div_zero 0
	.end_amdhsa_kernel
	.section	.text._ZN7rocprim17ROCPRIM_400000_NS6detail17trampoline_kernelINS0_14default_configENS1_29reduce_by_key_config_selectorIyyN6thrust23THRUST_200600_302600_NS4plusIyEEEEZZNS1_33reduce_by_key_impl_wrapped_configILNS1_25lookback_scan_determinismE0ES3_S9_NS6_6detail15normal_iteratorINS6_10device_ptrIyEEEESG_SG_SG_PmS8_22is_equal_div_10_reduceIyEEE10hipError_tPvRmT2_T3_mT4_T5_T6_T7_T8_P12ihipStream_tbENKUlT_T0_E_clISt17integral_constantIbLb1EES10_IbLb0EEEEDaSW_SX_EUlSW_E_NS1_11comp_targetILNS1_3genE2ELNS1_11target_archE906ELNS1_3gpuE6ELNS1_3repE0EEENS1_30default_config_static_selectorELNS0_4arch9wavefront6targetE0EEEvT1_,"axG",@progbits,_ZN7rocprim17ROCPRIM_400000_NS6detail17trampoline_kernelINS0_14default_configENS1_29reduce_by_key_config_selectorIyyN6thrust23THRUST_200600_302600_NS4plusIyEEEEZZNS1_33reduce_by_key_impl_wrapped_configILNS1_25lookback_scan_determinismE0ES3_S9_NS6_6detail15normal_iteratorINS6_10device_ptrIyEEEESG_SG_SG_PmS8_22is_equal_div_10_reduceIyEEE10hipError_tPvRmT2_T3_mT4_T5_T6_T7_T8_P12ihipStream_tbENKUlT_T0_E_clISt17integral_constantIbLb1EES10_IbLb0EEEEDaSW_SX_EUlSW_E_NS1_11comp_targetILNS1_3genE2ELNS1_11target_archE906ELNS1_3gpuE6ELNS1_3repE0EEENS1_30default_config_static_selectorELNS0_4arch9wavefront6targetE0EEEvT1_,comdat
.Lfunc_end299:
	.size	_ZN7rocprim17ROCPRIM_400000_NS6detail17trampoline_kernelINS0_14default_configENS1_29reduce_by_key_config_selectorIyyN6thrust23THRUST_200600_302600_NS4plusIyEEEEZZNS1_33reduce_by_key_impl_wrapped_configILNS1_25lookback_scan_determinismE0ES3_S9_NS6_6detail15normal_iteratorINS6_10device_ptrIyEEEESG_SG_SG_PmS8_22is_equal_div_10_reduceIyEEE10hipError_tPvRmT2_T3_mT4_T5_T6_T7_T8_P12ihipStream_tbENKUlT_T0_E_clISt17integral_constantIbLb1EES10_IbLb0EEEEDaSW_SX_EUlSW_E_NS1_11comp_targetILNS1_3genE2ELNS1_11target_archE906ELNS1_3gpuE6ELNS1_3repE0EEENS1_30default_config_static_selectorELNS0_4arch9wavefront6targetE0EEEvT1_, .Lfunc_end299-_ZN7rocprim17ROCPRIM_400000_NS6detail17trampoline_kernelINS0_14default_configENS1_29reduce_by_key_config_selectorIyyN6thrust23THRUST_200600_302600_NS4plusIyEEEEZZNS1_33reduce_by_key_impl_wrapped_configILNS1_25lookback_scan_determinismE0ES3_S9_NS6_6detail15normal_iteratorINS6_10device_ptrIyEEEESG_SG_SG_PmS8_22is_equal_div_10_reduceIyEEE10hipError_tPvRmT2_T3_mT4_T5_T6_T7_T8_P12ihipStream_tbENKUlT_T0_E_clISt17integral_constantIbLb1EES10_IbLb0EEEEDaSW_SX_EUlSW_E_NS1_11comp_targetILNS1_3genE2ELNS1_11target_archE906ELNS1_3gpuE6ELNS1_3repE0EEENS1_30default_config_static_selectorELNS0_4arch9wavefront6targetE0EEEvT1_
                                        ; -- End function
	.section	.AMDGPU.csdata,"",@progbits
; Kernel info:
; codeLenInByte = 0
; NumSgprs: 0
; NumVgprs: 0
; ScratchSize: 0
; MemoryBound: 0
; FloatMode: 240
; IeeeMode: 1
; LDSByteSize: 0 bytes/workgroup (compile time only)
; SGPRBlocks: 0
; VGPRBlocks: 0
; NumSGPRsForWavesPerEU: 1
; NumVGPRsForWavesPerEU: 1
; Occupancy: 16
; WaveLimiterHint : 0
; COMPUTE_PGM_RSRC2:SCRATCH_EN: 0
; COMPUTE_PGM_RSRC2:USER_SGPR: 15
; COMPUTE_PGM_RSRC2:TRAP_HANDLER: 0
; COMPUTE_PGM_RSRC2:TGID_X_EN: 1
; COMPUTE_PGM_RSRC2:TGID_Y_EN: 0
; COMPUTE_PGM_RSRC2:TGID_Z_EN: 0
; COMPUTE_PGM_RSRC2:TIDIG_COMP_CNT: 0
	.section	.text._ZN7rocprim17ROCPRIM_400000_NS6detail17trampoline_kernelINS0_14default_configENS1_29reduce_by_key_config_selectorIyyN6thrust23THRUST_200600_302600_NS4plusIyEEEEZZNS1_33reduce_by_key_impl_wrapped_configILNS1_25lookback_scan_determinismE0ES3_S9_NS6_6detail15normal_iteratorINS6_10device_ptrIyEEEESG_SG_SG_PmS8_22is_equal_div_10_reduceIyEEE10hipError_tPvRmT2_T3_mT4_T5_T6_T7_T8_P12ihipStream_tbENKUlT_T0_E_clISt17integral_constantIbLb1EES10_IbLb0EEEEDaSW_SX_EUlSW_E_NS1_11comp_targetILNS1_3genE10ELNS1_11target_archE1201ELNS1_3gpuE5ELNS1_3repE0EEENS1_30default_config_static_selectorELNS0_4arch9wavefront6targetE0EEEvT1_,"axG",@progbits,_ZN7rocprim17ROCPRIM_400000_NS6detail17trampoline_kernelINS0_14default_configENS1_29reduce_by_key_config_selectorIyyN6thrust23THRUST_200600_302600_NS4plusIyEEEEZZNS1_33reduce_by_key_impl_wrapped_configILNS1_25lookback_scan_determinismE0ES3_S9_NS6_6detail15normal_iteratorINS6_10device_ptrIyEEEESG_SG_SG_PmS8_22is_equal_div_10_reduceIyEEE10hipError_tPvRmT2_T3_mT4_T5_T6_T7_T8_P12ihipStream_tbENKUlT_T0_E_clISt17integral_constantIbLb1EES10_IbLb0EEEEDaSW_SX_EUlSW_E_NS1_11comp_targetILNS1_3genE10ELNS1_11target_archE1201ELNS1_3gpuE5ELNS1_3repE0EEENS1_30default_config_static_selectorELNS0_4arch9wavefront6targetE0EEEvT1_,comdat
	.protected	_ZN7rocprim17ROCPRIM_400000_NS6detail17trampoline_kernelINS0_14default_configENS1_29reduce_by_key_config_selectorIyyN6thrust23THRUST_200600_302600_NS4plusIyEEEEZZNS1_33reduce_by_key_impl_wrapped_configILNS1_25lookback_scan_determinismE0ES3_S9_NS6_6detail15normal_iteratorINS6_10device_ptrIyEEEESG_SG_SG_PmS8_22is_equal_div_10_reduceIyEEE10hipError_tPvRmT2_T3_mT4_T5_T6_T7_T8_P12ihipStream_tbENKUlT_T0_E_clISt17integral_constantIbLb1EES10_IbLb0EEEEDaSW_SX_EUlSW_E_NS1_11comp_targetILNS1_3genE10ELNS1_11target_archE1201ELNS1_3gpuE5ELNS1_3repE0EEENS1_30default_config_static_selectorELNS0_4arch9wavefront6targetE0EEEvT1_ ; -- Begin function _ZN7rocprim17ROCPRIM_400000_NS6detail17trampoline_kernelINS0_14default_configENS1_29reduce_by_key_config_selectorIyyN6thrust23THRUST_200600_302600_NS4plusIyEEEEZZNS1_33reduce_by_key_impl_wrapped_configILNS1_25lookback_scan_determinismE0ES3_S9_NS6_6detail15normal_iteratorINS6_10device_ptrIyEEEESG_SG_SG_PmS8_22is_equal_div_10_reduceIyEEE10hipError_tPvRmT2_T3_mT4_T5_T6_T7_T8_P12ihipStream_tbENKUlT_T0_E_clISt17integral_constantIbLb1EES10_IbLb0EEEEDaSW_SX_EUlSW_E_NS1_11comp_targetILNS1_3genE10ELNS1_11target_archE1201ELNS1_3gpuE5ELNS1_3repE0EEENS1_30default_config_static_selectorELNS0_4arch9wavefront6targetE0EEEvT1_
	.globl	_ZN7rocprim17ROCPRIM_400000_NS6detail17trampoline_kernelINS0_14default_configENS1_29reduce_by_key_config_selectorIyyN6thrust23THRUST_200600_302600_NS4plusIyEEEEZZNS1_33reduce_by_key_impl_wrapped_configILNS1_25lookback_scan_determinismE0ES3_S9_NS6_6detail15normal_iteratorINS6_10device_ptrIyEEEESG_SG_SG_PmS8_22is_equal_div_10_reduceIyEEE10hipError_tPvRmT2_T3_mT4_T5_T6_T7_T8_P12ihipStream_tbENKUlT_T0_E_clISt17integral_constantIbLb1EES10_IbLb0EEEEDaSW_SX_EUlSW_E_NS1_11comp_targetILNS1_3genE10ELNS1_11target_archE1201ELNS1_3gpuE5ELNS1_3repE0EEENS1_30default_config_static_selectorELNS0_4arch9wavefront6targetE0EEEvT1_
	.p2align	8
	.type	_ZN7rocprim17ROCPRIM_400000_NS6detail17trampoline_kernelINS0_14default_configENS1_29reduce_by_key_config_selectorIyyN6thrust23THRUST_200600_302600_NS4plusIyEEEEZZNS1_33reduce_by_key_impl_wrapped_configILNS1_25lookback_scan_determinismE0ES3_S9_NS6_6detail15normal_iteratorINS6_10device_ptrIyEEEESG_SG_SG_PmS8_22is_equal_div_10_reduceIyEEE10hipError_tPvRmT2_T3_mT4_T5_T6_T7_T8_P12ihipStream_tbENKUlT_T0_E_clISt17integral_constantIbLb1EES10_IbLb0EEEEDaSW_SX_EUlSW_E_NS1_11comp_targetILNS1_3genE10ELNS1_11target_archE1201ELNS1_3gpuE5ELNS1_3repE0EEENS1_30default_config_static_selectorELNS0_4arch9wavefront6targetE0EEEvT1_,@function
_ZN7rocprim17ROCPRIM_400000_NS6detail17trampoline_kernelINS0_14default_configENS1_29reduce_by_key_config_selectorIyyN6thrust23THRUST_200600_302600_NS4plusIyEEEEZZNS1_33reduce_by_key_impl_wrapped_configILNS1_25lookback_scan_determinismE0ES3_S9_NS6_6detail15normal_iteratorINS6_10device_ptrIyEEEESG_SG_SG_PmS8_22is_equal_div_10_reduceIyEEE10hipError_tPvRmT2_T3_mT4_T5_T6_T7_T8_P12ihipStream_tbENKUlT_T0_E_clISt17integral_constantIbLb1EES10_IbLb0EEEEDaSW_SX_EUlSW_E_NS1_11comp_targetILNS1_3genE10ELNS1_11target_archE1201ELNS1_3gpuE5ELNS1_3repE0EEENS1_30default_config_static_selectorELNS0_4arch9wavefront6targetE0EEEvT1_: ; @_ZN7rocprim17ROCPRIM_400000_NS6detail17trampoline_kernelINS0_14default_configENS1_29reduce_by_key_config_selectorIyyN6thrust23THRUST_200600_302600_NS4plusIyEEEEZZNS1_33reduce_by_key_impl_wrapped_configILNS1_25lookback_scan_determinismE0ES3_S9_NS6_6detail15normal_iteratorINS6_10device_ptrIyEEEESG_SG_SG_PmS8_22is_equal_div_10_reduceIyEEE10hipError_tPvRmT2_T3_mT4_T5_T6_T7_T8_P12ihipStream_tbENKUlT_T0_E_clISt17integral_constantIbLb1EES10_IbLb0EEEEDaSW_SX_EUlSW_E_NS1_11comp_targetILNS1_3genE10ELNS1_11target_archE1201ELNS1_3gpuE5ELNS1_3repE0EEENS1_30default_config_static_selectorELNS0_4arch9wavefront6targetE0EEEvT1_
; %bb.0:
	.section	.rodata,"a",@progbits
	.p2align	6, 0x0
	.amdhsa_kernel _ZN7rocprim17ROCPRIM_400000_NS6detail17trampoline_kernelINS0_14default_configENS1_29reduce_by_key_config_selectorIyyN6thrust23THRUST_200600_302600_NS4plusIyEEEEZZNS1_33reduce_by_key_impl_wrapped_configILNS1_25lookback_scan_determinismE0ES3_S9_NS6_6detail15normal_iteratorINS6_10device_ptrIyEEEESG_SG_SG_PmS8_22is_equal_div_10_reduceIyEEE10hipError_tPvRmT2_T3_mT4_T5_T6_T7_T8_P12ihipStream_tbENKUlT_T0_E_clISt17integral_constantIbLb1EES10_IbLb0EEEEDaSW_SX_EUlSW_E_NS1_11comp_targetILNS1_3genE10ELNS1_11target_archE1201ELNS1_3gpuE5ELNS1_3repE0EEENS1_30default_config_static_selectorELNS0_4arch9wavefront6targetE0EEEvT1_
		.amdhsa_group_segment_fixed_size 0
		.amdhsa_private_segment_fixed_size 0
		.amdhsa_kernarg_size 136
		.amdhsa_user_sgpr_count 15
		.amdhsa_user_sgpr_dispatch_ptr 0
		.amdhsa_user_sgpr_queue_ptr 0
		.amdhsa_user_sgpr_kernarg_segment_ptr 1
		.amdhsa_user_sgpr_dispatch_id 0
		.amdhsa_user_sgpr_private_segment_size 0
		.amdhsa_wavefront_size32 1
		.amdhsa_uses_dynamic_stack 0
		.amdhsa_enable_private_segment 0
		.amdhsa_system_sgpr_workgroup_id_x 1
		.amdhsa_system_sgpr_workgroup_id_y 0
		.amdhsa_system_sgpr_workgroup_id_z 0
		.amdhsa_system_sgpr_workgroup_info 0
		.amdhsa_system_vgpr_workitem_id 0
		.amdhsa_next_free_vgpr 1
		.amdhsa_next_free_sgpr 1
		.amdhsa_reserve_vcc 0
		.amdhsa_float_round_mode_32 0
		.amdhsa_float_round_mode_16_64 0
		.amdhsa_float_denorm_mode_32 3
		.amdhsa_float_denorm_mode_16_64 3
		.amdhsa_dx10_clamp 1
		.amdhsa_ieee_mode 1
		.amdhsa_fp16_overflow 0
		.amdhsa_workgroup_processor_mode 1
		.amdhsa_memory_ordered 1
		.amdhsa_forward_progress 0
		.amdhsa_shared_vgpr_count 0
		.amdhsa_exception_fp_ieee_invalid_op 0
		.amdhsa_exception_fp_denorm_src 0
		.amdhsa_exception_fp_ieee_div_zero 0
		.amdhsa_exception_fp_ieee_overflow 0
		.amdhsa_exception_fp_ieee_underflow 0
		.amdhsa_exception_fp_ieee_inexact 0
		.amdhsa_exception_int_div_zero 0
	.end_amdhsa_kernel
	.section	.text._ZN7rocprim17ROCPRIM_400000_NS6detail17trampoline_kernelINS0_14default_configENS1_29reduce_by_key_config_selectorIyyN6thrust23THRUST_200600_302600_NS4plusIyEEEEZZNS1_33reduce_by_key_impl_wrapped_configILNS1_25lookback_scan_determinismE0ES3_S9_NS6_6detail15normal_iteratorINS6_10device_ptrIyEEEESG_SG_SG_PmS8_22is_equal_div_10_reduceIyEEE10hipError_tPvRmT2_T3_mT4_T5_T6_T7_T8_P12ihipStream_tbENKUlT_T0_E_clISt17integral_constantIbLb1EES10_IbLb0EEEEDaSW_SX_EUlSW_E_NS1_11comp_targetILNS1_3genE10ELNS1_11target_archE1201ELNS1_3gpuE5ELNS1_3repE0EEENS1_30default_config_static_selectorELNS0_4arch9wavefront6targetE0EEEvT1_,"axG",@progbits,_ZN7rocprim17ROCPRIM_400000_NS6detail17trampoline_kernelINS0_14default_configENS1_29reduce_by_key_config_selectorIyyN6thrust23THRUST_200600_302600_NS4plusIyEEEEZZNS1_33reduce_by_key_impl_wrapped_configILNS1_25lookback_scan_determinismE0ES3_S9_NS6_6detail15normal_iteratorINS6_10device_ptrIyEEEESG_SG_SG_PmS8_22is_equal_div_10_reduceIyEEE10hipError_tPvRmT2_T3_mT4_T5_T6_T7_T8_P12ihipStream_tbENKUlT_T0_E_clISt17integral_constantIbLb1EES10_IbLb0EEEEDaSW_SX_EUlSW_E_NS1_11comp_targetILNS1_3genE10ELNS1_11target_archE1201ELNS1_3gpuE5ELNS1_3repE0EEENS1_30default_config_static_selectorELNS0_4arch9wavefront6targetE0EEEvT1_,comdat
.Lfunc_end300:
	.size	_ZN7rocprim17ROCPRIM_400000_NS6detail17trampoline_kernelINS0_14default_configENS1_29reduce_by_key_config_selectorIyyN6thrust23THRUST_200600_302600_NS4plusIyEEEEZZNS1_33reduce_by_key_impl_wrapped_configILNS1_25lookback_scan_determinismE0ES3_S9_NS6_6detail15normal_iteratorINS6_10device_ptrIyEEEESG_SG_SG_PmS8_22is_equal_div_10_reduceIyEEE10hipError_tPvRmT2_T3_mT4_T5_T6_T7_T8_P12ihipStream_tbENKUlT_T0_E_clISt17integral_constantIbLb1EES10_IbLb0EEEEDaSW_SX_EUlSW_E_NS1_11comp_targetILNS1_3genE10ELNS1_11target_archE1201ELNS1_3gpuE5ELNS1_3repE0EEENS1_30default_config_static_selectorELNS0_4arch9wavefront6targetE0EEEvT1_, .Lfunc_end300-_ZN7rocprim17ROCPRIM_400000_NS6detail17trampoline_kernelINS0_14default_configENS1_29reduce_by_key_config_selectorIyyN6thrust23THRUST_200600_302600_NS4plusIyEEEEZZNS1_33reduce_by_key_impl_wrapped_configILNS1_25lookback_scan_determinismE0ES3_S9_NS6_6detail15normal_iteratorINS6_10device_ptrIyEEEESG_SG_SG_PmS8_22is_equal_div_10_reduceIyEEE10hipError_tPvRmT2_T3_mT4_T5_T6_T7_T8_P12ihipStream_tbENKUlT_T0_E_clISt17integral_constantIbLb1EES10_IbLb0EEEEDaSW_SX_EUlSW_E_NS1_11comp_targetILNS1_3genE10ELNS1_11target_archE1201ELNS1_3gpuE5ELNS1_3repE0EEENS1_30default_config_static_selectorELNS0_4arch9wavefront6targetE0EEEvT1_
                                        ; -- End function
	.section	.AMDGPU.csdata,"",@progbits
; Kernel info:
; codeLenInByte = 0
; NumSgprs: 0
; NumVgprs: 0
; ScratchSize: 0
; MemoryBound: 0
; FloatMode: 240
; IeeeMode: 1
; LDSByteSize: 0 bytes/workgroup (compile time only)
; SGPRBlocks: 0
; VGPRBlocks: 0
; NumSGPRsForWavesPerEU: 1
; NumVGPRsForWavesPerEU: 1
; Occupancy: 16
; WaveLimiterHint : 0
; COMPUTE_PGM_RSRC2:SCRATCH_EN: 0
; COMPUTE_PGM_RSRC2:USER_SGPR: 15
; COMPUTE_PGM_RSRC2:TRAP_HANDLER: 0
; COMPUTE_PGM_RSRC2:TGID_X_EN: 1
; COMPUTE_PGM_RSRC2:TGID_Y_EN: 0
; COMPUTE_PGM_RSRC2:TGID_Z_EN: 0
; COMPUTE_PGM_RSRC2:TIDIG_COMP_CNT: 0
	.section	.text._ZN7rocprim17ROCPRIM_400000_NS6detail17trampoline_kernelINS0_14default_configENS1_29reduce_by_key_config_selectorIyyN6thrust23THRUST_200600_302600_NS4plusIyEEEEZZNS1_33reduce_by_key_impl_wrapped_configILNS1_25lookback_scan_determinismE0ES3_S9_NS6_6detail15normal_iteratorINS6_10device_ptrIyEEEESG_SG_SG_PmS8_22is_equal_div_10_reduceIyEEE10hipError_tPvRmT2_T3_mT4_T5_T6_T7_T8_P12ihipStream_tbENKUlT_T0_E_clISt17integral_constantIbLb1EES10_IbLb0EEEEDaSW_SX_EUlSW_E_NS1_11comp_targetILNS1_3genE10ELNS1_11target_archE1200ELNS1_3gpuE4ELNS1_3repE0EEENS1_30default_config_static_selectorELNS0_4arch9wavefront6targetE0EEEvT1_,"axG",@progbits,_ZN7rocprim17ROCPRIM_400000_NS6detail17trampoline_kernelINS0_14default_configENS1_29reduce_by_key_config_selectorIyyN6thrust23THRUST_200600_302600_NS4plusIyEEEEZZNS1_33reduce_by_key_impl_wrapped_configILNS1_25lookback_scan_determinismE0ES3_S9_NS6_6detail15normal_iteratorINS6_10device_ptrIyEEEESG_SG_SG_PmS8_22is_equal_div_10_reduceIyEEE10hipError_tPvRmT2_T3_mT4_T5_T6_T7_T8_P12ihipStream_tbENKUlT_T0_E_clISt17integral_constantIbLb1EES10_IbLb0EEEEDaSW_SX_EUlSW_E_NS1_11comp_targetILNS1_3genE10ELNS1_11target_archE1200ELNS1_3gpuE4ELNS1_3repE0EEENS1_30default_config_static_selectorELNS0_4arch9wavefront6targetE0EEEvT1_,comdat
	.protected	_ZN7rocprim17ROCPRIM_400000_NS6detail17trampoline_kernelINS0_14default_configENS1_29reduce_by_key_config_selectorIyyN6thrust23THRUST_200600_302600_NS4plusIyEEEEZZNS1_33reduce_by_key_impl_wrapped_configILNS1_25lookback_scan_determinismE0ES3_S9_NS6_6detail15normal_iteratorINS6_10device_ptrIyEEEESG_SG_SG_PmS8_22is_equal_div_10_reduceIyEEE10hipError_tPvRmT2_T3_mT4_T5_T6_T7_T8_P12ihipStream_tbENKUlT_T0_E_clISt17integral_constantIbLb1EES10_IbLb0EEEEDaSW_SX_EUlSW_E_NS1_11comp_targetILNS1_3genE10ELNS1_11target_archE1200ELNS1_3gpuE4ELNS1_3repE0EEENS1_30default_config_static_selectorELNS0_4arch9wavefront6targetE0EEEvT1_ ; -- Begin function _ZN7rocprim17ROCPRIM_400000_NS6detail17trampoline_kernelINS0_14default_configENS1_29reduce_by_key_config_selectorIyyN6thrust23THRUST_200600_302600_NS4plusIyEEEEZZNS1_33reduce_by_key_impl_wrapped_configILNS1_25lookback_scan_determinismE0ES3_S9_NS6_6detail15normal_iteratorINS6_10device_ptrIyEEEESG_SG_SG_PmS8_22is_equal_div_10_reduceIyEEE10hipError_tPvRmT2_T3_mT4_T5_T6_T7_T8_P12ihipStream_tbENKUlT_T0_E_clISt17integral_constantIbLb1EES10_IbLb0EEEEDaSW_SX_EUlSW_E_NS1_11comp_targetILNS1_3genE10ELNS1_11target_archE1200ELNS1_3gpuE4ELNS1_3repE0EEENS1_30default_config_static_selectorELNS0_4arch9wavefront6targetE0EEEvT1_
	.globl	_ZN7rocprim17ROCPRIM_400000_NS6detail17trampoline_kernelINS0_14default_configENS1_29reduce_by_key_config_selectorIyyN6thrust23THRUST_200600_302600_NS4plusIyEEEEZZNS1_33reduce_by_key_impl_wrapped_configILNS1_25lookback_scan_determinismE0ES3_S9_NS6_6detail15normal_iteratorINS6_10device_ptrIyEEEESG_SG_SG_PmS8_22is_equal_div_10_reduceIyEEE10hipError_tPvRmT2_T3_mT4_T5_T6_T7_T8_P12ihipStream_tbENKUlT_T0_E_clISt17integral_constantIbLb1EES10_IbLb0EEEEDaSW_SX_EUlSW_E_NS1_11comp_targetILNS1_3genE10ELNS1_11target_archE1200ELNS1_3gpuE4ELNS1_3repE0EEENS1_30default_config_static_selectorELNS0_4arch9wavefront6targetE0EEEvT1_
	.p2align	8
	.type	_ZN7rocprim17ROCPRIM_400000_NS6detail17trampoline_kernelINS0_14default_configENS1_29reduce_by_key_config_selectorIyyN6thrust23THRUST_200600_302600_NS4plusIyEEEEZZNS1_33reduce_by_key_impl_wrapped_configILNS1_25lookback_scan_determinismE0ES3_S9_NS6_6detail15normal_iteratorINS6_10device_ptrIyEEEESG_SG_SG_PmS8_22is_equal_div_10_reduceIyEEE10hipError_tPvRmT2_T3_mT4_T5_T6_T7_T8_P12ihipStream_tbENKUlT_T0_E_clISt17integral_constantIbLb1EES10_IbLb0EEEEDaSW_SX_EUlSW_E_NS1_11comp_targetILNS1_3genE10ELNS1_11target_archE1200ELNS1_3gpuE4ELNS1_3repE0EEENS1_30default_config_static_selectorELNS0_4arch9wavefront6targetE0EEEvT1_,@function
_ZN7rocprim17ROCPRIM_400000_NS6detail17trampoline_kernelINS0_14default_configENS1_29reduce_by_key_config_selectorIyyN6thrust23THRUST_200600_302600_NS4plusIyEEEEZZNS1_33reduce_by_key_impl_wrapped_configILNS1_25lookback_scan_determinismE0ES3_S9_NS6_6detail15normal_iteratorINS6_10device_ptrIyEEEESG_SG_SG_PmS8_22is_equal_div_10_reduceIyEEE10hipError_tPvRmT2_T3_mT4_T5_T6_T7_T8_P12ihipStream_tbENKUlT_T0_E_clISt17integral_constantIbLb1EES10_IbLb0EEEEDaSW_SX_EUlSW_E_NS1_11comp_targetILNS1_3genE10ELNS1_11target_archE1200ELNS1_3gpuE4ELNS1_3repE0EEENS1_30default_config_static_selectorELNS0_4arch9wavefront6targetE0EEEvT1_: ; @_ZN7rocprim17ROCPRIM_400000_NS6detail17trampoline_kernelINS0_14default_configENS1_29reduce_by_key_config_selectorIyyN6thrust23THRUST_200600_302600_NS4plusIyEEEEZZNS1_33reduce_by_key_impl_wrapped_configILNS1_25lookback_scan_determinismE0ES3_S9_NS6_6detail15normal_iteratorINS6_10device_ptrIyEEEESG_SG_SG_PmS8_22is_equal_div_10_reduceIyEEE10hipError_tPvRmT2_T3_mT4_T5_T6_T7_T8_P12ihipStream_tbENKUlT_T0_E_clISt17integral_constantIbLb1EES10_IbLb0EEEEDaSW_SX_EUlSW_E_NS1_11comp_targetILNS1_3genE10ELNS1_11target_archE1200ELNS1_3gpuE4ELNS1_3repE0EEENS1_30default_config_static_selectorELNS0_4arch9wavefront6targetE0EEEvT1_
; %bb.0:
	.section	.rodata,"a",@progbits
	.p2align	6, 0x0
	.amdhsa_kernel _ZN7rocprim17ROCPRIM_400000_NS6detail17trampoline_kernelINS0_14default_configENS1_29reduce_by_key_config_selectorIyyN6thrust23THRUST_200600_302600_NS4plusIyEEEEZZNS1_33reduce_by_key_impl_wrapped_configILNS1_25lookback_scan_determinismE0ES3_S9_NS6_6detail15normal_iteratorINS6_10device_ptrIyEEEESG_SG_SG_PmS8_22is_equal_div_10_reduceIyEEE10hipError_tPvRmT2_T3_mT4_T5_T6_T7_T8_P12ihipStream_tbENKUlT_T0_E_clISt17integral_constantIbLb1EES10_IbLb0EEEEDaSW_SX_EUlSW_E_NS1_11comp_targetILNS1_3genE10ELNS1_11target_archE1200ELNS1_3gpuE4ELNS1_3repE0EEENS1_30default_config_static_selectorELNS0_4arch9wavefront6targetE0EEEvT1_
		.amdhsa_group_segment_fixed_size 0
		.amdhsa_private_segment_fixed_size 0
		.amdhsa_kernarg_size 136
		.amdhsa_user_sgpr_count 15
		.amdhsa_user_sgpr_dispatch_ptr 0
		.amdhsa_user_sgpr_queue_ptr 0
		.amdhsa_user_sgpr_kernarg_segment_ptr 1
		.amdhsa_user_sgpr_dispatch_id 0
		.amdhsa_user_sgpr_private_segment_size 0
		.amdhsa_wavefront_size32 1
		.amdhsa_uses_dynamic_stack 0
		.amdhsa_enable_private_segment 0
		.amdhsa_system_sgpr_workgroup_id_x 1
		.amdhsa_system_sgpr_workgroup_id_y 0
		.amdhsa_system_sgpr_workgroup_id_z 0
		.amdhsa_system_sgpr_workgroup_info 0
		.amdhsa_system_vgpr_workitem_id 0
		.amdhsa_next_free_vgpr 1
		.amdhsa_next_free_sgpr 1
		.amdhsa_reserve_vcc 0
		.amdhsa_float_round_mode_32 0
		.amdhsa_float_round_mode_16_64 0
		.amdhsa_float_denorm_mode_32 3
		.amdhsa_float_denorm_mode_16_64 3
		.amdhsa_dx10_clamp 1
		.amdhsa_ieee_mode 1
		.amdhsa_fp16_overflow 0
		.amdhsa_workgroup_processor_mode 1
		.amdhsa_memory_ordered 1
		.amdhsa_forward_progress 0
		.amdhsa_shared_vgpr_count 0
		.amdhsa_exception_fp_ieee_invalid_op 0
		.amdhsa_exception_fp_denorm_src 0
		.amdhsa_exception_fp_ieee_div_zero 0
		.amdhsa_exception_fp_ieee_overflow 0
		.amdhsa_exception_fp_ieee_underflow 0
		.amdhsa_exception_fp_ieee_inexact 0
		.amdhsa_exception_int_div_zero 0
	.end_amdhsa_kernel
	.section	.text._ZN7rocprim17ROCPRIM_400000_NS6detail17trampoline_kernelINS0_14default_configENS1_29reduce_by_key_config_selectorIyyN6thrust23THRUST_200600_302600_NS4plusIyEEEEZZNS1_33reduce_by_key_impl_wrapped_configILNS1_25lookback_scan_determinismE0ES3_S9_NS6_6detail15normal_iteratorINS6_10device_ptrIyEEEESG_SG_SG_PmS8_22is_equal_div_10_reduceIyEEE10hipError_tPvRmT2_T3_mT4_T5_T6_T7_T8_P12ihipStream_tbENKUlT_T0_E_clISt17integral_constantIbLb1EES10_IbLb0EEEEDaSW_SX_EUlSW_E_NS1_11comp_targetILNS1_3genE10ELNS1_11target_archE1200ELNS1_3gpuE4ELNS1_3repE0EEENS1_30default_config_static_selectorELNS0_4arch9wavefront6targetE0EEEvT1_,"axG",@progbits,_ZN7rocprim17ROCPRIM_400000_NS6detail17trampoline_kernelINS0_14default_configENS1_29reduce_by_key_config_selectorIyyN6thrust23THRUST_200600_302600_NS4plusIyEEEEZZNS1_33reduce_by_key_impl_wrapped_configILNS1_25lookback_scan_determinismE0ES3_S9_NS6_6detail15normal_iteratorINS6_10device_ptrIyEEEESG_SG_SG_PmS8_22is_equal_div_10_reduceIyEEE10hipError_tPvRmT2_T3_mT4_T5_T6_T7_T8_P12ihipStream_tbENKUlT_T0_E_clISt17integral_constantIbLb1EES10_IbLb0EEEEDaSW_SX_EUlSW_E_NS1_11comp_targetILNS1_3genE10ELNS1_11target_archE1200ELNS1_3gpuE4ELNS1_3repE0EEENS1_30default_config_static_selectorELNS0_4arch9wavefront6targetE0EEEvT1_,comdat
.Lfunc_end301:
	.size	_ZN7rocprim17ROCPRIM_400000_NS6detail17trampoline_kernelINS0_14default_configENS1_29reduce_by_key_config_selectorIyyN6thrust23THRUST_200600_302600_NS4plusIyEEEEZZNS1_33reduce_by_key_impl_wrapped_configILNS1_25lookback_scan_determinismE0ES3_S9_NS6_6detail15normal_iteratorINS6_10device_ptrIyEEEESG_SG_SG_PmS8_22is_equal_div_10_reduceIyEEE10hipError_tPvRmT2_T3_mT4_T5_T6_T7_T8_P12ihipStream_tbENKUlT_T0_E_clISt17integral_constantIbLb1EES10_IbLb0EEEEDaSW_SX_EUlSW_E_NS1_11comp_targetILNS1_3genE10ELNS1_11target_archE1200ELNS1_3gpuE4ELNS1_3repE0EEENS1_30default_config_static_selectorELNS0_4arch9wavefront6targetE0EEEvT1_, .Lfunc_end301-_ZN7rocprim17ROCPRIM_400000_NS6detail17trampoline_kernelINS0_14default_configENS1_29reduce_by_key_config_selectorIyyN6thrust23THRUST_200600_302600_NS4plusIyEEEEZZNS1_33reduce_by_key_impl_wrapped_configILNS1_25lookback_scan_determinismE0ES3_S9_NS6_6detail15normal_iteratorINS6_10device_ptrIyEEEESG_SG_SG_PmS8_22is_equal_div_10_reduceIyEEE10hipError_tPvRmT2_T3_mT4_T5_T6_T7_T8_P12ihipStream_tbENKUlT_T0_E_clISt17integral_constantIbLb1EES10_IbLb0EEEEDaSW_SX_EUlSW_E_NS1_11comp_targetILNS1_3genE10ELNS1_11target_archE1200ELNS1_3gpuE4ELNS1_3repE0EEENS1_30default_config_static_selectorELNS0_4arch9wavefront6targetE0EEEvT1_
                                        ; -- End function
	.section	.AMDGPU.csdata,"",@progbits
; Kernel info:
; codeLenInByte = 0
; NumSgprs: 0
; NumVgprs: 0
; ScratchSize: 0
; MemoryBound: 0
; FloatMode: 240
; IeeeMode: 1
; LDSByteSize: 0 bytes/workgroup (compile time only)
; SGPRBlocks: 0
; VGPRBlocks: 0
; NumSGPRsForWavesPerEU: 1
; NumVGPRsForWavesPerEU: 1
; Occupancy: 16
; WaveLimiterHint : 0
; COMPUTE_PGM_RSRC2:SCRATCH_EN: 0
; COMPUTE_PGM_RSRC2:USER_SGPR: 15
; COMPUTE_PGM_RSRC2:TRAP_HANDLER: 0
; COMPUTE_PGM_RSRC2:TGID_X_EN: 1
; COMPUTE_PGM_RSRC2:TGID_Y_EN: 0
; COMPUTE_PGM_RSRC2:TGID_Z_EN: 0
; COMPUTE_PGM_RSRC2:TIDIG_COMP_CNT: 0
	.section	.text._ZN7rocprim17ROCPRIM_400000_NS6detail17trampoline_kernelINS0_14default_configENS1_29reduce_by_key_config_selectorIyyN6thrust23THRUST_200600_302600_NS4plusIyEEEEZZNS1_33reduce_by_key_impl_wrapped_configILNS1_25lookback_scan_determinismE0ES3_S9_NS6_6detail15normal_iteratorINS6_10device_ptrIyEEEESG_SG_SG_PmS8_22is_equal_div_10_reduceIyEEE10hipError_tPvRmT2_T3_mT4_T5_T6_T7_T8_P12ihipStream_tbENKUlT_T0_E_clISt17integral_constantIbLb1EES10_IbLb0EEEEDaSW_SX_EUlSW_E_NS1_11comp_targetILNS1_3genE9ELNS1_11target_archE1100ELNS1_3gpuE3ELNS1_3repE0EEENS1_30default_config_static_selectorELNS0_4arch9wavefront6targetE0EEEvT1_,"axG",@progbits,_ZN7rocprim17ROCPRIM_400000_NS6detail17trampoline_kernelINS0_14default_configENS1_29reduce_by_key_config_selectorIyyN6thrust23THRUST_200600_302600_NS4plusIyEEEEZZNS1_33reduce_by_key_impl_wrapped_configILNS1_25lookback_scan_determinismE0ES3_S9_NS6_6detail15normal_iteratorINS6_10device_ptrIyEEEESG_SG_SG_PmS8_22is_equal_div_10_reduceIyEEE10hipError_tPvRmT2_T3_mT4_T5_T6_T7_T8_P12ihipStream_tbENKUlT_T0_E_clISt17integral_constantIbLb1EES10_IbLb0EEEEDaSW_SX_EUlSW_E_NS1_11comp_targetILNS1_3genE9ELNS1_11target_archE1100ELNS1_3gpuE3ELNS1_3repE0EEENS1_30default_config_static_selectorELNS0_4arch9wavefront6targetE0EEEvT1_,comdat
	.protected	_ZN7rocprim17ROCPRIM_400000_NS6detail17trampoline_kernelINS0_14default_configENS1_29reduce_by_key_config_selectorIyyN6thrust23THRUST_200600_302600_NS4plusIyEEEEZZNS1_33reduce_by_key_impl_wrapped_configILNS1_25lookback_scan_determinismE0ES3_S9_NS6_6detail15normal_iteratorINS6_10device_ptrIyEEEESG_SG_SG_PmS8_22is_equal_div_10_reduceIyEEE10hipError_tPvRmT2_T3_mT4_T5_T6_T7_T8_P12ihipStream_tbENKUlT_T0_E_clISt17integral_constantIbLb1EES10_IbLb0EEEEDaSW_SX_EUlSW_E_NS1_11comp_targetILNS1_3genE9ELNS1_11target_archE1100ELNS1_3gpuE3ELNS1_3repE0EEENS1_30default_config_static_selectorELNS0_4arch9wavefront6targetE0EEEvT1_ ; -- Begin function _ZN7rocprim17ROCPRIM_400000_NS6detail17trampoline_kernelINS0_14default_configENS1_29reduce_by_key_config_selectorIyyN6thrust23THRUST_200600_302600_NS4plusIyEEEEZZNS1_33reduce_by_key_impl_wrapped_configILNS1_25lookback_scan_determinismE0ES3_S9_NS6_6detail15normal_iteratorINS6_10device_ptrIyEEEESG_SG_SG_PmS8_22is_equal_div_10_reduceIyEEE10hipError_tPvRmT2_T3_mT4_T5_T6_T7_T8_P12ihipStream_tbENKUlT_T0_E_clISt17integral_constantIbLb1EES10_IbLb0EEEEDaSW_SX_EUlSW_E_NS1_11comp_targetILNS1_3genE9ELNS1_11target_archE1100ELNS1_3gpuE3ELNS1_3repE0EEENS1_30default_config_static_selectorELNS0_4arch9wavefront6targetE0EEEvT1_
	.globl	_ZN7rocprim17ROCPRIM_400000_NS6detail17trampoline_kernelINS0_14default_configENS1_29reduce_by_key_config_selectorIyyN6thrust23THRUST_200600_302600_NS4plusIyEEEEZZNS1_33reduce_by_key_impl_wrapped_configILNS1_25lookback_scan_determinismE0ES3_S9_NS6_6detail15normal_iteratorINS6_10device_ptrIyEEEESG_SG_SG_PmS8_22is_equal_div_10_reduceIyEEE10hipError_tPvRmT2_T3_mT4_T5_T6_T7_T8_P12ihipStream_tbENKUlT_T0_E_clISt17integral_constantIbLb1EES10_IbLb0EEEEDaSW_SX_EUlSW_E_NS1_11comp_targetILNS1_3genE9ELNS1_11target_archE1100ELNS1_3gpuE3ELNS1_3repE0EEENS1_30default_config_static_selectorELNS0_4arch9wavefront6targetE0EEEvT1_
	.p2align	8
	.type	_ZN7rocprim17ROCPRIM_400000_NS6detail17trampoline_kernelINS0_14default_configENS1_29reduce_by_key_config_selectorIyyN6thrust23THRUST_200600_302600_NS4plusIyEEEEZZNS1_33reduce_by_key_impl_wrapped_configILNS1_25lookback_scan_determinismE0ES3_S9_NS6_6detail15normal_iteratorINS6_10device_ptrIyEEEESG_SG_SG_PmS8_22is_equal_div_10_reduceIyEEE10hipError_tPvRmT2_T3_mT4_T5_T6_T7_T8_P12ihipStream_tbENKUlT_T0_E_clISt17integral_constantIbLb1EES10_IbLb0EEEEDaSW_SX_EUlSW_E_NS1_11comp_targetILNS1_3genE9ELNS1_11target_archE1100ELNS1_3gpuE3ELNS1_3repE0EEENS1_30default_config_static_selectorELNS0_4arch9wavefront6targetE0EEEvT1_,@function
_ZN7rocprim17ROCPRIM_400000_NS6detail17trampoline_kernelINS0_14default_configENS1_29reduce_by_key_config_selectorIyyN6thrust23THRUST_200600_302600_NS4plusIyEEEEZZNS1_33reduce_by_key_impl_wrapped_configILNS1_25lookback_scan_determinismE0ES3_S9_NS6_6detail15normal_iteratorINS6_10device_ptrIyEEEESG_SG_SG_PmS8_22is_equal_div_10_reduceIyEEE10hipError_tPvRmT2_T3_mT4_T5_T6_T7_T8_P12ihipStream_tbENKUlT_T0_E_clISt17integral_constantIbLb1EES10_IbLb0EEEEDaSW_SX_EUlSW_E_NS1_11comp_targetILNS1_3genE9ELNS1_11target_archE1100ELNS1_3gpuE3ELNS1_3repE0EEENS1_30default_config_static_selectorELNS0_4arch9wavefront6targetE0EEEvT1_: ; @_ZN7rocprim17ROCPRIM_400000_NS6detail17trampoline_kernelINS0_14default_configENS1_29reduce_by_key_config_selectorIyyN6thrust23THRUST_200600_302600_NS4plusIyEEEEZZNS1_33reduce_by_key_impl_wrapped_configILNS1_25lookback_scan_determinismE0ES3_S9_NS6_6detail15normal_iteratorINS6_10device_ptrIyEEEESG_SG_SG_PmS8_22is_equal_div_10_reduceIyEEE10hipError_tPvRmT2_T3_mT4_T5_T6_T7_T8_P12ihipStream_tbENKUlT_T0_E_clISt17integral_constantIbLb1EES10_IbLb0EEEEDaSW_SX_EUlSW_E_NS1_11comp_targetILNS1_3genE9ELNS1_11target_archE1100ELNS1_3gpuE3ELNS1_3repE0EEENS1_30default_config_static_selectorELNS0_4arch9wavefront6targetE0EEEvT1_
; %bb.0:
	s_clause 0x2
	s_load_b256 s[36:43], s[0:1], 0x0
	s_load_b512 s[16:31], s[0:1], 0x38
	s_load_b128 s[44:47], s[0:1], 0x20
	s_mov_b32 s3, 0
	s_mul_i32 s2, s15, 0xf00
	s_waitcnt lgkmcnt(0)
	s_lshl_b64 s[4:5], s[38:39], 3
	s_mul_i32 s6, s24, s23
	s_add_u32 s10, s36, s4
	s_mul_hi_u32 s7, s24, s22
	s_addc_u32 s11, s37, s5
	s_add_u32 s12, s40, s4
	s_mul_i32 s8, s25, s22
	s_addc_u32 s13, s41, s5
	s_add_i32 s6, s7, s6
	s_lshl_b64 s[4:5], s[2:3], 3
	s_add_i32 s6, s6, s8
	s_add_u32 s14, s10, s4
	s_addc_u32 s36, s11, s5
	s_mul_i32 s9, s24, s22
	s_add_u32 s33, s12, s4
	s_addc_u32 s38, s13, s5
	s_add_u32 s34, s9, s15
	s_addc_u32 s35, s6, 0
	s_add_u32 s4, s26, -1
	s_addc_u32 s5, s27, -1
	s_mul_i32 s27, s4, 0xfffff100
	s_cmp_eq_u64 s[34:35], s[4:5]
	s_cselect_b32 s26, -1, 0
	s_cmp_lg_u64 s[34:35], s[4:5]
	s_cselect_b32 s37, -1, 0
	s_and_b32 vcc_lo, exec_lo, s26
	s_cbranch_vccnz .LBB302_2
; %bb.1:
	v_lshlrev_b32_e32 v62, 3, v0
	s_delay_alu instid0(VALU_DEP_1) | instskip(NEXT) | instid1(VALU_DEP_1)
	v_add_co_u32 v1, s2, s14, v62
	v_add_co_ci_u32_e64 v2, null, s36, 0, s2
	v_add_co_u32 v31, s2, s33, v62
	s_delay_alu instid0(VALU_DEP_3) | instskip(NEXT) | instid1(VALU_DEP_3)
	v_add_co_u32 v3, vcc_lo, 0x1000, v1
	v_add_co_ci_u32_e32 v4, vcc_lo, 0, v2, vcc_lo
	v_add_co_u32 v5, vcc_lo, 0x2000, v1
	v_add_co_ci_u32_e32 v6, vcc_lo, 0, v2, vcc_lo
	;; [unrolled: 2-line block ×6, first 2 shown]
	s_clause 0x7
	flat_load_b64 v[9:10], v[1:2]
	flat_load_b64 v[11:12], v[1:2] offset:2048
	flat_load_b64 v[13:14], v[3:4]
	flat_load_b64 v[3:4], v[3:4] offset:2048
	;; [unrolled: 2-line block ×4, first 2 shown]
	v_add_co_u32 v1, vcc_lo, 0x7000, v1
	v_add_co_ci_u32_e32 v2, vcc_lo, 0, v2, vcc_lo
	s_clause 0x6
	flat_load_b64 v[25:26], v[19:20]
	flat_load_b64 v[19:20], v[19:20] offset:2048
	flat_load_b64 v[27:28], v[21:22]
	flat_load_b64 v[21:22], v[21:22] offset:2048
	;; [unrolled: 2-line block ×3, first 2 shown]
	flat_load_b64 v[1:2], v[1:2]
	v_add_co_ci_u32_e64 v32, null, s38, 0, s2
	v_add_co_u32 v33, vcc_lo, 0x1000, v31
	v_mad_u32_u24 v61, 0x70, v0, v62
	s_delay_alu instid0(VALU_DEP_3)
	v_add_co_ci_u32_e32 v34, vcc_lo, 0, v32, vcc_lo
	v_add_co_u32 v35, vcc_lo, 0x2000, v31
	v_add_co_ci_u32_e32 v36, vcc_lo, 0, v32, vcc_lo
	v_add_co_u32 v37, vcc_lo, 0x3000, v31
	;; [unrolled: 2-line block ×6, first 2 shown]
	v_add_co_ci_u32_e32 v46, vcc_lo, 0, v32, vcc_lo
	s_waitcnt vmcnt(13) lgkmcnt(13)
	ds_store_2addr_stride64_b64 v62, v[9:10], v[11:12] offset1:4
	s_waitcnt vmcnt(11) lgkmcnt(12)
	ds_store_2addr_stride64_b64 v62, v[13:14], v[3:4] offset0:8 offset1:12
	s_waitcnt vmcnt(9) lgkmcnt(11)
	ds_store_2addr_stride64_b64 v62, v[15:16], v[5:6] offset0:16 offset1:20
	;; [unrolled: 2-line block ×6, first 2 shown]
	s_waitcnt vmcnt(0) lgkmcnt(7)
	ds_store_b64 v62, v[1:2] offset:28672
	s_waitcnt lgkmcnt(0)
	s_barrier
	buffer_gl0_inv
	ds_load_2addr_b64 v[25:28], v61 offset1:1
	ds_load_2addr_b64 v[21:24], v61 offset0:2 offset1:3
	ds_load_2addr_b64 v[17:20], v61 offset0:4 offset1:5
	;; [unrolled: 1-line block ×6, first 2 shown]
	ds_load_b64 v[57:58], v61 offset:112
	s_waitcnt lgkmcnt(0)
	s_barrier
	buffer_gl0_inv
	s_clause 0xe
	flat_load_b64 v[29:30], v[31:32]
	flat_load_b64 v[31:32], v[31:32] offset:2048
	flat_load_b64 v[47:48], v[33:34]
	flat_load_b64 v[33:34], v[33:34] offset:2048
	;; [unrolled: 2-line block ×7, first 2 shown]
	flat_load_b64 v[45:46], v[45:46]
	s_waitcnt vmcnt(13) lgkmcnt(13)
	ds_store_2addr_stride64_b64 v62, v[29:30], v[31:32] offset1:4
	s_waitcnt vmcnt(11) lgkmcnt(12)
	ds_store_2addr_stride64_b64 v62, v[47:48], v[33:34] offset0:8 offset1:12
	s_waitcnt vmcnt(9) lgkmcnt(11)
	ds_store_2addr_stride64_b64 v62, v[49:50], v[35:36] offset0:16 offset1:20
	;; [unrolled: 2-line block ×6, first 2 shown]
	s_waitcnt vmcnt(0) lgkmcnt(7)
	ds_store_b64 v62, v[45:46] offset:28672
	s_waitcnt lgkmcnt(0)
	s_barrier
	s_load_b64 s[24:25], s[0:1], 0x78
	s_and_not1_b32 vcc_lo, exec_lo, s3
	s_add_i32 s27, s27, s28
	s_cbranch_vccz .LBB302_3
	s_branch .LBB302_50
.LBB302_2:
                                        ; implicit-def: $vgpr61
                                        ; implicit-def: $vgpr25_vgpr26
                                        ; implicit-def: $vgpr21_vgpr22
                                        ; implicit-def: $vgpr17_vgpr18
                                        ; implicit-def: $vgpr13_vgpr14
                                        ; implicit-def: $vgpr9_vgpr10
                                        ; implicit-def: $vgpr5_vgpr6
                                        ; implicit-def: $vgpr1_vgpr2
                                        ; implicit-def: $vgpr57_vgpr58
	s_load_b64 s[24:25], s[0:1], 0x78
	s_add_i32 s27, s27, s28
.LBB302_3:
	s_delay_alu instid0(SALU_CYCLE_1)
	v_cmp_gt_u32_e32 vcc_lo, s27, v0
                                        ; implicit-def: $vgpr1_vgpr2
	s_and_saveexec_b32 s0, vcc_lo
	s_cbranch_execz .LBB302_5
; %bb.4:
	v_lshlrev_b32_e32 v1, 3, v0
	s_delay_alu instid0(VALU_DEP_1) | instskip(NEXT) | instid1(VALU_DEP_1)
	v_add_co_u32 v1, s1, s14, v1
	v_add_co_ci_u32_e64 v2, null, s36, 0, s1
	flat_load_b64 v[1:2], v[1:2]
.LBB302_5:
	s_or_b32 exec_lo, exec_lo, s0
	v_or_b32_e32 v3, 0x100, v0
	s_delay_alu instid0(VALU_DEP_1) | instskip(NEXT) | instid1(VALU_DEP_1)
	v_cmp_gt_u32_e64 s0, s27, v3
                                        ; implicit-def: $vgpr3_vgpr4
	s_and_saveexec_b32 s1, s0
	s_cbranch_execz .LBB302_7
; %bb.6:
	v_lshlrev_b32_e32 v3, 3, v0
	s_delay_alu instid0(VALU_DEP_1) | instskip(NEXT) | instid1(VALU_DEP_1)
	v_add_co_u32 v3, s2, s14, v3
	v_add_co_ci_u32_e64 v4, null, s36, 0, s2
	flat_load_b64 v[3:4], v[3:4] offset:2048
.LBB302_7:
	s_or_b32 exec_lo, exec_lo, s1
	v_or_b32_e32 v35, 0x200, v0
                                        ; implicit-def: $vgpr5_vgpr6
	s_delay_alu instid0(VALU_DEP_1) | instskip(NEXT) | instid1(VALU_DEP_1)
	v_cmp_gt_u32_e64 s1, s27, v35
	s_and_saveexec_b32 s2, s1
	s_cbranch_execz .LBB302_9
; %bb.8:
	v_lshlrev_b32_e32 v5, 3, v35
	s_delay_alu instid0(VALU_DEP_1) | instskip(NEXT) | instid1(VALU_DEP_1)
	v_add_co_u32 v5, s3, s14, v5
	v_add_co_ci_u32_e64 v6, null, s36, 0, s3
	flat_load_b64 v[5:6], v[5:6]
.LBB302_9:
	s_or_b32 exec_lo, exec_lo, s2
	v_or_b32_e32 v37, 0x300, v0
                                        ; implicit-def: $vgpr7_vgpr8
	s_delay_alu instid0(VALU_DEP_1) | instskip(NEXT) | instid1(VALU_DEP_1)
	v_cmp_gt_u32_e64 s2, s27, v37
	s_and_saveexec_b32 s3, s2
	s_cbranch_execz .LBB302_11
; %bb.10:
	v_lshlrev_b32_e32 v7, 3, v37
	s_delay_alu instid0(VALU_DEP_1) | instskip(NEXT) | instid1(VALU_DEP_1)
	v_add_co_u32 v7, s4, s14, v7
	v_add_co_ci_u32_e64 v8, null, s36, 0, s4
	flat_load_b64 v[7:8], v[7:8]
.LBB302_11:
	s_or_b32 exec_lo, exec_lo, s3
	v_or_b32_e32 v39, 0x400, v0
                                        ; implicit-def: $vgpr9_vgpr10
	s_delay_alu instid0(VALU_DEP_1) | instskip(NEXT) | instid1(VALU_DEP_1)
	v_cmp_gt_u32_e64 s3, s27, v39
	s_and_saveexec_b32 s4, s3
	s_cbranch_execz .LBB302_13
; %bb.12:
	v_lshlrev_b32_e32 v9, 3, v39
	s_delay_alu instid0(VALU_DEP_1) | instskip(NEXT) | instid1(VALU_DEP_1)
	v_add_co_u32 v9, s5, s14, v9
	v_add_co_ci_u32_e64 v10, null, s36, 0, s5
	flat_load_b64 v[9:10], v[9:10]
.LBB302_13:
	s_or_b32 exec_lo, exec_lo, s4
	v_or_b32_e32 v41, 0x500, v0
                                        ; implicit-def: $vgpr11_vgpr12
	s_delay_alu instid0(VALU_DEP_1) | instskip(NEXT) | instid1(VALU_DEP_1)
	v_cmp_gt_u32_e64 s4, s27, v41
	s_and_saveexec_b32 s5, s4
	s_cbranch_execz .LBB302_15
; %bb.14:
	v_lshlrev_b32_e32 v11, 3, v41
	s_delay_alu instid0(VALU_DEP_1) | instskip(NEXT) | instid1(VALU_DEP_1)
	v_add_co_u32 v11, s6, s14, v11
	v_add_co_ci_u32_e64 v12, null, s36, 0, s6
	flat_load_b64 v[11:12], v[11:12]
.LBB302_15:
	s_or_b32 exec_lo, exec_lo, s5
	v_or_b32_e32 v43, 0x600, v0
                                        ; implicit-def: $vgpr13_vgpr14
	s_delay_alu instid0(VALU_DEP_1) | instskip(NEXT) | instid1(VALU_DEP_1)
	v_cmp_gt_u32_e64 s5, s27, v43
	s_and_saveexec_b32 s6, s5
	s_cbranch_execz .LBB302_17
; %bb.16:
	v_lshlrev_b32_e32 v13, 3, v43
	s_delay_alu instid0(VALU_DEP_1) | instskip(NEXT) | instid1(VALU_DEP_1)
	v_add_co_u32 v13, s7, s14, v13
	v_add_co_ci_u32_e64 v14, null, s36, 0, s7
	flat_load_b64 v[13:14], v[13:14]
.LBB302_17:
	s_or_b32 exec_lo, exec_lo, s6
	v_or_b32_e32 v45, 0x700, v0
                                        ; implicit-def: $vgpr15_vgpr16
	s_delay_alu instid0(VALU_DEP_1) | instskip(NEXT) | instid1(VALU_DEP_1)
	v_cmp_gt_u32_e64 s6, s27, v45
	s_and_saveexec_b32 s7, s6
	s_cbranch_execz .LBB302_19
; %bb.18:
	v_lshlrev_b32_e32 v15, 3, v45
	s_delay_alu instid0(VALU_DEP_1) | instskip(NEXT) | instid1(VALU_DEP_1)
	v_add_co_u32 v15, s8, s14, v15
	v_add_co_ci_u32_e64 v16, null, s36, 0, s8
	flat_load_b64 v[15:16], v[15:16]
.LBB302_19:
	s_or_b32 exec_lo, exec_lo, s7
	v_or_b32_e32 v47, 0x800, v0
                                        ; implicit-def: $vgpr17_vgpr18
	s_delay_alu instid0(VALU_DEP_1) | instskip(NEXT) | instid1(VALU_DEP_1)
	v_cmp_gt_u32_e64 s7, s27, v47
	s_and_saveexec_b32 s8, s7
	s_cbranch_execz .LBB302_21
; %bb.20:
	v_lshlrev_b32_e32 v17, 3, v47
	s_delay_alu instid0(VALU_DEP_1) | instskip(NEXT) | instid1(VALU_DEP_1)
	v_add_co_u32 v17, s9, s14, v17
	v_add_co_ci_u32_e64 v18, null, s36, 0, s9
	flat_load_b64 v[17:18], v[17:18]
.LBB302_21:
	s_or_b32 exec_lo, exec_lo, s8
	v_or_b32_e32 v49, 0x900, v0
                                        ; implicit-def: $vgpr19_vgpr20
	s_delay_alu instid0(VALU_DEP_1) | instskip(NEXT) | instid1(VALU_DEP_1)
	v_cmp_gt_u32_e64 s8, s27, v49
	s_and_saveexec_b32 s9, s8
	s_cbranch_execz .LBB302_23
; %bb.22:
	v_lshlrev_b32_e32 v19, 3, v49
	s_delay_alu instid0(VALU_DEP_1) | instskip(NEXT) | instid1(VALU_DEP_1)
	v_add_co_u32 v19, s10, s14, v19
	v_add_co_ci_u32_e64 v20, null, s36, 0, s10
	flat_load_b64 v[19:20], v[19:20]
.LBB302_23:
	s_or_b32 exec_lo, exec_lo, s9
	v_or_b32_e32 v51, 0xa00, v0
                                        ; implicit-def: $vgpr21_vgpr22
	s_delay_alu instid0(VALU_DEP_1) | instskip(NEXT) | instid1(VALU_DEP_1)
	v_cmp_gt_u32_e64 s9, s27, v51
	s_and_saveexec_b32 s10, s9
	s_cbranch_execz .LBB302_25
; %bb.24:
	v_lshlrev_b32_e32 v21, 3, v51
	s_delay_alu instid0(VALU_DEP_1) | instskip(NEXT) | instid1(VALU_DEP_1)
	v_add_co_u32 v21, s11, s14, v21
	v_add_co_ci_u32_e64 v22, null, s36, 0, s11
	flat_load_b64 v[21:22], v[21:22]
.LBB302_25:
	s_or_b32 exec_lo, exec_lo, s10
	v_or_b32_e32 v53, 0xb00, v0
                                        ; implicit-def: $vgpr23_vgpr24
	s_delay_alu instid0(VALU_DEP_1) | instskip(NEXT) | instid1(VALU_DEP_1)
	v_cmp_gt_u32_e64 s10, s27, v53
	s_and_saveexec_b32 s11, s10
	s_cbranch_execz .LBB302_27
; %bb.26:
	v_lshlrev_b32_e32 v23, 3, v53
	s_delay_alu instid0(VALU_DEP_1) | instskip(NEXT) | instid1(VALU_DEP_1)
	v_add_co_u32 v23, s12, s14, v23
	v_add_co_ci_u32_e64 v24, null, s36, 0, s12
	flat_load_b64 v[23:24], v[23:24]
.LBB302_27:
	s_or_b32 exec_lo, exec_lo, s11
	v_or_b32_e32 v55, 0xc00, v0
                                        ; implicit-def: $vgpr25_vgpr26
	s_delay_alu instid0(VALU_DEP_1) | instskip(NEXT) | instid1(VALU_DEP_1)
	v_cmp_gt_u32_e64 s11, s27, v55
	s_and_saveexec_b32 s12, s11
	s_cbranch_execz .LBB302_29
; %bb.28:
	v_lshlrev_b32_e32 v25, 3, v55
	s_delay_alu instid0(VALU_DEP_1) | instskip(NEXT) | instid1(VALU_DEP_1)
	v_add_co_u32 v25, s13, s14, v25
	v_add_co_ci_u32_e64 v26, null, s36, 0, s13
	flat_load_b64 v[25:26], v[25:26]
.LBB302_29:
	s_or_b32 exec_lo, exec_lo, s12
	v_or_b32_e32 v59, 0xd00, v0
                                        ; implicit-def: $vgpr27_vgpr28
	s_delay_alu instid0(VALU_DEP_1) | instskip(NEXT) | instid1(VALU_DEP_1)
	v_cmp_gt_u32_e64 s12, s27, v59
	s_and_saveexec_b32 s13, s12
	s_cbranch_execz .LBB302_31
; %bb.30:
	v_lshlrev_b32_e32 v27, 3, v59
	s_delay_alu instid0(VALU_DEP_1) | instskip(NEXT) | instid1(VALU_DEP_1)
	v_add_co_u32 v27, s39, s14, v27
	v_add_co_ci_u32_e64 v28, null, s36, 0, s39
	flat_load_b64 v[27:28], v[27:28]
.LBB302_31:
	s_or_b32 exec_lo, exec_lo, s13
	v_or_b32_e32 v63, 0xe00, v0
                                        ; implicit-def: $vgpr29_vgpr30
	s_delay_alu instid0(VALU_DEP_1) | instskip(NEXT) | instid1(VALU_DEP_1)
	v_cmp_gt_u32_e64 s13, s27, v63
	s_and_saveexec_b32 s39, s13
	s_cbranch_execz .LBB302_33
; %bb.32:
	v_lshlrev_b32_e32 v29, 3, v63
	s_delay_alu instid0(VALU_DEP_1) | instskip(NEXT) | instid1(VALU_DEP_1)
	v_add_co_u32 v29, s40, s14, v29
	v_add_co_ci_u32_e64 v30, null, s36, 0, s40
	flat_load_b64 v[29:30], v[29:30]
.LBB302_33:
	s_or_b32 exec_lo, exec_lo, s39
	v_lshlrev_b32_e32 v62, 3, v0
	s_waitcnt vmcnt(0) lgkmcnt(0)
	ds_store_2addr_stride64_b64 v62, v[1:2], v[3:4] offset1:4
	ds_store_2addr_stride64_b64 v62, v[5:6], v[7:8] offset0:8 offset1:12
	ds_store_2addr_stride64_b64 v62, v[9:10], v[11:12] offset0:16 offset1:20
	;; [unrolled: 1-line block ×6, first 2 shown]
	v_mad_u32_u24 v61, 0x70, v0, v62
	ds_store_b64 v62, v[29:30] offset:28672
	s_waitcnt lgkmcnt(0)
	s_barrier
	buffer_gl0_inv
	ds_load_2addr_b64 v[25:28], v61 offset1:1
	ds_load_2addr_b64 v[21:24], v61 offset0:2 offset1:3
	ds_load_2addr_b64 v[17:20], v61 offset0:4 offset1:5
	;; [unrolled: 1-line block ×6, first 2 shown]
	ds_load_b64 v[57:58], v61 offset:112
	s_waitcnt lgkmcnt(0)
	s_barrier
	buffer_gl0_inv
                                        ; implicit-def: $vgpr29_vgpr30
	s_and_saveexec_b32 s39, vcc_lo
	s_cbranch_execnz .LBB302_57
; %bb.34:
	s_or_b32 exec_lo, exec_lo, s39
                                        ; implicit-def: $vgpr31_vgpr32
	s_and_saveexec_b32 s39, s0
	s_cbranch_execnz .LBB302_58
.LBB302_35:
	s_or_b32 exec_lo, exec_lo, s39
                                        ; implicit-def: $vgpr33_vgpr34
	s_and_saveexec_b32 s0, s1
	s_cbranch_execnz .LBB302_59
.LBB302_36:
	s_or_b32 exec_lo, exec_lo, s0
                                        ; implicit-def: $vgpr35_vgpr36
	s_and_saveexec_b32 s0, s2
	s_cbranch_execnz .LBB302_60
.LBB302_37:
	s_or_b32 exec_lo, exec_lo, s0
                                        ; implicit-def: $vgpr37_vgpr38
	s_and_saveexec_b32 s0, s3
	s_cbranch_execnz .LBB302_61
.LBB302_38:
	s_or_b32 exec_lo, exec_lo, s0
                                        ; implicit-def: $vgpr39_vgpr40
	s_and_saveexec_b32 s0, s4
	s_cbranch_execnz .LBB302_62
.LBB302_39:
	s_or_b32 exec_lo, exec_lo, s0
                                        ; implicit-def: $vgpr41_vgpr42
	s_and_saveexec_b32 s0, s5
	s_cbranch_execnz .LBB302_63
.LBB302_40:
	s_or_b32 exec_lo, exec_lo, s0
                                        ; implicit-def: $vgpr43_vgpr44
	s_and_saveexec_b32 s0, s6
	s_cbranch_execnz .LBB302_64
.LBB302_41:
	s_or_b32 exec_lo, exec_lo, s0
                                        ; implicit-def: $vgpr45_vgpr46
	s_and_saveexec_b32 s0, s7
	s_cbranch_execnz .LBB302_65
.LBB302_42:
	s_or_b32 exec_lo, exec_lo, s0
                                        ; implicit-def: $vgpr47_vgpr48
	s_and_saveexec_b32 s0, s8
	s_cbranch_execnz .LBB302_66
.LBB302_43:
	s_or_b32 exec_lo, exec_lo, s0
                                        ; implicit-def: $vgpr49_vgpr50
	s_and_saveexec_b32 s0, s9
	s_cbranch_execnz .LBB302_67
.LBB302_44:
	s_or_b32 exec_lo, exec_lo, s0
                                        ; implicit-def: $vgpr51_vgpr52
	s_and_saveexec_b32 s0, s10
	s_cbranch_execnz .LBB302_68
.LBB302_45:
	s_or_b32 exec_lo, exec_lo, s0
                                        ; implicit-def: $vgpr53_vgpr54
	s_and_saveexec_b32 s0, s11
	s_cbranch_execnz .LBB302_69
.LBB302_46:
	s_or_b32 exec_lo, exec_lo, s0
                                        ; implicit-def: $vgpr55_vgpr56
	s_and_saveexec_b32 s0, s12
	s_cbranch_execnz .LBB302_70
.LBB302_47:
	s_or_b32 exec_lo, exec_lo, s0
                                        ; implicit-def: $vgpr59_vgpr60
	s_and_saveexec_b32 s0, s13
	s_cbranch_execz .LBB302_49
.LBB302_48:
	v_lshlrev_b32_e32 v59, 3, v63
	s_delay_alu instid0(VALU_DEP_1) | instskip(NEXT) | instid1(VALU_DEP_1)
	v_add_co_u32 v59, s1, s33, v59
	v_add_co_ci_u32_e64 v60, null, s38, 0, s1
	flat_load_b64 v[59:60], v[59:60]
.LBB302_49:
	s_or_b32 exec_lo, exec_lo, s0
	s_waitcnt vmcnt(0) lgkmcnt(0)
	ds_store_2addr_stride64_b64 v62, v[29:30], v[31:32] offset1:4
	ds_store_2addr_stride64_b64 v62, v[33:34], v[35:36] offset0:8 offset1:12
	ds_store_2addr_stride64_b64 v62, v[37:38], v[39:40] offset0:16 offset1:20
	;; [unrolled: 1-line block ×6, first 2 shown]
	ds_store_b64 v62, v[59:60] offset:28672
	s_waitcnt lgkmcnt(0)
	s_barrier
.LBB302_50:
	s_waitcnt lgkmcnt(0)
	buffer_gl0_inv
	ds_load_2addr_b64 v[53:56], v61 offset1:1
	ds_load_2addr_b64 v[49:52], v61 offset0:2 offset1:3
	ds_load_2addr_b64 v[45:48], v61 offset0:4 offset1:5
	;; [unrolled: 1-line block ×6, first 2 shown]
	ds_load_b64 v[73:74], v61 offset:112
	s_cmp_eq_u64 s[34:35], 0
	s_waitcnt lgkmcnt(0)
	s_cselect_b32 s33, -1, 0
	s_cmp_lg_u64 s[34:35], 0
	s_barrier
	s_cselect_b32 s38, -1, 0
	s_and_b32 vcc_lo, exec_lo, s37
	buffer_gl0_inv
	s_cbranch_vccz .LBB302_56
; %bb.51:
	s_and_b32 vcc_lo, exec_lo, s38
	s_cbranch_vccz .LBB302_71
; %bb.52:
	v_add_co_u32 v59, s0, -8, s14
	s_delay_alu instid0(VALU_DEP_1)
	v_add_co_ci_u32_e64 v60, null, -1, s36, s0
	v_mul_hi_i32 v61, 0x66666667, v3
	v_mul_hi_i32 v62, 0x66666667, v57
	;; [unrolled: 1-line block ×3, first 2 shown]
	flat_load_b64 v[59:60], v[59:60]
	v_mul_hi_i32 v67, 0x66666667, v7
	v_mul_hi_i32 v68, 0x66666667, v5
	;; [unrolled: 1-line block ×3, first 2 shown]
	s_waitcnt vmcnt(0) lgkmcnt(0)
	v_lshlrev_b32_e32 v60, 3, v0
	v_lshrrev_b32_e32 v64, 31, v61
	v_ashrrev_i32_e32 v61, 2, v61
	v_lshrrev_b32_e32 v65, 31, v62
	v_ashrrev_i32_e32 v62, 2, v62
	;; [unrolled: 2-line block ×3, first 2 shown]
	v_add_nc_u32_e32 v61, v61, v64
	v_mul_hi_i32 v64, 0x66666667, v11
	v_add_nc_u32_e32 v62, v62, v65
	v_lshrrev_b32_e32 v65, 31, v67
	v_add_nc_u32_e32 v63, v63, v66
	v_ashrrev_i32_e32 v66, 2, v67
	v_lshrrev_b32_e32 v67, 31, v68
	v_ashrrev_i32_e32 v68, 2, v68
	v_cmp_ne_u32_e32 vcc_lo, v61, v62
	v_cmp_ne_u32_e64 s0, v63, v61
	v_add_nc_u32_e32 v61, v66, v65
	v_lshrrev_b32_e32 v70, 31, v64
	v_ashrrev_i32_e32 v64, 2, v64
	v_add_nc_u32_e32 v62, v68, v67
	v_mul_hi_i32 v66, 0x66666667, v15
	v_mul_hi_i32 v68, 0x66666667, v13
	v_cmp_ne_u32_e64 s1, v61, v63
	v_mul_hi_i32 v63, 0x66666667, v19
	v_add_nc_u32_e32 v64, v64, v70
	v_lshrrev_b32_e32 v65, 31, v69
	v_ashrrev_i32_e32 v67, 2, v69
	v_cmp_ne_u32_e64 s2, v62, v61
	s_mov_b32 s37, -1
	v_cmp_ne_u32_e64 s3, v64, v62
	v_lshrrev_b32_e32 v62, 31, v66
	v_add_nc_u32_e32 v61, v67, v65
	v_ashrrev_i32_e32 v65, 2, v66
	v_lshrrev_b32_e32 v66, 31, v68
	v_ashrrev_i32_e32 v67, 2, v68
	v_lshrrev_b32_e32 v68, 31, v63
	v_ashrrev_i32_e32 v63, 2, v63
	v_add_nc_u32_e32 v62, v65, v62
	v_cmp_ne_u32_e64 s4, v61, v64
	v_add_nc_u32_e32 v64, v67, v66
	v_mul_hi_i32 v65, 0x66666667, v17
	v_add_nc_u32_e32 v63, v63, v68
	v_cmp_ne_u32_e64 s5, v62, v61
	v_mul_hi_i32 v61, 0x66666667, v23
	v_cmp_ne_u32_e64 s6, v64, v62
	v_mul_hi_i32 v62, 0x66666667, v21
	v_cmp_ne_u32_e64 s7, v63, v64
	v_mul_hi_i32 v64, 0x66666667, v27
	v_mul_hi_i32 v67, 0x66666667, v25
	v_lshrrev_b32_e32 v66, 31, v65
	v_ashrrev_i32_e32 v65, 2, v65
	v_lshrrev_b32_e32 v68, 31, v61
	v_ashrrev_i32_e32 v61, 2, v61
	;; [unrolled: 2-line block ×5, first 2 shown]
	v_add_nc_u32_e32 v65, v65, v66
	v_add_nc_u32_e32 v61, v61, v68
	;; [unrolled: 1-line block ×5, first 2 shown]
	v_cmp_ne_u32_e64 s12, v65, v63
	v_cmp_ne_u32_e64 s8, v61, v65
	;; [unrolled: 1-line block ×5, first 2 shown]
	s_mov_b32 s39, 0
	s_mov_b32 s40, exec_lo
	ds_store_b64 v60, v[57:58]
	s_waitcnt lgkmcnt(0)
	s_barrier
	buffer_gl0_inv
	v_cmpx_ne_u32_e32 0, v0
	s_cbranch_execz .LBB302_54
; %bb.53:
	v_add_nc_u32_e32 v59, -8, v60
	ds_load_b64 v[59:60], v59
.LBB302_54:
	s_or_b32 exec_lo, exec_lo, s40
	s_waitcnt lgkmcnt(0)
	v_mul_hi_i32 v59, 0x66666667, v59
	v_cndmask_b32_e64 v111, 0, 1, vcc_lo
	v_cndmask_b32_e64 v60, 0, 1, s0
	v_cndmask_b32_e64 v112, 0, 1, s1
	v_cndmask_b32_e64 v62, 0, 1, s2
	v_cndmask_b32_e64 v61, 0, 1, s3
	v_cndmask_b32_e64 v64, 0, 1, s4
	v_cndmask_b32_e64 v63, 0, 1, s5
	v_lshrrev_b32_e32 v67, 31, v59
	v_ashrrev_i32_e32 v59, 2, v59
	v_cndmask_b32_e64 v66, 0, 1, s6
	v_cndmask_b32_e64 v65, 0, 1, s7
	;; [unrolled: 1-line block ×4, first 2 shown]
	v_add_nc_u32_e32 v59, v59, v67
	v_cndmask_b32_e64 v67, 0, 1, s8
	v_cndmask_b32_e64 v69, 0, 1, s10
	;; [unrolled: 1-line block ×3, first 2 shown]
	s_delay_alu instid0(VALU_DEP_4)
	v_cmp_ne_u32_e64 s2, v59, v71
	s_and_b32 vcc_lo, exec_lo, s39
	s_cbranch_vccnz .LBB302_72
.LBB302_55:
                                        ; implicit-def: $sgpr0
	s_branch .LBB302_110
.LBB302_56:
	s_mov_b32 s37, 0
                                        ; implicit-def: $sgpr2
                                        ; implicit-def: $vgpr111
                                        ; implicit-def: $vgpr60
                                        ; implicit-def: $vgpr112
                                        ; implicit-def: $vgpr62
                                        ; implicit-def: $vgpr61
                                        ; implicit-def: $vgpr64
                                        ; implicit-def: $vgpr63
                                        ; implicit-def: $vgpr66
                                        ; implicit-def: $vgpr65
                                        ; implicit-def: $vgpr68
                                        ; implicit-def: $vgpr67
                                        ; implicit-def: $vgpr70
                                        ; implicit-def: $vgpr69
                                        ; implicit-def: $vgpr72
                                        ; implicit-def: $sgpr0
	s_cbranch_execnz .LBB302_75
	s_branch .LBB302_110
.LBB302_57:
	v_add_co_u32 v29, s40, s33, v62
	s_delay_alu instid0(VALU_DEP_1)
	v_add_co_ci_u32_e64 v30, null, s38, 0, s40
	flat_load_b64 v[29:30], v[29:30]
	s_or_b32 exec_lo, exec_lo, s39
                                        ; implicit-def: $vgpr31_vgpr32
	s_and_saveexec_b32 s39, s0
	s_cbranch_execz .LBB302_35
.LBB302_58:
	v_add_co_u32 v31, s0, s33, v62
	s_delay_alu instid0(VALU_DEP_1)
	v_add_co_ci_u32_e64 v32, null, s38, 0, s0
	flat_load_b64 v[31:32], v[31:32] offset:2048
	s_or_b32 exec_lo, exec_lo, s39
                                        ; implicit-def: $vgpr33_vgpr34
	s_and_saveexec_b32 s0, s1
	s_cbranch_execz .LBB302_36
.LBB302_59:
	v_lshlrev_b32_e32 v33, 3, v35
	s_delay_alu instid0(VALU_DEP_1) | instskip(NEXT) | instid1(VALU_DEP_1)
	v_add_co_u32 v33, s1, s33, v33
	v_add_co_ci_u32_e64 v34, null, s38, 0, s1
	flat_load_b64 v[33:34], v[33:34]
	s_or_b32 exec_lo, exec_lo, s0
                                        ; implicit-def: $vgpr35_vgpr36
	s_and_saveexec_b32 s0, s2
	s_cbranch_execz .LBB302_37
.LBB302_60:
	v_lshlrev_b32_e32 v35, 3, v37
	s_delay_alu instid0(VALU_DEP_1) | instskip(NEXT) | instid1(VALU_DEP_1)
	v_add_co_u32 v35, s1, s33, v35
	v_add_co_ci_u32_e64 v36, null, s38, 0, s1
	flat_load_b64 v[35:36], v[35:36]
	s_or_b32 exec_lo, exec_lo, s0
                                        ; implicit-def: $vgpr37_vgpr38
	s_and_saveexec_b32 s0, s3
	s_cbranch_execz .LBB302_38
.LBB302_61:
	v_lshlrev_b32_e32 v37, 3, v39
	s_delay_alu instid0(VALU_DEP_1) | instskip(NEXT) | instid1(VALU_DEP_1)
	v_add_co_u32 v37, s1, s33, v37
	v_add_co_ci_u32_e64 v38, null, s38, 0, s1
	flat_load_b64 v[37:38], v[37:38]
	s_or_b32 exec_lo, exec_lo, s0
                                        ; implicit-def: $vgpr39_vgpr40
	s_and_saveexec_b32 s0, s4
	s_cbranch_execz .LBB302_39
.LBB302_62:
	v_lshlrev_b32_e32 v39, 3, v41
	s_delay_alu instid0(VALU_DEP_1) | instskip(NEXT) | instid1(VALU_DEP_1)
	v_add_co_u32 v39, s1, s33, v39
	v_add_co_ci_u32_e64 v40, null, s38, 0, s1
	flat_load_b64 v[39:40], v[39:40]
	s_or_b32 exec_lo, exec_lo, s0
                                        ; implicit-def: $vgpr41_vgpr42
	s_and_saveexec_b32 s0, s5
	s_cbranch_execz .LBB302_40
.LBB302_63:
	v_lshlrev_b32_e32 v41, 3, v43
	s_delay_alu instid0(VALU_DEP_1) | instskip(NEXT) | instid1(VALU_DEP_1)
	v_add_co_u32 v41, s1, s33, v41
	v_add_co_ci_u32_e64 v42, null, s38, 0, s1
	flat_load_b64 v[41:42], v[41:42]
	s_or_b32 exec_lo, exec_lo, s0
                                        ; implicit-def: $vgpr43_vgpr44
	s_and_saveexec_b32 s0, s6
	s_cbranch_execz .LBB302_41
.LBB302_64:
	v_lshlrev_b32_e32 v43, 3, v45
	s_delay_alu instid0(VALU_DEP_1) | instskip(NEXT) | instid1(VALU_DEP_1)
	v_add_co_u32 v43, s1, s33, v43
	v_add_co_ci_u32_e64 v44, null, s38, 0, s1
	flat_load_b64 v[43:44], v[43:44]
	s_or_b32 exec_lo, exec_lo, s0
                                        ; implicit-def: $vgpr45_vgpr46
	s_and_saveexec_b32 s0, s7
	s_cbranch_execz .LBB302_42
.LBB302_65:
	v_lshlrev_b32_e32 v45, 3, v47
	s_delay_alu instid0(VALU_DEP_1) | instskip(NEXT) | instid1(VALU_DEP_1)
	v_add_co_u32 v45, s1, s33, v45
	v_add_co_ci_u32_e64 v46, null, s38, 0, s1
	flat_load_b64 v[45:46], v[45:46]
	s_or_b32 exec_lo, exec_lo, s0
                                        ; implicit-def: $vgpr47_vgpr48
	s_and_saveexec_b32 s0, s8
	s_cbranch_execz .LBB302_43
.LBB302_66:
	v_lshlrev_b32_e32 v47, 3, v49
	s_delay_alu instid0(VALU_DEP_1) | instskip(NEXT) | instid1(VALU_DEP_1)
	v_add_co_u32 v47, s1, s33, v47
	v_add_co_ci_u32_e64 v48, null, s38, 0, s1
	flat_load_b64 v[47:48], v[47:48]
	s_or_b32 exec_lo, exec_lo, s0
                                        ; implicit-def: $vgpr49_vgpr50
	s_and_saveexec_b32 s0, s9
	s_cbranch_execz .LBB302_44
.LBB302_67:
	v_lshlrev_b32_e32 v49, 3, v51
	s_delay_alu instid0(VALU_DEP_1) | instskip(NEXT) | instid1(VALU_DEP_1)
	v_add_co_u32 v49, s1, s33, v49
	v_add_co_ci_u32_e64 v50, null, s38, 0, s1
	flat_load_b64 v[49:50], v[49:50]
	s_or_b32 exec_lo, exec_lo, s0
                                        ; implicit-def: $vgpr51_vgpr52
	s_and_saveexec_b32 s0, s10
	s_cbranch_execz .LBB302_45
.LBB302_68:
	v_lshlrev_b32_e32 v51, 3, v53
	s_delay_alu instid0(VALU_DEP_1) | instskip(NEXT) | instid1(VALU_DEP_1)
	v_add_co_u32 v51, s1, s33, v51
	v_add_co_ci_u32_e64 v52, null, s38, 0, s1
	flat_load_b64 v[51:52], v[51:52]
	s_or_b32 exec_lo, exec_lo, s0
                                        ; implicit-def: $vgpr53_vgpr54
	s_and_saveexec_b32 s0, s11
	s_cbranch_execz .LBB302_46
.LBB302_69:
	v_lshlrev_b32_e32 v53, 3, v55
	s_delay_alu instid0(VALU_DEP_1) | instskip(NEXT) | instid1(VALU_DEP_1)
	v_add_co_u32 v53, s1, s33, v53
	v_add_co_ci_u32_e64 v54, null, s38, 0, s1
	flat_load_b64 v[53:54], v[53:54]
	s_or_b32 exec_lo, exec_lo, s0
                                        ; implicit-def: $vgpr55_vgpr56
	s_and_saveexec_b32 s0, s12
	s_cbranch_execz .LBB302_47
.LBB302_70:
	v_lshlrev_b32_e32 v55, 3, v59
	s_delay_alu instid0(VALU_DEP_1) | instskip(NEXT) | instid1(VALU_DEP_1)
	v_add_co_u32 v55, s1, s33, v55
	v_add_co_ci_u32_e64 v56, null, s38, 0, s1
	flat_load_b64 v[55:56], v[55:56]
	s_or_b32 exec_lo, exec_lo, s0
                                        ; implicit-def: $vgpr59_vgpr60
	s_and_saveexec_b32 s0, s13
	s_cbranch_execnz .LBB302_48
	s_branch .LBB302_49
.LBB302_71:
	s_mov_b32 s37, 0
                                        ; implicit-def: $sgpr2
                                        ; implicit-def: $vgpr111
                                        ; implicit-def: $vgpr60
                                        ; implicit-def: $vgpr112
                                        ; implicit-def: $vgpr62
                                        ; implicit-def: $vgpr61
                                        ; implicit-def: $vgpr64
                                        ; implicit-def: $vgpr63
                                        ; implicit-def: $vgpr66
                                        ; implicit-def: $vgpr65
                                        ; implicit-def: $vgpr68
                                        ; implicit-def: $vgpr67
                                        ; implicit-def: $vgpr70
                                        ; implicit-def: $vgpr69
                                        ; implicit-def: $vgpr72
	s_cbranch_execz .LBB302_55
.LBB302_72:
	v_mul_hi_i32 v59, 0x66666667, v3
	v_mul_hi_i32 v60, 0x66666667, v57
	;; [unrolled: 1-line block ×8, first 2 shown]
	v_lshrrev_b32_e32 v64, 31, v59
	v_ashrrev_i32_e32 v65, 2, v59
	v_lshrrev_b32_e32 v66, 31, v60
	v_ashrrev_i32_e32 v60, 2, v60
	;; [unrolled: 2-line block ×3, first 2 shown]
	v_add_nc_u32_e32 v64, v65, v64
	v_lshrrev_b32_e32 v65, 31, v62
	v_add_nc_u32_e32 v60, v60, v66
	v_ashrrev_i32_e32 v62, 2, v62
	v_add_nc_u32_e32 v61, v61, v67
	v_mul_hi_i32 v67, 0x66666667, v11
	v_lshrrev_b32_e32 v66, 31, v63
	v_cmp_ne_u32_e32 vcc_lo, v64, v60
	v_ashrrev_i32_e32 v63, 2, v63
	v_add_nc_u32_e32 v62, v62, v65
	v_mul_hi_i32 v71, 0x66666667, v17
	v_mul_hi_i32 v72, 0x66666667, v25
	v_cndmask_b32_e64 v111, 0, 1, vcc_lo
	v_cmp_ne_u32_e32 vcc_lo, v61, v64
	v_add_nc_u32_e32 v63, v63, v66
	v_lshrrev_b32_e32 v64, 31, v67
	v_ashrrev_i32_e32 v65, 2, v67
	v_lshrrev_b32_e32 v66, 31, v68
	v_cndmask_b32_e64 v60, 0, 1, vcc_lo
	v_cmp_ne_u32_e32 vcc_lo, v62, v61
	v_ashrrev_i32_e32 v67, 2, v68
	v_mul_hi_i32 v68, 0x66666667, v15
	v_add_nc_u32_e32 v64, v65, v64
	v_lshlrev_b32_e32 v59, 3, v0
	v_cndmask_b32_e64 v112, 0, 1, vcc_lo
	v_cmp_ne_u32_e32 vcc_lo, v63, v62
	v_add_nc_u32_e32 v65, v67, v66
	s_mov_b32 s0, exec_lo
	ds_store_b64 v59, v[57:58]
	v_lshrrev_b32_e32 v66, 31, v68
	v_cndmask_b32_e64 v62, 0, 1, vcc_lo
	v_ashrrev_i32_e32 v67, 2, v68
	v_cmp_ne_u32_e32 vcc_lo, v64, v63
	v_lshrrev_b32_e32 v68, 31, v69
	v_ashrrev_i32_e32 v69, 2, v69
	s_waitcnt lgkmcnt(0)
	v_add_nc_u32_e32 v66, v67, v66
	v_cndmask_b32_e64 v61, 0, 1, vcc_lo
	v_cmp_ne_u32_e32 vcc_lo, v65, v64
	v_add_nc_u32_e32 v67, v69, v68
	v_lshrrev_b32_e32 v68, 31, v70
	v_ashrrev_i32_e32 v69, 2, v70
	v_lshrrev_b32_e32 v70, 31, v71
	v_ashrrev_i32_e32 v71, 2, v71
	v_cndmask_b32_e64 v64, 0, 1, vcc_lo
	v_cmp_ne_u32_e32 vcc_lo, v66, v65
	v_add_nc_u32_e32 v68, v69, v68
	s_barrier
	v_add_nc_u32_e32 v69, v71, v70
	v_mul_hi_i32 v70, 0x66666667, v23
	v_cndmask_b32_e64 v63, 0, 1, vcc_lo
	v_cmp_ne_u32_e32 vcc_lo, v67, v66
	v_mul_hi_i32 v71, 0x66666667, v21
	buffer_gl0_inv
                                        ; implicit-def: $sgpr2
	v_cndmask_b32_e64 v66, 0, 1, vcc_lo
	v_cmp_ne_u32_e32 vcc_lo, v68, v67
	v_lshrrev_b32_e32 v75, 31, v70
	v_ashrrev_i32_e32 v70, 2, v70
	v_mul_hi_i32 v67, 0x66666667, v27
	v_lshrrev_b32_e32 v76, 31, v71
	v_cndmask_b32_e64 v65, 0, 1, vcc_lo
	v_cmp_ne_u32_e32 vcc_lo, v69, v68
	v_ashrrev_i32_e32 v71, 2, v71
	v_add_nc_u32_e32 v70, v70, v75
	v_lshrrev_b32_e32 v75, 31, v72
	v_ashrrev_i32_e32 v72, 2, v72
	v_cndmask_b32_e64 v68, 0, 1, vcc_lo
	v_lshrrev_b32_e32 v77, 31, v67
	v_ashrrev_i32_e32 v67, 2, v67
	v_add_nc_u32_e32 v76, v71, v76
	v_cmp_ne_u32_e32 vcc_lo, v70, v69
	v_add_nc_u32_e32 v71, v72, v75
	s_delay_alu instid0(VALU_DEP_4) | instskip(SKIP_3) | instid1(VALU_DEP_4)
	v_add_nc_u32_e32 v77, v67, v77
	v_cndmask_b32_e64 v67, 0, 1, vcc_lo
	v_cmp_ne_u32_e32 vcc_lo, v76, v70
	v_cndmask_b32_e64 v70, 0, 1, vcc_lo
	v_cmp_ne_u32_e32 vcc_lo, v77, v76
	;; [unrolled: 2-line block ×3, first 2 shown]
	v_cndmask_b32_e64 v72, 0, 1, vcc_lo
	v_cmpx_ne_u32_e32 0, v0
	s_xor_b32 s0, exec_lo, s0
	s_cbranch_execz .LBB302_74
; %bb.73:
	v_add_nc_u32_e32 v59, -8, v59
	s_or_b32 s37, s37, exec_lo
	ds_load_b32 v59, v59
	s_waitcnt lgkmcnt(0)
	v_mul_hi_i32 v59, 0x66666667, v59
	s_delay_alu instid0(VALU_DEP_1) | instskip(SKIP_1) | instid1(VALU_DEP_1)
	v_lshrrev_b32_e32 v75, 31, v59
	v_ashrrev_i32_e32 v59, 2, v59
	v_add_nc_u32_e32 v59, v59, v75
	s_delay_alu instid0(VALU_DEP_1)
	v_cmp_ne_u32_e32 vcc_lo, v59, v71
	s_and_b32 s2, vcc_lo, exec_lo
.LBB302_74:
	s_or_b32 exec_lo, exec_lo, s0
	s_mov_b32 s0, 1
	s_branch .LBB302_110
.LBB302_75:
	s_mul_hi_u32 s0, s34, 0xfffff100
	s_mul_i32 s1, s35, 0xfffff100
	s_sub_i32 s0, s0, s34
	s_mul_i32 s2, s34, 0xfffff100
	s_add_i32 s1, s0, s1
	s_add_u32 s0, s2, s28
	s_addc_u32 s1, s1, s29
	s_and_b32 vcc_lo, exec_lo, s38
	s_cbranch_vccz .LBB302_247
; %bb.76:
	v_add_co_u32 v59, s2, -8, s14
	s_delay_alu instid0(VALU_DEP_1)
	v_add_co_ci_u32_e64 v60, null, -1, s36, s2
	v_mul_u32_u24_e32 v77, 15, v0
	s_mov_b32 s2, exec_lo
	v_mov_b32_e32 v111, 0
	flat_load_b64 v[75:76], v[59:60]
	v_mad_u32_u24 v59, v0, 15, 14
	v_mov_b32_e32 v60, 0
	s_waitcnt vmcnt(0) lgkmcnt(0)
	v_lshlrev_b32_e32 v76, 3, v0
	ds_store_b64 v76, v[57:58]
	v_cmpx_gt_u64_e64 s[0:1], v[59:60]
; %bb.77:
	v_mul_hi_i32 v59, 0x66666667, v3
	v_mul_hi_i32 v61, 0x66666667, v57
	s_delay_alu instid0(VALU_DEP_2) | instskip(SKIP_1) | instid1(VALU_DEP_3)
	v_lshrrev_b32_e32 v62, 31, v59
	v_ashrrev_i32_e32 v59, 2, v59
	v_lshrrev_b32_e32 v63, 31, v61
	v_ashrrev_i32_e32 v61, 2, v61
	s_delay_alu instid0(VALU_DEP_3) | instskip(NEXT) | instid1(VALU_DEP_2)
	v_add_nc_u32_e32 v59, v59, v62
	v_add_nc_u32_e32 v61, v61, v63
	s_delay_alu instid0(VALU_DEP_1)
	v_cmp_ne_u32_e32 vcc_lo, v59, v61
	v_cndmask_b32_e64 v111, 0, 1, vcc_lo
; %bb.78:
	s_or_b32 exec_lo, exec_lo, s2
	v_add_nc_u32_e32 v59, 13, v77
	s_mov_b32 s2, exec_lo
	s_delay_alu instid0(VALU_DEP_1)
	v_cmpx_gt_u64_e64 s[0:1], v[59:60]
; %bb.79:
	v_mul_hi_i32 v59, 0x66666667, v1
	v_mul_hi_i32 v60, 0x66666667, v3
	s_delay_alu instid0(VALU_DEP_2) | instskip(SKIP_1) | instid1(VALU_DEP_3)
	v_lshrrev_b32_e32 v61, 31, v59
	v_ashrrev_i32_e32 v59, 2, v59
	v_lshrrev_b32_e32 v62, 31, v60
	v_ashrrev_i32_e32 v60, 2, v60
	s_delay_alu instid0(VALU_DEP_3) | instskip(NEXT) | instid1(VALU_DEP_2)
	v_add_nc_u32_e32 v59, v59, v61
	v_add_nc_u32_e32 v60, v60, v62
	s_delay_alu instid0(VALU_DEP_1)
	v_cmp_ne_u32_e32 vcc_lo, v59, v60
	v_cndmask_b32_e64 v60, 0, 1, vcc_lo
; %bb.80:
	s_or_b32 exec_lo, exec_lo, s2
	v_dual_mov_b32 v62, 0 :: v_dual_add_nc_u32 v61, 12, v77
	v_mov_b32_e32 v112, 0
	s_mov_b32 s2, exec_lo
	s_delay_alu instid0(VALU_DEP_2)
	v_cmpx_gt_u64_e64 s[0:1], v[61:62]
; %bb.81:
	v_mul_hi_i32 v59, 0x66666667, v7
	v_mul_hi_i32 v61, 0x66666667, v1
	s_delay_alu instid0(VALU_DEP_2) | instskip(SKIP_1) | instid1(VALU_DEP_3)
	v_lshrrev_b32_e32 v63, 31, v59
	v_ashrrev_i32_e32 v59, 2, v59
	v_lshrrev_b32_e32 v64, 31, v61
	v_ashrrev_i32_e32 v61, 2, v61
	s_delay_alu instid0(VALU_DEP_3) | instskip(NEXT) | instid1(VALU_DEP_2)
	v_add_nc_u32_e32 v59, v59, v63
	v_add_nc_u32_e32 v61, v61, v64
	s_delay_alu instid0(VALU_DEP_1)
	v_cmp_ne_u32_e32 vcc_lo, v59, v61
	v_cndmask_b32_e64 v112, 0, 1, vcc_lo
; %bb.82:
	s_or_b32 exec_lo, exec_lo, s2
	v_add_nc_u32_e32 v61, 11, v77
	s_mov_b32 s2, exec_lo
	s_delay_alu instid0(VALU_DEP_1)
	v_cmpx_gt_u64_e64 s[0:1], v[61:62]
; %bb.83:
	v_mul_hi_i32 v59, 0x66666667, v5
	v_mul_hi_i32 v61, 0x66666667, v7
	s_delay_alu instid0(VALU_DEP_2) | instskip(SKIP_1) | instid1(VALU_DEP_3)
	v_lshrrev_b32_e32 v62, 31, v59
	v_ashrrev_i32_e32 v59, 2, v59
	v_lshrrev_b32_e32 v63, 31, v61
	v_ashrrev_i32_e32 v61, 2, v61
	s_delay_alu instid0(VALU_DEP_3) | instskip(NEXT) | instid1(VALU_DEP_2)
	v_add_nc_u32_e32 v59, v59, v62
	v_add_nc_u32_e32 v61, v61, v63
	s_delay_alu instid0(VALU_DEP_1)
	v_cmp_ne_u32_e32 vcc_lo, v59, v61
	v_cndmask_b32_e64 v62, 0, 1, vcc_lo
; %bb.84:
	s_or_b32 exec_lo, exec_lo, s2
	v_dual_mov_b32 v64, 0 :: v_dual_add_nc_u32 v63, 10, v77
	v_mov_b32_e32 v61, 0
	s_mov_b32 s2, exec_lo
	s_delay_alu instid0(VALU_DEP_2)
	;; [unrolled: 41-line block ×6, first 2 shown]
	v_cmpx_gt_u64_e64 s[0:1], v[71:72]
; %bb.101:
	v_mul_hi_i32 v59, 0x66666667, v27
	v_mul_hi_i32 v69, 0x66666667, v21
	s_delay_alu instid0(VALU_DEP_2) | instskip(SKIP_1) | instid1(VALU_DEP_3)
	v_lshrrev_b32_e32 v71, 31, v59
	v_ashrrev_i32_e32 v59, 2, v59
	v_lshrrev_b32_e32 v78, 31, v69
	v_ashrrev_i32_e32 v69, 2, v69
	s_delay_alu instid0(VALU_DEP_3) | instskip(NEXT) | instid1(VALU_DEP_2)
	v_add_nc_u32_e32 v59, v59, v71
	v_add_nc_u32_e32 v69, v69, v78
	s_delay_alu instid0(VALU_DEP_1)
	v_cmp_ne_u32_e32 vcc_lo, v59, v69
	v_cndmask_b32_e64 v69, 0, 1, vcc_lo
; %bb.102:
	s_or_b32 exec_lo, exec_lo, s2
	v_add_nc_u32_e32 v71, 1, v77
	s_mov_b32 s2, exec_lo
	s_delay_alu instid0(VALU_DEP_1)
	v_cmpx_gt_u64_e64 s[0:1], v[71:72]
; %bb.103:
	v_mul_hi_i32 v59, 0x66666667, v25
	v_mul_hi_i32 v71, 0x66666667, v27
	s_delay_alu instid0(VALU_DEP_2) | instskip(SKIP_1) | instid1(VALU_DEP_3)
	v_lshrrev_b32_e32 v72, 31, v59
	v_ashrrev_i32_e32 v59, 2, v59
	v_lshrrev_b32_e32 v78, 31, v71
	v_ashrrev_i32_e32 v71, 2, v71
	s_delay_alu instid0(VALU_DEP_3) | instskip(NEXT) | instid1(VALU_DEP_2)
	v_add_nc_u32_e32 v59, v59, v72
	v_add_nc_u32_e32 v71, v71, v78
	s_delay_alu instid0(VALU_DEP_1)
	v_cmp_ne_u32_e32 vcc_lo, v59, v71
	v_cndmask_b32_e64 v72, 0, 1, vcc_lo
; %bb.104:
	s_or_b32 exec_lo, exec_lo, s2
	s_mov_b32 s2, 0
	s_mov_b32 s3, exec_lo
	s_waitcnt lgkmcnt(0)
	s_barrier
	buffer_gl0_inv
	v_cmpx_ne_u32_e32 0, v0
	s_cbranch_execz .LBB302_106
; %bb.105:
	v_add_nc_u32_e32 v59, -8, v76
	ds_load_b64 v[75:76], v59
.LBB302_106:
	s_or_b32 exec_lo, exec_lo, s3
	v_mov_b32_e32 v78, 0
	s_mov_b32 s3, exec_lo
	s_delay_alu instid0(VALU_DEP_1)
	v_cmpx_gt_u64_e64 s[0:1], v[77:78]
	s_cbranch_execz .LBB302_108
; %bb.107:
	s_waitcnt lgkmcnt(0)
	v_mul_hi_i32 v59, 0x66666667, v75
	v_mul_hi_i32 v71, 0x66666667, v25
	s_delay_alu instid0(VALU_DEP_2) | instskip(SKIP_1) | instid1(VALU_DEP_3)
	v_lshrrev_b32_e32 v75, 31, v59
	v_ashrrev_i32_e32 v59, 2, v59
	v_lshrrev_b32_e32 v76, 31, v71
	v_ashrrev_i32_e32 v71, 2, v71
	s_delay_alu instid0(VALU_DEP_3) | instskip(NEXT) | instid1(VALU_DEP_2)
	v_add_nc_u32_e32 v59, v59, v75
	v_add_nc_u32_e32 v71, v71, v76
	s_delay_alu instid0(VALU_DEP_1)
	v_cmp_ne_u32_e32 vcc_lo, v59, v71
	s_and_b32 s2, vcc_lo, exec_lo
.LBB302_108:
	s_or_b32 exec_lo, exec_lo, s3
	s_mov_b32 s37, -1
.LBB302_109:
                                        ; implicit-def: $sgpr0
.LBB302_110:
	v_mov_b32_e32 v71, s0
	s_and_saveexec_b32 s0, s37
.LBB302_111:
	v_cndmask_b32_e64 v71, 0, 1, s2
.LBB302_112:
	s_or_b32 exec_lo, exec_lo, s0
	s_delay_alu instid0(VALU_DEP_1)
	v_add3_u32 v59, v72, v71, v69
	v_dual_mov_b32 v107, v53 :: v_dual_mov_b32 v108, v54
	v_cmp_eq_u32_e64 s12, 0, v72
	v_cmp_eq_u32_e64 s11, 0, v69
	;; [unrolled: 1-line block ×3, first 2 shown]
	v_add3_u32 v115, v59, v70, v67
	v_cmp_eq_u32_e64 s9, 0, v67
	v_cmp_eq_u32_e64 s8, 0, v68
	;; [unrolled: 1-line block ×10, first 2 shown]
	v_cmp_eq_u32_e32 vcc_lo, 0, v111
	v_mbcnt_lo_u32_b32 v114, -1, 0
	s_cmp_eq_u64 s[22:23], 0
	s_cselect_b32 s14, -1, 0
	s_cmp_lg_u32 s15, 0
	s_cbranch_scc0 .LBB302_179
; %bb.113:
	v_cndmask_b32_e64 v59, 0, v53, s12
	s_waitcnt lgkmcnt(0)
	v_cndmask_b32_e64 v75, 0, v54, s12
	v_add3_u32 v76, v115, v68, v65
	s_delay_alu instid0(VALU_DEP_3) | instskip(NEXT) | instid1(VALU_DEP_1)
	v_add_co_u32 v59, s13, v59, v55
	v_add_co_ci_u32_e64 v75, s13, v75, v56, s13
	s_delay_alu instid0(VALU_DEP_3) | instskip(NEXT) | instid1(VALU_DEP_3)
	v_add3_u32 v76, v76, v66, v63
	v_cndmask_b32_e64 v59, 0, v59, s11
	s_delay_alu instid0(VALU_DEP_3) | instskip(NEXT) | instid1(VALU_DEP_3)
	v_cndmask_b32_e64 v75, 0, v75, s11
	v_add3_u32 v76, v76, v64, v61
	s_delay_alu instid0(VALU_DEP_3) | instskip(NEXT) | instid1(VALU_DEP_1)
	v_add_co_u32 v59, s13, v59, v49
	v_add_co_ci_u32_e64 v75, s13, v75, v50, s13
	s_delay_alu instid0(VALU_DEP_3) | instskip(NEXT) | instid1(VALU_DEP_3)
	v_add3_u32 v76, v76, v62, v112
	v_cndmask_b32_e64 v59, 0, v59, s10
	s_delay_alu instid0(VALU_DEP_3) | instskip(NEXT) | instid1(VALU_DEP_3)
	v_cndmask_b32_e64 v75, 0, v75, s10
	v_add3_u32 v79, v76, v60, v111
	s_delay_alu instid0(VALU_DEP_3) | instskip(NEXT) | instid1(VALU_DEP_1)
	v_add_co_u32 v59, s13, v59, v51
	v_add_co_ci_u32_e64 v75, s13, v75, v52, s13
	s_delay_alu instid0(VALU_DEP_2) | instskip(NEXT) | instid1(VALU_DEP_2)
	v_cndmask_b32_e64 v59, 0, v59, s9
	v_cndmask_b32_e64 v75, 0, v75, s9
	s_delay_alu instid0(VALU_DEP_2) | instskip(NEXT) | instid1(VALU_DEP_1)
	v_add_co_u32 v59, s13, v59, v45
	v_add_co_ci_u32_e64 v75, s13, v75, v46, s13
	s_delay_alu instid0(VALU_DEP_2) | instskip(NEXT) | instid1(VALU_DEP_2)
	v_cndmask_b32_e64 v59, 0, v59, s8
	v_cndmask_b32_e64 v75, 0, v75, s8
	s_delay_alu instid0(VALU_DEP_2) | instskip(NEXT) | instid1(VALU_DEP_1)
	;; [unrolled: 6-line block ×10, first 2 shown]
	v_add_co_u32 v59, s13, v59, v31
	v_add_co_ci_u32_e64 v75, s13, v75, v32, s13
	s_mov_b32 s13, exec_lo
	s_delay_alu instid0(VALU_DEP_2) | instskip(NEXT) | instid1(VALU_DEP_2)
	v_cndmask_b32_e32 v59, 0, v59, vcc_lo
	v_cndmask_b32_e32 v75, 0, v75, vcc_lo
	s_delay_alu instid0(VALU_DEP_2) | instskip(NEXT) | instid1(VALU_DEP_2)
	v_add_co_u32 v77, vcc_lo, v59, v73
	v_add_co_ci_u32_e32 v78, vcc_lo, v75, v74, vcc_lo
	v_and_b32_e32 v59, 15, v114
	v_mov_b32_dpp v75, v79 row_shr:1 row_mask:0xf bank_mask:0xf
	s_delay_alu instid0(VALU_DEP_4) | instskip(NEXT) | instid1(VALU_DEP_4)
	v_mov_b32_dpp v76, v77 row_shr:1 row_mask:0xf bank_mask:0xf
	v_mov_b32_dpp v80, v78 row_shr:1 row_mask:0xf bank_mask:0xf
	s_delay_alu instid0(VALU_DEP_4)
	v_cmpx_ne_u32_e32 0, v59
; %bb.114:
	v_cmp_eq_u32_e32 vcc_lo, 0, v79
	s_delay_alu instid0(VALU_DEP_4) | instskip(NEXT) | instid1(VALU_DEP_4)
	v_dual_cndmask_b32 v76, 0, v76 :: v_dual_add_nc_u32 v79, v75, v79
	v_cndmask_b32_e32 v80, 0, v80, vcc_lo
	s_delay_alu instid0(VALU_DEP_2) | instskip(NEXT) | instid1(VALU_DEP_2)
	v_add_co_u32 v77, vcc_lo, v76, v77
	v_add_co_ci_u32_e32 v78, vcc_lo, v80, v78, vcc_lo
; %bb.115:
	s_or_b32 exec_lo, exec_lo, s13
	v_mov_b32_dpp v75, v79 row_shr:2 row_mask:0xf bank_mask:0xf
	s_delay_alu instid0(VALU_DEP_3) | instskip(NEXT) | instid1(VALU_DEP_3)
	v_mov_b32_dpp v76, v77 row_shr:2 row_mask:0xf bank_mask:0xf
	v_mov_b32_dpp v80, v78 row_shr:2 row_mask:0xf bank_mask:0xf
	s_mov_b32 s13, exec_lo
	v_cmpx_lt_u32_e32 1, v59
; %bb.116:
	v_cmp_eq_u32_e32 vcc_lo, 0, v79
	v_dual_cndmask_b32 v76, 0, v76 :: v_dual_add_nc_u32 v79, v75, v79
	v_cndmask_b32_e32 v80, 0, v80, vcc_lo
	s_delay_alu instid0(VALU_DEP_2) | instskip(NEXT) | instid1(VALU_DEP_2)
	v_add_co_u32 v77, vcc_lo, v76, v77
	v_add_co_ci_u32_e32 v78, vcc_lo, v80, v78, vcc_lo
; %bb.117:
	s_or_b32 exec_lo, exec_lo, s13
	v_mov_b32_dpp v75, v79 row_shr:4 row_mask:0xf bank_mask:0xf
	s_delay_alu instid0(VALU_DEP_3) | instskip(NEXT) | instid1(VALU_DEP_3)
	v_mov_b32_dpp v76, v77 row_shr:4 row_mask:0xf bank_mask:0xf
	v_mov_b32_dpp v80, v78 row_shr:4 row_mask:0xf bank_mask:0xf
	s_mov_b32 s13, exec_lo
	v_cmpx_lt_u32_e32 3, v59
; %bb.118:
	v_cmp_eq_u32_e32 vcc_lo, 0, v79
	;; [unrolled: 15-line block ×3, first 2 shown]
	v_dual_cndmask_b32 v76, 0, v76 :: v_dual_add_nc_u32 v79, v75, v79
	v_cndmask_b32_e32 v59, 0, v80, vcc_lo
	s_delay_alu instid0(VALU_DEP_2) | instskip(NEXT) | instid1(VALU_DEP_2)
	v_add_co_u32 v77, vcc_lo, v76, v77
	v_add_co_ci_u32_e32 v78, vcc_lo, v59, v78, vcc_lo
; %bb.121:
	s_or_b32 exec_lo, exec_lo, s13
	ds_swizzle_b32 v59, v79 offset:swizzle(BROADCAST,32,15)
	ds_swizzle_b32 v75, v77 offset:swizzle(BROADCAST,32,15)
	;; [unrolled: 1-line block ×3, first 2 shown]
	v_and_b32_e32 v80, 16, v114
	s_mov_b32 s13, exec_lo
	s_delay_alu instid0(VALU_DEP_1)
	v_cmpx_ne_u32_e32 0, v80
	s_cbranch_execz .LBB302_123
; %bb.122:
	v_cmp_eq_u32_e32 vcc_lo, 0, v79
	s_waitcnt lgkmcnt(0)
	v_dual_cndmask_b32 v76, 0, v76 :: v_dual_add_nc_u32 v79, v59, v79
	v_cndmask_b32_e32 v75, 0, v75, vcc_lo
	s_delay_alu instid0(VALU_DEP_1) | instskip(NEXT) | instid1(VALU_DEP_3)
	v_add_co_u32 v77, vcc_lo, v75, v77
	v_add_co_ci_u32_e32 v78, vcc_lo, v76, v78, vcc_lo
.LBB302_123:
	s_or_b32 exec_lo, exec_lo, s13
	s_waitcnt lgkmcnt(1)
	v_lshrrev_b32_e32 v75, 5, v0
	v_or_b32_e32 v59, 31, v0
	s_mov_b32 s13, exec_lo
	s_delay_alu instid0(VALU_DEP_2) | instskip(NEXT) | instid1(VALU_DEP_2)
	v_lshlrev_b32_e32 v80, 4, v75
	v_cmpx_eq_u32_e64 v59, v0
	s_cbranch_execz .LBB302_125
; %bb.124:
	ds_store_b32 v80, v79 offset:4128
	ds_store_b64 v80, v[77:78] offset:4136
.LBB302_125:
	s_or_b32 exec_lo, exec_lo, s13
	s_delay_alu instid0(SALU_CYCLE_1)
	s_mov_b32 s13, exec_lo
	s_waitcnt lgkmcnt(0)
	s_barrier
	buffer_gl0_inv
	v_cmpx_gt_u32_e32 8, v0
	s_cbranch_execz .LBB302_133
; %bb.126:
	v_lshlrev_b32_e32 v59, 4, v0
	v_and_b32_e32 v82, 7, v114
	s_mov_b32 s22, exec_lo
	ds_load_b32 v81, v59 offset:4128
	ds_load_b64 v[75:76], v59 offset:4136
	s_waitcnt lgkmcnt(1)
	v_mov_b32_dpp v83, v81 row_shr:1 row_mask:0xf bank_mask:0xf
	s_waitcnt lgkmcnt(0)
	v_mov_b32_dpp v84, v75 row_shr:1 row_mask:0xf bank_mask:0xf
	v_mov_b32_dpp v85, v76 row_shr:1 row_mask:0xf bank_mask:0xf
	v_cmpx_ne_u32_e32 0, v82
; %bb.127:
	v_cmp_eq_u32_e32 vcc_lo, 0, v81
	v_add_nc_u32_e32 v81, v83, v81
	s_delay_alu instid0(VALU_DEP_4) | instskip(NEXT) | instid1(VALU_DEP_1)
	v_dual_cndmask_b32 v85, 0, v85 :: v_dual_cndmask_b32 v84, 0, v84
	v_add_co_u32 v75, vcc_lo, v84, v75
	s_delay_alu instid0(VALU_DEP_2)
	v_add_co_ci_u32_e32 v76, vcc_lo, v85, v76, vcc_lo
; %bb.128:
	s_or_b32 exec_lo, exec_lo, s22
	v_mov_b32_dpp v83, v81 row_shr:2 row_mask:0xf bank_mask:0xf
	s_delay_alu instid0(VALU_DEP_3) | instskip(NEXT) | instid1(VALU_DEP_3)
	v_mov_b32_dpp v84, v75 row_shr:2 row_mask:0xf bank_mask:0xf
	v_mov_b32_dpp v85, v76 row_shr:2 row_mask:0xf bank_mask:0xf
	s_mov_b32 s22, exec_lo
	v_cmpx_lt_u32_e32 1, v82
; %bb.129:
	v_cmp_eq_u32_e32 vcc_lo, 0, v81
	v_add_nc_u32_e32 v81, v83, v81
	v_dual_cndmask_b32 v85, 0, v85 :: v_dual_cndmask_b32 v84, 0, v84
	s_delay_alu instid0(VALU_DEP_1) | instskip(NEXT) | instid1(VALU_DEP_2)
	v_add_co_u32 v75, vcc_lo, v84, v75
	v_add_co_ci_u32_e32 v76, vcc_lo, v85, v76, vcc_lo
; %bb.130:
	s_or_b32 exec_lo, exec_lo, s22
	v_mov_b32_dpp v83, v81 row_shr:4 row_mask:0xf bank_mask:0xf
	s_delay_alu instid0(VALU_DEP_3) | instskip(NEXT) | instid1(VALU_DEP_3)
	v_mov_b32_dpp v84, v75 row_shr:4 row_mask:0xf bank_mask:0xf
	v_mov_b32_dpp v85, v76 row_shr:4 row_mask:0xf bank_mask:0xf
	s_mov_b32 s22, exec_lo
	v_cmpx_lt_u32_e32 3, v82
; %bb.131:
	v_cmp_eq_u32_e32 vcc_lo, 0, v81
	v_dual_cndmask_b32 v84, 0, v84 :: v_dual_add_nc_u32 v81, v83, v81
	v_cndmask_b32_e32 v82, 0, v85, vcc_lo
	s_delay_alu instid0(VALU_DEP_2) | instskip(NEXT) | instid1(VALU_DEP_2)
	v_add_co_u32 v75, vcc_lo, v84, v75
	v_add_co_ci_u32_e32 v76, vcc_lo, v82, v76, vcc_lo
; %bb.132:
	s_or_b32 exec_lo, exec_lo, s22
	ds_store_b32 v59, v81 offset:4128
	ds_store_b64 v59, v[75:76] offset:4136
.LBB302_133:
	s_or_b32 exec_lo, exec_lo, s13
	v_mov_b32_e32 v75, 0
	v_cmp_gt_u32_e32 vcc_lo, 32, v0
	v_dual_mov_b32 v76, 0 :: v_dual_mov_b32 v59, 0
	s_mov_b32 s22, exec_lo
	s_waitcnt lgkmcnt(0)
	s_barrier
	buffer_gl0_inv
	v_cmpx_lt_u32_e32 31, v0
	s_cbranch_execz .LBB302_135
; %bb.134:
	ds_load_b64 v[75:76], v80 offset:4120
	ds_load_b32 v59, v80 offset:4112
	v_cmp_eq_u32_e64 s13, 0, v79
	s_waitcnt lgkmcnt(1)
	s_delay_alu instid0(VALU_DEP_1) | instskip(SKIP_3) | instid1(VALU_DEP_3)
	v_cndmask_b32_e64 v81, 0, v75, s13
	v_cndmask_b32_e64 v80, 0, v76, s13
	s_waitcnt lgkmcnt(0)
	v_add_nc_u32_e32 v79, v59, v79
	v_add_co_u32 v77, s13, v81, v77
	s_delay_alu instid0(VALU_DEP_1)
	v_add_co_ci_u32_e64 v78, s13, v80, v78, s13
.LBB302_135:
	s_or_b32 exec_lo, exec_lo, s22
	v_add_nc_u32_e32 v80, -1, v114
	s_delay_alu instid0(VALU_DEP_1) | instskip(NEXT) | instid1(VALU_DEP_1)
	v_cmp_gt_i32_e64 s13, 0, v80
	v_cndmask_b32_e64 v80, v80, v114, s13
	v_cmp_eq_u32_e64 s13, 0, v114
	s_delay_alu instid0(VALU_DEP_2)
	v_lshlrev_b32_e32 v80, 2, v80
	ds_bpermute_b32 v87, v80, v79
	ds_bpermute_b32 v86, v80, v77
	;; [unrolled: 1-line block ×3, first 2 shown]
	s_and_saveexec_b32 s22, vcc_lo
	s_cbranch_execz .LBB302_178
; %bb.136:
	v_mov_b32_e32 v81, 0
	ds_load_b32 v88, v81 offset:4240
	ds_load_b64 v[77:78], v81 offset:4248
	s_and_saveexec_b32 s23, s13
	s_cbranch_execz .LBB302_138
; %bb.137:
	s_add_i32 s28, s15, 32
	s_mov_b32 s29, 0
	v_dual_mov_b32 v79, s28 :: v_dual_mov_b32 v80, 1
	s_lshl_b64 s[34:35], s[28:29], 4
	s_delay_alu instid0(SALU_CYCLE_1)
	s_add_u32 s28, s16, s34
	s_addc_u32 s29, s17, s35
	s_waitcnt lgkmcnt(1)
	global_store_b32 v81, v88, s[28:29]
	s_waitcnt lgkmcnt(0)
	global_store_b64 v81, v[77:78], s[28:29] offset:8
	s_waitcnt_vscnt null, 0x0
	buffer_gl1_inv
	buffer_gl0_inv
	global_store_b8 v79, v80, s[20:21]
.LBB302_138:
	s_or_b32 exec_lo, exec_lo, s23
	v_xad_u32 v79, v114, -1, s15
	s_mov_b32 s28, 0
	s_mov_b32 s23, exec_lo
	s_delay_alu instid0(VALU_DEP_1)
	v_add_nc_u32_e32 v80, 32, v79
	global_load_u8 v89, v80, s[20:21] glc
	s_waitcnt vmcnt(0)
	v_cmpx_eq_u16_e32 0, v89
	s_cbranch_execz .LBB302_144
; %bb.139:
	v_add_co_u32 v82, s29, s20, v80
	s_delay_alu instid0(VALU_DEP_1)
	v_add_co_ci_u32_e64 v83, null, s21, 0, s29
	s_mov_b32 s29, 1
.LBB302_140:                            ; =>This Loop Header: Depth=1
                                        ;     Child Loop BB302_141 Depth 2
	s_delay_alu instid0(SALU_CYCLE_1)
	s_max_u32 s34, s29, 1
.LBB302_141:                            ;   Parent Loop BB302_140 Depth=1
                                        ; =>  This Inner Loop Header: Depth=2
	s_delay_alu instid0(SALU_CYCLE_1)
	s_add_i32 s34, s34, -1
	s_sleep 1
	s_cmp_eq_u32 s34, 0
	s_cbranch_scc0 .LBB302_141
; %bb.142:                              ;   in Loop: Header=BB302_140 Depth=1
	global_load_u8 v89, v[82:83], off glc
	s_cmp_lt_u32 s29, 32
	s_cselect_b32 s34, -1, 0
	s_delay_alu instid0(SALU_CYCLE_1) | instskip(SKIP_4) | instid1(SALU_CYCLE_1)
	s_cmp_lg_u32 s34, 0
	s_addc_u32 s29, s29, 0
	s_waitcnt vmcnt(0)
	v_cmp_ne_u16_e32 vcc_lo, 0, v89
	s_or_b32 s28, vcc_lo, s28
	s_and_not1_b32 exec_lo, exec_lo, s28
	s_cbranch_execnz .LBB302_140
; %bb.143:
	s_or_b32 exec_lo, exec_lo, s28
.LBB302_144:
	s_delay_alu instid0(SALU_CYCLE_1)
	s_or_b32 exec_lo, exec_lo, s23
	v_dual_mov_b32 v82, s17 :: v_dual_mov_b32 v83, s16
	v_cmp_eq_u16_e32 vcc_lo, 1, v89
	v_lshlrev_b64 v[80:81], 4, v[80:81]
	s_waitcnt lgkmcnt(0)
	s_waitcnt_vscnt null, 0x0
	buffer_gl1_inv
	buffer_gl0_inv
	v_lshlrev_b32_e64 v91, v114, -1
	s_mov_b32 s23, exec_lo
	v_cndmask_b32_e32 v83, s18, v83, vcc_lo
	v_cndmask_b32_e32 v82, s19, v82, vcc_lo
	s_delay_alu instid0(VALU_DEP_2) | instskip(NEXT) | instid1(VALU_DEP_2)
	v_add_co_u32 v80, vcc_lo, v83, v80
	v_add_co_ci_u32_e32 v81, vcc_lo, v82, v81, vcc_lo
	v_cmp_ne_u32_e32 vcc_lo, 31, v114
	s_clause 0x1
	global_load_b32 v101, v[80:81], off
	global_load_b64 v[83:84], v[80:81], off offset:8
	v_add_co_ci_u32_e32 v80, vcc_lo, 0, v114, vcc_lo
	v_cmp_eq_u16_e32 vcc_lo, 2, v89
	s_delay_alu instid0(VALU_DEP_2) | instskip(SKIP_1) | instid1(VALU_DEP_1)
	v_lshlrev_b32_e32 v90, 2, v80
	v_and_or_b32 v80, vcc_lo, v91, 0x80000000
	v_ctz_i32_b32_e32 v80, v80
	s_waitcnt vmcnt(1)
	ds_bpermute_b32 v81, v90, v101
	s_waitcnt vmcnt(0)
	ds_bpermute_b32 v82, v90, v83
	ds_bpermute_b32 v92, v90, v84
	v_cmpx_lt_u32_e64 v114, v80
	s_cbranch_execz .LBB302_146
; %bb.145:
	v_cmp_eq_u32_e32 vcc_lo, 0, v101
	s_waitcnt lgkmcnt(1)
	v_dual_cndmask_b32 v82, 0, v82 :: v_dual_add_nc_u32 v101, v81, v101
	s_waitcnt lgkmcnt(0)
	v_cndmask_b32_e32 v92, 0, v92, vcc_lo
	s_delay_alu instid0(VALU_DEP_2) | instskip(NEXT) | instid1(VALU_DEP_2)
	v_add_co_u32 v83, vcc_lo, v82, v83
	v_add_co_ci_u32_e32 v84, vcc_lo, v92, v84, vcc_lo
.LBB302_146:
	s_or_b32 exec_lo, exec_lo, s23
	v_cmp_gt_u32_e32 vcc_lo, 30, v114
	v_add_nc_u32_e32 v93, 2, v114
	s_mov_b32 s23, exec_lo
	s_waitcnt lgkmcnt(2)
	v_cndmask_b32_e64 v81, 0, 1, vcc_lo
	s_delay_alu instid0(VALU_DEP_1) | instskip(SKIP_1) | instid1(VALU_DEP_1)
	v_lshlrev_b32_e32 v81, 1, v81
	s_waitcnt lgkmcnt(0)
	v_add_lshl_u32 v92, v81, v114, 2
	ds_bpermute_b32 v81, v92, v101
	ds_bpermute_b32 v82, v92, v83
	ds_bpermute_b32 v94, v92, v84
	v_cmpx_le_u32_e64 v93, v80
	s_cbranch_execz .LBB302_148
; %bb.147:
	v_cmp_eq_u32_e32 vcc_lo, 0, v101
	s_waitcnt lgkmcnt(1)
	v_dual_cndmask_b32 v82, 0, v82 :: v_dual_add_nc_u32 v101, v81, v101
	s_waitcnt lgkmcnt(0)
	v_cndmask_b32_e32 v94, 0, v94, vcc_lo
	s_delay_alu instid0(VALU_DEP_2) | instskip(NEXT) | instid1(VALU_DEP_2)
	v_add_co_u32 v83, vcc_lo, v82, v83
	v_add_co_ci_u32_e32 v84, vcc_lo, v94, v84, vcc_lo
.LBB302_148:
	s_or_b32 exec_lo, exec_lo, s23
	v_cmp_gt_u32_e32 vcc_lo, 28, v114
	v_add_nc_u32_e32 v95, 4, v114
	s_mov_b32 s23, exec_lo
	s_waitcnt lgkmcnt(2)
	v_cndmask_b32_e64 v81, 0, 1, vcc_lo
	s_delay_alu instid0(VALU_DEP_1) | instskip(SKIP_1) | instid1(VALU_DEP_1)
	v_lshlrev_b32_e32 v81, 2, v81
	s_waitcnt lgkmcnt(0)
	v_add_lshl_u32 v94, v81, v114, 2
	ds_bpermute_b32 v81, v94, v101
	ds_bpermute_b32 v82, v94, v83
	ds_bpermute_b32 v96, v94, v84
	v_cmpx_le_u32_e64 v95, v80
	s_cbranch_execz .LBB302_150
; %bb.149:
	v_cmp_eq_u32_e32 vcc_lo, 0, v101
	s_waitcnt lgkmcnt(1)
	v_dual_cndmask_b32 v82, 0, v82 :: v_dual_add_nc_u32 v101, v81, v101
	s_waitcnt lgkmcnt(0)
	v_cndmask_b32_e32 v96, 0, v96, vcc_lo
	s_delay_alu instid0(VALU_DEP_2) | instskip(NEXT) | instid1(VALU_DEP_2)
	v_add_co_u32 v83, vcc_lo, v82, v83
	v_add_co_ci_u32_e32 v84, vcc_lo, v96, v84, vcc_lo
.LBB302_150:
	s_or_b32 exec_lo, exec_lo, s23
	v_cmp_gt_u32_e32 vcc_lo, 24, v114
	v_add_nc_u32_e32 v97, 8, v114
	s_mov_b32 s23, exec_lo
	s_waitcnt lgkmcnt(2)
	v_cndmask_b32_e64 v81, 0, 1, vcc_lo
	s_delay_alu instid0(VALU_DEP_1) | instskip(SKIP_1) | instid1(VALU_DEP_1)
	v_lshlrev_b32_e32 v81, 3, v81
	s_waitcnt lgkmcnt(0)
	v_add_lshl_u32 v96, v81, v114, 2
	ds_bpermute_b32 v81, v96, v101
	ds_bpermute_b32 v82, v96, v83
	ds_bpermute_b32 v98, v96, v84
	v_cmpx_le_u32_e64 v97, v80
	s_cbranch_execz .LBB302_152
; %bb.151:
	v_cmp_eq_u32_e32 vcc_lo, 0, v101
	s_waitcnt lgkmcnt(1)
	v_dual_cndmask_b32 v82, 0, v82 :: v_dual_add_nc_u32 v101, v81, v101
	s_waitcnt lgkmcnt(0)
	v_cndmask_b32_e32 v98, 0, v98, vcc_lo
	s_delay_alu instid0(VALU_DEP_2) | instskip(NEXT) | instid1(VALU_DEP_2)
	v_add_co_u32 v83, vcc_lo, v82, v83
	v_add_co_ci_u32_e32 v84, vcc_lo, v98, v84, vcc_lo
.LBB302_152:
	s_or_b32 exec_lo, exec_lo, s23
	v_cmp_gt_u32_e32 vcc_lo, 16, v114
	v_add_nc_u32_e32 v100, 16, v114
	s_mov_b32 s23, exec_lo
	s_waitcnt lgkmcnt(2)
	v_cndmask_b32_e64 v81, 0, 1, vcc_lo
	s_delay_alu instid0(VALU_DEP_1) | instskip(NEXT) | instid1(VALU_DEP_1)
	v_lshlrev_b32_e32 v81, 4, v81
	v_add_lshl_u32 v99, v81, v114, 2
	ds_bpermute_b32 v81, v99, v101
	s_waitcnt lgkmcnt(2)
	ds_bpermute_b32 v82, v99, v83
	s_waitcnt lgkmcnt(2)
	ds_bpermute_b32 v98, v99, v84
	v_cmpx_le_u32_e64 v100, v80
	s_cbranch_execz .LBB302_154
; %bb.153:
	v_cmp_eq_u32_e32 vcc_lo, 0, v101
	s_waitcnt lgkmcnt(1)
	v_dual_cndmask_b32 v82, 0, v82 :: v_dual_add_nc_u32 v101, v81, v101
	s_waitcnt lgkmcnt(0)
	v_cndmask_b32_e32 v80, 0, v98, vcc_lo
	s_delay_alu instid0(VALU_DEP_2) | instskip(NEXT) | instid1(VALU_DEP_2)
	v_add_co_u32 v83, vcc_lo, v82, v83
	v_add_co_ci_u32_e32 v84, vcc_lo, v80, v84, vcc_lo
.LBB302_154:
	s_or_b32 exec_lo, exec_lo, s23
	v_mov_b32_e32 v80, 0
	s_branch .LBB302_156
.LBB302_155:                            ;   in Loop: Header=BB302_156 Depth=1
	s_or_b32 exec_lo, exec_lo, s23
	v_cmp_eq_u32_e32 vcc_lo, 0, v98
	v_subrev_nc_u32_e32 v79, 32, v79
	v_add_nc_u32_e32 v101, v101, v98
	v_dual_cndmask_b32 v84, 0, v84 :: v_dual_cndmask_b32 v83, 0, v83
	s_delay_alu instid0(VALU_DEP_1) | instskip(NEXT) | instid1(VALU_DEP_2)
	v_add_co_u32 v83, vcc_lo, v83, v81
	v_add_co_ci_u32_e32 v84, vcc_lo, v84, v82, vcc_lo
.LBB302_156:                            ; =>This Loop Header: Depth=1
                                        ;     Child Loop BB302_159 Depth 2
                                        ;       Child Loop BB302_160 Depth 3
	s_waitcnt lgkmcnt(0)
	v_dual_mov_b32 v98, v101 :: v_dual_and_b32 v81, 0xff, v89
	s_delay_alu instid0(VALU_DEP_1) | instskip(SKIP_2) | instid1(VALU_DEP_1)
	v_cmp_ne_u16_e32 vcc_lo, 2, v81
	v_cndmask_b32_e64 v81, 0, 1, vcc_lo
	;;#ASMSTART
	;;#ASMEND
	v_cmp_ne_u32_e32 vcc_lo, 0, v81
	v_dual_mov_b32 v81, v83 :: v_dual_mov_b32 v82, v84
	s_cmp_lg_u32 vcc_lo, exec_lo
	s_cbranch_scc1 .LBB302_173
; %bb.157:                              ;   in Loop: Header=BB302_156 Depth=1
	global_load_u8 v89, v79, s[20:21] glc
	s_mov_b32 s23, exec_lo
	s_waitcnt vmcnt(0)
	v_cmpx_eq_u16_e32 0, v89
	s_cbranch_execz .LBB302_163
; %bb.158:                              ;   in Loop: Header=BB302_156 Depth=1
	v_add_co_u32 v83, s28, s20, v79
	s_delay_alu instid0(VALU_DEP_1)
	v_add_co_ci_u32_e64 v84, null, s21, 0, s28
	s_mov_b32 s29, 1
	s_mov_b32 s28, 0
.LBB302_159:                            ;   Parent Loop BB302_156 Depth=1
                                        ; =>  This Loop Header: Depth=2
                                        ;       Child Loop BB302_160 Depth 3
	s_max_u32 s34, s29, 1
.LBB302_160:                            ;   Parent Loop BB302_156 Depth=1
                                        ;     Parent Loop BB302_159 Depth=2
                                        ; =>    This Inner Loop Header: Depth=3
	s_delay_alu instid0(SALU_CYCLE_1)
	s_add_i32 s34, s34, -1
	s_sleep 1
	s_cmp_eq_u32 s34, 0
	s_cbranch_scc0 .LBB302_160
; %bb.161:                              ;   in Loop: Header=BB302_159 Depth=2
	global_load_u8 v89, v[83:84], off glc
	s_cmp_lt_u32 s29, 32
	s_cselect_b32 s34, -1, 0
	s_delay_alu instid0(SALU_CYCLE_1) | instskip(SKIP_4) | instid1(SALU_CYCLE_1)
	s_cmp_lg_u32 s34, 0
	s_addc_u32 s29, s29, 0
	s_waitcnt vmcnt(0)
	v_cmp_ne_u16_e32 vcc_lo, 0, v89
	s_or_b32 s28, vcc_lo, s28
	s_and_not1_b32 exec_lo, exec_lo, s28
	s_cbranch_execnz .LBB302_159
; %bb.162:                              ;   in Loop: Header=BB302_156 Depth=1
	s_or_b32 exec_lo, exec_lo, s28
.LBB302_163:                            ;   in Loop: Header=BB302_156 Depth=1
	s_delay_alu instid0(SALU_CYCLE_1)
	s_or_b32 exec_lo, exec_lo, s23
	v_dual_mov_b32 v101, s17 :: v_dual_mov_b32 v102, s16
	v_cmp_eq_u16_e32 vcc_lo, 1, v89
	v_lshlrev_b64 v[83:84], 4, v[79:80]
	buffer_gl1_inv
	buffer_gl0_inv
	s_mov_b32 s23, exec_lo
	v_cndmask_b32_e32 v102, s18, v102, vcc_lo
	v_cndmask_b32_e32 v101, s19, v101, vcc_lo
	s_delay_alu instid0(VALU_DEP_2) | instskip(NEXT) | instid1(VALU_DEP_2)
	v_add_co_u32 v83, vcc_lo, v102, v83
	v_add_co_ci_u32_e32 v84, vcc_lo, v101, v84, vcc_lo
	v_cmp_eq_u16_e32 vcc_lo, 2, v89
	s_clause 0x1
	global_load_b32 v101, v[83:84], off
	global_load_b64 v[83:84], v[83:84], off offset:8
	v_and_or_b32 v102, vcc_lo, v91, 0x80000000
	s_delay_alu instid0(VALU_DEP_1)
	v_ctz_i32_b32_e32 v102, v102
	s_waitcnt vmcnt(1)
	ds_bpermute_b32 v103, v90, v101
	s_waitcnt vmcnt(0)
	ds_bpermute_b32 v104, v90, v83
	ds_bpermute_b32 v105, v90, v84
	v_cmpx_lt_u32_e64 v114, v102
	s_cbranch_execz .LBB302_165
; %bb.164:                              ;   in Loop: Header=BB302_156 Depth=1
	v_cmp_eq_u32_e32 vcc_lo, 0, v101
	s_waitcnt lgkmcnt(2)
	v_add_nc_u32_e32 v101, v103, v101
	s_waitcnt lgkmcnt(0)
	v_dual_cndmask_b32 v105, 0, v105 :: v_dual_cndmask_b32 v104, 0, v104
	s_delay_alu instid0(VALU_DEP_1) | instskip(NEXT) | instid1(VALU_DEP_2)
	v_add_co_u32 v83, vcc_lo, v104, v83
	v_add_co_ci_u32_e32 v84, vcc_lo, v105, v84, vcc_lo
.LBB302_165:                            ;   in Loop: Header=BB302_156 Depth=1
	s_or_b32 exec_lo, exec_lo, s23
	s_waitcnt lgkmcnt(2)
	ds_bpermute_b32 v103, v92, v101
	s_waitcnt lgkmcnt(2)
	ds_bpermute_b32 v104, v92, v83
	s_waitcnt lgkmcnt(2)
	ds_bpermute_b32 v105, v92, v84
	s_mov_b32 s23, exec_lo
	v_cmpx_le_u32_e64 v93, v102
	s_cbranch_execz .LBB302_167
; %bb.166:                              ;   in Loop: Header=BB302_156 Depth=1
	v_cmp_eq_u32_e32 vcc_lo, 0, v101
	s_waitcnt lgkmcnt(2)
	v_add_nc_u32_e32 v101, v103, v101
	s_waitcnt lgkmcnt(0)
	v_dual_cndmask_b32 v105, 0, v105 :: v_dual_cndmask_b32 v104, 0, v104
	s_delay_alu instid0(VALU_DEP_1) | instskip(NEXT) | instid1(VALU_DEP_2)
	v_add_co_u32 v83, vcc_lo, v104, v83
	v_add_co_ci_u32_e32 v84, vcc_lo, v105, v84, vcc_lo
.LBB302_167:                            ;   in Loop: Header=BB302_156 Depth=1
	s_or_b32 exec_lo, exec_lo, s23
	s_waitcnt lgkmcnt(2)
	ds_bpermute_b32 v103, v94, v101
	s_waitcnt lgkmcnt(2)
	ds_bpermute_b32 v104, v94, v83
	s_waitcnt lgkmcnt(2)
	ds_bpermute_b32 v105, v94, v84
	s_mov_b32 s23, exec_lo
	v_cmpx_le_u32_e64 v95, v102
	;; [unrolled: 20-line block ×4, first 2 shown]
	s_cbranch_execz .LBB302_155
; %bb.172:                              ;   in Loop: Header=BB302_156 Depth=1
	v_cmp_eq_u32_e32 vcc_lo, 0, v101
	s_waitcnt lgkmcnt(1)
	v_dual_cndmask_b32 v104, 0, v104 :: v_dual_add_nc_u32 v101, v103, v101
	s_waitcnt lgkmcnt(0)
	v_cndmask_b32_e32 v102, 0, v105, vcc_lo
	s_delay_alu instid0(VALU_DEP_2) | instskip(NEXT) | instid1(VALU_DEP_2)
	v_add_co_u32 v83, vcc_lo, v104, v83
	v_add_co_ci_u32_e32 v84, vcc_lo, v102, v84, vcc_lo
	s_branch .LBB302_155
.LBB302_173:                            ;   in Loop: Header=BB302_156 Depth=1
                                        ; implicit-def: $vgpr83_vgpr84
                                        ; implicit-def: $vgpr101
                                        ; implicit-def: $vgpr89
	s_cbranch_execz .LBB302_156
; %bb.174:
	s_and_saveexec_b32 s16, s13
	s_cbranch_execz .LBB302_176
; %bb.175:
	v_cmp_eq_u32_e32 vcc_lo, 0, v88
	s_mov_b32 s29, 0
	s_add_i32 s28, s15, 32
	v_dual_mov_b32 v84, 0 :: v_dual_add_nc_u32 v83, v98, v88
	v_dual_cndmask_b32 v80, 0, v82 :: v_dual_cndmask_b32 v79, 0, v81
	s_lshl_b64 s[34:35], s[28:29], 4
	v_dual_mov_b32 v89, s28 :: v_dual_mov_b32 v90, 2
	s_add_u32 s34, s18, s34
	s_delay_alu instid0(VALU_DEP_2)
	v_add_co_u32 v79, vcc_lo, v79, v77
	v_add_co_ci_u32_e32 v80, vcc_lo, v80, v78, vcc_lo
	s_addc_u32 s35, s19, s35
	s_clause 0x1
	global_store_b32 v84, v83, s[34:35]
	global_store_b64 v84, v[79:80], s[34:35] offset:8
	s_waitcnt lgkmcnt(0)
	s_waitcnt_vscnt null, 0x0
	buffer_gl1_inv
	buffer_gl0_inv
	global_store_b8 v89, v90, s[20:21]
	ds_store_b32 v84, v88 offset:4096
	ds_store_b64 v84, v[77:78] offset:4104
	ds_store_b32 v84, v98 offset:4112
	ds_store_b64 v84, v[81:82] offset:4120
.LBB302_176:
	s_or_b32 exec_lo, exec_lo, s16
	v_cmp_eq_u32_e32 vcc_lo, 0, v0
	s_and_b32 exec_lo, exec_lo, vcc_lo
	s_cbranch_execz .LBB302_178
; %bb.177:
	v_mov_b32_e32 v77, 0
	ds_store_b32 v77, v98 offset:4240
	ds_store_b64 v77, v[81:82] offset:4248
.LBB302_178:
	s_or_b32 exec_lo, exec_lo, s22
	s_waitcnt lgkmcnt(2)
	v_cndmask_b32_e64 v59, v87, v59, s13
	s_waitcnt lgkmcnt(0)
	s_waitcnt_vscnt null, 0x0
	s_barrier
	buffer_gl0_inv
	v_cndmask_b32_e64 v75, v86, v75, s13
	v_cmp_eq_u32_e32 vcc_lo, 0, v59
	v_mov_b32_e32 v103, 0
	v_cndmask_b32_e64 v76, v85, v76, s13
	ds_load_b64 v[77:78], v103 offset:4248
	s_waitcnt lgkmcnt(0)
	v_dual_cndmask_b32 v80, 0, v77 :: v_dual_cndmask_b32 v79, 0, v78
	s_delay_alu instid0(VALU_DEP_1) | instskip(NEXT) | instid1(VALU_DEP_2)
	v_add_co_u32 v75, vcc_lo, v80, v75
	v_add_co_ci_u32_e32 v76, vcc_lo, v79, v76, vcc_lo
	v_cmp_eq_u32_e32 vcc_lo, 0, v0
	v_cndmask_b32_e64 v109, v59, 0, vcc_lo
	s_delay_alu instid0(VALU_DEP_3)
	v_dual_cndmask_b32 v90, v76, v78 :: v_dual_cndmask_b32 v89, v75, v77
	v_cmp_eq_u32_e32 vcc_lo, 0, v71
	ds_load_b32 v78, v103 offset:4240
	s_waitcnt lgkmcnt(0)
	s_barrier
	buffer_gl0_inv
	v_cndmask_b32_e32 v75, 0, v89, vcc_lo
	v_cndmask_b32_e32 v59, 0, v90, vcc_lo
	ds_load_b64 v[116:117], v103 offset:4104
	v_add_co_u32 v87, vcc_lo, v75, v53
	v_add_co_ci_u32_e32 v88, vcc_lo, v59, v54, vcc_lo
	s_delay_alu instid0(VALU_DEP_2) | instskip(NEXT) | instid1(VALU_DEP_2)
	v_cndmask_b32_e64 v59, 0, v87, s12
	v_cndmask_b32_e64 v75, 0, v88, s12
	s_delay_alu instid0(VALU_DEP_2) | instskip(NEXT) | instid1(VALU_DEP_2)
	v_add_co_u32 v93, vcc_lo, v59, v55
	v_add_co_ci_u32_e32 v94, vcc_lo, v75, v56, vcc_lo
	v_add_nc_u32_e32 v113, v78, v109
	s_delay_alu instid0(VALU_DEP_3) | instskip(NEXT) | instid1(VALU_DEP_3)
	v_cndmask_b32_e64 v59, 0, v93, s11
	v_cndmask_b32_e64 v75, 0, v94, s11
	s_delay_alu instid0(VALU_DEP_2) | instskip(NEXT) | instid1(VALU_DEP_2)
	v_add_co_u32 v97, vcc_lo, v59, v49
	v_add_co_ci_u32_e32 v98, vcc_lo, v75, v50, vcc_lo
	s_delay_alu instid0(VALU_DEP_2) | instskip(NEXT) | instid1(VALU_DEP_2)
	v_cndmask_b32_e64 v59, 0, v97, s10
	v_cndmask_b32_e64 v75, 0, v98, s10
	s_delay_alu instid0(VALU_DEP_2) | instskip(NEXT) | instid1(VALU_DEP_2)
	v_add_co_u32 v79, vcc_lo, v59, v51
	v_add_co_ci_u32_e32 v80, vcc_lo, v75, v52, vcc_lo
	s_delay_alu instid0(VALU_DEP_2) | instskip(NEXT) | instid1(VALU_DEP_2)
	;; [unrolled: 6-line block ×7, first 2 shown]
	v_cndmask_b32_e64 v59, 0, v81, s4
	v_cndmask_b32_e64 v75, 0, v82, s4
	s_delay_alu instid0(VALU_DEP_2) | instskip(NEXT) | instid1(VALU_DEP_2)
	v_add_co_u32 v85, vcc_lo, v59, v39
	v_add_co_ci_u32_e32 v86, vcc_lo, v75, v40, vcc_lo
	ds_load_b32 v59, v103 offset:4096
	v_cndmask_b32_e64 v75, 0, v85, s3
	v_cndmask_b32_e64 v76, 0, v86, s3
	s_delay_alu instid0(VALU_DEP_2) | instskip(NEXT) | instid1(VALU_DEP_2)
	v_add_co_u32 v101, vcc_lo, v75, v33
	v_add_co_ci_u32_e32 v102, vcc_lo, v76, v34, vcc_lo
	ds_load_b64 v[75:76], v103 offset:4120
	v_cndmask_b32_e64 v77, 0, v101, s2
	v_cndmask_b32_e64 v104, 0, v102, s2
	s_delay_alu instid0(VALU_DEP_2)
	v_add_co_u32 v105, vcc_lo, v77, v35
	ds_load_b32 v77, v103 offset:4112
	v_add_co_ci_u32_e32 v106, vcc_lo, v104, v36, vcc_lo
	v_cndmask_b32_e64 v104, 0, v105, s1
	s_waitcnt lgkmcnt(2)
	v_cmp_eq_u32_e32 vcc_lo, 0, v59
	s_delay_alu instid0(VALU_DEP_3) | instskip(NEXT) | instid1(VALU_DEP_3)
	v_cndmask_b32_e64 v110, 0, v106, s1
	v_add_co_u32 v103, s1, v104, v29
	s_delay_alu instid0(VALU_DEP_1) | instskip(SKIP_2) | instid1(VALU_DEP_3)
	v_add_co_ci_u32_e64 v104, s1, v110, v30, s1
	s_waitcnt lgkmcnt(1)
	v_dual_cndmask_b32 v75, 0, v75 :: v_dual_cndmask_b32 v76, 0, v76
	v_cndmask_b32_e64 v109, 0, v103, s0
	s_delay_alu instid0(VALU_DEP_3) | instskip(NEXT) | instid1(VALU_DEP_3)
	v_cndmask_b32_e64 v110, 0, v104, s0
	v_add_co_u32 v75, vcc_lo, v75, v116
	s_delay_alu instid0(VALU_DEP_4)
	v_add_co_ci_u32_e32 v76, vcc_lo, v76, v117, vcc_lo
	s_branch .LBB302_207
.LBB302_179:
                                        ; implicit-def: $vgpr59
                                        ; implicit-def: $vgpr75_vgpr76
                                        ; implicit-def: $vgpr77
                                        ; implicit-def: $vgpr89_vgpr90
                                        ; implicit-def: $vgpr87_vgpr88
                                        ; implicit-def: $vgpr93_vgpr94
                                        ; implicit-def: $vgpr97_vgpr98
                                        ; implicit-def: $vgpr79_vgpr80
                                        ; implicit-def: $vgpr83_vgpr84
                                        ; implicit-def: $vgpr91_vgpr92
                                        ; implicit-def: $vgpr95_vgpr96
                                        ; implicit-def: $vgpr99_vgpr100
                                        ; implicit-def: $vgpr81_vgpr82
                                        ; implicit-def: $vgpr85_vgpr86
                                        ; implicit-def: $vgpr101_vgpr102
                                        ; implicit-def: $vgpr105_vgpr106
                                        ; implicit-def: $vgpr103_vgpr104
                                        ; implicit-def: $vgpr109_vgpr110
                                        ; implicit-def: $vgpr113
	s_cbranch_execz .LBB302_207
; %bb.180:
	s_and_b32 s0, s14, exec_lo
	s_cselect_b32 s1, 0, s25
	s_cselect_b32 s0, 0, s24
	s_delay_alu instid0(SALU_CYCLE_1)
	s_cmp_eq_u64 s[0:1], 0
	s_cbranch_scc1 .LBB302_182
; %bb.181:
	v_mov_b32_e32 v59, 0
	global_load_b64 v[107:108], v59, s[0:1]
.LBB302_182:
	v_cmp_eq_u32_e64 s11, 0, v72
	v_cmp_eq_u32_e64 s10, 0, v69
	;; [unrolled: 1-line block ×5, first 2 shown]
	s_waitcnt lgkmcnt(0)
	v_cndmask_b32_e64 v75, 0, v53, s11
	v_cndmask_b32_e64 v59, 0, v54, s11
	v_cmp_eq_u32_e64 s6, 0, v65
	v_cmp_eq_u32_e64 s5, 0, v66
	;; [unrolled: 1-line block ×3, first 2 shown]
	v_add_co_u32 v75, vcc_lo, v75, v55
	v_add_co_ci_u32_e32 v59, vcc_lo, v59, v56, vcc_lo
	v_cmp_eq_u32_e64 s3, 0, v64
	s_delay_alu instid0(VALU_DEP_3) | instskip(SKIP_1) | instid1(VALU_DEP_4)
	v_cndmask_b32_e64 v75, 0, v75, s10
	v_cmp_eq_u32_e64 s2, 0, v61
	v_cndmask_b32_e64 v59, 0, v59, s10
	v_cmp_eq_u32_e64 s1, 0, v112
	v_add3_u32 v76, v115, v68, v65
	v_add_co_u32 v75, vcc_lo, v75, v49
	s_delay_alu instid0(VALU_DEP_4) | instskip(NEXT) | instid1(VALU_DEP_3)
	v_add_co_ci_u32_e32 v59, vcc_lo, v59, v50, vcc_lo
	v_add3_u32 v76, v76, v66, v63
	s_delay_alu instid0(VALU_DEP_3) | instskip(SKIP_1) | instid1(VALU_DEP_3)
	v_cndmask_b32_e64 v75, 0, v75, s9
	s_mov_b32 s13, exec_lo
	v_cndmask_b32_e64 v59, 0, v59, s9
	s_delay_alu instid0(VALU_DEP_3) | instskip(NEXT) | instid1(VALU_DEP_3)
	v_add3_u32 v76, v76, v64, v61
	v_add_co_u32 v75, vcc_lo, v75, v51
	s_delay_alu instid0(VALU_DEP_3) | instskip(NEXT) | instid1(VALU_DEP_3)
	v_add_co_ci_u32_e32 v59, vcc_lo, v59, v52, vcc_lo
	v_add3_u32 v76, v76, v62, v112
	s_delay_alu instid0(VALU_DEP_3) | instskip(NEXT) | instid1(VALU_DEP_3)
	v_cndmask_b32_e64 v75, 0, v75, s8
	v_cndmask_b32_e64 v59, 0, v59, s8
	s_delay_alu instid0(VALU_DEP_2) | instskip(NEXT) | instid1(VALU_DEP_2)
	v_add_co_u32 v75, vcc_lo, v75, v45
	v_add_co_ci_u32_e32 v59, vcc_lo, v59, v46, vcc_lo
	s_delay_alu instid0(VALU_DEP_2) | instskip(NEXT) | instid1(VALU_DEP_2)
	v_cndmask_b32_e64 v75, 0, v75, s7
	v_cndmask_b32_e64 v59, 0, v59, s7
	s_delay_alu instid0(VALU_DEP_2) | instskip(NEXT) | instid1(VALU_DEP_2)
	v_add_co_u32 v75, vcc_lo, v75, v47
	v_add_co_ci_u32_e32 v59, vcc_lo, v59, v48, vcc_lo
	s_delay_alu instid0(VALU_DEP_2) | instskip(NEXT) | instid1(VALU_DEP_2)
	;; [unrolled: 6-line block ×6, first 2 shown]
	v_cndmask_b32_e64 v75, 0, v75, s2
	v_cndmask_b32_e64 v59, 0, v59, s2
	s_delay_alu instid0(VALU_DEP_2) | instskip(NEXT) | instid1(VALU_DEP_2)
	v_add_co_u32 v75, vcc_lo, v75, v33
	v_add_co_ci_u32_e32 v59, vcc_lo, v59, v34, vcc_lo
	v_cmp_eq_u32_e32 vcc_lo, 0, v62
	s_delay_alu instid0(VALU_DEP_3) | instskip(NEXT) | instid1(VALU_DEP_3)
	v_cndmask_b32_e32 v75, 0, v75, vcc_lo
	v_cndmask_b32_e32 v59, 0, v59, vcc_lo
	s_delay_alu instid0(VALU_DEP_2) | instskip(NEXT) | instid1(VALU_DEP_1)
	v_add_co_u32 v75, s0, v75, v35
	v_add_co_ci_u32_e64 v59, s0, v59, v36, s0
	s_delay_alu instid0(VALU_DEP_2) | instskip(NEXT) | instid1(VALU_DEP_2)
	v_cndmask_b32_e64 v75, 0, v75, s1
	v_cndmask_b32_e64 v59, 0, v59, s1
	s_delay_alu instid0(VALU_DEP_2) | instskip(NEXT) | instid1(VALU_DEP_1)
	v_add_co_u32 v75, s0, v75, v29
	v_add_co_ci_u32_e64 v59, s0, v59, v30, s0
	v_cmp_eq_u32_e64 s0, 0, v60
	s_delay_alu instid0(VALU_DEP_1) | instskip(NEXT) | instid1(VALU_DEP_3)
	v_cndmask_b32_e64 v75, 0, v75, s0
	v_cndmask_b32_e64 v59, 0, v59, s0
	s_delay_alu instid0(VALU_DEP_2) | instskip(NEXT) | instid1(VALU_DEP_1)
	v_add_co_u32 v75, s12, v75, v31
	v_add_co_ci_u32_e64 v59, s12, v59, v32, s12
	v_cmp_eq_u32_e64 s12, 0, v111
	s_delay_alu instid0(VALU_DEP_1) | instskip(NEXT) | instid1(VALU_DEP_3)
	v_cndmask_b32_e64 v75, 0, v75, s12
	v_cndmask_b32_e64 v77, 0, v59, s12
	v_add3_u32 v59, v76, v60, v111
	s_delay_alu instid0(VALU_DEP_3) | instskip(NEXT) | instid1(VALU_DEP_1)
	v_add_co_u32 v73, s12, v75, v73
	v_add_co_ci_u32_e64 v74, s12, v77, v74, s12
	v_and_b32_e32 v75, 15, v114
	s_delay_alu instid0(VALU_DEP_4) | instskip(NEXT) | instid1(VALU_DEP_4)
	v_mov_b32_dpp v76, v59 row_shr:1 row_mask:0xf bank_mask:0xf
	v_mov_b32_dpp v77, v73 row_shr:1 row_mask:0xf bank_mask:0xf
	s_delay_alu instid0(VALU_DEP_4) | instskip(NEXT) | instid1(VALU_DEP_4)
	v_mov_b32_dpp v78, v74 row_shr:1 row_mask:0xf bank_mask:0xf
	v_cmpx_ne_u32_e32 0, v75
; %bb.183:
	v_cmp_eq_u32_e64 s12, 0, v59
	v_add_nc_u32_e32 v59, v76, v59
	s_delay_alu instid0(VALU_DEP_2) | instskip(SKIP_1) | instid1(VALU_DEP_2)
	v_cndmask_b32_e64 v77, 0, v77, s12
	v_cndmask_b32_e64 v78, 0, v78, s12
	v_add_co_u32 v73, s12, v77, v73
	s_delay_alu instid0(VALU_DEP_1)
	v_add_co_ci_u32_e64 v74, s12, v78, v74, s12
; %bb.184:
	s_or_b32 exec_lo, exec_lo, s13
	v_mov_b32_dpp v76, v59 row_shr:2 row_mask:0xf bank_mask:0xf
	s_delay_alu instid0(VALU_DEP_3) | instskip(NEXT) | instid1(VALU_DEP_3)
	v_mov_b32_dpp v77, v73 row_shr:2 row_mask:0xf bank_mask:0xf
	v_mov_b32_dpp v78, v74 row_shr:2 row_mask:0xf bank_mask:0xf
	s_mov_b32 s13, exec_lo
	v_cmpx_lt_u32_e32 1, v75
; %bb.185:
	v_cmp_eq_u32_e64 s12, 0, v59
	v_add_nc_u32_e32 v59, v76, v59
	s_delay_alu instid0(VALU_DEP_2) | instskip(SKIP_1) | instid1(VALU_DEP_2)
	v_cndmask_b32_e64 v77, 0, v77, s12
	v_cndmask_b32_e64 v78, 0, v78, s12
	v_add_co_u32 v73, s12, v77, v73
	s_delay_alu instid0(VALU_DEP_1)
	v_add_co_ci_u32_e64 v74, s12, v78, v74, s12
; %bb.186:
	s_or_b32 exec_lo, exec_lo, s13
	v_mov_b32_dpp v76, v59 row_shr:4 row_mask:0xf bank_mask:0xf
	s_delay_alu instid0(VALU_DEP_3) | instskip(NEXT) | instid1(VALU_DEP_3)
	v_mov_b32_dpp v77, v73 row_shr:4 row_mask:0xf bank_mask:0xf
	v_mov_b32_dpp v78, v74 row_shr:4 row_mask:0xf bank_mask:0xf
	s_mov_b32 s13, exec_lo
	v_cmpx_lt_u32_e32 3, v75
	;; [unrolled: 17-line block ×3, first 2 shown]
; %bb.189:
	v_cmp_eq_u32_e64 s12, 0, v59
	v_add_nc_u32_e32 v59, v76, v59
	s_delay_alu instid0(VALU_DEP_2) | instskip(SKIP_1) | instid1(VALU_DEP_2)
	v_cndmask_b32_e64 v77, 0, v77, s12
	v_cndmask_b32_e64 v75, 0, v78, s12
	v_add_co_u32 v73, s12, v77, v73
	s_delay_alu instid0(VALU_DEP_1)
	v_add_co_ci_u32_e64 v74, s12, v75, v74, s12
; %bb.190:
	s_or_b32 exec_lo, exec_lo, s13
	ds_swizzle_b32 v75, v59 offset:swizzle(BROADCAST,32,15)
	ds_swizzle_b32 v76, v73 offset:swizzle(BROADCAST,32,15)
	;; [unrolled: 1-line block ×3, first 2 shown]
	v_and_b32_e32 v78, 16, v114
	s_mov_b32 s13, exec_lo
	s_delay_alu instid0(VALU_DEP_1)
	v_cmpx_ne_u32_e32 0, v78
	s_cbranch_execz .LBB302_192
; %bb.191:
	v_cmp_eq_u32_e64 s12, 0, v59
	s_waitcnt lgkmcnt(2)
	v_add_nc_u32_e32 v59, v75, v59
	s_waitcnt lgkmcnt(1)
	s_delay_alu instid0(VALU_DEP_2) | instskip(SKIP_2) | instid1(VALU_DEP_2)
	v_cndmask_b32_e64 v76, 0, v76, s12
	s_waitcnt lgkmcnt(0)
	v_cndmask_b32_e64 v77, 0, v77, s12
	v_add_co_u32 v73, s12, v76, v73
	s_delay_alu instid0(VALU_DEP_1)
	v_add_co_ci_u32_e64 v74, s12, v77, v74, s12
.LBB302_192:
	s_or_b32 exec_lo, exec_lo, s13
	s_waitcnt lgkmcnt(2)
	v_or_b32_e32 v75, 31, v0
	s_waitcnt lgkmcnt(0)
	v_lshrrev_b32_e32 v77, 5, v0
	s_mov_b32 s13, exec_lo
	s_delay_alu instid0(VALU_DEP_2)
	v_cmpx_eq_u32_e64 v75, v0
	s_cbranch_execz .LBB302_194
; %bb.193:
	s_delay_alu instid0(VALU_DEP_2)
	v_lshlrev_b32_e32 v75, 4, v77
	ds_store_b32 v75, v59 offset:4128
	ds_store_b64 v75, v[73:74] offset:4136
.LBB302_194:
	s_or_b32 exec_lo, exec_lo, s13
	s_delay_alu instid0(SALU_CYCLE_1)
	s_mov_b32 s13, exec_lo
	s_waitcnt vmcnt(0) lgkmcnt(0)
	s_barrier
	buffer_gl0_inv
	v_cmpx_gt_u32_e32 8, v0
	s_cbranch_execz .LBB302_202
; %bb.195:
	v_lshlrev_b32_e32 v78, 4, v0
	v_and_b32_e32 v80, 7, v114
	s_mov_b32 s15, exec_lo
	ds_load_b32 v79, v78 offset:4128
	ds_load_b64 v[75:76], v78 offset:4136
	s_waitcnt lgkmcnt(1)
	v_mov_b32_dpp v81, v79 row_shr:1 row_mask:0xf bank_mask:0xf
	s_waitcnt lgkmcnt(0)
	v_mov_b32_dpp v82, v75 row_shr:1 row_mask:0xf bank_mask:0xf
	v_mov_b32_dpp v83, v76 row_shr:1 row_mask:0xf bank_mask:0xf
	v_cmpx_ne_u32_e32 0, v80
; %bb.196:
	v_cmp_eq_u32_e64 s12, 0, v79
	v_add_nc_u32_e32 v79, v81, v79
	s_delay_alu instid0(VALU_DEP_2) | instskip(SKIP_1) | instid1(VALU_DEP_2)
	v_cndmask_b32_e64 v82, 0, v82, s12
	v_cndmask_b32_e64 v83, 0, v83, s12
	v_add_co_u32 v75, s12, v82, v75
	s_delay_alu instid0(VALU_DEP_1)
	v_add_co_ci_u32_e64 v76, s12, v83, v76, s12
; %bb.197:
	s_or_b32 exec_lo, exec_lo, s15
	v_mov_b32_dpp v81, v79 row_shr:2 row_mask:0xf bank_mask:0xf
	s_delay_alu instid0(VALU_DEP_3) | instskip(NEXT) | instid1(VALU_DEP_3)
	v_mov_b32_dpp v82, v75 row_shr:2 row_mask:0xf bank_mask:0xf
	v_mov_b32_dpp v83, v76 row_shr:2 row_mask:0xf bank_mask:0xf
	s_mov_b32 s15, exec_lo
	v_cmpx_lt_u32_e32 1, v80
; %bb.198:
	v_cmp_eq_u32_e64 s12, 0, v79
	v_add_nc_u32_e32 v79, v81, v79
	s_delay_alu instid0(VALU_DEP_2) | instskip(SKIP_1) | instid1(VALU_DEP_2)
	v_cndmask_b32_e64 v82, 0, v82, s12
	v_cndmask_b32_e64 v83, 0, v83, s12
	v_add_co_u32 v75, s12, v82, v75
	s_delay_alu instid0(VALU_DEP_1)
	v_add_co_ci_u32_e64 v76, s12, v83, v76, s12
; %bb.199:
	s_or_b32 exec_lo, exec_lo, s15
	v_mov_b32_dpp v81, v79 row_shr:4 row_mask:0xf bank_mask:0xf
	s_delay_alu instid0(VALU_DEP_3) | instskip(NEXT) | instid1(VALU_DEP_3)
	v_mov_b32_dpp v82, v75 row_shr:4 row_mask:0xf bank_mask:0xf
	v_mov_b32_dpp v83, v76 row_shr:4 row_mask:0xf bank_mask:0xf
	s_mov_b32 s15, exec_lo
	v_cmpx_lt_u32_e32 3, v80
; %bb.200:
	v_cmp_eq_u32_e64 s12, 0, v79
	v_add_nc_u32_e32 v79, v81, v79
	s_delay_alu instid0(VALU_DEP_2) | instskip(SKIP_1) | instid1(VALU_DEP_2)
	v_cndmask_b32_e64 v82, 0, v82, s12
	v_cndmask_b32_e64 v80, 0, v83, s12
	v_add_co_u32 v75, s12, v82, v75
	s_delay_alu instid0(VALU_DEP_1)
	v_add_co_ci_u32_e64 v76, s12, v80, v76, s12
; %bb.201:
	s_or_b32 exec_lo, exec_lo, s15
	ds_store_b32 v78, v79 offset:4128
	ds_store_b64 v78, v[75:76] offset:4136
.LBB302_202:
	s_or_b32 exec_lo, exec_lo, s13
	v_dual_mov_b32 v78, 0 :: v_dual_mov_b32 v79, 0
	v_dual_mov_b32 v75, v107 :: v_dual_mov_b32 v76, v108
	s_mov_b32 s13, exec_lo
	s_waitcnt lgkmcnt(0)
	s_barrier
	buffer_gl0_inv
	v_cmpx_lt_u32_e32 31, v0
	s_cbranch_execz .LBB302_204
; %bb.203:
	v_lshlrev_b32_e32 v75, 4, v77
	ds_load_b32 v79, v75 offset:4112
	ds_load_b64 v[75:76], v75 offset:4120
	s_waitcnt lgkmcnt(1)
	v_cmp_eq_u32_e64 s12, 0, v79
	s_delay_alu instid0(VALU_DEP_1) | instskip(SKIP_2) | instid1(VALU_DEP_2)
	v_cndmask_b32_e64 v80, 0, v107, s12
	v_cndmask_b32_e64 v77, 0, v108, s12
	s_waitcnt lgkmcnt(0)
	v_add_co_u32 v75, s12, v80, v75
	s_delay_alu instid0(VALU_DEP_1)
	v_add_co_ci_u32_e64 v76, s12, v77, v76, s12
.LBB302_204:
	s_or_b32 exec_lo, exec_lo, s13
	v_add_nc_u32_e32 v77, -1, v114
	v_cmp_eq_u32_e64 s12, 0, v59
	v_add_nc_u32_e32 v59, v79, v59
	s_delay_alu instid0(VALU_DEP_3) | instskip(NEXT) | instid1(VALU_DEP_3)
	v_cmp_gt_i32_e64 s13, 0, v77
	v_cndmask_b32_e64 v81, 0, v75, s12
	v_cndmask_b32_e64 v80, 0, v76, s12
	s_delay_alu instid0(VALU_DEP_3) | instskip(NEXT) | instid1(VALU_DEP_3)
	v_cndmask_b32_e64 v77, v77, v114, s13
	v_add_co_u32 v73, s12, v81, v73
	s_delay_alu instid0(VALU_DEP_1) | instskip(NEXT) | instid1(VALU_DEP_3)
	v_add_co_ci_u32_e64 v74, s12, v80, v74, s12
	v_lshlrev_b32_e32 v77, 2, v77
	v_cmp_eq_u32_e64 s12, 0, v114
	v_cmp_eq_u32_e64 s13, 0, v71
	ds_bpermute_b32 v59, v77, v59
	ds_bpermute_b32 v74, v77, v74
	;; [unrolled: 1-line block ×3, first 2 shown]
	s_waitcnt lgkmcnt(2)
	v_cndmask_b32_e64 v113, v59, v79, s12
	s_waitcnt lgkmcnt(1)
	v_cndmask_b32_e64 v90, v74, v76, s12
	;; [unrolled: 2-line block ×3, first 2 shown]
	v_cmp_eq_u32_e64 s12, 0, v0
	s_delay_alu instid0(VALU_DEP_1) | instskip(SKIP_1) | instid1(VALU_DEP_2)
	v_cndmask_b32_e64 v59, v89, v107, s12
	v_cndmask_b32_e64 v73, v90, v108, s12
	;; [unrolled: 1-line block ×3, first 2 shown]
	s_delay_alu instid0(VALU_DEP_2) | instskip(NEXT) | instid1(VALU_DEP_2)
	v_cndmask_b32_e64 v73, 0, v73, s13
	v_add_co_u32 v87, s13, v59, v53
	s_delay_alu instid0(VALU_DEP_1) | instskip(SKIP_3) | instid1(VALU_DEP_2)
	v_add_co_ci_u32_e64 v88, s13, v73, v54, s13
	ds_load_b32 v59, v78 offset:4240
	v_cndmask_b32_e64 v53, 0, v87, s11
	v_cndmask_b32_e64 v54, 0, v88, s11
	v_add_co_u32 v93, s11, v53, v55
	s_delay_alu instid0(VALU_DEP_1) | instskip(NEXT) | instid1(VALU_DEP_2)
	v_add_co_ci_u32_e64 v94, s11, v54, v56, s11
	v_cndmask_b32_e64 v53, 0, v93, s10
	s_delay_alu instid0(VALU_DEP_2) | instskip(NEXT) | instid1(VALU_DEP_2)
	v_cndmask_b32_e64 v54, 0, v94, s10
	v_add_co_u32 v97, s10, v53, v49
	s_delay_alu instid0(VALU_DEP_1) | instskip(NEXT) | instid1(VALU_DEP_2)
	v_add_co_ci_u32_e64 v98, s10, v54, v50, s10
	v_cndmask_b32_e64 v49, 0, v97, s9
	s_delay_alu instid0(VALU_DEP_2) | instskip(NEXT) | instid1(VALU_DEP_2)
	;; [unrolled: 6-line block ×9, first 2 shown]
	v_cndmask_b32_e64 v38, 0, v86, s2
	v_add_co_u32 v101, s2, v37, v33
	s_delay_alu instid0(VALU_DEP_1) | instskip(SKIP_2) | instid1(VALU_DEP_1)
	v_add_co_ci_u32_e64 v102, s2, v38, v34, s2
	ds_load_b64 v[33:34], v78 offset:4248
	v_dual_cndmask_b32 v37, 0, v101 :: v_dual_cndmask_b32 v38, 0, v102
	v_add_co_u32 v105, vcc_lo, v37, v35
	s_delay_alu instid0(VALU_DEP_2) | instskip(SKIP_2) | instid1(VALU_DEP_3)
	v_add_co_ci_u32_e32 v106, vcc_lo, v38, v36, vcc_lo
	s_waitcnt lgkmcnt(1)
	v_cmp_eq_u32_e32 vcc_lo, 0, v59
	v_cndmask_b32_e64 v35, 0, v105, s1
	s_delay_alu instid0(VALU_DEP_3) | instskip(NEXT) | instid1(VALU_DEP_2)
	v_cndmask_b32_e64 v36, 0, v106, s1
	v_add_co_u32 v103, s1, v35, v29
	s_delay_alu instid0(VALU_DEP_1) | instskip(SKIP_1) | instid1(VALU_DEP_3)
	v_add_co_ci_u32_e64 v104, s1, v36, v30, s1
	v_dual_cndmask_b32 v30, 0, v107 :: v_dual_cndmask_b32 v29, 0, v108
	v_cndmask_b32_e64 v109, 0, v103, s0
	s_delay_alu instid0(VALU_DEP_3) | instskip(SKIP_1) | instid1(VALU_DEP_3)
	v_cndmask_b32_e64 v110, 0, v104, s0
	s_waitcnt lgkmcnt(0)
	v_add_co_u32 v75, vcc_lo, v30, v33
	v_add_co_ci_u32_e32 v76, vcc_lo, v29, v34, vcc_lo
	s_and_saveexec_b32 s0, s12
	s_cbranch_execz .LBB302_206
; %bb.205:
	v_mov_b32_e32 v89, v107
	v_dual_mov_b32 v113, 0 :: v_dual_mov_b32 v90, v108
	v_mov_b32_e32 v29, 2
	s_clause 0x1
	global_store_b32 v113, v59, s[18:19] offset:512
	global_store_b64 v113, v[75:76], s[18:19] offset:520
	s_waitcnt_vscnt null, 0x0
	buffer_gl1_inv
	buffer_gl0_inv
	global_store_b8 v113, v29, s[20:21] offset:32
.LBB302_206:
	s_or_b32 exec_lo, exec_lo, s0
	v_mov_b32_e32 v77, 0
.LBB302_207:
	v_mov_b32_e32 v29, 0
	s_and_b32 s0, s14, exec_lo
	v_mov_b32_e32 v30, 0
	s_cselect_b32 s1, 0, s31
	s_cselect_b32 s0, 0, s30
	s_waitcnt lgkmcnt(0)
	s_waitcnt_vscnt null, 0x0
	s_cmp_eq_u64 s[0:1], 0
	s_barrier
	buffer_gl0_inv
	s_cbranch_scc1 .LBB302_209
; %bb.208:
	v_mov_b32_e32 v29, 0
	global_load_b64 v[29:30], v29, s[0:1]
.LBB302_209:
	v_cmp_eq_u32_e32 vcc_lo, 0, v71
	v_add_nc_u32_e32 v48, v113, v71
	v_cmp_ne_u32_e64 s12, 0, v71
	v_cmp_ne_u32_e64 s11, 0, v72
	;; [unrolled: 1-line block ×3, first 2 shown]
	v_cndmask_b32_e64 v33, 1, 2, vcc_lo
	v_cmp_eq_u32_e32 vcc_lo, 0, v72
	v_add_nc_u32_e32 v50, v48, v72
	v_cmp_ne_u32_e64 s8, 0, v70
	v_cmp_ne_u32_e64 s14, 0, v67
	;; [unrolled: 1-line block ×3, first 2 shown]
	v_cndmask_b32_e64 v34, 1, 2, vcc_lo
	v_cmp_eq_u32_e32 vcc_lo, 0, v69
	v_add_nc_u32_e32 v49, v50, v69
	v_cmp_ne_u32_e64 s10, 0, v65
	s_delay_alu instid0(VALU_DEP_4)
	v_dual_mov_b32 v78, 0 :: v_dual_and_b32 v33, v34, v33
	v_cndmask_b32_e64 v35, 1, 2, vcc_lo
	v_cmp_eq_u32_e32 vcc_lo, 0, v70
	v_add_nc_u32_e32 v47, v49, v70
	v_cmp_ne_u32_e64 s7, 0, v66
	v_cmp_ne_u32_e64 s6, 0, v63
	v_and_b32_e32 v35, v33, v35
	v_cndmask_b32_e64 v36, 1, 2, vcc_lo
	v_cmp_eq_u32_e32 vcc_lo, 0, v67
	v_add_nc_u32_e32 v46, v47, v67
	s_waitcnt vmcnt(0)
	v_lshlrev_b64 v[33:34], 3, v[29:30]
	v_cmp_ne_u32_e64 s5, 0, v64
	v_and_b32_e32 v35, v35, v36
	v_cndmask_b32_e64 v37, 1, 2, vcc_lo
	v_cmp_eq_u32_e32 vcc_lo, 0, v68
	v_add_nc_u32_e32 v45, v46, v68
	v_cmp_ne_u32_e64 s4, 0, v61
	v_cmp_ne_u32_e64 s3, 0, v62
	v_and_b32_e32 v35, v35, v37
	v_cndmask_b32_e64 v36, 1, 2, vcc_lo
	v_cmp_eq_u32_e32 vcc_lo, 0, v65
	v_add_nc_u32_e32 v44, v45, v65
	v_cmp_ne_u32_e64 s2, 0, v112
	;; [unrolled: 6-line block ×3, first 2 shown]
	s_mov_b32 s16, -1
	v_and_b32_e32 v35, v35, v37
	v_cndmask_b32_e64 v36, 1, 2, vcc_lo
	v_cmp_eq_u32_e32 vcc_lo, 0, v63
	v_add_nc_u32_e32 v42, v43, v63
	s_delay_alu instid0(VALU_DEP_3) | instskip(SKIP_2) | instid1(VALU_DEP_4)
	v_and_b32_e32 v35, v35, v36
	v_cndmask_b32_e64 v37, 1, 2, vcc_lo
	v_cmp_eq_u32_e32 vcc_lo, 0, v64
	v_add_nc_u32_e32 v41, v42, v64
	s_delay_alu instid0(VALU_DEP_3) | instskip(SKIP_2) | instid1(VALU_DEP_4)
	v_and_b32_e32 v35, v35, v37
	v_cndmask_b32_e64 v36, 1, 2, vcc_lo
	v_cmp_eq_u32_e32 vcc_lo, 0, v61
	v_add_nc_u32_e32 v40, v41, v61
	s_delay_alu instid0(VALU_DEP_3) | instskip(SKIP_3) | instid1(VALU_DEP_3)
	v_and_b32_e32 v39, v35, v36
	v_cndmask_b32_e64 v37, 1, 2, vcc_lo
	v_cmp_eq_u32_e32 vcc_lo, 0, v62
	v_lshlrev_b64 v[35:36], 3, v[77:78]
	v_and_b32_e32 v37, v39, v37
	v_cndmask_b32_e64 v38, 1, 2, vcc_lo
	v_cmp_eq_u32_e32 vcc_lo, 0, v112
	v_add_nc_u32_e32 v39, v40, v62
	s_delay_alu instid0(VALU_DEP_3) | instskip(SKIP_3) | instid1(VALU_DEP_3)
	v_and_b32_e32 v54, v37, v38
	v_cndmask_b32_e64 v53, 1, 2, vcc_lo
	v_add_co_u32 v51, vcc_lo, s42, v33
	v_add_co_ci_u32_e32 v52, vcc_lo, s43, v34, vcc_lo
	v_and_b32_e32 v53, v54, v53
	s_delay_alu instid0(VALU_DEP_3) | instskip(NEXT) | instid1(VALU_DEP_3)
	v_add_co_u32 v51, vcc_lo, v51, v35
	v_add_co_ci_u32_e32 v52, vcc_lo, v52, v36, vcc_lo
	v_cmp_eq_u32_e32 vcc_lo, 0, v60
	v_add_nc_u32_e32 v38, v39, v112
	v_cndmask_b32_e64 v54, 1, 2, vcc_lo
	v_cmp_eq_u32_e32 vcc_lo, 0, v111
	s_delay_alu instid0(VALU_DEP_3) | instskip(NEXT) | instid1(VALU_DEP_3)
	v_add_nc_u32_e32 v37, v38, v60
	v_and_b32_e32 v53, v53, v54
	v_cndmask_b32_e64 v54, 1, 2, vcc_lo
	v_cmp_gt_u32_e32 vcc_lo, 0x100, v59
	s_delay_alu instid0(VALU_DEP_2) | instskip(NEXT) | instid1(VALU_DEP_1)
	v_and_b32_e32 v53, v53, v54
	v_cmp_gt_i16_e64 s15, 2, v53
	s_cbranch_vccz .LBB302_216
; %bb.210:
	s_delay_alu instid0(VALU_DEP_1)
	s_and_saveexec_b32 s16, s15
	s_cbranch_execz .LBB302_215
; %bb.211:
	s_mov_b32 s17, 0
	s_mov_b32 s15, exec_lo
	v_cmpx_ne_u16_e32 1, v53
	s_xor_b32 s15, exec_lo, s15
	s_cbranch_execnz .LBB302_281
; %bb.212:
	s_and_not1_saveexec_b32 s15, s15
	s_cbranch_execnz .LBB302_297
.LBB302_213:
	s_or_b32 exec_lo, exec_lo, s15
	s_delay_alu instid0(SALU_CYCLE_1)
	s_and_b32 exec_lo, exec_lo, s17
	s_cbranch_execz .LBB302_215
.LBB302_214:
	v_sub_nc_u32_e32 v54, v37, v77
	v_mov_b32_e32 v55, 0
	s_delay_alu instid0(VALU_DEP_1) | instskip(NEXT) | instid1(VALU_DEP_1)
	v_lshlrev_b64 v[54:55], 3, v[54:55]
	v_add_co_u32 v54, vcc_lo, v51, v54
	s_delay_alu instid0(VALU_DEP_2)
	v_add_co_ci_u32_e32 v55, vcc_lo, v52, v55, vcc_lo
	global_store_b64 v[54:55], v[57:58], off
.LBB302_215:
	s_or_b32 exec_lo, exec_lo, s16
	s_mov_b32 s16, 0
.LBB302_216:
	s_delay_alu instid0(SALU_CYCLE_1)
	s_and_b32 vcc_lo, exec_lo, s16
	s_cbranch_vccz .LBB302_226
; %bb.217:
	s_mov_b32 s15, exec_lo
	v_cmpx_gt_i16_e32 2, v53
	s_cbranch_execz .LBB302_222
; %bb.218:
	s_mov_b32 s17, 0
	s_mov_b32 s16, exec_lo
	v_cmpx_ne_u16_e32 1, v53
	s_xor_b32 s16, exec_lo, s16
	s_cbranch_execnz .LBB302_298
; %bb.219:
	s_and_not1_saveexec_b32 s0, s16
	s_cbranch_execnz .LBB302_314
.LBB302_220:
	s_or_b32 exec_lo, exec_lo, s0
	s_delay_alu instid0(SALU_CYCLE_1)
	s_and_b32 exec_lo, exec_lo, s17
	s_cbranch_execz .LBB302_222
.LBB302_221:
	v_sub_nc_u32_e32 v1, v37, v77
	s_delay_alu instid0(VALU_DEP_1)
	v_lshlrev_b32_e32 v1, 3, v1
	ds_store_b64 v1, v[57:58]
.LBB302_222:
	s_or_b32 exec_lo, exec_lo, s15
	s_delay_alu instid0(SALU_CYCLE_1)
	s_mov_b32 s1, exec_lo
	s_waitcnt lgkmcnt(0)
	s_waitcnt_vscnt null, 0x0
	s_barrier
	buffer_gl0_inv
	v_cmpx_lt_u32_e64 v0, v59
	s_cbranch_execz .LBB302_225
; %bb.223:
	v_dual_mov_b32 v2, 0 :: v_dual_lshlrev_b32 v3, 3, v0
	v_mov_b32_e32 v1, v0
	s_mov_b32 s2, 0
	.p2align	6
.LBB302_224:                            ; =>This Inner Loop Header: Depth=1
	ds_load_b64 v[4:5], v3
	v_lshlrev_b64 v[6:7], 3, v[1:2]
	v_add_nc_u32_e32 v1, 0x100, v1
	v_add_nc_u32_e32 v3, 0x800, v3
	s_delay_alu instid0(VALU_DEP_2) | instskip(NEXT) | instid1(VALU_DEP_4)
	v_cmp_ge_u32_e32 vcc_lo, v1, v59
	v_add_co_u32 v6, s0, v51, v6
	s_delay_alu instid0(VALU_DEP_1)
	v_add_co_ci_u32_e64 v7, s0, v52, v7, s0
	s_or_b32 s2, vcc_lo, s2
	s_waitcnt lgkmcnt(0)
	global_store_b64 v[6:7], v[4:5], off
	s_and_not1_b32 exec_lo, exec_lo, s2
	s_cbranch_execnz .LBB302_224
.LBB302_225:
	s_or_b32 exec_lo, exec_lo, s1
.LBB302_226:
	v_add_co_u32 v1, vcc_lo, v109, v31
	s_cmpk_lg_i32 s27, 0xf00
	v_add_co_ci_u32_e32 v2, vcc_lo, v110, v32, vcc_lo
	s_cselect_b32 s0, -1, 0
	v_cmp_eq_u32_e32 vcc_lo, 0, v0
	s_and_b32 s0, s26, s0
	v_cndmask_b32_e64 v8, 0, 1, s33
	v_mad_i32_i24 v5, v0, -15, s27
	v_cndmask_b32_e64 v4, 0, 1, s0
	s_mul_hi_u32 s0, s27, 0x88888889
	s_and_b32 s1, vcc_lo, s33
	s_lshr_b32 s0, s0, 3
	v_sub_nc_u32_e32 v3, v59, v8
	v_cndmask_b32_e64 v6, v71, 0, s1
	v_cmp_eq_u32_e32 vcc_lo, s0, v0
	v_cmp_ne_u32_e64 s0, 0, v5
	s_mov_b32 s16, -1
	s_waitcnt_vscnt null, 0x0
	s_barrier
	s_and_b32 vcc_lo, s26, vcc_lo
	v_add_nc_u32_e32 v3, v3, v4
	v_cndmask_b32_e64 v4, 1, v6, s0
	v_cmp_ne_u32_e64 s0, 1, v5
	buffer_gl0_inv
	v_cndmask_b32_e64 v7, 1, v72, s0
	v_cmp_ne_u32_e64 s0, 14, v5
	s_delay_alu instid0(VALU_DEP_1) | instskip(SKIP_1) | instid1(VALU_DEP_2)
	v_cndmask_b32_e64 v9, 1, v111, s0
	v_cmp_ne_u32_e64 s0, 2, v5
	v_dual_cndmask_b32 v12, v111, v9 :: v_dual_cndmask_b32 v9, v6, v4
	s_delay_alu instid0(VALU_DEP_2) | instskip(SKIP_1) | instid1(VALU_DEP_3)
	v_cndmask_b32_e64 v10, 1, v69, s0
	v_cmp_ne_u32_e64 s0, 3, v5
	v_cmp_ne_u32_e64 s14, 0, v9
	s_delay_alu instid0(VALU_DEP_3) | instskip(NEXT) | instid1(VALU_DEP_3)
	v_cndmask_b32_e32 v10, v69, v10, vcc_lo
	v_cndmask_b32_e64 v11, 1, v70, s0
	v_cmp_ne_u32_e64 s0, 4, v5
	s_delay_alu instid0(VALU_DEP_3) | instskip(NEXT) | instid1(VALU_DEP_2)
	v_cmp_ne_u32_e64 s12, 0, v10
	v_cndmask_b32_e64 v4, 1, v67, s0
	v_cmp_ne_u32_e64 s0, 5, v5
	s_delay_alu instid0(VALU_DEP_2) | instskip(NEXT) | instid1(VALU_DEP_2)
	v_dual_cndmask_b32 v13, v72, v7 :: v_dual_cndmask_b32 v18, v67, v4
	v_cndmask_b32_e64 v6, 1, v68, s0
	v_cmp_eq_u32_e64 s0, 0, v9
	s_delay_alu instid0(VALU_DEP_3) | instskip(NEXT) | instid1(VALU_DEP_4)
	v_cmp_ne_u32_e64 s13, 0, v13
	v_cmp_ne_u32_e64 s10, 0, v18
	s_delay_alu instid0(VALU_DEP_4) | instskip(NEXT) | instid1(VALU_DEP_4)
	v_cndmask_b32_e32 v19, v68, v6, vcc_lo
	v_cndmask_b32_e64 v7, 1, 2, s0
	v_cmp_eq_u32_e64 s0, 0, v13
	s_delay_alu instid0(VALU_DEP_1) | instskip(SKIP_1) | instid1(VALU_DEP_2)
	v_cndmask_b32_e64 v14, 1, 2, s0
	v_cmp_ne_u32_e64 s0, 6, v5
	v_and_b32_e32 v7, v14, v7
	s_delay_alu instid0(VALU_DEP_2) | instskip(SKIP_1) | instid1(VALU_DEP_2)
	v_cndmask_b32_e64 v15, 1, v65, s0
	v_cmp_eq_u32_e64 s0, 0, v10
	v_cndmask_b32_e32 v15, v65, v15, vcc_lo
	s_delay_alu instid0(VALU_DEP_2) | instskip(SKIP_1) | instid1(VALU_DEP_1)
	v_cndmask_b32_e64 v14, 1, 2, s0
	v_cmp_ne_u32_e64 s0, 7, v5
	v_cndmask_b32_e64 v16, 1, v66, s0
	v_cmp_ne_u32_e64 s0, 8, v5
	s_delay_alu instid0(VALU_DEP_2) | instskip(SKIP_1) | instid1(VALU_DEP_3)
	v_dual_cndmask_b32 v16, v66, v16 :: v_dual_and_b32 v7, v7, v14
	v_cndmask_b32_e32 v11, v70, v11, vcc_lo
	v_cndmask_b32_e64 v17, 1, v63, s0
	s_delay_alu instid0(VALU_DEP_3) | instskip(NEXT) | instid1(VALU_DEP_3)
	v_cmp_ne_u32_e64 s7, 0, v16
	v_cmp_eq_u32_e64 s0, 0, v11
	s_delay_alu instid0(VALU_DEP_3) | instskip(NEXT) | instid1(VALU_DEP_2)
	v_cndmask_b32_e32 v17, v63, v17, vcc_lo
	v_cndmask_b32_e64 v14, 1, 2, s0
	v_cmp_ne_u32_e64 s0, 9, v5
	s_delay_alu instid0(VALU_DEP_3) | instskip(NEXT) | instid1(VALU_DEP_3)
	v_cmp_ne_u32_e64 s6, 0, v17
	v_and_b32_e32 v6, v7, v14
	s_delay_alu instid0(VALU_DEP_3) | instskip(SKIP_2) | instid1(VALU_DEP_3)
	v_cndmask_b32_e64 v4, 1, v64, s0
	v_cmp_eq_u32_e64 s0, 0, v18
	v_cmp_ne_u32_e64 s11, 0, v11
	v_cndmask_b32_e32 v23, v64, v4, vcc_lo
	s_delay_alu instid0(VALU_DEP_3) | instskip(SKIP_1) | instid1(VALU_DEP_3)
	v_cndmask_b32_e64 v7, 1, 2, s0
	v_cmp_ne_u32_e64 s0, 10, v5
	v_cmp_ne_u32_e64 s5, 0, v23
	s_delay_alu instid0(VALU_DEP_3) | instskip(NEXT) | instid1(VALU_DEP_3)
	v_and_b32_e32 v6, v6, v7
	v_cndmask_b32_e64 v14, 1, v61, s0
	v_cmp_ne_u32_e64 s0, 12, v5
	v_cmp_ne_u32_e64 s9, 0, v19
	s_delay_alu instid0(VALU_DEP_3) | instskip(NEXT) | instid1(VALU_DEP_3)
	v_cndmask_b32_e32 v14, v61, v14, vcc_lo
	v_cndmask_b32_e64 v20, 1, v112, s0
	v_cmp_eq_u32_e64 s0, 0, v19
	s_delay_alu instid0(VALU_DEP_3) | instskip(NEXT) | instid1(VALU_DEP_3)
	v_cmp_ne_u32_e64 s4, 0, v14
	v_cndmask_b32_e32 v20, v112, v20, vcc_lo
	s_delay_alu instid0(VALU_DEP_3) | instskip(SKIP_1) | instid1(VALU_DEP_3)
	v_cndmask_b32_e64 v7, 1, 2, s0
	v_cmp_ne_u32_e64 s0, 13, v5
	v_cmp_ne_u32_e64 s2, 0, v20
	s_delay_alu instid0(VALU_DEP_2) | instskip(SKIP_1) | instid1(VALU_DEP_2)
	v_cndmask_b32_e64 v21, 1, v60, s0
	v_cmp_eq_u32_e64 s0, 0, v15
	v_dual_cndmask_b32 v21, v60, v21 :: v_dual_and_b32 v6, v6, v7
	s_delay_alu instid0(VALU_DEP_2) | instskip(SKIP_1) | instid1(VALU_DEP_3)
	v_cndmask_b32_e64 v7, 1, 2, s0
	v_cmp_ne_u32_e64 s0, 11, v5
	v_cmp_ne_u32_e64 s1, 0, v21
	s_delay_alu instid0(VALU_DEP_3) | instskip(NEXT) | instid1(VALU_DEP_3)
	v_and_b32_e32 v6, v6, v7
	v_cndmask_b32_e64 v5, 1, v62, s0
	v_cmp_eq_u32_e64 s0, 0, v16
	s_delay_alu instid0(VALU_DEP_2) | instskip(NEXT) | instid1(VALU_DEP_2)
	v_cndmask_b32_e32 v22, v62, v5, vcc_lo
	v_cndmask_b32_e64 v7, 1, 2, s0
	v_cmp_eq_u32_e32 vcc_lo, 0, v17
	v_cmp_ne_u32_e64 s8, 0, v15
	v_cmp_ne_u32_e64 s0, 0, v12
	;; [unrolled: 1-line block ×3, first 2 shown]
	v_and_b32_e32 v4, v6, v7
	v_cndmask_b32_e64 v5, 1, 2, vcc_lo
	v_add_co_u32 v6, vcc_lo, s44, v33
	v_add_co_ci_u32_e32 v7, vcc_lo, s45, v34, vcc_lo
	v_cmp_eq_u32_e32 vcc_lo, 0, v23
	s_delay_alu instid0(VALU_DEP_4)
	v_and_b32_e32 v24, v4, v5
	v_cndmask_b32_e64 v25, 1, 2, vcc_lo
	v_add_co_u32 v4, vcc_lo, v6, v35
	v_add_co_ci_u32_e32 v5, vcc_lo, v7, v36, vcc_lo
	v_lshlrev_b32_e32 v6, 3, v8
	v_cmp_eq_u32_e32 vcc_lo, 0, v14
	v_and_b32_e32 v7, v24, v25
	v_add_nc_u32_e32 v8, v77, v8
	v_cndmask_b32_e64 v24, 1, 2, vcc_lo
	v_add_co_u32 v6, vcc_lo, v6, v4
	v_add_co_ci_u32_e32 v25, vcc_lo, 0, v5, vcc_lo
	v_cmp_eq_u32_e32 vcc_lo, 0, v22
	s_delay_alu instid0(VALU_DEP_4) | instskip(SKIP_4) | instid1(VALU_DEP_4)
	v_and_b32_e32 v24, v7, v24
	v_cndmask_b32_e64 v26, 1, 2, vcc_lo
	v_add_co_u32 v6, vcc_lo, v6, -8
	v_add_co_ci_u32_e32 v7, vcc_lo, -1, v25, vcc_lo
	v_cmp_eq_u32_e32 vcc_lo, 0, v20
	v_and_b32_e32 v24, v24, v26
	v_cndmask_b32_e64 v25, 1, 2, vcc_lo
	v_cmp_eq_u32_e32 vcc_lo, 0, v21
	s_delay_alu instid0(VALU_DEP_2) | instskip(SKIP_2) | instid1(VALU_DEP_2)
	v_and_b32_e32 v9, v24, v25
	v_cndmask_b32_e64 v10, 1, 2, vcc_lo
	v_cmp_eq_u32_e32 vcc_lo, 0, v12
	v_and_b32_e32 v9, v9, v10
	v_cndmask_b32_e64 v10, 1, 2, vcc_lo
	v_cmp_gt_u32_e32 vcc_lo, 0x100, v3
	s_delay_alu instid0(VALU_DEP_2) | instskip(NEXT) | instid1(VALU_DEP_1)
	v_and_b32_e32 v9, v9, v10
	v_cmp_gt_i16_e64 s15, 2, v9
	s_cbranch_vccnz .LBB302_230
; %bb.227:
	s_and_b32 vcc_lo, exec_lo, s16
	s_cbranch_vccnz .LBB302_236
.LBB302_228:
	v_cmp_eq_u32_e32 vcc_lo, 0xff, v0
	s_and_b32 s0, vcc_lo, s26
	s_delay_alu instid0(SALU_CYCLE_1)
	s_and_saveexec_b32 s1, s0
	s_cbranch_execnz .LBB302_245
.LBB302_229:
	s_nop 0
	s_sendmsg sendmsg(MSG_DEALLOC_VGPRS)
	s_endpgm
.LBB302_230:
	s_delay_alu instid0(VALU_DEP_1)
	s_and_saveexec_b32 s16, s15
	s_cbranch_execz .LBB302_235
; %bb.231:
	s_mov_b32 s17, 0
	s_mov_b32 s15, exec_lo
	v_cmpx_ne_u16_e32 1, v9
	s_xor_b32 s15, exec_lo, s15
	s_cbranch_execnz .LBB302_315
; %bb.232:
	s_and_not1_saveexec_b32 s15, s15
	s_cbranch_execnz .LBB302_331
.LBB302_233:
	s_or_b32 exec_lo, exec_lo, s15
	s_delay_alu instid0(SALU_CYCLE_1)
	s_and_b32 exec_lo, exec_lo, s17
	s_cbranch_execz .LBB302_235
.LBB302_234:
	v_sub_nc_u32_e32 v10, v37, v8
	v_mov_b32_e32 v11, 0
	s_delay_alu instid0(VALU_DEP_1) | instskip(NEXT) | instid1(VALU_DEP_1)
	v_lshlrev_b64 v[10:11], 3, v[10:11]
	v_add_co_u32 v10, vcc_lo, v6, v10
	s_delay_alu instid0(VALU_DEP_2)
	v_add_co_ci_u32_e32 v11, vcc_lo, v7, v11, vcc_lo
	global_store_b64 v[10:11], v[1:2], off
.LBB302_235:
	s_or_b32 exec_lo, exec_lo, s16
	s_branch .LBB302_228
.LBB302_236:
	s_mov_b32 s15, exec_lo
	v_cmpx_gt_i16_e32 2, v9
	s_cbranch_execz .LBB302_241
; %bb.237:
	s_mov_b32 s17, 0
	s_mov_b32 s16, exec_lo
	v_cmpx_ne_u16_e32 1, v9
	s_xor_b32 s16, exec_lo, s16
	s_cbranch_execnz .LBB302_332
; %bb.238:
	s_and_not1_saveexec_b32 s0, s16
	s_cbranch_execnz .LBB302_348
.LBB302_239:
	s_or_b32 exec_lo, exec_lo, s0
	s_delay_alu instid0(SALU_CYCLE_1)
	s_and_b32 exec_lo, exec_lo, s17
	s_cbranch_execz .LBB302_241
.LBB302_240:
	v_sub_nc_u32_e32 v8, v37, v8
	s_delay_alu instid0(VALU_DEP_1)
	v_lshlrev_b32_e32 v8, 3, v8
	ds_store_b64 v8, v[1:2]
.LBB302_241:
	s_or_b32 exec_lo, exec_lo, s15
	s_delay_alu instid0(SALU_CYCLE_1)
	s_mov_b32 s1, exec_lo
	s_waitcnt lgkmcnt(0)
	s_waitcnt_vscnt null, 0x0
	s_barrier
	buffer_gl0_inv
	v_cmpx_lt_u32_e64 v0, v3
	s_cbranch_execz .LBB302_244
; %bb.242:
	v_dual_mov_b32 v1, v0 :: v_dual_lshlrev_b32 v8, 3, v0
	v_mov_b32_e32 v2, 0
	s_mov_b32 s2, 0
	.p2align	6
.LBB302_243:                            ; =>This Inner Loop Header: Depth=1
	ds_load_b64 v[9:10], v8
	v_lshlrev_b64 v[11:12], 3, v[1:2]
	v_add_nc_u32_e32 v1, 0x100, v1
	v_add_nc_u32_e32 v8, 0x800, v8
	s_delay_alu instid0(VALU_DEP_2) | instskip(NEXT) | instid1(VALU_DEP_4)
	v_cmp_ge_u32_e32 vcc_lo, v1, v3
	v_add_co_u32 v11, s0, v6, v11
	s_delay_alu instid0(VALU_DEP_1)
	v_add_co_ci_u32_e64 v12, s0, v7, v12, s0
	s_or_b32 s2, vcc_lo, s2
	s_waitcnt lgkmcnt(0)
	global_store_b64 v[11:12], v[9:10], off
	s_and_not1_b32 exec_lo, exec_lo, s2
	s_cbranch_execnz .LBB302_243
.LBB302_244:
	s_or_b32 exec_lo, exec_lo, s1
	v_cmp_eq_u32_e32 vcc_lo, 0xff, v0
	s_and_b32 s0, vcc_lo, s26
	s_delay_alu instid0(SALU_CYCLE_1)
	s_and_saveexec_b32 s1, s0
	s_cbranch_execz .LBB302_229
.LBB302_245:
	v_add_co_u32 v0, s0, v59, v77
	s_delay_alu instid0(VALU_DEP_1) | instskip(SKIP_1) | instid1(VALU_DEP_3)
	v_add_co_ci_u32_e64 v1, null, 0, 0, s0
	v_mov_b32_e32 v60, 0
	v_add_co_u32 v0, vcc_lo, v0, v29
	s_delay_alu instid0(VALU_DEP_3)
	v_add_co_ci_u32_e32 v1, vcc_lo, v1, v30, vcc_lo
	s_cmpk_lg_i32 s27, 0xf00
	global_store_b64 v60, v[0:1], s[46:47]
	s_cbranch_scc1 .LBB302_229
; %bb.246:
	v_lshlrev_b64 v[0:1], 3, v[59:60]
	s_delay_alu instid0(VALU_DEP_1) | instskip(NEXT) | instid1(VALU_DEP_2)
	v_add_co_u32 v0, vcc_lo, v4, v0
	v_add_co_ci_u32_e32 v1, vcc_lo, v5, v1, vcc_lo
	global_store_b64 v[0:1], v[75:76], off offset:-8
	s_nop 0
	s_sendmsg sendmsg(MSG_DEALLOC_VGPRS)
	s_endpgm
.LBB302_247:
                                        ; implicit-def: $sgpr2
                                        ; implicit-def: $vgpr111
                                        ; implicit-def: $vgpr60
                                        ; implicit-def: $vgpr112
                                        ; implicit-def: $vgpr62
                                        ; implicit-def: $vgpr61
                                        ; implicit-def: $vgpr64
                                        ; implicit-def: $vgpr63
                                        ; implicit-def: $vgpr66
                                        ; implicit-def: $vgpr65
                                        ; implicit-def: $vgpr68
                                        ; implicit-def: $vgpr67
                                        ; implicit-def: $vgpr70
                                        ; implicit-def: $vgpr69
                                        ; implicit-def: $vgpr72
	s_cbranch_execz .LBB302_109
; %bb.248:
	v_mad_u32_u24 v59, v0, 15, 14
	v_dual_mov_b32 v60, 0 :: v_dual_lshlrev_b32 v77, 3, v0
	s_waitcnt lgkmcnt(0)
	v_mul_u32_u24_e32 v75, 15, v0
	v_mov_b32_e32 v111, 0
	s_mov_b32 s2, exec_lo
	ds_store_b64 v77, v[57:58]
	v_cmpx_gt_u64_e64 s[0:1], v[59:60]
; %bb.249:
	v_mul_hi_i32 v59, 0x66666667, v3
	v_mul_hi_i32 v61, 0x66666667, v57
	s_delay_alu instid0(VALU_DEP_2) | instskip(SKIP_1) | instid1(VALU_DEP_3)
	v_lshrrev_b32_e32 v62, 31, v59
	v_ashrrev_i32_e32 v59, 2, v59
	v_lshrrev_b32_e32 v63, 31, v61
	v_ashrrev_i32_e32 v61, 2, v61
	s_delay_alu instid0(VALU_DEP_3) | instskip(NEXT) | instid1(VALU_DEP_2)
	v_add_nc_u32_e32 v59, v59, v62
	v_add_nc_u32_e32 v61, v61, v63
	s_delay_alu instid0(VALU_DEP_1)
	v_cmp_ne_u32_e32 vcc_lo, v59, v61
	v_cndmask_b32_e64 v111, 0, 1, vcc_lo
; %bb.250:
	s_or_b32 exec_lo, exec_lo, s2
	v_add_nc_u32_e32 v59, 13, v75
	s_mov_b32 s2, exec_lo
	s_delay_alu instid0(VALU_DEP_1)
	v_cmpx_gt_u64_e64 s[0:1], v[59:60]
; %bb.251:
	v_mul_hi_i32 v59, 0x66666667, v1
	v_mul_hi_i32 v60, 0x66666667, v3
	s_delay_alu instid0(VALU_DEP_2) | instskip(SKIP_1) | instid1(VALU_DEP_3)
	v_lshrrev_b32_e32 v61, 31, v59
	v_ashrrev_i32_e32 v59, 2, v59
	v_lshrrev_b32_e32 v62, 31, v60
	v_ashrrev_i32_e32 v60, 2, v60
	s_delay_alu instid0(VALU_DEP_3) | instskip(NEXT) | instid1(VALU_DEP_2)
	v_add_nc_u32_e32 v59, v59, v61
	v_add_nc_u32_e32 v60, v60, v62
	s_delay_alu instid0(VALU_DEP_1)
	v_cmp_ne_u32_e32 vcc_lo, v59, v60
	v_cndmask_b32_e64 v60, 0, 1, vcc_lo
; %bb.252:
	s_or_b32 exec_lo, exec_lo, s2
	v_dual_mov_b32 v62, 0 :: v_dual_add_nc_u32 v61, 12, v75
	v_mov_b32_e32 v112, 0
	s_mov_b32 s2, exec_lo
	s_delay_alu instid0(VALU_DEP_2)
	v_cmpx_gt_u64_e64 s[0:1], v[61:62]
; %bb.253:
	v_mul_hi_i32 v59, 0x66666667, v7
	v_mul_hi_i32 v61, 0x66666667, v1
	s_delay_alu instid0(VALU_DEP_2) | instskip(SKIP_1) | instid1(VALU_DEP_3)
	v_lshrrev_b32_e32 v63, 31, v59
	v_ashrrev_i32_e32 v59, 2, v59
	v_lshrrev_b32_e32 v64, 31, v61
	v_ashrrev_i32_e32 v61, 2, v61
	s_delay_alu instid0(VALU_DEP_3) | instskip(NEXT) | instid1(VALU_DEP_2)
	v_add_nc_u32_e32 v59, v59, v63
	v_add_nc_u32_e32 v61, v61, v64
	s_delay_alu instid0(VALU_DEP_1)
	v_cmp_ne_u32_e32 vcc_lo, v59, v61
	v_cndmask_b32_e64 v112, 0, 1, vcc_lo
; %bb.254:
	s_or_b32 exec_lo, exec_lo, s2
	v_add_nc_u32_e32 v61, 11, v75
	s_mov_b32 s2, exec_lo
	s_delay_alu instid0(VALU_DEP_1)
	v_cmpx_gt_u64_e64 s[0:1], v[61:62]
; %bb.255:
	v_mul_hi_i32 v59, 0x66666667, v5
	v_mul_hi_i32 v61, 0x66666667, v7
	s_delay_alu instid0(VALU_DEP_2) | instskip(SKIP_1) | instid1(VALU_DEP_3)
	v_lshrrev_b32_e32 v62, 31, v59
	v_ashrrev_i32_e32 v59, 2, v59
	v_lshrrev_b32_e32 v63, 31, v61
	v_ashrrev_i32_e32 v61, 2, v61
	s_delay_alu instid0(VALU_DEP_3) | instskip(NEXT) | instid1(VALU_DEP_2)
	v_add_nc_u32_e32 v59, v59, v62
	v_add_nc_u32_e32 v61, v61, v63
	s_delay_alu instid0(VALU_DEP_1)
	v_cmp_ne_u32_e32 vcc_lo, v59, v61
	v_cndmask_b32_e64 v62, 0, 1, vcc_lo
; %bb.256:
	s_or_b32 exec_lo, exec_lo, s2
	v_dual_mov_b32 v64, 0 :: v_dual_add_nc_u32 v63, 10, v75
	v_mov_b32_e32 v61, 0
	s_mov_b32 s2, exec_lo
	s_delay_alu instid0(VALU_DEP_2)
	v_cmpx_gt_u64_e64 s[0:1], v[63:64]
; %bb.257:
	v_mul_hi_i32 v59, 0x66666667, v11
	v_mul_hi_i32 v61, 0x66666667, v5
	s_delay_alu instid0(VALU_DEP_2) | instskip(SKIP_1) | instid1(VALU_DEP_3)
	v_lshrrev_b32_e32 v63, 31, v59
	v_ashrrev_i32_e32 v59, 2, v59
	v_lshrrev_b32_e32 v65, 31, v61
	v_ashrrev_i32_e32 v61, 2, v61
	s_delay_alu instid0(VALU_DEP_3) | instskip(NEXT) | instid1(VALU_DEP_2)
	v_add_nc_u32_e32 v59, v59, v63
	v_add_nc_u32_e32 v61, v61, v65
	s_delay_alu instid0(VALU_DEP_1)
	v_cmp_ne_u32_e32 vcc_lo, v59, v61
	v_cndmask_b32_e64 v61, 0, 1, vcc_lo
; %bb.258:
	s_or_b32 exec_lo, exec_lo, s2
	v_add_nc_u32_e32 v63, 9, v75
	s_mov_b32 s2, exec_lo
	s_delay_alu instid0(VALU_DEP_1)
	v_cmpx_gt_u64_e64 s[0:1], v[63:64]
; %bb.259:
	v_mul_hi_i32 v59, 0x66666667, v9
	v_mul_hi_i32 v63, 0x66666667, v11
	s_delay_alu instid0(VALU_DEP_2) | instskip(SKIP_1) | instid1(VALU_DEP_3)
	v_lshrrev_b32_e32 v64, 31, v59
	v_ashrrev_i32_e32 v59, 2, v59
	v_lshrrev_b32_e32 v65, 31, v63
	v_ashrrev_i32_e32 v63, 2, v63
	s_delay_alu instid0(VALU_DEP_3) | instskip(NEXT) | instid1(VALU_DEP_2)
	v_add_nc_u32_e32 v59, v59, v64
	v_add_nc_u32_e32 v63, v63, v65
	s_delay_alu instid0(VALU_DEP_1)
	v_cmp_ne_u32_e32 vcc_lo, v59, v63
	v_cndmask_b32_e64 v64, 0, 1, vcc_lo
; %bb.260:
	s_or_b32 exec_lo, exec_lo, s2
	v_dual_mov_b32 v66, 0 :: v_dual_add_nc_u32 v65, 8, v75
	v_mov_b32_e32 v63, 0
	s_mov_b32 s2, exec_lo
	s_delay_alu instid0(VALU_DEP_2)
	v_cmpx_gt_u64_e64 s[0:1], v[65:66]
; %bb.261:
	v_mul_hi_i32 v59, 0x66666667, v15
	v_mul_hi_i32 v63, 0x66666667, v9
	s_delay_alu instid0(VALU_DEP_2) | instskip(SKIP_1) | instid1(VALU_DEP_3)
	v_lshrrev_b32_e32 v65, 31, v59
	v_ashrrev_i32_e32 v59, 2, v59
	v_lshrrev_b32_e32 v67, 31, v63
	v_ashrrev_i32_e32 v63, 2, v63
	s_delay_alu instid0(VALU_DEP_3) | instskip(NEXT) | instid1(VALU_DEP_2)
	v_add_nc_u32_e32 v59, v59, v65
	v_add_nc_u32_e32 v63, v63, v67
	s_delay_alu instid0(VALU_DEP_1)
	v_cmp_ne_u32_e32 vcc_lo, v59, v63
	v_cndmask_b32_e64 v63, 0, 1, vcc_lo
; %bb.262:
	s_or_b32 exec_lo, exec_lo, s2
	v_add_nc_u32_e32 v65, 7, v75
	s_mov_b32 s2, exec_lo
	s_delay_alu instid0(VALU_DEP_1)
	v_cmpx_gt_u64_e64 s[0:1], v[65:66]
; %bb.263:
	v_mul_hi_i32 v59, 0x66666667, v13
	v_mul_hi_i32 v65, 0x66666667, v15
	s_delay_alu instid0(VALU_DEP_2) | instskip(SKIP_1) | instid1(VALU_DEP_3)
	v_lshrrev_b32_e32 v66, 31, v59
	v_ashrrev_i32_e32 v59, 2, v59
	v_lshrrev_b32_e32 v67, 31, v65
	v_ashrrev_i32_e32 v65, 2, v65
	s_delay_alu instid0(VALU_DEP_3) | instskip(NEXT) | instid1(VALU_DEP_2)
	v_add_nc_u32_e32 v59, v59, v66
	v_add_nc_u32_e32 v65, v65, v67
	s_delay_alu instid0(VALU_DEP_1)
	v_cmp_ne_u32_e32 vcc_lo, v59, v65
	v_cndmask_b32_e64 v66, 0, 1, vcc_lo
; %bb.264:
	s_or_b32 exec_lo, exec_lo, s2
	v_dual_mov_b32 v68, 0 :: v_dual_add_nc_u32 v67, 6, v75
	v_mov_b32_e32 v65, 0
	s_mov_b32 s2, exec_lo
	s_delay_alu instid0(VALU_DEP_2)
	v_cmpx_gt_u64_e64 s[0:1], v[67:68]
; %bb.265:
	v_mul_hi_i32 v59, 0x66666667, v19
	v_mul_hi_i32 v65, 0x66666667, v13
	s_delay_alu instid0(VALU_DEP_2) | instskip(SKIP_1) | instid1(VALU_DEP_3)
	v_lshrrev_b32_e32 v67, 31, v59
	v_ashrrev_i32_e32 v59, 2, v59
	v_lshrrev_b32_e32 v69, 31, v65
	v_ashrrev_i32_e32 v65, 2, v65
	s_delay_alu instid0(VALU_DEP_3) | instskip(NEXT) | instid1(VALU_DEP_2)
	v_add_nc_u32_e32 v59, v59, v67
	v_add_nc_u32_e32 v65, v65, v69
	s_delay_alu instid0(VALU_DEP_1)
	v_cmp_ne_u32_e32 vcc_lo, v59, v65
	v_cndmask_b32_e64 v65, 0, 1, vcc_lo
; %bb.266:
	s_or_b32 exec_lo, exec_lo, s2
	v_add_nc_u32_e32 v67, 5, v75
	s_mov_b32 s2, exec_lo
	s_delay_alu instid0(VALU_DEP_1)
	v_cmpx_gt_u64_e64 s[0:1], v[67:68]
; %bb.267:
	v_mul_hi_i32 v59, 0x66666667, v17
	v_mul_hi_i32 v67, 0x66666667, v19
	s_delay_alu instid0(VALU_DEP_2) | instskip(SKIP_1) | instid1(VALU_DEP_3)
	v_lshrrev_b32_e32 v68, 31, v59
	v_ashrrev_i32_e32 v59, 2, v59
	v_lshrrev_b32_e32 v69, 31, v67
	v_ashrrev_i32_e32 v67, 2, v67
	s_delay_alu instid0(VALU_DEP_3) | instskip(NEXT) | instid1(VALU_DEP_2)
	v_add_nc_u32_e32 v59, v59, v68
	v_add_nc_u32_e32 v67, v67, v69
	s_delay_alu instid0(VALU_DEP_1)
	v_cmp_ne_u32_e32 vcc_lo, v59, v67
	v_cndmask_b32_e64 v68, 0, 1, vcc_lo
; %bb.268:
	s_or_b32 exec_lo, exec_lo, s2
	v_dual_mov_b32 v70, 0 :: v_dual_add_nc_u32 v69, 4, v75
	v_mov_b32_e32 v67, 0
	s_mov_b32 s2, exec_lo
	s_delay_alu instid0(VALU_DEP_2)
	v_cmpx_gt_u64_e64 s[0:1], v[69:70]
; %bb.269:
	v_mul_hi_i32 v59, 0x66666667, v23
	v_mul_hi_i32 v67, 0x66666667, v17
	s_delay_alu instid0(VALU_DEP_2) | instskip(SKIP_1) | instid1(VALU_DEP_3)
	v_lshrrev_b32_e32 v69, 31, v59
	v_ashrrev_i32_e32 v59, 2, v59
	v_lshrrev_b32_e32 v71, 31, v67
	v_ashrrev_i32_e32 v67, 2, v67
	s_delay_alu instid0(VALU_DEP_3) | instskip(NEXT) | instid1(VALU_DEP_2)
	v_add_nc_u32_e32 v59, v59, v69
	v_add_nc_u32_e32 v67, v67, v71
	s_delay_alu instid0(VALU_DEP_1)
	v_cmp_ne_u32_e32 vcc_lo, v59, v67
	v_cndmask_b32_e64 v67, 0, 1, vcc_lo
; %bb.270:
	s_or_b32 exec_lo, exec_lo, s2
	v_add_nc_u32_e32 v69, 3, v75
	s_mov_b32 s2, exec_lo
	s_delay_alu instid0(VALU_DEP_1)
	v_cmpx_gt_u64_e64 s[0:1], v[69:70]
; %bb.271:
	v_mul_hi_i32 v59, 0x66666667, v21
	v_mul_hi_i32 v69, 0x66666667, v23
	s_delay_alu instid0(VALU_DEP_2) | instskip(SKIP_1) | instid1(VALU_DEP_3)
	v_lshrrev_b32_e32 v70, 31, v59
	v_ashrrev_i32_e32 v59, 2, v59
	v_lshrrev_b32_e32 v71, 31, v69
	v_ashrrev_i32_e32 v69, 2, v69
	s_delay_alu instid0(VALU_DEP_3) | instskip(NEXT) | instid1(VALU_DEP_2)
	v_add_nc_u32_e32 v59, v59, v70
	v_add_nc_u32_e32 v69, v69, v71
	s_delay_alu instid0(VALU_DEP_1)
	v_cmp_ne_u32_e32 vcc_lo, v59, v69
	v_cndmask_b32_e64 v70, 0, 1, vcc_lo
; %bb.272:
	s_or_b32 exec_lo, exec_lo, s2
	v_dual_mov_b32 v72, 0 :: v_dual_add_nc_u32 v71, 2, v75
	v_mov_b32_e32 v69, 0
	s_mov_b32 s2, exec_lo
	s_delay_alu instid0(VALU_DEP_2)
	v_cmpx_gt_u64_e64 s[0:1], v[71:72]
; %bb.273:
	v_mul_hi_i32 v59, 0x66666667, v27
	v_mul_hi_i32 v69, 0x66666667, v21
	s_delay_alu instid0(VALU_DEP_2) | instskip(SKIP_1) | instid1(VALU_DEP_3)
	v_lshrrev_b32_e32 v71, 31, v59
	v_ashrrev_i32_e32 v59, 2, v59
	v_lshrrev_b32_e32 v76, 31, v69
	v_ashrrev_i32_e32 v69, 2, v69
	s_delay_alu instid0(VALU_DEP_3) | instskip(NEXT) | instid1(VALU_DEP_2)
	v_add_nc_u32_e32 v59, v59, v71
	v_add_nc_u32_e32 v69, v69, v76
	s_delay_alu instid0(VALU_DEP_1)
	v_cmp_ne_u32_e32 vcc_lo, v59, v69
	v_cndmask_b32_e64 v69, 0, 1, vcc_lo
; %bb.274:
	s_or_b32 exec_lo, exec_lo, s2
	v_add_nc_u32_e32 v71, 1, v75
	s_mov_b32 s2, exec_lo
	s_delay_alu instid0(VALU_DEP_1)
	v_cmpx_gt_u64_e64 s[0:1], v[71:72]
; %bb.275:
	v_mul_hi_i32 v59, 0x66666667, v25
	v_mul_hi_i32 v71, 0x66666667, v27
	s_delay_alu instid0(VALU_DEP_2) | instskip(SKIP_1) | instid1(VALU_DEP_3)
	v_lshrrev_b32_e32 v72, 31, v59
	v_ashrrev_i32_e32 v59, 2, v59
	v_lshrrev_b32_e32 v76, 31, v71
	v_ashrrev_i32_e32 v71, 2, v71
	s_delay_alu instid0(VALU_DEP_3) | instskip(NEXT) | instid1(VALU_DEP_2)
	v_add_nc_u32_e32 v59, v59, v72
	v_add_nc_u32_e32 v71, v71, v76
	s_delay_alu instid0(VALU_DEP_1)
	v_cmp_ne_u32_e32 vcc_lo, v59, v71
	v_cndmask_b32_e64 v72, 0, 1, vcc_lo
; %bb.276:
	s_or_b32 exec_lo, exec_lo, s2
	s_mov_b32 s4, 0
	s_mov_b32 s3, exec_lo
	s_waitcnt lgkmcnt(0)
	s_barrier
	buffer_gl0_inv
                                        ; implicit-def: $sgpr2
	v_cmpx_ne_u32_e32 0, v0
	s_cbranch_execz .LBB302_280
; %bb.277:
	v_mov_b32_e32 v76, 0
	s_delay_alu instid0(VALU_DEP_1)
	v_cmp_gt_u64_e32 vcc_lo, s[0:1], v[75:76]
	s_and_saveexec_b32 s0, vcc_lo
	s_cbranch_execz .LBB302_279
; %bb.278:
	v_add_nc_u32_e32 v59, -8, v77
	v_mul_hi_i32 v71, 0x66666667, v25
	ds_load_b32 v59, v59
	v_lshrrev_b32_e32 v75, 31, v71
	v_ashrrev_i32_e32 v71, 2, v71
	s_delay_alu instid0(VALU_DEP_1) | instskip(SKIP_2) | instid1(VALU_DEP_1)
	v_add_nc_u32_e32 v71, v71, v75
	s_waitcnt lgkmcnt(0)
	v_mul_hi_i32 v59, 0x66666667, v59
	v_lshrrev_b32_e32 v76, 31, v59
	v_ashrrev_i32_e32 v59, 2, v59
	s_delay_alu instid0(VALU_DEP_1) | instskip(NEXT) | instid1(VALU_DEP_1)
	v_add_nc_u32_e32 v59, v59, v76
	v_cmp_ne_u32_e32 vcc_lo, v59, v71
	s_and_b32 s4, vcc_lo, exec_lo
.LBB302_279:
	s_or_b32 exec_lo, exec_lo, s0
	s_delay_alu instid0(SALU_CYCLE_1)
	s_and_b32 s2, s4, exec_lo
	s_or_b32 s37, s37, exec_lo
.LBB302_280:
	s_or_b32 exec_lo, exec_lo, s3
	s_mov_b32 s0, 1
	s_delay_alu instid0(SALU_CYCLE_1)
	v_mov_b32_e32 v71, s0
	s_and_saveexec_b32 s0, s37
	s_cbranch_execnz .LBB302_111
	s_branch .LBB302_112
.LBB302_281:
	s_and_saveexec_b32 s17, s12
	s_cbranch_execnz .LBB302_349
; %bb.282:
	s_or_b32 exec_lo, exec_lo, s17
	s_and_saveexec_b32 s17, s11
	s_cbranch_execnz .LBB302_350
.LBB302_283:
	s_or_b32 exec_lo, exec_lo, s17
	s_and_saveexec_b32 s17, s9
	s_cbranch_execnz .LBB302_351
.LBB302_284:
	s_or_b32 exec_lo, exec_lo, s17
	s_and_saveexec_b32 s17, s8
	s_cbranch_execnz .LBB302_352
.LBB302_285:
	s_or_b32 exec_lo, exec_lo, s17
	s_and_saveexec_b32 s17, s14
	s_cbranch_execnz .LBB302_353
.LBB302_286:
	s_or_b32 exec_lo, exec_lo, s17
	s_and_saveexec_b32 s17, s13
	s_cbranch_execnz .LBB302_354
.LBB302_287:
	s_or_b32 exec_lo, exec_lo, s17
	s_and_saveexec_b32 s17, s10
	s_cbranch_execnz .LBB302_355
.LBB302_288:
	s_or_b32 exec_lo, exec_lo, s17
	s_and_saveexec_b32 s17, s7
	s_cbranch_execnz .LBB302_356
.LBB302_289:
	s_or_b32 exec_lo, exec_lo, s17
	s_and_saveexec_b32 s17, s6
	s_cbranch_execnz .LBB302_357
.LBB302_290:
	s_or_b32 exec_lo, exec_lo, s17
	s_and_saveexec_b32 s17, s5
	s_cbranch_execnz .LBB302_358
.LBB302_291:
	s_or_b32 exec_lo, exec_lo, s17
	s_and_saveexec_b32 s17, s4
	s_cbranch_execnz .LBB302_359
.LBB302_292:
	s_or_b32 exec_lo, exec_lo, s17
	s_and_saveexec_b32 s17, s3
	s_cbranch_execnz .LBB302_360
.LBB302_293:
	s_or_b32 exec_lo, exec_lo, s17
	s_and_saveexec_b32 s17, s2
	s_cbranch_execnz .LBB302_361
.LBB302_294:
	s_or_b32 exec_lo, exec_lo, s17
	s_and_saveexec_b32 s17, s1
	s_cbranch_execz .LBB302_296
.LBB302_295:
	v_sub_nc_u32_e32 v54, v38, v77
	v_mov_b32_e32 v55, 0
	s_delay_alu instid0(VALU_DEP_1) | instskip(NEXT) | instid1(VALU_DEP_1)
	v_lshlrev_b64 v[54:55], 3, v[54:55]
	v_add_co_u32 v54, vcc_lo, v51, v54
	s_delay_alu instid0(VALU_DEP_2)
	v_add_co_ci_u32_e32 v55, vcc_lo, v52, v55, vcc_lo
	global_store_b64 v[54:55], v[3:4], off
.LBB302_296:
	s_or_b32 exec_lo, exec_lo, s17
	s_delay_alu instid0(SALU_CYCLE_1)
	s_and_b32 s17, s0, exec_lo
	s_and_not1_saveexec_b32 s15, s15
	s_cbranch_execz .LBB302_213
.LBB302_297:
	v_sub_nc_u32_e32 v54, v113, v77
	v_mov_b32_e32 v55, 0
	s_or_b32 s17, s17, exec_lo
	s_delay_alu instid0(VALU_DEP_1) | instskip(SKIP_1) | instid1(VALU_DEP_1)
	v_lshlrev_b64 v[73:74], 3, v[54:55]
	v_sub_nc_u32_e32 v54, v48, v77
	v_lshlrev_b64 v[107:108], 3, v[54:55]
	v_sub_nc_u32_e32 v54, v50, v77
	s_delay_alu instid0(VALU_DEP_4) | instskip(SKIP_1) | instid1(VALU_DEP_3)
	v_add_co_u32 v73, vcc_lo, v51, v73
	v_add_co_ci_u32_e32 v74, vcc_lo, v52, v74, vcc_lo
	v_lshlrev_b64 v[114:115], 3, v[54:55]
	v_sub_nc_u32_e32 v54, v49, v77
	v_add_co_u32 v107, vcc_lo, v51, v107
	v_add_co_ci_u32_e32 v108, vcc_lo, v52, v108, vcc_lo
	global_store_b64 v[73:74], v[25:26], off
	v_lshlrev_b64 v[73:74], 3, v[54:55]
	v_sub_nc_u32_e32 v54, v47, v77
	global_store_b64 v[107:108], v[27:28], off
	v_add_co_u32 v107, vcc_lo, v51, v114
	v_add_co_ci_u32_e32 v108, vcc_lo, v52, v115, vcc_lo
	v_lshlrev_b64 v[114:115], 3, v[54:55]
	v_sub_nc_u32_e32 v54, v46, v77
	v_add_co_u32 v73, vcc_lo, v51, v73
	v_add_co_ci_u32_e32 v74, vcc_lo, v52, v74, vcc_lo
	s_delay_alu instid0(VALU_DEP_3) | instskip(SKIP_3) | instid1(VALU_DEP_3)
	v_lshlrev_b64 v[116:117], 3, v[54:55]
	v_sub_nc_u32_e32 v54, v45, v77
	v_add_co_u32 v114, vcc_lo, v51, v114
	v_add_co_ci_u32_e32 v115, vcc_lo, v52, v115, vcc_lo
	v_lshlrev_b64 v[118:119], 3, v[54:55]
	v_sub_nc_u32_e32 v54, v44, v77
	v_add_co_u32 v116, vcc_lo, v51, v116
	v_add_co_ci_u32_e32 v117, vcc_lo, v52, v117, vcc_lo
	s_clause 0x3
	global_store_b64 v[107:108], v[21:22], off
	global_store_b64 v[73:74], v[23:24], off
	;; [unrolled: 1-line block ×4, first 2 shown]
	v_lshlrev_b64 v[73:74], 3, v[54:55]
	v_sub_nc_u32_e32 v54, v43, v77
	v_add_co_u32 v107, vcc_lo, v51, v118
	v_add_co_ci_u32_e32 v108, vcc_lo, v52, v119, vcc_lo
	s_delay_alu instid0(VALU_DEP_3) | instskip(SKIP_3) | instid1(VALU_DEP_3)
	v_lshlrev_b64 v[114:115], 3, v[54:55]
	v_sub_nc_u32_e32 v54, v42, v77
	v_add_co_u32 v73, vcc_lo, v51, v73
	v_add_co_ci_u32_e32 v74, vcc_lo, v52, v74, vcc_lo
	v_lshlrev_b64 v[116:117], 3, v[54:55]
	v_sub_nc_u32_e32 v54, v41, v77
	v_add_co_u32 v114, vcc_lo, v51, v114
	v_add_co_ci_u32_e32 v115, vcc_lo, v52, v115, vcc_lo
	s_delay_alu instid0(VALU_DEP_3)
	v_lshlrev_b64 v[118:119], 3, v[54:55]
	v_sub_nc_u32_e32 v54, v40, v77
	v_add_co_u32 v116, vcc_lo, v51, v116
	v_add_co_ci_u32_e32 v117, vcc_lo, v52, v117, vcc_lo
	s_clause 0x3
	global_store_b64 v[107:108], v[13:14], off
	global_store_b64 v[73:74], v[15:16], off
	;; [unrolled: 1-line block ×4, first 2 shown]
	v_lshlrev_b64 v[73:74], 3, v[54:55]
	v_sub_nc_u32_e32 v54, v39, v77
	v_add_co_u32 v107, vcc_lo, v51, v118
	v_add_co_ci_u32_e32 v108, vcc_lo, v52, v119, vcc_lo
	s_delay_alu instid0(VALU_DEP_3) | instskip(SKIP_3) | instid1(VALU_DEP_3)
	v_lshlrev_b64 v[114:115], 3, v[54:55]
	v_sub_nc_u32_e32 v54, v38, v77
	v_add_co_u32 v73, vcc_lo, v51, v73
	v_add_co_ci_u32_e32 v74, vcc_lo, v52, v74, vcc_lo
	v_lshlrev_b64 v[54:55], 3, v[54:55]
	v_add_co_u32 v114, vcc_lo, v51, v114
	v_add_co_ci_u32_e32 v115, vcc_lo, v52, v115, vcc_lo
	s_clause 0x2
	global_store_b64 v[107:108], v[5:6], off
	global_store_b64 v[73:74], v[7:8], off
	;; [unrolled: 1-line block ×3, first 2 shown]
	v_add_co_u32 v54, vcc_lo, v51, v54
	v_add_co_ci_u32_e32 v55, vcc_lo, v52, v55, vcc_lo
	global_store_b64 v[54:55], v[3:4], off
	s_or_b32 exec_lo, exec_lo, s15
	s_delay_alu instid0(SALU_CYCLE_1)
	s_and_b32 exec_lo, exec_lo, s17
	s_cbranch_execnz .LBB302_214
	s_branch .LBB302_215
.LBB302_298:
	s_and_saveexec_b32 s17, s12
	s_cbranch_execnz .LBB302_362
; %bb.299:
	s_or_b32 exec_lo, exec_lo, s17
	s_and_saveexec_b32 s12, s11
	s_cbranch_execnz .LBB302_363
.LBB302_300:
	s_or_b32 exec_lo, exec_lo, s12
	s_and_saveexec_b32 s11, s9
	s_cbranch_execnz .LBB302_364
.LBB302_301:
	s_or_b32 exec_lo, exec_lo, s11
	s_and_saveexec_b32 s9, s8
	s_cbranch_execnz .LBB302_365
.LBB302_302:
	s_or_b32 exec_lo, exec_lo, s9
	s_and_saveexec_b32 s8, s14
	s_cbranch_execnz .LBB302_366
.LBB302_303:
	s_or_b32 exec_lo, exec_lo, s8
	s_and_saveexec_b32 s8, s13
	s_cbranch_execnz .LBB302_367
.LBB302_304:
	s_or_b32 exec_lo, exec_lo, s8
	s_and_saveexec_b32 s8, s10
	s_cbranch_execnz .LBB302_368
.LBB302_305:
	s_or_b32 exec_lo, exec_lo, s8
	s_and_saveexec_b32 s8, s7
	s_cbranch_execnz .LBB302_369
.LBB302_306:
	s_or_b32 exec_lo, exec_lo, s8
	s_and_saveexec_b32 s7, s6
	s_cbranch_execnz .LBB302_370
.LBB302_307:
	s_or_b32 exec_lo, exec_lo, s7
	s_and_saveexec_b32 s6, s5
	s_cbranch_execnz .LBB302_371
.LBB302_308:
	s_or_b32 exec_lo, exec_lo, s6
	s_and_saveexec_b32 s5, s4
	s_cbranch_execnz .LBB302_372
.LBB302_309:
	s_or_b32 exec_lo, exec_lo, s5
	s_and_saveexec_b32 s4, s3
	s_cbranch_execnz .LBB302_373
.LBB302_310:
	s_or_b32 exec_lo, exec_lo, s4
	s_and_saveexec_b32 s3, s2
	s_cbranch_execnz .LBB302_374
.LBB302_311:
	s_or_b32 exec_lo, exec_lo, s3
	s_and_saveexec_b32 s2, s1
	s_cbranch_execz .LBB302_313
.LBB302_312:
	v_sub_nc_u32_e32 v1, v38, v77
	s_delay_alu instid0(VALU_DEP_1)
	v_lshlrev_b32_e32 v1, 3, v1
	ds_store_b64 v1, v[3:4]
.LBB302_313:
	s_or_b32 exec_lo, exec_lo, s2
	s_delay_alu instid0(SALU_CYCLE_1)
	s_and_b32 s17, s0, exec_lo
                                        ; implicit-def: $vgpr25_vgpr26
                                        ; implicit-def: $vgpr21_vgpr22
                                        ; implicit-def: $vgpr17_vgpr18
                                        ; implicit-def: $vgpr13_vgpr14
                                        ; implicit-def: $vgpr9_vgpr10
                                        ; implicit-def: $vgpr5_vgpr6
                                        ; implicit-def: $vgpr1_vgpr2
	s_and_not1_saveexec_b32 s0, s16
	s_cbranch_execz .LBB302_220
.LBB302_314:
	v_sub_nc_u32_e32 v53, v113, v77
	v_sub_nc_u32_e32 v54, v48, v77
	;; [unrolled: 1-line block ×4, first 2 shown]
	s_or_b32 s17, s17, exec_lo
	v_lshlrev_b32_e32 v53, 3, v53
	v_lshlrev_b32_e32 v54, 3, v54
	;; [unrolled: 1-line block ×4, first 2 shown]
	ds_store_b64 v53, v[25:26]
	ds_store_b64 v54, v[27:28]
	;; [unrolled: 1-line block ×3, first 2 shown]
	v_sub_nc_u32_e32 v21, v47, v77
	v_sub_nc_u32_e32 v22, v46, v77
	ds_store_b64 v56, v[23:24]
	v_sub_nc_u32_e32 v23, v45, v77
	v_sub_nc_u32_e32 v24, v44, v77
	v_lshlrev_b32_e32 v21, 3, v21
	v_sub_nc_u32_e32 v25, v43, v77
	v_lshlrev_b32_e32 v22, 3, v22
	v_lshlrev_b32_e32 v23, 3, v23
	;; [unrolled: 1-line block ×3, first 2 shown]
	ds_store_b64 v21, v[17:18]
	v_lshlrev_b32_e32 v17, 3, v25
	ds_store_b64 v22, v[19:20]
	ds_store_b64 v23, v[13:14]
	;; [unrolled: 1-line block ×3, first 2 shown]
	v_sub_nc_u32_e32 v13, v42, v77
	v_sub_nc_u32_e32 v15, v38, v77
	;; [unrolled: 1-line block ×3, first 2 shown]
	ds_store_b64 v17, v[9:10]
	v_sub_nc_u32_e32 v9, v41, v77
	v_lshlrev_b32_e32 v13, 3, v13
	v_sub_nc_u32_e32 v10, v40, v77
	v_lshlrev_b32_e32 v14, 3, v14
	s_delay_alu instid0(VALU_DEP_4)
	v_lshlrev_b32_e32 v9, 3, v9
	ds_store_b64 v13, v[11:12]
	v_lshlrev_b32_e32 v11, 3, v15
	v_lshlrev_b32_e32 v10, 3, v10
	ds_store_b64 v9, v[5:6]
	ds_store_b64 v10, v[7:8]
	ds_store_b64 v14, v[1:2]
	ds_store_b64 v11, v[3:4]
	s_or_b32 exec_lo, exec_lo, s0
	s_delay_alu instid0(SALU_CYCLE_1)
	s_and_b32 exec_lo, exec_lo, s17
	s_cbranch_execnz .LBB302_221
	s_branch .LBB302_222
.LBB302_315:
	s_and_saveexec_b32 s17, s14
	s_cbranch_execnz .LBB302_375
; %bb.316:
	s_or_b32 exec_lo, exec_lo, s17
	s_and_saveexec_b32 s17, s13
	s_cbranch_execnz .LBB302_376
.LBB302_317:
	s_or_b32 exec_lo, exec_lo, s17
	s_and_saveexec_b32 s17, s12
	s_cbranch_execnz .LBB302_377
.LBB302_318:
	s_or_b32 exec_lo, exec_lo, s17
	s_and_saveexec_b32 s17, s11
	s_cbranch_execnz .LBB302_378
.LBB302_319:
	s_or_b32 exec_lo, exec_lo, s17
	s_and_saveexec_b32 s17, s10
	s_cbranch_execnz .LBB302_379
.LBB302_320:
	s_or_b32 exec_lo, exec_lo, s17
	s_and_saveexec_b32 s17, s9
	s_cbranch_execnz .LBB302_380
.LBB302_321:
	s_or_b32 exec_lo, exec_lo, s17
	s_and_saveexec_b32 s17, s8
	s_cbranch_execnz .LBB302_381
.LBB302_322:
	s_or_b32 exec_lo, exec_lo, s17
	s_and_saveexec_b32 s17, s7
	s_cbranch_execnz .LBB302_382
.LBB302_323:
	s_or_b32 exec_lo, exec_lo, s17
	s_and_saveexec_b32 s17, s6
	s_cbranch_execnz .LBB302_383
.LBB302_324:
	s_or_b32 exec_lo, exec_lo, s17
	s_and_saveexec_b32 s17, s5
	s_cbranch_execnz .LBB302_384
.LBB302_325:
	s_or_b32 exec_lo, exec_lo, s17
	s_and_saveexec_b32 s17, s4
	s_cbranch_execnz .LBB302_385
.LBB302_326:
	s_or_b32 exec_lo, exec_lo, s17
	s_and_saveexec_b32 s17, s3
	s_cbranch_execnz .LBB302_386
.LBB302_327:
	s_or_b32 exec_lo, exec_lo, s17
	s_and_saveexec_b32 s17, s2
	s_cbranch_execnz .LBB302_387
.LBB302_328:
	s_or_b32 exec_lo, exec_lo, s17
	s_and_saveexec_b32 s17, s1
	s_cbranch_execz .LBB302_330
.LBB302_329:
	v_sub_nc_u32_e32 v10, v38, v8
	v_mov_b32_e32 v11, 0
	s_delay_alu instid0(VALU_DEP_1) | instskip(NEXT) | instid1(VALU_DEP_1)
	v_lshlrev_b64 v[10:11], 3, v[10:11]
	v_add_co_u32 v10, vcc_lo, v6, v10
	s_delay_alu instid0(VALU_DEP_2)
	v_add_co_ci_u32_e32 v11, vcc_lo, v7, v11, vcc_lo
	global_store_b64 v[10:11], v[103:104], off
.LBB302_330:
	s_or_b32 exec_lo, exec_lo, s17
	s_delay_alu instid0(SALU_CYCLE_1)
	s_and_b32 s17, s0, exec_lo
	s_and_not1_saveexec_b32 s15, s15
	s_cbranch_execz .LBB302_233
.LBB302_331:
	v_sub_nc_u32_e32 v10, v113, v8
	v_mov_b32_e32 v11, 0
	s_or_b32 s17, s17, exec_lo
	s_delay_alu instid0(VALU_DEP_1) | instskip(SKIP_1) | instid1(VALU_DEP_1)
	v_lshlrev_b64 v[12:13], 3, v[10:11]
	v_sub_nc_u32_e32 v10, v48, v8
	v_lshlrev_b64 v[14:15], 3, v[10:11]
	v_sub_nc_u32_e32 v10, v50, v8
	s_delay_alu instid0(VALU_DEP_4) | instskip(SKIP_1) | instid1(VALU_DEP_3)
	v_add_co_u32 v12, vcc_lo, v6, v12
	v_add_co_ci_u32_e32 v13, vcc_lo, v7, v13, vcc_lo
	v_lshlrev_b64 v[16:17], 3, v[10:11]
	v_sub_nc_u32_e32 v10, v49, v8
	v_add_co_u32 v14, vcc_lo, v6, v14
	v_add_co_ci_u32_e32 v15, vcc_lo, v7, v15, vcc_lo
	global_store_b64 v[12:13], v[89:90], off
	v_lshlrev_b64 v[12:13], 3, v[10:11]
	v_sub_nc_u32_e32 v10, v47, v8
	global_store_b64 v[14:15], v[87:88], off
	v_add_co_u32 v14, vcc_lo, v6, v16
	v_add_co_ci_u32_e32 v15, vcc_lo, v7, v17, vcc_lo
	v_lshlrev_b64 v[16:17], 3, v[10:11]
	v_sub_nc_u32_e32 v10, v46, v8
	v_add_co_u32 v12, vcc_lo, v6, v12
	v_add_co_ci_u32_e32 v13, vcc_lo, v7, v13, vcc_lo
	s_delay_alu instid0(VALU_DEP_3) | instskip(SKIP_3) | instid1(VALU_DEP_3)
	v_lshlrev_b64 v[18:19], 3, v[10:11]
	v_sub_nc_u32_e32 v10, v45, v8
	v_add_co_u32 v16, vcc_lo, v6, v16
	v_add_co_ci_u32_e32 v17, vcc_lo, v7, v17, vcc_lo
	v_lshlrev_b64 v[20:21], 3, v[10:11]
	v_sub_nc_u32_e32 v10, v44, v8
	v_add_co_u32 v18, vcc_lo, v6, v18
	v_add_co_ci_u32_e32 v19, vcc_lo, v7, v19, vcc_lo
	s_clause 0x3
	global_store_b64 v[14:15], v[93:94], off
	global_store_b64 v[12:13], v[97:98], off
	;; [unrolled: 1-line block ×4, first 2 shown]
	v_lshlrev_b64 v[12:13], 3, v[10:11]
	v_sub_nc_u32_e32 v10, v43, v8
	v_add_co_u32 v14, vcc_lo, v6, v20
	v_add_co_ci_u32_e32 v15, vcc_lo, v7, v21, vcc_lo
	s_delay_alu instid0(VALU_DEP_3) | instskip(SKIP_3) | instid1(VALU_DEP_3)
	v_lshlrev_b64 v[16:17], 3, v[10:11]
	v_sub_nc_u32_e32 v10, v42, v8
	v_add_co_u32 v12, vcc_lo, v6, v12
	v_add_co_ci_u32_e32 v13, vcc_lo, v7, v13, vcc_lo
	v_lshlrev_b64 v[18:19], 3, v[10:11]
	v_sub_nc_u32_e32 v10, v41, v8
	v_add_co_u32 v16, vcc_lo, v6, v16
	v_add_co_ci_u32_e32 v17, vcc_lo, v7, v17, vcc_lo
	s_delay_alu instid0(VALU_DEP_3)
	v_lshlrev_b64 v[20:21], 3, v[10:11]
	v_sub_nc_u32_e32 v10, v40, v8
	v_add_co_u32 v18, vcc_lo, v6, v18
	v_add_co_ci_u32_e32 v19, vcc_lo, v7, v19, vcc_lo
	s_clause 0x3
	global_store_b64 v[14:15], v[91:92], off
	global_store_b64 v[12:13], v[95:96], off
	;; [unrolled: 1-line block ×4, first 2 shown]
	v_lshlrev_b64 v[12:13], 3, v[10:11]
	v_sub_nc_u32_e32 v10, v39, v8
	v_add_co_u32 v14, vcc_lo, v6, v20
	v_add_co_ci_u32_e32 v15, vcc_lo, v7, v21, vcc_lo
	s_delay_alu instid0(VALU_DEP_3) | instskip(SKIP_3) | instid1(VALU_DEP_3)
	v_lshlrev_b64 v[16:17], 3, v[10:11]
	v_sub_nc_u32_e32 v10, v38, v8
	v_add_co_u32 v12, vcc_lo, v6, v12
	v_add_co_ci_u32_e32 v13, vcc_lo, v7, v13, vcc_lo
	v_lshlrev_b64 v[10:11], 3, v[10:11]
	v_add_co_u32 v16, vcc_lo, v6, v16
	v_add_co_ci_u32_e32 v17, vcc_lo, v7, v17, vcc_lo
	s_clause 0x2
	global_store_b64 v[14:15], v[85:86], off
	global_store_b64 v[12:13], v[101:102], off
	;; [unrolled: 1-line block ×3, first 2 shown]
	v_add_co_u32 v10, vcc_lo, v6, v10
	v_add_co_ci_u32_e32 v11, vcc_lo, v7, v11, vcc_lo
	global_store_b64 v[10:11], v[103:104], off
	s_or_b32 exec_lo, exec_lo, s15
	s_delay_alu instid0(SALU_CYCLE_1)
	s_and_b32 exec_lo, exec_lo, s17
	s_cbranch_execnz .LBB302_234
	s_branch .LBB302_235
.LBB302_332:
	s_and_saveexec_b32 s17, s14
	s_cbranch_execnz .LBB302_388
; %bb.333:
	s_or_b32 exec_lo, exec_lo, s17
	s_and_saveexec_b32 s14, s13
	s_cbranch_execnz .LBB302_389
.LBB302_334:
	s_or_b32 exec_lo, exec_lo, s14
	s_and_saveexec_b32 s13, s12
	s_cbranch_execnz .LBB302_390
.LBB302_335:
	s_or_b32 exec_lo, exec_lo, s13
	s_and_saveexec_b32 s12, s11
	s_cbranch_execnz .LBB302_391
.LBB302_336:
	s_or_b32 exec_lo, exec_lo, s12
	s_and_saveexec_b32 s11, s10
	s_cbranch_execnz .LBB302_392
.LBB302_337:
	s_or_b32 exec_lo, exec_lo, s11
	s_and_saveexec_b32 s10, s9
	s_cbranch_execnz .LBB302_393
.LBB302_338:
	s_or_b32 exec_lo, exec_lo, s10
	s_and_saveexec_b32 s9, s8
	s_cbranch_execnz .LBB302_394
.LBB302_339:
	s_or_b32 exec_lo, exec_lo, s9
	s_and_saveexec_b32 s8, s7
	s_cbranch_execnz .LBB302_395
.LBB302_340:
	s_or_b32 exec_lo, exec_lo, s8
	s_and_saveexec_b32 s7, s6
	s_cbranch_execnz .LBB302_396
.LBB302_341:
	s_or_b32 exec_lo, exec_lo, s7
	s_and_saveexec_b32 s6, s5
	s_cbranch_execnz .LBB302_397
.LBB302_342:
	s_or_b32 exec_lo, exec_lo, s6
	s_and_saveexec_b32 s5, s4
	s_cbranch_execnz .LBB302_398
.LBB302_343:
	s_or_b32 exec_lo, exec_lo, s5
	s_and_saveexec_b32 s4, s3
	s_cbranch_execnz .LBB302_399
.LBB302_344:
	s_or_b32 exec_lo, exec_lo, s4
	s_and_saveexec_b32 s3, s2
	s_cbranch_execnz .LBB302_400
.LBB302_345:
	s_or_b32 exec_lo, exec_lo, s3
	s_and_saveexec_b32 s2, s1
	s_cbranch_execz .LBB302_347
.LBB302_346:
	v_sub_nc_u32_e32 v9, v38, v8
	s_delay_alu instid0(VALU_DEP_1)
	v_lshlrev_b32_e32 v9, 3, v9
	ds_store_b64 v9, v[103:104]
.LBB302_347:
	s_or_b32 exec_lo, exec_lo, s2
	s_delay_alu instid0(SALU_CYCLE_1)
	s_and_b32 s17, s0, exec_lo
                                        ; implicit-def: $vgpr89_vgpr90
                                        ; implicit-def: $vgpr87_vgpr88
                                        ; implicit-def: $vgpr93_vgpr94
                                        ; implicit-def: $vgpr97_vgpr98
                                        ; implicit-def: $vgpr79_vgpr80
                                        ; implicit-def: $vgpr83_vgpr84
                                        ; implicit-def: $vgpr91_vgpr92
                                        ; implicit-def: $vgpr95_vgpr96
                                        ; implicit-def: $vgpr99_vgpr100
                                        ; implicit-def: $vgpr81_vgpr82
                                        ; implicit-def: $vgpr85_vgpr86
                                        ; implicit-def: $vgpr101_vgpr102
                                        ; implicit-def: $vgpr105_vgpr106
                                        ; implicit-def: $vgpr103_vgpr104
                                        ; implicit-def: $vgpr113
                                        ; implicit-def: $vgpr48
                                        ; implicit-def: $vgpr50
                                        ; implicit-def: $vgpr49
                                        ; implicit-def: $vgpr47
                                        ; implicit-def: $vgpr46
                                        ; implicit-def: $vgpr45
                                        ; implicit-def: $vgpr44
                                        ; implicit-def: $vgpr43
                                        ; implicit-def: $vgpr42
                                        ; implicit-def: $vgpr41
                                        ; implicit-def: $vgpr40
                                        ; implicit-def: $vgpr39
                                        ; implicit-def: $vgpr38
	s_and_not1_saveexec_b32 s0, s16
	s_cbranch_execz .LBB302_239
.LBB302_348:
	v_sub_nc_u32_e32 v9, v113, v8
	v_sub_nc_u32_e32 v10, v48, v8
	;; [unrolled: 1-line block ×5, first 2 shown]
	v_lshlrev_b32_e32 v9, 3, v9
	v_lshlrev_b32_e32 v10, 3, v10
	v_lshlrev_b32_e32 v11, 3, v11
	v_lshlrev_b32_e32 v12, 3, v12
	s_or_b32 s17, s17, exec_lo
	ds_store_b64 v9, v[89:90]
	ds_store_b64 v10, v[87:88]
	ds_store_b64 v11, v[93:94]
	v_sub_nc_u32_e32 v9, v47, v8
	v_sub_nc_u32_e32 v10, v46, v8
	;; [unrolled: 1-line block ×3, first 2 shown]
	ds_store_b64 v12, v[97:98]
	v_sub_nc_u32_e32 v12, v44, v8
	v_lshlrev_b32_e32 v9, 3, v9
	v_lshlrev_b32_e32 v10, 3, v10
	;; [unrolled: 1-line block ×3, first 2 shown]
	s_delay_alu instid0(VALU_DEP_4)
	v_lshlrev_b32_e32 v12, 3, v12
	ds_store_b64 v9, v[79:80]
	v_lshlrev_b32_e32 v9, 3, v13
	ds_store_b64 v10, v[83:84]
	ds_store_b64 v11, v[91:92]
	;; [unrolled: 1-line block ×3, first 2 shown]
	v_sub_nc_u32_e32 v10, v42, v8
	v_sub_nc_u32_e32 v13, v38, v8
	;; [unrolled: 1-line block ×3, first 2 shown]
	ds_store_b64 v9, v[99:100]
	v_sub_nc_u32_e32 v9, v41, v8
	v_lshlrev_b32_e32 v10, 3, v10
	v_sub_nc_u32_e32 v12, v39, v8
	v_lshlrev_b32_e32 v11, 3, v11
	s_delay_alu instid0(VALU_DEP_4)
	v_lshlrev_b32_e32 v9, 3, v9
	ds_store_b64 v10, v[81:82]
	v_lshlrev_b32_e32 v10, 3, v13
	v_lshlrev_b32_e32 v12, 3, v12
	ds_store_b64 v9, v[85:86]
	ds_store_b64 v11, v[101:102]
	;; [unrolled: 1-line block ×4, first 2 shown]
	s_or_b32 exec_lo, exec_lo, s0
	s_delay_alu instid0(SALU_CYCLE_1)
	s_and_b32 exec_lo, exec_lo, s17
	s_cbranch_execnz .LBB302_240
	s_branch .LBB302_241
.LBB302_349:
	v_sub_nc_u32_e32 v54, v113, v77
	v_mov_b32_e32 v55, 0
	s_delay_alu instid0(VALU_DEP_1) | instskip(NEXT) | instid1(VALU_DEP_1)
	v_lshlrev_b64 v[54:55], 3, v[54:55]
	v_add_co_u32 v54, vcc_lo, v51, v54
	s_delay_alu instid0(VALU_DEP_2)
	v_add_co_ci_u32_e32 v55, vcc_lo, v52, v55, vcc_lo
	global_store_b64 v[54:55], v[25:26], off
	s_or_b32 exec_lo, exec_lo, s17
	s_and_saveexec_b32 s17, s11
	s_cbranch_execz .LBB302_283
.LBB302_350:
	v_sub_nc_u32_e32 v54, v48, v77
	v_mov_b32_e32 v55, 0
	s_delay_alu instid0(VALU_DEP_1) | instskip(NEXT) | instid1(VALU_DEP_1)
	v_lshlrev_b64 v[54:55], 3, v[54:55]
	v_add_co_u32 v54, vcc_lo, v51, v54
	s_delay_alu instid0(VALU_DEP_2)
	v_add_co_ci_u32_e32 v55, vcc_lo, v52, v55, vcc_lo
	global_store_b64 v[54:55], v[27:28], off
	s_or_b32 exec_lo, exec_lo, s17
	s_and_saveexec_b32 s17, s9
	s_cbranch_execz .LBB302_284
.LBB302_351:
	v_sub_nc_u32_e32 v54, v50, v77
	v_mov_b32_e32 v55, 0
	s_delay_alu instid0(VALU_DEP_1) | instskip(NEXT) | instid1(VALU_DEP_1)
	v_lshlrev_b64 v[54:55], 3, v[54:55]
	v_add_co_u32 v54, vcc_lo, v51, v54
	s_delay_alu instid0(VALU_DEP_2)
	v_add_co_ci_u32_e32 v55, vcc_lo, v52, v55, vcc_lo
	global_store_b64 v[54:55], v[21:22], off
	s_or_b32 exec_lo, exec_lo, s17
	s_and_saveexec_b32 s17, s8
	s_cbranch_execz .LBB302_285
.LBB302_352:
	v_sub_nc_u32_e32 v54, v49, v77
	v_mov_b32_e32 v55, 0
	s_delay_alu instid0(VALU_DEP_1) | instskip(NEXT) | instid1(VALU_DEP_1)
	v_lshlrev_b64 v[54:55], 3, v[54:55]
	v_add_co_u32 v54, vcc_lo, v51, v54
	s_delay_alu instid0(VALU_DEP_2)
	v_add_co_ci_u32_e32 v55, vcc_lo, v52, v55, vcc_lo
	global_store_b64 v[54:55], v[23:24], off
	s_or_b32 exec_lo, exec_lo, s17
	s_and_saveexec_b32 s17, s14
	s_cbranch_execz .LBB302_286
.LBB302_353:
	v_sub_nc_u32_e32 v54, v47, v77
	v_mov_b32_e32 v55, 0
	s_delay_alu instid0(VALU_DEP_1) | instskip(NEXT) | instid1(VALU_DEP_1)
	v_lshlrev_b64 v[54:55], 3, v[54:55]
	v_add_co_u32 v54, vcc_lo, v51, v54
	s_delay_alu instid0(VALU_DEP_2)
	v_add_co_ci_u32_e32 v55, vcc_lo, v52, v55, vcc_lo
	global_store_b64 v[54:55], v[17:18], off
	s_or_b32 exec_lo, exec_lo, s17
	s_and_saveexec_b32 s17, s13
	s_cbranch_execz .LBB302_287
.LBB302_354:
	v_sub_nc_u32_e32 v54, v46, v77
	v_mov_b32_e32 v55, 0
	s_delay_alu instid0(VALU_DEP_1) | instskip(NEXT) | instid1(VALU_DEP_1)
	v_lshlrev_b64 v[54:55], 3, v[54:55]
	v_add_co_u32 v54, vcc_lo, v51, v54
	s_delay_alu instid0(VALU_DEP_2)
	v_add_co_ci_u32_e32 v55, vcc_lo, v52, v55, vcc_lo
	global_store_b64 v[54:55], v[19:20], off
	s_or_b32 exec_lo, exec_lo, s17
	s_and_saveexec_b32 s17, s10
	s_cbranch_execz .LBB302_288
.LBB302_355:
	v_sub_nc_u32_e32 v54, v45, v77
	v_mov_b32_e32 v55, 0
	s_delay_alu instid0(VALU_DEP_1) | instskip(NEXT) | instid1(VALU_DEP_1)
	v_lshlrev_b64 v[54:55], 3, v[54:55]
	v_add_co_u32 v54, vcc_lo, v51, v54
	s_delay_alu instid0(VALU_DEP_2)
	v_add_co_ci_u32_e32 v55, vcc_lo, v52, v55, vcc_lo
	global_store_b64 v[54:55], v[13:14], off
	s_or_b32 exec_lo, exec_lo, s17
	s_and_saveexec_b32 s17, s7
	s_cbranch_execz .LBB302_289
.LBB302_356:
	v_sub_nc_u32_e32 v54, v44, v77
	v_mov_b32_e32 v55, 0
	s_delay_alu instid0(VALU_DEP_1) | instskip(NEXT) | instid1(VALU_DEP_1)
	v_lshlrev_b64 v[54:55], 3, v[54:55]
	v_add_co_u32 v54, vcc_lo, v51, v54
	s_delay_alu instid0(VALU_DEP_2)
	v_add_co_ci_u32_e32 v55, vcc_lo, v52, v55, vcc_lo
	global_store_b64 v[54:55], v[15:16], off
	s_or_b32 exec_lo, exec_lo, s17
	s_and_saveexec_b32 s17, s6
	s_cbranch_execz .LBB302_290
.LBB302_357:
	v_sub_nc_u32_e32 v54, v43, v77
	v_mov_b32_e32 v55, 0
	s_delay_alu instid0(VALU_DEP_1) | instskip(NEXT) | instid1(VALU_DEP_1)
	v_lshlrev_b64 v[54:55], 3, v[54:55]
	v_add_co_u32 v54, vcc_lo, v51, v54
	s_delay_alu instid0(VALU_DEP_2)
	v_add_co_ci_u32_e32 v55, vcc_lo, v52, v55, vcc_lo
	global_store_b64 v[54:55], v[9:10], off
	s_or_b32 exec_lo, exec_lo, s17
	s_and_saveexec_b32 s17, s5
	s_cbranch_execz .LBB302_291
.LBB302_358:
	v_sub_nc_u32_e32 v54, v42, v77
	v_mov_b32_e32 v55, 0
	s_delay_alu instid0(VALU_DEP_1) | instskip(NEXT) | instid1(VALU_DEP_1)
	v_lshlrev_b64 v[54:55], 3, v[54:55]
	v_add_co_u32 v54, vcc_lo, v51, v54
	s_delay_alu instid0(VALU_DEP_2)
	v_add_co_ci_u32_e32 v55, vcc_lo, v52, v55, vcc_lo
	global_store_b64 v[54:55], v[11:12], off
	s_or_b32 exec_lo, exec_lo, s17
	s_and_saveexec_b32 s17, s4
	s_cbranch_execz .LBB302_292
.LBB302_359:
	v_sub_nc_u32_e32 v54, v41, v77
	v_mov_b32_e32 v55, 0
	s_delay_alu instid0(VALU_DEP_1) | instskip(NEXT) | instid1(VALU_DEP_1)
	v_lshlrev_b64 v[54:55], 3, v[54:55]
	v_add_co_u32 v54, vcc_lo, v51, v54
	s_delay_alu instid0(VALU_DEP_2)
	v_add_co_ci_u32_e32 v55, vcc_lo, v52, v55, vcc_lo
	global_store_b64 v[54:55], v[5:6], off
	s_or_b32 exec_lo, exec_lo, s17
	s_and_saveexec_b32 s17, s3
	s_cbranch_execz .LBB302_293
.LBB302_360:
	v_sub_nc_u32_e32 v54, v40, v77
	v_mov_b32_e32 v55, 0
	s_delay_alu instid0(VALU_DEP_1) | instskip(NEXT) | instid1(VALU_DEP_1)
	v_lshlrev_b64 v[54:55], 3, v[54:55]
	v_add_co_u32 v54, vcc_lo, v51, v54
	s_delay_alu instid0(VALU_DEP_2)
	v_add_co_ci_u32_e32 v55, vcc_lo, v52, v55, vcc_lo
	global_store_b64 v[54:55], v[7:8], off
	s_or_b32 exec_lo, exec_lo, s17
	s_and_saveexec_b32 s17, s2
	s_cbranch_execz .LBB302_294
.LBB302_361:
	v_sub_nc_u32_e32 v54, v39, v77
	v_mov_b32_e32 v55, 0
	s_delay_alu instid0(VALU_DEP_1) | instskip(NEXT) | instid1(VALU_DEP_1)
	v_lshlrev_b64 v[54:55], 3, v[54:55]
	v_add_co_u32 v54, vcc_lo, v51, v54
	s_delay_alu instid0(VALU_DEP_2)
	v_add_co_ci_u32_e32 v55, vcc_lo, v52, v55, vcc_lo
	global_store_b64 v[54:55], v[1:2], off
	s_or_b32 exec_lo, exec_lo, s17
	s_and_saveexec_b32 s17, s1
	s_cbranch_execnz .LBB302_295
	s_branch .LBB302_296
.LBB302_362:
	v_sub_nc_u32_e32 v53, v113, v77
	s_delay_alu instid0(VALU_DEP_1)
	v_lshlrev_b32_e32 v53, 3, v53
	ds_store_b64 v53, v[25:26]
	s_or_b32 exec_lo, exec_lo, s17
	s_and_saveexec_b32 s12, s11
	s_cbranch_execz .LBB302_300
.LBB302_363:
	v_sub_nc_u32_e32 v25, v48, v77
	s_delay_alu instid0(VALU_DEP_1)
	v_lshlrev_b32_e32 v25, 3, v25
	ds_store_b64 v25, v[27:28]
	s_or_b32 exec_lo, exec_lo, s12
	s_and_saveexec_b32 s11, s9
	s_cbranch_execz .LBB302_301
.LBB302_364:
	v_sub_nc_u32_e32 v25, v50, v77
	s_delay_alu instid0(VALU_DEP_1)
	v_lshlrev_b32_e32 v25, 3, v25
	ds_store_b64 v25, v[21:22]
	s_or_b32 exec_lo, exec_lo, s11
	s_and_saveexec_b32 s9, s8
	s_cbranch_execz .LBB302_302
.LBB302_365:
	v_sub_nc_u32_e32 v21, v49, v77
	s_delay_alu instid0(VALU_DEP_1)
	v_lshlrev_b32_e32 v21, 3, v21
	ds_store_b64 v21, v[23:24]
	s_or_b32 exec_lo, exec_lo, s9
	s_and_saveexec_b32 s8, s14
	s_cbranch_execz .LBB302_303
.LBB302_366:
	v_sub_nc_u32_e32 v21, v47, v77
	s_delay_alu instid0(VALU_DEP_1)
	v_lshlrev_b32_e32 v21, 3, v21
	ds_store_b64 v21, v[17:18]
	s_or_b32 exec_lo, exec_lo, s8
	s_and_saveexec_b32 s8, s13
	s_cbranch_execz .LBB302_304
.LBB302_367:
	v_sub_nc_u32_e32 v17, v46, v77
	s_delay_alu instid0(VALU_DEP_1)
	v_lshlrev_b32_e32 v17, 3, v17
	ds_store_b64 v17, v[19:20]
	s_or_b32 exec_lo, exec_lo, s8
	s_and_saveexec_b32 s8, s10
	s_cbranch_execz .LBB302_305
.LBB302_368:
	v_sub_nc_u32_e32 v17, v45, v77
	s_delay_alu instid0(VALU_DEP_1)
	v_lshlrev_b32_e32 v17, 3, v17
	ds_store_b64 v17, v[13:14]
	s_or_b32 exec_lo, exec_lo, s8
	s_and_saveexec_b32 s8, s7
	s_cbranch_execz .LBB302_306
.LBB302_369:
	v_sub_nc_u32_e32 v13, v44, v77
	s_delay_alu instid0(VALU_DEP_1)
	v_lshlrev_b32_e32 v13, 3, v13
	ds_store_b64 v13, v[15:16]
	s_or_b32 exec_lo, exec_lo, s8
	s_and_saveexec_b32 s7, s6
	s_cbranch_execz .LBB302_307
.LBB302_370:
	v_sub_nc_u32_e32 v13, v43, v77
	s_delay_alu instid0(VALU_DEP_1)
	v_lshlrev_b32_e32 v13, 3, v13
	ds_store_b64 v13, v[9:10]
	s_or_b32 exec_lo, exec_lo, s7
	s_and_saveexec_b32 s6, s5
	s_cbranch_execz .LBB302_308
.LBB302_371:
	v_sub_nc_u32_e32 v9, v42, v77
	s_delay_alu instid0(VALU_DEP_1)
	v_lshlrev_b32_e32 v9, 3, v9
	ds_store_b64 v9, v[11:12]
	s_or_b32 exec_lo, exec_lo, s6
	s_and_saveexec_b32 s5, s4
	s_cbranch_execz .LBB302_309
.LBB302_372:
	v_sub_nc_u32_e32 v9, v41, v77
	s_delay_alu instid0(VALU_DEP_1)
	v_lshlrev_b32_e32 v9, 3, v9
	ds_store_b64 v9, v[5:6]
	s_or_b32 exec_lo, exec_lo, s5
	s_and_saveexec_b32 s4, s3
	s_cbranch_execz .LBB302_310
.LBB302_373:
	v_sub_nc_u32_e32 v5, v40, v77
	s_delay_alu instid0(VALU_DEP_1)
	v_lshlrev_b32_e32 v5, 3, v5
	ds_store_b64 v5, v[7:8]
	s_or_b32 exec_lo, exec_lo, s4
	s_and_saveexec_b32 s3, s2
	s_cbranch_execz .LBB302_311
.LBB302_374:
	v_sub_nc_u32_e32 v5, v39, v77
	s_delay_alu instid0(VALU_DEP_1)
	v_lshlrev_b32_e32 v5, 3, v5
	ds_store_b64 v5, v[1:2]
	s_or_b32 exec_lo, exec_lo, s3
	s_and_saveexec_b32 s2, s1
	s_cbranch_execnz .LBB302_312
	s_branch .LBB302_313
.LBB302_375:
	v_sub_nc_u32_e32 v10, v113, v8
	v_mov_b32_e32 v11, 0
	s_delay_alu instid0(VALU_DEP_1) | instskip(NEXT) | instid1(VALU_DEP_1)
	v_lshlrev_b64 v[10:11], 3, v[10:11]
	v_add_co_u32 v10, vcc_lo, v6, v10
	s_delay_alu instid0(VALU_DEP_2)
	v_add_co_ci_u32_e32 v11, vcc_lo, v7, v11, vcc_lo
	global_store_b64 v[10:11], v[89:90], off
	s_or_b32 exec_lo, exec_lo, s17
	s_and_saveexec_b32 s17, s13
	s_cbranch_execz .LBB302_317
.LBB302_376:
	v_sub_nc_u32_e32 v10, v48, v8
	v_mov_b32_e32 v11, 0
	s_delay_alu instid0(VALU_DEP_1) | instskip(NEXT) | instid1(VALU_DEP_1)
	v_lshlrev_b64 v[10:11], 3, v[10:11]
	v_add_co_u32 v10, vcc_lo, v6, v10
	s_delay_alu instid0(VALU_DEP_2)
	v_add_co_ci_u32_e32 v11, vcc_lo, v7, v11, vcc_lo
	global_store_b64 v[10:11], v[87:88], off
	s_or_b32 exec_lo, exec_lo, s17
	s_and_saveexec_b32 s17, s12
	s_cbranch_execz .LBB302_318
.LBB302_377:
	v_sub_nc_u32_e32 v10, v50, v8
	v_mov_b32_e32 v11, 0
	s_delay_alu instid0(VALU_DEP_1) | instskip(NEXT) | instid1(VALU_DEP_1)
	v_lshlrev_b64 v[10:11], 3, v[10:11]
	v_add_co_u32 v10, vcc_lo, v6, v10
	s_delay_alu instid0(VALU_DEP_2)
	v_add_co_ci_u32_e32 v11, vcc_lo, v7, v11, vcc_lo
	global_store_b64 v[10:11], v[93:94], off
	s_or_b32 exec_lo, exec_lo, s17
	s_and_saveexec_b32 s17, s11
	s_cbranch_execz .LBB302_319
.LBB302_378:
	v_sub_nc_u32_e32 v10, v49, v8
	v_mov_b32_e32 v11, 0
	s_delay_alu instid0(VALU_DEP_1) | instskip(NEXT) | instid1(VALU_DEP_1)
	v_lshlrev_b64 v[10:11], 3, v[10:11]
	v_add_co_u32 v10, vcc_lo, v6, v10
	s_delay_alu instid0(VALU_DEP_2)
	v_add_co_ci_u32_e32 v11, vcc_lo, v7, v11, vcc_lo
	global_store_b64 v[10:11], v[97:98], off
	s_or_b32 exec_lo, exec_lo, s17
	s_and_saveexec_b32 s17, s10
	s_cbranch_execz .LBB302_320
.LBB302_379:
	v_sub_nc_u32_e32 v10, v47, v8
	v_mov_b32_e32 v11, 0
	s_delay_alu instid0(VALU_DEP_1) | instskip(NEXT) | instid1(VALU_DEP_1)
	v_lshlrev_b64 v[10:11], 3, v[10:11]
	v_add_co_u32 v10, vcc_lo, v6, v10
	s_delay_alu instid0(VALU_DEP_2)
	v_add_co_ci_u32_e32 v11, vcc_lo, v7, v11, vcc_lo
	global_store_b64 v[10:11], v[79:80], off
	s_or_b32 exec_lo, exec_lo, s17
	s_and_saveexec_b32 s17, s9
	s_cbranch_execz .LBB302_321
.LBB302_380:
	v_sub_nc_u32_e32 v10, v46, v8
	v_mov_b32_e32 v11, 0
	s_delay_alu instid0(VALU_DEP_1) | instskip(NEXT) | instid1(VALU_DEP_1)
	v_lshlrev_b64 v[10:11], 3, v[10:11]
	v_add_co_u32 v10, vcc_lo, v6, v10
	s_delay_alu instid0(VALU_DEP_2)
	v_add_co_ci_u32_e32 v11, vcc_lo, v7, v11, vcc_lo
	global_store_b64 v[10:11], v[83:84], off
	s_or_b32 exec_lo, exec_lo, s17
	s_and_saveexec_b32 s17, s8
	s_cbranch_execz .LBB302_322
.LBB302_381:
	v_sub_nc_u32_e32 v10, v45, v8
	v_mov_b32_e32 v11, 0
	s_delay_alu instid0(VALU_DEP_1) | instskip(NEXT) | instid1(VALU_DEP_1)
	v_lshlrev_b64 v[10:11], 3, v[10:11]
	v_add_co_u32 v10, vcc_lo, v6, v10
	s_delay_alu instid0(VALU_DEP_2)
	v_add_co_ci_u32_e32 v11, vcc_lo, v7, v11, vcc_lo
	global_store_b64 v[10:11], v[91:92], off
	s_or_b32 exec_lo, exec_lo, s17
	s_and_saveexec_b32 s17, s7
	s_cbranch_execz .LBB302_323
.LBB302_382:
	v_sub_nc_u32_e32 v10, v44, v8
	v_mov_b32_e32 v11, 0
	s_delay_alu instid0(VALU_DEP_1) | instskip(NEXT) | instid1(VALU_DEP_1)
	v_lshlrev_b64 v[10:11], 3, v[10:11]
	v_add_co_u32 v10, vcc_lo, v6, v10
	s_delay_alu instid0(VALU_DEP_2)
	v_add_co_ci_u32_e32 v11, vcc_lo, v7, v11, vcc_lo
	global_store_b64 v[10:11], v[95:96], off
	s_or_b32 exec_lo, exec_lo, s17
	s_and_saveexec_b32 s17, s6
	s_cbranch_execz .LBB302_324
.LBB302_383:
	v_sub_nc_u32_e32 v10, v43, v8
	v_mov_b32_e32 v11, 0
	s_delay_alu instid0(VALU_DEP_1) | instskip(NEXT) | instid1(VALU_DEP_1)
	v_lshlrev_b64 v[10:11], 3, v[10:11]
	v_add_co_u32 v10, vcc_lo, v6, v10
	s_delay_alu instid0(VALU_DEP_2)
	v_add_co_ci_u32_e32 v11, vcc_lo, v7, v11, vcc_lo
	global_store_b64 v[10:11], v[99:100], off
	s_or_b32 exec_lo, exec_lo, s17
	s_and_saveexec_b32 s17, s5
	s_cbranch_execz .LBB302_325
.LBB302_384:
	v_sub_nc_u32_e32 v10, v42, v8
	v_mov_b32_e32 v11, 0
	s_delay_alu instid0(VALU_DEP_1) | instskip(NEXT) | instid1(VALU_DEP_1)
	v_lshlrev_b64 v[10:11], 3, v[10:11]
	v_add_co_u32 v10, vcc_lo, v6, v10
	s_delay_alu instid0(VALU_DEP_2)
	v_add_co_ci_u32_e32 v11, vcc_lo, v7, v11, vcc_lo
	global_store_b64 v[10:11], v[81:82], off
	s_or_b32 exec_lo, exec_lo, s17
	s_and_saveexec_b32 s17, s4
	s_cbranch_execz .LBB302_326
.LBB302_385:
	v_sub_nc_u32_e32 v10, v41, v8
	v_mov_b32_e32 v11, 0
	s_delay_alu instid0(VALU_DEP_1) | instskip(NEXT) | instid1(VALU_DEP_1)
	v_lshlrev_b64 v[10:11], 3, v[10:11]
	v_add_co_u32 v10, vcc_lo, v6, v10
	s_delay_alu instid0(VALU_DEP_2)
	v_add_co_ci_u32_e32 v11, vcc_lo, v7, v11, vcc_lo
	global_store_b64 v[10:11], v[85:86], off
	s_or_b32 exec_lo, exec_lo, s17
	s_and_saveexec_b32 s17, s3
	s_cbranch_execz .LBB302_327
.LBB302_386:
	v_sub_nc_u32_e32 v10, v40, v8
	v_mov_b32_e32 v11, 0
	s_delay_alu instid0(VALU_DEP_1) | instskip(NEXT) | instid1(VALU_DEP_1)
	v_lshlrev_b64 v[10:11], 3, v[10:11]
	v_add_co_u32 v10, vcc_lo, v6, v10
	s_delay_alu instid0(VALU_DEP_2)
	v_add_co_ci_u32_e32 v11, vcc_lo, v7, v11, vcc_lo
	global_store_b64 v[10:11], v[101:102], off
	s_or_b32 exec_lo, exec_lo, s17
	s_and_saveexec_b32 s17, s2
	s_cbranch_execz .LBB302_328
.LBB302_387:
	v_sub_nc_u32_e32 v10, v39, v8
	v_mov_b32_e32 v11, 0
	s_delay_alu instid0(VALU_DEP_1) | instskip(NEXT) | instid1(VALU_DEP_1)
	v_lshlrev_b64 v[10:11], 3, v[10:11]
	v_add_co_u32 v10, vcc_lo, v6, v10
	s_delay_alu instid0(VALU_DEP_2)
	v_add_co_ci_u32_e32 v11, vcc_lo, v7, v11, vcc_lo
	global_store_b64 v[10:11], v[105:106], off
	s_or_b32 exec_lo, exec_lo, s17
	s_and_saveexec_b32 s17, s1
	s_cbranch_execnz .LBB302_329
	s_branch .LBB302_330
.LBB302_388:
	v_sub_nc_u32_e32 v9, v113, v8
	s_delay_alu instid0(VALU_DEP_1)
	v_lshlrev_b32_e32 v9, 3, v9
	ds_store_b64 v9, v[89:90]
	s_or_b32 exec_lo, exec_lo, s17
	s_and_saveexec_b32 s14, s13
	s_cbranch_execz .LBB302_334
.LBB302_389:
	v_sub_nc_u32_e32 v9, v48, v8
	s_delay_alu instid0(VALU_DEP_1)
	v_lshlrev_b32_e32 v9, 3, v9
	ds_store_b64 v9, v[87:88]
	s_or_b32 exec_lo, exec_lo, s14
	s_and_saveexec_b32 s13, s12
	s_cbranch_execz .LBB302_335
.LBB302_390:
	v_sub_nc_u32_e32 v9, v50, v8
	s_delay_alu instid0(VALU_DEP_1)
	v_lshlrev_b32_e32 v9, 3, v9
	ds_store_b64 v9, v[93:94]
	s_or_b32 exec_lo, exec_lo, s13
	s_and_saveexec_b32 s12, s11
	s_cbranch_execz .LBB302_336
.LBB302_391:
	v_sub_nc_u32_e32 v9, v49, v8
	s_delay_alu instid0(VALU_DEP_1)
	v_lshlrev_b32_e32 v9, 3, v9
	ds_store_b64 v9, v[97:98]
	s_or_b32 exec_lo, exec_lo, s12
	s_and_saveexec_b32 s11, s10
	s_cbranch_execz .LBB302_337
.LBB302_392:
	v_sub_nc_u32_e32 v9, v47, v8
	s_delay_alu instid0(VALU_DEP_1)
	v_lshlrev_b32_e32 v9, 3, v9
	ds_store_b64 v9, v[79:80]
	s_or_b32 exec_lo, exec_lo, s11
	s_and_saveexec_b32 s10, s9
	s_cbranch_execz .LBB302_338
.LBB302_393:
	v_sub_nc_u32_e32 v9, v46, v8
	s_delay_alu instid0(VALU_DEP_1)
	v_lshlrev_b32_e32 v9, 3, v9
	ds_store_b64 v9, v[83:84]
	s_or_b32 exec_lo, exec_lo, s10
	s_and_saveexec_b32 s9, s8
	s_cbranch_execz .LBB302_339
.LBB302_394:
	v_sub_nc_u32_e32 v9, v45, v8
	s_delay_alu instid0(VALU_DEP_1)
	v_lshlrev_b32_e32 v9, 3, v9
	ds_store_b64 v9, v[91:92]
	s_or_b32 exec_lo, exec_lo, s9
	s_and_saveexec_b32 s8, s7
	s_cbranch_execz .LBB302_340
.LBB302_395:
	v_sub_nc_u32_e32 v9, v44, v8
	s_delay_alu instid0(VALU_DEP_1)
	v_lshlrev_b32_e32 v9, 3, v9
	ds_store_b64 v9, v[95:96]
	s_or_b32 exec_lo, exec_lo, s8
	s_and_saveexec_b32 s7, s6
	s_cbranch_execz .LBB302_341
.LBB302_396:
	v_sub_nc_u32_e32 v9, v43, v8
	s_delay_alu instid0(VALU_DEP_1)
	v_lshlrev_b32_e32 v9, 3, v9
	ds_store_b64 v9, v[99:100]
	s_or_b32 exec_lo, exec_lo, s7
	s_and_saveexec_b32 s6, s5
	s_cbranch_execz .LBB302_342
.LBB302_397:
	v_sub_nc_u32_e32 v9, v42, v8
	s_delay_alu instid0(VALU_DEP_1)
	v_lshlrev_b32_e32 v9, 3, v9
	ds_store_b64 v9, v[81:82]
	s_or_b32 exec_lo, exec_lo, s6
	s_and_saveexec_b32 s5, s4
	s_cbranch_execz .LBB302_343
.LBB302_398:
	v_sub_nc_u32_e32 v9, v41, v8
	s_delay_alu instid0(VALU_DEP_1)
	v_lshlrev_b32_e32 v9, 3, v9
	ds_store_b64 v9, v[85:86]
	s_or_b32 exec_lo, exec_lo, s5
	s_and_saveexec_b32 s4, s3
	s_cbranch_execz .LBB302_344
.LBB302_399:
	v_sub_nc_u32_e32 v9, v40, v8
	s_delay_alu instid0(VALU_DEP_1)
	v_lshlrev_b32_e32 v9, 3, v9
	ds_store_b64 v9, v[101:102]
	s_or_b32 exec_lo, exec_lo, s4
	s_and_saveexec_b32 s3, s2
	s_cbranch_execz .LBB302_345
.LBB302_400:
	v_sub_nc_u32_e32 v9, v39, v8
	s_delay_alu instid0(VALU_DEP_1)
	v_lshlrev_b32_e32 v9, 3, v9
	ds_store_b64 v9, v[105:106]
	s_or_b32 exec_lo, exec_lo, s3
	s_and_saveexec_b32 s2, s1
	s_cbranch_execnz .LBB302_346
	s_branch .LBB302_347
	.section	.rodata,"a",@progbits
	.p2align	6, 0x0
	.amdhsa_kernel _ZN7rocprim17ROCPRIM_400000_NS6detail17trampoline_kernelINS0_14default_configENS1_29reduce_by_key_config_selectorIyyN6thrust23THRUST_200600_302600_NS4plusIyEEEEZZNS1_33reduce_by_key_impl_wrapped_configILNS1_25lookback_scan_determinismE0ES3_S9_NS6_6detail15normal_iteratorINS6_10device_ptrIyEEEESG_SG_SG_PmS8_22is_equal_div_10_reduceIyEEE10hipError_tPvRmT2_T3_mT4_T5_T6_T7_T8_P12ihipStream_tbENKUlT_T0_E_clISt17integral_constantIbLb1EES10_IbLb0EEEEDaSW_SX_EUlSW_E_NS1_11comp_targetILNS1_3genE9ELNS1_11target_archE1100ELNS1_3gpuE3ELNS1_3repE0EEENS1_30default_config_static_selectorELNS0_4arch9wavefront6targetE0EEEvT1_
		.amdhsa_group_segment_fixed_size 30720
		.amdhsa_private_segment_fixed_size 0
		.amdhsa_kernarg_size 136
		.amdhsa_user_sgpr_count 15
		.amdhsa_user_sgpr_dispatch_ptr 0
		.amdhsa_user_sgpr_queue_ptr 0
		.amdhsa_user_sgpr_kernarg_segment_ptr 1
		.amdhsa_user_sgpr_dispatch_id 0
		.amdhsa_user_sgpr_private_segment_size 0
		.amdhsa_wavefront_size32 1
		.amdhsa_uses_dynamic_stack 0
		.amdhsa_enable_private_segment 0
		.amdhsa_system_sgpr_workgroup_id_x 1
		.amdhsa_system_sgpr_workgroup_id_y 0
		.amdhsa_system_sgpr_workgroup_id_z 0
		.amdhsa_system_sgpr_workgroup_info 0
		.amdhsa_system_vgpr_workitem_id 0
		.amdhsa_next_free_vgpr 120
		.amdhsa_next_free_sgpr 48
		.amdhsa_reserve_vcc 1
		.amdhsa_float_round_mode_32 0
		.amdhsa_float_round_mode_16_64 0
		.amdhsa_float_denorm_mode_32 3
		.amdhsa_float_denorm_mode_16_64 3
		.amdhsa_dx10_clamp 1
		.amdhsa_ieee_mode 1
		.amdhsa_fp16_overflow 0
		.amdhsa_workgroup_processor_mode 1
		.amdhsa_memory_ordered 1
		.amdhsa_forward_progress 0
		.amdhsa_shared_vgpr_count 0
		.amdhsa_exception_fp_ieee_invalid_op 0
		.amdhsa_exception_fp_denorm_src 0
		.amdhsa_exception_fp_ieee_div_zero 0
		.amdhsa_exception_fp_ieee_overflow 0
		.amdhsa_exception_fp_ieee_underflow 0
		.amdhsa_exception_fp_ieee_inexact 0
		.amdhsa_exception_int_div_zero 0
	.end_amdhsa_kernel
	.section	.text._ZN7rocprim17ROCPRIM_400000_NS6detail17trampoline_kernelINS0_14default_configENS1_29reduce_by_key_config_selectorIyyN6thrust23THRUST_200600_302600_NS4plusIyEEEEZZNS1_33reduce_by_key_impl_wrapped_configILNS1_25lookback_scan_determinismE0ES3_S9_NS6_6detail15normal_iteratorINS6_10device_ptrIyEEEESG_SG_SG_PmS8_22is_equal_div_10_reduceIyEEE10hipError_tPvRmT2_T3_mT4_T5_T6_T7_T8_P12ihipStream_tbENKUlT_T0_E_clISt17integral_constantIbLb1EES10_IbLb0EEEEDaSW_SX_EUlSW_E_NS1_11comp_targetILNS1_3genE9ELNS1_11target_archE1100ELNS1_3gpuE3ELNS1_3repE0EEENS1_30default_config_static_selectorELNS0_4arch9wavefront6targetE0EEEvT1_,"axG",@progbits,_ZN7rocprim17ROCPRIM_400000_NS6detail17trampoline_kernelINS0_14default_configENS1_29reduce_by_key_config_selectorIyyN6thrust23THRUST_200600_302600_NS4plusIyEEEEZZNS1_33reduce_by_key_impl_wrapped_configILNS1_25lookback_scan_determinismE0ES3_S9_NS6_6detail15normal_iteratorINS6_10device_ptrIyEEEESG_SG_SG_PmS8_22is_equal_div_10_reduceIyEEE10hipError_tPvRmT2_T3_mT4_T5_T6_T7_T8_P12ihipStream_tbENKUlT_T0_E_clISt17integral_constantIbLb1EES10_IbLb0EEEEDaSW_SX_EUlSW_E_NS1_11comp_targetILNS1_3genE9ELNS1_11target_archE1100ELNS1_3gpuE3ELNS1_3repE0EEENS1_30default_config_static_selectorELNS0_4arch9wavefront6targetE0EEEvT1_,comdat
.Lfunc_end302:
	.size	_ZN7rocprim17ROCPRIM_400000_NS6detail17trampoline_kernelINS0_14default_configENS1_29reduce_by_key_config_selectorIyyN6thrust23THRUST_200600_302600_NS4plusIyEEEEZZNS1_33reduce_by_key_impl_wrapped_configILNS1_25lookback_scan_determinismE0ES3_S9_NS6_6detail15normal_iteratorINS6_10device_ptrIyEEEESG_SG_SG_PmS8_22is_equal_div_10_reduceIyEEE10hipError_tPvRmT2_T3_mT4_T5_T6_T7_T8_P12ihipStream_tbENKUlT_T0_E_clISt17integral_constantIbLb1EES10_IbLb0EEEEDaSW_SX_EUlSW_E_NS1_11comp_targetILNS1_3genE9ELNS1_11target_archE1100ELNS1_3gpuE3ELNS1_3repE0EEENS1_30default_config_static_selectorELNS0_4arch9wavefront6targetE0EEEvT1_, .Lfunc_end302-_ZN7rocprim17ROCPRIM_400000_NS6detail17trampoline_kernelINS0_14default_configENS1_29reduce_by_key_config_selectorIyyN6thrust23THRUST_200600_302600_NS4plusIyEEEEZZNS1_33reduce_by_key_impl_wrapped_configILNS1_25lookback_scan_determinismE0ES3_S9_NS6_6detail15normal_iteratorINS6_10device_ptrIyEEEESG_SG_SG_PmS8_22is_equal_div_10_reduceIyEEE10hipError_tPvRmT2_T3_mT4_T5_T6_T7_T8_P12ihipStream_tbENKUlT_T0_E_clISt17integral_constantIbLb1EES10_IbLb0EEEEDaSW_SX_EUlSW_E_NS1_11comp_targetILNS1_3genE9ELNS1_11target_archE1100ELNS1_3gpuE3ELNS1_3repE0EEENS1_30default_config_static_selectorELNS0_4arch9wavefront6targetE0EEEvT1_
                                        ; -- End function
	.section	.AMDGPU.csdata,"",@progbits
; Kernel info:
; codeLenInByte = 21904
; NumSgprs: 50
; NumVgprs: 120
; ScratchSize: 0
; MemoryBound: 0
; FloatMode: 240
; IeeeMode: 1
; LDSByteSize: 30720 bytes/workgroup (compile time only)
; SGPRBlocks: 6
; VGPRBlocks: 14
; NumSGPRsForWavesPerEU: 50
; NumVGPRsForWavesPerEU: 120
; Occupancy: 8
; WaveLimiterHint : 1
; COMPUTE_PGM_RSRC2:SCRATCH_EN: 0
; COMPUTE_PGM_RSRC2:USER_SGPR: 15
; COMPUTE_PGM_RSRC2:TRAP_HANDLER: 0
; COMPUTE_PGM_RSRC2:TGID_X_EN: 1
; COMPUTE_PGM_RSRC2:TGID_Y_EN: 0
; COMPUTE_PGM_RSRC2:TGID_Z_EN: 0
; COMPUTE_PGM_RSRC2:TIDIG_COMP_CNT: 0
	.section	.text._ZN7rocprim17ROCPRIM_400000_NS6detail17trampoline_kernelINS0_14default_configENS1_29reduce_by_key_config_selectorIyyN6thrust23THRUST_200600_302600_NS4plusIyEEEEZZNS1_33reduce_by_key_impl_wrapped_configILNS1_25lookback_scan_determinismE0ES3_S9_NS6_6detail15normal_iteratorINS6_10device_ptrIyEEEESG_SG_SG_PmS8_22is_equal_div_10_reduceIyEEE10hipError_tPvRmT2_T3_mT4_T5_T6_T7_T8_P12ihipStream_tbENKUlT_T0_E_clISt17integral_constantIbLb1EES10_IbLb0EEEEDaSW_SX_EUlSW_E_NS1_11comp_targetILNS1_3genE8ELNS1_11target_archE1030ELNS1_3gpuE2ELNS1_3repE0EEENS1_30default_config_static_selectorELNS0_4arch9wavefront6targetE0EEEvT1_,"axG",@progbits,_ZN7rocprim17ROCPRIM_400000_NS6detail17trampoline_kernelINS0_14default_configENS1_29reduce_by_key_config_selectorIyyN6thrust23THRUST_200600_302600_NS4plusIyEEEEZZNS1_33reduce_by_key_impl_wrapped_configILNS1_25lookback_scan_determinismE0ES3_S9_NS6_6detail15normal_iteratorINS6_10device_ptrIyEEEESG_SG_SG_PmS8_22is_equal_div_10_reduceIyEEE10hipError_tPvRmT2_T3_mT4_T5_T6_T7_T8_P12ihipStream_tbENKUlT_T0_E_clISt17integral_constantIbLb1EES10_IbLb0EEEEDaSW_SX_EUlSW_E_NS1_11comp_targetILNS1_3genE8ELNS1_11target_archE1030ELNS1_3gpuE2ELNS1_3repE0EEENS1_30default_config_static_selectorELNS0_4arch9wavefront6targetE0EEEvT1_,comdat
	.protected	_ZN7rocprim17ROCPRIM_400000_NS6detail17trampoline_kernelINS0_14default_configENS1_29reduce_by_key_config_selectorIyyN6thrust23THRUST_200600_302600_NS4plusIyEEEEZZNS1_33reduce_by_key_impl_wrapped_configILNS1_25lookback_scan_determinismE0ES3_S9_NS6_6detail15normal_iteratorINS6_10device_ptrIyEEEESG_SG_SG_PmS8_22is_equal_div_10_reduceIyEEE10hipError_tPvRmT2_T3_mT4_T5_T6_T7_T8_P12ihipStream_tbENKUlT_T0_E_clISt17integral_constantIbLb1EES10_IbLb0EEEEDaSW_SX_EUlSW_E_NS1_11comp_targetILNS1_3genE8ELNS1_11target_archE1030ELNS1_3gpuE2ELNS1_3repE0EEENS1_30default_config_static_selectorELNS0_4arch9wavefront6targetE0EEEvT1_ ; -- Begin function _ZN7rocprim17ROCPRIM_400000_NS6detail17trampoline_kernelINS0_14default_configENS1_29reduce_by_key_config_selectorIyyN6thrust23THRUST_200600_302600_NS4plusIyEEEEZZNS1_33reduce_by_key_impl_wrapped_configILNS1_25lookback_scan_determinismE0ES3_S9_NS6_6detail15normal_iteratorINS6_10device_ptrIyEEEESG_SG_SG_PmS8_22is_equal_div_10_reduceIyEEE10hipError_tPvRmT2_T3_mT4_T5_T6_T7_T8_P12ihipStream_tbENKUlT_T0_E_clISt17integral_constantIbLb1EES10_IbLb0EEEEDaSW_SX_EUlSW_E_NS1_11comp_targetILNS1_3genE8ELNS1_11target_archE1030ELNS1_3gpuE2ELNS1_3repE0EEENS1_30default_config_static_selectorELNS0_4arch9wavefront6targetE0EEEvT1_
	.globl	_ZN7rocprim17ROCPRIM_400000_NS6detail17trampoline_kernelINS0_14default_configENS1_29reduce_by_key_config_selectorIyyN6thrust23THRUST_200600_302600_NS4plusIyEEEEZZNS1_33reduce_by_key_impl_wrapped_configILNS1_25lookback_scan_determinismE0ES3_S9_NS6_6detail15normal_iteratorINS6_10device_ptrIyEEEESG_SG_SG_PmS8_22is_equal_div_10_reduceIyEEE10hipError_tPvRmT2_T3_mT4_T5_T6_T7_T8_P12ihipStream_tbENKUlT_T0_E_clISt17integral_constantIbLb1EES10_IbLb0EEEEDaSW_SX_EUlSW_E_NS1_11comp_targetILNS1_3genE8ELNS1_11target_archE1030ELNS1_3gpuE2ELNS1_3repE0EEENS1_30default_config_static_selectorELNS0_4arch9wavefront6targetE0EEEvT1_
	.p2align	8
	.type	_ZN7rocprim17ROCPRIM_400000_NS6detail17trampoline_kernelINS0_14default_configENS1_29reduce_by_key_config_selectorIyyN6thrust23THRUST_200600_302600_NS4plusIyEEEEZZNS1_33reduce_by_key_impl_wrapped_configILNS1_25lookback_scan_determinismE0ES3_S9_NS6_6detail15normal_iteratorINS6_10device_ptrIyEEEESG_SG_SG_PmS8_22is_equal_div_10_reduceIyEEE10hipError_tPvRmT2_T3_mT4_T5_T6_T7_T8_P12ihipStream_tbENKUlT_T0_E_clISt17integral_constantIbLb1EES10_IbLb0EEEEDaSW_SX_EUlSW_E_NS1_11comp_targetILNS1_3genE8ELNS1_11target_archE1030ELNS1_3gpuE2ELNS1_3repE0EEENS1_30default_config_static_selectorELNS0_4arch9wavefront6targetE0EEEvT1_,@function
_ZN7rocprim17ROCPRIM_400000_NS6detail17trampoline_kernelINS0_14default_configENS1_29reduce_by_key_config_selectorIyyN6thrust23THRUST_200600_302600_NS4plusIyEEEEZZNS1_33reduce_by_key_impl_wrapped_configILNS1_25lookback_scan_determinismE0ES3_S9_NS6_6detail15normal_iteratorINS6_10device_ptrIyEEEESG_SG_SG_PmS8_22is_equal_div_10_reduceIyEEE10hipError_tPvRmT2_T3_mT4_T5_T6_T7_T8_P12ihipStream_tbENKUlT_T0_E_clISt17integral_constantIbLb1EES10_IbLb0EEEEDaSW_SX_EUlSW_E_NS1_11comp_targetILNS1_3genE8ELNS1_11target_archE1030ELNS1_3gpuE2ELNS1_3repE0EEENS1_30default_config_static_selectorELNS0_4arch9wavefront6targetE0EEEvT1_: ; @_ZN7rocprim17ROCPRIM_400000_NS6detail17trampoline_kernelINS0_14default_configENS1_29reduce_by_key_config_selectorIyyN6thrust23THRUST_200600_302600_NS4plusIyEEEEZZNS1_33reduce_by_key_impl_wrapped_configILNS1_25lookback_scan_determinismE0ES3_S9_NS6_6detail15normal_iteratorINS6_10device_ptrIyEEEESG_SG_SG_PmS8_22is_equal_div_10_reduceIyEEE10hipError_tPvRmT2_T3_mT4_T5_T6_T7_T8_P12ihipStream_tbENKUlT_T0_E_clISt17integral_constantIbLb1EES10_IbLb0EEEEDaSW_SX_EUlSW_E_NS1_11comp_targetILNS1_3genE8ELNS1_11target_archE1030ELNS1_3gpuE2ELNS1_3repE0EEENS1_30default_config_static_selectorELNS0_4arch9wavefront6targetE0EEEvT1_
; %bb.0:
	.section	.rodata,"a",@progbits
	.p2align	6, 0x0
	.amdhsa_kernel _ZN7rocprim17ROCPRIM_400000_NS6detail17trampoline_kernelINS0_14default_configENS1_29reduce_by_key_config_selectorIyyN6thrust23THRUST_200600_302600_NS4plusIyEEEEZZNS1_33reduce_by_key_impl_wrapped_configILNS1_25lookback_scan_determinismE0ES3_S9_NS6_6detail15normal_iteratorINS6_10device_ptrIyEEEESG_SG_SG_PmS8_22is_equal_div_10_reduceIyEEE10hipError_tPvRmT2_T3_mT4_T5_T6_T7_T8_P12ihipStream_tbENKUlT_T0_E_clISt17integral_constantIbLb1EES10_IbLb0EEEEDaSW_SX_EUlSW_E_NS1_11comp_targetILNS1_3genE8ELNS1_11target_archE1030ELNS1_3gpuE2ELNS1_3repE0EEENS1_30default_config_static_selectorELNS0_4arch9wavefront6targetE0EEEvT1_
		.amdhsa_group_segment_fixed_size 0
		.amdhsa_private_segment_fixed_size 0
		.amdhsa_kernarg_size 136
		.amdhsa_user_sgpr_count 15
		.amdhsa_user_sgpr_dispatch_ptr 0
		.amdhsa_user_sgpr_queue_ptr 0
		.amdhsa_user_sgpr_kernarg_segment_ptr 1
		.amdhsa_user_sgpr_dispatch_id 0
		.amdhsa_user_sgpr_private_segment_size 0
		.amdhsa_wavefront_size32 1
		.amdhsa_uses_dynamic_stack 0
		.amdhsa_enable_private_segment 0
		.amdhsa_system_sgpr_workgroup_id_x 1
		.amdhsa_system_sgpr_workgroup_id_y 0
		.amdhsa_system_sgpr_workgroup_id_z 0
		.amdhsa_system_sgpr_workgroup_info 0
		.amdhsa_system_vgpr_workitem_id 0
		.amdhsa_next_free_vgpr 1
		.amdhsa_next_free_sgpr 1
		.amdhsa_reserve_vcc 0
		.amdhsa_float_round_mode_32 0
		.amdhsa_float_round_mode_16_64 0
		.amdhsa_float_denorm_mode_32 3
		.amdhsa_float_denorm_mode_16_64 3
		.amdhsa_dx10_clamp 1
		.amdhsa_ieee_mode 1
		.amdhsa_fp16_overflow 0
		.amdhsa_workgroup_processor_mode 1
		.amdhsa_memory_ordered 1
		.amdhsa_forward_progress 0
		.amdhsa_shared_vgpr_count 0
		.amdhsa_exception_fp_ieee_invalid_op 0
		.amdhsa_exception_fp_denorm_src 0
		.amdhsa_exception_fp_ieee_div_zero 0
		.amdhsa_exception_fp_ieee_overflow 0
		.amdhsa_exception_fp_ieee_underflow 0
		.amdhsa_exception_fp_ieee_inexact 0
		.amdhsa_exception_int_div_zero 0
	.end_amdhsa_kernel
	.section	.text._ZN7rocprim17ROCPRIM_400000_NS6detail17trampoline_kernelINS0_14default_configENS1_29reduce_by_key_config_selectorIyyN6thrust23THRUST_200600_302600_NS4plusIyEEEEZZNS1_33reduce_by_key_impl_wrapped_configILNS1_25lookback_scan_determinismE0ES3_S9_NS6_6detail15normal_iteratorINS6_10device_ptrIyEEEESG_SG_SG_PmS8_22is_equal_div_10_reduceIyEEE10hipError_tPvRmT2_T3_mT4_T5_T6_T7_T8_P12ihipStream_tbENKUlT_T0_E_clISt17integral_constantIbLb1EES10_IbLb0EEEEDaSW_SX_EUlSW_E_NS1_11comp_targetILNS1_3genE8ELNS1_11target_archE1030ELNS1_3gpuE2ELNS1_3repE0EEENS1_30default_config_static_selectorELNS0_4arch9wavefront6targetE0EEEvT1_,"axG",@progbits,_ZN7rocprim17ROCPRIM_400000_NS6detail17trampoline_kernelINS0_14default_configENS1_29reduce_by_key_config_selectorIyyN6thrust23THRUST_200600_302600_NS4plusIyEEEEZZNS1_33reduce_by_key_impl_wrapped_configILNS1_25lookback_scan_determinismE0ES3_S9_NS6_6detail15normal_iteratorINS6_10device_ptrIyEEEESG_SG_SG_PmS8_22is_equal_div_10_reduceIyEEE10hipError_tPvRmT2_T3_mT4_T5_T6_T7_T8_P12ihipStream_tbENKUlT_T0_E_clISt17integral_constantIbLb1EES10_IbLb0EEEEDaSW_SX_EUlSW_E_NS1_11comp_targetILNS1_3genE8ELNS1_11target_archE1030ELNS1_3gpuE2ELNS1_3repE0EEENS1_30default_config_static_selectorELNS0_4arch9wavefront6targetE0EEEvT1_,comdat
.Lfunc_end303:
	.size	_ZN7rocprim17ROCPRIM_400000_NS6detail17trampoline_kernelINS0_14default_configENS1_29reduce_by_key_config_selectorIyyN6thrust23THRUST_200600_302600_NS4plusIyEEEEZZNS1_33reduce_by_key_impl_wrapped_configILNS1_25lookback_scan_determinismE0ES3_S9_NS6_6detail15normal_iteratorINS6_10device_ptrIyEEEESG_SG_SG_PmS8_22is_equal_div_10_reduceIyEEE10hipError_tPvRmT2_T3_mT4_T5_T6_T7_T8_P12ihipStream_tbENKUlT_T0_E_clISt17integral_constantIbLb1EES10_IbLb0EEEEDaSW_SX_EUlSW_E_NS1_11comp_targetILNS1_3genE8ELNS1_11target_archE1030ELNS1_3gpuE2ELNS1_3repE0EEENS1_30default_config_static_selectorELNS0_4arch9wavefront6targetE0EEEvT1_, .Lfunc_end303-_ZN7rocprim17ROCPRIM_400000_NS6detail17trampoline_kernelINS0_14default_configENS1_29reduce_by_key_config_selectorIyyN6thrust23THRUST_200600_302600_NS4plusIyEEEEZZNS1_33reduce_by_key_impl_wrapped_configILNS1_25lookback_scan_determinismE0ES3_S9_NS6_6detail15normal_iteratorINS6_10device_ptrIyEEEESG_SG_SG_PmS8_22is_equal_div_10_reduceIyEEE10hipError_tPvRmT2_T3_mT4_T5_T6_T7_T8_P12ihipStream_tbENKUlT_T0_E_clISt17integral_constantIbLb1EES10_IbLb0EEEEDaSW_SX_EUlSW_E_NS1_11comp_targetILNS1_3genE8ELNS1_11target_archE1030ELNS1_3gpuE2ELNS1_3repE0EEENS1_30default_config_static_selectorELNS0_4arch9wavefront6targetE0EEEvT1_
                                        ; -- End function
	.section	.AMDGPU.csdata,"",@progbits
; Kernel info:
; codeLenInByte = 0
; NumSgprs: 0
; NumVgprs: 0
; ScratchSize: 0
; MemoryBound: 0
; FloatMode: 240
; IeeeMode: 1
; LDSByteSize: 0 bytes/workgroup (compile time only)
; SGPRBlocks: 0
; VGPRBlocks: 0
; NumSGPRsForWavesPerEU: 1
; NumVGPRsForWavesPerEU: 1
; Occupancy: 16
; WaveLimiterHint : 0
; COMPUTE_PGM_RSRC2:SCRATCH_EN: 0
; COMPUTE_PGM_RSRC2:USER_SGPR: 15
; COMPUTE_PGM_RSRC2:TRAP_HANDLER: 0
; COMPUTE_PGM_RSRC2:TGID_X_EN: 1
; COMPUTE_PGM_RSRC2:TGID_Y_EN: 0
; COMPUTE_PGM_RSRC2:TGID_Z_EN: 0
; COMPUTE_PGM_RSRC2:TIDIG_COMP_CNT: 0
	.section	.text._ZN7rocprim17ROCPRIM_400000_NS6detail17trampoline_kernelINS0_14default_configENS1_29reduce_by_key_config_selectorIyyN6thrust23THRUST_200600_302600_NS4plusIyEEEEZZNS1_33reduce_by_key_impl_wrapped_configILNS1_25lookback_scan_determinismE0ES3_S9_NS6_6detail15normal_iteratorINS6_10device_ptrIyEEEESG_SG_SG_PmS8_22is_equal_div_10_reduceIyEEE10hipError_tPvRmT2_T3_mT4_T5_T6_T7_T8_P12ihipStream_tbENKUlT_T0_E_clISt17integral_constantIbLb0EES10_IbLb1EEEEDaSW_SX_EUlSW_E_NS1_11comp_targetILNS1_3genE0ELNS1_11target_archE4294967295ELNS1_3gpuE0ELNS1_3repE0EEENS1_30default_config_static_selectorELNS0_4arch9wavefront6targetE0EEEvT1_,"axG",@progbits,_ZN7rocprim17ROCPRIM_400000_NS6detail17trampoline_kernelINS0_14default_configENS1_29reduce_by_key_config_selectorIyyN6thrust23THRUST_200600_302600_NS4plusIyEEEEZZNS1_33reduce_by_key_impl_wrapped_configILNS1_25lookback_scan_determinismE0ES3_S9_NS6_6detail15normal_iteratorINS6_10device_ptrIyEEEESG_SG_SG_PmS8_22is_equal_div_10_reduceIyEEE10hipError_tPvRmT2_T3_mT4_T5_T6_T7_T8_P12ihipStream_tbENKUlT_T0_E_clISt17integral_constantIbLb0EES10_IbLb1EEEEDaSW_SX_EUlSW_E_NS1_11comp_targetILNS1_3genE0ELNS1_11target_archE4294967295ELNS1_3gpuE0ELNS1_3repE0EEENS1_30default_config_static_selectorELNS0_4arch9wavefront6targetE0EEEvT1_,comdat
	.protected	_ZN7rocprim17ROCPRIM_400000_NS6detail17trampoline_kernelINS0_14default_configENS1_29reduce_by_key_config_selectorIyyN6thrust23THRUST_200600_302600_NS4plusIyEEEEZZNS1_33reduce_by_key_impl_wrapped_configILNS1_25lookback_scan_determinismE0ES3_S9_NS6_6detail15normal_iteratorINS6_10device_ptrIyEEEESG_SG_SG_PmS8_22is_equal_div_10_reduceIyEEE10hipError_tPvRmT2_T3_mT4_T5_T6_T7_T8_P12ihipStream_tbENKUlT_T0_E_clISt17integral_constantIbLb0EES10_IbLb1EEEEDaSW_SX_EUlSW_E_NS1_11comp_targetILNS1_3genE0ELNS1_11target_archE4294967295ELNS1_3gpuE0ELNS1_3repE0EEENS1_30default_config_static_selectorELNS0_4arch9wavefront6targetE0EEEvT1_ ; -- Begin function _ZN7rocprim17ROCPRIM_400000_NS6detail17trampoline_kernelINS0_14default_configENS1_29reduce_by_key_config_selectorIyyN6thrust23THRUST_200600_302600_NS4plusIyEEEEZZNS1_33reduce_by_key_impl_wrapped_configILNS1_25lookback_scan_determinismE0ES3_S9_NS6_6detail15normal_iteratorINS6_10device_ptrIyEEEESG_SG_SG_PmS8_22is_equal_div_10_reduceIyEEE10hipError_tPvRmT2_T3_mT4_T5_T6_T7_T8_P12ihipStream_tbENKUlT_T0_E_clISt17integral_constantIbLb0EES10_IbLb1EEEEDaSW_SX_EUlSW_E_NS1_11comp_targetILNS1_3genE0ELNS1_11target_archE4294967295ELNS1_3gpuE0ELNS1_3repE0EEENS1_30default_config_static_selectorELNS0_4arch9wavefront6targetE0EEEvT1_
	.globl	_ZN7rocprim17ROCPRIM_400000_NS6detail17trampoline_kernelINS0_14default_configENS1_29reduce_by_key_config_selectorIyyN6thrust23THRUST_200600_302600_NS4plusIyEEEEZZNS1_33reduce_by_key_impl_wrapped_configILNS1_25lookback_scan_determinismE0ES3_S9_NS6_6detail15normal_iteratorINS6_10device_ptrIyEEEESG_SG_SG_PmS8_22is_equal_div_10_reduceIyEEE10hipError_tPvRmT2_T3_mT4_T5_T6_T7_T8_P12ihipStream_tbENKUlT_T0_E_clISt17integral_constantIbLb0EES10_IbLb1EEEEDaSW_SX_EUlSW_E_NS1_11comp_targetILNS1_3genE0ELNS1_11target_archE4294967295ELNS1_3gpuE0ELNS1_3repE0EEENS1_30default_config_static_selectorELNS0_4arch9wavefront6targetE0EEEvT1_
	.p2align	8
	.type	_ZN7rocprim17ROCPRIM_400000_NS6detail17trampoline_kernelINS0_14default_configENS1_29reduce_by_key_config_selectorIyyN6thrust23THRUST_200600_302600_NS4plusIyEEEEZZNS1_33reduce_by_key_impl_wrapped_configILNS1_25lookback_scan_determinismE0ES3_S9_NS6_6detail15normal_iteratorINS6_10device_ptrIyEEEESG_SG_SG_PmS8_22is_equal_div_10_reduceIyEEE10hipError_tPvRmT2_T3_mT4_T5_T6_T7_T8_P12ihipStream_tbENKUlT_T0_E_clISt17integral_constantIbLb0EES10_IbLb1EEEEDaSW_SX_EUlSW_E_NS1_11comp_targetILNS1_3genE0ELNS1_11target_archE4294967295ELNS1_3gpuE0ELNS1_3repE0EEENS1_30default_config_static_selectorELNS0_4arch9wavefront6targetE0EEEvT1_,@function
_ZN7rocprim17ROCPRIM_400000_NS6detail17trampoline_kernelINS0_14default_configENS1_29reduce_by_key_config_selectorIyyN6thrust23THRUST_200600_302600_NS4plusIyEEEEZZNS1_33reduce_by_key_impl_wrapped_configILNS1_25lookback_scan_determinismE0ES3_S9_NS6_6detail15normal_iteratorINS6_10device_ptrIyEEEESG_SG_SG_PmS8_22is_equal_div_10_reduceIyEEE10hipError_tPvRmT2_T3_mT4_T5_T6_T7_T8_P12ihipStream_tbENKUlT_T0_E_clISt17integral_constantIbLb0EES10_IbLb1EEEEDaSW_SX_EUlSW_E_NS1_11comp_targetILNS1_3genE0ELNS1_11target_archE4294967295ELNS1_3gpuE0ELNS1_3repE0EEENS1_30default_config_static_selectorELNS0_4arch9wavefront6targetE0EEEvT1_: ; @_ZN7rocprim17ROCPRIM_400000_NS6detail17trampoline_kernelINS0_14default_configENS1_29reduce_by_key_config_selectorIyyN6thrust23THRUST_200600_302600_NS4plusIyEEEEZZNS1_33reduce_by_key_impl_wrapped_configILNS1_25lookback_scan_determinismE0ES3_S9_NS6_6detail15normal_iteratorINS6_10device_ptrIyEEEESG_SG_SG_PmS8_22is_equal_div_10_reduceIyEEE10hipError_tPvRmT2_T3_mT4_T5_T6_T7_T8_P12ihipStream_tbENKUlT_T0_E_clISt17integral_constantIbLb0EES10_IbLb1EEEEDaSW_SX_EUlSW_E_NS1_11comp_targetILNS1_3genE0ELNS1_11target_archE4294967295ELNS1_3gpuE0ELNS1_3repE0EEENS1_30default_config_static_selectorELNS0_4arch9wavefront6targetE0EEEvT1_
; %bb.0:
	.section	.rodata,"a",@progbits
	.p2align	6, 0x0
	.amdhsa_kernel _ZN7rocprim17ROCPRIM_400000_NS6detail17trampoline_kernelINS0_14default_configENS1_29reduce_by_key_config_selectorIyyN6thrust23THRUST_200600_302600_NS4plusIyEEEEZZNS1_33reduce_by_key_impl_wrapped_configILNS1_25lookback_scan_determinismE0ES3_S9_NS6_6detail15normal_iteratorINS6_10device_ptrIyEEEESG_SG_SG_PmS8_22is_equal_div_10_reduceIyEEE10hipError_tPvRmT2_T3_mT4_T5_T6_T7_T8_P12ihipStream_tbENKUlT_T0_E_clISt17integral_constantIbLb0EES10_IbLb1EEEEDaSW_SX_EUlSW_E_NS1_11comp_targetILNS1_3genE0ELNS1_11target_archE4294967295ELNS1_3gpuE0ELNS1_3repE0EEENS1_30default_config_static_selectorELNS0_4arch9wavefront6targetE0EEEvT1_
		.amdhsa_group_segment_fixed_size 0
		.amdhsa_private_segment_fixed_size 0
		.amdhsa_kernarg_size 136
		.amdhsa_user_sgpr_count 15
		.amdhsa_user_sgpr_dispatch_ptr 0
		.amdhsa_user_sgpr_queue_ptr 0
		.amdhsa_user_sgpr_kernarg_segment_ptr 1
		.amdhsa_user_sgpr_dispatch_id 0
		.amdhsa_user_sgpr_private_segment_size 0
		.amdhsa_wavefront_size32 1
		.amdhsa_uses_dynamic_stack 0
		.amdhsa_enable_private_segment 0
		.amdhsa_system_sgpr_workgroup_id_x 1
		.amdhsa_system_sgpr_workgroup_id_y 0
		.amdhsa_system_sgpr_workgroup_id_z 0
		.amdhsa_system_sgpr_workgroup_info 0
		.amdhsa_system_vgpr_workitem_id 0
		.amdhsa_next_free_vgpr 1
		.amdhsa_next_free_sgpr 1
		.amdhsa_reserve_vcc 0
		.amdhsa_float_round_mode_32 0
		.amdhsa_float_round_mode_16_64 0
		.amdhsa_float_denorm_mode_32 3
		.amdhsa_float_denorm_mode_16_64 3
		.amdhsa_dx10_clamp 1
		.amdhsa_ieee_mode 1
		.amdhsa_fp16_overflow 0
		.amdhsa_workgroup_processor_mode 1
		.amdhsa_memory_ordered 1
		.amdhsa_forward_progress 0
		.amdhsa_shared_vgpr_count 0
		.amdhsa_exception_fp_ieee_invalid_op 0
		.amdhsa_exception_fp_denorm_src 0
		.amdhsa_exception_fp_ieee_div_zero 0
		.amdhsa_exception_fp_ieee_overflow 0
		.amdhsa_exception_fp_ieee_underflow 0
		.amdhsa_exception_fp_ieee_inexact 0
		.amdhsa_exception_int_div_zero 0
	.end_amdhsa_kernel
	.section	.text._ZN7rocprim17ROCPRIM_400000_NS6detail17trampoline_kernelINS0_14default_configENS1_29reduce_by_key_config_selectorIyyN6thrust23THRUST_200600_302600_NS4plusIyEEEEZZNS1_33reduce_by_key_impl_wrapped_configILNS1_25lookback_scan_determinismE0ES3_S9_NS6_6detail15normal_iteratorINS6_10device_ptrIyEEEESG_SG_SG_PmS8_22is_equal_div_10_reduceIyEEE10hipError_tPvRmT2_T3_mT4_T5_T6_T7_T8_P12ihipStream_tbENKUlT_T0_E_clISt17integral_constantIbLb0EES10_IbLb1EEEEDaSW_SX_EUlSW_E_NS1_11comp_targetILNS1_3genE0ELNS1_11target_archE4294967295ELNS1_3gpuE0ELNS1_3repE0EEENS1_30default_config_static_selectorELNS0_4arch9wavefront6targetE0EEEvT1_,"axG",@progbits,_ZN7rocprim17ROCPRIM_400000_NS6detail17trampoline_kernelINS0_14default_configENS1_29reduce_by_key_config_selectorIyyN6thrust23THRUST_200600_302600_NS4plusIyEEEEZZNS1_33reduce_by_key_impl_wrapped_configILNS1_25lookback_scan_determinismE0ES3_S9_NS6_6detail15normal_iteratorINS6_10device_ptrIyEEEESG_SG_SG_PmS8_22is_equal_div_10_reduceIyEEE10hipError_tPvRmT2_T3_mT4_T5_T6_T7_T8_P12ihipStream_tbENKUlT_T0_E_clISt17integral_constantIbLb0EES10_IbLb1EEEEDaSW_SX_EUlSW_E_NS1_11comp_targetILNS1_3genE0ELNS1_11target_archE4294967295ELNS1_3gpuE0ELNS1_3repE0EEENS1_30default_config_static_selectorELNS0_4arch9wavefront6targetE0EEEvT1_,comdat
.Lfunc_end304:
	.size	_ZN7rocprim17ROCPRIM_400000_NS6detail17trampoline_kernelINS0_14default_configENS1_29reduce_by_key_config_selectorIyyN6thrust23THRUST_200600_302600_NS4plusIyEEEEZZNS1_33reduce_by_key_impl_wrapped_configILNS1_25lookback_scan_determinismE0ES3_S9_NS6_6detail15normal_iteratorINS6_10device_ptrIyEEEESG_SG_SG_PmS8_22is_equal_div_10_reduceIyEEE10hipError_tPvRmT2_T3_mT4_T5_T6_T7_T8_P12ihipStream_tbENKUlT_T0_E_clISt17integral_constantIbLb0EES10_IbLb1EEEEDaSW_SX_EUlSW_E_NS1_11comp_targetILNS1_3genE0ELNS1_11target_archE4294967295ELNS1_3gpuE0ELNS1_3repE0EEENS1_30default_config_static_selectorELNS0_4arch9wavefront6targetE0EEEvT1_, .Lfunc_end304-_ZN7rocprim17ROCPRIM_400000_NS6detail17trampoline_kernelINS0_14default_configENS1_29reduce_by_key_config_selectorIyyN6thrust23THRUST_200600_302600_NS4plusIyEEEEZZNS1_33reduce_by_key_impl_wrapped_configILNS1_25lookback_scan_determinismE0ES3_S9_NS6_6detail15normal_iteratorINS6_10device_ptrIyEEEESG_SG_SG_PmS8_22is_equal_div_10_reduceIyEEE10hipError_tPvRmT2_T3_mT4_T5_T6_T7_T8_P12ihipStream_tbENKUlT_T0_E_clISt17integral_constantIbLb0EES10_IbLb1EEEEDaSW_SX_EUlSW_E_NS1_11comp_targetILNS1_3genE0ELNS1_11target_archE4294967295ELNS1_3gpuE0ELNS1_3repE0EEENS1_30default_config_static_selectorELNS0_4arch9wavefront6targetE0EEEvT1_
                                        ; -- End function
	.section	.AMDGPU.csdata,"",@progbits
; Kernel info:
; codeLenInByte = 0
; NumSgprs: 0
; NumVgprs: 0
; ScratchSize: 0
; MemoryBound: 0
; FloatMode: 240
; IeeeMode: 1
; LDSByteSize: 0 bytes/workgroup (compile time only)
; SGPRBlocks: 0
; VGPRBlocks: 0
; NumSGPRsForWavesPerEU: 1
; NumVGPRsForWavesPerEU: 1
; Occupancy: 16
; WaveLimiterHint : 0
; COMPUTE_PGM_RSRC2:SCRATCH_EN: 0
; COMPUTE_PGM_RSRC2:USER_SGPR: 15
; COMPUTE_PGM_RSRC2:TRAP_HANDLER: 0
; COMPUTE_PGM_RSRC2:TGID_X_EN: 1
; COMPUTE_PGM_RSRC2:TGID_Y_EN: 0
; COMPUTE_PGM_RSRC2:TGID_Z_EN: 0
; COMPUTE_PGM_RSRC2:TIDIG_COMP_CNT: 0
	.section	.text._ZN7rocprim17ROCPRIM_400000_NS6detail17trampoline_kernelINS0_14default_configENS1_29reduce_by_key_config_selectorIyyN6thrust23THRUST_200600_302600_NS4plusIyEEEEZZNS1_33reduce_by_key_impl_wrapped_configILNS1_25lookback_scan_determinismE0ES3_S9_NS6_6detail15normal_iteratorINS6_10device_ptrIyEEEESG_SG_SG_PmS8_22is_equal_div_10_reduceIyEEE10hipError_tPvRmT2_T3_mT4_T5_T6_T7_T8_P12ihipStream_tbENKUlT_T0_E_clISt17integral_constantIbLb0EES10_IbLb1EEEEDaSW_SX_EUlSW_E_NS1_11comp_targetILNS1_3genE5ELNS1_11target_archE942ELNS1_3gpuE9ELNS1_3repE0EEENS1_30default_config_static_selectorELNS0_4arch9wavefront6targetE0EEEvT1_,"axG",@progbits,_ZN7rocprim17ROCPRIM_400000_NS6detail17trampoline_kernelINS0_14default_configENS1_29reduce_by_key_config_selectorIyyN6thrust23THRUST_200600_302600_NS4plusIyEEEEZZNS1_33reduce_by_key_impl_wrapped_configILNS1_25lookback_scan_determinismE0ES3_S9_NS6_6detail15normal_iteratorINS6_10device_ptrIyEEEESG_SG_SG_PmS8_22is_equal_div_10_reduceIyEEE10hipError_tPvRmT2_T3_mT4_T5_T6_T7_T8_P12ihipStream_tbENKUlT_T0_E_clISt17integral_constantIbLb0EES10_IbLb1EEEEDaSW_SX_EUlSW_E_NS1_11comp_targetILNS1_3genE5ELNS1_11target_archE942ELNS1_3gpuE9ELNS1_3repE0EEENS1_30default_config_static_selectorELNS0_4arch9wavefront6targetE0EEEvT1_,comdat
	.protected	_ZN7rocprim17ROCPRIM_400000_NS6detail17trampoline_kernelINS0_14default_configENS1_29reduce_by_key_config_selectorIyyN6thrust23THRUST_200600_302600_NS4plusIyEEEEZZNS1_33reduce_by_key_impl_wrapped_configILNS1_25lookback_scan_determinismE0ES3_S9_NS6_6detail15normal_iteratorINS6_10device_ptrIyEEEESG_SG_SG_PmS8_22is_equal_div_10_reduceIyEEE10hipError_tPvRmT2_T3_mT4_T5_T6_T7_T8_P12ihipStream_tbENKUlT_T0_E_clISt17integral_constantIbLb0EES10_IbLb1EEEEDaSW_SX_EUlSW_E_NS1_11comp_targetILNS1_3genE5ELNS1_11target_archE942ELNS1_3gpuE9ELNS1_3repE0EEENS1_30default_config_static_selectorELNS0_4arch9wavefront6targetE0EEEvT1_ ; -- Begin function _ZN7rocprim17ROCPRIM_400000_NS6detail17trampoline_kernelINS0_14default_configENS1_29reduce_by_key_config_selectorIyyN6thrust23THRUST_200600_302600_NS4plusIyEEEEZZNS1_33reduce_by_key_impl_wrapped_configILNS1_25lookback_scan_determinismE0ES3_S9_NS6_6detail15normal_iteratorINS6_10device_ptrIyEEEESG_SG_SG_PmS8_22is_equal_div_10_reduceIyEEE10hipError_tPvRmT2_T3_mT4_T5_T6_T7_T8_P12ihipStream_tbENKUlT_T0_E_clISt17integral_constantIbLb0EES10_IbLb1EEEEDaSW_SX_EUlSW_E_NS1_11comp_targetILNS1_3genE5ELNS1_11target_archE942ELNS1_3gpuE9ELNS1_3repE0EEENS1_30default_config_static_selectorELNS0_4arch9wavefront6targetE0EEEvT1_
	.globl	_ZN7rocprim17ROCPRIM_400000_NS6detail17trampoline_kernelINS0_14default_configENS1_29reduce_by_key_config_selectorIyyN6thrust23THRUST_200600_302600_NS4plusIyEEEEZZNS1_33reduce_by_key_impl_wrapped_configILNS1_25lookback_scan_determinismE0ES3_S9_NS6_6detail15normal_iteratorINS6_10device_ptrIyEEEESG_SG_SG_PmS8_22is_equal_div_10_reduceIyEEE10hipError_tPvRmT2_T3_mT4_T5_T6_T7_T8_P12ihipStream_tbENKUlT_T0_E_clISt17integral_constantIbLb0EES10_IbLb1EEEEDaSW_SX_EUlSW_E_NS1_11comp_targetILNS1_3genE5ELNS1_11target_archE942ELNS1_3gpuE9ELNS1_3repE0EEENS1_30default_config_static_selectorELNS0_4arch9wavefront6targetE0EEEvT1_
	.p2align	8
	.type	_ZN7rocprim17ROCPRIM_400000_NS6detail17trampoline_kernelINS0_14default_configENS1_29reduce_by_key_config_selectorIyyN6thrust23THRUST_200600_302600_NS4plusIyEEEEZZNS1_33reduce_by_key_impl_wrapped_configILNS1_25lookback_scan_determinismE0ES3_S9_NS6_6detail15normal_iteratorINS6_10device_ptrIyEEEESG_SG_SG_PmS8_22is_equal_div_10_reduceIyEEE10hipError_tPvRmT2_T3_mT4_T5_T6_T7_T8_P12ihipStream_tbENKUlT_T0_E_clISt17integral_constantIbLb0EES10_IbLb1EEEEDaSW_SX_EUlSW_E_NS1_11comp_targetILNS1_3genE5ELNS1_11target_archE942ELNS1_3gpuE9ELNS1_3repE0EEENS1_30default_config_static_selectorELNS0_4arch9wavefront6targetE0EEEvT1_,@function
_ZN7rocprim17ROCPRIM_400000_NS6detail17trampoline_kernelINS0_14default_configENS1_29reduce_by_key_config_selectorIyyN6thrust23THRUST_200600_302600_NS4plusIyEEEEZZNS1_33reduce_by_key_impl_wrapped_configILNS1_25lookback_scan_determinismE0ES3_S9_NS6_6detail15normal_iteratorINS6_10device_ptrIyEEEESG_SG_SG_PmS8_22is_equal_div_10_reduceIyEEE10hipError_tPvRmT2_T3_mT4_T5_T6_T7_T8_P12ihipStream_tbENKUlT_T0_E_clISt17integral_constantIbLb0EES10_IbLb1EEEEDaSW_SX_EUlSW_E_NS1_11comp_targetILNS1_3genE5ELNS1_11target_archE942ELNS1_3gpuE9ELNS1_3repE0EEENS1_30default_config_static_selectorELNS0_4arch9wavefront6targetE0EEEvT1_: ; @_ZN7rocprim17ROCPRIM_400000_NS6detail17trampoline_kernelINS0_14default_configENS1_29reduce_by_key_config_selectorIyyN6thrust23THRUST_200600_302600_NS4plusIyEEEEZZNS1_33reduce_by_key_impl_wrapped_configILNS1_25lookback_scan_determinismE0ES3_S9_NS6_6detail15normal_iteratorINS6_10device_ptrIyEEEESG_SG_SG_PmS8_22is_equal_div_10_reduceIyEEE10hipError_tPvRmT2_T3_mT4_T5_T6_T7_T8_P12ihipStream_tbENKUlT_T0_E_clISt17integral_constantIbLb0EES10_IbLb1EEEEDaSW_SX_EUlSW_E_NS1_11comp_targetILNS1_3genE5ELNS1_11target_archE942ELNS1_3gpuE9ELNS1_3repE0EEENS1_30default_config_static_selectorELNS0_4arch9wavefront6targetE0EEEvT1_
; %bb.0:
	.section	.rodata,"a",@progbits
	.p2align	6, 0x0
	.amdhsa_kernel _ZN7rocprim17ROCPRIM_400000_NS6detail17trampoline_kernelINS0_14default_configENS1_29reduce_by_key_config_selectorIyyN6thrust23THRUST_200600_302600_NS4plusIyEEEEZZNS1_33reduce_by_key_impl_wrapped_configILNS1_25lookback_scan_determinismE0ES3_S9_NS6_6detail15normal_iteratorINS6_10device_ptrIyEEEESG_SG_SG_PmS8_22is_equal_div_10_reduceIyEEE10hipError_tPvRmT2_T3_mT4_T5_T6_T7_T8_P12ihipStream_tbENKUlT_T0_E_clISt17integral_constantIbLb0EES10_IbLb1EEEEDaSW_SX_EUlSW_E_NS1_11comp_targetILNS1_3genE5ELNS1_11target_archE942ELNS1_3gpuE9ELNS1_3repE0EEENS1_30default_config_static_selectorELNS0_4arch9wavefront6targetE0EEEvT1_
		.amdhsa_group_segment_fixed_size 0
		.amdhsa_private_segment_fixed_size 0
		.amdhsa_kernarg_size 136
		.amdhsa_user_sgpr_count 15
		.amdhsa_user_sgpr_dispatch_ptr 0
		.amdhsa_user_sgpr_queue_ptr 0
		.amdhsa_user_sgpr_kernarg_segment_ptr 1
		.amdhsa_user_sgpr_dispatch_id 0
		.amdhsa_user_sgpr_private_segment_size 0
		.amdhsa_wavefront_size32 1
		.amdhsa_uses_dynamic_stack 0
		.amdhsa_enable_private_segment 0
		.amdhsa_system_sgpr_workgroup_id_x 1
		.amdhsa_system_sgpr_workgroup_id_y 0
		.amdhsa_system_sgpr_workgroup_id_z 0
		.amdhsa_system_sgpr_workgroup_info 0
		.amdhsa_system_vgpr_workitem_id 0
		.amdhsa_next_free_vgpr 1
		.amdhsa_next_free_sgpr 1
		.amdhsa_reserve_vcc 0
		.amdhsa_float_round_mode_32 0
		.amdhsa_float_round_mode_16_64 0
		.amdhsa_float_denorm_mode_32 3
		.amdhsa_float_denorm_mode_16_64 3
		.amdhsa_dx10_clamp 1
		.amdhsa_ieee_mode 1
		.amdhsa_fp16_overflow 0
		.amdhsa_workgroup_processor_mode 1
		.amdhsa_memory_ordered 1
		.amdhsa_forward_progress 0
		.amdhsa_shared_vgpr_count 0
		.amdhsa_exception_fp_ieee_invalid_op 0
		.amdhsa_exception_fp_denorm_src 0
		.amdhsa_exception_fp_ieee_div_zero 0
		.amdhsa_exception_fp_ieee_overflow 0
		.amdhsa_exception_fp_ieee_underflow 0
		.amdhsa_exception_fp_ieee_inexact 0
		.amdhsa_exception_int_div_zero 0
	.end_amdhsa_kernel
	.section	.text._ZN7rocprim17ROCPRIM_400000_NS6detail17trampoline_kernelINS0_14default_configENS1_29reduce_by_key_config_selectorIyyN6thrust23THRUST_200600_302600_NS4plusIyEEEEZZNS1_33reduce_by_key_impl_wrapped_configILNS1_25lookback_scan_determinismE0ES3_S9_NS6_6detail15normal_iteratorINS6_10device_ptrIyEEEESG_SG_SG_PmS8_22is_equal_div_10_reduceIyEEE10hipError_tPvRmT2_T3_mT4_T5_T6_T7_T8_P12ihipStream_tbENKUlT_T0_E_clISt17integral_constantIbLb0EES10_IbLb1EEEEDaSW_SX_EUlSW_E_NS1_11comp_targetILNS1_3genE5ELNS1_11target_archE942ELNS1_3gpuE9ELNS1_3repE0EEENS1_30default_config_static_selectorELNS0_4arch9wavefront6targetE0EEEvT1_,"axG",@progbits,_ZN7rocprim17ROCPRIM_400000_NS6detail17trampoline_kernelINS0_14default_configENS1_29reduce_by_key_config_selectorIyyN6thrust23THRUST_200600_302600_NS4plusIyEEEEZZNS1_33reduce_by_key_impl_wrapped_configILNS1_25lookback_scan_determinismE0ES3_S9_NS6_6detail15normal_iteratorINS6_10device_ptrIyEEEESG_SG_SG_PmS8_22is_equal_div_10_reduceIyEEE10hipError_tPvRmT2_T3_mT4_T5_T6_T7_T8_P12ihipStream_tbENKUlT_T0_E_clISt17integral_constantIbLb0EES10_IbLb1EEEEDaSW_SX_EUlSW_E_NS1_11comp_targetILNS1_3genE5ELNS1_11target_archE942ELNS1_3gpuE9ELNS1_3repE0EEENS1_30default_config_static_selectorELNS0_4arch9wavefront6targetE0EEEvT1_,comdat
.Lfunc_end305:
	.size	_ZN7rocprim17ROCPRIM_400000_NS6detail17trampoline_kernelINS0_14default_configENS1_29reduce_by_key_config_selectorIyyN6thrust23THRUST_200600_302600_NS4plusIyEEEEZZNS1_33reduce_by_key_impl_wrapped_configILNS1_25lookback_scan_determinismE0ES3_S9_NS6_6detail15normal_iteratorINS6_10device_ptrIyEEEESG_SG_SG_PmS8_22is_equal_div_10_reduceIyEEE10hipError_tPvRmT2_T3_mT4_T5_T6_T7_T8_P12ihipStream_tbENKUlT_T0_E_clISt17integral_constantIbLb0EES10_IbLb1EEEEDaSW_SX_EUlSW_E_NS1_11comp_targetILNS1_3genE5ELNS1_11target_archE942ELNS1_3gpuE9ELNS1_3repE0EEENS1_30default_config_static_selectorELNS0_4arch9wavefront6targetE0EEEvT1_, .Lfunc_end305-_ZN7rocprim17ROCPRIM_400000_NS6detail17trampoline_kernelINS0_14default_configENS1_29reduce_by_key_config_selectorIyyN6thrust23THRUST_200600_302600_NS4plusIyEEEEZZNS1_33reduce_by_key_impl_wrapped_configILNS1_25lookback_scan_determinismE0ES3_S9_NS6_6detail15normal_iteratorINS6_10device_ptrIyEEEESG_SG_SG_PmS8_22is_equal_div_10_reduceIyEEE10hipError_tPvRmT2_T3_mT4_T5_T6_T7_T8_P12ihipStream_tbENKUlT_T0_E_clISt17integral_constantIbLb0EES10_IbLb1EEEEDaSW_SX_EUlSW_E_NS1_11comp_targetILNS1_3genE5ELNS1_11target_archE942ELNS1_3gpuE9ELNS1_3repE0EEENS1_30default_config_static_selectorELNS0_4arch9wavefront6targetE0EEEvT1_
                                        ; -- End function
	.section	.AMDGPU.csdata,"",@progbits
; Kernel info:
; codeLenInByte = 0
; NumSgprs: 0
; NumVgprs: 0
; ScratchSize: 0
; MemoryBound: 0
; FloatMode: 240
; IeeeMode: 1
; LDSByteSize: 0 bytes/workgroup (compile time only)
; SGPRBlocks: 0
; VGPRBlocks: 0
; NumSGPRsForWavesPerEU: 1
; NumVGPRsForWavesPerEU: 1
; Occupancy: 16
; WaveLimiterHint : 0
; COMPUTE_PGM_RSRC2:SCRATCH_EN: 0
; COMPUTE_PGM_RSRC2:USER_SGPR: 15
; COMPUTE_PGM_RSRC2:TRAP_HANDLER: 0
; COMPUTE_PGM_RSRC2:TGID_X_EN: 1
; COMPUTE_PGM_RSRC2:TGID_Y_EN: 0
; COMPUTE_PGM_RSRC2:TGID_Z_EN: 0
; COMPUTE_PGM_RSRC2:TIDIG_COMP_CNT: 0
	.section	.text._ZN7rocprim17ROCPRIM_400000_NS6detail17trampoline_kernelINS0_14default_configENS1_29reduce_by_key_config_selectorIyyN6thrust23THRUST_200600_302600_NS4plusIyEEEEZZNS1_33reduce_by_key_impl_wrapped_configILNS1_25lookback_scan_determinismE0ES3_S9_NS6_6detail15normal_iteratorINS6_10device_ptrIyEEEESG_SG_SG_PmS8_22is_equal_div_10_reduceIyEEE10hipError_tPvRmT2_T3_mT4_T5_T6_T7_T8_P12ihipStream_tbENKUlT_T0_E_clISt17integral_constantIbLb0EES10_IbLb1EEEEDaSW_SX_EUlSW_E_NS1_11comp_targetILNS1_3genE4ELNS1_11target_archE910ELNS1_3gpuE8ELNS1_3repE0EEENS1_30default_config_static_selectorELNS0_4arch9wavefront6targetE0EEEvT1_,"axG",@progbits,_ZN7rocprim17ROCPRIM_400000_NS6detail17trampoline_kernelINS0_14default_configENS1_29reduce_by_key_config_selectorIyyN6thrust23THRUST_200600_302600_NS4plusIyEEEEZZNS1_33reduce_by_key_impl_wrapped_configILNS1_25lookback_scan_determinismE0ES3_S9_NS6_6detail15normal_iteratorINS6_10device_ptrIyEEEESG_SG_SG_PmS8_22is_equal_div_10_reduceIyEEE10hipError_tPvRmT2_T3_mT4_T5_T6_T7_T8_P12ihipStream_tbENKUlT_T0_E_clISt17integral_constantIbLb0EES10_IbLb1EEEEDaSW_SX_EUlSW_E_NS1_11comp_targetILNS1_3genE4ELNS1_11target_archE910ELNS1_3gpuE8ELNS1_3repE0EEENS1_30default_config_static_selectorELNS0_4arch9wavefront6targetE0EEEvT1_,comdat
	.protected	_ZN7rocprim17ROCPRIM_400000_NS6detail17trampoline_kernelINS0_14default_configENS1_29reduce_by_key_config_selectorIyyN6thrust23THRUST_200600_302600_NS4plusIyEEEEZZNS1_33reduce_by_key_impl_wrapped_configILNS1_25lookback_scan_determinismE0ES3_S9_NS6_6detail15normal_iteratorINS6_10device_ptrIyEEEESG_SG_SG_PmS8_22is_equal_div_10_reduceIyEEE10hipError_tPvRmT2_T3_mT4_T5_T6_T7_T8_P12ihipStream_tbENKUlT_T0_E_clISt17integral_constantIbLb0EES10_IbLb1EEEEDaSW_SX_EUlSW_E_NS1_11comp_targetILNS1_3genE4ELNS1_11target_archE910ELNS1_3gpuE8ELNS1_3repE0EEENS1_30default_config_static_selectorELNS0_4arch9wavefront6targetE0EEEvT1_ ; -- Begin function _ZN7rocprim17ROCPRIM_400000_NS6detail17trampoline_kernelINS0_14default_configENS1_29reduce_by_key_config_selectorIyyN6thrust23THRUST_200600_302600_NS4plusIyEEEEZZNS1_33reduce_by_key_impl_wrapped_configILNS1_25lookback_scan_determinismE0ES3_S9_NS6_6detail15normal_iteratorINS6_10device_ptrIyEEEESG_SG_SG_PmS8_22is_equal_div_10_reduceIyEEE10hipError_tPvRmT2_T3_mT4_T5_T6_T7_T8_P12ihipStream_tbENKUlT_T0_E_clISt17integral_constantIbLb0EES10_IbLb1EEEEDaSW_SX_EUlSW_E_NS1_11comp_targetILNS1_3genE4ELNS1_11target_archE910ELNS1_3gpuE8ELNS1_3repE0EEENS1_30default_config_static_selectorELNS0_4arch9wavefront6targetE0EEEvT1_
	.globl	_ZN7rocprim17ROCPRIM_400000_NS6detail17trampoline_kernelINS0_14default_configENS1_29reduce_by_key_config_selectorIyyN6thrust23THRUST_200600_302600_NS4plusIyEEEEZZNS1_33reduce_by_key_impl_wrapped_configILNS1_25lookback_scan_determinismE0ES3_S9_NS6_6detail15normal_iteratorINS6_10device_ptrIyEEEESG_SG_SG_PmS8_22is_equal_div_10_reduceIyEEE10hipError_tPvRmT2_T3_mT4_T5_T6_T7_T8_P12ihipStream_tbENKUlT_T0_E_clISt17integral_constantIbLb0EES10_IbLb1EEEEDaSW_SX_EUlSW_E_NS1_11comp_targetILNS1_3genE4ELNS1_11target_archE910ELNS1_3gpuE8ELNS1_3repE0EEENS1_30default_config_static_selectorELNS0_4arch9wavefront6targetE0EEEvT1_
	.p2align	8
	.type	_ZN7rocprim17ROCPRIM_400000_NS6detail17trampoline_kernelINS0_14default_configENS1_29reduce_by_key_config_selectorIyyN6thrust23THRUST_200600_302600_NS4plusIyEEEEZZNS1_33reduce_by_key_impl_wrapped_configILNS1_25lookback_scan_determinismE0ES3_S9_NS6_6detail15normal_iteratorINS6_10device_ptrIyEEEESG_SG_SG_PmS8_22is_equal_div_10_reduceIyEEE10hipError_tPvRmT2_T3_mT4_T5_T6_T7_T8_P12ihipStream_tbENKUlT_T0_E_clISt17integral_constantIbLb0EES10_IbLb1EEEEDaSW_SX_EUlSW_E_NS1_11comp_targetILNS1_3genE4ELNS1_11target_archE910ELNS1_3gpuE8ELNS1_3repE0EEENS1_30default_config_static_selectorELNS0_4arch9wavefront6targetE0EEEvT1_,@function
_ZN7rocprim17ROCPRIM_400000_NS6detail17trampoline_kernelINS0_14default_configENS1_29reduce_by_key_config_selectorIyyN6thrust23THRUST_200600_302600_NS4plusIyEEEEZZNS1_33reduce_by_key_impl_wrapped_configILNS1_25lookback_scan_determinismE0ES3_S9_NS6_6detail15normal_iteratorINS6_10device_ptrIyEEEESG_SG_SG_PmS8_22is_equal_div_10_reduceIyEEE10hipError_tPvRmT2_T3_mT4_T5_T6_T7_T8_P12ihipStream_tbENKUlT_T0_E_clISt17integral_constantIbLb0EES10_IbLb1EEEEDaSW_SX_EUlSW_E_NS1_11comp_targetILNS1_3genE4ELNS1_11target_archE910ELNS1_3gpuE8ELNS1_3repE0EEENS1_30default_config_static_selectorELNS0_4arch9wavefront6targetE0EEEvT1_: ; @_ZN7rocprim17ROCPRIM_400000_NS6detail17trampoline_kernelINS0_14default_configENS1_29reduce_by_key_config_selectorIyyN6thrust23THRUST_200600_302600_NS4plusIyEEEEZZNS1_33reduce_by_key_impl_wrapped_configILNS1_25lookback_scan_determinismE0ES3_S9_NS6_6detail15normal_iteratorINS6_10device_ptrIyEEEESG_SG_SG_PmS8_22is_equal_div_10_reduceIyEEE10hipError_tPvRmT2_T3_mT4_T5_T6_T7_T8_P12ihipStream_tbENKUlT_T0_E_clISt17integral_constantIbLb0EES10_IbLb1EEEEDaSW_SX_EUlSW_E_NS1_11comp_targetILNS1_3genE4ELNS1_11target_archE910ELNS1_3gpuE8ELNS1_3repE0EEENS1_30default_config_static_selectorELNS0_4arch9wavefront6targetE0EEEvT1_
; %bb.0:
	.section	.rodata,"a",@progbits
	.p2align	6, 0x0
	.amdhsa_kernel _ZN7rocprim17ROCPRIM_400000_NS6detail17trampoline_kernelINS0_14default_configENS1_29reduce_by_key_config_selectorIyyN6thrust23THRUST_200600_302600_NS4plusIyEEEEZZNS1_33reduce_by_key_impl_wrapped_configILNS1_25lookback_scan_determinismE0ES3_S9_NS6_6detail15normal_iteratorINS6_10device_ptrIyEEEESG_SG_SG_PmS8_22is_equal_div_10_reduceIyEEE10hipError_tPvRmT2_T3_mT4_T5_T6_T7_T8_P12ihipStream_tbENKUlT_T0_E_clISt17integral_constantIbLb0EES10_IbLb1EEEEDaSW_SX_EUlSW_E_NS1_11comp_targetILNS1_3genE4ELNS1_11target_archE910ELNS1_3gpuE8ELNS1_3repE0EEENS1_30default_config_static_selectorELNS0_4arch9wavefront6targetE0EEEvT1_
		.amdhsa_group_segment_fixed_size 0
		.amdhsa_private_segment_fixed_size 0
		.amdhsa_kernarg_size 136
		.amdhsa_user_sgpr_count 15
		.amdhsa_user_sgpr_dispatch_ptr 0
		.amdhsa_user_sgpr_queue_ptr 0
		.amdhsa_user_sgpr_kernarg_segment_ptr 1
		.amdhsa_user_sgpr_dispatch_id 0
		.amdhsa_user_sgpr_private_segment_size 0
		.amdhsa_wavefront_size32 1
		.amdhsa_uses_dynamic_stack 0
		.amdhsa_enable_private_segment 0
		.amdhsa_system_sgpr_workgroup_id_x 1
		.amdhsa_system_sgpr_workgroup_id_y 0
		.amdhsa_system_sgpr_workgroup_id_z 0
		.amdhsa_system_sgpr_workgroup_info 0
		.amdhsa_system_vgpr_workitem_id 0
		.amdhsa_next_free_vgpr 1
		.amdhsa_next_free_sgpr 1
		.amdhsa_reserve_vcc 0
		.amdhsa_float_round_mode_32 0
		.amdhsa_float_round_mode_16_64 0
		.amdhsa_float_denorm_mode_32 3
		.amdhsa_float_denorm_mode_16_64 3
		.amdhsa_dx10_clamp 1
		.amdhsa_ieee_mode 1
		.amdhsa_fp16_overflow 0
		.amdhsa_workgroup_processor_mode 1
		.amdhsa_memory_ordered 1
		.amdhsa_forward_progress 0
		.amdhsa_shared_vgpr_count 0
		.amdhsa_exception_fp_ieee_invalid_op 0
		.amdhsa_exception_fp_denorm_src 0
		.amdhsa_exception_fp_ieee_div_zero 0
		.amdhsa_exception_fp_ieee_overflow 0
		.amdhsa_exception_fp_ieee_underflow 0
		.amdhsa_exception_fp_ieee_inexact 0
		.amdhsa_exception_int_div_zero 0
	.end_amdhsa_kernel
	.section	.text._ZN7rocprim17ROCPRIM_400000_NS6detail17trampoline_kernelINS0_14default_configENS1_29reduce_by_key_config_selectorIyyN6thrust23THRUST_200600_302600_NS4plusIyEEEEZZNS1_33reduce_by_key_impl_wrapped_configILNS1_25lookback_scan_determinismE0ES3_S9_NS6_6detail15normal_iteratorINS6_10device_ptrIyEEEESG_SG_SG_PmS8_22is_equal_div_10_reduceIyEEE10hipError_tPvRmT2_T3_mT4_T5_T6_T7_T8_P12ihipStream_tbENKUlT_T0_E_clISt17integral_constantIbLb0EES10_IbLb1EEEEDaSW_SX_EUlSW_E_NS1_11comp_targetILNS1_3genE4ELNS1_11target_archE910ELNS1_3gpuE8ELNS1_3repE0EEENS1_30default_config_static_selectorELNS0_4arch9wavefront6targetE0EEEvT1_,"axG",@progbits,_ZN7rocprim17ROCPRIM_400000_NS6detail17trampoline_kernelINS0_14default_configENS1_29reduce_by_key_config_selectorIyyN6thrust23THRUST_200600_302600_NS4plusIyEEEEZZNS1_33reduce_by_key_impl_wrapped_configILNS1_25lookback_scan_determinismE0ES3_S9_NS6_6detail15normal_iteratorINS6_10device_ptrIyEEEESG_SG_SG_PmS8_22is_equal_div_10_reduceIyEEE10hipError_tPvRmT2_T3_mT4_T5_T6_T7_T8_P12ihipStream_tbENKUlT_T0_E_clISt17integral_constantIbLb0EES10_IbLb1EEEEDaSW_SX_EUlSW_E_NS1_11comp_targetILNS1_3genE4ELNS1_11target_archE910ELNS1_3gpuE8ELNS1_3repE0EEENS1_30default_config_static_selectorELNS0_4arch9wavefront6targetE0EEEvT1_,comdat
.Lfunc_end306:
	.size	_ZN7rocprim17ROCPRIM_400000_NS6detail17trampoline_kernelINS0_14default_configENS1_29reduce_by_key_config_selectorIyyN6thrust23THRUST_200600_302600_NS4plusIyEEEEZZNS1_33reduce_by_key_impl_wrapped_configILNS1_25lookback_scan_determinismE0ES3_S9_NS6_6detail15normal_iteratorINS6_10device_ptrIyEEEESG_SG_SG_PmS8_22is_equal_div_10_reduceIyEEE10hipError_tPvRmT2_T3_mT4_T5_T6_T7_T8_P12ihipStream_tbENKUlT_T0_E_clISt17integral_constantIbLb0EES10_IbLb1EEEEDaSW_SX_EUlSW_E_NS1_11comp_targetILNS1_3genE4ELNS1_11target_archE910ELNS1_3gpuE8ELNS1_3repE0EEENS1_30default_config_static_selectorELNS0_4arch9wavefront6targetE0EEEvT1_, .Lfunc_end306-_ZN7rocprim17ROCPRIM_400000_NS6detail17trampoline_kernelINS0_14default_configENS1_29reduce_by_key_config_selectorIyyN6thrust23THRUST_200600_302600_NS4plusIyEEEEZZNS1_33reduce_by_key_impl_wrapped_configILNS1_25lookback_scan_determinismE0ES3_S9_NS6_6detail15normal_iteratorINS6_10device_ptrIyEEEESG_SG_SG_PmS8_22is_equal_div_10_reduceIyEEE10hipError_tPvRmT2_T3_mT4_T5_T6_T7_T8_P12ihipStream_tbENKUlT_T0_E_clISt17integral_constantIbLb0EES10_IbLb1EEEEDaSW_SX_EUlSW_E_NS1_11comp_targetILNS1_3genE4ELNS1_11target_archE910ELNS1_3gpuE8ELNS1_3repE0EEENS1_30default_config_static_selectorELNS0_4arch9wavefront6targetE0EEEvT1_
                                        ; -- End function
	.section	.AMDGPU.csdata,"",@progbits
; Kernel info:
; codeLenInByte = 0
; NumSgprs: 0
; NumVgprs: 0
; ScratchSize: 0
; MemoryBound: 0
; FloatMode: 240
; IeeeMode: 1
; LDSByteSize: 0 bytes/workgroup (compile time only)
; SGPRBlocks: 0
; VGPRBlocks: 0
; NumSGPRsForWavesPerEU: 1
; NumVGPRsForWavesPerEU: 1
; Occupancy: 16
; WaveLimiterHint : 0
; COMPUTE_PGM_RSRC2:SCRATCH_EN: 0
; COMPUTE_PGM_RSRC2:USER_SGPR: 15
; COMPUTE_PGM_RSRC2:TRAP_HANDLER: 0
; COMPUTE_PGM_RSRC2:TGID_X_EN: 1
; COMPUTE_PGM_RSRC2:TGID_Y_EN: 0
; COMPUTE_PGM_RSRC2:TGID_Z_EN: 0
; COMPUTE_PGM_RSRC2:TIDIG_COMP_CNT: 0
	.section	.text._ZN7rocprim17ROCPRIM_400000_NS6detail17trampoline_kernelINS0_14default_configENS1_29reduce_by_key_config_selectorIyyN6thrust23THRUST_200600_302600_NS4plusIyEEEEZZNS1_33reduce_by_key_impl_wrapped_configILNS1_25lookback_scan_determinismE0ES3_S9_NS6_6detail15normal_iteratorINS6_10device_ptrIyEEEESG_SG_SG_PmS8_22is_equal_div_10_reduceIyEEE10hipError_tPvRmT2_T3_mT4_T5_T6_T7_T8_P12ihipStream_tbENKUlT_T0_E_clISt17integral_constantIbLb0EES10_IbLb1EEEEDaSW_SX_EUlSW_E_NS1_11comp_targetILNS1_3genE3ELNS1_11target_archE908ELNS1_3gpuE7ELNS1_3repE0EEENS1_30default_config_static_selectorELNS0_4arch9wavefront6targetE0EEEvT1_,"axG",@progbits,_ZN7rocprim17ROCPRIM_400000_NS6detail17trampoline_kernelINS0_14default_configENS1_29reduce_by_key_config_selectorIyyN6thrust23THRUST_200600_302600_NS4plusIyEEEEZZNS1_33reduce_by_key_impl_wrapped_configILNS1_25lookback_scan_determinismE0ES3_S9_NS6_6detail15normal_iteratorINS6_10device_ptrIyEEEESG_SG_SG_PmS8_22is_equal_div_10_reduceIyEEE10hipError_tPvRmT2_T3_mT4_T5_T6_T7_T8_P12ihipStream_tbENKUlT_T0_E_clISt17integral_constantIbLb0EES10_IbLb1EEEEDaSW_SX_EUlSW_E_NS1_11comp_targetILNS1_3genE3ELNS1_11target_archE908ELNS1_3gpuE7ELNS1_3repE0EEENS1_30default_config_static_selectorELNS0_4arch9wavefront6targetE0EEEvT1_,comdat
	.protected	_ZN7rocprim17ROCPRIM_400000_NS6detail17trampoline_kernelINS0_14default_configENS1_29reduce_by_key_config_selectorIyyN6thrust23THRUST_200600_302600_NS4plusIyEEEEZZNS1_33reduce_by_key_impl_wrapped_configILNS1_25lookback_scan_determinismE0ES3_S9_NS6_6detail15normal_iteratorINS6_10device_ptrIyEEEESG_SG_SG_PmS8_22is_equal_div_10_reduceIyEEE10hipError_tPvRmT2_T3_mT4_T5_T6_T7_T8_P12ihipStream_tbENKUlT_T0_E_clISt17integral_constantIbLb0EES10_IbLb1EEEEDaSW_SX_EUlSW_E_NS1_11comp_targetILNS1_3genE3ELNS1_11target_archE908ELNS1_3gpuE7ELNS1_3repE0EEENS1_30default_config_static_selectorELNS0_4arch9wavefront6targetE0EEEvT1_ ; -- Begin function _ZN7rocprim17ROCPRIM_400000_NS6detail17trampoline_kernelINS0_14default_configENS1_29reduce_by_key_config_selectorIyyN6thrust23THRUST_200600_302600_NS4plusIyEEEEZZNS1_33reduce_by_key_impl_wrapped_configILNS1_25lookback_scan_determinismE0ES3_S9_NS6_6detail15normal_iteratorINS6_10device_ptrIyEEEESG_SG_SG_PmS8_22is_equal_div_10_reduceIyEEE10hipError_tPvRmT2_T3_mT4_T5_T6_T7_T8_P12ihipStream_tbENKUlT_T0_E_clISt17integral_constantIbLb0EES10_IbLb1EEEEDaSW_SX_EUlSW_E_NS1_11comp_targetILNS1_3genE3ELNS1_11target_archE908ELNS1_3gpuE7ELNS1_3repE0EEENS1_30default_config_static_selectorELNS0_4arch9wavefront6targetE0EEEvT1_
	.globl	_ZN7rocprim17ROCPRIM_400000_NS6detail17trampoline_kernelINS0_14default_configENS1_29reduce_by_key_config_selectorIyyN6thrust23THRUST_200600_302600_NS4plusIyEEEEZZNS1_33reduce_by_key_impl_wrapped_configILNS1_25lookback_scan_determinismE0ES3_S9_NS6_6detail15normal_iteratorINS6_10device_ptrIyEEEESG_SG_SG_PmS8_22is_equal_div_10_reduceIyEEE10hipError_tPvRmT2_T3_mT4_T5_T6_T7_T8_P12ihipStream_tbENKUlT_T0_E_clISt17integral_constantIbLb0EES10_IbLb1EEEEDaSW_SX_EUlSW_E_NS1_11comp_targetILNS1_3genE3ELNS1_11target_archE908ELNS1_3gpuE7ELNS1_3repE0EEENS1_30default_config_static_selectorELNS0_4arch9wavefront6targetE0EEEvT1_
	.p2align	8
	.type	_ZN7rocprim17ROCPRIM_400000_NS6detail17trampoline_kernelINS0_14default_configENS1_29reduce_by_key_config_selectorIyyN6thrust23THRUST_200600_302600_NS4plusIyEEEEZZNS1_33reduce_by_key_impl_wrapped_configILNS1_25lookback_scan_determinismE0ES3_S9_NS6_6detail15normal_iteratorINS6_10device_ptrIyEEEESG_SG_SG_PmS8_22is_equal_div_10_reduceIyEEE10hipError_tPvRmT2_T3_mT4_T5_T6_T7_T8_P12ihipStream_tbENKUlT_T0_E_clISt17integral_constantIbLb0EES10_IbLb1EEEEDaSW_SX_EUlSW_E_NS1_11comp_targetILNS1_3genE3ELNS1_11target_archE908ELNS1_3gpuE7ELNS1_3repE0EEENS1_30default_config_static_selectorELNS0_4arch9wavefront6targetE0EEEvT1_,@function
_ZN7rocprim17ROCPRIM_400000_NS6detail17trampoline_kernelINS0_14default_configENS1_29reduce_by_key_config_selectorIyyN6thrust23THRUST_200600_302600_NS4plusIyEEEEZZNS1_33reduce_by_key_impl_wrapped_configILNS1_25lookback_scan_determinismE0ES3_S9_NS6_6detail15normal_iteratorINS6_10device_ptrIyEEEESG_SG_SG_PmS8_22is_equal_div_10_reduceIyEEE10hipError_tPvRmT2_T3_mT4_T5_T6_T7_T8_P12ihipStream_tbENKUlT_T0_E_clISt17integral_constantIbLb0EES10_IbLb1EEEEDaSW_SX_EUlSW_E_NS1_11comp_targetILNS1_3genE3ELNS1_11target_archE908ELNS1_3gpuE7ELNS1_3repE0EEENS1_30default_config_static_selectorELNS0_4arch9wavefront6targetE0EEEvT1_: ; @_ZN7rocprim17ROCPRIM_400000_NS6detail17trampoline_kernelINS0_14default_configENS1_29reduce_by_key_config_selectorIyyN6thrust23THRUST_200600_302600_NS4plusIyEEEEZZNS1_33reduce_by_key_impl_wrapped_configILNS1_25lookback_scan_determinismE0ES3_S9_NS6_6detail15normal_iteratorINS6_10device_ptrIyEEEESG_SG_SG_PmS8_22is_equal_div_10_reduceIyEEE10hipError_tPvRmT2_T3_mT4_T5_T6_T7_T8_P12ihipStream_tbENKUlT_T0_E_clISt17integral_constantIbLb0EES10_IbLb1EEEEDaSW_SX_EUlSW_E_NS1_11comp_targetILNS1_3genE3ELNS1_11target_archE908ELNS1_3gpuE7ELNS1_3repE0EEENS1_30default_config_static_selectorELNS0_4arch9wavefront6targetE0EEEvT1_
; %bb.0:
	.section	.rodata,"a",@progbits
	.p2align	6, 0x0
	.amdhsa_kernel _ZN7rocprim17ROCPRIM_400000_NS6detail17trampoline_kernelINS0_14default_configENS1_29reduce_by_key_config_selectorIyyN6thrust23THRUST_200600_302600_NS4plusIyEEEEZZNS1_33reduce_by_key_impl_wrapped_configILNS1_25lookback_scan_determinismE0ES3_S9_NS6_6detail15normal_iteratorINS6_10device_ptrIyEEEESG_SG_SG_PmS8_22is_equal_div_10_reduceIyEEE10hipError_tPvRmT2_T3_mT4_T5_T6_T7_T8_P12ihipStream_tbENKUlT_T0_E_clISt17integral_constantIbLb0EES10_IbLb1EEEEDaSW_SX_EUlSW_E_NS1_11comp_targetILNS1_3genE3ELNS1_11target_archE908ELNS1_3gpuE7ELNS1_3repE0EEENS1_30default_config_static_selectorELNS0_4arch9wavefront6targetE0EEEvT1_
		.amdhsa_group_segment_fixed_size 0
		.amdhsa_private_segment_fixed_size 0
		.amdhsa_kernarg_size 136
		.amdhsa_user_sgpr_count 15
		.amdhsa_user_sgpr_dispatch_ptr 0
		.amdhsa_user_sgpr_queue_ptr 0
		.amdhsa_user_sgpr_kernarg_segment_ptr 1
		.amdhsa_user_sgpr_dispatch_id 0
		.amdhsa_user_sgpr_private_segment_size 0
		.amdhsa_wavefront_size32 1
		.amdhsa_uses_dynamic_stack 0
		.amdhsa_enable_private_segment 0
		.amdhsa_system_sgpr_workgroup_id_x 1
		.amdhsa_system_sgpr_workgroup_id_y 0
		.amdhsa_system_sgpr_workgroup_id_z 0
		.amdhsa_system_sgpr_workgroup_info 0
		.amdhsa_system_vgpr_workitem_id 0
		.amdhsa_next_free_vgpr 1
		.amdhsa_next_free_sgpr 1
		.amdhsa_reserve_vcc 0
		.amdhsa_float_round_mode_32 0
		.amdhsa_float_round_mode_16_64 0
		.amdhsa_float_denorm_mode_32 3
		.amdhsa_float_denorm_mode_16_64 3
		.amdhsa_dx10_clamp 1
		.amdhsa_ieee_mode 1
		.amdhsa_fp16_overflow 0
		.amdhsa_workgroup_processor_mode 1
		.amdhsa_memory_ordered 1
		.amdhsa_forward_progress 0
		.amdhsa_shared_vgpr_count 0
		.amdhsa_exception_fp_ieee_invalid_op 0
		.amdhsa_exception_fp_denorm_src 0
		.amdhsa_exception_fp_ieee_div_zero 0
		.amdhsa_exception_fp_ieee_overflow 0
		.amdhsa_exception_fp_ieee_underflow 0
		.amdhsa_exception_fp_ieee_inexact 0
		.amdhsa_exception_int_div_zero 0
	.end_amdhsa_kernel
	.section	.text._ZN7rocprim17ROCPRIM_400000_NS6detail17trampoline_kernelINS0_14default_configENS1_29reduce_by_key_config_selectorIyyN6thrust23THRUST_200600_302600_NS4plusIyEEEEZZNS1_33reduce_by_key_impl_wrapped_configILNS1_25lookback_scan_determinismE0ES3_S9_NS6_6detail15normal_iteratorINS6_10device_ptrIyEEEESG_SG_SG_PmS8_22is_equal_div_10_reduceIyEEE10hipError_tPvRmT2_T3_mT4_T5_T6_T7_T8_P12ihipStream_tbENKUlT_T0_E_clISt17integral_constantIbLb0EES10_IbLb1EEEEDaSW_SX_EUlSW_E_NS1_11comp_targetILNS1_3genE3ELNS1_11target_archE908ELNS1_3gpuE7ELNS1_3repE0EEENS1_30default_config_static_selectorELNS0_4arch9wavefront6targetE0EEEvT1_,"axG",@progbits,_ZN7rocprim17ROCPRIM_400000_NS6detail17trampoline_kernelINS0_14default_configENS1_29reduce_by_key_config_selectorIyyN6thrust23THRUST_200600_302600_NS4plusIyEEEEZZNS1_33reduce_by_key_impl_wrapped_configILNS1_25lookback_scan_determinismE0ES3_S9_NS6_6detail15normal_iteratorINS6_10device_ptrIyEEEESG_SG_SG_PmS8_22is_equal_div_10_reduceIyEEE10hipError_tPvRmT2_T3_mT4_T5_T6_T7_T8_P12ihipStream_tbENKUlT_T0_E_clISt17integral_constantIbLb0EES10_IbLb1EEEEDaSW_SX_EUlSW_E_NS1_11comp_targetILNS1_3genE3ELNS1_11target_archE908ELNS1_3gpuE7ELNS1_3repE0EEENS1_30default_config_static_selectorELNS0_4arch9wavefront6targetE0EEEvT1_,comdat
.Lfunc_end307:
	.size	_ZN7rocprim17ROCPRIM_400000_NS6detail17trampoline_kernelINS0_14default_configENS1_29reduce_by_key_config_selectorIyyN6thrust23THRUST_200600_302600_NS4plusIyEEEEZZNS1_33reduce_by_key_impl_wrapped_configILNS1_25lookback_scan_determinismE0ES3_S9_NS6_6detail15normal_iteratorINS6_10device_ptrIyEEEESG_SG_SG_PmS8_22is_equal_div_10_reduceIyEEE10hipError_tPvRmT2_T3_mT4_T5_T6_T7_T8_P12ihipStream_tbENKUlT_T0_E_clISt17integral_constantIbLb0EES10_IbLb1EEEEDaSW_SX_EUlSW_E_NS1_11comp_targetILNS1_3genE3ELNS1_11target_archE908ELNS1_3gpuE7ELNS1_3repE0EEENS1_30default_config_static_selectorELNS0_4arch9wavefront6targetE0EEEvT1_, .Lfunc_end307-_ZN7rocprim17ROCPRIM_400000_NS6detail17trampoline_kernelINS0_14default_configENS1_29reduce_by_key_config_selectorIyyN6thrust23THRUST_200600_302600_NS4plusIyEEEEZZNS1_33reduce_by_key_impl_wrapped_configILNS1_25lookback_scan_determinismE0ES3_S9_NS6_6detail15normal_iteratorINS6_10device_ptrIyEEEESG_SG_SG_PmS8_22is_equal_div_10_reduceIyEEE10hipError_tPvRmT2_T3_mT4_T5_T6_T7_T8_P12ihipStream_tbENKUlT_T0_E_clISt17integral_constantIbLb0EES10_IbLb1EEEEDaSW_SX_EUlSW_E_NS1_11comp_targetILNS1_3genE3ELNS1_11target_archE908ELNS1_3gpuE7ELNS1_3repE0EEENS1_30default_config_static_selectorELNS0_4arch9wavefront6targetE0EEEvT1_
                                        ; -- End function
	.section	.AMDGPU.csdata,"",@progbits
; Kernel info:
; codeLenInByte = 0
; NumSgprs: 0
; NumVgprs: 0
; ScratchSize: 0
; MemoryBound: 0
; FloatMode: 240
; IeeeMode: 1
; LDSByteSize: 0 bytes/workgroup (compile time only)
; SGPRBlocks: 0
; VGPRBlocks: 0
; NumSGPRsForWavesPerEU: 1
; NumVGPRsForWavesPerEU: 1
; Occupancy: 16
; WaveLimiterHint : 0
; COMPUTE_PGM_RSRC2:SCRATCH_EN: 0
; COMPUTE_PGM_RSRC2:USER_SGPR: 15
; COMPUTE_PGM_RSRC2:TRAP_HANDLER: 0
; COMPUTE_PGM_RSRC2:TGID_X_EN: 1
; COMPUTE_PGM_RSRC2:TGID_Y_EN: 0
; COMPUTE_PGM_RSRC2:TGID_Z_EN: 0
; COMPUTE_PGM_RSRC2:TIDIG_COMP_CNT: 0
	.section	.text._ZN7rocprim17ROCPRIM_400000_NS6detail17trampoline_kernelINS0_14default_configENS1_29reduce_by_key_config_selectorIyyN6thrust23THRUST_200600_302600_NS4plusIyEEEEZZNS1_33reduce_by_key_impl_wrapped_configILNS1_25lookback_scan_determinismE0ES3_S9_NS6_6detail15normal_iteratorINS6_10device_ptrIyEEEESG_SG_SG_PmS8_22is_equal_div_10_reduceIyEEE10hipError_tPvRmT2_T3_mT4_T5_T6_T7_T8_P12ihipStream_tbENKUlT_T0_E_clISt17integral_constantIbLb0EES10_IbLb1EEEEDaSW_SX_EUlSW_E_NS1_11comp_targetILNS1_3genE2ELNS1_11target_archE906ELNS1_3gpuE6ELNS1_3repE0EEENS1_30default_config_static_selectorELNS0_4arch9wavefront6targetE0EEEvT1_,"axG",@progbits,_ZN7rocprim17ROCPRIM_400000_NS6detail17trampoline_kernelINS0_14default_configENS1_29reduce_by_key_config_selectorIyyN6thrust23THRUST_200600_302600_NS4plusIyEEEEZZNS1_33reduce_by_key_impl_wrapped_configILNS1_25lookback_scan_determinismE0ES3_S9_NS6_6detail15normal_iteratorINS6_10device_ptrIyEEEESG_SG_SG_PmS8_22is_equal_div_10_reduceIyEEE10hipError_tPvRmT2_T3_mT4_T5_T6_T7_T8_P12ihipStream_tbENKUlT_T0_E_clISt17integral_constantIbLb0EES10_IbLb1EEEEDaSW_SX_EUlSW_E_NS1_11comp_targetILNS1_3genE2ELNS1_11target_archE906ELNS1_3gpuE6ELNS1_3repE0EEENS1_30default_config_static_selectorELNS0_4arch9wavefront6targetE0EEEvT1_,comdat
	.protected	_ZN7rocprim17ROCPRIM_400000_NS6detail17trampoline_kernelINS0_14default_configENS1_29reduce_by_key_config_selectorIyyN6thrust23THRUST_200600_302600_NS4plusIyEEEEZZNS1_33reduce_by_key_impl_wrapped_configILNS1_25lookback_scan_determinismE0ES3_S9_NS6_6detail15normal_iteratorINS6_10device_ptrIyEEEESG_SG_SG_PmS8_22is_equal_div_10_reduceIyEEE10hipError_tPvRmT2_T3_mT4_T5_T6_T7_T8_P12ihipStream_tbENKUlT_T0_E_clISt17integral_constantIbLb0EES10_IbLb1EEEEDaSW_SX_EUlSW_E_NS1_11comp_targetILNS1_3genE2ELNS1_11target_archE906ELNS1_3gpuE6ELNS1_3repE0EEENS1_30default_config_static_selectorELNS0_4arch9wavefront6targetE0EEEvT1_ ; -- Begin function _ZN7rocprim17ROCPRIM_400000_NS6detail17trampoline_kernelINS0_14default_configENS1_29reduce_by_key_config_selectorIyyN6thrust23THRUST_200600_302600_NS4plusIyEEEEZZNS1_33reduce_by_key_impl_wrapped_configILNS1_25lookback_scan_determinismE0ES3_S9_NS6_6detail15normal_iteratorINS6_10device_ptrIyEEEESG_SG_SG_PmS8_22is_equal_div_10_reduceIyEEE10hipError_tPvRmT2_T3_mT4_T5_T6_T7_T8_P12ihipStream_tbENKUlT_T0_E_clISt17integral_constantIbLb0EES10_IbLb1EEEEDaSW_SX_EUlSW_E_NS1_11comp_targetILNS1_3genE2ELNS1_11target_archE906ELNS1_3gpuE6ELNS1_3repE0EEENS1_30default_config_static_selectorELNS0_4arch9wavefront6targetE0EEEvT1_
	.globl	_ZN7rocprim17ROCPRIM_400000_NS6detail17trampoline_kernelINS0_14default_configENS1_29reduce_by_key_config_selectorIyyN6thrust23THRUST_200600_302600_NS4plusIyEEEEZZNS1_33reduce_by_key_impl_wrapped_configILNS1_25lookback_scan_determinismE0ES3_S9_NS6_6detail15normal_iteratorINS6_10device_ptrIyEEEESG_SG_SG_PmS8_22is_equal_div_10_reduceIyEEE10hipError_tPvRmT2_T3_mT4_T5_T6_T7_T8_P12ihipStream_tbENKUlT_T0_E_clISt17integral_constantIbLb0EES10_IbLb1EEEEDaSW_SX_EUlSW_E_NS1_11comp_targetILNS1_3genE2ELNS1_11target_archE906ELNS1_3gpuE6ELNS1_3repE0EEENS1_30default_config_static_selectorELNS0_4arch9wavefront6targetE0EEEvT1_
	.p2align	8
	.type	_ZN7rocprim17ROCPRIM_400000_NS6detail17trampoline_kernelINS0_14default_configENS1_29reduce_by_key_config_selectorIyyN6thrust23THRUST_200600_302600_NS4plusIyEEEEZZNS1_33reduce_by_key_impl_wrapped_configILNS1_25lookback_scan_determinismE0ES3_S9_NS6_6detail15normal_iteratorINS6_10device_ptrIyEEEESG_SG_SG_PmS8_22is_equal_div_10_reduceIyEEE10hipError_tPvRmT2_T3_mT4_T5_T6_T7_T8_P12ihipStream_tbENKUlT_T0_E_clISt17integral_constantIbLb0EES10_IbLb1EEEEDaSW_SX_EUlSW_E_NS1_11comp_targetILNS1_3genE2ELNS1_11target_archE906ELNS1_3gpuE6ELNS1_3repE0EEENS1_30default_config_static_selectorELNS0_4arch9wavefront6targetE0EEEvT1_,@function
_ZN7rocprim17ROCPRIM_400000_NS6detail17trampoline_kernelINS0_14default_configENS1_29reduce_by_key_config_selectorIyyN6thrust23THRUST_200600_302600_NS4plusIyEEEEZZNS1_33reduce_by_key_impl_wrapped_configILNS1_25lookback_scan_determinismE0ES3_S9_NS6_6detail15normal_iteratorINS6_10device_ptrIyEEEESG_SG_SG_PmS8_22is_equal_div_10_reduceIyEEE10hipError_tPvRmT2_T3_mT4_T5_T6_T7_T8_P12ihipStream_tbENKUlT_T0_E_clISt17integral_constantIbLb0EES10_IbLb1EEEEDaSW_SX_EUlSW_E_NS1_11comp_targetILNS1_3genE2ELNS1_11target_archE906ELNS1_3gpuE6ELNS1_3repE0EEENS1_30default_config_static_selectorELNS0_4arch9wavefront6targetE0EEEvT1_: ; @_ZN7rocprim17ROCPRIM_400000_NS6detail17trampoline_kernelINS0_14default_configENS1_29reduce_by_key_config_selectorIyyN6thrust23THRUST_200600_302600_NS4plusIyEEEEZZNS1_33reduce_by_key_impl_wrapped_configILNS1_25lookback_scan_determinismE0ES3_S9_NS6_6detail15normal_iteratorINS6_10device_ptrIyEEEESG_SG_SG_PmS8_22is_equal_div_10_reduceIyEEE10hipError_tPvRmT2_T3_mT4_T5_T6_T7_T8_P12ihipStream_tbENKUlT_T0_E_clISt17integral_constantIbLb0EES10_IbLb1EEEEDaSW_SX_EUlSW_E_NS1_11comp_targetILNS1_3genE2ELNS1_11target_archE906ELNS1_3gpuE6ELNS1_3repE0EEENS1_30default_config_static_selectorELNS0_4arch9wavefront6targetE0EEEvT1_
; %bb.0:
	.section	.rodata,"a",@progbits
	.p2align	6, 0x0
	.amdhsa_kernel _ZN7rocprim17ROCPRIM_400000_NS6detail17trampoline_kernelINS0_14default_configENS1_29reduce_by_key_config_selectorIyyN6thrust23THRUST_200600_302600_NS4plusIyEEEEZZNS1_33reduce_by_key_impl_wrapped_configILNS1_25lookback_scan_determinismE0ES3_S9_NS6_6detail15normal_iteratorINS6_10device_ptrIyEEEESG_SG_SG_PmS8_22is_equal_div_10_reduceIyEEE10hipError_tPvRmT2_T3_mT4_T5_T6_T7_T8_P12ihipStream_tbENKUlT_T0_E_clISt17integral_constantIbLb0EES10_IbLb1EEEEDaSW_SX_EUlSW_E_NS1_11comp_targetILNS1_3genE2ELNS1_11target_archE906ELNS1_3gpuE6ELNS1_3repE0EEENS1_30default_config_static_selectorELNS0_4arch9wavefront6targetE0EEEvT1_
		.amdhsa_group_segment_fixed_size 0
		.amdhsa_private_segment_fixed_size 0
		.amdhsa_kernarg_size 136
		.amdhsa_user_sgpr_count 15
		.amdhsa_user_sgpr_dispatch_ptr 0
		.amdhsa_user_sgpr_queue_ptr 0
		.amdhsa_user_sgpr_kernarg_segment_ptr 1
		.amdhsa_user_sgpr_dispatch_id 0
		.amdhsa_user_sgpr_private_segment_size 0
		.amdhsa_wavefront_size32 1
		.amdhsa_uses_dynamic_stack 0
		.amdhsa_enable_private_segment 0
		.amdhsa_system_sgpr_workgroup_id_x 1
		.amdhsa_system_sgpr_workgroup_id_y 0
		.amdhsa_system_sgpr_workgroup_id_z 0
		.amdhsa_system_sgpr_workgroup_info 0
		.amdhsa_system_vgpr_workitem_id 0
		.amdhsa_next_free_vgpr 1
		.amdhsa_next_free_sgpr 1
		.amdhsa_reserve_vcc 0
		.amdhsa_float_round_mode_32 0
		.amdhsa_float_round_mode_16_64 0
		.amdhsa_float_denorm_mode_32 3
		.amdhsa_float_denorm_mode_16_64 3
		.amdhsa_dx10_clamp 1
		.amdhsa_ieee_mode 1
		.amdhsa_fp16_overflow 0
		.amdhsa_workgroup_processor_mode 1
		.amdhsa_memory_ordered 1
		.amdhsa_forward_progress 0
		.amdhsa_shared_vgpr_count 0
		.amdhsa_exception_fp_ieee_invalid_op 0
		.amdhsa_exception_fp_denorm_src 0
		.amdhsa_exception_fp_ieee_div_zero 0
		.amdhsa_exception_fp_ieee_overflow 0
		.amdhsa_exception_fp_ieee_underflow 0
		.amdhsa_exception_fp_ieee_inexact 0
		.amdhsa_exception_int_div_zero 0
	.end_amdhsa_kernel
	.section	.text._ZN7rocprim17ROCPRIM_400000_NS6detail17trampoline_kernelINS0_14default_configENS1_29reduce_by_key_config_selectorIyyN6thrust23THRUST_200600_302600_NS4plusIyEEEEZZNS1_33reduce_by_key_impl_wrapped_configILNS1_25lookback_scan_determinismE0ES3_S9_NS6_6detail15normal_iteratorINS6_10device_ptrIyEEEESG_SG_SG_PmS8_22is_equal_div_10_reduceIyEEE10hipError_tPvRmT2_T3_mT4_T5_T6_T7_T8_P12ihipStream_tbENKUlT_T0_E_clISt17integral_constantIbLb0EES10_IbLb1EEEEDaSW_SX_EUlSW_E_NS1_11comp_targetILNS1_3genE2ELNS1_11target_archE906ELNS1_3gpuE6ELNS1_3repE0EEENS1_30default_config_static_selectorELNS0_4arch9wavefront6targetE0EEEvT1_,"axG",@progbits,_ZN7rocprim17ROCPRIM_400000_NS6detail17trampoline_kernelINS0_14default_configENS1_29reduce_by_key_config_selectorIyyN6thrust23THRUST_200600_302600_NS4plusIyEEEEZZNS1_33reduce_by_key_impl_wrapped_configILNS1_25lookback_scan_determinismE0ES3_S9_NS6_6detail15normal_iteratorINS6_10device_ptrIyEEEESG_SG_SG_PmS8_22is_equal_div_10_reduceIyEEE10hipError_tPvRmT2_T3_mT4_T5_T6_T7_T8_P12ihipStream_tbENKUlT_T0_E_clISt17integral_constantIbLb0EES10_IbLb1EEEEDaSW_SX_EUlSW_E_NS1_11comp_targetILNS1_3genE2ELNS1_11target_archE906ELNS1_3gpuE6ELNS1_3repE0EEENS1_30default_config_static_selectorELNS0_4arch9wavefront6targetE0EEEvT1_,comdat
.Lfunc_end308:
	.size	_ZN7rocprim17ROCPRIM_400000_NS6detail17trampoline_kernelINS0_14default_configENS1_29reduce_by_key_config_selectorIyyN6thrust23THRUST_200600_302600_NS4plusIyEEEEZZNS1_33reduce_by_key_impl_wrapped_configILNS1_25lookback_scan_determinismE0ES3_S9_NS6_6detail15normal_iteratorINS6_10device_ptrIyEEEESG_SG_SG_PmS8_22is_equal_div_10_reduceIyEEE10hipError_tPvRmT2_T3_mT4_T5_T6_T7_T8_P12ihipStream_tbENKUlT_T0_E_clISt17integral_constantIbLb0EES10_IbLb1EEEEDaSW_SX_EUlSW_E_NS1_11comp_targetILNS1_3genE2ELNS1_11target_archE906ELNS1_3gpuE6ELNS1_3repE0EEENS1_30default_config_static_selectorELNS0_4arch9wavefront6targetE0EEEvT1_, .Lfunc_end308-_ZN7rocprim17ROCPRIM_400000_NS6detail17trampoline_kernelINS0_14default_configENS1_29reduce_by_key_config_selectorIyyN6thrust23THRUST_200600_302600_NS4plusIyEEEEZZNS1_33reduce_by_key_impl_wrapped_configILNS1_25lookback_scan_determinismE0ES3_S9_NS6_6detail15normal_iteratorINS6_10device_ptrIyEEEESG_SG_SG_PmS8_22is_equal_div_10_reduceIyEEE10hipError_tPvRmT2_T3_mT4_T5_T6_T7_T8_P12ihipStream_tbENKUlT_T0_E_clISt17integral_constantIbLb0EES10_IbLb1EEEEDaSW_SX_EUlSW_E_NS1_11comp_targetILNS1_3genE2ELNS1_11target_archE906ELNS1_3gpuE6ELNS1_3repE0EEENS1_30default_config_static_selectorELNS0_4arch9wavefront6targetE0EEEvT1_
                                        ; -- End function
	.section	.AMDGPU.csdata,"",@progbits
; Kernel info:
; codeLenInByte = 0
; NumSgprs: 0
; NumVgprs: 0
; ScratchSize: 0
; MemoryBound: 0
; FloatMode: 240
; IeeeMode: 1
; LDSByteSize: 0 bytes/workgroup (compile time only)
; SGPRBlocks: 0
; VGPRBlocks: 0
; NumSGPRsForWavesPerEU: 1
; NumVGPRsForWavesPerEU: 1
; Occupancy: 16
; WaveLimiterHint : 0
; COMPUTE_PGM_RSRC2:SCRATCH_EN: 0
; COMPUTE_PGM_RSRC2:USER_SGPR: 15
; COMPUTE_PGM_RSRC2:TRAP_HANDLER: 0
; COMPUTE_PGM_RSRC2:TGID_X_EN: 1
; COMPUTE_PGM_RSRC2:TGID_Y_EN: 0
; COMPUTE_PGM_RSRC2:TGID_Z_EN: 0
; COMPUTE_PGM_RSRC2:TIDIG_COMP_CNT: 0
	.section	.text._ZN7rocprim17ROCPRIM_400000_NS6detail17trampoline_kernelINS0_14default_configENS1_29reduce_by_key_config_selectorIyyN6thrust23THRUST_200600_302600_NS4plusIyEEEEZZNS1_33reduce_by_key_impl_wrapped_configILNS1_25lookback_scan_determinismE0ES3_S9_NS6_6detail15normal_iteratorINS6_10device_ptrIyEEEESG_SG_SG_PmS8_22is_equal_div_10_reduceIyEEE10hipError_tPvRmT2_T3_mT4_T5_T6_T7_T8_P12ihipStream_tbENKUlT_T0_E_clISt17integral_constantIbLb0EES10_IbLb1EEEEDaSW_SX_EUlSW_E_NS1_11comp_targetILNS1_3genE10ELNS1_11target_archE1201ELNS1_3gpuE5ELNS1_3repE0EEENS1_30default_config_static_selectorELNS0_4arch9wavefront6targetE0EEEvT1_,"axG",@progbits,_ZN7rocprim17ROCPRIM_400000_NS6detail17trampoline_kernelINS0_14default_configENS1_29reduce_by_key_config_selectorIyyN6thrust23THRUST_200600_302600_NS4plusIyEEEEZZNS1_33reduce_by_key_impl_wrapped_configILNS1_25lookback_scan_determinismE0ES3_S9_NS6_6detail15normal_iteratorINS6_10device_ptrIyEEEESG_SG_SG_PmS8_22is_equal_div_10_reduceIyEEE10hipError_tPvRmT2_T3_mT4_T5_T6_T7_T8_P12ihipStream_tbENKUlT_T0_E_clISt17integral_constantIbLb0EES10_IbLb1EEEEDaSW_SX_EUlSW_E_NS1_11comp_targetILNS1_3genE10ELNS1_11target_archE1201ELNS1_3gpuE5ELNS1_3repE0EEENS1_30default_config_static_selectorELNS0_4arch9wavefront6targetE0EEEvT1_,comdat
	.protected	_ZN7rocprim17ROCPRIM_400000_NS6detail17trampoline_kernelINS0_14default_configENS1_29reduce_by_key_config_selectorIyyN6thrust23THRUST_200600_302600_NS4plusIyEEEEZZNS1_33reduce_by_key_impl_wrapped_configILNS1_25lookback_scan_determinismE0ES3_S9_NS6_6detail15normal_iteratorINS6_10device_ptrIyEEEESG_SG_SG_PmS8_22is_equal_div_10_reduceIyEEE10hipError_tPvRmT2_T3_mT4_T5_T6_T7_T8_P12ihipStream_tbENKUlT_T0_E_clISt17integral_constantIbLb0EES10_IbLb1EEEEDaSW_SX_EUlSW_E_NS1_11comp_targetILNS1_3genE10ELNS1_11target_archE1201ELNS1_3gpuE5ELNS1_3repE0EEENS1_30default_config_static_selectorELNS0_4arch9wavefront6targetE0EEEvT1_ ; -- Begin function _ZN7rocprim17ROCPRIM_400000_NS6detail17trampoline_kernelINS0_14default_configENS1_29reduce_by_key_config_selectorIyyN6thrust23THRUST_200600_302600_NS4plusIyEEEEZZNS1_33reduce_by_key_impl_wrapped_configILNS1_25lookback_scan_determinismE0ES3_S9_NS6_6detail15normal_iteratorINS6_10device_ptrIyEEEESG_SG_SG_PmS8_22is_equal_div_10_reduceIyEEE10hipError_tPvRmT2_T3_mT4_T5_T6_T7_T8_P12ihipStream_tbENKUlT_T0_E_clISt17integral_constantIbLb0EES10_IbLb1EEEEDaSW_SX_EUlSW_E_NS1_11comp_targetILNS1_3genE10ELNS1_11target_archE1201ELNS1_3gpuE5ELNS1_3repE0EEENS1_30default_config_static_selectorELNS0_4arch9wavefront6targetE0EEEvT1_
	.globl	_ZN7rocprim17ROCPRIM_400000_NS6detail17trampoline_kernelINS0_14default_configENS1_29reduce_by_key_config_selectorIyyN6thrust23THRUST_200600_302600_NS4plusIyEEEEZZNS1_33reduce_by_key_impl_wrapped_configILNS1_25lookback_scan_determinismE0ES3_S9_NS6_6detail15normal_iteratorINS6_10device_ptrIyEEEESG_SG_SG_PmS8_22is_equal_div_10_reduceIyEEE10hipError_tPvRmT2_T3_mT4_T5_T6_T7_T8_P12ihipStream_tbENKUlT_T0_E_clISt17integral_constantIbLb0EES10_IbLb1EEEEDaSW_SX_EUlSW_E_NS1_11comp_targetILNS1_3genE10ELNS1_11target_archE1201ELNS1_3gpuE5ELNS1_3repE0EEENS1_30default_config_static_selectorELNS0_4arch9wavefront6targetE0EEEvT1_
	.p2align	8
	.type	_ZN7rocprim17ROCPRIM_400000_NS6detail17trampoline_kernelINS0_14default_configENS1_29reduce_by_key_config_selectorIyyN6thrust23THRUST_200600_302600_NS4plusIyEEEEZZNS1_33reduce_by_key_impl_wrapped_configILNS1_25lookback_scan_determinismE0ES3_S9_NS6_6detail15normal_iteratorINS6_10device_ptrIyEEEESG_SG_SG_PmS8_22is_equal_div_10_reduceIyEEE10hipError_tPvRmT2_T3_mT4_T5_T6_T7_T8_P12ihipStream_tbENKUlT_T0_E_clISt17integral_constantIbLb0EES10_IbLb1EEEEDaSW_SX_EUlSW_E_NS1_11comp_targetILNS1_3genE10ELNS1_11target_archE1201ELNS1_3gpuE5ELNS1_3repE0EEENS1_30default_config_static_selectorELNS0_4arch9wavefront6targetE0EEEvT1_,@function
_ZN7rocprim17ROCPRIM_400000_NS6detail17trampoline_kernelINS0_14default_configENS1_29reduce_by_key_config_selectorIyyN6thrust23THRUST_200600_302600_NS4plusIyEEEEZZNS1_33reduce_by_key_impl_wrapped_configILNS1_25lookback_scan_determinismE0ES3_S9_NS6_6detail15normal_iteratorINS6_10device_ptrIyEEEESG_SG_SG_PmS8_22is_equal_div_10_reduceIyEEE10hipError_tPvRmT2_T3_mT4_T5_T6_T7_T8_P12ihipStream_tbENKUlT_T0_E_clISt17integral_constantIbLb0EES10_IbLb1EEEEDaSW_SX_EUlSW_E_NS1_11comp_targetILNS1_3genE10ELNS1_11target_archE1201ELNS1_3gpuE5ELNS1_3repE0EEENS1_30default_config_static_selectorELNS0_4arch9wavefront6targetE0EEEvT1_: ; @_ZN7rocprim17ROCPRIM_400000_NS6detail17trampoline_kernelINS0_14default_configENS1_29reduce_by_key_config_selectorIyyN6thrust23THRUST_200600_302600_NS4plusIyEEEEZZNS1_33reduce_by_key_impl_wrapped_configILNS1_25lookback_scan_determinismE0ES3_S9_NS6_6detail15normal_iteratorINS6_10device_ptrIyEEEESG_SG_SG_PmS8_22is_equal_div_10_reduceIyEEE10hipError_tPvRmT2_T3_mT4_T5_T6_T7_T8_P12ihipStream_tbENKUlT_T0_E_clISt17integral_constantIbLb0EES10_IbLb1EEEEDaSW_SX_EUlSW_E_NS1_11comp_targetILNS1_3genE10ELNS1_11target_archE1201ELNS1_3gpuE5ELNS1_3repE0EEENS1_30default_config_static_selectorELNS0_4arch9wavefront6targetE0EEEvT1_
; %bb.0:
	.section	.rodata,"a",@progbits
	.p2align	6, 0x0
	.amdhsa_kernel _ZN7rocprim17ROCPRIM_400000_NS6detail17trampoline_kernelINS0_14default_configENS1_29reduce_by_key_config_selectorIyyN6thrust23THRUST_200600_302600_NS4plusIyEEEEZZNS1_33reduce_by_key_impl_wrapped_configILNS1_25lookback_scan_determinismE0ES3_S9_NS6_6detail15normal_iteratorINS6_10device_ptrIyEEEESG_SG_SG_PmS8_22is_equal_div_10_reduceIyEEE10hipError_tPvRmT2_T3_mT4_T5_T6_T7_T8_P12ihipStream_tbENKUlT_T0_E_clISt17integral_constantIbLb0EES10_IbLb1EEEEDaSW_SX_EUlSW_E_NS1_11comp_targetILNS1_3genE10ELNS1_11target_archE1201ELNS1_3gpuE5ELNS1_3repE0EEENS1_30default_config_static_selectorELNS0_4arch9wavefront6targetE0EEEvT1_
		.amdhsa_group_segment_fixed_size 0
		.amdhsa_private_segment_fixed_size 0
		.amdhsa_kernarg_size 136
		.amdhsa_user_sgpr_count 15
		.amdhsa_user_sgpr_dispatch_ptr 0
		.amdhsa_user_sgpr_queue_ptr 0
		.amdhsa_user_sgpr_kernarg_segment_ptr 1
		.amdhsa_user_sgpr_dispatch_id 0
		.amdhsa_user_sgpr_private_segment_size 0
		.amdhsa_wavefront_size32 1
		.amdhsa_uses_dynamic_stack 0
		.amdhsa_enable_private_segment 0
		.amdhsa_system_sgpr_workgroup_id_x 1
		.amdhsa_system_sgpr_workgroup_id_y 0
		.amdhsa_system_sgpr_workgroup_id_z 0
		.amdhsa_system_sgpr_workgroup_info 0
		.amdhsa_system_vgpr_workitem_id 0
		.amdhsa_next_free_vgpr 1
		.amdhsa_next_free_sgpr 1
		.amdhsa_reserve_vcc 0
		.amdhsa_float_round_mode_32 0
		.amdhsa_float_round_mode_16_64 0
		.amdhsa_float_denorm_mode_32 3
		.amdhsa_float_denorm_mode_16_64 3
		.amdhsa_dx10_clamp 1
		.amdhsa_ieee_mode 1
		.amdhsa_fp16_overflow 0
		.amdhsa_workgroup_processor_mode 1
		.amdhsa_memory_ordered 1
		.amdhsa_forward_progress 0
		.amdhsa_shared_vgpr_count 0
		.amdhsa_exception_fp_ieee_invalid_op 0
		.amdhsa_exception_fp_denorm_src 0
		.amdhsa_exception_fp_ieee_div_zero 0
		.amdhsa_exception_fp_ieee_overflow 0
		.amdhsa_exception_fp_ieee_underflow 0
		.amdhsa_exception_fp_ieee_inexact 0
		.amdhsa_exception_int_div_zero 0
	.end_amdhsa_kernel
	.section	.text._ZN7rocprim17ROCPRIM_400000_NS6detail17trampoline_kernelINS0_14default_configENS1_29reduce_by_key_config_selectorIyyN6thrust23THRUST_200600_302600_NS4plusIyEEEEZZNS1_33reduce_by_key_impl_wrapped_configILNS1_25lookback_scan_determinismE0ES3_S9_NS6_6detail15normal_iteratorINS6_10device_ptrIyEEEESG_SG_SG_PmS8_22is_equal_div_10_reduceIyEEE10hipError_tPvRmT2_T3_mT4_T5_T6_T7_T8_P12ihipStream_tbENKUlT_T0_E_clISt17integral_constantIbLb0EES10_IbLb1EEEEDaSW_SX_EUlSW_E_NS1_11comp_targetILNS1_3genE10ELNS1_11target_archE1201ELNS1_3gpuE5ELNS1_3repE0EEENS1_30default_config_static_selectorELNS0_4arch9wavefront6targetE0EEEvT1_,"axG",@progbits,_ZN7rocprim17ROCPRIM_400000_NS6detail17trampoline_kernelINS0_14default_configENS1_29reduce_by_key_config_selectorIyyN6thrust23THRUST_200600_302600_NS4plusIyEEEEZZNS1_33reduce_by_key_impl_wrapped_configILNS1_25lookback_scan_determinismE0ES3_S9_NS6_6detail15normal_iteratorINS6_10device_ptrIyEEEESG_SG_SG_PmS8_22is_equal_div_10_reduceIyEEE10hipError_tPvRmT2_T3_mT4_T5_T6_T7_T8_P12ihipStream_tbENKUlT_T0_E_clISt17integral_constantIbLb0EES10_IbLb1EEEEDaSW_SX_EUlSW_E_NS1_11comp_targetILNS1_3genE10ELNS1_11target_archE1201ELNS1_3gpuE5ELNS1_3repE0EEENS1_30default_config_static_selectorELNS0_4arch9wavefront6targetE0EEEvT1_,comdat
.Lfunc_end309:
	.size	_ZN7rocprim17ROCPRIM_400000_NS6detail17trampoline_kernelINS0_14default_configENS1_29reduce_by_key_config_selectorIyyN6thrust23THRUST_200600_302600_NS4plusIyEEEEZZNS1_33reduce_by_key_impl_wrapped_configILNS1_25lookback_scan_determinismE0ES3_S9_NS6_6detail15normal_iteratorINS6_10device_ptrIyEEEESG_SG_SG_PmS8_22is_equal_div_10_reduceIyEEE10hipError_tPvRmT2_T3_mT4_T5_T6_T7_T8_P12ihipStream_tbENKUlT_T0_E_clISt17integral_constantIbLb0EES10_IbLb1EEEEDaSW_SX_EUlSW_E_NS1_11comp_targetILNS1_3genE10ELNS1_11target_archE1201ELNS1_3gpuE5ELNS1_3repE0EEENS1_30default_config_static_selectorELNS0_4arch9wavefront6targetE0EEEvT1_, .Lfunc_end309-_ZN7rocprim17ROCPRIM_400000_NS6detail17trampoline_kernelINS0_14default_configENS1_29reduce_by_key_config_selectorIyyN6thrust23THRUST_200600_302600_NS4plusIyEEEEZZNS1_33reduce_by_key_impl_wrapped_configILNS1_25lookback_scan_determinismE0ES3_S9_NS6_6detail15normal_iteratorINS6_10device_ptrIyEEEESG_SG_SG_PmS8_22is_equal_div_10_reduceIyEEE10hipError_tPvRmT2_T3_mT4_T5_T6_T7_T8_P12ihipStream_tbENKUlT_T0_E_clISt17integral_constantIbLb0EES10_IbLb1EEEEDaSW_SX_EUlSW_E_NS1_11comp_targetILNS1_3genE10ELNS1_11target_archE1201ELNS1_3gpuE5ELNS1_3repE0EEENS1_30default_config_static_selectorELNS0_4arch9wavefront6targetE0EEEvT1_
                                        ; -- End function
	.section	.AMDGPU.csdata,"",@progbits
; Kernel info:
; codeLenInByte = 0
; NumSgprs: 0
; NumVgprs: 0
; ScratchSize: 0
; MemoryBound: 0
; FloatMode: 240
; IeeeMode: 1
; LDSByteSize: 0 bytes/workgroup (compile time only)
; SGPRBlocks: 0
; VGPRBlocks: 0
; NumSGPRsForWavesPerEU: 1
; NumVGPRsForWavesPerEU: 1
; Occupancy: 16
; WaveLimiterHint : 0
; COMPUTE_PGM_RSRC2:SCRATCH_EN: 0
; COMPUTE_PGM_RSRC2:USER_SGPR: 15
; COMPUTE_PGM_RSRC2:TRAP_HANDLER: 0
; COMPUTE_PGM_RSRC2:TGID_X_EN: 1
; COMPUTE_PGM_RSRC2:TGID_Y_EN: 0
; COMPUTE_PGM_RSRC2:TGID_Z_EN: 0
; COMPUTE_PGM_RSRC2:TIDIG_COMP_CNT: 0
	.section	.text._ZN7rocprim17ROCPRIM_400000_NS6detail17trampoline_kernelINS0_14default_configENS1_29reduce_by_key_config_selectorIyyN6thrust23THRUST_200600_302600_NS4plusIyEEEEZZNS1_33reduce_by_key_impl_wrapped_configILNS1_25lookback_scan_determinismE0ES3_S9_NS6_6detail15normal_iteratorINS6_10device_ptrIyEEEESG_SG_SG_PmS8_22is_equal_div_10_reduceIyEEE10hipError_tPvRmT2_T3_mT4_T5_T6_T7_T8_P12ihipStream_tbENKUlT_T0_E_clISt17integral_constantIbLb0EES10_IbLb1EEEEDaSW_SX_EUlSW_E_NS1_11comp_targetILNS1_3genE10ELNS1_11target_archE1200ELNS1_3gpuE4ELNS1_3repE0EEENS1_30default_config_static_selectorELNS0_4arch9wavefront6targetE0EEEvT1_,"axG",@progbits,_ZN7rocprim17ROCPRIM_400000_NS6detail17trampoline_kernelINS0_14default_configENS1_29reduce_by_key_config_selectorIyyN6thrust23THRUST_200600_302600_NS4plusIyEEEEZZNS1_33reduce_by_key_impl_wrapped_configILNS1_25lookback_scan_determinismE0ES3_S9_NS6_6detail15normal_iteratorINS6_10device_ptrIyEEEESG_SG_SG_PmS8_22is_equal_div_10_reduceIyEEE10hipError_tPvRmT2_T3_mT4_T5_T6_T7_T8_P12ihipStream_tbENKUlT_T0_E_clISt17integral_constantIbLb0EES10_IbLb1EEEEDaSW_SX_EUlSW_E_NS1_11comp_targetILNS1_3genE10ELNS1_11target_archE1200ELNS1_3gpuE4ELNS1_3repE0EEENS1_30default_config_static_selectorELNS0_4arch9wavefront6targetE0EEEvT1_,comdat
	.protected	_ZN7rocprim17ROCPRIM_400000_NS6detail17trampoline_kernelINS0_14default_configENS1_29reduce_by_key_config_selectorIyyN6thrust23THRUST_200600_302600_NS4plusIyEEEEZZNS1_33reduce_by_key_impl_wrapped_configILNS1_25lookback_scan_determinismE0ES3_S9_NS6_6detail15normal_iteratorINS6_10device_ptrIyEEEESG_SG_SG_PmS8_22is_equal_div_10_reduceIyEEE10hipError_tPvRmT2_T3_mT4_T5_T6_T7_T8_P12ihipStream_tbENKUlT_T0_E_clISt17integral_constantIbLb0EES10_IbLb1EEEEDaSW_SX_EUlSW_E_NS1_11comp_targetILNS1_3genE10ELNS1_11target_archE1200ELNS1_3gpuE4ELNS1_3repE0EEENS1_30default_config_static_selectorELNS0_4arch9wavefront6targetE0EEEvT1_ ; -- Begin function _ZN7rocprim17ROCPRIM_400000_NS6detail17trampoline_kernelINS0_14default_configENS1_29reduce_by_key_config_selectorIyyN6thrust23THRUST_200600_302600_NS4plusIyEEEEZZNS1_33reduce_by_key_impl_wrapped_configILNS1_25lookback_scan_determinismE0ES3_S9_NS6_6detail15normal_iteratorINS6_10device_ptrIyEEEESG_SG_SG_PmS8_22is_equal_div_10_reduceIyEEE10hipError_tPvRmT2_T3_mT4_T5_T6_T7_T8_P12ihipStream_tbENKUlT_T0_E_clISt17integral_constantIbLb0EES10_IbLb1EEEEDaSW_SX_EUlSW_E_NS1_11comp_targetILNS1_3genE10ELNS1_11target_archE1200ELNS1_3gpuE4ELNS1_3repE0EEENS1_30default_config_static_selectorELNS0_4arch9wavefront6targetE0EEEvT1_
	.globl	_ZN7rocprim17ROCPRIM_400000_NS6detail17trampoline_kernelINS0_14default_configENS1_29reduce_by_key_config_selectorIyyN6thrust23THRUST_200600_302600_NS4plusIyEEEEZZNS1_33reduce_by_key_impl_wrapped_configILNS1_25lookback_scan_determinismE0ES3_S9_NS6_6detail15normal_iteratorINS6_10device_ptrIyEEEESG_SG_SG_PmS8_22is_equal_div_10_reduceIyEEE10hipError_tPvRmT2_T3_mT4_T5_T6_T7_T8_P12ihipStream_tbENKUlT_T0_E_clISt17integral_constantIbLb0EES10_IbLb1EEEEDaSW_SX_EUlSW_E_NS1_11comp_targetILNS1_3genE10ELNS1_11target_archE1200ELNS1_3gpuE4ELNS1_3repE0EEENS1_30default_config_static_selectorELNS0_4arch9wavefront6targetE0EEEvT1_
	.p2align	8
	.type	_ZN7rocprim17ROCPRIM_400000_NS6detail17trampoline_kernelINS0_14default_configENS1_29reduce_by_key_config_selectorIyyN6thrust23THRUST_200600_302600_NS4plusIyEEEEZZNS1_33reduce_by_key_impl_wrapped_configILNS1_25lookback_scan_determinismE0ES3_S9_NS6_6detail15normal_iteratorINS6_10device_ptrIyEEEESG_SG_SG_PmS8_22is_equal_div_10_reduceIyEEE10hipError_tPvRmT2_T3_mT4_T5_T6_T7_T8_P12ihipStream_tbENKUlT_T0_E_clISt17integral_constantIbLb0EES10_IbLb1EEEEDaSW_SX_EUlSW_E_NS1_11comp_targetILNS1_3genE10ELNS1_11target_archE1200ELNS1_3gpuE4ELNS1_3repE0EEENS1_30default_config_static_selectorELNS0_4arch9wavefront6targetE0EEEvT1_,@function
_ZN7rocprim17ROCPRIM_400000_NS6detail17trampoline_kernelINS0_14default_configENS1_29reduce_by_key_config_selectorIyyN6thrust23THRUST_200600_302600_NS4plusIyEEEEZZNS1_33reduce_by_key_impl_wrapped_configILNS1_25lookback_scan_determinismE0ES3_S9_NS6_6detail15normal_iteratorINS6_10device_ptrIyEEEESG_SG_SG_PmS8_22is_equal_div_10_reduceIyEEE10hipError_tPvRmT2_T3_mT4_T5_T6_T7_T8_P12ihipStream_tbENKUlT_T0_E_clISt17integral_constantIbLb0EES10_IbLb1EEEEDaSW_SX_EUlSW_E_NS1_11comp_targetILNS1_3genE10ELNS1_11target_archE1200ELNS1_3gpuE4ELNS1_3repE0EEENS1_30default_config_static_selectorELNS0_4arch9wavefront6targetE0EEEvT1_: ; @_ZN7rocprim17ROCPRIM_400000_NS6detail17trampoline_kernelINS0_14default_configENS1_29reduce_by_key_config_selectorIyyN6thrust23THRUST_200600_302600_NS4plusIyEEEEZZNS1_33reduce_by_key_impl_wrapped_configILNS1_25lookback_scan_determinismE0ES3_S9_NS6_6detail15normal_iteratorINS6_10device_ptrIyEEEESG_SG_SG_PmS8_22is_equal_div_10_reduceIyEEE10hipError_tPvRmT2_T3_mT4_T5_T6_T7_T8_P12ihipStream_tbENKUlT_T0_E_clISt17integral_constantIbLb0EES10_IbLb1EEEEDaSW_SX_EUlSW_E_NS1_11comp_targetILNS1_3genE10ELNS1_11target_archE1200ELNS1_3gpuE4ELNS1_3repE0EEENS1_30default_config_static_selectorELNS0_4arch9wavefront6targetE0EEEvT1_
; %bb.0:
	.section	.rodata,"a",@progbits
	.p2align	6, 0x0
	.amdhsa_kernel _ZN7rocprim17ROCPRIM_400000_NS6detail17trampoline_kernelINS0_14default_configENS1_29reduce_by_key_config_selectorIyyN6thrust23THRUST_200600_302600_NS4plusIyEEEEZZNS1_33reduce_by_key_impl_wrapped_configILNS1_25lookback_scan_determinismE0ES3_S9_NS6_6detail15normal_iteratorINS6_10device_ptrIyEEEESG_SG_SG_PmS8_22is_equal_div_10_reduceIyEEE10hipError_tPvRmT2_T3_mT4_T5_T6_T7_T8_P12ihipStream_tbENKUlT_T0_E_clISt17integral_constantIbLb0EES10_IbLb1EEEEDaSW_SX_EUlSW_E_NS1_11comp_targetILNS1_3genE10ELNS1_11target_archE1200ELNS1_3gpuE4ELNS1_3repE0EEENS1_30default_config_static_selectorELNS0_4arch9wavefront6targetE0EEEvT1_
		.amdhsa_group_segment_fixed_size 0
		.amdhsa_private_segment_fixed_size 0
		.amdhsa_kernarg_size 136
		.amdhsa_user_sgpr_count 15
		.amdhsa_user_sgpr_dispatch_ptr 0
		.amdhsa_user_sgpr_queue_ptr 0
		.amdhsa_user_sgpr_kernarg_segment_ptr 1
		.amdhsa_user_sgpr_dispatch_id 0
		.amdhsa_user_sgpr_private_segment_size 0
		.amdhsa_wavefront_size32 1
		.amdhsa_uses_dynamic_stack 0
		.amdhsa_enable_private_segment 0
		.amdhsa_system_sgpr_workgroup_id_x 1
		.amdhsa_system_sgpr_workgroup_id_y 0
		.amdhsa_system_sgpr_workgroup_id_z 0
		.amdhsa_system_sgpr_workgroup_info 0
		.amdhsa_system_vgpr_workitem_id 0
		.amdhsa_next_free_vgpr 1
		.amdhsa_next_free_sgpr 1
		.amdhsa_reserve_vcc 0
		.amdhsa_float_round_mode_32 0
		.amdhsa_float_round_mode_16_64 0
		.amdhsa_float_denorm_mode_32 3
		.amdhsa_float_denorm_mode_16_64 3
		.amdhsa_dx10_clamp 1
		.amdhsa_ieee_mode 1
		.amdhsa_fp16_overflow 0
		.amdhsa_workgroup_processor_mode 1
		.amdhsa_memory_ordered 1
		.amdhsa_forward_progress 0
		.amdhsa_shared_vgpr_count 0
		.amdhsa_exception_fp_ieee_invalid_op 0
		.amdhsa_exception_fp_denorm_src 0
		.amdhsa_exception_fp_ieee_div_zero 0
		.amdhsa_exception_fp_ieee_overflow 0
		.amdhsa_exception_fp_ieee_underflow 0
		.amdhsa_exception_fp_ieee_inexact 0
		.amdhsa_exception_int_div_zero 0
	.end_amdhsa_kernel
	.section	.text._ZN7rocprim17ROCPRIM_400000_NS6detail17trampoline_kernelINS0_14default_configENS1_29reduce_by_key_config_selectorIyyN6thrust23THRUST_200600_302600_NS4plusIyEEEEZZNS1_33reduce_by_key_impl_wrapped_configILNS1_25lookback_scan_determinismE0ES3_S9_NS6_6detail15normal_iteratorINS6_10device_ptrIyEEEESG_SG_SG_PmS8_22is_equal_div_10_reduceIyEEE10hipError_tPvRmT2_T3_mT4_T5_T6_T7_T8_P12ihipStream_tbENKUlT_T0_E_clISt17integral_constantIbLb0EES10_IbLb1EEEEDaSW_SX_EUlSW_E_NS1_11comp_targetILNS1_3genE10ELNS1_11target_archE1200ELNS1_3gpuE4ELNS1_3repE0EEENS1_30default_config_static_selectorELNS0_4arch9wavefront6targetE0EEEvT1_,"axG",@progbits,_ZN7rocprim17ROCPRIM_400000_NS6detail17trampoline_kernelINS0_14default_configENS1_29reduce_by_key_config_selectorIyyN6thrust23THRUST_200600_302600_NS4plusIyEEEEZZNS1_33reduce_by_key_impl_wrapped_configILNS1_25lookback_scan_determinismE0ES3_S9_NS6_6detail15normal_iteratorINS6_10device_ptrIyEEEESG_SG_SG_PmS8_22is_equal_div_10_reduceIyEEE10hipError_tPvRmT2_T3_mT4_T5_T6_T7_T8_P12ihipStream_tbENKUlT_T0_E_clISt17integral_constantIbLb0EES10_IbLb1EEEEDaSW_SX_EUlSW_E_NS1_11comp_targetILNS1_3genE10ELNS1_11target_archE1200ELNS1_3gpuE4ELNS1_3repE0EEENS1_30default_config_static_selectorELNS0_4arch9wavefront6targetE0EEEvT1_,comdat
.Lfunc_end310:
	.size	_ZN7rocprim17ROCPRIM_400000_NS6detail17trampoline_kernelINS0_14default_configENS1_29reduce_by_key_config_selectorIyyN6thrust23THRUST_200600_302600_NS4plusIyEEEEZZNS1_33reduce_by_key_impl_wrapped_configILNS1_25lookback_scan_determinismE0ES3_S9_NS6_6detail15normal_iteratorINS6_10device_ptrIyEEEESG_SG_SG_PmS8_22is_equal_div_10_reduceIyEEE10hipError_tPvRmT2_T3_mT4_T5_T6_T7_T8_P12ihipStream_tbENKUlT_T0_E_clISt17integral_constantIbLb0EES10_IbLb1EEEEDaSW_SX_EUlSW_E_NS1_11comp_targetILNS1_3genE10ELNS1_11target_archE1200ELNS1_3gpuE4ELNS1_3repE0EEENS1_30default_config_static_selectorELNS0_4arch9wavefront6targetE0EEEvT1_, .Lfunc_end310-_ZN7rocprim17ROCPRIM_400000_NS6detail17trampoline_kernelINS0_14default_configENS1_29reduce_by_key_config_selectorIyyN6thrust23THRUST_200600_302600_NS4plusIyEEEEZZNS1_33reduce_by_key_impl_wrapped_configILNS1_25lookback_scan_determinismE0ES3_S9_NS6_6detail15normal_iteratorINS6_10device_ptrIyEEEESG_SG_SG_PmS8_22is_equal_div_10_reduceIyEEE10hipError_tPvRmT2_T3_mT4_T5_T6_T7_T8_P12ihipStream_tbENKUlT_T0_E_clISt17integral_constantIbLb0EES10_IbLb1EEEEDaSW_SX_EUlSW_E_NS1_11comp_targetILNS1_3genE10ELNS1_11target_archE1200ELNS1_3gpuE4ELNS1_3repE0EEENS1_30default_config_static_selectorELNS0_4arch9wavefront6targetE0EEEvT1_
                                        ; -- End function
	.section	.AMDGPU.csdata,"",@progbits
; Kernel info:
; codeLenInByte = 0
; NumSgprs: 0
; NumVgprs: 0
; ScratchSize: 0
; MemoryBound: 0
; FloatMode: 240
; IeeeMode: 1
; LDSByteSize: 0 bytes/workgroup (compile time only)
; SGPRBlocks: 0
; VGPRBlocks: 0
; NumSGPRsForWavesPerEU: 1
; NumVGPRsForWavesPerEU: 1
; Occupancy: 16
; WaveLimiterHint : 0
; COMPUTE_PGM_RSRC2:SCRATCH_EN: 0
; COMPUTE_PGM_RSRC2:USER_SGPR: 15
; COMPUTE_PGM_RSRC2:TRAP_HANDLER: 0
; COMPUTE_PGM_RSRC2:TGID_X_EN: 1
; COMPUTE_PGM_RSRC2:TGID_Y_EN: 0
; COMPUTE_PGM_RSRC2:TGID_Z_EN: 0
; COMPUTE_PGM_RSRC2:TIDIG_COMP_CNT: 0
	.section	.text._ZN7rocprim17ROCPRIM_400000_NS6detail17trampoline_kernelINS0_14default_configENS1_29reduce_by_key_config_selectorIyyN6thrust23THRUST_200600_302600_NS4plusIyEEEEZZNS1_33reduce_by_key_impl_wrapped_configILNS1_25lookback_scan_determinismE0ES3_S9_NS6_6detail15normal_iteratorINS6_10device_ptrIyEEEESG_SG_SG_PmS8_22is_equal_div_10_reduceIyEEE10hipError_tPvRmT2_T3_mT4_T5_T6_T7_T8_P12ihipStream_tbENKUlT_T0_E_clISt17integral_constantIbLb0EES10_IbLb1EEEEDaSW_SX_EUlSW_E_NS1_11comp_targetILNS1_3genE9ELNS1_11target_archE1100ELNS1_3gpuE3ELNS1_3repE0EEENS1_30default_config_static_selectorELNS0_4arch9wavefront6targetE0EEEvT1_,"axG",@progbits,_ZN7rocprim17ROCPRIM_400000_NS6detail17trampoline_kernelINS0_14default_configENS1_29reduce_by_key_config_selectorIyyN6thrust23THRUST_200600_302600_NS4plusIyEEEEZZNS1_33reduce_by_key_impl_wrapped_configILNS1_25lookback_scan_determinismE0ES3_S9_NS6_6detail15normal_iteratorINS6_10device_ptrIyEEEESG_SG_SG_PmS8_22is_equal_div_10_reduceIyEEE10hipError_tPvRmT2_T3_mT4_T5_T6_T7_T8_P12ihipStream_tbENKUlT_T0_E_clISt17integral_constantIbLb0EES10_IbLb1EEEEDaSW_SX_EUlSW_E_NS1_11comp_targetILNS1_3genE9ELNS1_11target_archE1100ELNS1_3gpuE3ELNS1_3repE0EEENS1_30default_config_static_selectorELNS0_4arch9wavefront6targetE0EEEvT1_,comdat
	.protected	_ZN7rocprim17ROCPRIM_400000_NS6detail17trampoline_kernelINS0_14default_configENS1_29reduce_by_key_config_selectorIyyN6thrust23THRUST_200600_302600_NS4plusIyEEEEZZNS1_33reduce_by_key_impl_wrapped_configILNS1_25lookback_scan_determinismE0ES3_S9_NS6_6detail15normal_iteratorINS6_10device_ptrIyEEEESG_SG_SG_PmS8_22is_equal_div_10_reduceIyEEE10hipError_tPvRmT2_T3_mT4_T5_T6_T7_T8_P12ihipStream_tbENKUlT_T0_E_clISt17integral_constantIbLb0EES10_IbLb1EEEEDaSW_SX_EUlSW_E_NS1_11comp_targetILNS1_3genE9ELNS1_11target_archE1100ELNS1_3gpuE3ELNS1_3repE0EEENS1_30default_config_static_selectorELNS0_4arch9wavefront6targetE0EEEvT1_ ; -- Begin function _ZN7rocprim17ROCPRIM_400000_NS6detail17trampoline_kernelINS0_14default_configENS1_29reduce_by_key_config_selectorIyyN6thrust23THRUST_200600_302600_NS4plusIyEEEEZZNS1_33reduce_by_key_impl_wrapped_configILNS1_25lookback_scan_determinismE0ES3_S9_NS6_6detail15normal_iteratorINS6_10device_ptrIyEEEESG_SG_SG_PmS8_22is_equal_div_10_reduceIyEEE10hipError_tPvRmT2_T3_mT4_T5_T6_T7_T8_P12ihipStream_tbENKUlT_T0_E_clISt17integral_constantIbLb0EES10_IbLb1EEEEDaSW_SX_EUlSW_E_NS1_11comp_targetILNS1_3genE9ELNS1_11target_archE1100ELNS1_3gpuE3ELNS1_3repE0EEENS1_30default_config_static_selectorELNS0_4arch9wavefront6targetE0EEEvT1_
	.globl	_ZN7rocprim17ROCPRIM_400000_NS6detail17trampoline_kernelINS0_14default_configENS1_29reduce_by_key_config_selectorIyyN6thrust23THRUST_200600_302600_NS4plusIyEEEEZZNS1_33reduce_by_key_impl_wrapped_configILNS1_25lookback_scan_determinismE0ES3_S9_NS6_6detail15normal_iteratorINS6_10device_ptrIyEEEESG_SG_SG_PmS8_22is_equal_div_10_reduceIyEEE10hipError_tPvRmT2_T3_mT4_T5_T6_T7_T8_P12ihipStream_tbENKUlT_T0_E_clISt17integral_constantIbLb0EES10_IbLb1EEEEDaSW_SX_EUlSW_E_NS1_11comp_targetILNS1_3genE9ELNS1_11target_archE1100ELNS1_3gpuE3ELNS1_3repE0EEENS1_30default_config_static_selectorELNS0_4arch9wavefront6targetE0EEEvT1_
	.p2align	8
	.type	_ZN7rocprim17ROCPRIM_400000_NS6detail17trampoline_kernelINS0_14default_configENS1_29reduce_by_key_config_selectorIyyN6thrust23THRUST_200600_302600_NS4plusIyEEEEZZNS1_33reduce_by_key_impl_wrapped_configILNS1_25lookback_scan_determinismE0ES3_S9_NS6_6detail15normal_iteratorINS6_10device_ptrIyEEEESG_SG_SG_PmS8_22is_equal_div_10_reduceIyEEE10hipError_tPvRmT2_T3_mT4_T5_T6_T7_T8_P12ihipStream_tbENKUlT_T0_E_clISt17integral_constantIbLb0EES10_IbLb1EEEEDaSW_SX_EUlSW_E_NS1_11comp_targetILNS1_3genE9ELNS1_11target_archE1100ELNS1_3gpuE3ELNS1_3repE0EEENS1_30default_config_static_selectorELNS0_4arch9wavefront6targetE0EEEvT1_,@function
_ZN7rocprim17ROCPRIM_400000_NS6detail17trampoline_kernelINS0_14default_configENS1_29reduce_by_key_config_selectorIyyN6thrust23THRUST_200600_302600_NS4plusIyEEEEZZNS1_33reduce_by_key_impl_wrapped_configILNS1_25lookback_scan_determinismE0ES3_S9_NS6_6detail15normal_iteratorINS6_10device_ptrIyEEEESG_SG_SG_PmS8_22is_equal_div_10_reduceIyEEE10hipError_tPvRmT2_T3_mT4_T5_T6_T7_T8_P12ihipStream_tbENKUlT_T0_E_clISt17integral_constantIbLb0EES10_IbLb1EEEEDaSW_SX_EUlSW_E_NS1_11comp_targetILNS1_3genE9ELNS1_11target_archE1100ELNS1_3gpuE3ELNS1_3repE0EEENS1_30default_config_static_selectorELNS0_4arch9wavefront6targetE0EEEvT1_: ; @_ZN7rocprim17ROCPRIM_400000_NS6detail17trampoline_kernelINS0_14default_configENS1_29reduce_by_key_config_selectorIyyN6thrust23THRUST_200600_302600_NS4plusIyEEEEZZNS1_33reduce_by_key_impl_wrapped_configILNS1_25lookback_scan_determinismE0ES3_S9_NS6_6detail15normal_iteratorINS6_10device_ptrIyEEEESG_SG_SG_PmS8_22is_equal_div_10_reduceIyEEE10hipError_tPvRmT2_T3_mT4_T5_T6_T7_T8_P12ihipStream_tbENKUlT_T0_E_clISt17integral_constantIbLb0EES10_IbLb1EEEEDaSW_SX_EUlSW_E_NS1_11comp_targetILNS1_3genE9ELNS1_11target_archE1100ELNS1_3gpuE3ELNS1_3repE0EEENS1_30default_config_static_selectorELNS0_4arch9wavefront6targetE0EEEvT1_
; %bb.0:
	s_clause 0x2
	s_load_b256 s[12:19], s[0:1], 0x0
	s_load_b128 s[20:23], s[0:1], 0x20
	s_load_b64 s[24:25], s[0:1], 0x78
	v_cmp_ne_u32_e64 s3, 0, v0
	v_cmp_eq_u32_e64 s2, 0, v0
	s_delay_alu instid0(VALU_DEP_1)
	s_and_saveexec_b32 s4, s2
	s_cbranch_execz .LBB311_4
; %bb.1:
	s_mov_b32 s6, exec_lo
	s_mov_b32 s5, exec_lo
	v_mbcnt_lo_u32_b32 v1, s6, 0
                                        ; implicit-def: $vgpr2
	s_delay_alu instid0(VALU_DEP_1)
	v_cmpx_eq_u32_e32 0, v1
	s_cbranch_execz .LBB311_3
; %bb.2:
	s_load_b64 s[8:9], s[0:1], 0x80
	s_bcnt1_i32_b32 s6, s6
	s_delay_alu instid0(SALU_CYCLE_1)
	v_dual_mov_b32 v2, 0 :: v_dual_mov_b32 v3, s6
	s_waitcnt lgkmcnt(0)
	global_atomic_add_u32 v2, v2, v3, s[8:9] glc
.LBB311_3:
	s_or_b32 exec_lo, exec_lo, s5
	s_waitcnt vmcnt(0)
	v_readfirstlane_b32 s5, v2
	s_delay_alu instid0(VALU_DEP_1)
	v_dual_mov_b32 v2, 0 :: v_dual_add_nc_u32 v1, s5, v1
	ds_store_b32 v2, v1
.LBB311_4:
	s_or_b32 exec_lo, exec_lo, s4
	v_mov_b32_e32 v2, 0
	s_waitcnt lgkmcnt(0)
	s_barrier
	buffer_gl0_inv
	s_load_b512 s[36:51], s[0:1], 0x38
	ds_load_b32 v1, v2
	s_lshl_b64 s[4:5], s[14:15], 3
	s_mov_b32 s0, 0
	s_add_u32 s9, s12, s4
	s_addc_u32 s10, s13, s5
	s_add_u32 s11, s16, s4
	s_addc_u32 s12, s17, s5
	s_waitcnt lgkmcnt(0)
	s_barrier
	buffer_gl0_inv
	s_mul_i32 s1, s44, s43
	v_readfirstlane_b32 s30, v1
	v_mul_lo_u32 v1, 0xf00, v1
	s_mul_hi_u32 s6, s44, s42
	s_mul_i32 s7, s45, s42
	s_add_i32 s1, s6, s1
	s_mul_i32 s8, s44, s42
	s_add_i32 s1, s1, s7
	s_add_u32 s26, s8, s30
	s_addc_u32 s27, s1, 0
	v_lshlrev_b64 v[1:2], 3, v[1:2]
	s_add_u32 s4, s46, -1
	s_addc_u32 s5, s47, -1
	s_mul_i32 s28, s4, 0xfffff100
	s_cmp_eq_u64 s[26:27], s[4:5]
	s_delay_alu instid0(VALU_DEP_1)
	v_add_co_u32 v71, vcc_lo, s9, v1
	v_add_co_ci_u32_e32 v75, vcc_lo, s10, v2, vcc_lo
	v_add_co_u32 v61, vcc_lo, s11, v1
	v_add_co_ci_u32_e32 v62, vcc_lo, s12, v2, vcc_lo
	s_cselect_b32 s17, -1, 0
	s_cmp_lg_u64 s[26:27], s[4:5]
	s_cselect_b32 s31, -1, 0
	s_and_b32 vcc_lo, exec_lo, s17
	s_cbranch_vccnz .LBB311_6
; %bb.5:
	v_lshlrev_b32_e32 v64, 3, v0
	s_delay_alu instid0(VALU_DEP_1) | instskip(SKIP_2) | instid1(VALU_DEP_3)
	v_add_co_u32 v1, vcc_lo, v71, v64
	v_add_co_ci_u32_e32 v2, vcc_lo, 0, v75, vcc_lo
	v_mad_u32_u24 v63, 0x70, v0, v64
	v_add_co_u32 v3, vcc_lo, 0x1000, v1
	s_delay_alu instid0(VALU_DEP_3)
	v_add_co_ci_u32_e32 v4, vcc_lo, 0, v2, vcc_lo
	v_add_co_u32 v5, vcc_lo, 0x2000, v1
	v_add_co_ci_u32_e32 v6, vcc_lo, 0, v2, vcc_lo
	v_add_co_u32 v7, vcc_lo, 0x3000, v1
	;; [unrolled: 2-line block ×5, first 2 shown]
	v_add_co_ci_u32_e32 v24, vcc_lo, 0, v2, vcc_lo
	s_clause 0x7
	flat_load_b64 v[9:10], v[1:2]
	flat_load_b64 v[11:12], v[1:2] offset:2048
	flat_load_b64 v[13:14], v[3:4]
	flat_load_b64 v[3:4], v[3:4] offset:2048
	;; [unrolled: 2-line block ×4, first 2 shown]
	v_add_co_u32 v1, vcc_lo, 0x7000, v1
	v_add_co_ci_u32_e32 v2, vcc_lo, 0, v2, vcc_lo
	s_clause 0x6
	flat_load_b64 v[25:26], v[19:20]
	flat_load_b64 v[19:20], v[19:20] offset:2048
	flat_load_b64 v[27:28], v[21:22]
	flat_load_b64 v[21:22], v[21:22] offset:2048
	;; [unrolled: 2-line block ×3, first 2 shown]
	flat_load_b64 v[1:2], v[1:2]
	v_add_co_u32 v31, vcc_lo, v61, v64
	v_add_co_ci_u32_e32 v32, vcc_lo, 0, v62, vcc_lo
	s_waitcnt vmcnt(13) lgkmcnt(13)
	ds_store_2addr_stride64_b64 v64, v[9:10], v[11:12] offset1:4
	s_waitcnt vmcnt(11) lgkmcnt(12)
	ds_store_2addr_stride64_b64 v64, v[13:14], v[3:4] offset0:8 offset1:12
	s_waitcnt vmcnt(9) lgkmcnt(11)
	ds_store_2addr_stride64_b64 v64, v[15:16], v[5:6] offset0:16 offset1:20
	;; [unrolled: 2-line block ×6, first 2 shown]
	s_waitcnt vmcnt(0) lgkmcnt(7)
	ds_store_b64 v64, v[1:2] offset:28672
	v_add_co_u32 v33, vcc_lo, 0x1000, v31
	v_add_co_ci_u32_e32 v34, vcc_lo, 0, v32, vcc_lo
	v_add_co_u32 v35, vcc_lo, 0x2000, v31
	v_add_co_ci_u32_e32 v36, vcc_lo, 0, v32, vcc_lo
	;; [unrolled: 2-line block ×7, first 2 shown]
	s_waitcnt lgkmcnt(0)
	s_barrier
	buffer_gl0_inv
	ds_load_2addr_b64 v[25:28], v63 offset1:1
	ds_load_2addr_b64 v[21:24], v63 offset0:2 offset1:3
	ds_load_2addr_b64 v[17:20], v63 offset0:4 offset1:5
	;; [unrolled: 1-line block ×6, first 2 shown]
	ds_load_b64 v[57:58], v63 offset:112
	s_waitcnt lgkmcnt(0)
	s_barrier
	buffer_gl0_inv
	s_clause 0xe
	flat_load_b64 v[29:30], v[31:32]
	flat_load_b64 v[31:32], v[31:32] offset:2048
	flat_load_b64 v[47:48], v[33:34]
	flat_load_b64 v[33:34], v[33:34] offset:2048
	;; [unrolled: 2-line block ×7, first 2 shown]
	flat_load_b64 v[45:46], v[45:46]
	s_waitcnt vmcnt(13) lgkmcnt(13)
	ds_store_2addr_stride64_b64 v64, v[29:30], v[31:32] offset1:4
	s_waitcnt vmcnt(11) lgkmcnt(12)
	ds_store_2addr_stride64_b64 v64, v[47:48], v[33:34] offset0:8 offset1:12
	s_waitcnt vmcnt(9) lgkmcnt(11)
	ds_store_2addr_stride64_b64 v64, v[49:50], v[35:36] offset0:16 offset1:20
	;; [unrolled: 2-line block ×6, first 2 shown]
	s_waitcnt vmcnt(0) lgkmcnt(7)
	ds_store_b64 v64, v[45:46] offset:28672
	s_waitcnt lgkmcnt(0)
	s_barrier
	s_and_not1_b32 vcc_lo, exec_lo, s0
	s_add_i32 s28, s28, s48
	s_cbranch_vccz .LBB311_7
	s_branch .LBB311_54
.LBB311_6:
                                        ; implicit-def: $vgpr63
                                        ; implicit-def: $vgpr25_vgpr26
                                        ; implicit-def: $vgpr21_vgpr22
                                        ; implicit-def: $vgpr17_vgpr18
                                        ; implicit-def: $vgpr13_vgpr14
                                        ; implicit-def: $vgpr9_vgpr10
                                        ; implicit-def: $vgpr5_vgpr6
                                        ; implicit-def: $vgpr1_vgpr2
                                        ; implicit-def: $vgpr57_vgpr58
	s_add_i32 s28, s28, s48
.LBB311_7:
	s_delay_alu instid0(SALU_CYCLE_1)
	v_cmp_gt_u32_e32 vcc_lo, s28, v0
                                        ; implicit-def: $vgpr1_vgpr2
	s_and_saveexec_b32 s1, vcc_lo
	s_cbranch_execz .LBB311_9
; %bb.8:
	v_lshlrev_b32_e32 v1, 3, v0
	s_delay_alu instid0(VALU_DEP_1) | instskip(NEXT) | instid1(VALU_DEP_1)
	v_add_co_u32 v1, s0, v71, v1
	v_add_co_ci_u32_e64 v2, s0, 0, v75, s0
	flat_load_b64 v[1:2], v[1:2]
.LBB311_9:
	s_or_b32 exec_lo, exec_lo, s1
	v_or_b32_e32 v3, 0x100, v0
	s_delay_alu instid0(VALU_DEP_1) | instskip(NEXT) | instid1(VALU_DEP_1)
	v_cmp_gt_u32_e64 s0, s28, v3
                                        ; implicit-def: $vgpr3_vgpr4
	s_and_saveexec_b32 s4, s0
	s_cbranch_execz .LBB311_11
; %bb.10:
	v_lshlrev_b32_e32 v3, 3, v0
	s_delay_alu instid0(VALU_DEP_1) | instskip(NEXT) | instid1(VALU_DEP_1)
	v_add_co_u32 v3, s1, v71, v3
	v_add_co_ci_u32_e64 v4, s1, 0, v75, s1
	flat_load_b64 v[3:4], v[3:4] offset:2048
.LBB311_11:
	s_or_b32 exec_lo, exec_lo, s4
	v_or_b32_e32 v5, 0x200, v0
	s_delay_alu instid0(VALU_DEP_1) | instskip(SKIP_1) | instid1(VALU_DEP_2)
	v_cmp_gt_u32_e64 s1, s28, v5
	v_lshlrev_b32_e32 v35, 3, v5
                                        ; implicit-def: $vgpr5_vgpr6
	s_and_saveexec_b32 s5, s1
	s_cbranch_execz .LBB311_13
; %bb.12:
	s_delay_alu instid0(VALU_DEP_1) | instskip(NEXT) | instid1(VALU_DEP_1)
	v_add_co_u32 v5, s4, v71, v35
	v_add_co_ci_u32_e64 v6, s4, 0, v75, s4
	flat_load_b64 v[5:6], v[5:6]
.LBB311_13:
	s_or_b32 exec_lo, exec_lo, s5
	v_or_b32_e32 v7, 0x300, v0
	s_delay_alu instid0(VALU_DEP_1) | instskip(SKIP_1) | instid1(VALU_DEP_2)
	v_cmp_gt_u32_e64 s4, s28, v7
	v_lshlrev_b32_e32 v37, 3, v7
                                        ; implicit-def: $vgpr7_vgpr8
	s_and_saveexec_b32 s6, s4
	s_cbranch_execz .LBB311_15
; %bb.14:
	s_delay_alu instid0(VALU_DEP_1) | instskip(NEXT) | instid1(VALU_DEP_1)
	v_add_co_u32 v7, s5, v71, v37
	v_add_co_ci_u32_e64 v8, s5, 0, v75, s5
	flat_load_b64 v[7:8], v[7:8]
.LBB311_15:
	s_or_b32 exec_lo, exec_lo, s6
	v_or_b32_e32 v9, 0x400, v0
	s_delay_alu instid0(VALU_DEP_1) | instskip(SKIP_1) | instid1(VALU_DEP_2)
	v_cmp_gt_u32_e64 s5, s28, v9
	v_lshlrev_b32_e32 v39, 3, v9
                                        ; implicit-def: $vgpr9_vgpr10
	s_and_saveexec_b32 s7, s5
	s_cbranch_execz .LBB311_17
; %bb.16:
	s_delay_alu instid0(VALU_DEP_1) | instskip(NEXT) | instid1(VALU_DEP_1)
	v_add_co_u32 v9, s6, v71, v39
	v_add_co_ci_u32_e64 v10, s6, 0, v75, s6
	flat_load_b64 v[9:10], v[9:10]
.LBB311_17:
	s_or_b32 exec_lo, exec_lo, s7
	v_or_b32_e32 v11, 0x500, v0
	s_delay_alu instid0(VALU_DEP_1) | instskip(SKIP_1) | instid1(VALU_DEP_2)
	v_cmp_gt_u32_e64 s6, s28, v11
	v_lshlrev_b32_e32 v41, 3, v11
                                        ; implicit-def: $vgpr11_vgpr12
	s_and_saveexec_b32 s8, s6
	s_cbranch_execz .LBB311_19
; %bb.18:
	s_delay_alu instid0(VALU_DEP_1) | instskip(NEXT) | instid1(VALU_DEP_1)
	v_add_co_u32 v11, s7, v71, v41
	v_add_co_ci_u32_e64 v12, s7, 0, v75, s7
	flat_load_b64 v[11:12], v[11:12]
.LBB311_19:
	s_or_b32 exec_lo, exec_lo, s8
	v_or_b32_e32 v13, 0x600, v0
	s_delay_alu instid0(VALU_DEP_1) | instskip(SKIP_1) | instid1(VALU_DEP_2)
	v_cmp_gt_u32_e64 s7, s28, v13
	v_lshlrev_b32_e32 v43, 3, v13
                                        ; implicit-def: $vgpr13_vgpr14
	s_and_saveexec_b32 s9, s7
	s_cbranch_execz .LBB311_21
; %bb.20:
	s_delay_alu instid0(VALU_DEP_1) | instskip(NEXT) | instid1(VALU_DEP_1)
	v_add_co_u32 v13, s8, v71, v43
	v_add_co_ci_u32_e64 v14, s8, 0, v75, s8
	flat_load_b64 v[13:14], v[13:14]
.LBB311_21:
	s_or_b32 exec_lo, exec_lo, s9
	v_or_b32_e32 v15, 0x700, v0
	s_delay_alu instid0(VALU_DEP_1) | instskip(SKIP_1) | instid1(VALU_DEP_2)
	v_cmp_gt_u32_e64 s8, s28, v15
	v_lshlrev_b32_e32 v45, 3, v15
                                        ; implicit-def: $vgpr15_vgpr16
	s_and_saveexec_b32 s10, s8
	s_cbranch_execz .LBB311_23
; %bb.22:
	s_delay_alu instid0(VALU_DEP_1) | instskip(NEXT) | instid1(VALU_DEP_1)
	v_add_co_u32 v15, s9, v71, v45
	v_add_co_ci_u32_e64 v16, s9, 0, v75, s9
	flat_load_b64 v[15:16], v[15:16]
.LBB311_23:
	s_or_b32 exec_lo, exec_lo, s10
	v_or_b32_e32 v17, 0x800, v0
	s_delay_alu instid0(VALU_DEP_1) | instskip(SKIP_1) | instid1(VALU_DEP_2)
	v_cmp_gt_u32_e64 s9, s28, v17
	v_lshlrev_b32_e32 v47, 3, v17
                                        ; implicit-def: $vgpr17_vgpr18
	s_and_saveexec_b32 s11, s9
	s_cbranch_execz .LBB311_25
; %bb.24:
	s_delay_alu instid0(VALU_DEP_1) | instskip(NEXT) | instid1(VALU_DEP_1)
	v_add_co_u32 v17, s10, v71, v47
	v_add_co_ci_u32_e64 v18, s10, 0, v75, s10
	flat_load_b64 v[17:18], v[17:18]
.LBB311_25:
	s_or_b32 exec_lo, exec_lo, s11
	v_or_b32_e32 v19, 0x900, v0
	s_delay_alu instid0(VALU_DEP_1) | instskip(SKIP_1) | instid1(VALU_DEP_2)
	v_cmp_gt_u32_e64 s10, s28, v19
	v_lshlrev_b32_e32 v49, 3, v19
                                        ; implicit-def: $vgpr19_vgpr20
	s_and_saveexec_b32 s12, s10
	s_cbranch_execz .LBB311_27
; %bb.26:
	s_delay_alu instid0(VALU_DEP_1) | instskip(NEXT) | instid1(VALU_DEP_1)
	v_add_co_u32 v19, s11, v71, v49
	v_add_co_ci_u32_e64 v20, s11, 0, v75, s11
	flat_load_b64 v[19:20], v[19:20]
.LBB311_27:
	s_or_b32 exec_lo, exec_lo, s12
	v_or_b32_e32 v21, 0xa00, v0
	s_delay_alu instid0(VALU_DEP_1) | instskip(SKIP_1) | instid1(VALU_DEP_2)
	v_cmp_gt_u32_e64 s11, s28, v21
	v_lshlrev_b32_e32 v51, 3, v21
                                        ; implicit-def: $vgpr21_vgpr22
	s_and_saveexec_b32 s13, s11
	s_cbranch_execz .LBB311_29
; %bb.28:
	s_delay_alu instid0(VALU_DEP_1) | instskip(NEXT) | instid1(VALU_DEP_1)
	v_add_co_u32 v21, s12, v71, v51
	v_add_co_ci_u32_e64 v22, s12, 0, v75, s12
	flat_load_b64 v[21:22], v[21:22]
.LBB311_29:
	s_or_b32 exec_lo, exec_lo, s13
	v_or_b32_e32 v23, 0xb00, v0
	s_delay_alu instid0(VALU_DEP_1) | instskip(SKIP_1) | instid1(VALU_DEP_2)
	v_cmp_gt_u32_e64 s12, s28, v23
	v_lshlrev_b32_e32 v53, 3, v23
                                        ; implicit-def: $vgpr23_vgpr24
	s_and_saveexec_b32 s14, s12
	s_cbranch_execz .LBB311_31
; %bb.30:
	s_delay_alu instid0(VALU_DEP_1) | instskip(NEXT) | instid1(VALU_DEP_1)
	v_add_co_u32 v23, s13, v71, v53
	v_add_co_ci_u32_e64 v24, s13, 0, v75, s13
	flat_load_b64 v[23:24], v[23:24]
.LBB311_31:
	s_or_b32 exec_lo, exec_lo, s14
	v_or_b32_e32 v25, 0xc00, v0
	s_delay_alu instid0(VALU_DEP_1) | instskip(SKIP_1) | instid1(VALU_DEP_2)
	v_cmp_gt_u32_e64 s13, s28, v25
	v_lshlrev_b32_e32 v55, 3, v25
                                        ; implicit-def: $vgpr25_vgpr26
	s_and_saveexec_b32 s15, s13
	s_cbranch_execz .LBB311_33
; %bb.32:
	s_delay_alu instid0(VALU_DEP_1) | instskip(NEXT) | instid1(VALU_DEP_1)
	v_add_co_u32 v25, s14, v71, v55
	v_add_co_ci_u32_e64 v26, s14, 0, v75, s14
	flat_load_b64 v[25:26], v[25:26]
.LBB311_33:
	s_or_b32 exec_lo, exec_lo, s15
	v_or_b32_e32 v27, 0xd00, v0
	s_delay_alu instid0(VALU_DEP_1) | instskip(SKIP_1) | instid1(VALU_DEP_2)
	v_cmp_gt_u32_e64 s14, s28, v27
	v_lshlrev_b32_e32 v59, 3, v27
                                        ; implicit-def: $vgpr27_vgpr28
	s_and_saveexec_b32 s16, s14
	s_cbranch_execz .LBB311_35
; %bb.34:
	s_delay_alu instid0(VALU_DEP_1) | instskip(NEXT) | instid1(VALU_DEP_1)
	v_add_co_u32 v27, s15, v71, v59
	v_add_co_ci_u32_e64 v28, s15, 0, v75, s15
	flat_load_b64 v[27:28], v[27:28]
.LBB311_35:
	s_or_b32 exec_lo, exec_lo, s16
	v_or_b32_e32 v29, 0xe00, v0
	s_delay_alu instid0(VALU_DEP_1) | instskip(SKIP_1) | instid1(VALU_DEP_2)
	v_cmp_gt_u32_e64 s15, s28, v29
	v_lshlrev_b32_e32 v65, 3, v29
                                        ; implicit-def: $vgpr29_vgpr30
	s_and_saveexec_b32 s29, s15
	s_cbranch_execz .LBB311_37
; %bb.36:
	s_delay_alu instid0(VALU_DEP_1) | instskip(NEXT) | instid1(VALU_DEP_1)
	v_add_co_u32 v29, s16, v71, v65
	v_add_co_ci_u32_e64 v30, s16, 0, v75, s16
	flat_load_b64 v[29:30], v[29:30]
.LBB311_37:
	s_or_b32 exec_lo, exec_lo, s29
	v_lshlrev_b32_e32 v64, 3, v0
	s_waitcnt vmcnt(0) lgkmcnt(0)
	ds_store_2addr_stride64_b64 v64, v[1:2], v[3:4] offset1:4
	ds_store_2addr_stride64_b64 v64, v[5:6], v[7:8] offset0:8 offset1:12
	ds_store_2addr_stride64_b64 v64, v[9:10], v[11:12] offset0:16 offset1:20
	;; [unrolled: 1-line block ×6, first 2 shown]
	v_mad_u32_u24 v63, 0x70, v0, v64
	ds_store_b64 v64, v[29:30] offset:28672
	s_waitcnt lgkmcnt(0)
	s_barrier
	buffer_gl0_inv
	ds_load_2addr_b64 v[25:28], v63 offset1:1
	ds_load_2addr_b64 v[21:24], v63 offset0:2 offset1:3
	ds_load_2addr_b64 v[17:20], v63 offset0:4 offset1:5
	;; [unrolled: 1-line block ×6, first 2 shown]
	ds_load_b64 v[57:58], v63 offset:112
	s_waitcnt lgkmcnt(0)
	s_barrier
	buffer_gl0_inv
                                        ; implicit-def: $vgpr29_vgpr30
	s_and_saveexec_b32 s16, vcc_lo
	s_cbranch_execnz .LBB311_61
; %bb.38:
	s_or_b32 exec_lo, exec_lo, s16
                                        ; implicit-def: $vgpr31_vgpr32
	s_and_saveexec_b32 s16, s0
	s_cbranch_execnz .LBB311_62
.LBB311_39:
	s_or_b32 exec_lo, exec_lo, s16
                                        ; implicit-def: $vgpr33_vgpr34
	s_and_saveexec_b32 s0, s1
	s_cbranch_execnz .LBB311_63
.LBB311_40:
	s_or_b32 exec_lo, exec_lo, s0
                                        ; implicit-def: $vgpr35_vgpr36
	s_and_saveexec_b32 s0, s4
	s_cbranch_execnz .LBB311_64
.LBB311_41:
	s_or_b32 exec_lo, exec_lo, s0
                                        ; implicit-def: $vgpr37_vgpr38
	s_and_saveexec_b32 s0, s5
	s_cbranch_execnz .LBB311_65
.LBB311_42:
	s_or_b32 exec_lo, exec_lo, s0
                                        ; implicit-def: $vgpr39_vgpr40
	s_and_saveexec_b32 s0, s6
	s_cbranch_execnz .LBB311_66
.LBB311_43:
	s_or_b32 exec_lo, exec_lo, s0
                                        ; implicit-def: $vgpr41_vgpr42
	s_and_saveexec_b32 s0, s7
	s_cbranch_execnz .LBB311_67
.LBB311_44:
	s_or_b32 exec_lo, exec_lo, s0
                                        ; implicit-def: $vgpr43_vgpr44
	s_and_saveexec_b32 s0, s8
	s_cbranch_execnz .LBB311_68
.LBB311_45:
	s_or_b32 exec_lo, exec_lo, s0
                                        ; implicit-def: $vgpr45_vgpr46
	s_and_saveexec_b32 s0, s9
	s_cbranch_execnz .LBB311_69
.LBB311_46:
	s_or_b32 exec_lo, exec_lo, s0
                                        ; implicit-def: $vgpr47_vgpr48
	s_and_saveexec_b32 s0, s10
	s_cbranch_execnz .LBB311_70
.LBB311_47:
	s_or_b32 exec_lo, exec_lo, s0
                                        ; implicit-def: $vgpr49_vgpr50
	s_and_saveexec_b32 s0, s11
	s_cbranch_execnz .LBB311_71
.LBB311_48:
	s_or_b32 exec_lo, exec_lo, s0
                                        ; implicit-def: $vgpr51_vgpr52
	s_and_saveexec_b32 s0, s12
	s_cbranch_execnz .LBB311_72
.LBB311_49:
	s_or_b32 exec_lo, exec_lo, s0
                                        ; implicit-def: $vgpr53_vgpr54
	s_and_saveexec_b32 s0, s13
	s_cbranch_execnz .LBB311_73
.LBB311_50:
	s_or_b32 exec_lo, exec_lo, s0
                                        ; implicit-def: $vgpr55_vgpr56
	s_and_saveexec_b32 s0, s14
	s_cbranch_execnz .LBB311_74
.LBB311_51:
	s_or_b32 exec_lo, exec_lo, s0
                                        ; implicit-def: $vgpr59_vgpr60
	s_and_saveexec_b32 s0, s15
	s_cbranch_execz .LBB311_53
.LBB311_52:
	v_add_co_u32 v59, vcc_lo, v61, v65
	v_add_co_ci_u32_e32 v60, vcc_lo, 0, v62, vcc_lo
	flat_load_b64 v[59:60], v[59:60]
.LBB311_53:
	s_or_b32 exec_lo, exec_lo, s0
	s_waitcnt vmcnt(0) lgkmcnt(0)
	ds_store_2addr_stride64_b64 v64, v[29:30], v[31:32] offset1:4
	ds_store_2addr_stride64_b64 v64, v[33:34], v[35:36] offset0:8 offset1:12
	ds_store_2addr_stride64_b64 v64, v[37:38], v[39:40] offset0:16 offset1:20
	;; [unrolled: 1-line block ×6, first 2 shown]
	ds_store_b64 v64, v[59:60] offset:28672
	s_waitcnt lgkmcnt(0)
	s_barrier
.LBB311_54:
	buffer_gl0_inv
	ds_load_2addr_b64 v[53:56], v63 offset1:1
	ds_load_2addr_b64 v[49:52], v63 offset0:2 offset1:3
	ds_load_2addr_b64 v[45:48], v63 offset0:4 offset1:5
	;; [unrolled: 1-line block ×6, first 2 shown]
	ds_load_b64 v[73:74], v63 offset:112
	s_cmp_eq_u64 s[26:27], 0
	s_waitcnt lgkmcnt(0)
	s_cselect_b32 s29, -1, 0
	s_cmp_lg_u64 s[26:27], 0
	s_barrier
	s_cselect_b32 s16, -1, 0
	s_and_b32 vcc_lo, exec_lo, s31
	buffer_gl0_inv
	s_cbranch_vccz .LBB311_60
; %bb.55:
	s_and_b32 vcc_lo, exec_lo, s16
	s_cbranch_vccz .LBB311_75
; %bb.56:
	v_add_co_u32 v59, vcc_lo, -8, v71
	v_add_co_ci_u32_e32 v60, vcc_lo, -1, v75, vcc_lo
	v_mul_hi_i32 v61, 0x66666667, v57
	v_mul_hi_i32 v62, 0x66666667, v1
	;; [unrolled: 1-line block ×3, first 2 shown]
	flat_load_b64 v[59:60], v[59:60]
	s_waitcnt vmcnt(0) lgkmcnt(0)
	v_mul_hi_i32 v60, 0x66666667, v3
	v_mul_hi_i32 v68, 0x66666667, v5
	;; [unrolled: 1-line block ×3, first 2 shown]
	s_mov_b32 s15, -1
	v_lshrrev_b32_e32 v65, 31, v61
	v_ashrrev_i32_e32 v61, 2, v61
	v_lshrrev_b32_e32 v66, 31, v62
	v_ashrrev_i32_e32 v62, 2, v62
	;; [unrolled: 2-line block ×3, first 2 shown]
	v_add_nc_u32_e32 v61, v61, v65
	v_lshrrev_b32_e32 v65, 31, v67
	v_add_nc_u32_e32 v62, v62, v66
	v_ashrrev_i32_e32 v66, 2, v67
	v_add_nc_u32_e32 v63, v64, v63
	v_mul_hi_i32 v64, 0x66666667, v11
	v_lshrrev_b32_e32 v67, 31, v68
	v_ashrrev_i32_e32 v68, 2, v68
	v_lshlrev_b32_e32 v60, 3, v0
	v_cmp_ne_u32_e32 vcc_lo, v63, v61
	v_add_nc_u32_e32 v61, v66, v65
	v_cmp_ne_u32_e64 s0, v62, v63
	v_add_nc_u32_e32 v63, v68, v67
	v_lshrrev_b32_e32 v70, 31, v64
	v_ashrrev_i32_e32 v64, 2, v64
	v_mul_hi_i32 v66, 0x66666667, v15
	v_mul_hi_i32 v68, 0x66666667, v13
	v_cmp_ne_u32_e64 s1, v61, v62
	v_mul_hi_i32 v62, 0x66666667, v19
	v_add_nc_u32_e32 v64, v64, v70
	v_lshrrev_b32_e32 v65, 31, v69
	v_ashrrev_i32_e32 v67, 2, v69
	v_cmp_ne_u32_e64 s4, v63, v61
	ds_store_b64 v60, v[57:58]
	v_cmp_ne_u32_e64 s5, v64, v63
	v_lshrrev_b32_e32 v63, 31, v66
	v_add_nc_u32_e32 v61, v67, v65
	v_ashrrev_i32_e32 v65, 2, v66
	v_lshrrev_b32_e32 v66, 31, v68
	v_ashrrev_i32_e32 v67, 2, v68
	v_lshrrev_b32_e32 v68, 31, v62
	v_ashrrev_i32_e32 v62, 2, v62
	v_add_nc_u32_e32 v63, v65, v63
	v_cmp_ne_u32_e64 s6, v61, v64
	v_add_nc_u32_e32 v64, v67, v66
	v_mul_hi_i32 v65, 0x66666667, v17
	v_add_nc_u32_e32 v62, v62, v68
	v_cmp_ne_u32_e64 s7, v63, v61
	v_mul_hi_i32 v61, 0x66666667, v23
	v_cmp_ne_u32_e64 s8, v64, v63
	v_mul_hi_i32 v63, 0x66666667, v21
	;; [unrolled: 2-line block ×3, first 2 shown]
	v_mul_hi_i32 v67, 0x66666667, v25
	v_lshrrev_b32_e32 v66, 31, v65
	v_ashrrev_i32_e32 v65, 2, v65
	v_lshrrev_b32_e32 v68, 31, v61
	v_ashrrev_i32_e32 v61, 2, v61
	;; [unrolled: 2-line block ×5, first 2 shown]
	v_add_nc_u32_e32 v65, v65, v66
	v_add_nc_u32_e32 v61, v61, v68
	;; [unrolled: 1-line block ×5, first 2 shown]
	v_cmp_ne_u32_e64 s14, v65, v62
	v_cmp_ne_u32_e64 s10, v61, v65
	;; [unrolled: 1-line block ×5, first 2 shown]
	s_waitcnt lgkmcnt(0)
	s_barrier
	buffer_gl0_inv
	s_and_saveexec_b32 s31, s3
	s_cbranch_execz .LBB311_58
; %bb.57:
	v_add_nc_u32_e32 v59, -8, v60
	ds_load_b64 v[59:60], v59
.LBB311_58:
	s_or_b32 exec_lo, exec_lo, s31
	s_waitcnt lgkmcnt(0)
	v_mul_hi_i32 v59, 0x66666667, v59
	v_cndmask_b32_e64 v111, 0, 1, vcc_lo
	v_cndmask_b32_e64 v76, 0, 1, s0
	v_cndmask_b32_e64 v112, 0, 1, s1
	;; [unrolled: 1-line block ×6, first 2 shown]
	v_lshrrev_b32_e32 v64, 31, v59
	v_ashrrev_i32_e32 v59, 2, v59
	v_cndmask_b32_e64 v66, 0, 1, s8
	v_cndmask_b32_e64 v65, 0, 1, s9
	;; [unrolled: 1-line block ×4, first 2 shown]
	v_add_nc_u32_e32 v59, v59, v64
	v_cndmask_b32_e64 v70, 0, 1, s11
	v_cndmask_b32_e64 v69, 0, 1, s12
	;; [unrolled: 1-line block ×3, first 2 shown]
	s_delay_alu instid0(VALU_DEP_4)
	v_cmp_ne_u32_e64 s4, v59, v63
.LBB311_59:
                                        ; implicit-def: $sgpr0
	s_branch .LBB311_79
.LBB311_60:
	s_mov_b32 s15, 0
                                        ; implicit-def: $sgpr4
                                        ; implicit-def: $vgpr111
                                        ; implicit-def: $vgpr76
                                        ; implicit-def: $vgpr112
                                        ; implicit-def: $vgpr60
                                        ; implicit-def: $vgpr113
                                        ; implicit-def: $vgpr62
                                        ; implicit-def: $vgpr61
                                        ; implicit-def: $vgpr66
                                        ; implicit-def: $vgpr65
                                        ; implicit-def: $vgpr68
                                        ; implicit-def: $vgpr67
                                        ; implicit-def: $vgpr70
                                        ; implicit-def: $vgpr69
                                        ; implicit-def: $vgpr72
                                        ; implicit-def: $vgpr64
                                        ; implicit-def: $sgpr0
	s_cbranch_execnz .LBB311_80
	s_branch .LBB311_115
.LBB311_61:
	v_add_co_u32 v29, vcc_lo, v61, v64
	v_add_co_ci_u32_e32 v30, vcc_lo, 0, v62, vcc_lo
	flat_load_b64 v[29:30], v[29:30]
	s_or_b32 exec_lo, exec_lo, s16
                                        ; implicit-def: $vgpr31_vgpr32
	s_and_saveexec_b32 s16, s0
	s_cbranch_execz .LBB311_39
.LBB311_62:
	v_add_co_u32 v31, vcc_lo, v61, v64
	v_add_co_ci_u32_e32 v32, vcc_lo, 0, v62, vcc_lo
	flat_load_b64 v[31:32], v[31:32] offset:2048
	s_or_b32 exec_lo, exec_lo, s16
                                        ; implicit-def: $vgpr33_vgpr34
	s_and_saveexec_b32 s0, s1
	s_cbranch_execz .LBB311_40
.LBB311_63:
	v_add_co_u32 v33, vcc_lo, v61, v35
	v_add_co_ci_u32_e32 v34, vcc_lo, 0, v62, vcc_lo
	flat_load_b64 v[33:34], v[33:34]
	s_or_b32 exec_lo, exec_lo, s0
                                        ; implicit-def: $vgpr35_vgpr36
	s_and_saveexec_b32 s0, s4
	s_cbranch_execz .LBB311_41
.LBB311_64:
	v_add_co_u32 v35, vcc_lo, v61, v37
	v_add_co_ci_u32_e32 v36, vcc_lo, 0, v62, vcc_lo
	flat_load_b64 v[35:36], v[35:36]
	s_or_b32 exec_lo, exec_lo, s0
                                        ; implicit-def: $vgpr37_vgpr38
	s_and_saveexec_b32 s0, s5
	s_cbranch_execz .LBB311_42
.LBB311_65:
	v_add_co_u32 v37, vcc_lo, v61, v39
	v_add_co_ci_u32_e32 v38, vcc_lo, 0, v62, vcc_lo
	flat_load_b64 v[37:38], v[37:38]
	s_or_b32 exec_lo, exec_lo, s0
                                        ; implicit-def: $vgpr39_vgpr40
	s_and_saveexec_b32 s0, s6
	s_cbranch_execz .LBB311_43
.LBB311_66:
	v_add_co_u32 v39, vcc_lo, v61, v41
	v_add_co_ci_u32_e32 v40, vcc_lo, 0, v62, vcc_lo
	flat_load_b64 v[39:40], v[39:40]
	s_or_b32 exec_lo, exec_lo, s0
                                        ; implicit-def: $vgpr41_vgpr42
	s_and_saveexec_b32 s0, s7
	s_cbranch_execz .LBB311_44
.LBB311_67:
	v_add_co_u32 v41, vcc_lo, v61, v43
	v_add_co_ci_u32_e32 v42, vcc_lo, 0, v62, vcc_lo
	flat_load_b64 v[41:42], v[41:42]
	s_or_b32 exec_lo, exec_lo, s0
                                        ; implicit-def: $vgpr43_vgpr44
	s_and_saveexec_b32 s0, s8
	s_cbranch_execz .LBB311_45
.LBB311_68:
	v_add_co_u32 v43, vcc_lo, v61, v45
	v_add_co_ci_u32_e32 v44, vcc_lo, 0, v62, vcc_lo
	flat_load_b64 v[43:44], v[43:44]
	s_or_b32 exec_lo, exec_lo, s0
                                        ; implicit-def: $vgpr45_vgpr46
	s_and_saveexec_b32 s0, s9
	s_cbranch_execz .LBB311_46
.LBB311_69:
	v_add_co_u32 v45, vcc_lo, v61, v47
	v_add_co_ci_u32_e32 v46, vcc_lo, 0, v62, vcc_lo
	flat_load_b64 v[45:46], v[45:46]
	s_or_b32 exec_lo, exec_lo, s0
                                        ; implicit-def: $vgpr47_vgpr48
	s_and_saveexec_b32 s0, s10
	s_cbranch_execz .LBB311_47
.LBB311_70:
	v_add_co_u32 v47, vcc_lo, v61, v49
	v_add_co_ci_u32_e32 v48, vcc_lo, 0, v62, vcc_lo
	flat_load_b64 v[47:48], v[47:48]
	s_or_b32 exec_lo, exec_lo, s0
                                        ; implicit-def: $vgpr49_vgpr50
	s_and_saveexec_b32 s0, s11
	s_cbranch_execz .LBB311_48
.LBB311_71:
	v_add_co_u32 v49, vcc_lo, v61, v51
	v_add_co_ci_u32_e32 v50, vcc_lo, 0, v62, vcc_lo
	flat_load_b64 v[49:50], v[49:50]
	s_or_b32 exec_lo, exec_lo, s0
                                        ; implicit-def: $vgpr51_vgpr52
	s_and_saveexec_b32 s0, s12
	s_cbranch_execz .LBB311_49
.LBB311_72:
	v_add_co_u32 v51, vcc_lo, v61, v53
	v_add_co_ci_u32_e32 v52, vcc_lo, 0, v62, vcc_lo
	flat_load_b64 v[51:52], v[51:52]
	s_or_b32 exec_lo, exec_lo, s0
                                        ; implicit-def: $vgpr53_vgpr54
	s_and_saveexec_b32 s0, s13
	s_cbranch_execz .LBB311_50
.LBB311_73:
	v_add_co_u32 v53, vcc_lo, v61, v55
	v_add_co_ci_u32_e32 v54, vcc_lo, 0, v62, vcc_lo
	flat_load_b64 v[53:54], v[53:54]
	s_or_b32 exec_lo, exec_lo, s0
                                        ; implicit-def: $vgpr55_vgpr56
	s_and_saveexec_b32 s0, s14
	s_cbranch_execz .LBB311_51
.LBB311_74:
	v_add_co_u32 v55, vcc_lo, v61, v59
	v_add_co_ci_u32_e32 v56, vcc_lo, 0, v62, vcc_lo
	flat_load_b64 v[55:56], v[55:56]
	s_or_b32 exec_lo, exec_lo, s0
                                        ; implicit-def: $vgpr59_vgpr60
	s_and_saveexec_b32 s0, s15
	s_cbranch_execnz .LBB311_52
	s_branch .LBB311_53
.LBB311_75:
	s_mov_b32 s15, 0
                                        ; implicit-def: $sgpr4
                                        ; implicit-def: $vgpr111
                                        ; implicit-def: $vgpr76
                                        ; implicit-def: $vgpr112
                                        ; implicit-def: $vgpr60
                                        ; implicit-def: $vgpr113
                                        ; implicit-def: $vgpr62
                                        ; implicit-def: $vgpr61
                                        ; implicit-def: $vgpr66
                                        ; implicit-def: $vgpr65
                                        ; implicit-def: $vgpr68
                                        ; implicit-def: $vgpr67
                                        ; implicit-def: $vgpr70
                                        ; implicit-def: $vgpr69
                                        ; implicit-def: $vgpr72
	s_cbranch_execz .LBB311_59
; %bb.76:
	v_mul_hi_i32 v59, 0x66666667, v3
	v_mul_hi_i32 v60, 0x66666667, v57
	;; [unrolled: 1-line block ×8, first 2 shown]
	v_lshrrev_b32_e32 v64, 31, v59
	v_ashrrev_i32_e32 v65, 2, v59
	v_lshrrev_b32_e32 v66, 31, v60
	v_ashrrev_i32_e32 v60, 2, v60
	;; [unrolled: 2-line block ×3, first 2 shown]
	v_add_nc_u32_e32 v64, v65, v64
	v_lshrrev_b32_e32 v65, 31, v62
	v_add_nc_u32_e32 v60, v60, v66
	v_ashrrev_i32_e32 v62, 2, v62
	v_add_nc_u32_e32 v61, v61, v67
	v_mul_hi_i32 v67, 0x66666667, v11
	v_lshrrev_b32_e32 v66, 31, v63
	v_cmp_ne_u32_e32 vcc_lo, v64, v60
	v_ashrrev_i32_e32 v63, 2, v63
	v_add_nc_u32_e32 v60, v62, v65
	v_lshrrev_b32_e32 v65, 31, v68
	v_lshrrev_b32_e32 v78, 31, v70
	v_cndmask_b32_e64 v111, 0, 1, vcc_lo
	v_cmp_ne_u32_e32 vcc_lo, v61, v64
	v_add_nc_u32_e32 v62, v63, v66
	v_lshrrev_b32_e32 v63, 31, v67
	v_ashrrev_i32_e32 v64, 2, v67
	v_ashrrev_i32_e32 v66, 2, v68
	v_cndmask_b32_e64 v76, 0, 1, vcc_lo
	v_cmp_ne_u32_e32 vcc_lo, v60, v61
	v_mul_hi_i32 v67, 0x66666667, v15
	v_mul_hi_i32 v68, 0x66666667, v13
	v_add_nc_u32_e32 v61, v64, v63
	v_add_nc_u32_e32 v63, v66, v65
	v_cndmask_b32_e64 v112, 0, 1, vcc_lo
	v_cmp_ne_u32_e32 vcc_lo, v62, v60
	v_ashrrev_i32_e32 v70, 2, v70
	v_lshlrev_b32_e32 v59, 3, v0
	v_lshrrev_b32_e32 v64, 31, v67
	v_ashrrev_i32_e32 v65, 2, v67
	v_lshrrev_b32_e32 v66, 31, v68
	v_ashrrev_i32_e32 v67, 2, v68
	v_mul_hi_i32 v68, 0x66666667, v19
	v_cndmask_b32_e64 v60, 0, 1, vcc_lo
	v_cmp_ne_u32_e32 vcc_lo, v61, v62
	v_add_nc_u32_e32 v64, v65, v64
	v_add_nc_u32_e32 v65, v67, v66
	ds_store_b64 v59, v[57:58]
	s_waitcnt lgkmcnt(0)
	v_cndmask_b32_e64 v113, 0, 1, vcc_lo
	v_cmp_ne_u32_e32 vcc_lo, v63, v61
	v_lshrrev_b32_e32 v66, 31, v68
	v_ashrrev_i32_e32 v67, 2, v68
	v_lshrrev_b32_e32 v68, 31, v69
	v_ashrrev_i32_e32 v69, 2, v69
	v_cndmask_b32_e64 v62, 0, 1, vcc_lo
	v_cmp_ne_u32_e32 vcc_lo, v64, v63
	v_add_nc_u32_e32 v63, v67, v66
	v_mul_hi_i32 v67, 0x66666667, v23
	s_barrier
	buffer_gl0_inv
	v_cndmask_b32_e64 v61, 0, 1, vcc_lo
	v_cmp_ne_u32_e32 vcc_lo, v65, v64
	v_add_nc_u32_e32 v64, v69, v68
	v_mul_hi_i32 v69, 0x66666667, v21
                                        ; implicit-def: $sgpr4
	v_lshrrev_b32_e32 v72, 31, v67
	v_cndmask_b32_e64 v66, 0, 1, vcc_lo
	v_cmp_ne_u32_e32 vcc_lo, v63, v65
	v_ashrrev_i32_e32 v67, 2, v67
	v_lshrrev_b32_e32 v77, 31, v69
	v_cndmask_b32_e64 v65, 0, 1, vcc_lo
	v_cmp_ne_u32_e32 vcc_lo, v64, v63
	v_ashrrev_i32_e32 v69, 2, v69
	v_add_nc_u32_e32 v72, v67, v72
	v_mul_hi_i32 v63, 0x66666667, v25
	v_cndmask_b32_e64 v68, 0, 1, vcc_lo
	s_delay_alu instid0(VALU_DEP_4) | instskip(NEXT) | instid1(VALU_DEP_4)
	v_add_nc_u32_e32 v69, v69, v77
	v_cmp_ne_u32_e32 vcc_lo, v72, v64
	v_add_nc_u32_e32 v77, v70, v78
	v_lshrrev_b32_e32 v79, 31, v63
	v_ashrrev_i32_e32 v63, 2, v63
	v_cndmask_b32_e64 v67, 0, 1, vcc_lo
	v_cmp_ne_u32_e32 vcc_lo, v69, v72
	s_delay_alu instid0(VALU_DEP_3) | instskip(SKIP_3) | instid1(VALU_DEP_4)
	v_add_nc_u32_e32 v63, v63, v79
	v_cndmask_b32_e64 v70, 0, 1, vcc_lo
	v_cmp_ne_u32_e32 vcc_lo, v77, v69
	v_cndmask_b32_e64 v69, 0, 1, vcc_lo
	v_cmp_ne_u32_e32 vcc_lo, v63, v77
	v_cndmask_b32_e64 v72, 0, 1, vcc_lo
	s_and_saveexec_b32 s0, s3
	s_delay_alu instid0(SALU_CYCLE_1)
	s_xor_b32 s0, exec_lo, s0
	s_cbranch_execz .LBB311_78
; %bb.77:
	v_add_nc_u32_e32 v59, -8, v59
	s_or_b32 s15, s15, exec_lo
	ds_load_b32 v59, v59
	s_waitcnt lgkmcnt(0)
	v_mul_hi_i32 v59, 0x66666667, v59
	s_delay_alu instid0(VALU_DEP_1) | instskip(SKIP_1) | instid1(VALU_DEP_1)
	v_lshrrev_b32_e32 v64, 31, v59
	v_ashrrev_i32_e32 v59, 2, v59
	v_add_nc_u32_e32 v59, v59, v64
	s_delay_alu instid0(VALU_DEP_1)
	v_cmp_ne_u32_e32 vcc_lo, v59, v63
	s_and_b32 s4, vcc_lo, exec_lo
.LBB311_78:
	s_or_b32 exec_lo, exec_lo, s0
	s_mov_b32 s0, 1
.LBB311_79:
	v_mov_b32_e32 v64, v76
	s_branch .LBB311_115
.LBB311_80:
	s_mul_hi_u32 s0, s26, 0xfffff100
	s_mul_i32 s1, s27, 0xfffff100
	s_sub_i32 s0, s0, s26
	s_mul_i32 s4, s26, 0xfffff100
	v_mul_u32_u24_e32 v77, 15, v0
	v_mad_u32_u24 v63, v0, 15, 14
	s_add_i32 s1, s0, s1
	s_add_u32 s0, s4, s48
	s_addc_u32 s1, s1, s49
	s_and_b32 vcc_lo, exec_lo, s16
	s_cbranch_vccz .LBB311_248
; %bb.81:
	v_add_co_u32 v59, vcc_lo, -8, v71
	v_add_co_ci_u32_e32 v60, vcc_lo, -1, v75, vcc_lo
	v_dual_mov_b32 v76, 0 :: v_dual_mov_b32 v111, 0
	v_lshlrev_b32_e32 v78, 3, v0
	flat_load_b64 v[79:80], v[59:60]
	s_mov_b32 s4, exec_lo
	v_mov_b32_e32 v64, v76
	ds_store_b64 v78, v[57:58]
	v_cmpx_gt_u64_e64 s[0:1], v[63:64]
; %bb.82:
	v_mul_hi_i32 v59, 0x66666667, v3
	v_mul_hi_i32 v60, 0x66666667, v57
	s_delay_alu instid0(VALU_DEP_2) | instskip(SKIP_1) | instid1(VALU_DEP_3)
	v_lshrrev_b32_e32 v61, 31, v59
	v_ashrrev_i32_e32 v59, 2, v59
	v_lshrrev_b32_e32 v62, 31, v60
	v_ashrrev_i32_e32 v60, 2, v60
	s_delay_alu instid0(VALU_DEP_3) | instskip(NEXT) | instid1(VALU_DEP_2)
	v_add_nc_u32_e32 v59, v59, v61
	v_add_nc_u32_e32 v60, v60, v62
	s_delay_alu instid0(VALU_DEP_1)
	v_cmp_ne_u32_e32 vcc_lo, v59, v60
	v_cndmask_b32_e64 v111, 0, 1, vcc_lo
; %bb.83:
	s_or_b32 exec_lo, exec_lo, s4
	v_add_nc_u32_e32 v75, 13, v77
	s_mov_b32 s4, exec_lo
	s_delay_alu instid0(VALU_DEP_1)
	v_cmpx_gt_u64_e64 s[0:1], v[75:76]
; %bb.84:
	v_mul_hi_i32 v59, 0x66666667, v1
	v_mul_hi_i32 v60, 0x66666667, v3
	s_delay_alu instid0(VALU_DEP_2) | instskip(SKIP_1) | instid1(VALU_DEP_3)
	v_lshrrev_b32_e32 v61, 31, v59
	v_ashrrev_i32_e32 v59, 2, v59
	v_lshrrev_b32_e32 v62, 31, v60
	v_ashrrev_i32_e32 v60, 2, v60
	s_delay_alu instid0(VALU_DEP_3) | instskip(NEXT) | instid1(VALU_DEP_2)
	v_add_nc_u32_e32 v59, v59, v61
	v_add_nc_u32_e32 v60, v60, v62
	s_delay_alu instid0(VALU_DEP_1)
	v_cmp_ne_u32_e32 vcc_lo, v59, v60
	v_cndmask_b32_e64 v76, 0, 1, vcc_lo
; %bb.85:
	s_or_b32 exec_lo, exec_lo, s4
	v_dual_mov_b32 v60, 0 :: v_dual_add_nc_u32 v59, 12, v77
	v_mov_b32_e32 v112, 0
	s_mov_b32 s4, exec_lo
	s_delay_alu instid0(VALU_DEP_2)
	v_cmpx_gt_u64_e64 s[0:1], v[59:60]
; %bb.86:
	v_mul_hi_i32 v59, 0x66666667, v7
	v_mul_hi_i32 v61, 0x66666667, v1
	s_delay_alu instid0(VALU_DEP_2) | instskip(SKIP_1) | instid1(VALU_DEP_3)
	v_lshrrev_b32_e32 v62, 31, v59
	v_ashrrev_i32_e32 v59, 2, v59
	v_lshrrev_b32_e32 v64, 31, v61
	v_ashrrev_i32_e32 v61, 2, v61
	s_delay_alu instid0(VALU_DEP_3) | instskip(NEXT) | instid1(VALU_DEP_2)
	v_add_nc_u32_e32 v59, v59, v62
	v_add_nc_u32_e32 v61, v61, v64
	s_delay_alu instid0(VALU_DEP_1)
	v_cmp_ne_u32_e32 vcc_lo, v59, v61
	v_cndmask_b32_e64 v112, 0, 1, vcc_lo
; %bb.87:
	s_or_b32 exec_lo, exec_lo, s4
	v_add_nc_u32_e32 v59, 11, v77
	s_mov_b32 s4, exec_lo
	s_delay_alu instid0(VALU_DEP_1)
	v_cmpx_gt_u64_e64 s[0:1], v[59:60]
; %bb.88:
	v_mul_hi_i32 v59, 0x66666667, v5
	v_mul_hi_i32 v60, 0x66666667, v7
	s_delay_alu instid0(VALU_DEP_2) | instskip(SKIP_1) | instid1(VALU_DEP_3)
	v_lshrrev_b32_e32 v61, 31, v59
	v_ashrrev_i32_e32 v59, 2, v59
	v_lshrrev_b32_e32 v62, 31, v60
	v_ashrrev_i32_e32 v60, 2, v60
	s_delay_alu instid0(VALU_DEP_3) | instskip(NEXT) | instid1(VALU_DEP_2)
	v_add_nc_u32_e32 v59, v59, v61
	v_add_nc_u32_e32 v60, v60, v62
	s_delay_alu instid0(VALU_DEP_1)
	v_cmp_ne_u32_e32 vcc_lo, v59, v60
	v_cndmask_b32_e64 v60, 0, 1, vcc_lo
; %bb.89:
	s_or_b32 exec_lo, exec_lo, s4
	v_dual_mov_b32 v62, 0 :: v_dual_add_nc_u32 v61, 10, v77
	v_mov_b32_e32 v113, 0
	s_mov_b32 s4, exec_lo
	s_delay_alu instid0(VALU_DEP_2)
	;; [unrolled: 41-line block ×6, first 2 shown]
	v_cmpx_gt_u64_e64 s[0:1], v[71:72]
; %bb.106:
	v_mul_hi_i32 v59, 0x66666667, v27
	v_mul_hi_i32 v64, 0x66666667, v21
	s_delay_alu instid0(VALU_DEP_2) | instskip(SKIP_1) | instid1(VALU_DEP_3)
	v_lshrrev_b32_e32 v69, 31, v59
	v_ashrrev_i32_e32 v59, 2, v59
	v_lshrrev_b32_e32 v71, 31, v64
	v_ashrrev_i32_e32 v64, 2, v64
	s_delay_alu instid0(VALU_DEP_3) | instskip(NEXT) | instid1(VALU_DEP_2)
	v_add_nc_u32_e32 v59, v59, v69
	v_add_nc_u32_e32 v64, v64, v71
	s_delay_alu instid0(VALU_DEP_1)
	v_cmp_ne_u32_e32 vcc_lo, v59, v64
	v_cndmask_b32_e64 v69, 0, 1, vcc_lo
; %bb.107:
	s_or_b32 exec_lo, exec_lo, s4
	v_add_nc_u32_e32 v71, 1, v77
	s_mov_b32 s4, exec_lo
	s_delay_alu instid0(VALU_DEP_1)
	v_cmpx_gt_u64_e64 s[0:1], v[71:72]
; %bb.108:
	v_mul_hi_i32 v59, 0x66666667, v25
	v_mul_hi_i32 v64, 0x66666667, v27
	s_delay_alu instid0(VALU_DEP_2) | instskip(SKIP_1) | instid1(VALU_DEP_3)
	v_lshrrev_b32_e32 v71, 31, v59
	v_ashrrev_i32_e32 v59, 2, v59
	v_lshrrev_b32_e32 v72, 31, v64
	v_ashrrev_i32_e32 v64, 2, v64
	s_delay_alu instid0(VALU_DEP_3) | instskip(NEXT) | instid1(VALU_DEP_2)
	v_add_nc_u32_e32 v59, v59, v71
	v_add_nc_u32_e32 v64, v64, v72
	s_delay_alu instid0(VALU_DEP_1)
	v_cmp_ne_u32_e32 vcc_lo, v59, v64
	v_cndmask_b32_e64 v72, 0, 1, vcc_lo
; %bb.109:
	s_or_b32 exec_lo, exec_lo, s4
	s_waitcnt vmcnt(0) lgkmcnt(0)
	s_barrier
	buffer_gl0_inv
	s_and_saveexec_b32 s4, s3
	s_cbranch_execz .LBB311_111
; %bb.110:
	v_add_nc_u32_e32 v59, -8, v78
	ds_load_b64 v[79:80], v59
.LBB311_111:
	s_or_b32 exec_lo, exec_lo, s4
	v_mov_b32_e32 v78, 0
	s_mov_b32 s5, 0
	s_mov_b32 s4, 0
	s_mov_b32 s6, exec_lo
	s_delay_alu instid0(VALU_DEP_1)
	v_cmpx_gt_u64_e64 s[0:1], v[77:78]
	s_cbranch_execz .LBB311_113
; %bb.112:
	s_waitcnt lgkmcnt(0)
	v_mul_hi_i32 v59, 0x66666667, v79
	v_mul_hi_i32 v64, 0x66666667, v25
	s_delay_alu instid0(VALU_DEP_2) | instskip(SKIP_1) | instid1(VALU_DEP_3)
	v_lshrrev_b32_e32 v71, 31, v59
	v_ashrrev_i32_e32 v59, 2, v59
	v_lshrrev_b32_e32 v75, 31, v64
	v_ashrrev_i32_e32 v64, 2, v64
	s_delay_alu instid0(VALU_DEP_3) | instskip(NEXT) | instid1(VALU_DEP_2)
	v_add_nc_u32_e32 v59, v59, v71
	v_add_nc_u32_e32 v64, v64, v75
	s_delay_alu instid0(VALU_DEP_1)
	v_cmp_ne_u32_e32 vcc_lo, v59, v64
	s_and_b32 s4, vcc_lo, exec_lo
.LBB311_113:
	s_or_b32 exec_lo, exec_lo, s6
	s_mov_b32 s15, -1
	s_and_b32 vcc_lo, exec_lo, s5
	s_cbranch_vccnz .LBB311_249
.LBB311_114:
                                        ; implicit-def: $vgpr64
                                        ; implicit-def: $sgpr0
.LBB311_115:
	v_mov_b32_e32 v63, s0
	s_and_saveexec_b32 s0, s15
.LBB311_116:
	v_cndmask_b32_e64 v63, 0, 1, s4
	v_mov_b32_e32 v64, v76
.LBB311_117:
	s_or_b32 exec_lo, exec_lo, s0
	s_delay_alu instid0(VALU_DEP_1)
	v_add3_u32 v59, v72, v63, v69
	v_dual_mov_b32 v107, v53 :: v_dual_mov_b32 v108, v54
	v_cmp_eq_u32_e64 s13, 0, v72
	v_cmp_eq_u32_e64 s12, 0, v69
	v_cmp_eq_u32_e64 s11, 0, v70
	v_add3_u32 v115, v59, v70, v67
	v_cmp_eq_u32_e64 s10, 0, v67
	v_cmp_eq_u32_e64 s9, 0, v68
	;; [unrolled: 1-line block ×10, first 2 shown]
	v_cmp_eq_u32_e32 vcc_lo, 0, v111
	v_mbcnt_lo_u32_b32 v114, -1, 0
	s_cmp_eq_u64 s[42:43], 0
	s_cselect_b32 s15, -1, 0
	s_cmp_lg_u32 s30, 0
	s_cbranch_scc0 .LBB311_180
; %bb.118:
	v_cndmask_b32_e64 v59, 0, v53, s13
	v_cndmask_b32_e64 v71, 0, v54, s13
	v_add3_u32 v75, v115, v68, v65
	s_delay_alu instid0(VALU_DEP_3) | instskip(NEXT) | instid1(VALU_DEP_1)
	v_add_co_u32 v59, s14, v59, v55
	v_add_co_ci_u32_e64 v71, s14, v71, v56, s14
	s_delay_alu instid0(VALU_DEP_3) | instskip(NEXT) | instid1(VALU_DEP_3)
	v_add3_u32 v75, v75, v66, v61
	v_cndmask_b32_e64 v59, 0, v59, s12
	s_delay_alu instid0(VALU_DEP_3) | instskip(NEXT) | instid1(VALU_DEP_3)
	v_cndmask_b32_e64 v71, 0, v71, s12
	v_add3_u32 v75, v75, v62, v113
	s_delay_alu instid0(VALU_DEP_3) | instskip(NEXT) | instid1(VALU_DEP_1)
	v_add_co_u32 v59, s14, v59, v49
	v_add_co_ci_u32_e64 v71, s14, v71, v50, s14
	s_delay_alu instid0(VALU_DEP_3) | instskip(NEXT) | instid1(VALU_DEP_3)
	v_add3_u32 v75, v75, v60, v112
	v_cndmask_b32_e64 v59, 0, v59, s11
	s_delay_alu instid0(VALU_DEP_3) | instskip(NEXT) | instid1(VALU_DEP_2)
	v_cndmask_b32_e64 v71, 0, v71, s11
	v_add_co_u32 v59, s14, v59, v51
	s_delay_alu instid0(VALU_DEP_1) | instskip(NEXT) | instid1(VALU_DEP_2)
	v_add_co_ci_u32_e64 v71, s14, v71, v52, s14
	v_cndmask_b32_e64 v59, 0, v59, s10
	s_delay_alu instid0(VALU_DEP_2) | instskip(NEXT) | instid1(VALU_DEP_2)
	v_cndmask_b32_e64 v71, 0, v71, s10
	v_add_co_u32 v59, s14, v59, v45
	s_delay_alu instid0(VALU_DEP_1) | instskip(NEXT) | instid1(VALU_DEP_2)
	v_add_co_ci_u32_e64 v71, s14, v71, v46, s14
	v_cndmask_b32_e64 v59, 0, v59, s9
	s_delay_alu instid0(VALU_DEP_2) | instskip(NEXT) | instid1(VALU_DEP_2)
	;; [unrolled: 6-line block ×10, first 2 shown]
	v_cndmask_b32_e64 v71, 0, v71, s0
	v_add_co_u32 v59, s14, v59, v31
	s_delay_alu instid0(VALU_DEP_1) | instskip(SKIP_1) | instid1(VALU_DEP_2)
	v_add_co_ci_u32_e64 v71, s14, v71, v32, s14
	s_mov_b32 s14, exec_lo
	v_cndmask_b32_e32 v59, 0, v59, vcc_lo
	s_delay_alu instid0(VALU_DEP_2) | instskip(SKIP_1) | instid1(VALU_DEP_3)
	v_cndmask_b32_e32 v76, 0, v71, vcc_lo
	v_add3_u32 v71, v75, v64, v111
	v_add_co_u32 v77, vcc_lo, v59, v73
	v_and_b32_e32 v59, 15, v114
	s_delay_alu instid0(VALU_DEP_4) | instskip(NEXT) | instid1(VALU_DEP_4)
	v_add_co_ci_u32_e32 v78, vcc_lo, v76, v74, vcc_lo
	v_mov_b32_dpp v75, v71 row_shr:1 row_mask:0xf bank_mask:0xf
	s_delay_alu instid0(VALU_DEP_4) | instskip(SKIP_1) | instid1(VALU_DEP_3)
	v_mov_b32_dpp v76, v77 row_shr:1 row_mask:0xf bank_mask:0xf
	s_waitcnt lgkmcnt(0)
	v_mov_b32_dpp v79, v78 row_shr:1 row_mask:0xf bank_mask:0xf
	v_cmpx_ne_u32_e32 0, v59
; %bb.119:
	v_cmp_eq_u32_e32 vcc_lo, 0, v71
	v_add_nc_u32_e32 v71, v75, v71
	s_delay_alu instid0(VALU_DEP_4) | instskip(NEXT) | instid1(VALU_DEP_1)
	v_dual_cndmask_b32 v79, 0, v79 :: v_dual_cndmask_b32 v76, 0, v76
	v_add_co_u32 v77, vcc_lo, v76, v77
	s_delay_alu instid0(VALU_DEP_2)
	v_add_co_ci_u32_e32 v78, vcc_lo, v79, v78, vcc_lo
; %bb.120:
	s_or_b32 exec_lo, exec_lo, s14
	v_mov_b32_dpp v75, v71 row_shr:2 row_mask:0xf bank_mask:0xf
	s_delay_alu instid0(VALU_DEP_3) | instskip(NEXT) | instid1(VALU_DEP_3)
	v_mov_b32_dpp v76, v77 row_shr:2 row_mask:0xf bank_mask:0xf
	v_mov_b32_dpp v79, v78 row_shr:2 row_mask:0xf bank_mask:0xf
	s_mov_b32 s14, exec_lo
	v_cmpx_lt_u32_e32 1, v59
; %bb.121:
	v_cmp_eq_u32_e32 vcc_lo, 0, v71
	v_add_nc_u32_e32 v71, v75, v71
	v_dual_cndmask_b32 v79, 0, v79 :: v_dual_cndmask_b32 v76, 0, v76
	s_delay_alu instid0(VALU_DEP_1) | instskip(NEXT) | instid1(VALU_DEP_2)
	v_add_co_u32 v77, vcc_lo, v76, v77
	v_add_co_ci_u32_e32 v78, vcc_lo, v79, v78, vcc_lo
; %bb.122:
	s_or_b32 exec_lo, exec_lo, s14
	v_mov_b32_dpp v75, v71 row_shr:4 row_mask:0xf bank_mask:0xf
	s_delay_alu instid0(VALU_DEP_3) | instskip(NEXT) | instid1(VALU_DEP_3)
	v_mov_b32_dpp v76, v77 row_shr:4 row_mask:0xf bank_mask:0xf
	v_mov_b32_dpp v79, v78 row_shr:4 row_mask:0xf bank_mask:0xf
	s_mov_b32 s14, exec_lo
	v_cmpx_lt_u32_e32 3, v59
; %bb.123:
	v_cmp_eq_u32_e32 vcc_lo, 0, v71
	v_add_nc_u32_e32 v71, v75, v71
	v_dual_cndmask_b32 v79, 0, v79 :: v_dual_cndmask_b32 v76, 0, v76
	s_delay_alu instid0(VALU_DEP_1) | instskip(NEXT) | instid1(VALU_DEP_2)
	v_add_co_u32 v77, vcc_lo, v76, v77
	;; [unrolled: 15-line block ×3, first 2 shown]
	v_add_co_ci_u32_e32 v78, vcc_lo, v59, v78, vcc_lo
; %bb.126:
	s_or_b32 exec_lo, exec_lo, s14
	ds_swizzle_b32 v59, v71 offset:swizzle(BROADCAST,32,15)
	ds_swizzle_b32 v75, v77 offset:swizzle(BROADCAST,32,15)
	;; [unrolled: 1-line block ×3, first 2 shown]
	v_and_b32_e32 v79, 16, v114
	s_mov_b32 s14, exec_lo
	s_delay_alu instid0(VALU_DEP_1)
	v_cmpx_ne_u32_e32 0, v79
	s_cbranch_execz .LBB311_128
; %bb.127:
	v_cmp_eq_u32_e32 vcc_lo, 0, v71
	s_waitcnt lgkmcnt(0)
	v_dual_cndmask_b32 v76, 0, v76 :: v_dual_add_nc_u32 v71, v59, v71
	v_cndmask_b32_e32 v75, 0, v75, vcc_lo
	s_delay_alu instid0(VALU_DEP_1) | instskip(NEXT) | instid1(VALU_DEP_3)
	v_add_co_u32 v77, vcc_lo, v75, v77
	v_add_co_ci_u32_e32 v78, vcc_lo, v76, v78, vcc_lo
.LBB311_128:
	s_or_b32 exec_lo, exec_lo, s14
	s_waitcnt lgkmcnt(1)
	v_lshrrev_b32_e32 v75, 5, v0
	v_or_b32_e32 v59, 31, v0
	s_mov_b32 s14, exec_lo
	s_delay_alu instid0(VALU_DEP_2) | instskip(NEXT) | instid1(VALU_DEP_2)
	v_lshlrev_b32_e32 v79, 4, v75
	v_cmpx_eq_u32_e64 v59, v0
	s_cbranch_execz .LBB311_130
; %bb.129:
	ds_store_b32 v79, v71 offset:4128
	ds_store_b64 v79, v[77:78] offset:4136
.LBB311_130:
	s_or_b32 exec_lo, exec_lo, s14
	s_delay_alu instid0(SALU_CYCLE_1)
	s_mov_b32 s14, exec_lo
	s_waitcnt lgkmcnt(0)
	s_barrier
	buffer_gl0_inv
	v_cmpx_gt_u32_e32 8, v0
	s_cbranch_execz .LBB311_138
; %bb.131:
	v_lshlrev_b32_e32 v59, 4, v0
	v_and_b32_e32 v81, 7, v114
	s_mov_b32 s16, exec_lo
	ds_load_b32 v80, v59 offset:4128
	ds_load_b64 v[75:76], v59 offset:4136
	s_waitcnt lgkmcnt(1)
	v_mov_b32_dpp v82, v80 row_shr:1 row_mask:0xf bank_mask:0xf
	s_waitcnt lgkmcnt(0)
	v_mov_b32_dpp v83, v75 row_shr:1 row_mask:0xf bank_mask:0xf
	v_mov_b32_dpp v84, v76 row_shr:1 row_mask:0xf bank_mask:0xf
	v_cmpx_ne_u32_e32 0, v81
; %bb.132:
	v_cmp_eq_u32_e32 vcc_lo, 0, v80
	v_add_nc_u32_e32 v80, v82, v80
	s_delay_alu instid0(VALU_DEP_4) | instskip(NEXT) | instid1(VALU_DEP_1)
	v_dual_cndmask_b32 v84, 0, v84 :: v_dual_cndmask_b32 v83, 0, v83
	v_add_co_u32 v75, vcc_lo, v83, v75
	s_delay_alu instid0(VALU_DEP_2)
	v_add_co_ci_u32_e32 v76, vcc_lo, v84, v76, vcc_lo
; %bb.133:
	s_or_b32 exec_lo, exec_lo, s16
	v_mov_b32_dpp v82, v80 row_shr:2 row_mask:0xf bank_mask:0xf
	s_delay_alu instid0(VALU_DEP_3) | instskip(NEXT) | instid1(VALU_DEP_3)
	v_mov_b32_dpp v83, v75 row_shr:2 row_mask:0xf bank_mask:0xf
	v_mov_b32_dpp v84, v76 row_shr:2 row_mask:0xf bank_mask:0xf
	s_mov_b32 s16, exec_lo
	v_cmpx_lt_u32_e32 1, v81
; %bb.134:
	v_cmp_eq_u32_e32 vcc_lo, 0, v80
	v_add_nc_u32_e32 v80, v82, v80
	v_dual_cndmask_b32 v84, 0, v84 :: v_dual_cndmask_b32 v83, 0, v83
	s_delay_alu instid0(VALU_DEP_1) | instskip(NEXT) | instid1(VALU_DEP_2)
	v_add_co_u32 v75, vcc_lo, v83, v75
	v_add_co_ci_u32_e32 v76, vcc_lo, v84, v76, vcc_lo
; %bb.135:
	s_or_b32 exec_lo, exec_lo, s16
	v_mov_b32_dpp v82, v80 row_shr:4 row_mask:0xf bank_mask:0xf
	s_delay_alu instid0(VALU_DEP_3) | instskip(NEXT) | instid1(VALU_DEP_3)
	v_mov_b32_dpp v83, v75 row_shr:4 row_mask:0xf bank_mask:0xf
	v_mov_b32_dpp v84, v76 row_shr:4 row_mask:0xf bank_mask:0xf
	s_mov_b32 s16, exec_lo
	v_cmpx_lt_u32_e32 3, v81
; %bb.136:
	v_cmp_eq_u32_e32 vcc_lo, 0, v80
	v_dual_cndmask_b32 v83, 0, v83 :: v_dual_add_nc_u32 v80, v82, v80
	v_cndmask_b32_e32 v81, 0, v84, vcc_lo
	s_delay_alu instid0(VALU_DEP_2) | instskip(NEXT) | instid1(VALU_DEP_2)
	v_add_co_u32 v75, vcc_lo, v83, v75
	v_add_co_ci_u32_e32 v76, vcc_lo, v81, v76, vcc_lo
; %bb.137:
	s_or_b32 exec_lo, exec_lo, s16
	ds_store_b32 v59, v80 offset:4128
	ds_store_b64 v59, v[75:76] offset:4136
.LBB311_138:
	s_or_b32 exec_lo, exec_lo, s14
	v_mov_b32_e32 v75, 0
	v_cmp_gt_u32_e32 vcc_lo, 32, v0
	v_dual_mov_b32 v76, 0 :: v_dual_mov_b32 v59, 0
	s_mov_b32 s16, exec_lo
	s_waitcnt lgkmcnt(0)
	s_barrier
	buffer_gl0_inv
	v_cmpx_lt_u32_e32 31, v0
	s_cbranch_execz .LBB311_140
; %bb.139:
	ds_load_b64 v[75:76], v79 offset:4120
	ds_load_b32 v59, v79 offset:4112
	v_cmp_eq_u32_e64 s14, 0, v71
	s_waitcnt lgkmcnt(1)
	s_delay_alu instid0(VALU_DEP_1) | instskip(SKIP_3) | instid1(VALU_DEP_3)
	v_cndmask_b32_e64 v80, 0, v75, s14
	v_cndmask_b32_e64 v79, 0, v76, s14
	s_waitcnt lgkmcnt(0)
	v_add_nc_u32_e32 v71, v59, v71
	v_add_co_u32 v77, s14, v80, v77
	s_delay_alu instid0(VALU_DEP_1)
	v_add_co_ci_u32_e64 v78, s14, v79, v78, s14
.LBB311_140:
	s_or_b32 exec_lo, exec_lo, s16
	v_add_nc_u32_e32 v79, -1, v114
	s_delay_alu instid0(VALU_DEP_1) | instskip(NEXT) | instid1(VALU_DEP_1)
	v_cmp_gt_i32_e64 s14, 0, v79
	v_cndmask_b32_e64 v79, v79, v114, s14
	v_cmp_eq_u32_e64 s14, 0, v114
	s_delay_alu instid0(VALU_DEP_2)
	v_lshlrev_b32_e32 v79, 2, v79
	ds_bpermute_b32 v86, v79, v71
	ds_bpermute_b32 v85, v79, v77
	;; [unrolled: 1-line block ×3, first 2 shown]
	s_and_saveexec_b32 s16, vcc_lo
	s_cbranch_execz .LBB311_179
; %bb.141:
	v_mov_b32_e32 v81, 0
	ds_load_b32 v87, v81 offset:4240
	ds_load_b64 v[77:78], v81 offset:4248
	s_and_saveexec_b32 s26, s14
	s_cbranch_execz .LBB311_143
; %bb.142:
	s_add_i32 s34, s30, 32
	s_mov_b32 s35, 0
	v_dual_mov_b32 v79, s34 :: v_dual_mov_b32 v80, 1
	s_lshl_b64 s[42:43], s[34:35], 4
	s_delay_alu instid0(SALU_CYCLE_1)
	s_add_u32 s34, s36, s42
	s_addc_u32 s35, s37, s43
	s_waitcnt lgkmcnt(1)
	global_store_b32 v81, v87, s[34:35]
	s_waitcnt lgkmcnt(0)
	global_store_b64 v81, v[77:78], s[34:35] offset:8
	s_waitcnt_vscnt null, 0x0
	buffer_gl1_inv
	buffer_gl0_inv
	global_store_b8 v79, v80, s[40:41]
.LBB311_143:
	s_or_b32 exec_lo, exec_lo, s26
	v_xad_u32 v79, v114, -1, s30
	s_mov_b32 s27, 0
	s_mov_b32 s26, exec_lo
	s_delay_alu instid0(VALU_DEP_1)
	v_add_nc_u32_e32 v80, 32, v79
	global_load_u8 v88, v80, s[40:41] glc
	s_waitcnt vmcnt(0)
	v_cmpx_eq_u16_e32 0, v88
	s_cbranch_execz .LBB311_147
; %bb.144:
	v_add_co_u32 v82, s31, s40, v80
	s_delay_alu instid0(VALU_DEP_1)
	v_add_co_ci_u32_e64 v83, null, s41, 0, s31
.LBB311_145:                            ; =>This Inner Loop Header: Depth=1
	global_load_u8 v88, v[82:83], off glc
	s_waitcnt vmcnt(0)
	v_cmp_ne_u16_e32 vcc_lo, 0, v88
	s_or_b32 s27, vcc_lo, s27
	s_delay_alu instid0(SALU_CYCLE_1)
	s_and_not1_b32 exec_lo, exec_lo, s27
	s_cbranch_execnz .LBB311_145
; %bb.146:
	s_or_b32 exec_lo, exec_lo, s27
.LBB311_147:
	s_delay_alu instid0(SALU_CYCLE_1)
	s_or_b32 exec_lo, exec_lo, s26
	v_dual_mov_b32 v82, s37 :: v_dual_mov_b32 v83, s36
	v_cmp_eq_u16_e32 vcc_lo, 1, v88
	v_lshlrev_b64 v[80:81], 4, v[80:81]
	s_waitcnt lgkmcnt(0)
	s_waitcnt_vscnt null, 0x0
	buffer_gl1_inv
	buffer_gl0_inv
	v_lshlrev_b32_e64 v90, v114, -1
	s_mov_b32 s26, exec_lo
	v_cndmask_b32_e32 v83, s38, v83, vcc_lo
	v_cndmask_b32_e32 v82, s39, v82, vcc_lo
	s_delay_alu instid0(VALU_DEP_2) | instskip(NEXT) | instid1(VALU_DEP_2)
	v_add_co_u32 v80, vcc_lo, v83, v80
	v_add_co_ci_u32_e32 v81, vcc_lo, v82, v81, vcc_lo
	v_cmp_ne_u32_e32 vcc_lo, 31, v114
	s_clause 0x1
	global_load_b32 v100, v[80:81], off
	global_load_b64 v[83:84], v[80:81], off offset:8
	v_add_co_ci_u32_e32 v80, vcc_lo, 0, v114, vcc_lo
	v_cmp_eq_u16_e32 vcc_lo, 2, v88
	s_delay_alu instid0(VALU_DEP_2) | instskip(SKIP_1) | instid1(VALU_DEP_1)
	v_lshlrev_b32_e32 v89, 2, v80
	v_and_or_b32 v80, vcc_lo, v90, 0x80000000
	v_ctz_i32_b32_e32 v80, v80
	s_waitcnt vmcnt(1)
	ds_bpermute_b32 v81, v89, v100
	s_waitcnt vmcnt(0)
	ds_bpermute_b32 v82, v89, v83
	ds_bpermute_b32 v91, v89, v84
	v_cmpx_lt_u32_e64 v114, v80
	s_cbranch_execz .LBB311_149
; %bb.148:
	v_cmp_eq_u32_e32 vcc_lo, 0, v100
	s_waitcnt lgkmcnt(0)
	v_dual_cndmask_b32 v91, 0, v91 :: v_dual_add_nc_u32 v100, v81, v100
	v_cndmask_b32_e32 v82, 0, v82, vcc_lo
	s_delay_alu instid0(VALU_DEP_1) | instskip(NEXT) | instid1(VALU_DEP_3)
	v_add_co_u32 v83, vcc_lo, v82, v83
	v_add_co_ci_u32_e32 v84, vcc_lo, v91, v84, vcc_lo
.LBB311_149:
	s_or_b32 exec_lo, exec_lo, s26
	v_cmp_gt_u32_e32 vcc_lo, 30, v114
	v_add_nc_u32_e32 v92, 2, v114
	s_mov_b32 s26, exec_lo
	s_waitcnt lgkmcnt(2)
	v_cndmask_b32_e64 v81, 0, 1, vcc_lo
	s_delay_alu instid0(VALU_DEP_1) | instskip(SKIP_1) | instid1(VALU_DEP_1)
	v_lshlrev_b32_e32 v81, 1, v81
	s_waitcnt lgkmcnt(0)
	v_add_lshl_u32 v91, v81, v114, 2
	ds_bpermute_b32 v81, v91, v100
	ds_bpermute_b32 v82, v91, v83
	ds_bpermute_b32 v93, v91, v84
	v_cmpx_le_u32_e64 v92, v80
	s_cbranch_execz .LBB311_151
; %bb.150:
	v_cmp_eq_u32_e32 vcc_lo, 0, v100
	s_waitcnt lgkmcnt(0)
	v_dual_cndmask_b32 v93, 0, v93 :: v_dual_add_nc_u32 v100, v81, v100
	v_cndmask_b32_e32 v82, 0, v82, vcc_lo
	s_delay_alu instid0(VALU_DEP_1) | instskip(NEXT) | instid1(VALU_DEP_3)
	v_add_co_u32 v83, vcc_lo, v82, v83
	v_add_co_ci_u32_e32 v84, vcc_lo, v93, v84, vcc_lo
.LBB311_151:
	s_or_b32 exec_lo, exec_lo, s26
	v_cmp_gt_u32_e32 vcc_lo, 28, v114
	v_add_nc_u32_e32 v94, 4, v114
	s_mov_b32 s26, exec_lo
	s_waitcnt lgkmcnt(2)
	v_cndmask_b32_e64 v81, 0, 1, vcc_lo
	s_delay_alu instid0(VALU_DEP_1) | instskip(SKIP_1) | instid1(VALU_DEP_1)
	v_lshlrev_b32_e32 v81, 2, v81
	s_waitcnt lgkmcnt(0)
	v_add_lshl_u32 v93, v81, v114, 2
	ds_bpermute_b32 v81, v93, v100
	ds_bpermute_b32 v82, v93, v83
	ds_bpermute_b32 v95, v93, v84
	v_cmpx_le_u32_e64 v94, v80
	;; [unrolled: 24-line block ×3, first 2 shown]
	s_cbranch_execz .LBB311_155
; %bb.154:
	v_cmp_eq_u32_e32 vcc_lo, 0, v100
	s_waitcnt lgkmcnt(0)
	v_dual_cndmask_b32 v97, 0, v97 :: v_dual_add_nc_u32 v100, v81, v100
	v_cndmask_b32_e32 v82, 0, v82, vcc_lo
	s_delay_alu instid0(VALU_DEP_1) | instskip(NEXT) | instid1(VALU_DEP_3)
	v_add_co_u32 v83, vcc_lo, v82, v83
	v_add_co_ci_u32_e32 v84, vcc_lo, v97, v84, vcc_lo
.LBB311_155:
	s_or_b32 exec_lo, exec_lo, s26
	v_cmp_gt_u32_e32 vcc_lo, 16, v114
	v_add_nc_u32_e32 v99, 16, v114
	s_mov_b32 s26, exec_lo
	s_waitcnt lgkmcnt(2)
	v_cndmask_b32_e64 v81, 0, 1, vcc_lo
	s_delay_alu instid0(VALU_DEP_1) | instskip(NEXT) | instid1(VALU_DEP_1)
	v_lshlrev_b32_e32 v81, 4, v81
	v_add_lshl_u32 v98, v81, v114, 2
	ds_bpermute_b32 v81, v98, v100
	s_waitcnt lgkmcnt(2)
	ds_bpermute_b32 v82, v98, v83
	s_waitcnt lgkmcnt(2)
	ds_bpermute_b32 v97, v98, v84
	v_cmpx_le_u32_e64 v99, v80
	s_cbranch_execz .LBB311_157
; %bb.156:
	v_cmp_eq_u32_e32 vcc_lo, 0, v100
	s_waitcnt lgkmcnt(2)
	v_add_nc_u32_e32 v100, v81, v100
	s_waitcnt lgkmcnt(1)
	v_cndmask_b32_e32 v82, 0, v82, vcc_lo
	s_waitcnt lgkmcnt(0)
	v_cndmask_b32_e32 v80, 0, v97, vcc_lo
	s_delay_alu instid0(VALU_DEP_2) | instskip(NEXT) | instid1(VALU_DEP_2)
	v_add_co_u32 v83, vcc_lo, v82, v83
	v_add_co_ci_u32_e32 v84, vcc_lo, v80, v84, vcc_lo
.LBB311_157:
	s_or_b32 exec_lo, exec_lo, s26
	v_mov_b32_e32 v80, 0
	s_branch .LBB311_159
.LBB311_158:                            ;   in Loop: Header=BB311_159 Depth=1
	s_or_b32 exec_lo, exec_lo, s26
	v_cmp_eq_u32_e32 vcc_lo, 0, v97
	v_subrev_nc_u32_e32 v79, 32, v79
	v_add_nc_u32_e32 v100, v100, v97
	v_dual_cndmask_b32 v84, 0, v84 :: v_dual_cndmask_b32 v83, 0, v83
	s_delay_alu instid0(VALU_DEP_1) | instskip(NEXT) | instid1(VALU_DEP_2)
	v_add_co_u32 v83, vcc_lo, v83, v81
	v_add_co_ci_u32_e32 v84, vcc_lo, v84, v82, vcc_lo
.LBB311_159:                            ; =>This Loop Header: Depth=1
                                        ;     Child Loop BB311_162 Depth 2
	s_waitcnt lgkmcnt(2)
	v_and_b32_e32 v81, 0xff, v88
	s_waitcnt lgkmcnt(0)
	v_mov_b32_e32 v97, v100
	s_delay_alu instid0(VALU_DEP_2) | instskip(SKIP_2) | instid1(VALU_DEP_1)
	v_cmp_ne_u16_e32 vcc_lo, 2, v81
	v_cndmask_b32_e64 v81, 0, 1, vcc_lo
	;;#ASMSTART
	;;#ASMEND
	v_cmp_ne_u32_e32 vcc_lo, 0, v81
	v_dual_mov_b32 v81, v83 :: v_dual_mov_b32 v82, v84
	s_cmp_lg_u32 vcc_lo, exec_lo
	s_cbranch_scc1 .LBB311_174
; %bb.160:                              ;   in Loop: Header=BB311_159 Depth=1
	global_load_u8 v88, v79, s[40:41] glc
	s_mov_b32 s26, exec_lo
	s_waitcnt vmcnt(0)
	v_cmpx_eq_u16_e32 0, v88
	s_cbranch_execz .LBB311_164
; %bb.161:                              ;   in Loop: Header=BB311_159 Depth=1
	v_add_co_u32 v83, s27, s40, v79
	s_delay_alu instid0(VALU_DEP_1)
	v_add_co_ci_u32_e64 v84, null, s41, 0, s27
	s_mov_b32 s27, 0
.LBB311_162:                            ;   Parent Loop BB311_159 Depth=1
                                        ; =>  This Inner Loop Header: Depth=2
	global_load_u8 v88, v[83:84], off glc
	s_waitcnt vmcnt(0)
	v_cmp_ne_u16_e32 vcc_lo, 0, v88
	s_or_b32 s27, vcc_lo, s27
	s_delay_alu instid0(SALU_CYCLE_1)
	s_and_not1_b32 exec_lo, exec_lo, s27
	s_cbranch_execnz .LBB311_162
; %bb.163:                              ;   in Loop: Header=BB311_159 Depth=1
	s_or_b32 exec_lo, exec_lo, s27
.LBB311_164:                            ;   in Loop: Header=BB311_159 Depth=1
	s_delay_alu instid0(SALU_CYCLE_1)
	s_or_b32 exec_lo, exec_lo, s26
	v_dual_mov_b32 v100, s37 :: v_dual_mov_b32 v101, s36
	v_cmp_eq_u16_e32 vcc_lo, 1, v88
	v_lshlrev_b64 v[83:84], 4, v[79:80]
	buffer_gl1_inv
	buffer_gl0_inv
	s_mov_b32 s26, exec_lo
	v_cndmask_b32_e32 v101, s38, v101, vcc_lo
	v_cndmask_b32_e32 v100, s39, v100, vcc_lo
	s_delay_alu instid0(VALU_DEP_2) | instskip(NEXT) | instid1(VALU_DEP_2)
	v_add_co_u32 v83, vcc_lo, v101, v83
	v_add_co_ci_u32_e32 v84, vcc_lo, v100, v84, vcc_lo
	v_cmp_eq_u16_e32 vcc_lo, 2, v88
	s_clause 0x1
	global_load_b32 v100, v[83:84], off
	global_load_b64 v[83:84], v[83:84], off offset:8
	v_and_or_b32 v101, vcc_lo, v90, 0x80000000
	s_delay_alu instid0(VALU_DEP_1)
	v_ctz_i32_b32_e32 v101, v101
	s_waitcnt vmcnt(1)
	ds_bpermute_b32 v102, v89, v100
	s_waitcnt vmcnt(0)
	ds_bpermute_b32 v103, v89, v83
	ds_bpermute_b32 v104, v89, v84
	v_cmpx_lt_u32_e64 v114, v101
	s_cbranch_execz .LBB311_166
; %bb.165:                              ;   in Loop: Header=BB311_159 Depth=1
	v_cmp_eq_u32_e32 vcc_lo, 0, v100
	s_waitcnt lgkmcnt(2)
	v_add_nc_u32_e32 v100, v102, v100
	s_waitcnt lgkmcnt(0)
	v_dual_cndmask_b32 v104, 0, v104 :: v_dual_cndmask_b32 v103, 0, v103
	s_delay_alu instid0(VALU_DEP_1) | instskip(NEXT) | instid1(VALU_DEP_2)
	v_add_co_u32 v83, vcc_lo, v103, v83
	v_add_co_ci_u32_e32 v84, vcc_lo, v104, v84, vcc_lo
.LBB311_166:                            ;   in Loop: Header=BB311_159 Depth=1
	s_or_b32 exec_lo, exec_lo, s26
	s_waitcnt lgkmcnt(2)
	ds_bpermute_b32 v102, v91, v100
	s_waitcnt lgkmcnt(2)
	ds_bpermute_b32 v103, v91, v83
	s_waitcnt lgkmcnt(2)
	ds_bpermute_b32 v104, v91, v84
	s_mov_b32 s26, exec_lo
	v_cmpx_le_u32_e64 v92, v101
	s_cbranch_execz .LBB311_168
; %bb.167:                              ;   in Loop: Header=BB311_159 Depth=1
	v_cmp_eq_u32_e32 vcc_lo, 0, v100
	s_waitcnt lgkmcnt(2)
	v_add_nc_u32_e32 v100, v102, v100
	s_waitcnt lgkmcnt(0)
	v_dual_cndmask_b32 v104, 0, v104 :: v_dual_cndmask_b32 v103, 0, v103
	s_delay_alu instid0(VALU_DEP_1) | instskip(NEXT) | instid1(VALU_DEP_2)
	v_add_co_u32 v83, vcc_lo, v103, v83
	v_add_co_ci_u32_e32 v84, vcc_lo, v104, v84, vcc_lo
.LBB311_168:                            ;   in Loop: Header=BB311_159 Depth=1
	s_or_b32 exec_lo, exec_lo, s26
	s_waitcnt lgkmcnt(2)
	ds_bpermute_b32 v102, v93, v100
	s_waitcnt lgkmcnt(2)
	ds_bpermute_b32 v103, v93, v83
	s_waitcnt lgkmcnt(2)
	ds_bpermute_b32 v104, v93, v84
	s_mov_b32 s26, exec_lo
	v_cmpx_le_u32_e64 v94, v101
	s_cbranch_execz .LBB311_170
; %bb.169:                              ;   in Loop: Header=BB311_159 Depth=1
	v_cmp_eq_u32_e32 vcc_lo, 0, v100
	s_waitcnt lgkmcnt(2)
	v_add_nc_u32_e32 v100, v102, v100
	s_waitcnt lgkmcnt(0)
	v_dual_cndmask_b32 v104, 0, v104 :: v_dual_cndmask_b32 v103, 0, v103
	s_delay_alu instid0(VALU_DEP_1) | instskip(NEXT) | instid1(VALU_DEP_2)
	v_add_co_u32 v83, vcc_lo, v103, v83
	v_add_co_ci_u32_e32 v84, vcc_lo, v104, v84, vcc_lo
.LBB311_170:                            ;   in Loop: Header=BB311_159 Depth=1
	s_or_b32 exec_lo, exec_lo, s26
	s_waitcnt lgkmcnt(2)
	ds_bpermute_b32 v102, v95, v100
	s_waitcnt lgkmcnt(2)
	ds_bpermute_b32 v103, v95, v83
	s_waitcnt lgkmcnt(2)
	ds_bpermute_b32 v104, v95, v84
	s_mov_b32 s26, exec_lo
	v_cmpx_le_u32_e64 v96, v101
	s_cbranch_execz .LBB311_172
; %bb.171:                              ;   in Loop: Header=BB311_159 Depth=1
	v_cmp_eq_u32_e32 vcc_lo, 0, v100
	s_waitcnt lgkmcnt(2)
	v_add_nc_u32_e32 v100, v102, v100
	s_waitcnt lgkmcnt(0)
	v_dual_cndmask_b32 v104, 0, v104 :: v_dual_cndmask_b32 v103, 0, v103
	s_delay_alu instid0(VALU_DEP_1) | instskip(NEXT) | instid1(VALU_DEP_2)
	v_add_co_u32 v83, vcc_lo, v103, v83
	v_add_co_ci_u32_e32 v84, vcc_lo, v104, v84, vcc_lo
.LBB311_172:                            ;   in Loop: Header=BB311_159 Depth=1
	s_or_b32 exec_lo, exec_lo, s26
	s_waitcnt lgkmcnt(2)
	ds_bpermute_b32 v102, v98, v100
	s_waitcnt lgkmcnt(2)
	ds_bpermute_b32 v103, v98, v83
	s_waitcnt lgkmcnt(2)
	ds_bpermute_b32 v104, v98, v84
	s_mov_b32 s26, exec_lo
	v_cmpx_le_u32_e64 v99, v101
	s_cbranch_execz .LBB311_158
; %bb.173:                              ;   in Loop: Header=BB311_159 Depth=1
	v_cmp_eq_u32_e32 vcc_lo, 0, v100
	s_waitcnt lgkmcnt(1)
	v_dual_cndmask_b32 v103, 0, v103 :: v_dual_add_nc_u32 v100, v102, v100
	s_waitcnt lgkmcnt(0)
	v_cndmask_b32_e32 v101, 0, v104, vcc_lo
	s_delay_alu instid0(VALU_DEP_2) | instskip(NEXT) | instid1(VALU_DEP_2)
	v_add_co_u32 v83, vcc_lo, v103, v83
	v_add_co_ci_u32_e32 v84, vcc_lo, v101, v84, vcc_lo
	s_branch .LBB311_158
.LBB311_174:                            ;   in Loop: Header=BB311_159 Depth=1
                                        ; implicit-def: $vgpr83_vgpr84
                                        ; implicit-def: $vgpr100
                                        ; implicit-def: $vgpr88
	s_cbranch_execz .LBB311_159
; %bb.175:
	s_and_saveexec_b32 s26, s14
	s_cbranch_execz .LBB311_177
; %bb.176:
	v_cmp_eq_u32_e32 vcc_lo, 0, v87
	s_mov_b32 s31, 0
	s_add_i32 s30, s30, 32
	v_dual_mov_b32 v84, 0 :: v_dual_add_nc_u32 v83, v97, v87
	v_dual_cndmask_b32 v80, 0, v82 :: v_dual_cndmask_b32 v79, 0, v81
	s_lshl_b64 s[34:35], s[30:31], 4
	v_dual_mov_b32 v88, s30 :: v_dual_mov_b32 v89, 2
	s_add_u32 s34, s38, s34
	s_delay_alu instid0(VALU_DEP_2)
	v_add_co_u32 v79, vcc_lo, v79, v77
	v_add_co_ci_u32_e32 v80, vcc_lo, v80, v78, vcc_lo
	s_addc_u32 s35, s39, s35
	s_clause 0x1
	global_store_b32 v84, v83, s[34:35]
	global_store_b64 v84, v[79:80], s[34:35] offset:8
	s_waitcnt lgkmcnt(0)
	s_waitcnt_vscnt null, 0x0
	buffer_gl1_inv
	buffer_gl0_inv
	global_store_b8 v88, v89, s[40:41]
	ds_store_b32 v84, v87 offset:4096
	ds_store_b64 v84, v[77:78] offset:4104
	ds_store_b32 v84, v97 offset:4112
	ds_store_b64 v84, v[81:82] offset:4120
.LBB311_177:
	s_or_b32 exec_lo, exec_lo, s26
	s_delay_alu instid0(SALU_CYCLE_1)
	s_and_b32 exec_lo, exec_lo, s2
	s_cbranch_execz .LBB311_179
; %bb.178:
	v_mov_b32_e32 v77, 0
	ds_store_b32 v77, v97 offset:4240
	ds_store_b64 v77, v[81:82] offset:4248
.LBB311_179:
	s_or_b32 exec_lo, exec_lo, s16
	v_mov_b32_e32 v105, 0
	s_waitcnt lgkmcnt(0)
	s_waitcnt_vscnt null, 0x0
	s_barrier
	buffer_gl0_inv
	v_cndmask_b32_e64 v106, v86, v59, s14
	ds_load_b64 v[77:78], v105 offset:4248
	v_cndmask_b32_e64 v59, v85, v75, s14
	v_cndmask_b32_e64 v71, v71, v76, s14
	v_cmp_eq_u32_e32 vcc_lo, 0, v106
	v_cndmask_b32_e64 v109, v106, 0, s2
	s_waitcnt lgkmcnt(0)
	v_cndmask_b32_e32 v79, 0, v77, vcc_lo
	v_cndmask_b32_e32 v75, 0, v78, vcc_lo
	s_delay_alu instid0(VALU_DEP_2) | instskip(NEXT) | instid1(VALU_DEP_2)
	v_add_co_u32 v59, vcc_lo, v79, v59
	v_add_co_ci_u32_e32 v71, vcc_lo, v75, v71, vcc_lo
	v_cmp_eq_u32_e32 vcc_lo, 0, v63
	s_delay_alu instid0(VALU_DEP_3) | instskip(NEXT) | instid1(VALU_DEP_3)
	v_cndmask_b32_e64 v91, v59, v77, s2
	v_cndmask_b32_e64 v92, v71, v78, s2
	ds_load_b32 v78, v105 offset:4240
	s_waitcnt lgkmcnt(0)
	v_cndmask_b32_e32 v71, 0, v91, vcc_lo
	s_barrier
	v_cndmask_b32_e32 v59, 0, v92, vcc_lo
	buffer_gl0_inv
	ds_load_b64 v[116:117], v105 offset:4104
	v_add_co_u32 v87, vcc_lo, v71, v53
	v_add_co_ci_u32_e32 v88, vcc_lo, v59, v54, vcc_lo
	s_delay_alu instid0(VALU_DEP_2) | instskip(NEXT) | instid1(VALU_DEP_2)
	v_cndmask_b32_e64 v59, 0, v87, s13
	v_cndmask_b32_e64 v71, 0, v88, s13
	s_delay_alu instid0(VALU_DEP_2) | instskip(NEXT) | instid1(VALU_DEP_2)
	v_add_co_u32 v93, vcc_lo, v59, v55
	v_add_co_ci_u32_e32 v94, vcc_lo, v71, v56, vcc_lo
	s_delay_alu instid0(VALU_DEP_2) | instskip(NEXT) | instid1(VALU_DEP_2)
	v_cndmask_b32_e64 v59, 0, v93, s12
	v_cndmask_b32_e64 v71, 0, v94, s12
	s_delay_alu instid0(VALU_DEP_2) | instskip(NEXT) | instid1(VALU_DEP_2)
	;; [unrolled: 6-line block ×9, first 2 shown]
	v_add_co_u32 v85, vcc_lo, v59, v39
	v_add_co_ci_u32_e32 v86, vcc_lo, v71, v40, vcc_lo
	ds_load_b32 v59, v105 offset:4096
	v_cndmask_b32_e64 v71, 0, v85, s4
	v_cndmask_b32_e64 v75, 0, v86, s4
	s_delay_alu instid0(VALU_DEP_2) | instskip(NEXT) | instid1(VALU_DEP_2)
	v_add_co_u32 v101, vcc_lo, v71, v33
	v_add_co_ci_u32_e32 v102, vcc_lo, v75, v34, vcc_lo
	ds_load_b64 v[75:76], v105 offset:4120
	v_cndmask_b32_e64 v71, 0, v101, s3
	v_cndmask_b32_e64 v77, 0, v102, s3
	s_delay_alu instid0(VALU_DEP_2) | instskip(NEXT) | instid1(VALU_DEP_2)
	v_add_co_u32 v103, vcc_lo, v71, v35
	v_add_co_ci_u32_e32 v104, vcc_lo, v77, v36, vcc_lo
	ds_load_b32 v77, v105 offset:4112
	v_cndmask_b32_e64 v71, 0, v103, s1
	s_waitcnt lgkmcnt(2)
	v_cmp_eq_u32_e32 vcc_lo, 0, v59
	v_cndmask_b32_e64 v106, 0, v104, s1
	s_delay_alu instid0(VALU_DEP_3) | instskip(NEXT) | instid1(VALU_DEP_1)
	v_add_co_u32 v105, s1, v71, v29
	v_add_co_ci_u32_e64 v106, s1, v106, v30, s1
	s_waitcnt lgkmcnt(1)
	v_dual_cndmask_b32 v75, 0, v75 :: v_dual_cndmask_b32 v76, 0, v76
	v_add_nc_u32_e32 v71, v78, v109
	s_delay_alu instid0(VALU_DEP_3) | instskip(SKIP_1) | instid1(VALU_DEP_4)
	v_cndmask_b32_e64 v110, 0, v106, s0
	v_cndmask_b32_e64 v109, 0, v105, s0
	v_add_co_u32 v75, vcc_lo, v75, v116
	v_add_co_ci_u32_e32 v76, vcc_lo, v76, v117, vcc_lo
	s_branch .LBB311_208
.LBB311_180:
                                        ; implicit-def: $vgpr59
                                        ; implicit-def: $vgpr75_vgpr76
                                        ; implicit-def: $vgpr77
                                        ; implicit-def: $vgpr91_vgpr92
                                        ; implicit-def: $vgpr87_vgpr88
                                        ; implicit-def: $vgpr93_vgpr94
                                        ; implicit-def: $vgpr97_vgpr98
                                        ; implicit-def: $vgpr79_vgpr80
                                        ; implicit-def: $vgpr83_vgpr84
                                        ; implicit-def: $vgpr89_vgpr90
                                        ; implicit-def: $vgpr95_vgpr96
                                        ; implicit-def: $vgpr99_vgpr100
                                        ; implicit-def: $vgpr81_vgpr82
                                        ; implicit-def: $vgpr85_vgpr86
                                        ; implicit-def: $vgpr101_vgpr102
                                        ; implicit-def: $vgpr103_vgpr104
                                        ; implicit-def: $vgpr105_vgpr106
                                        ; implicit-def: $vgpr109_vgpr110
                                        ; implicit-def: $vgpr71
	s_cbranch_execz .LBB311_208
; %bb.181:
	s_and_b32 s0, s15, exec_lo
	s_cselect_b32 s1, 0, s25
	s_cselect_b32 s0, 0, s24
	s_delay_alu instid0(SALU_CYCLE_1)
	s_cmp_eq_u64 s[0:1], 0
	s_cbranch_scc1 .LBB311_183
; %bb.182:
	v_mov_b32_e32 v59, 0
	global_load_b64 v[107:108], v59, s[0:1]
.LBB311_183:
	v_cmp_eq_u32_e64 s12, 0, v72
	v_cmp_eq_u32_e64 s11, 0, v69
	;; [unrolled: 1-line block ×5, first 2 shown]
	v_cndmask_b32_e64 v71, 0, v53, s12
	v_cndmask_b32_e64 v59, 0, v54, s12
	v_cmp_eq_u32_e64 s7, 0, v65
	v_cmp_eq_u32_e64 s6, 0, v66
	v_cmp_eq_u32_e64 s5, 0, v61
	v_add_co_u32 v71, vcc_lo, v71, v55
	v_add_co_ci_u32_e32 v59, vcc_lo, v59, v56, vcc_lo
	v_cmp_eq_u32_e64 s4, 0, v62
	s_delay_alu instid0(VALU_DEP_3) | instskip(SKIP_1) | instid1(VALU_DEP_4)
	v_cndmask_b32_e64 v71, 0, v71, s11
	v_cmp_eq_u32_e64 s3, 0, v113
	v_cndmask_b32_e64 v59, 0, v59, s11
	v_cmp_eq_u32_e64 s1, 0, v112
	v_add3_u32 v75, v115, v68, v65
	v_add_co_u32 v71, vcc_lo, v71, v49
	s_delay_alu instid0(VALU_DEP_4) | instskip(NEXT) | instid1(VALU_DEP_3)
	v_add_co_ci_u32_e32 v59, vcc_lo, v59, v50, vcc_lo
	v_add3_u32 v75, v75, v66, v61
	s_delay_alu instid0(VALU_DEP_3) | instskip(SKIP_1) | instid1(VALU_DEP_3)
	v_cndmask_b32_e64 v71, 0, v71, s10
	s_mov_b32 s14, exec_lo
	v_cndmask_b32_e64 v59, 0, v59, s10
	s_delay_alu instid0(VALU_DEP_3) | instskip(NEXT) | instid1(VALU_DEP_3)
	v_add3_u32 v75, v75, v62, v113
	v_add_co_u32 v71, vcc_lo, v71, v51
	s_delay_alu instid0(VALU_DEP_3) | instskip(NEXT) | instid1(VALU_DEP_3)
	v_add_co_ci_u32_e32 v59, vcc_lo, v59, v52, vcc_lo
	v_add3_u32 v75, v75, v60, v112
	s_delay_alu instid0(VALU_DEP_3) | instskip(NEXT) | instid1(VALU_DEP_3)
	v_cndmask_b32_e64 v71, 0, v71, s9
	v_cndmask_b32_e64 v59, 0, v59, s9
	s_delay_alu instid0(VALU_DEP_2) | instskip(NEXT) | instid1(VALU_DEP_2)
	v_add_co_u32 v71, vcc_lo, v71, v45
	v_add_co_ci_u32_e32 v59, vcc_lo, v59, v46, vcc_lo
	s_delay_alu instid0(VALU_DEP_2) | instskip(NEXT) | instid1(VALU_DEP_2)
	v_cndmask_b32_e64 v71, 0, v71, s8
	v_cndmask_b32_e64 v59, 0, v59, s8
	s_delay_alu instid0(VALU_DEP_2) | instskip(NEXT) | instid1(VALU_DEP_2)
	v_add_co_u32 v71, vcc_lo, v71, v47
	v_add_co_ci_u32_e32 v59, vcc_lo, v59, v48, vcc_lo
	s_delay_alu instid0(VALU_DEP_2) | instskip(NEXT) | instid1(VALU_DEP_2)
	;; [unrolled: 6-line block ×6, first 2 shown]
	v_cndmask_b32_e64 v71, 0, v71, s3
	v_cndmask_b32_e64 v59, 0, v59, s3
	s_delay_alu instid0(VALU_DEP_2) | instskip(NEXT) | instid1(VALU_DEP_2)
	v_add_co_u32 v71, vcc_lo, v71, v33
	v_add_co_ci_u32_e32 v59, vcc_lo, v59, v34, vcc_lo
	v_cmp_eq_u32_e32 vcc_lo, 0, v60
	s_delay_alu instid0(VALU_DEP_3) | instskip(NEXT) | instid1(VALU_DEP_3)
	v_cndmask_b32_e32 v71, 0, v71, vcc_lo
	v_cndmask_b32_e32 v59, 0, v59, vcc_lo
	s_delay_alu instid0(VALU_DEP_2) | instskip(NEXT) | instid1(VALU_DEP_1)
	v_add_co_u32 v71, s0, v71, v35
	v_add_co_ci_u32_e64 v59, s0, v59, v36, s0
	s_delay_alu instid0(VALU_DEP_2) | instskip(NEXT) | instid1(VALU_DEP_2)
	v_cndmask_b32_e64 v71, 0, v71, s1
	v_cndmask_b32_e64 v59, 0, v59, s1
	s_delay_alu instid0(VALU_DEP_2) | instskip(NEXT) | instid1(VALU_DEP_1)
	v_add_co_u32 v71, s0, v71, v29
	v_add_co_ci_u32_e64 v59, s0, v59, v30, s0
	v_cmp_eq_u32_e64 s0, 0, v64
	s_delay_alu instid0(VALU_DEP_1) | instskip(NEXT) | instid1(VALU_DEP_3)
	v_cndmask_b32_e64 v71, 0, v71, s0
	v_cndmask_b32_e64 v59, 0, v59, s0
	s_delay_alu instid0(VALU_DEP_2) | instskip(NEXT) | instid1(VALU_DEP_1)
	v_add_co_u32 v71, s13, v71, v31
	v_add_co_ci_u32_e64 v59, s13, v59, v32, s13
	v_cmp_eq_u32_e64 s13, 0, v111
	s_delay_alu instid0(VALU_DEP_1) | instskip(NEXT) | instid1(VALU_DEP_3)
	v_cndmask_b32_e64 v71, 0, v71, s13
	v_cndmask_b32_e64 v76, 0, v59, s13
	v_add3_u32 v59, v75, v64, v111
	s_delay_alu instid0(VALU_DEP_3) | instskip(NEXT) | instid1(VALU_DEP_1)
	v_add_co_u32 v73, s13, v71, v73
	v_add_co_ci_u32_e64 v74, s13, v76, v74, s13
	v_and_b32_e32 v71, 15, v114
	s_delay_alu instid0(VALU_DEP_4) | instskip(NEXT) | instid1(VALU_DEP_4)
	v_mov_b32_dpp v75, v59 row_shr:1 row_mask:0xf bank_mask:0xf
	v_mov_b32_dpp v76, v73 row_shr:1 row_mask:0xf bank_mask:0xf
	s_waitcnt lgkmcnt(0)
	v_mov_b32_dpp v77, v74 row_shr:1 row_mask:0xf bank_mask:0xf
	v_cmpx_ne_u32_e32 0, v71
; %bb.184:
	v_cmp_eq_u32_e64 s13, 0, v59
	v_add_nc_u32_e32 v59, v75, v59
	s_delay_alu instid0(VALU_DEP_2) | instskip(SKIP_1) | instid1(VALU_DEP_2)
	v_cndmask_b32_e64 v76, 0, v76, s13
	v_cndmask_b32_e64 v77, 0, v77, s13
	v_add_co_u32 v73, s13, v76, v73
	s_delay_alu instid0(VALU_DEP_1)
	v_add_co_ci_u32_e64 v74, s13, v77, v74, s13
; %bb.185:
	s_or_b32 exec_lo, exec_lo, s14
	v_mov_b32_dpp v75, v59 row_shr:2 row_mask:0xf bank_mask:0xf
	s_delay_alu instid0(VALU_DEP_3) | instskip(NEXT) | instid1(VALU_DEP_3)
	v_mov_b32_dpp v76, v73 row_shr:2 row_mask:0xf bank_mask:0xf
	v_mov_b32_dpp v77, v74 row_shr:2 row_mask:0xf bank_mask:0xf
	s_mov_b32 s14, exec_lo
	v_cmpx_lt_u32_e32 1, v71
; %bb.186:
	v_cmp_eq_u32_e64 s13, 0, v59
	v_add_nc_u32_e32 v59, v75, v59
	s_delay_alu instid0(VALU_DEP_2) | instskip(SKIP_1) | instid1(VALU_DEP_2)
	v_cndmask_b32_e64 v76, 0, v76, s13
	v_cndmask_b32_e64 v77, 0, v77, s13
	v_add_co_u32 v73, s13, v76, v73
	s_delay_alu instid0(VALU_DEP_1)
	v_add_co_ci_u32_e64 v74, s13, v77, v74, s13
; %bb.187:
	s_or_b32 exec_lo, exec_lo, s14
	v_mov_b32_dpp v75, v59 row_shr:4 row_mask:0xf bank_mask:0xf
	s_delay_alu instid0(VALU_DEP_3) | instskip(NEXT) | instid1(VALU_DEP_3)
	v_mov_b32_dpp v76, v73 row_shr:4 row_mask:0xf bank_mask:0xf
	v_mov_b32_dpp v77, v74 row_shr:4 row_mask:0xf bank_mask:0xf
	s_mov_b32 s14, exec_lo
	v_cmpx_lt_u32_e32 3, v71
	;; [unrolled: 17-line block ×3, first 2 shown]
; %bb.190:
	v_cmp_eq_u32_e64 s13, 0, v59
	v_add_nc_u32_e32 v59, v75, v59
	s_delay_alu instid0(VALU_DEP_2) | instskip(SKIP_1) | instid1(VALU_DEP_2)
	v_cndmask_b32_e64 v76, 0, v76, s13
	v_cndmask_b32_e64 v71, 0, v77, s13
	v_add_co_u32 v73, s13, v76, v73
	s_delay_alu instid0(VALU_DEP_1)
	v_add_co_ci_u32_e64 v74, s13, v71, v74, s13
; %bb.191:
	s_or_b32 exec_lo, exec_lo, s14
	ds_swizzle_b32 v71, v59 offset:swizzle(BROADCAST,32,15)
	ds_swizzle_b32 v75, v73 offset:swizzle(BROADCAST,32,15)
	;; [unrolled: 1-line block ×3, first 2 shown]
	v_and_b32_e32 v77, 16, v114
	s_mov_b32 s14, exec_lo
	s_delay_alu instid0(VALU_DEP_1)
	v_cmpx_ne_u32_e32 0, v77
	s_cbranch_execz .LBB311_193
; %bb.192:
	v_cmp_eq_u32_e64 s13, 0, v59
	s_waitcnt lgkmcnt(2)
	v_add_nc_u32_e32 v59, v71, v59
	s_waitcnt lgkmcnt(1)
	s_delay_alu instid0(VALU_DEP_2) | instskip(SKIP_2) | instid1(VALU_DEP_2)
	v_cndmask_b32_e64 v75, 0, v75, s13
	s_waitcnt lgkmcnt(0)
	v_cndmask_b32_e64 v76, 0, v76, s13
	v_add_co_u32 v73, s13, v75, v73
	s_delay_alu instid0(VALU_DEP_1)
	v_add_co_ci_u32_e64 v74, s13, v76, v74, s13
.LBB311_193:
	s_or_b32 exec_lo, exec_lo, s14
	s_waitcnt lgkmcnt(2)
	v_or_b32_e32 v71, 31, v0
	s_waitcnt lgkmcnt(1)
	v_lshrrev_b32_e32 v75, 5, v0
	s_delay_alu instid0(VALU_DEP_2) | instskip(NEXT) | instid1(VALU_DEP_2)
	v_cmp_eq_u32_e64 s13, v71, v0
	v_lshlrev_b32_e32 v71, 4, v75
	s_delay_alu instid0(VALU_DEP_2)
	s_and_saveexec_b32 s14, s13
	s_cbranch_execz .LBB311_195
; %bb.194:
	ds_store_b32 v71, v59 offset:4128
	ds_store_b64 v71, v[73:74] offset:4136
.LBB311_195:
	s_or_b32 exec_lo, exec_lo, s14
	s_delay_alu instid0(SALU_CYCLE_1)
	s_mov_b32 s14, exec_lo
	s_waitcnt vmcnt(0) lgkmcnt(0)
	s_barrier
	buffer_gl0_inv
	v_cmpx_gt_u32_e32 8, v0
	s_cbranch_execz .LBB311_203
; %bb.196:
	v_lshlrev_b32_e32 v77, 4, v0
	v_and_b32_e32 v79, 7, v114
	s_mov_b32 s16, exec_lo
	ds_load_b32 v78, v77 offset:4128
	ds_load_b64 v[75:76], v77 offset:4136
	s_waitcnt lgkmcnt(1)
	v_mov_b32_dpp v80, v78 row_shr:1 row_mask:0xf bank_mask:0xf
	s_waitcnt lgkmcnt(0)
	v_mov_b32_dpp v81, v75 row_shr:1 row_mask:0xf bank_mask:0xf
	v_mov_b32_dpp v82, v76 row_shr:1 row_mask:0xf bank_mask:0xf
	v_cmpx_ne_u32_e32 0, v79
; %bb.197:
	v_cmp_eq_u32_e64 s13, 0, v78
	v_add_nc_u32_e32 v78, v80, v78
	s_delay_alu instid0(VALU_DEP_2) | instskip(SKIP_1) | instid1(VALU_DEP_2)
	v_cndmask_b32_e64 v81, 0, v81, s13
	v_cndmask_b32_e64 v82, 0, v82, s13
	v_add_co_u32 v75, s13, v81, v75
	s_delay_alu instid0(VALU_DEP_1)
	v_add_co_ci_u32_e64 v76, s13, v82, v76, s13
; %bb.198:
	s_or_b32 exec_lo, exec_lo, s16
	v_mov_b32_dpp v80, v78 row_shr:2 row_mask:0xf bank_mask:0xf
	s_delay_alu instid0(VALU_DEP_3) | instskip(NEXT) | instid1(VALU_DEP_3)
	v_mov_b32_dpp v81, v75 row_shr:2 row_mask:0xf bank_mask:0xf
	v_mov_b32_dpp v82, v76 row_shr:2 row_mask:0xf bank_mask:0xf
	s_mov_b32 s16, exec_lo
	v_cmpx_lt_u32_e32 1, v79
; %bb.199:
	v_cmp_eq_u32_e64 s13, 0, v78
	v_add_nc_u32_e32 v78, v80, v78
	s_delay_alu instid0(VALU_DEP_2) | instskip(SKIP_1) | instid1(VALU_DEP_2)
	v_cndmask_b32_e64 v81, 0, v81, s13
	v_cndmask_b32_e64 v82, 0, v82, s13
	v_add_co_u32 v75, s13, v81, v75
	s_delay_alu instid0(VALU_DEP_1)
	v_add_co_ci_u32_e64 v76, s13, v82, v76, s13
; %bb.200:
	s_or_b32 exec_lo, exec_lo, s16
	v_mov_b32_dpp v80, v78 row_shr:4 row_mask:0xf bank_mask:0xf
	s_delay_alu instid0(VALU_DEP_3) | instskip(NEXT) | instid1(VALU_DEP_3)
	v_mov_b32_dpp v81, v75 row_shr:4 row_mask:0xf bank_mask:0xf
	v_mov_b32_dpp v82, v76 row_shr:4 row_mask:0xf bank_mask:0xf
	s_mov_b32 s16, exec_lo
	v_cmpx_lt_u32_e32 3, v79
; %bb.201:
	v_cmp_eq_u32_e64 s13, 0, v78
	v_add_nc_u32_e32 v78, v80, v78
	s_delay_alu instid0(VALU_DEP_2) | instskip(SKIP_1) | instid1(VALU_DEP_2)
	v_cndmask_b32_e64 v81, 0, v81, s13
	v_cndmask_b32_e64 v79, 0, v82, s13
	v_add_co_u32 v75, s13, v81, v75
	s_delay_alu instid0(VALU_DEP_1)
	v_add_co_ci_u32_e64 v76, s13, v79, v76, s13
; %bb.202:
	s_or_b32 exec_lo, exec_lo, s16
	ds_store_b32 v77, v78 offset:4128
	ds_store_b64 v77, v[75:76] offset:4136
.LBB311_203:
	s_or_b32 exec_lo, exec_lo, s14
	v_dual_mov_b32 v77, 0 :: v_dual_mov_b32 v78, 0
	v_dual_mov_b32 v75, v107 :: v_dual_mov_b32 v76, v108
	s_mov_b32 s14, exec_lo
	s_waitcnt lgkmcnt(0)
	s_barrier
	buffer_gl0_inv
	v_cmpx_lt_u32_e32 31, v0
	s_cbranch_execz .LBB311_205
; %bb.204:
	ds_load_b32 v78, v71 offset:4112
	ds_load_b64 v[75:76], v71 offset:4120
	s_waitcnt lgkmcnt(1)
	v_cmp_eq_u32_e64 s13, 0, v78
	s_delay_alu instid0(VALU_DEP_1) | instskip(SKIP_2) | instid1(VALU_DEP_2)
	v_cndmask_b32_e64 v79, 0, v107, s13
	v_cndmask_b32_e64 v71, 0, v108, s13
	s_waitcnt lgkmcnt(0)
	v_add_co_u32 v75, s13, v79, v75
	s_delay_alu instid0(VALU_DEP_1)
	v_add_co_ci_u32_e64 v76, s13, v71, v76, s13
.LBB311_205:
	s_or_b32 exec_lo, exec_lo, s14
	v_add_nc_u32_e32 v71, -1, v114
	v_cmp_eq_u32_e64 s13, 0, v59
	v_add_nc_u32_e32 v59, v78, v59
	s_delay_alu instid0(VALU_DEP_3) | instskip(NEXT) | instid1(VALU_DEP_3)
	v_cmp_gt_i32_e64 s14, 0, v71
	v_cndmask_b32_e64 v80, 0, v75, s13
	v_cndmask_b32_e64 v79, 0, v76, s13
	s_delay_alu instid0(VALU_DEP_3) | instskip(NEXT) | instid1(VALU_DEP_3)
	v_cndmask_b32_e64 v71, v71, v114, s14
	v_add_co_u32 v73, s13, v80, v73
	s_delay_alu instid0(VALU_DEP_1) | instskip(NEXT) | instid1(VALU_DEP_3)
	v_add_co_ci_u32_e64 v74, s13, v79, v74, s13
	v_lshlrev_b32_e32 v71, 2, v71
	v_cmp_eq_u32_e64 s13, 0, v114
	ds_bpermute_b32 v73, v71, v73
	ds_bpermute_b32 v74, v71, v74
	;; [unrolled: 1-line block ×3, first 2 shown]
	s_waitcnt lgkmcnt(2)
	v_cndmask_b32_e64 v91, v73, v75, s13
	s_waitcnt lgkmcnt(1)
	v_cndmask_b32_e64 v92, v74, v76, s13
	;; [unrolled: 2-line block ×3, first 2 shown]
	v_cmp_eq_u32_e64 s13, 0, v63
	v_cndmask_b32_e64 v59, v91, v107, s2
	v_cndmask_b32_e64 v73, v92, v108, s2
	s_delay_alu instid0(VALU_DEP_2) | instskip(NEXT) | instid1(VALU_DEP_2)
	v_cndmask_b32_e64 v59, 0, v59, s13
	v_cndmask_b32_e64 v73, 0, v73, s13
	s_delay_alu instid0(VALU_DEP_2) | instskip(NEXT) | instid1(VALU_DEP_1)
	v_add_co_u32 v87, s13, v59, v53
	v_add_co_ci_u32_e64 v88, s13, v73, v54, s13
	ds_load_b32 v59, v77 offset:4240
	v_cndmask_b32_e64 v53, 0, v87, s12
	v_cndmask_b32_e64 v54, 0, v88, s12
	s_delay_alu instid0(VALU_DEP_2) | instskip(NEXT) | instid1(VALU_DEP_1)
	v_add_co_u32 v93, s12, v53, v55
	v_add_co_ci_u32_e64 v94, s12, v54, v56, s12
	s_delay_alu instid0(VALU_DEP_2) | instskip(NEXT) | instid1(VALU_DEP_2)
	v_cndmask_b32_e64 v53, 0, v93, s11
	v_cndmask_b32_e64 v54, 0, v94, s11
	s_delay_alu instid0(VALU_DEP_2) | instskip(NEXT) | instid1(VALU_DEP_1)
	v_add_co_u32 v97, s11, v53, v49
	v_add_co_ci_u32_e64 v98, s11, v54, v50, s11
	s_delay_alu instid0(VALU_DEP_2) | instskip(NEXT) | instid1(VALU_DEP_2)
	;; [unrolled: 6-line block ×9, first 2 shown]
	v_cndmask_b32_e64 v37, 0, v85, s3
	v_cndmask_b32_e64 v38, 0, v86, s3
	s_delay_alu instid0(VALU_DEP_2) | instskip(NEXT) | instid1(VALU_DEP_1)
	v_add_co_u32 v101, s3, v37, v33
	v_add_co_ci_u32_e64 v102, s3, v38, v34, s3
	ds_load_b64 v[33:34], v77 offset:4248
	v_dual_cndmask_b32 v37, 0, v101 :: v_dual_cndmask_b32 v38, 0, v102
	s_delay_alu instid0(VALU_DEP_1) | instskip(NEXT) | instid1(VALU_DEP_2)
	v_add_co_u32 v103, vcc_lo, v37, v35
	v_add_co_ci_u32_e32 v104, vcc_lo, v38, v36, vcc_lo
	s_waitcnt lgkmcnt(1)
	v_cmp_eq_u32_e32 vcc_lo, 0, v59
	s_delay_alu instid0(VALU_DEP_3) | instskip(NEXT) | instid1(VALU_DEP_3)
	v_cndmask_b32_e64 v35, 0, v103, s1
	v_cndmask_b32_e64 v36, 0, v104, s1
	s_delay_alu instid0(VALU_DEP_2) | instskip(NEXT) | instid1(VALU_DEP_1)
	v_add_co_u32 v105, s1, v35, v29
	v_add_co_ci_u32_e64 v106, s1, v36, v30, s1
	v_dual_cndmask_b32 v30, 0, v107 :: v_dual_cndmask_b32 v29, 0, v108
	s_delay_alu instid0(VALU_DEP_3) | instskip(NEXT) | instid1(VALU_DEP_3)
	v_cndmask_b32_e64 v109, 0, v105, s0
	v_cndmask_b32_e64 v110, 0, v106, s0
	s_waitcnt lgkmcnt(0)
	s_delay_alu instid0(VALU_DEP_3)
	v_add_co_u32 v75, vcc_lo, v30, v33
	v_add_co_ci_u32_e32 v76, vcc_lo, v29, v34, vcc_lo
	s_and_saveexec_b32 s0, s2
	s_cbranch_execz .LBB311_207
; %bb.206:
	v_mov_b32_e32 v91, v107
	v_dual_mov_b32 v71, 0 :: v_dual_mov_b32 v92, v108
	v_mov_b32_e32 v29, 2
	s_clause 0x1
	global_store_b32 v71, v59, s[38:39] offset:512
	global_store_b64 v71, v[75:76], s[38:39] offset:520
	s_waitcnt_vscnt null, 0x0
	buffer_gl1_inv
	buffer_gl0_inv
	global_store_b8 v71, v29, s[40:41] offset:32
.LBB311_207:
	s_or_b32 exec_lo, exec_lo, s0
	v_mov_b32_e32 v77, 0
.LBB311_208:
	v_mov_b32_e32 v29, 0
	s_and_b32 s0, s15, exec_lo
	v_mov_b32_e32 v30, 0
	s_cselect_b32 s1, 0, s51
	s_cselect_b32 s0, 0, s50
	s_waitcnt lgkmcnt(0)
	s_waitcnt_vscnt null, 0x0
	s_cmp_eq_u64 s[0:1], 0
	s_barrier
	buffer_gl0_inv
	s_cbranch_scc1 .LBB311_210
; %bb.209:
	v_mov_b32_e32 v29, 0
	global_load_b64 v[29:30], v29, s[0:1]
.LBB311_210:
	v_cmp_eq_u32_e32 vcc_lo, 0, v63
	v_add_nc_u32_e32 v48, v71, v63
	v_cmp_ne_u32_e64 s13, 0, v63
	v_cmp_ne_u32_e64 s12, 0, v72
	v_cmp_ne_u32_e64 s10, 0, v69
	v_cndmask_b32_e64 v33, 1, 2, vcc_lo
	v_cmp_eq_u32_e32 vcc_lo, 0, v72
	v_add_nc_u32_e32 v50, v48, v72
	v_cmp_ne_u32_e64 s9, 0, v70
	v_cmp_ne_u32_e64 s15, 0, v67
	;; [unrolled: 1-line block ×3, first 2 shown]
	v_cndmask_b32_e64 v34, 1, 2, vcc_lo
	v_cmp_eq_u32_e32 vcc_lo, 0, v69
	v_add_nc_u32_e32 v49, v50, v69
	v_cmp_ne_u32_e64 s11, 0, v65
	s_delay_alu instid0(VALU_DEP_4)
	v_dual_mov_b32 v78, 0 :: v_dual_and_b32 v33, v34, v33
	v_cndmask_b32_e64 v35, 1, 2, vcc_lo
	v_cmp_eq_u32_e32 vcc_lo, 0, v70
	v_add_nc_u32_e32 v47, v49, v70
	v_cmp_ne_u32_e64 s8, 0, v66
	v_cmp_ne_u32_e64 s7, 0, v61
	v_and_b32_e32 v35, v33, v35
	v_cndmask_b32_e64 v36, 1, 2, vcc_lo
	v_cmp_eq_u32_e32 vcc_lo, 0, v67
	v_add_nc_u32_e32 v46, v47, v67
	s_waitcnt vmcnt(0)
	v_lshlrev_b64 v[33:34], 3, v[29:30]
	v_cmp_ne_u32_e64 s6, 0, v62
	v_and_b32_e32 v35, v35, v36
	v_cndmask_b32_e64 v37, 1, 2, vcc_lo
	v_cmp_eq_u32_e32 vcc_lo, 0, v68
	v_add_nc_u32_e32 v45, v46, v68
	v_cmp_ne_u32_e64 s5, 0, v113
	v_cmp_ne_u32_e64 s4, 0, v60
	v_and_b32_e32 v35, v35, v37
	v_cndmask_b32_e64 v36, 1, 2, vcc_lo
	v_cmp_eq_u32_e32 vcc_lo, 0, v65
	v_add_nc_u32_e32 v44, v45, v65
	v_cmp_ne_u32_e64 s3, 0, v112
	;; [unrolled: 6-line block ×3, first 2 shown]
	s_delay_alu instid0(VALU_DEP_4) | instskip(SKIP_3) | instid1(VALU_DEP_3)
	v_and_b32_e32 v35, v35, v37
	v_cndmask_b32_e64 v36, 1, 2, vcc_lo
	v_cmp_eq_u32_e32 vcc_lo, 0, v61
	v_add_nc_u32_e32 v42, v43, v61
	v_and_b32_e32 v35, v35, v36
	v_cndmask_b32_e64 v37, 1, 2, vcc_lo
	v_cmp_eq_u32_e32 vcc_lo, 0, v62
	s_delay_alu instid0(VALU_DEP_4) | instskip(NEXT) | instid1(VALU_DEP_3)
	v_add_nc_u32_e32 v41, v42, v62
	v_and_b32_e32 v35, v35, v37
	v_cndmask_b32_e64 v36, 1, 2, vcc_lo
	v_cmp_eq_u32_e32 vcc_lo, 0, v113
	s_delay_alu instid0(VALU_DEP_4) | instskip(NEXT) | instid1(VALU_DEP_3)
	v_add_nc_u32_e32 v40, v41, v113
	v_and_b32_e32 v39, v35, v36
	v_cndmask_b32_e64 v37, 1, 2, vcc_lo
	v_cmp_eq_u32_e32 vcc_lo, 0, v60
	v_lshlrev_b64 v[35:36], 3, v[77:78]
	s_delay_alu instid0(VALU_DEP_3) | instskip(SKIP_3) | instid1(VALU_DEP_3)
	v_and_b32_e32 v37, v39, v37
	v_cndmask_b32_e64 v38, 1, 2, vcc_lo
	v_cmp_eq_u32_e32 vcc_lo, 0, v112
	v_add_nc_u32_e32 v39, v40, v60
	v_and_b32_e32 v54, v37, v38
	v_cndmask_b32_e64 v53, 1, 2, vcc_lo
	v_add_co_u32 v51, vcc_lo, s18, v33
	v_add_co_ci_u32_e32 v52, vcc_lo, s19, v34, vcc_lo
	s_delay_alu instid0(VALU_DEP_3) | instskip(NEXT) | instid1(VALU_DEP_3)
	v_and_b32_e32 v53, v54, v53
	v_add_co_u32 v51, vcc_lo, v51, v35
	s_delay_alu instid0(VALU_DEP_3)
	v_add_co_ci_u32_e32 v52, vcc_lo, v52, v36, vcc_lo
	v_cmp_eq_u32_e32 vcc_lo, 0, v64
	v_add_nc_u32_e32 v38, v39, v112
	s_mov_b32 s18, -1
	v_cndmask_b32_e64 v54, 1, 2, vcc_lo
	v_cmp_eq_u32_e32 vcc_lo, 0, v111
	s_delay_alu instid0(VALU_DEP_3) | instskip(NEXT) | instid1(VALU_DEP_3)
	v_add_nc_u32_e32 v37, v38, v64
	v_and_b32_e32 v53, v53, v54
	v_cndmask_b32_e64 v54, 1, 2, vcc_lo
	v_cmp_gt_u32_e32 vcc_lo, 0x100, v59
	s_delay_alu instid0(VALU_DEP_2) | instskip(NEXT) | instid1(VALU_DEP_1)
	v_and_b32_e32 v53, v53, v54
	v_cmp_gt_i16_e64 s16, 2, v53
	s_cbranch_vccz .LBB311_217
; %bb.211:
	s_delay_alu instid0(VALU_DEP_1)
	s_and_saveexec_b32 s18, s16
	s_cbranch_execz .LBB311_216
; %bb.212:
	s_mov_b32 s19, 0
	s_mov_b32 s16, exec_lo
	v_cmpx_ne_u16_e32 1, v53
	s_xor_b32 s16, exec_lo, s16
	s_cbranch_execnz .LBB311_282
; %bb.213:
	s_and_not1_saveexec_b32 s16, s16
	s_cbranch_execnz .LBB311_298
.LBB311_214:
	s_or_b32 exec_lo, exec_lo, s16
	s_delay_alu instid0(SALU_CYCLE_1)
	s_and_b32 exec_lo, exec_lo, s19
	s_cbranch_execz .LBB311_216
.LBB311_215:
	v_sub_nc_u32_e32 v54, v37, v77
	v_mov_b32_e32 v55, 0
	s_delay_alu instid0(VALU_DEP_1) | instskip(NEXT) | instid1(VALU_DEP_1)
	v_lshlrev_b64 v[54:55], 3, v[54:55]
	v_add_co_u32 v54, vcc_lo, v51, v54
	s_delay_alu instid0(VALU_DEP_2)
	v_add_co_ci_u32_e32 v55, vcc_lo, v52, v55, vcc_lo
	global_store_b64 v[54:55], v[57:58], off
.LBB311_216:
	s_or_b32 exec_lo, exec_lo, s18
	s_mov_b32 s18, 0
.LBB311_217:
	s_delay_alu instid0(SALU_CYCLE_1)
	s_and_b32 vcc_lo, exec_lo, s18
	s_cbranch_vccz .LBB311_227
; %bb.218:
	s_mov_b32 s16, exec_lo
	v_cmpx_gt_i16_e32 2, v53
	s_cbranch_execz .LBB311_223
; %bb.219:
	s_mov_b32 s19, 0
	s_mov_b32 s18, exec_lo
	v_cmpx_ne_u16_e32 1, v53
	s_xor_b32 s18, exec_lo, s18
	s_cbranch_execnz .LBB311_299
; %bb.220:
	s_and_not1_saveexec_b32 s0, s18
	s_cbranch_execnz .LBB311_315
.LBB311_221:
	s_or_b32 exec_lo, exec_lo, s0
	s_delay_alu instid0(SALU_CYCLE_1)
	s_and_b32 exec_lo, exec_lo, s19
	s_cbranch_execz .LBB311_223
.LBB311_222:
	v_sub_nc_u32_e32 v1, v37, v77
	s_delay_alu instid0(VALU_DEP_1)
	v_lshlrev_b32_e32 v1, 3, v1
	ds_store_b64 v1, v[57:58]
.LBB311_223:
	s_or_b32 exec_lo, exec_lo, s16
	s_delay_alu instid0(SALU_CYCLE_1)
	s_mov_b32 s1, exec_lo
	s_waitcnt lgkmcnt(0)
	s_waitcnt_vscnt null, 0x0
	s_barrier
	buffer_gl0_inv
	v_cmpx_lt_u32_e64 v0, v59
	s_cbranch_execz .LBB311_226
; %bb.224:
	v_dual_mov_b32 v2, 0 :: v_dual_lshlrev_b32 v3, 3, v0
	v_mov_b32_e32 v1, v0
	s_mov_b32 s3, 0
	.p2align	6
.LBB311_225:                            ; =>This Inner Loop Header: Depth=1
	ds_load_b64 v[4:5], v3
	v_lshlrev_b64 v[6:7], 3, v[1:2]
	v_add_nc_u32_e32 v1, 0x100, v1
	v_add_nc_u32_e32 v3, 0x800, v3
	s_delay_alu instid0(VALU_DEP_2) | instskip(NEXT) | instid1(VALU_DEP_4)
	v_cmp_ge_u32_e32 vcc_lo, v1, v59
	v_add_co_u32 v6, s0, v51, v6
	s_delay_alu instid0(VALU_DEP_1)
	v_add_co_ci_u32_e64 v7, s0, v52, v7, s0
	s_or_b32 s3, vcc_lo, s3
	s_waitcnt lgkmcnt(0)
	global_store_b64 v[6:7], v[4:5], off
	s_and_not1_b32 exec_lo, exec_lo, s3
	s_cbranch_execnz .LBB311_225
.LBB311_226:
	s_or_b32 exec_lo, exec_lo, s1
.LBB311_227:
	s_cmpk_lg_i32 s28, 0xf00
	v_cndmask_b32_e64 v8, 0, 1, s29
	s_cselect_b32 s0, -1, 0
	v_mad_i32_i24 v5, v0, -15, s28
	s_and_b32 s0, s0, s17
	v_add_co_u32 v1, vcc_lo, v109, v31
	v_cndmask_b32_e64 v4, 0, 1, s0
	s_mul_hi_u32 s0, s28, 0x88888889
	s_and_b32 s1, s2, s29
	s_lshr_b32 s0, s0, 3
	v_add_co_ci_u32_e32 v2, vcc_lo, v110, v32, vcc_lo
	v_sub_nc_u32_e32 v3, v59, v8
	v_cndmask_b32_e64 v6, v63, 0, s1
	v_cmp_eq_u32_e32 vcc_lo, s0, v0
	v_cmp_ne_u32_e64 s0, 0, v5
	s_mov_b32 s16, -1
	s_waitcnt_vscnt null, 0x0
	s_barrier
	s_and_b32 vcc_lo, vcc_lo, s17
	v_add_nc_u32_e32 v3, v3, v4
	v_cndmask_b32_e64 v4, 1, v6, s0
	v_cmp_ne_u32_e64 s0, 1, v5
	buffer_gl0_inv
	v_cndmask_b32_e64 v7, 1, v72, s0
	v_cmp_ne_u32_e64 s0, 14, v5
	s_delay_alu instid0(VALU_DEP_1) | instskip(SKIP_1) | instid1(VALU_DEP_2)
	v_cndmask_b32_e64 v9, 1, v111, s0
	v_cmp_ne_u32_e64 s0, 2, v5
	v_dual_cndmask_b32 v12, v111, v9 :: v_dual_cndmask_b32 v9, v6, v4
	s_delay_alu instid0(VALU_DEP_2) | instskip(SKIP_1) | instid1(VALU_DEP_3)
	v_cndmask_b32_e64 v10, 1, v69, s0
	v_cmp_ne_u32_e64 s0, 3, v5
	v_cmp_ne_u32_e64 s14, 0, v9
	s_delay_alu instid0(VALU_DEP_3) | instskip(NEXT) | instid1(VALU_DEP_3)
	v_cndmask_b32_e32 v10, v69, v10, vcc_lo
	v_cndmask_b32_e64 v11, 1, v70, s0
	v_cmp_ne_u32_e64 s0, 4, v5
	s_delay_alu instid0(VALU_DEP_3) | instskip(NEXT) | instid1(VALU_DEP_2)
	v_cmp_ne_u32_e64 s12, 0, v10
	v_cndmask_b32_e64 v4, 1, v67, s0
	v_cmp_ne_u32_e64 s0, 5, v5
	s_delay_alu instid0(VALU_DEP_2) | instskip(NEXT) | instid1(VALU_DEP_2)
	v_dual_cndmask_b32 v13, v72, v7 :: v_dual_cndmask_b32 v18, v67, v4
	v_cndmask_b32_e64 v6, 1, v68, s0
	v_cmp_eq_u32_e64 s0, 0, v9
	s_delay_alu instid0(VALU_DEP_3) | instskip(NEXT) | instid1(VALU_DEP_4)
	v_cmp_ne_u32_e64 s13, 0, v13
	v_cmp_ne_u32_e64 s10, 0, v18
	s_delay_alu instid0(VALU_DEP_4) | instskip(NEXT) | instid1(VALU_DEP_4)
	v_cndmask_b32_e32 v19, v68, v6, vcc_lo
	v_cndmask_b32_e64 v7, 1, 2, s0
	v_cmp_eq_u32_e64 s0, 0, v13
	s_delay_alu instid0(VALU_DEP_1) | instskip(SKIP_1) | instid1(VALU_DEP_2)
	v_cndmask_b32_e64 v14, 1, 2, s0
	v_cmp_ne_u32_e64 s0, 6, v5
	v_and_b32_e32 v7, v14, v7
	s_delay_alu instid0(VALU_DEP_2) | instskip(SKIP_1) | instid1(VALU_DEP_2)
	v_cndmask_b32_e64 v15, 1, v65, s0
	v_cmp_eq_u32_e64 s0, 0, v10
	v_cndmask_b32_e32 v15, v65, v15, vcc_lo
	s_delay_alu instid0(VALU_DEP_2) | instskip(SKIP_1) | instid1(VALU_DEP_1)
	v_cndmask_b32_e64 v14, 1, 2, s0
	v_cmp_ne_u32_e64 s0, 7, v5
	v_cndmask_b32_e64 v16, 1, v66, s0
	v_cmp_ne_u32_e64 s0, 8, v5
	s_delay_alu instid0(VALU_DEP_2) | instskip(SKIP_1) | instid1(VALU_DEP_3)
	v_dual_cndmask_b32 v16, v66, v16 :: v_dual_and_b32 v7, v7, v14
	v_cndmask_b32_e32 v11, v70, v11, vcc_lo
	v_cndmask_b32_e64 v17, 1, v61, s0
	s_delay_alu instid0(VALU_DEP_3) | instskip(NEXT) | instid1(VALU_DEP_3)
	v_cmp_ne_u32_e64 s7, 0, v16
	v_cmp_eq_u32_e64 s0, 0, v11
	s_delay_alu instid0(VALU_DEP_3) | instskip(NEXT) | instid1(VALU_DEP_2)
	v_cndmask_b32_e32 v17, v61, v17, vcc_lo
	v_cndmask_b32_e64 v14, 1, 2, s0
	v_cmp_ne_u32_e64 s0, 9, v5
	s_delay_alu instid0(VALU_DEP_3) | instskip(NEXT) | instid1(VALU_DEP_3)
	v_cmp_ne_u32_e64 s6, 0, v17
	v_and_b32_e32 v6, v7, v14
	s_delay_alu instid0(VALU_DEP_3) | instskip(SKIP_2) | instid1(VALU_DEP_3)
	v_cndmask_b32_e64 v4, 1, v62, s0
	v_cmp_eq_u32_e64 s0, 0, v18
	v_cmp_ne_u32_e64 s11, 0, v11
	v_cndmask_b32_e32 v23, v62, v4, vcc_lo
	s_delay_alu instid0(VALU_DEP_3) | instskip(SKIP_1) | instid1(VALU_DEP_3)
	v_cndmask_b32_e64 v7, 1, 2, s0
	v_cmp_ne_u32_e64 s0, 10, v5
	v_cmp_ne_u32_e64 s5, 0, v23
	s_delay_alu instid0(VALU_DEP_3) | instskip(NEXT) | instid1(VALU_DEP_3)
	v_and_b32_e32 v6, v6, v7
	v_cndmask_b32_e64 v14, 1, v113, s0
	v_cmp_ne_u32_e64 s0, 12, v5
	v_cmp_ne_u32_e64 s9, 0, v19
	s_delay_alu instid0(VALU_DEP_3) | instskip(NEXT) | instid1(VALU_DEP_3)
	v_cndmask_b32_e32 v14, v113, v14, vcc_lo
	v_cndmask_b32_e64 v20, 1, v112, s0
	v_cmp_eq_u32_e64 s0, 0, v19
	s_delay_alu instid0(VALU_DEP_3) | instskip(NEXT) | instid1(VALU_DEP_3)
	v_cmp_ne_u32_e64 s4, 0, v14
	v_cndmask_b32_e32 v20, v112, v20, vcc_lo
	s_delay_alu instid0(VALU_DEP_3) | instskip(SKIP_1) | instid1(VALU_DEP_3)
	v_cndmask_b32_e64 v7, 1, 2, s0
	v_cmp_ne_u32_e64 s0, 13, v5
	v_cmp_ne_u32_e64 s2, 0, v20
	s_delay_alu instid0(VALU_DEP_2) | instskip(SKIP_1) | instid1(VALU_DEP_2)
	v_cndmask_b32_e64 v21, 1, v64, s0
	v_cmp_eq_u32_e64 s0, 0, v15
	v_dual_cndmask_b32 v21, v64, v21 :: v_dual_and_b32 v6, v6, v7
	s_delay_alu instid0(VALU_DEP_2) | instskip(SKIP_1) | instid1(VALU_DEP_3)
	v_cndmask_b32_e64 v7, 1, 2, s0
	v_cmp_ne_u32_e64 s0, 11, v5
	v_cmp_ne_u32_e64 s1, 0, v21
	s_delay_alu instid0(VALU_DEP_3) | instskip(NEXT) | instid1(VALU_DEP_3)
	v_and_b32_e32 v6, v6, v7
	v_cndmask_b32_e64 v5, 1, v60, s0
	v_cmp_eq_u32_e64 s0, 0, v16
	s_delay_alu instid0(VALU_DEP_2) | instskip(NEXT) | instid1(VALU_DEP_2)
	v_cndmask_b32_e32 v22, v60, v5, vcc_lo
	v_cndmask_b32_e64 v7, 1, 2, s0
	v_cmp_eq_u32_e32 vcc_lo, 0, v17
	v_cmp_ne_u32_e64 s8, 0, v15
	v_cmp_ne_u32_e64 s0, 0, v12
	;; [unrolled: 1-line block ×3, first 2 shown]
	v_and_b32_e32 v4, v6, v7
	v_cndmask_b32_e64 v5, 1, 2, vcc_lo
	v_add_co_u32 v6, vcc_lo, s20, v33
	v_add_co_ci_u32_e32 v7, vcc_lo, s21, v34, vcc_lo
	v_cmp_eq_u32_e32 vcc_lo, 0, v23
	s_delay_alu instid0(VALU_DEP_4)
	v_and_b32_e32 v24, v4, v5
	v_cndmask_b32_e64 v25, 1, 2, vcc_lo
	v_add_co_u32 v4, vcc_lo, v6, v35
	v_add_co_ci_u32_e32 v5, vcc_lo, v7, v36, vcc_lo
	v_lshlrev_b32_e32 v6, 3, v8
	v_cmp_eq_u32_e32 vcc_lo, 0, v14
	v_and_b32_e32 v7, v24, v25
	v_add_nc_u32_e32 v8, v77, v8
	v_cndmask_b32_e64 v24, 1, 2, vcc_lo
	v_add_co_u32 v6, vcc_lo, v6, v4
	v_add_co_ci_u32_e32 v25, vcc_lo, 0, v5, vcc_lo
	v_cmp_eq_u32_e32 vcc_lo, 0, v22
	s_delay_alu instid0(VALU_DEP_4) | instskip(SKIP_4) | instid1(VALU_DEP_4)
	v_and_b32_e32 v24, v7, v24
	v_cndmask_b32_e64 v26, 1, 2, vcc_lo
	v_add_co_u32 v6, vcc_lo, v6, -8
	v_add_co_ci_u32_e32 v7, vcc_lo, -1, v25, vcc_lo
	v_cmp_eq_u32_e32 vcc_lo, 0, v20
	v_and_b32_e32 v24, v24, v26
	v_cndmask_b32_e64 v25, 1, 2, vcc_lo
	v_cmp_eq_u32_e32 vcc_lo, 0, v21
	s_delay_alu instid0(VALU_DEP_2) | instskip(SKIP_2) | instid1(VALU_DEP_2)
	v_and_b32_e32 v9, v24, v25
	v_cndmask_b32_e64 v10, 1, 2, vcc_lo
	v_cmp_eq_u32_e32 vcc_lo, 0, v12
	v_and_b32_e32 v9, v9, v10
	v_cndmask_b32_e64 v10, 1, 2, vcc_lo
	v_cmp_gt_u32_e32 vcc_lo, 0x100, v3
	s_delay_alu instid0(VALU_DEP_2) | instskip(NEXT) | instid1(VALU_DEP_1)
	v_and_b32_e32 v9, v9, v10
	v_cmp_gt_i16_e64 s15, 2, v9
	s_cbranch_vccnz .LBB311_231
; %bb.228:
	s_and_b32 vcc_lo, exec_lo, s16
	s_cbranch_vccnz .LBB311_237
.LBB311_229:
	v_cmp_eq_u32_e32 vcc_lo, 0xff, v0
	s_and_b32 s0, vcc_lo, s17
	s_delay_alu instid0(SALU_CYCLE_1)
	s_and_saveexec_b32 s1, s0
	s_cbranch_execnz .LBB311_246
.LBB311_230:
	s_nop 0
	s_sendmsg sendmsg(MSG_DEALLOC_VGPRS)
	s_endpgm
.LBB311_231:
	s_delay_alu instid0(VALU_DEP_1)
	s_and_saveexec_b32 s16, s15
	s_cbranch_execz .LBB311_236
; %bb.232:
	s_mov_b32 s18, 0
	s_mov_b32 s15, exec_lo
	v_cmpx_ne_u16_e32 1, v9
	s_xor_b32 s15, exec_lo, s15
	s_cbranch_execnz .LBB311_316
; %bb.233:
	s_and_not1_saveexec_b32 s15, s15
	s_cbranch_execnz .LBB311_332
.LBB311_234:
	s_or_b32 exec_lo, exec_lo, s15
	s_delay_alu instid0(SALU_CYCLE_1)
	s_and_b32 exec_lo, exec_lo, s18
	s_cbranch_execz .LBB311_236
.LBB311_235:
	v_sub_nc_u32_e32 v10, v37, v8
	v_mov_b32_e32 v11, 0
	s_delay_alu instid0(VALU_DEP_1) | instskip(NEXT) | instid1(VALU_DEP_1)
	v_lshlrev_b64 v[10:11], 3, v[10:11]
	v_add_co_u32 v10, vcc_lo, v6, v10
	s_delay_alu instid0(VALU_DEP_2)
	v_add_co_ci_u32_e32 v11, vcc_lo, v7, v11, vcc_lo
	global_store_b64 v[10:11], v[1:2], off
.LBB311_236:
	s_or_b32 exec_lo, exec_lo, s16
	s_branch .LBB311_229
.LBB311_237:
	s_mov_b32 s15, exec_lo
	v_cmpx_gt_i16_e32 2, v9
	s_cbranch_execz .LBB311_242
; %bb.238:
	s_mov_b32 s18, 0
	s_mov_b32 s16, exec_lo
	v_cmpx_ne_u16_e32 1, v9
	s_xor_b32 s16, exec_lo, s16
	s_cbranch_execnz .LBB311_333
; %bb.239:
	s_and_not1_saveexec_b32 s0, s16
	s_cbranch_execnz .LBB311_349
.LBB311_240:
	s_or_b32 exec_lo, exec_lo, s0
	s_delay_alu instid0(SALU_CYCLE_1)
	s_and_b32 exec_lo, exec_lo, s18
	s_cbranch_execz .LBB311_242
.LBB311_241:
	v_sub_nc_u32_e32 v8, v37, v8
	s_delay_alu instid0(VALU_DEP_1)
	v_lshlrev_b32_e32 v8, 3, v8
	ds_store_b64 v8, v[1:2]
.LBB311_242:
	s_or_b32 exec_lo, exec_lo, s15
	s_delay_alu instid0(SALU_CYCLE_1)
	s_mov_b32 s1, exec_lo
	s_waitcnt lgkmcnt(0)
	s_waitcnt_vscnt null, 0x0
	s_barrier
	buffer_gl0_inv
	v_cmpx_lt_u32_e64 v0, v3
	s_cbranch_execz .LBB311_245
; %bb.243:
	v_dual_mov_b32 v1, v0 :: v_dual_lshlrev_b32 v8, 3, v0
	v_mov_b32_e32 v2, 0
	s_mov_b32 s2, 0
	.p2align	6
.LBB311_244:                            ; =>This Inner Loop Header: Depth=1
	ds_load_b64 v[9:10], v8
	v_lshlrev_b64 v[11:12], 3, v[1:2]
	v_add_nc_u32_e32 v1, 0x100, v1
	v_add_nc_u32_e32 v8, 0x800, v8
	s_delay_alu instid0(VALU_DEP_2) | instskip(NEXT) | instid1(VALU_DEP_4)
	v_cmp_ge_u32_e32 vcc_lo, v1, v3
	v_add_co_u32 v11, s0, v6, v11
	s_delay_alu instid0(VALU_DEP_1)
	v_add_co_ci_u32_e64 v12, s0, v7, v12, s0
	s_or_b32 s2, vcc_lo, s2
	s_waitcnt lgkmcnt(0)
	global_store_b64 v[11:12], v[9:10], off
	s_and_not1_b32 exec_lo, exec_lo, s2
	s_cbranch_execnz .LBB311_244
.LBB311_245:
	s_or_b32 exec_lo, exec_lo, s1
	v_cmp_eq_u32_e32 vcc_lo, 0xff, v0
	s_and_b32 s0, vcc_lo, s17
	s_delay_alu instid0(SALU_CYCLE_1)
	s_and_saveexec_b32 s1, s0
	s_cbranch_execz .LBB311_230
.LBB311_246:
	v_add_co_u32 v0, s0, v59, v77
	s_delay_alu instid0(VALU_DEP_1) | instskip(SKIP_1) | instid1(VALU_DEP_3)
	v_add_co_ci_u32_e64 v1, null, 0, 0, s0
	v_mov_b32_e32 v60, 0
	v_add_co_u32 v0, vcc_lo, v0, v29
	s_delay_alu instid0(VALU_DEP_3)
	v_add_co_ci_u32_e32 v1, vcc_lo, v1, v30, vcc_lo
	s_cmpk_lg_i32 s28, 0xf00
	global_store_b64 v60, v[0:1], s[22:23]
	s_cbranch_scc1 .LBB311_230
; %bb.247:
	v_lshlrev_b64 v[0:1], 3, v[59:60]
	s_delay_alu instid0(VALU_DEP_1) | instskip(NEXT) | instid1(VALU_DEP_2)
	v_add_co_u32 v0, vcc_lo, v4, v0
	v_add_co_ci_u32_e32 v1, vcc_lo, v5, v1, vcc_lo
	global_store_b64 v[0:1], v[75:76], off offset:-8
	s_nop 0
	s_sendmsg sendmsg(MSG_DEALLOC_VGPRS)
	s_endpgm
.LBB311_248:
                                        ; implicit-def: $sgpr4
                                        ; implicit-def: $vgpr111
                                        ; implicit-def: $vgpr76
                                        ; implicit-def: $vgpr112
                                        ; implicit-def: $vgpr60
                                        ; implicit-def: $vgpr113
                                        ; implicit-def: $vgpr62
                                        ; implicit-def: $vgpr61
                                        ; implicit-def: $vgpr66
                                        ; implicit-def: $vgpr65
                                        ; implicit-def: $vgpr68
                                        ; implicit-def: $vgpr67
                                        ; implicit-def: $vgpr70
                                        ; implicit-def: $vgpr69
                                        ; implicit-def: $vgpr72
	s_cbranch_execz .LBB311_114
.LBB311_249:
	v_dual_mov_b32 v64, 0 :: v_dual_lshlrev_b32 v75, 3, v0
	v_mov_b32_e32 v111, 0
	s_mov_b32 s4, exec_lo
	ds_store_b64 v75, v[57:58]
	v_cmpx_gt_u64_e64 s[0:1], v[63:64]
; %bb.250:
	v_mul_hi_i32 v59, 0x66666667, v3
	v_mul_hi_i32 v60, 0x66666667, v57
	s_delay_alu instid0(VALU_DEP_2) | instskip(SKIP_1) | instid1(VALU_DEP_3)
	v_lshrrev_b32_e32 v61, 31, v59
	v_ashrrev_i32_e32 v59, 2, v59
	v_lshrrev_b32_e32 v62, 31, v60
	v_ashrrev_i32_e32 v60, 2, v60
	s_delay_alu instid0(VALU_DEP_3) | instskip(NEXT) | instid1(VALU_DEP_2)
	v_add_nc_u32_e32 v59, v59, v61
	v_add_nc_u32_e32 v60, v60, v62
	s_delay_alu instid0(VALU_DEP_1)
	v_cmp_ne_u32_e32 vcc_lo, v59, v60
	v_cndmask_b32_e64 v111, 0, 1, vcc_lo
; %bb.251:
	s_or_b32 exec_lo, exec_lo, s4
	v_add_nc_u32_e32 v63, 13, v77
	s_mov_b32 s4, exec_lo
	s_delay_alu instid0(VALU_DEP_1)
	v_cmpx_gt_u64_e64 s[0:1], v[63:64]
; %bb.252:
	v_mul_hi_i32 v59, 0x66666667, v1
	v_mul_hi_i32 v60, 0x66666667, v3
	s_delay_alu instid0(VALU_DEP_2) | instskip(SKIP_1) | instid1(VALU_DEP_3)
	v_lshrrev_b32_e32 v61, 31, v59
	v_ashrrev_i32_e32 v59, 2, v59
	v_lshrrev_b32_e32 v62, 31, v60
	v_ashrrev_i32_e32 v60, 2, v60
	s_delay_alu instid0(VALU_DEP_3) | instskip(NEXT) | instid1(VALU_DEP_2)
	v_add_nc_u32_e32 v59, v59, v61
	v_add_nc_u32_e32 v60, v60, v62
	s_delay_alu instid0(VALU_DEP_1)
	v_cmp_ne_u32_e32 vcc_lo, v59, v60
	v_cndmask_b32_e64 v64, 0, 1, vcc_lo
; %bb.253:
	s_or_b32 exec_lo, exec_lo, s4
	v_dual_mov_b32 v60, 0 :: v_dual_add_nc_u32 v59, 12, v77
	v_mov_b32_e32 v112, 0
	s_mov_b32 s4, exec_lo
	s_delay_alu instid0(VALU_DEP_2)
	v_cmpx_gt_u64_e64 s[0:1], v[59:60]
; %bb.254:
	v_mul_hi_i32 v59, 0x66666667, v7
	v_mul_hi_i32 v61, 0x66666667, v1
	s_delay_alu instid0(VALU_DEP_2) | instskip(SKIP_1) | instid1(VALU_DEP_3)
	v_lshrrev_b32_e32 v62, 31, v59
	v_ashrrev_i32_e32 v59, 2, v59
	v_lshrrev_b32_e32 v63, 31, v61
	v_ashrrev_i32_e32 v61, 2, v61
	s_delay_alu instid0(VALU_DEP_3) | instskip(NEXT) | instid1(VALU_DEP_2)
	v_add_nc_u32_e32 v59, v59, v62
	v_add_nc_u32_e32 v61, v61, v63
	s_delay_alu instid0(VALU_DEP_1)
	v_cmp_ne_u32_e32 vcc_lo, v59, v61
	v_cndmask_b32_e64 v112, 0, 1, vcc_lo
; %bb.255:
	s_or_b32 exec_lo, exec_lo, s4
	v_add_nc_u32_e32 v59, 11, v77
	s_mov_b32 s4, exec_lo
	s_delay_alu instid0(VALU_DEP_1)
	v_cmpx_gt_u64_e64 s[0:1], v[59:60]
; %bb.256:
	v_mul_hi_i32 v59, 0x66666667, v5
	v_mul_hi_i32 v60, 0x66666667, v7
	s_delay_alu instid0(VALU_DEP_2) | instskip(SKIP_1) | instid1(VALU_DEP_3)
	v_lshrrev_b32_e32 v61, 31, v59
	v_ashrrev_i32_e32 v59, 2, v59
	v_lshrrev_b32_e32 v62, 31, v60
	v_ashrrev_i32_e32 v60, 2, v60
	s_delay_alu instid0(VALU_DEP_3) | instskip(NEXT) | instid1(VALU_DEP_2)
	v_add_nc_u32_e32 v59, v59, v61
	v_add_nc_u32_e32 v60, v60, v62
	s_delay_alu instid0(VALU_DEP_1)
	v_cmp_ne_u32_e32 vcc_lo, v59, v60
	v_cndmask_b32_e64 v60, 0, 1, vcc_lo
; %bb.257:
	s_or_b32 exec_lo, exec_lo, s4
	v_dual_mov_b32 v62, 0 :: v_dual_add_nc_u32 v61, 10, v77
	v_mov_b32_e32 v113, 0
	s_mov_b32 s4, exec_lo
	s_delay_alu instid0(VALU_DEP_2)
	;; [unrolled: 41-line block ×6, first 2 shown]
	v_cmpx_gt_u64_e64 s[0:1], v[71:72]
; %bb.274:
	v_mul_hi_i32 v59, 0x66666667, v27
	v_mul_hi_i32 v63, 0x66666667, v21
	s_delay_alu instid0(VALU_DEP_2) | instskip(SKIP_1) | instid1(VALU_DEP_3)
	v_lshrrev_b32_e32 v69, 31, v59
	v_ashrrev_i32_e32 v59, 2, v59
	v_lshrrev_b32_e32 v71, 31, v63
	v_ashrrev_i32_e32 v63, 2, v63
	s_delay_alu instid0(VALU_DEP_3) | instskip(NEXT) | instid1(VALU_DEP_2)
	v_add_nc_u32_e32 v59, v59, v69
	v_add_nc_u32_e32 v63, v63, v71
	s_delay_alu instid0(VALU_DEP_1)
	v_cmp_ne_u32_e32 vcc_lo, v59, v63
	v_cndmask_b32_e64 v69, 0, 1, vcc_lo
; %bb.275:
	s_or_b32 exec_lo, exec_lo, s4
	v_add_nc_u32_e32 v71, 1, v77
	s_mov_b32 s4, exec_lo
	s_delay_alu instid0(VALU_DEP_1)
	v_cmpx_gt_u64_e64 s[0:1], v[71:72]
; %bb.276:
	v_mul_hi_i32 v59, 0x66666667, v25
	v_mul_hi_i32 v63, 0x66666667, v27
	s_delay_alu instid0(VALU_DEP_2) | instskip(SKIP_1) | instid1(VALU_DEP_3)
	v_lshrrev_b32_e32 v71, 31, v59
	v_ashrrev_i32_e32 v59, 2, v59
	v_lshrrev_b32_e32 v72, 31, v63
	v_ashrrev_i32_e32 v63, 2, v63
	s_delay_alu instid0(VALU_DEP_3) | instskip(NEXT) | instid1(VALU_DEP_2)
	v_add_nc_u32_e32 v59, v59, v71
	v_add_nc_u32_e32 v63, v63, v72
	s_delay_alu instid0(VALU_DEP_1)
	v_cmp_ne_u32_e32 vcc_lo, v59, v63
	v_cndmask_b32_e64 v72, 0, 1, vcc_lo
; %bb.277:
	s_or_b32 exec_lo, exec_lo, s4
	s_waitcnt lgkmcnt(0)
	s_barrier
	buffer_gl0_inv
                                        ; implicit-def: $sgpr4
	s_and_saveexec_b32 s5, s3
	s_cbranch_execz .LBB311_281
; %bb.278:
	v_mov_b32_e32 v78, 0
	s_delay_alu instid0(VALU_DEP_1)
	v_cmp_gt_u64_e32 vcc_lo, s[0:1], v[77:78]
	s_mov_b32 s1, 0
	s_and_saveexec_b32 s0, vcc_lo
	s_cbranch_execz .LBB311_280
; %bb.279:
	v_add_nc_u32_e32 v59, -8, v75
	v_mul_hi_i32 v63, 0x66666667, v25
	ds_load_b32 v59, v59
	v_lshrrev_b32_e32 v71, 31, v63
	v_ashrrev_i32_e32 v63, 2, v63
	s_delay_alu instid0(VALU_DEP_1) | instskip(SKIP_2) | instid1(VALU_DEP_1)
	v_add_nc_u32_e32 v63, v63, v71
	s_waitcnt lgkmcnt(0)
	v_mul_hi_i32 v59, 0x66666667, v59
	v_lshrrev_b32_e32 v75, 31, v59
	v_ashrrev_i32_e32 v59, 2, v59
	s_delay_alu instid0(VALU_DEP_1) | instskip(NEXT) | instid1(VALU_DEP_1)
	v_add_nc_u32_e32 v59, v59, v75
	v_cmp_ne_u32_e32 vcc_lo, v59, v63
	s_and_b32 s1, vcc_lo, exec_lo
.LBB311_280:
	s_or_b32 exec_lo, exec_lo, s0
	s_delay_alu instid0(SALU_CYCLE_1)
	s_and_b32 s4, s1, exec_lo
	s_or_b32 s15, s15, exec_lo
.LBB311_281:
	s_or_b32 exec_lo, exec_lo, s5
	v_mov_b32_e32 v76, v64
	s_mov_b32 s0, 1
	s_delay_alu instid0(SALU_CYCLE_1)
	v_mov_b32_e32 v63, s0
	s_and_saveexec_b32 s0, s15
	s_cbranch_execnz .LBB311_116
	s_branch .LBB311_117
.LBB311_282:
	s_and_saveexec_b32 s19, s13
	s_cbranch_execnz .LBB311_350
; %bb.283:
	s_or_b32 exec_lo, exec_lo, s19
	s_and_saveexec_b32 s19, s12
	s_cbranch_execnz .LBB311_351
.LBB311_284:
	s_or_b32 exec_lo, exec_lo, s19
	s_and_saveexec_b32 s19, s10
	s_cbranch_execnz .LBB311_352
.LBB311_285:
	s_or_b32 exec_lo, exec_lo, s19
	s_and_saveexec_b32 s19, s9
	s_cbranch_execnz .LBB311_353
.LBB311_286:
	s_or_b32 exec_lo, exec_lo, s19
	s_and_saveexec_b32 s19, s15
	s_cbranch_execnz .LBB311_354
.LBB311_287:
	s_or_b32 exec_lo, exec_lo, s19
	s_and_saveexec_b32 s19, s14
	s_cbranch_execnz .LBB311_355
.LBB311_288:
	s_or_b32 exec_lo, exec_lo, s19
	s_and_saveexec_b32 s19, s11
	s_cbranch_execnz .LBB311_356
.LBB311_289:
	s_or_b32 exec_lo, exec_lo, s19
	s_and_saveexec_b32 s19, s8
	s_cbranch_execnz .LBB311_357
.LBB311_290:
	s_or_b32 exec_lo, exec_lo, s19
	s_and_saveexec_b32 s19, s7
	s_cbranch_execnz .LBB311_358
.LBB311_291:
	s_or_b32 exec_lo, exec_lo, s19
	s_and_saveexec_b32 s19, s6
	s_cbranch_execnz .LBB311_359
.LBB311_292:
	s_or_b32 exec_lo, exec_lo, s19
	s_and_saveexec_b32 s19, s5
	s_cbranch_execnz .LBB311_360
.LBB311_293:
	s_or_b32 exec_lo, exec_lo, s19
	s_and_saveexec_b32 s19, s4
	s_cbranch_execnz .LBB311_361
.LBB311_294:
	s_or_b32 exec_lo, exec_lo, s19
	s_and_saveexec_b32 s19, s3
	s_cbranch_execnz .LBB311_362
.LBB311_295:
	s_or_b32 exec_lo, exec_lo, s19
	s_and_saveexec_b32 s19, s1
	s_cbranch_execz .LBB311_297
.LBB311_296:
	v_sub_nc_u32_e32 v54, v38, v77
	v_mov_b32_e32 v55, 0
	s_delay_alu instid0(VALU_DEP_1) | instskip(NEXT) | instid1(VALU_DEP_1)
	v_lshlrev_b64 v[54:55], 3, v[54:55]
	v_add_co_u32 v54, vcc_lo, v51, v54
	s_delay_alu instid0(VALU_DEP_2)
	v_add_co_ci_u32_e32 v55, vcc_lo, v52, v55, vcc_lo
	global_store_b64 v[54:55], v[3:4], off
.LBB311_297:
	s_or_b32 exec_lo, exec_lo, s19
	s_delay_alu instid0(SALU_CYCLE_1)
	s_and_b32 s19, s0, exec_lo
	s_and_not1_saveexec_b32 s16, s16
	s_cbranch_execz .LBB311_214
.LBB311_298:
	v_sub_nc_u32_e32 v54, v71, v77
	v_mov_b32_e32 v55, 0
	s_or_b32 s19, s19, exec_lo
	s_delay_alu instid0(VALU_DEP_1) | instskip(SKIP_1) | instid1(VALU_DEP_1)
	v_lshlrev_b64 v[73:74], 3, v[54:55]
	v_sub_nc_u32_e32 v54, v48, v77
	v_lshlrev_b64 v[107:108], 3, v[54:55]
	v_sub_nc_u32_e32 v54, v50, v77
	s_delay_alu instid0(VALU_DEP_4) | instskip(SKIP_1) | instid1(VALU_DEP_3)
	v_add_co_u32 v73, vcc_lo, v51, v73
	v_add_co_ci_u32_e32 v74, vcc_lo, v52, v74, vcc_lo
	v_lshlrev_b64 v[114:115], 3, v[54:55]
	v_sub_nc_u32_e32 v54, v49, v77
	v_add_co_u32 v107, vcc_lo, v51, v107
	v_add_co_ci_u32_e32 v108, vcc_lo, v52, v108, vcc_lo
	global_store_b64 v[73:74], v[25:26], off
	v_lshlrev_b64 v[73:74], 3, v[54:55]
	v_sub_nc_u32_e32 v54, v47, v77
	global_store_b64 v[107:108], v[27:28], off
	v_add_co_u32 v107, vcc_lo, v51, v114
	v_add_co_ci_u32_e32 v108, vcc_lo, v52, v115, vcc_lo
	v_lshlrev_b64 v[114:115], 3, v[54:55]
	v_sub_nc_u32_e32 v54, v46, v77
	v_add_co_u32 v73, vcc_lo, v51, v73
	v_add_co_ci_u32_e32 v74, vcc_lo, v52, v74, vcc_lo
	s_delay_alu instid0(VALU_DEP_3) | instskip(SKIP_3) | instid1(VALU_DEP_3)
	v_lshlrev_b64 v[116:117], 3, v[54:55]
	v_sub_nc_u32_e32 v54, v45, v77
	v_add_co_u32 v114, vcc_lo, v51, v114
	v_add_co_ci_u32_e32 v115, vcc_lo, v52, v115, vcc_lo
	v_lshlrev_b64 v[118:119], 3, v[54:55]
	v_sub_nc_u32_e32 v54, v44, v77
	v_add_co_u32 v116, vcc_lo, v51, v116
	v_add_co_ci_u32_e32 v117, vcc_lo, v52, v117, vcc_lo
	s_clause 0x3
	global_store_b64 v[107:108], v[21:22], off
	global_store_b64 v[73:74], v[23:24], off
	;; [unrolled: 1-line block ×4, first 2 shown]
	v_lshlrev_b64 v[73:74], 3, v[54:55]
	v_sub_nc_u32_e32 v54, v43, v77
	v_add_co_u32 v107, vcc_lo, v51, v118
	v_add_co_ci_u32_e32 v108, vcc_lo, v52, v119, vcc_lo
	s_delay_alu instid0(VALU_DEP_3) | instskip(SKIP_3) | instid1(VALU_DEP_3)
	v_lshlrev_b64 v[114:115], 3, v[54:55]
	v_sub_nc_u32_e32 v54, v42, v77
	v_add_co_u32 v73, vcc_lo, v51, v73
	v_add_co_ci_u32_e32 v74, vcc_lo, v52, v74, vcc_lo
	v_lshlrev_b64 v[116:117], 3, v[54:55]
	v_sub_nc_u32_e32 v54, v41, v77
	v_add_co_u32 v114, vcc_lo, v51, v114
	v_add_co_ci_u32_e32 v115, vcc_lo, v52, v115, vcc_lo
	s_delay_alu instid0(VALU_DEP_3)
	v_lshlrev_b64 v[118:119], 3, v[54:55]
	v_sub_nc_u32_e32 v54, v40, v77
	v_add_co_u32 v116, vcc_lo, v51, v116
	v_add_co_ci_u32_e32 v117, vcc_lo, v52, v117, vcc_lo
	s_clause 0x3
	global_store_b64 v[107:108], v[13:14], off
	global_store_b64 v[73:74], v[15:16], off
	;; [unrolled: 1-line block ×4, first 2 shown]
	v_lshlrev_b64 v[73:74], 3, v[54:55]
	v_sub_nc_u32_e32 v54, v39, v77
	v_add_co_u32 v107, vcc_lo, v51, v118
	v_add_co_ci_u32_e32 v108, vcc_lo, v52, v119, vcc_lo
	s_delay_alu instid0(VALU_DEP_3) | instskip(SKIP_3) | instid1(VALU_DEP_3)
	v_lshlrev_b64 v[114:115], 3, v[54:55]
	v_sub_nc_u32_e32 v54, v38, v77
	v_add_co_u32 v73, vcc_lo, v51, v73
	v_add_co_ci_u32_e32 v74, vcc_lo, v52, v74, vcc_lo
	v_lshlrev_b64 v[54:55], 3, v[54:55]
	v_add_co_u32 v114, vcc_lo, v51, v114
	v_add_co_ci_u32_e32 v115, vcc_lo, v52, v115, vcc_lo
	s_clause 0x2
	global_store_b64 v[107:108], v[5:6], off
	global_store_b64 v[73:74], v[7:8], off
	;; [unrolled: 1-line block ×3, first 2 shown]
	v_add_co_u32 v54, vcc_lo, v51, v54
	v_add_co_ci_u32_e32 v55, vcc_lo, v52, v55, vcc_lo
	global_store_b64 v[54:55], v[3:4], off
	s_or_b32 exec_lo, exec_lo, s16
	s_delay_alu instid0(SALU_CYCLE_1)
	s_and_b32 exec_lo, exec_lo, s19
	s_cbranch_execnz .LBB311_215
	s_branch .LBB311_216
.LBB311_299:
	s_and_saveexec_b32 s19, s13
	s_cbranch_execnz .LBB311_363
; %bb.300:
	s_or_b32 exec_lo, exec_lo, s19
	s_and_saveexec_b32 s13, s12
	s_cbranch_execnz .LBB311_364
.LBB311_301:
	s_or_b32 exec_lo, exec_lo, s13
	s_and_saveexec_b32 s12, s10
	s_cbranch_execnz .LBB311_365
.LBB311_302:
	s_or_b32 exec_lo, exec_lo, s12
	s_and_saveexec_b32 s10, s9
	s_cbranch_execnz .LBB311_366
.LBB311_303:
	s_or_b32 exec_lo, exec_lo, s10
	s_and_saveexec_b32 s9, s15
	s_cbranch_execnz .LBB311_367
.LBB311_304:
	s_or_b32 exec_lo, exec_lo, s9
	s_and_saveexec_b32 s9, s14
	s_cbranch_execnz .LBB311_368
.LBB311_305:
	s_or_b32 exec_lo, exec_lo, s9
	s_and_saveexec_b32 s9, s11
	s_cbranch_execnz .LBB311_369
.LBB311_306:
	s_or_b32 exec_lo, exec_lo, s9
	s_and_saveexec_b32 s9, s8
	s_cbranch_execnz .LBB311_370
.LBB311_307:
	s_or_b32 exec_lo, exec_lo, s9
	s_and_saveexec_b32 s8, s7
	s_cbranch_execnz .LBB311_371
.LBB311_308:
	s_or_b32 exec_lo, exec_lo, s8
	s_and_saveexec_b32 s7, s6
	s_cbranch_execnz .LBB311_372
.LBB311_309:
	s_or_b32 exec_lo, exec_lo, s7
	s_and_saveexec_b32 s6, s5
	s_cbranch_execnz .LBB311_373
.LBB311_310:
	s_or_b32 exec_lo, exec_lo, s6
	s_and_saveexec_b32 s5, s4
	s_cbranch_execnz .LBB311_374
.LBB311_311:
	s_or_b32 exec_lo, exec_lo, s5
	s_and_saveexec_b32 s4, s3
	s_cbranch_execnz .LBB311_375
.LBB311_312:
	s_or_b32 exec_lo, exec_lo, s4
	s_and_saveexec_b32 s3, s1
	s_cbranch_execz .LBB311_314
.LBB311_313:
	v_sub_nc_u32_e32 v1, v38, v77
	s_delay_alu instid0(VALU_DEP_1)
	v_lshlrev_b32_e32 v1, 3, v1
	ds_store_b64 v1, v[3:4]
.LBB311_314:
	s_or_b32 exec_lo, exec_lo, s3
	s_delay_alu instid0(SALU_CYCLE_1)
	s_and_b32 s19, s0, exec_lo
                                        ; implicit-def: $vgpr25_vgpr26
                                        ; implicit-def: $vgpr21_vgpr22
                                        ; implicit-def: $vgpr17_vgpr18
                                        ; implicit-def: $vgpr13_vgpr14
                                        ; implicit-def: $vgpr9_vgpr10
                                        ; implicit-def: $vgpr5_vgpr6
                                        ; implicit-def: $vgpr1_vgpr2
	s_and_not1_saveexec_b32 s0, s18
	s_cbranch_execz .LBB311_221
.LBB311_315:
	v_sub_nc_u32_e32 v53, v71, v77
	v_sub_nc_u32_e32 v54, v48, v77
	;; [unrolled: 1-line block ×4, first 2 shown]
	s_or_b32 s19, s19, exec_lo
	v_lshlrev_b32_e32 v53, 3, v53
	v_lshlrev_b32_e32 v54, 3, v54
	v_lshlrev_b32_e32 v56, 3, v56
	v_lshlrev_b32_e32 v55, 3, v55
	ds_store_b64 v53, v[25:26]
	ds_store_b64 v54, v[27:28]
	ds_store_b64 v55, v[21:22]
	v_sub_nc_u32_e32 v21, v47, v77
	v_sub_nc_u32_e32 v22, v46, v77
	ds_store_b64 v56, v[23:24]
	v_sub_nc_u32_e32 v23, v45, v77
	v_sub_nc_u32_e32 v24, v44, v77
	v_lshlrev_b32_e32 v21, 3, v21
	v_sub_nc_u32_e32 v25, v43, v77
	v_lshlrev_b32_e32 v22, 3, v22
	v_lshlrev_b32_e32 v23, 3, v23
	;; [unrolled: 1-line block ×3, first 2 shown]
	ds_store_b64 v21, v[17:18]
	v_lshlrev_b32_e32 v17, 3, v25
	ds_store_b64 v22, v[19:20]
	ds_store_b64 v23, v[13:14]
	;; [unrolled: 1-line block ×3, first 2 shown]
	v_sub_nc_u32_e32 v13, v42, v77
	v_sub_nc_u32_e32 v15, v38, v77
	v_sub_nc_u32_e32 v14, v39, v77
	ds_store_b64 v17, v[9:10]
	v_sub_nc_u32_e32 v9, v41, v77
	v_lshlrev_b32_e32 v13, 3, v13
	v_sub_nc_u32_e32 v10, v40, v77
	v_lshlrev_b32_e32 v14, 3, v14
	s_delay_alu instid0(VALU_DEP_4)
	v_lshlrev_b32_e32 v9, 3, v9
	ds_store_b64 v13, v[11:12]
	v_lshlrev_b32_e32 v11, 3, v15
	v_lshlrev_b32_e32 v10, 3, v10
	ds_store_b64 v9, v[5:6]
	ds_store_b64 v10, v[7:8]
	;; [unrolled: 1-line block ×4, first 2 shown]
	s_or_b32 exec_lo, exec_lo, s0
	s_delay_alu instid0(SALU_CYCLE_1)
	s_and_b32 exec_lo, exec_lo, s19
	s_cbranch_execnz .LBB311_222
	s_branch .LBB311_223
.LBB311_316:
	s_and_saveexec_b32 s18, s14
	s_cbranch_execnz .LBB311_376
; %bb.317:
	s_or_b32 exec_lo, exec_lo, s18
	s_and_saveexec_b32 s18, s13
	s_cbranch_execnz .LBB311_377
.LBB311_318:
	s_or_b32 exec_lo, exec_lo, s18
	s_and_saveexec_b32 s18, s12
	s_cbranch_execnz .LBB311_378
.LBB311_319:
	s_or_b32 exec_lo, exec_lo, s18
	s_and_saveexec_b32 s18, s11
	s_cbranch_execnz .LBB311_379
.LBB311_320:
	s_or_b32 exec_lo, exec_lo, s18
	s_and_saveexec_b32 s18, s10
	s_cbranch_execnz .LBB311_380
.LBB311_321:
	s_or_b32 exec_lo, exec_lo, s18
	s_and_saveexec_b32 s18, s9
	s_cbranch_execnz .LBB311_381
.LBB311_322:
	s_or_b32 exec_lo, exec_lo, s18
	s_and_saveexec_b32 s18, s8
	s_cbranch_execnz .LBB311_382
.LBB311_323:
	s_or_b32 exec_lo, exec_lo, s18
	s_and_saveexec_b32 s18, s7
	s_cbranch_execnz .LBB311_383
.LBB311_324:
	s_or_b32 exec_lo, exec_lo, s18
	s_and_saveexec_b32 s18, s6
	s_cbranch_execnz .LBB311_384
.LBB311_325:
	s_or_b32 exec_lo, exec_lo, s18
	s_and_saveexec_b32 s18, s5
	s_cbranch_execnz .LBB311_385
.LBB311_326:
	s_or_b32 exec_lo, exec_lo, s18
	s_and_saveexec_b32 s18, s4
	s_cbranch_execnz .LBB311_386
.LBB311_327:
	s_or_b32 exec_lo, exec_lo, s18
	s_and_saveexec_b32 s18, s3
	s_cbranch_execnz .LBB311_387
.LBB311_328:
	s_or_b32 exec_lo, exec_lo, s18
	s_and_saveexec_b32 s18, s2
	s_cbranch_execnz .LBB311_388
.LBB311_329:
	s_or_b32 exec_lo, exec_lo, s18
	s_and_saveexec_b32 s18, s1
	s_cbranch_execz .LBB311_331
.LBB311_330:
	v_sub_nc_u32_e32 v10, v38, v8
	v_mov_b32_e32 v11, 0
	s_delay_alu instid0(VALU_DEP_1) | instskip(NEXT) | instid1(VALU_DEP_1)
	v_lshlrev_b64 v[10:11], 3, v[10:11]
	v_add_co_u32 v10, vcc_lo, v6, v10
	s_delay_alu instid0(VALU_DEP_2)
	v_add_co_ci_u32_e32 v11, vcc_lo, v7, v11, vcc_lo
	global_store_b64 v[10:11], v[105:106], off
.LBB311_331:
	s_or_b32 exec_lo, exec_lo, s18
	s_delay_alu instid0(SALU_CYCLE_1)
	s_and_b32 s18, s0, exec_lo
	s_and_not1_saveexec_b32 s15, s15
	s_cbranch_execz .LBB311_234
.LBB311_332:
	v_sub_nc_u32_e32 v10, v71, v8
	v_mov_b32_e32 v11, 0
	s_or_b32 s18, s18, exec_lo
	s_delay_alu instid0(VALU_DEP_1) | instskip(SKIP_1) | instid1(VALU_DEP_1)
	v_lshlrev_b64 v[12:13], 3, v[10:11]
	v_sub_nc_u32_e32 v10, v48, v8
	v_lshlrev_b64 v[14:15], 3, v[10:11]
	v_sub_nc_u32_e32 v10, v50, v8
	s_delay_alu instid0(VALU_DEP_4) | instskip(SKIP_1) | instid1(VALU_DEP_3)
	v_add_co_u32 v12, vcc_lo, v6, v12
	v_add_co_ci_u32_e32 v13, vcc_lo, v7, v13, vcc_lo
	v_lshlrev_b64 v[16:17], 3, v[10:11]
	v_sub_nc_u32_e32 v10, v49, v8
	v_add_co_u32 v14, vcc_lo, v6, v14
	v_add_co_ci_u32_e32 v15, vcc_lo, v7, v15, vcc_lo
	global_store_b64 v[12:13], v[91:92], off
	v_lshlrev_b64 v[12:13], 3, v[10:11]
	v_sub_nc_u32_e32 v10, v47, v8
	global_store_b64 v[14:15], v[87:88], off
	v_add_co_u32 v14, vcc_lo, v6, v16
	v_add_co_ci_u32_e32 v15, vcc_lo, v7, v17, vcc_lo
	v_lshlrev_b64 v[16:17], 3, v[10:11]
	v_sub_nc_u32_e32 v10, v46, v8
	v_add_co_u32 v12, vcc_lo, v6, v12
	v_add_co_ci_u32_e32 v13, vcc_lo, v7, v13, vcc_lo
	s_delay_alu instid0(VALU_DEP_3) | instskip(SKIP_3) | instid1(VALU_DEP_3)
	v_lshlrev_b64 v[18:19], 3, v[10:11]
	v_sub_nc_u32_e32 v10, v45, v8
	v_add_co_u32 v16, vcc_lo, v6, v16
	v_add_co_ci_u32_e32 v17, vcc_lo, v7, v17, vcc_lo
	v_lshlrev_b64 v[20:21], 3, v[10:11]
	v_sub_nc_u32_e32 v10, v44, v8
	v_add_co_u32 v18, vcc_lo, v6, v18
	v_add_co_ci_u32_e32 v19, vcc_lo, v7, v19, vcc_lo
	s_clause 0x3
	global_store_b64 v[14:15], v[93:94], off
	global_store_b64 v[12:13], v[97:98], off
	;; [unrolled: 1-line block ×4, first 2 shown]
	v_lshlrev_b64 v[12:13], 3, v[10:11]
	v_sub_nc_u32_e32 v10, v43, v8
	v_add_co_u32 v14, vcc_lo, v6, v20
	v_add_co_ci_u32_e32 v15, vcc_lo, v7, v21, vcc_lo
	s_delay_alu instid0(VALU_DEP_3) | instskip(SKIP_3) | instid1(VALU_DEP_3)
	v_lshlrev_b64 v[16:17], 3, v[10:11]
	v_sub_nc_u32_e32 v10, v42, v8
	v_add_co_u32 v12, vcc_lo, v6, v12
	v_add_co_ci_u32_e32 v13, vcc_lo, v7, v13, vcc_lo
	v_lshlrev_b64 v[18:19], 3, v[10:11]
	v_sub_nc_u32_e32 v10, v41, v8
	v_add_co_u32 v16, vcc_lo, v6, v16
	v_add_co_ci_u32_e32 v17, vcc_lo, v7, v17, vcc_lo
	s_delay_alu instid0(VALU_DEP_3)
	v_lshlrev_b64 v[20:21], 3, v[10:11]
	v_sub_nc_u32_e32 v10, v40, v8
	v_add_co_u32 v18, vcc_lo, v6, v18
	v_add_co_ci_u32_e32 v19, vcc_lo, v7, v19, vcc_lo
	s_clause 0x3
	global_store_b64 v[14:15], v[89:90], off
	global_store_b64 v[12:13], v[95:96], off
	;; [unrolled: 1-line block ×4, first 2 shown]
	v_lshlrev_b64 v[12:13], 3, v[10:11]
	v_sub_nc_u32_e32 v10, v39, v8
	v_add_co_u32 v14, vcc_lo, v6, v20
	v_add_co_ci_u32_e32 v15, vcc_lo, v7, v21, vcc_lo
	s_delay_alu instid0(VALU_DEP_3) | instskip(SKIP_3) | instid1(VALU_DEP_3)
	v_lshlrev_b64 v[16:17], 3, v[10:11]
	v_sub_nc_u32_e32 v10, v38, v8
	v_add_co_u32 v12, vcc_lo, v6, v12
	v_add_co_ci_u32_e32 v13, vcc_lo, v7, v13, vcc_lo
	v_lshlrev_b64 v[10:11], 3, v[10:11]
	v_add_co_u32 v16, vcc_lo, v6, v16
	v_add_co_ci_u32_e32 v17, vcc_lo, v7, v17, vcc_lo
	s_clause 0x2
	global_store_b64 v[14:15], v[85:86], off
	global_store_b64 v[12:13], v[101:102], off
	;; [unrolled: 1-line block ×3, first 2 shown]
	v_add_co_u32 v10, vcc_lo, v6, v10
	v_add_co_ci_u32_e32 v11, vcc_lo, v7, v11, vcc_lo
	global_store_b64 v[10:11], v[105:106], off
	s_or_b32 exec_lo, exec_lo, s15
	s_delay_alu instid0(SALU_CYCLE_1)
	s_and_b32 exec_lo, exec_lo, s18
	s_cbranch_execnz .LBB311_235
	s_branch .LBB311_236
.LBB311_333:
	s_and_saveexec_b32 s18, s14
	s_cbranch_execnz .LBB311_389
; %bb.334:
	s_or_b32 exec_lo, exec_lo, s18
	s_and_saveexec_b32 s14, s13
	s_cbranch_execnz .LBB311_390
.LBB311_335:
	s_or_b32 exec_lo, exec_lo, s14
	s_and_saveexec_b32 s13, s12
	s_cbranch_execnz .LBB311_391
.LBB311_336:
	s_or_b32 exec_lo, exec_lo, s13
	s_and_saveexec_b32 s12, s11
	s_cbranch_execnz .LBB311_392
.LBB311_337:
	s_or_b32 exec_lo, exec_lo, s12
	s_and_saveexec_b32 s11, s10
	s_cbranch_execnz .LBB311_393
.LBB311_338:
	s_or_b32 exec_lo, exec_lo, s11
	s_and_saveexec_b32 s10, s9
	s_cbranch_execnz .LBB311_394
.LBB311_339:
	s_or_b32 exec_lo, exec_lo, s10
	s_and_saveexec_b32 s9, s8
	s_cbranch_execnz .LBB311_395
.LBB311_340:
	s_or_b32 exec_lo, exec_lo, s9
	s_and_saveexec_b32 s8, s7
	s_cbranch_execnz .LBB311_396
.LBB311_341:
	s_or_b32 exec_lo, exec_lo, s8
	s_and_saveexec_b32 s7, s6
	s_cbranch_execnz .LBB311_397
.LBB311_342:
	s_or_b32 exec_lo, exec_lo, s7
	s_and_saveexec_b32 s6, s5
	s_cbranch_execnz .LBB311_398
.LBB311_343:
	s_or_b32 exec_lo, exec_lo, s6
	s_and_saveexec_b32 s5, s4
	s_cbranch_execnz .LBB311_399
.LBB311_344:
	s_or_b32 exec_lo, exec_lo, s5
	s_and_saveexec_b32 s4, s3
	s_cbranch_execnz .LBB311_400
.LBB311_345:
	s_or_b32 exec_lo, exec_lo, s4
	s_and_saveexec_b32 s3, s2
	s_cbranch_execnz .LBB311_401
.LBB311_346:
	s_or_b32 exec_lo, exec_lo, s3
	s_and_saveexec_b32 s2, s1
	s_cbranch_execz .LBB311_348
.LBB311_347:
	v_sub_nc_u32_e32 v9, v38, v8
	s_delay_alu instid0(VALU_DEP_1)
	v_lshlrev_b32_e32 v9, 3, v9
	ds_store_b64 v9, v[105:106]
.LBB311_348:
	s_or_b32 exec_lo, exec_lo, s2
	s_delay_alu instid0(SALU_CYCLE_1)
	s_and_b32 s18, s0, exec_lo
                                        ; implicit-def: $vgpr91_vgpr92
                                        ; implicit-def: $vgpr87_vgpr88
                                        ; implicit-def: $vgpr93_vgpr94
                                        ; implicit-def: $vgpr97_vgpr98
                                        ; implicit-def: $vgpr79_vgpr80
                                        ; implicit-def: $vgpr83_vgpr84
                                        ; implicit-def: $vgpr89_vgpr90
                                        ; implicit-def: $vgpr95_vgpr96
                                        ; implicit-def: $vgpr99_vgpr100
                                        ; implicit-def: $vgpr81_vgpr82
                                        ; implicit-def: $vgpr85_vgpr86
                                        ; implicit-def: $vgpr101_vgpr102
                                        ; implicit-def: $vgpr103_vgpr104
                                        ; implicit-def: $vgpr105_vgpr106
                                        ; implicit-def: $vgpr71
                                        ; implicit-def: $vgpr48
                                        ; implicit-def: $vgpr50
                                        ; implicit-def: $vgpr49
                                        ; implicit-def: $vgpr47
                                        ; implicit-def: $vgpr46
                                        ; implicit-def: $vgpr45
                                        ; implicit-def: $vgpr44
                                        ; implicit-def: $vgpr43
                                        ; implicit-def: $vgpr42
                                        ; implicit-def: $vgpr41
                                        ; implicit-def: $vgpr40
                                        ; implicit-def: $vgpr39
                                        ; implicit-def: $vgpr38
	s_and_not1_saveexec_b32 s0, s16
	s_cbranch_execz .LBB311_240
.LBB311_349:
	v_sub_nc_u32_e32 v9, v71, v8
	v_sub_nc_u32_e32 v10, v48, v8
	;; [unrolled: 1-line block ×5, first 2 shown]
	v_lshlrev_b32_e32 v9, 3, v9
	v_lshlrev_b32_e32 v10, 3, v10
	v_lshlrev_b32_e32 v11, 3, v11
	v_lshlrev_b32_e32 v12, 3, v12
	s_or_b32 s18, s18, exec_lo
	ds_store_b64 v9, v[91:92]
	ds_store_b64 v10, v[87:88]
	;; [unrolled: 1-line block ×3, first 2 shown]
	v_sub_nc_u32_e32 v9, v47, v8
	v_sub_nc_u32_e32 v10, v46, v8
	;; [unrolled: 1-line block ×3, first 2 shown]
	ds_store_b64 v12, v[97:98]
	v_sub_nc_u32_e32 v12, v44, v8
	v_lshlrev_b32_e32 v9, 3, v9
	v_lshlrev_b32_e32 v10, 3, v10
	;; [unrolled: 1-line block ×3, first 2 shown]
	s_delay_alu instid0(VALU_DEP_4)
	v_lshlrev_b32_e32 v12, 3, v12
	ds_store_b64 v9, v[79:80]
	v_lshlrev_b32_e32 v9, 3, v13
	ds_store_b64 v10, v[83:84]
	ds_store_b64 v11, v[89:90]
	;; [unrolled: 1-line block ×3, first 2 shown]
	v_sub_nc_u32_e32 v10, v42, v8
	v_sub_nc_u32_e32 v13, v38, v8
	;; [unrolled: 1-line block ×3, first 2 shown]
	ds_store_b64 v9, v[99:100]
	v_sub_nc_u32_e32 v9, v41, v8
	v_lshlrev_b32_e32 v10, 3, v10
	v_sub_nc_u32_e32 v12, v39, v8
	v_lshlrev_b32_e32 v11, 3, v11
	s_delay_alu instid0(VALU_DEP_4)
	v_lshlrev_b32_e32 v9, 3, v9
	ds_store_b64 v10, v[81:82]
	v_lshlrev_b32_e32 v10, 3, v13
	v_lshlrev_b32_e32 v12, 3, v12
	ds_store_b64 v9, v[85:86]
	ds_store_b64 v11, v[101:102]
	ds_store_b64 v12, v[103:104]
	ds_store_b64 v10, v[105:106]
	s_or_b32 exec_lo, exec_lo, s0
	s_delay_alu instid0(SALU_CYCLE_1)
	s_and_b32 exec_lo, exec_lo, s18
	s_cbranch_execnz .LBB311_241
	s_branch .LBB311_242
.LBB311_350:
	v_sub_nc_u32_e32 v54, v71, v77
	v_mov_b32_e32 v55, 0
	s_delay_alu instid0(VALU_DEP_1) | instskip(NEXT) | instid1(VALU_DEP_1)
	v_lshlrev_b64 v[54:55], 3, v[54:55]
	v_add_co_u32 v54, vcc_lo, v51, v54
	s_delay_alu instid0(VALU_DEP_2)
	v_add_co_ci_u32_e32 v55, vcc_lo, v52, v55, vcc_lo
	global_store_b64 v[54:55], v[25:26], off
	s_or_b32 exec_lo, exec_lo, s19
	s_and_saveexec_b32 s19, s12
	s_cbranch_execz .LBB311_284
.LBB311_351:
	v_sub_nc_u32_e32 v54, v48, v77
	v_mov_b32_e32 v55, 0
	s_delay_alu instid0(VALU_DEP_1) | instskip(NEXT) | instid1(VALU_DEP_1)
	v_lshlrev_b64 v[54:55], 3, v[54:55]
	v_add_co_u32 v54, vcc_lo, v51, v54
	s_delay_alu instid0(VALU_DEP_2)
	v_add_co_ci_u32_e32 v55, vcc_lo, v52, v55, vcc_lo
	global_store_b64 v[54:55], v[27:28], off
	s_or_b32 exec_lo, exec_lo, s19
	s_and_saveexec_b32 s19, s10
	s_cbranch_execz .LBB311_285
.LBB311_352:
	v_sub_nc_u32_e32 v54, v50, v77
	v_mov_b32_e32 v55, 0
	s_delay_alu instid0(VALU_DEP_1) | instskip(NEXT) | instid1(VALU_DEP_1)
	v_lshlrev_b64 v[54:55], 3, v[54:55]
	v_add_co_u32 v54, vcc_lo, v51, v54
	s_delay_alu instid0(VALU_DEP_2)
	v_add_co_ci_u32_e32 v55, vcc_lo, v52, v55, vcc_lo
	global_store_b64 v[54:55], v[21:22], off
	s_or_b32 exec_lo, exec_lo, s19
	s_and_saveexec_b32 s19, s9
	s_cbranch_execz .LBB311_286
.LBB311_353:
	v_sub_nc_u32_e32 v54, v49, v77
	v_mov_b32_e32 v55, 0
	s_delay_alu instid0(VALU_DEP_1) | instskip(NEXT) | instid1(VALU_DEP_1)
	v_lshlrev_b64 v[54:55], 3, v[54:55]
	v_add_co_u32 v54, vcc_lo, v51, v54
	s_delay_alu instid0(VALU_DEP_2)
	v_add_co_ci_u32_e32 v55, vcc_lo, v52, v55, vcc_lo
	global_store_b64 v[54:55], v[23:24], off
	s_or_b32 exec_lo, exec_lo, s19
	s_and_saveexec_b32 s19, s15
	s_cbranch_execz .LBB311_287
.LBB311_354:
	v_sub_nc_u32_e32 v54, v47, v77
	v_mov_b32_e32 v55, 0
	s_delay_alu instid0(VALU_DEP_1) | instskip(NEXT) | instid1(VALU_DEP_1)
	v_lshlrev_b64 v[54:55], 3, v[54:55]
	v_add_co_u32 v54, vcc_lo, v51, v54
	s_delay_alu instid0(VALU_DEP_2)
	v_add_co_ci_u32_e32 v55, vcc_lo, v52, v55, vcc_lo
	global_store_b64 v[54:55], v[17:18], off
	s_or_b32 exec_lo, exec_lo, s19
	s_and_saveexec_b32 s19, s14
	s_cbranch_execz .LBB311_288
.LBB311_355:
	v_sub_nc_u32_e32 v54, v46, v77
	v_mov_b32_e32 v55, 0
	s_delay_alu instid0(VALU_DEP_1) | instskip(NEXT) | instid1(VALU_DEP_1)
	v_lshlrev_b64 v[54:55], 3, v[54:55]
	v_add_co_u32 v54, vcc_lo, v51, v54
	s_delay_alu instid0(VALU_DEP_2)
	v_add_co_ci_u32_e32 v55, vcc_lo, v52, v55, vcc_lo
	global_store_b64 v[54:55], v[19:20], off
	s_or_b32 exec_lo, exec_lo, s19
	s_and_saveexec_b32 s19, s11
	s_cbranch_execz .LBB311_289
.LBB311_356:
	v_sub_nc_u32_e32 v54, v45, v77
	v_mov_b32_e32 v55, 0
	s_delay_alu instid0(VALU_DEP_1) | instskip(NEXT) | instid1(VALU_DEP_1)
	v_lshlrev_b64 v[54:55], 3, v[54:55]
	v_add_co_u32 v54, vcc_lo, v51, v54
	s_delay_alu instid0(VALU_DEP_2)
	v_add_co_ci_u32_e32 v55, vcc_lo, v52, v55, vcc_lo
	global_store_b64 v[54:55], v[13:14], off
	s_or_b32 exec_lo, exec_lo, s19
	s_and_saveexec_b32 s19, s8
	s_cbranch_execz .LBB311_290
.LBB311_357:
	v_sub_nc_u32_e32 v54, v44, v77
	v_mov_b32_e32 v55, 0
	s_delay_alu instid0(VALU_DEP_1) | instskip(NEXT) | instid1(VALU_DEP_1)
	v_lshlrev_b64 v[54:55], 3, v[54:55]
	v_add_co_u32 v54, vcc_lo, v51, v54
	s_delay_alu instid0(VALU_DEP_2)
	v_add_co_ci_u32_e32 v55, vcc_lo, v52, v55, vcc_lo
	global_store_b64 v[54:55], v[15:16], off
	s_or_b32 exec_lo, exec_lo, s19
	s_and_saveexec_b32 s19, s7
	s_cbranch_execz .LBB311_291
.LBB311_358:
	v_sub_nc_u32_e32 v54, v43, v77
	v_mov_b32_e32 v55, 0
	s_delay_alu instid0(VALU_DEP_1) | instskip(NEXT) | instid1(VALU_DEP_1)
	v_lshlrev_b64 v[54:55], 3, v[54:55]
	v_add_co_u32 v54, vcc_lo, v51, v54
	s_delay_alu instid0(VALU_DEP_2)
	v_add_co_ci_u32_e32 v55, vcc_lo, v52, v55, vcc_lo
	global_store_b64 v[54:55], v[9:10], off
	s_or_b32 exec_lo, exec_lo, s19
	s_and_saveexec_b32 s19, s6
	s_cbranch_execz .LBB311_292
.LBB311_359:
	v_sub_nc_u32_e32 v54, v42, v77
	v_mov_b32_e32 v55, 0
	s_delay_alu instid0(VALU_DEP_1) | instskip(NEXT) | instid1(VALU_DEP_1)
	v_lshlrev_b64 v[54:55], 3, v[54:55]
	v_add_co_u32 v54, vcc_lo, v51, v54
	s_delay_alu instid0(VALU_DEP_2)
	v_add_co_ci_u32_e32 v55, vcc_lo, v52, v55, vcc_lo
	global_store_b64 v[54:55], v[11:12], off
	s_or_b32 exec_lo, exec_lo, s19
	s_and_saveexec_b32 s19, s5
	s_cbranch_execz .LBB311_293
.LBB311_360:
	v_sub_nc_u32_e32 v54, v41, v77
	v_mov_b32_e32 v55, 0
	s_delay_alu instid0(VALU_DEP_1) | instskip(NEXT) | instid1(VALU_DEP_1)
	v_lshlrev_b64 v[54:55], 3, v[54:55]
	v_add_co_u32 v54, vcc_lo, v51, v54
	s_delay_alu instid0(VALU_DEP_2)
	v_add_co_ci_u32_e32 v55, vcc_lo, v52, v55, vcc_lo
	global_store_b64 v[54:55], v[5:6], off
	s_or_b32 exec_lo, exec_lo, s19
	s_and_saveexec_b32 s19, s4
	s_cbranch_execz .LBB311_294
.LBB311_361:
	v_sub_nc_u32_e32 v54, v40, v77
	v_mov_b32_e32 v55, 0
	s_delay_alu instid0(VALU_DEP_1) | instskip(NEXT) | instid1(VALU_DEP_1)
	v_lshlrev_b64 v[54:55], 3, v[54:55]
	v_add_co_u32 v54, vcc_lo, v51, v54
	s_delay_alu instid0(VALU_DEP_2)
	v_add_co_ci_u32_e32 v55, vcc_lo, v52, v55, vcc_lo
	global_store_b64 v[54:55], v[7:8], off
	s_or_b32 exec_lo, exec_lo, s19
	s_and_saveexec_b32 s19, s3
	s_cbranch_execz .LBB311_295
.LBB311_362:
	v_sub_nc_u32_e32 v54, v39, v77
	v_mov_b32_e32 v55, 0
	s_delay_alu instid0(VALU_DEP_1) | instskip(NEXT) | instid1(VALU_DEP_1)
	v_lshlrev_b64 v[54:55], 3, v[54:55]
	v_add_co_u32 v54, vcc_lo, v51, v54
	s_delay_alu instid0(VALU_DEP_2)
	v_add_co_ci_u32_e32 v55, vcc_lo, v52, v55, vcc_lo
	global_store_b64 v[54:55], v[1:2], off
	s_or_b32 exec_lo, exec_lo, s19
	s_and_saveexec_b32 s19, s1
	s_cbranch_execnz .LBB311_296
	s_branch .LBB311_297
.LBB311_363:
	v_sub_nc_u32_e32 v53, v71, v77
	s_delay_alu instid0(VALU_DEP_1)
	v_lshlrev_b32_e32 v53, 3, v53
	ds_store_b64 v53, v[25:26]
	s_or_b32 exec_lo, exec_lo, s19
	s_and_saveexec_b32 s13, s12
	s_cbranch_execz .LBB311_301
.LBB311_364:
	v_sub_nc_u32_e32 v25, v48, v77
	s_delay_alu instid0(VALU_DEP_1)
	v_lshlrev_b32_e32 v25, 3, v25
	ds_store_b64 v25, v[27:28]
	s_or_b32 exec_lo, exec_lo, s13
	s_and_saveexec_b32 s12, s10
	s_cbranch_execz .LBB311_302
.LBB311_365:
	v_sub_nc_u32_e32 v25, v50, v77
	s_delay_alu instid0(VALU_DEP_1)
	v_lshlrev_b32_e32 v25, 3, v25
	ds_store_b64 v25, v[21:22]
	s_or_b32 exec_lo, exec_lo, s12
	s_and_saveexec_b32 s10, s9
	s_cbranch_execz .LBB311_303
.LBB311_366:
	v_sub_nc_u32_e32 v21, v49, v77
	s_delay_alu instid0(VALU_DEP_1)
	v_lshlrev_b32_e32 v21, 3, v21
	ds_store_b64 v21, v[23:24]
	s_or_b32 exec_lo, exec_lo, s10
	s_and_saveexec_b32 s9, s15
	s_cbranch_execz .LBB311_304
.LBB311_367:
	v_sub_nc_u32_e32 v21, v47, v77
	s_delay_alu instid0(VALU_DEP_1)
	v_lshlrev_b32_e32 v21, 3, v21
	ds_store_b64 v21, v[17:18]
	s_or_b32 exec_lo, exec_lo, s9
	s_and_saveexec_b32 s9, s14
	s_cbranch_execz .LBB311_305
.LBB311_368:
	v_sub_nc_u32_e32 v17, v46, v77
	s_delay_alu instid0(VALU_DEP_1)
	v_lshlrev_b32_e32 v17, 3, v17
	ds_store_b64 v17, v[19:20]
	s_or_b32 exec_lo, exec_lo, s9
	s_and_saveexec_b32 s9, s11
	s_cbranch_execz .LBB311_306
.LBB311_369:
	v_sub_nc_u32_e32 v17, v45, v77
	s_delay_alu instid0(VALU_DEP_1)
	v_lshlrev_b32_e32 v17, 3, v17
	ds_store_b64 v17, v[13:14]
	s_or_b32 exec_lo, exec_lo, s9
	s_and_saveexec_b32 s9, s8
	s_cbranch_execz .LBB311_307
.LBB311_370:
	v_sub_nc_u32_e32 v13, v44, v77
	s_delay_alu instid0(VALU_DEP_1)
	v_lshlrev_b32_e32 v13, 3, v13
	ds_store_b64 v13, v[15:16]
	s_or_b32 exec_lo, exec_lo, s9
	s_and_saveexec_b32 s8, s7
	s_cbranch_execz .LBB311_308
.LBB311_371:
	v_sub_nc_u32_e32 v13, v43, v77
	s_delay_alu instid0(VALU_DEP_1)
	v_lshlrev_b32_e32 v13, 3, v13
	ds_store_b64 v13, v[9:10]
	s_or_b32 exec_lo, exec_lo, s8
	s_and_saveexec_b32 s7, s6
	s_cbranch_execz .LBB311_309
.LBB311_372:
	v_sub_nc_u32_e32 v9, v42, v77
	s_delay_alu instid0(VALU_DEP_1)
	v_lshlrev_b32_e32 v9, 3, v9
	ds_store_b64 v9, v[11:12]
	s_or_b32 exec_lo, exec_lo, s7
	s_and_saveexec_b32 s6, s5
	s_cbranch_execz .LBB311_310
.LBB311_373:
	v_sub_nc_u32_e32 v9, v41, v77
	s_delay_alu instid0(VALU_DEP_1)
	v_lshlrev_b32_e32 v9, 3, v9
	ds_store_b64 v9, v[5:6]
	s_or_b32 exec_lo, exec_lo, s6
	s_and_saveexec_b32 s5, s4
	s_cbranch_execz .LBB311_311
.LBB311_374:
	v_sub_nc_u32_e32 v5, v40, v77
	s_delay_alu instid0(VALU_DEP_1)
	v_lshlrev_b32_e32 v5, 3, v5
	ds_store_b64 v5, v[7:8]
	s_or_b32 exec_lo, exec_lo, s5
	s_and_saveexec_b32 s4, s3
	s_cbranch_execz .LBB311_312
.LBB311_375:
	v_sub_nc_u32_e32 v5, v39, v77
	s_delay_alu instid0(VALU_DEP_1)
	v_lshlrev_b32_e32 v5, 3, v5
	ds_store_b64 v5, v[1:2]
	s_or_b32 exec_lo, exec_lo, s4
	s_and_saveexec_b32 s3, s1
	s_cbranch_execnz .LBB311_313
	s_branch .LBB311_314
.LBB311_376:
	v_sub_nc_u32_e32 v10, v71, v8
	v_mov_b32_e32 v11, 0
	s_delay_alu instid0(VALU_DEP_1) | instskip(NEXT) | instid1(VALU_DEP_1)
	v_lshlrev_b64 v[10:11], 3, v[10:11]
	v_add_co_u32 v10, vcc_lo, v6, v10
	s_delay_alu instid0(VALU_DEP_2)
	v_add_co_ci_u32_e32 v11, vcc_lo, v7, v11, vcc_lo
	global_store_b64 v[10:11], v[91:92], off
	s_or_b32 exec_lo, exec_lo, s18
	s_and_saveexec_b32 s18, s13
	s_cbranch_execz .LBB311_318
.LBB311_377:
	v_sub_nc_u32_e32 v10, v48, v8
	v_mov_b32_e32 v11, 0
	s_delay_alu instid0(VALU_DEP_1) | instskip(NEXT) | instid1(VALU_DEP_1)
	v_lshlrev_b64 v[10:11], 3, v[10:11]
	v_add_co_u32 v10, vcc_lo, v6, v10
	s_delay_alu instid0(VALU_DEP_2)
	v_add_co_ci_u32_e32 v11, vcc_lo, v7, v11, vcc_lo
	global_store_b64 v[10:11], v[87:88], off
	s_or_b32 exec_lo, exec_lo, s18
	s_and_saveexec_b32 s18, s12
	s_cbranch_execz .LBB311_319
.LBB311_378:
	v_sub_nc_u32_e32 v10, v50, v8
	v_mov_b32_e32 v11, 0
	s_delay_alu instid0(VALU_DEP_1) | instskip(NEXT) | instid1(VALU_DEP_1)
	v_lshlrev_b64 v[10:11], 3, v[10:11]
	v_add_co_u32 v10, vcc_lo, v6, v10
	s_delay_alu instid0(VALU_DEP_2)
	v_add_co_ci_u32_e32 v11, vcc_lo, v7, v11, vcc_lo
	global_store_b64 v[10:11], v[93:94], off
	s_or_b32 exec_lo, exec_lo, s18
	s_and_saveexec_b32 s18, s11
	s_cbranch_execz .LBB311_320
.LBB311_379:
	v_sub_nc_u32_e32 v10, v49, v8
	v_mov_b32_e32 v11, 0
	s_delay_alu instid0(VALU_DEP_1) | instskip(NEXT) | instid1(VALU_DEP_1)
	v_lshlrev_b64 v[10:11], 3, v[10:11]
	v_add_co_u32 v10, vcc_lo, v6, v10
	s_delay_alu instid0(VALU_DEP_2)
	v_add_co_ci_u32_e32 v11, vcc_lo, v7, v11, vcc_lo
	global_store_b64 v[10:11], v[97:98], off
	s_or_b32 exec_lo, exec_lo, s18
	s_and_saveexec_b32 s18, s10
	s_cbranch_execz .LBB311_321
.LBB311_380:
	v_sub_nc_u32_e32 v10, v47, v8
	v_mov_b32_e32 v11, 0
	s_delay_alu instid0(VALU_DEP_1) | instskip(NEXT) | instid1(VALU_DEP_1)
	v_lshlrev_b64 v[10:11], 3, v[10:11]
	v_add_co_u32 v10, vcc_lo, v6, v10
	s_delay_alu instid0(VALU_DEP_2)
	v_add_co_ci_u32_e32 v11, vcc_lo, v7, v11, vcc_lo
	global_store_b64 v[10:11], v[79:80], off
	s_or_b32 exec_lo, exec_lo, s18
	s_and_saveexec_b32 s18, s9
	s_cbranch_execz .LBB311_322
.LBB311_381:
	v_sub_nc_u32_e32 v10, v46, v8
	v_mov_b32_e32 v11, 0
	s_delay_alu instid0(VALU_DEP_1) | instskip(NEXT) | instid1(VALU_DEP_1)
	v_lshlrev_b64 v[10:11], 3, v[10:11]
	v_add_co_u32 v10, vcc_lo, v6, v10
	s_delay_alu instid0(VALU_DEP_2)
	v_add_co_ci_u32_e32 v11, vcc_lo, v7, v11, vcc_lo
	global_store_b64 v[10:11], v[83:84], off
	s_or_b32 exec_lo, exec_lo, s18
	s_and_saveexec_b32 s18, s8
	s_cbranch_execz .LBB311_323
.LBB311_382:
	v_sub_nc_u32_e32 v10, v45, v8
	v_mov_b32_e32 v11, 0
	s_delay_alu instid0(VALU_DEP_1) | instskip(NEXT) | instid1(VALU_DEP_1)
	v_lshlrev_b64 v[10:11], 3, v[10:11]
	v_add_co_u32 v10, vcc_lo, v6, v10
	s_delay_alu instid0(VALU_DEP_2)
	v_add_co_ci_u32_e32 v11, vcc_lo, v7, v11, vcc_lo
	global_store_b64 v[10:11], v[89:90], off
	s_or_b32 exec_lo, exec_lo, s18
	s_and_saveexec_b32 s18, s7
	s_cbranch_execz .LBB311_324
.LBB311_383:
	v_sub_nc_u32_e32 v10, v44, v8
	v_mov_b32_e32 v11, 0
	s_delay_alu instid0(VALU_DEP_1) | instskip(NEXT) | instid1(VALU_DEP_1)
	v_lshlrev_b64 v[10:11], 3, v[10:11]
	v_add_co_u32 v10, vcc_lo, v6, v10
	s_delay_alu instid0(VALU_DEP_2)
	v_add_co_ci_u32_e32 v11, vcc_lo, v7, v11, vcc_lo
	global_store_b64 v[10:11], v[95:96], off
	s_or_b32 exec_lo, exec_lo, s18
	s_and_saveexec_b32 s18, s6
	s_cbranch_execz .LBB311_325
.LBB311_384:
	v_sub_nc_u32_e32 v10, v43, v8
	v_mov_b32_e32 v11, 0
	s_delay_alu instid0(VALU_DEP_1) | instskip(NEXT) | instid1(VALU_DEP_1)
	v_lshlrev_b64 v[10:11], 3, v[10:11]
	v_add_co_u32 v10, vcc_lo, v6, v10
	s_delay_alu instid0(VALU_DEP_2)
	v_add_co_ci_u32_e32 v11, vcc_lo, v7, v11, vcc_lo
	global_store_b64 v[10:11], v[99:100], off
	s_or_b32 exec_lo, exec_lo, s18
	s_and_saveexec_b32 s18, s5
	s_cbranch_execz .LBB311_326
.LBB311_385:
	v_sub_nc_u32_e32 v10, v42, v8
	v_mov_b32_e32 v11, 0
	s_delay_alu instid0(VALU_DEP_1) | instskip(NEXT) | instid1(VALU_DEP_1)
	v_lshlrev_b64 v[10:11], 3, v[10:11]
	v_add_co_u32 v10, vcc_lo, v6, v10
	s_delay_alu instid0(VALU_DEP_2)
	v_add_co_ci_u32_e32 v11, vcc_lo, v7, v11, vcc_lo
	global_store_b64 v[10:11], v[81:82], off
	s_or_b32 exec_lo, exec_lo, s18
	s_and_saveexec_b32 s18, s4
	s_cbranch_execz .LBB311_327
.LBB311_386:
	v_sub_nc_u32_e32 v10, v41, v8
	v_mov_b32_e32 v11, 0
	s_delay_alu instid0(VALU_DEP_1) | instskip(NEXT) | instid1(VALU_DEP_1)
	v_lshlrev_b64 v[10:11], 3, v[10:11]
	v_add_co_u32 v10, vcc_lo, v6, v10
	s_delay_alu instid0(VALU_DEP_2)
	v_add_co_ci_u32_e32 v11, vcc_lo, v7, v11, vcc_lo
	global_store_b64 v[10:11], v[85:86], off
	s_or_b32 exec_lo, exec_lo, s18
	s_and_saveexec_b32 s18, s3
	s_cbranch_execz .LBB311_328
.LBB311_387:
	v_sub_nc_u32_e32 v10, v40, v8
	v_mov_b32_e32 v11, 0
	s_delay_alu instid0(VALU_DEP_1) | instskip(NEXT) | instid1(VALU_DEP_1)
	v_lshlrev_b64 v[10:11], 3, v[10:11]
	v_add_co_u32 v10, vcc_lo, v6, v10
	s_delay_alu instid0(VALU_DEP_2)
	v_add_co_ci_u32_e32 v11, vcc_lo, v7, v11, vcc_lo
	global_store_b64 v[10:11], v[101:102], off
	s_or_b32 exec_lo, exec_lo, s18
	s_and_saveexec_b32 s18, s2
	s_cbranch_execz .LBB311_329
.LBB311_388:
	v_sub_nc_u32_e32 v10, v39, v8
	v_mov_b32_e32 v11, 0
	s_delay_alu instid0(VALU_DEP_1) | instskip(NEXT) | instid1(VALU_DEP_1)
	v_lshlrev_b64 v[10:11], 3, v[10:11]
	v_add_co_u32 v10, vcc_lo, v6, v10
	s_delay_alu instid0(VALU_DEP_2)
	v_add_co_ci_u32_e32 v11, vcc_lo, v7, v11, vcc_lo
	global_store_b64 v[10:11], v[103:104], off
	s_or_b32 exec_lo, exec_lo, s18
	s_and_saveexec_b32 s18, s1
	s_cbranch_execnz .LBB311_330
	s_branch .LBB311_331
.LBB311_389:
	v_sub_nc_u32_e32 v9, v71, v8
	s_delay_alu instid0(VALU_DEP_1)
	v_lshlrev_b32_e32 v9, 3, v9
	ds_store_b64 v9, v[91:92]
	s_or_b32 exec_lo, exec_lo, s18
	s_and_saveexec_b32 s14, s13
	s_cbranch_execz .LBB311_335
.LBB311_390:
	v_sub_nc_u32_e32 v9, v48, v8
	s_delay_alu instid0(VALU_DEP_1)
	v_lshlrev_b32_e32 v9, 3, v9
	ds_store_b64 v9, v[87:88]
	s_or_b32 exec_lo, exec_lo, s14
	s_and_saveexec_b32 s13, s12
	s_cbranch_execz .LBB311_336
.LBB311_391:
	v_sub_nc_u32_e32 v9, v50, v8
	s_delay_alu instid0(VALU_DEP_1)
	v_lshlrev_b32_e32 v9, 3, v9
	ds_store_b64 v9, v[93:94]
	s_or_b32 exec_lo, exec_lo, s13
	s_and_saveexec_b32 s12, s11
	s_cbranch_execz .LBB311_337
.LBB311_392:
	v_sub_nc_u32_e32 v9, v49, v8
	s_delay_alu instid0(VALU_DEP_1)
	v_lshlrev_b32_e32 v9, 3, v9
	ds_store_b64 v9, v[97:98]
	s_or_b32 exec_lo, exec_lo, s12
	s_and_saveexec_b32 s11, s10
	s_cbranch_execz .LBB311_338
.LBB311_393:
	v_sub_nc_u32_e32 v9, v47, v8
	s_delay_alu instid0(VALU_DEP_1)
	v_lshlrev_b32_e32 v9, 3, v9
	ds_store_b64 v9, v[79:80]
	s_or_b32 exec_lo, exec_lo, s11
	s_and_saveexec_b32 s10, s9
	s_cbranch_execz .LBB311_339
.LBB311_394:
	v_sub_nc_u32_e32 v9, v46, v8
	s_delay_alu instid0(VALU_DEP_1)
	v_lshlrev_b32_e32 v9, 3, v9
	ds_store_b64 v9, v[83:84]
	s_or_b32 exec_lo, exec_lo, s10
	s_and_saveexec_b32 s9, s8
	s_cbranch_execz .LBB311_340
.LBB311_395:
	v_sub_nc_u32_e32 v9, v45, v8
	s_delay_alu instid0(VALU_DEP_1)
	v_lshlrev_b32_e32 v9, 3, v9
	ds_store_b64 v9, v[89:90]
	s_or_b32 exec_lo, exec_lo, s9
	s_and_saveexec_b32 s8, s7
	s_cbranch_execz .LBB311_341
.LBB311_396:
	v_sub_nc_u32_e32 v9, v44, v8
	s_delay_alu instid0(VALU_DEP_1)
	v_lshlrev_b32_e32 v9, 3, v9
	ds_store_b64 v9, v[95:96]
	s_or_b32 exec_lo, exec_lo, s8
	s_and_saveexec_b32 s7, s6
	s_cbranch_execz .LBB311_342
.LBB311_397:
	v_sub_nc_u32_e32 v9, v43, v8
	s_delay_alu instid0(VALU_DEP_1)
	v_lshlrev_b32_e32 v9, 3, v9
	ds_store_b64 v9, v[99:100]
	s_or_b32 exec_lo, exec_lo, s7
	s_and_saveexec_b32 s6, s5
	s_cbranch_execz .LBB311_343
.LBB311_398:
	v_sub_nc_u32_e32 v9, v42, v8
	s_delay_alu instid0(VALU_DEP_1)
	v_lshlrev_b32_e32 v9, 3, v9
	ds_store_b64 v9, v[81:82]
	s_or_b32 exec_lo, exec_lo, s6
	s_and_saveexec_b32 s5, s4
	s_cbranch_execz .LBB311_344
.LBB311_399:
	v_sub_nc_u32_e32 v9, v41, v8
	s_delay_alu instid0(VALU_DEP_1)
	v_lshlrev_b32_e32 v9, 3, v9
	ds_store_b64 v9, v[85:86]
	s_or_b32 exec_lo, exec_lo, s5
	s_and_saveexec_b32 s4, s3
	s_cbranch_execz .LBB311_345
.LBB311_400:
	v_sub_nc_u32_e32 v9, v40, v8
	s_delay_alu instid0(VALU_DEP_1)
	v_lshlrev_b32_e32 v9, 3, v9
	ds_store_b64 v9, v[101:102]
	s_or_b32 exec_lo, exec_lo, s4
	s_and_saveexec_b32 s3, s2
	s_cbranch_execz .LBB311_346
.LBB311_401:
	v_sub_nc_u32_e32 v9, v39, v8
	s_delay_alu instid0(VALU_DEP_1)
	v_lshlrev_b32_e32 v9, 3, v9
	ds_store_b64 v9, v[103:104]
	s_or_b32 exec_lo, exec_lo, s3
	s_and_saveexec_b32 s2, s1
	s_cbranch_execnz .LBB311_347
	s_branch .LBB311_348
	.section	.rodata,"a",@progbits
	.p2align	6, 0x0
	.amdhsa_kernel _ZN7rocprim17ROCPRIM_400000_NS6detail17trampoline_kernelINS0_14default_configENS1_29reduce_by_key_config_selectorIyyN6thrust23THRUST_200600_302600_NS4plusIyEEEEZZNS1_33reduce_by_key_impl_wrapped_configILNS1_25lookback_scan_determinismE0ES3_S9_NS6_6detail15normal_iteratorINS6_10device_ptrIyEEEESG_SG_SG_PmS8_22is_equal_div_10_reduceIyEEE10hipError_tPvRmT2_T3_mT4_T5_T6_T7_T8_P12ihipStream_tbENKUlT_T0_E_clISt17integral_constantIbLb0EES10_IbLb1EEEEDaSW_SX_EUlSW_E_NS1_11comp_targetILNS1_3genE9ELNS1_11target_archE1100ELNS1_3gpuE3ELNS1_3repE0EEENS1_30default_config_static_selectorELNS0_4arch9wavefront6targetE0EEEvT1_
		.amdhsa_group_segment_fixed_size 30720
		.amdhsa_private_segment_fixed_size 0
		.amdhsa_kernarg_size 136
		.amdhsa_user_sgpr_count 15
		.amdhsa_user_sgpr_dispatch_ptr 0
		.amdhsa_user_sgpr_queue_ptr 0
		.amdhsa_user_sgpr_kernarg_segment_ptr 1
		.amdhsa_user_sgpr_dispatch_id 0
		.amdhsa_user_sgpr_private_segment_size 0
		.amdhsa_wavefront_size32 1
		.amdhsa_uses_dynamic_stack 0
		.amdhsa_enable_private_segment 0
		.amdhsa_system_sgpr_workgroup_id_x 1
		.amdhsa_system_sgpr_workgroup_id_y 0
		.amdhsa_system_sgpr_workgroup_id_z 0
		.amdhsa_system_sgpr_workgroup_info 0
		.amdhsa_system_vgpr_workitem_id 0
		.amdhsa_next_free_vgpr 120
		.amdhsa_next_free_sgpr 52
		.amdhsa_reserve_vcc 1
		.amdhsa_float_round_mode_32 0
		.amdhsa_float_round_mode_16_64 0
		.amdhsa_float_denorm_mode_32 3
		.amdhsa_float_denorm_mode_16_64 3
		.amdhsa_dx10_clamp 1
		.amdhsa_ieee_mode 1
		.amdhsa_fp16_overflow 0
		.amdhsa_workgroup_processor_mode 1
		.amdhsa_memory_ordered 1
		.amdhsa_forward_progress 0
		.amdhsa_shared_vgpr_count 0
		.amdhsa_exception_fp_ieee_invalid_op 0
		.amdhsa_exception_fp_denorm_src 0
		.amdhsa_exception_fp_ieee_div_zero 0
		.amdhsa_exception_fp_ieee_overflow 0
		.amdhsa_exception_fp_ieee_underflow 0
		.amdhsa_exception_fp_ieee_inexact 0
		.amdhsa_exception_int_div_zero 0
	.end_amdhsa_kernel
	.section	.text._ZN7rocprim17ROCPRIM_400000_NS6detail17trampoline_kernelINS0_14default_configENS1_29reduce_by_key_config_selectorIyyN6thrust23THRUST_200600_302600_NS4plusIyEEEEZZNS1_33reduce_by_key_impl_wrapped_configILNS1_25lookback_scan_determinismE0ES3_S9_NS6_6detail15normal_iteratorINS6_10device_ptrIyEEEESG_SG_SG_PmS8_22is_equal_div_10_reduceIyEEE10hipError_tPvRmT2_T3_mT4_T5_T6_T7_T8_P12ihipStream_tbENKUlT_T0_E_clISt17integral_constantIbLb0EES10_IbLb1EEEEDaSW_SX_EUlSW_E_NS1_11comp_targetILNS1_3genE9ELNS1_11target_archE1100ELNS1_3gpuE3ELNS1_3repE0EEENS1_30default_config_static_selectorELNS0_4arch9wavefront6targetE0EEEvT1_,"axG",@progbits,_ZN7rocprim17ROCPRIM_400000_NS6detail17trampoline_kernelINS0_14default_configENS1_29reduce_by_key_config_selectorIyyN6thrust23THRUST_200600_302600_NS4plusIyEEEEZZNS1_33reduce_by_key_impl_wrapped_configILNS1_25lookback_scan_determinismE0ES3_S9_NS6_6detail15normal_iteratorINS6_10device_ptrIyEEEESG_SG_SG_PmS8_22is_equal_div_10_reduceIyEEE10hipError_tPvRmT2_T3_mT4_T5_T6_T7_T8_P12ihipStream_tbENKUlT_T0_E_clISt17integral_constantIbLb0EES10_IbLb1EEEEDaSW_SX_EUlSW_E_NS1_11comp_targetILNS1_3genE9ELNS1_11target_archE1100ELNS1_3gpuE3ELNS1_3repE0EEENS1_30default_config_static_selectorELNS0_4arch9wavefront6targetE0EEEvT1_,comdat
.Lfunc_end311:
	.size	_ZN7rocprim17ROCPRIM_400000_NS6detail17trampoline_kernelINS0_14default_configENS1_29reduce_by_key_config_selectorIyyN6thrust23THRUST_200600_302600_NS4plusIyEEEEZZNS1_33reduce_by_key_impl_wrapped_configILNS1_25lookback_scan_determinismE0ES3_S9_NS6_6detail15normal_iteratorINS6_10device_ptrIyEEEESG_SG_SG_PmS8_22is_equal_div_10_reduceIyEEE10hipError_tPvRmT2_T3_mT4_T5_T6_T7_T8_P12ihipStream_tbENKUlT_T0_E_clISt17integral_constantIbLb0EES10_IbLb1EEEEDaSW_SX_EUlSW_E_NS1_11comp_targetILNS1_3genE9ELNS1_11target_archE1100ELNS1_3gpuE3ELNS1_3repE0EEENS1_30default_config_static_selectorELNS0_4arch9wavefront6targetE0EEEvT1_, .Lfunc_end311-_ZN7rocprim17ROCPRIM_400000_NS6detail17trampoline_kernelINS0_14default_configENS1_29reduce_by_key_config_selectorIyyN6thrust23THRUST_200600_302600_NS4plusIyEEEEZZNS1_33reduce_by_key_impl_wrapped_configILNS1_25lookback_scan_determinismE0ES3_S9_NS6_6detail15normal_iteratorINS6_10device_ptrIyEEEESG_SG_SG_PmS8_22is_equal_div_10_reduceIyEEE10hipError_tPvRmT2_T3_mT4_T5_T6_T7_T8_P12ihipStream_tbENKUlT_T0_E_clISt17integral_constantIbLb0EES10_IbLb1EEEEDaSW_SX_EUlSW_E_NS1_11comp_targetILNS1_3genE9ELNS1_11target_archE1100ELNS1_3gpuE3ELNS1_3repE0EEENS1_30default_config_static_selectorELNS0_4arch9wavefront6targetE0EEEvT1_
                                        ; -- End function
	.section	.AMDGPU.csdata,"",@progbits
; Kernel info:
; codeLenInByte = 21744
; NumSgprs: 54
; NumVgprs: 120
; ScratchSize: 0
; MemoryBound: 0
; FloatMode: 240
; IeeeMode: 1
; LDSByteSize: 30720 bytes/workgroup (compile time only)
; SGPRBlocks: 6
; VGPRBlocks: 14
; NumSGPRsForWavesPerEU: 54
; NumVGPRsForWavesPerEU: 120
; Occupancy: 8
; WaveLimiterHint : 1
; COMPUTE_PGM_RSRC2:SCRATCH_EN: 0
; COMPUTE_PGM_RSRC2:USER_SGPR: 15
; COMPUTE_PGM_RSRC2:TRAP_HANDLER: 0
; COMPUTE_PGM_RSRC2:TGID_X_EN: 1
; COMPUTE_PGM_RSRC2:TGID_Y_EN: 0
; COMPUTE_PGM_RSRC2:TGID_Z_EN: 0
; COMPUTE_PGM_RSRC2:TIDIG_COMP_CNT: 0
	.section	.text._ZN7rocprim17ROCPRIM_400000_NS6detail17trampoline_kernelINS0_14default_configENS1_29reduce_by_key_config_selectorIyyN6thrust23THRUST_200600_302600_NS4plusIyEEEEZZNS1_33reduce_by_key_impl_wrapped_configILNS1_25lookback_scan_determinismE0ES3_S9_NS6_6detail15normal_iteratorINS6_10device_ptrIyEEEESG_SG_SG_PmS8_22is_equal_div_10_reduceIyEEE10hipError_tPvRmT2_T3_mT4_T5_T6_T7_T8_P12ihipStream_tbENKUlT_T0_E_clISt17integral_constantIbLb0EES10_IbLb1EEEEDaSW_SX_EUlSW_E_NS1_11comp_targetILNS1_3genE8ELNS1_11target_archE1030ELNS1_3gpuE2ELNS1_3repE0EEENS1_30default_config_static_selectorELNS0_4arch9wavefront6targetE0EEEvT1_,"axG",@progbits,_ZN7rocprim17ROCPRIM_400000_NS6detail17trampoline_kernelINS0_14default_configENS1_29reduce_by_key_config_selectorIyyN6thrust23THRUST_200600_302600_NS4plusIyEEEEZZNS1_33reduce_by_key_impl_wrapped_configILNS1_25lookback_scan_determinismE0ES3_S9_NS6_6detail15normal_iteratorINS6_10device_ptrIyEEEESG_SG_SG_PmS8_22is_equal_div_10_reduceIyEEE10hipError_tPvRmT2_T3_mT4_T5_T6_T7_T8_P12ihipStream_tbENKUlT_T0_E_clISt17integral_constantIbLb0EES10_IbLb1EEEEDaSW_SX_EUlSW_E_NS1_11comp_targetILNS1_3genE8ELNS1_11target_archE1030ELNS1_3gpuE2ELNS1_3repE0EEENS1_30default_config_static_selectorELNS0_4arch9wavefront6targetE0EEEvT1_,comdat
	.protected	_ZN7rocprim17ROCPRIM_400000_NS6detail17trampoline_kernelINS0_14default_configENS1_29reduce_by_key_config_selectorIyyN6thrust23THRUST_200600_302600_NS4plusIyEEEEZZNS1_33reduce_by_key_impl_wrapped_configILNS1_25lookback_scan_determinismE0ES3_S9_NS6_6detail15normal_iteratorINS6_10device_ptrIyEEEESG_SG_SG_PmS8_22is_equal_div_10_reduceIyEEE10hipError_tPvRmT2_T3_mT4_T5_T6_T7_T8_P12ihipStream_tbENKUlT_T0_E_clISt17integral_constantIbLb0EES10_IbLb1EEEEDaSW_SX_EUlSW_E_NS1_11comp_targetILNS1_3genE8ELNS1_11target_archE1030ELNS1_3gpuE2ELNS1_3repE0EEENS1_30default_config_static_selectorELNS0_4arch9wavefront6targetE0EEEvT1_ ; -- Begin function _ZN7rocprim17ROCPRIM_400000_NS6detail17trampoline_kernelINS0_14default_configENS1_29reduce_by_key_config_selectorIyyN6thrust23THRUST_200600_302600_NS4plusIyEEEEZZNS1_33reduce_by_key_impl_wrapped_configILNS1_25lookback_scan_determinismE0ES3_S9_NS6_6detail15normal_iteratorINS6_10device_ptrIyEEEESG_SG_SG_PmS8_22is_equal_div_10_reduceIyEEE10hipError_tPvRmT2_T3_mT4_T5_T6_T7_T8_P12ihipStream_tbENKUlT_T0_E_clISt17integral_constantIbLb0EES10_IbLb1EEEEDaSW_SX_EUlSW_E_NS1_11comp_targetILNS1_3genE8ELNS1_11target_archE1030ELNS1_3gpuE2ELNS1_3repE0EEENS1_30default_config_static_selectorELNS0_4arch9wavefront6targetE0EEEvT1_
	.globl	_ZN7rocprim17ROCPRIM_400000_NS6detail17trampoline_kernelINS0_14default_configENS1_29reduce_by_key_config_selectorIyyN6thrust23THRUST_200600_302600_NS4plusIyEEEEZZNS1_33reduce_by_key_impl_wrapped_configILNS1_25lookback_scan_determinismE0ES3_S9_NS6_6detail15normal_iteratorINS6_10device_ptrIyEEEESG_SG_SG_PmS8_22is_equal_div_10_reduceIyEEE10hipError_tPvRmT2_T3_mT4_T5_T6_T7_T8_P12ihipStream_tbENKUlT_T0_E_clISt17integral_constantIbLb0EES10_IbLb1EEEEDaSW_SX_EUlSW_E_NS1_11comp_targetILNS1_3genE8ELNS1_11target_archE1030ELNS1_3gpuE2ELNS1_3repE0EEENS1_30default_config_static_selectorELNS0_4arch9wavefront6targetE0EEEvT1_
	.p2align	8
	.type	_ZN7rocprim17ROCPRIM_400000_NS6detail17trampoline_kernelINS0_14default_configENS1_29reduce_by_key_config_selectorIyyN6thrust23THRUST_200600_302600_NS4plusIyEEEEZZNS1_33reduce_by_key_impl_wrapped_configILNS1_25lookback_scan_determinismE0ES3_S9_NS6_6detail15normal_iteratorINS6_10device_ptrIyEEEESG_SG_SG_PmS8_22is_equal_div_10_reduceIyEEE10hipError_tPvRmT2_T3_mT4_T5_T6_T7_T8_P12ihipStream_tbENKUlT_T0_E_clISt17integral_constantIbLb0EES10_IbLb1EEEEDaSW_SX_EUlSW_E_NS1_11comp_targetILNS1_3genE8ELNS1_11target_archE1030ELNS1_3gpuE2ELNS1_3repE0EEENS1_30default_config_static_selectorELNS0_4arch9wavefront6targetE0EEEvT1_,@function
_ZN7rocprim17ROCPRIM_400000_NS6detail17trampoline_kernelINS0_14default_configENS1_29reduce_by_key_config_selectorIyyN6thrust23THRUST_200600_302600_NS4plusIyEEEEZZNS1_33reduce_by_key_impl_wrapped_configILNS1_25lookback_scan_determinismE0ES3_S9_NS6_6detail15normal_iteratorINS6_10device_ptrIyEEEESG_SG_SG_PmS8_22is_equal_div_10_reduceIyEEE10hipError_tPvRmT2_T3_mT4_T5_T6_T7_T8_P12ihipStream_tbENKUlT_T0_E_clISt17integral_constantIbLb0EES10_IbLb1EEEEDaSW_SX_EUlSW_E_NS1_11comp_targetILNS1_3genE8ELNS1_11target_archE1030ELNS1_3gpuE2ELNS1_3repE0EEENS1_30default_config_static_selectorELNS0_4arch9wavefront6targetE0EEEvT1_: ; @_ZN7rocprim17ROCPRIM_400000_NS6detail17trampoline_kernelINS0_14default_configENS1_29reduce_by_key_config_selectorIyyN6thrust23THRUST_200600_302600_NS4plusIyEEEEZZNS1_33reduce_by_key_impl_wrapped_configILNS1_25lookback_scan_determinismE0ES3_S9_NS6_6detail15normal_iteratorINS6_10device_ptrIyEEEESG_SG_SG_PmS8_22is_equal_div_10_reduceIyEEE10hipError_tPvRmT2_T3_mT4_T5_T6_T7_T8_P12ihipStream_tbENKUlT_T0_E_clISt17integral_constantIbLb0EES10_IbLb1EEEEDaSW_SX_EUlSW_E_NS1_11comp_targetILNS1_3genE8ELNS1_11target_archE1030ELNS1_3gpuE2ELNS1_3repE0EEENS1_30default_config_static_selectorELNS0_4arch9wavefront6targetE0EEEvT1_
; %bb.0:
	.section	.rodata,"a",@progbits
	.p2align	6, 0x0
	.amdhsa_kernel _ZN7rocprim17ROCPRIM_400000_NS6detail17trampoline_kernelINS0_14default_configENS1_29reduce_by_key_config_selectorIyyN6thrust23THRUST_200600_302600_NS4plusIyEEEEZZNS1_33reduce_by_key_impl_wrapped_configILNS1_25lookback_scan_determinismE0ES3_S9_NS6_6detail15normal_iteratorINS6_10device_ptrIyEEEESG_SG_SG_PmS8_22is_equal_div_10_reduceIyEEE10hipError_tPvRmT2_T3_mT4_T5_T6_T7_T8_P12ihipStream_tbENKUlT_T0_E_clISt17integral_constantIbLb0EES10_IbLb1EEEEDaSW_SX_EUlSW_E_NS1_11comp_targetILNS1_3genE8ELNS1_11target_archE1030ELNS1_3gpuE2ELNS1_3repE0EEENS1_30default_config_static_selectorELNS0_4arch9wavefront6targetE0EEEvT1_
		.amdhsa_group_segment_fixed_size 0
		.amdhsa_private_segment_fixed_size 0
		.amdhsa_kernarg_size 136
		.amdhsa_user_sgpr_count 15
		.amdhsa_user_sgpr_dispatch_ptr 0
		.amdhsa_user_sgpr_queue_ptr 0
		.amdhsa_user_sgpr_kernarg_segment_ptr 1
		.amdhsa_user_sgpr_dispatch_id 0
		.amdhsa_user_sgpr_private_segment_size 0
		.amdhsa_wavefront_size32 1
		.amdhsa_uses_dynamic_stack 0
		.amdhsa_enable_private_segment 0
		.amdhsa_system_sgpr_workgroup_id_x 1
		.amdhsa_system_sgpr_workgroup_id_y 0
		.amdhsa_system_sgpr_workgroup_id_z 0
		.amdhsa_system_sgpr_workgroup_info 0
		.amdhsa_system_vgpr_workitem_id 0
		.amdhsa_next_free_vgpr 1
		.amdhsa_next_free_sgpr 1
		.amdhsa_reserve_vcc 0
		.amdhsa_float_round_mode_32 0
		.amdhsa_float_round_mode_16_64 0
		.amdhsa_float_denorm_mode_32 3
		.amdhsa_float_denorm_mode_16_64 3
		.amdhsa_dx10_clamp 1
		.amdhsa_ieee_mode 1
		.amdhsa_fp16_overflow 0
		.amdhsa_workgroup_processor_mode 1
		.amdhsa_memory_ordered 1
		.amdhsa_forward_progress 0
		.amdhsa_shared_vgpr_count 0
		.amdhsa_exception_fp_ieee_invalid_op 0
		.amdhsa_exception_fp_denorm_src 0
		.amdhsa_exception_fp_ieee_div_zero 0
		.amdhsa_exception_fp_ieee_overflow 0
		.amdhsa_exception_fp_ieee_underflow 0
		.amdhsa_exception_fp_ieee_inexact 0
		.amdhsa_exception_int_div_zero 0
	.end_amdhsa_kernel
	.section	.text._ZN7rocprim17ROCPRIM_400000_NS6detail17trampoline_kernelINS0_14default_configENS1_29reduce_by_key_config_selectorIyyN6thrust23THRUST_200600_302600_NS4plusIyEEEEZZNS1_33reduce_by_key_impl_wrapped_configILNS1_25lookback_scan_determinismE0ES3_S9_NS6_6detail15normal_iteratorINS6_10device_ptrIyEEEESG_SG_SG_PmS8_22is_equal_div_10_reduceIyEEE10hipError_tPvRmT2_T3_mT4_T5_T6_T7_T8_P12ihipStream_tbENKUlT_T0_E_clISt17integral_constantIbLb0EES10_IbLb1EEEEDaSW_SX_EUlSW_E_NS1_11comp_targetILNS1_3genE8ELNS1_11target_archE1030ELNS1_3gpuE2ELNS1_3repE0EEENS1_30default_config_static_selectorELNS0_4arch9wavefront6targetE0EEEvT1_,"axG",@progbits,_ZN7rocprim17ROCPRIM_400000_NS6detail17trampoline_kernelINS0_14default_configENS1_29reduce_by_key_config_selectorIyyN6thrust23THRUST_200600_302600_NS4plusIyEEEEZZNS1_33reduce_by_key_impl_wrapped_configILNS1_25lookback_scan_determinismE0ES3_S9_NS6_6detail15normal_iteratorINS6_10device_ptrIyEEEESG_SG_SG_PmS8_22is_equal_div_10_reduceIyEEE10hipError_tPvRmT2_T3_mT4_T5_T6_T7_T8_P12ihipStream_tbENKUlT_T0_E_clISt17integral_constantIbLb0EES10_IbLb1EEEEDaSW_SX_EUlSW_E_NS1_11comp_targetILNS1_3genE8ELNS1_11target_archE1030ELNS1_3gpuE2ELNS1_3repE0EEENS1_30default_config_static_selectorELNS0_4arch9wavefront6targetE0EEEvT1_,comdat
.Lfunc_end312:
	.size	_ZN7rocprim17ROCPRIM_400000_NS6detail17trampoline_kernelINS0_14default_configENS1_29reduce_by_key_config_selectorIyyN6thrust23THRUST_200600_302600_NS4plusIyEEEEZZNS1_33reduce_by_key_impl_wrapped_configILNS1_25lookback_scan_determinismE0ES3_S9_NS6_6detail15normal_iteratorINS6_10device_ptrIyEEEESG_SG_SG_PmS8_22is_equal_div_10_reduceIyEEE10hipError_tPvRmT2_T3_mT4_T5_T6_T7_T8_P12ihipStream_tbENKUlT_T0_E_clISt17integral_constantIbLb0EES10_IbLb1EEEEDaSW_SX_EUlSW_E_NS1_11comp_targetILNS1_3genE8ELNS1_11target_archE1030ELNS1_3gpuE2ELNS1_3repE0EEENS1_30default_config_static_selectorELNS0_4arch9wavefront6targetE0EEEvT1_, .Lfunc_end312-_ZN7rocprim17ROCPRIM_400000_NS6detail17trampoline_kernelINS0_14default_configENS1_29reduce_by_key_config_selectorIyyN6thrust23THRUST_200600_302600_NS4plusIyEEEEZZNS1_33reduce_by_key_impl_wrapped_configILNS1_25lookback_scan_determinismE0ES3_S9_NS6_6detail15normal_iteratorINS6_10device_ptrIyEEEESG_SG_SG_PmS8_22is_equal_div_10_reduceIyEEE10hipError_tPvRmT2_T3_mT4_T5_T6_T7_T8_P12ihipStream_tbENKUlT_T0_E_clISt17integral_constantIbLb0EES10_IbLb1EEEEDaSW_SX_EUlSW_E_NS1_11comp_targetILNS1_3genE8ELNS1_11target_archE1030ELNS1_3gpuE2ELNS1_3repE0EEENS1_30default_config_static_selectorELNS0_4arch9wavefront6targetE0EEEvT1_
                                        ; -- End function
	.section	.AMDGPU.csdata,"",@progbits
; Kernel info:
; codeLenInByte = 0
; NumSgprs: 0
; NumVgprs: 0
; ScratchSize: 0
; MemoryBound: 0
; FloatMode: 240
; IeeeMode: 1
; LDSByteSize: 0 bytes/workgroup (compile time only)
; SGPRBlocks: 0
; VGPRBlocks: 0
; NumSGPRsForWavesPerEU: 1
; NumVGPRsForWavesPerEU: 1
; Occupancy: 16
; WaveLimiterHint : 0
; COMPUTE_PGM_RSRC2:SCRATCH_EN: 0
; COMPUTE_PGM_RSRC2:USER_SGPR: 15
; COMPUTE_PGM_RSRC2:TRAP_HANDLER: 0
; COMPUTE_PGM_RSRC2:TGID_X_EN: 1
; COMPUTE_PGM_RSRC2:TGID_Y_EN: 0
; COMPUTE_PGM_RSRC2:TGID_Z_EN: 0
; COMPUTE_PGM_RSRC2:TIDIG_COMP_CNT: 0
	.section	.text._ZN6thrust23THRUST_200600_302600_NS11hip_rocprim14__parallel_for6kernelILj256ENS1_20__uninitialized_fill7functorINS0_10device_ptrIjEEjEEmLj1EEEvT0_T1_SA_,"axG",@progbits,_ZN6thrust23THRUST_200600_302600_NS11hip_rocprim14__parallel_for6kernelILj256ENS1_20__uninitialized_fill7functorINS0_10device_ptrIjEEjEEmLj1EEEvT0_T1_SA_,comdat
	.protected	_ZN6thrust23THRUST_200600_302600_NS11hip_rocprim14__parallel_for6kernelILj256ENS1_20__uninitialized_fill7functorINS0_10device_ptrIjEEjEEmLj1EEEvT0_T1_SA_ ; -- Begin function _ZN6thrust23THRUST_200600_302600_NS11hip_rocprim14__parallel_for6kernelILj256ENS1_20__uninitialized_fill7functorINS0_10device_ptrIjEEjEEmLj1EEEvT0_T1_SA_
	.globl	_ZN6thrust23THRUST_200600_302600_NS11hip_rocprim14__parallel_for6kernelILj256ENS1_20__uninitialized_fill7functorINS0_10device_ptrIjEEjEEmLj1EEEvT0_T1_SA_
	.p2align	8
	.type	_ZN6thrust23THRUST_200600_302600_NS11hip_rocprim14__parallel_for6kernelILj256ENS1_20__uninitialized_fill7functorINS0_10device_ptrIjEEjEEmLj1EEEvT0_T1_SA_,@function
_ZN6thrust23THRUST_200600_302600_NS11hip_rocprim14__parallel_for6kernelILj256ENS1_20__uninitialized_fill7functorINS0_10device_ptrIjEEjEEmLj1EEEvT0_T1_SA_: ; @_ZN6thrust23THRUST_200600_302600_NS11hip_rocprim14__parallel_for6kernelILj256ENS1_20__uninitialized_fill7functorINS0_10device_ptrIjEEjEEmLj1EEEvT0_T1_SA_
; %bb.0:
	s_load_b128 s[4:7], s[0:1], 0x10
	s_lshl_b32 s2, s15, 8
	s_waitcnt lgkmcnt(0)
	s_add_u32 s2, s2, s6
	s_addc_u32 s3, 0, s7
	s_sub_u32 s4, s4, s2
	s_subb_u32 s5, s5, s3
	s_delay_alu instid0(SALU_CYCLE_1) | instskip(NEXT) | instid1(VALU_DEP_1)
	v_cmp_gt_u64_e64 s5, 0x100, s[4:5]
	s_and_b32 vcc_lo, exec_lo, s5
	s_mov_b32 s5, 0
	s_cbranch_vccz .LBB313_2
; %bb.1:
	v_cmp_gt_u32_e32 vcc_lo, s4, v0
	s_and_b32 s5, vcc_lo, exec_lo
	s_cbranch_execz .LBB313_3
	s_branch .LBB313_4
.LBB313_2:
.LBB313_3:
	s_or_b32 s5, s5, exec_lo
.LBB313_4:
	s_delay_alu instid0(SALU_CYCLE_1)
	s_and_saveexec_b32 s4, s5
	s_cbranch_execnz .LBB313_6
; %bb.5:
	s_endpgm
.LBB313_6:
	s_clause 0x1
	s_load_b64 s[4:5], s[0:1], 0x0
	s_load_b32 s6, s[0:1], 0x8
	v_mov_b32_e32 v1, 0
	s_lshl_b64 s[0:1], s[2:3], 2
	s_waitcnt lgkmcnt(0)
	s_add_u32 s0, s4, s0
	v_mov_b32_e32 v2, s6
	v_lshlrev_b64 v[0:1], 2, v[0:1]
	s_addc_u32 s1, s5, s1
	s_delay_alu instid0(VALU_DEP_1) | instskip(NEXT) | instid1(VALU_DEP_2)
	v_add_co_u32 v0, vcc_lo, s0, v0
	v_add_co_ci_u32_e32 v1, vcc_lo, s1, v1, vcc_lo
	flat_store_b32 v[0:1], v2
	s_endpgm
	.section	.rodata,"a",@progbits
	.p2align	6, 0x0
	.amdhsa_kernel _ZN6thrust23THRUST_200600_302600_NS11hip_rocprim14__parallel_for6kernelILj256ENS1_20__uninitialized_fill7functorINS0_10device_ptrIjEEjEEmLj1EEEvT0_T1_SA_
		.amdhsa_group_segment_fixed_size 0
		.amdhsa_private_segment_fixed_size 0
		.amdhsa_kernarg_size 32
		.amdhsa_user_sgpr_count 15
		.amdhsa_user_sgpr_dispatch_ptr 0
		.amdhsa_user_sgpr_queue_ptr 0
		.amdhsa_user_sgpr_kernarg_segment_ptr 1
		.amdhsa_user_sgpr_dispatch_id 0
		.amdhsa_user_sgpr_private_segment_size 0
		.amdhsa_wavefront_size32 1
		.amdhsa_uses_dynamic_stack 0
		.amdhsa_enable_private_segment 0
		.amdhsa_system_sgpr_workgroup_id_x 1
		.amdhsa_system_sgpr_workgroup_id_y 0
		.amdhsa_system_sgpr_workgroup_id_z 0
		.amdhsa_system_sgpr_workgroup_info 0
		.amdhsa_system_vgpr_workitem_id 0
		.amdhsa_next_free_vgpr 3
		.amdhsa_next_free_sgpr 16
		.amdhsa_reserve_vcc 1
		.amdhsa_float_round_mode_32 0
		.amdhsa_float_round_mode_16_64 0
		.amdhsa_float_denorm_mode_32 3
		.amdhsa_float_denorm_mode_16_64 3
		.amdhsa_dx10_clamp 1
		.amdhsa_ieee_mode 1
		.amdhsa_fp16_overflow 0
		.amdhsa_workgroup_processor_mode 1
		.amdhsa_memory_ordered 1
		.amdhsa_forward_progress 0
		.amdhsa_shared_vgpr_count 0
		.amdhsa_exception_fp_ieee_invalid_op 0
		.amdhsa_exception_fp_denorm_src 0
		.amdhsa_exception_fp_ieee_div_zero 0
		.amdhsa_exception_fp_ieee_overflow 0
		.amdhsa_exception_fp_ieee_underflow 0
		.amdhsa_exception_fp_ieee_inexact 0
		.amdhsa_exception_int_div_zero 0
	.end_amdhsa_kernel
	.section	.text._ZN6thrust23THRUST_200600_302600_NS11hip_rocprim14__parallel_for6kernelILj256ENS1_20__uninitialized_fill7functorINS0_10device_ptrIjEEjEEmLj1EEEvT0_T1_SA_,"axG",@progbits,_ZN6thrust23THRUST_200600_302600_NS11hip_rocprim14__parallel_for6kernelILj256ENS1_20__uninitialized_fill7functorINS0_10device_ptrIjEEjEEmLj1EEEvT0_T1_SA_,comdat
.Lfunc_end313:
	.size	_ZN6thrust23THRUST_200600_302600_NS11hip_rocprim14__parallel_for6kernelILj256ENS1_20__uninitialized_fill7functorINS0_10device_ptrIjEEjEEmLj1EEEvT0_T1_SA_, .Lfunc_end313-_ZN6thrust23THRUST_200600_302600_NS11hip_rocprim14__parallel_for6kernelILj256ENS1_20__uninitialized_fill7functorINS0_10device_ptrIjEEjEEmLj1EEEvT0_T1_SA_
                                        ; -- End function
	.section	.AMDGPU.csdata,"",@progbits
; Kernel info:
; codeLenInByte = 176
; NumSgprs: 18
; NumVgprs: 3
; ScratchSize: 0
; MemoryBound: 0
; FloatMode: 240
; IeeeMode: 1
; LDSByteSize: 0 bytes/workgroup (compile time only)
; SGPRBlocks: 2
; VGPRBlocks: 0
; NumSGPRsForWavesPerEU: 18
; NumVGPRsForWavesPerEU: 3
; Occupancy: 16
; WaveLimiterHint : 0
; COMPUTE_PGM_RSRC2:SCRATCH_EN: 0
; COMPUTE_PGM_RSRC2:USER_SGPR: 15
; COMPUTE_PGM_RSRC2:TRAP_HANDLER: 0
; COMPUTE_PGM_RSRC2:TGID_X_EN: 1
; COMPUTE_PGM_RSRC2:TGID_Y_EN: 0
; COMPUTE_PGM_RSRC2:TGID_Z_EN: 0
; COMPUTE_PGM_RSRC2:TIDIG_COMP_CNT: 0
	.section	.text._ZN7rocprim17ROCPRIM_400000_NS6detail25reduce_by_key_init_kernelINS1_19lookback_scan_stateINS0_5tupleIJjjEEELb0ELb1EEEjNS1_16block_id_wrapperIjLb0EEEEEvT_jbjPmPT0_T1_,"axG",@progbits,_ZN7rocprim17ROCPRIM_400000_NS6detail25reduce_by_key_init_kernelINS1_19lookback_scan_stateINS0_5tupleIJjjEEELb0ELb1EEEjNS1_16block_id_wrapperIjLb0EEEEEvT_jbjPmPT0_T1_,comdat
	.protected	_ZN7rocprim17ROCPRIM_400000_NS6detail25reduce_by_key_init_kernelINS1_19lookback_scan_stateINS0_5tupleIJjjEEELb0ELb1EEEjNS1_16block_id_wrapperIjLb0EEEEEvT_jbjPmPT0_T1_ ; -- Begin function _ZN7rocprim17ROCPRIM_400000_NS6detail25reduce_by_key_init_kernelINS1_19lookback_scan_stateINS0_5tupleIJjjEEELb0ELb1EEEjNS1_16block_id_wrapperIjLb0EEEEEvT_jbjPmPT0_T1_
	.globl	_ZN7rocprim17ROCPRIM_400000_NS6detail25reduce_by_key_init_kernelINS1_19lookback_scan_stateINS0_5tupleIJjjEEELb0ELb1EEEjNS1_16block_id_wrapperIjLb0EEEEEvT_jbjPmPT0_T1_
	.p2align	8
	.type	_ZN7rocprim17ROCPRIM_400000_NS6detail25reduce_by_key_init_kernelINS1_19lookback_scan_stateINS0_5tupleIJjjEEELb0ELb1EEEjNS1_16block_id_wrapperIjLb0EEEEEvT_jbjPmPT0_T1_,@function
_ZN7rocprim17ROCPRIM_400000_NS6detail25reduce_by_key_init_kernelINS1_19lookback_scan_stateINS0_5tupleIJjjEEELb0ELb1EEEjNS1_16block_id_wrapperIjLb0EEEEEvT_jbjPmPT0_T1_: ; @_ZN7rocprim17ROCPRIM_400000_NS6detail25reduce_by_key_init_kernelINS1_19lookback_scan_stateINS0_5tupleIJjjEEELb0ELb1EEEjNS1_16block_id_wrapperIjLb0EEEEEvT_jbjPmPT0_T1_
; %bb.0:
	s_clause 0x2
	s_load_b32 s2, s[0:1], 0x3c
	s_load_b256 s[4:11], s[0:1], 0x8
	s_load_b64 s[0:1], s[0:1], 0x0
	s_waitcnt lgkmcnt(0)
	s_and_b32 s2, s2, 0xffff
	s_delay_alu instid0(SALU_CYCLE_1) | instskip(SKIP_1) | instid1(SALU_CYCLE_1)
	v_mad_u64_u32 v[1:2], null, s15, s2, v[0:1]
	s_and_b32 s2, s5, 1
	s_cmp_eq_u32 s2, 0
	s_mov_b32 s2, -1
	s_cbranch_scc1 .LBB314_7
; %bb.1:
	s_and_not1_b32 vcc_lo, exec_lo, s2
	s_cbranch_vccz .LBB314_14
.LBB314_2:
	s_mov_b32 s2, exec_lo
	v_cmpx_gt_u32_e64 s4, v1
	s_cbranch_execz .LBB314_4
.LBB314_3:
	v_dual_mov_b32 v3, 0 :: v_dual_add_nc_u32 v2, 32, v1
	s_delay_alu instid0(VALU_DEP_1) | instskip(SKIP_2) | instid1(VALU_DEP_3)
	v_lshlrev_b64 v[5:6], 4, v[2:3]
	v_mov_b32_e32 v2, v3
	v_mov_b32_e32 v4, v3
	v_add_co_u32 v7, vcc_lo, s0, v5
	s_delay_alu instid0(VALU_DEP_4)
	v_add_co_ci_u32_e32 v8, vcc_lo, s1, v6, vcc_lo
	v_mov_b32_e32 v5, v3
	global_store_b128 v[7:8], v[2:5], off
.LBB314_4:
	s_or_b32 exec_lo, exec_lo, s2
	s_delay_alu instid0(SALU_CYCLE_1)
	s_mov_b32 s2, exec_lo
	v_cmpx_gt_u32_e32 32, v1
	s_cbranch_execz .LBB314_6
; %bb.5:
	v_dual_mov_b32 v2, 0 :: v_dual_mov_b32 v3, 0xff
	s_delay_alu instid0(VALU_DEP_1) | instskip(SKIP_1) | instid1(VALU_DEP_2)
	v_lshlrev_b64 v[4:5], 4, v[1:2]
	v_mov_b32_e32 v1, v2
	v_add_co_u32 v6, vcc_lo, s0, v4
	s_delay_alu instid0(VALU_DEP_3)
	v_add_co_ci_u32_e32 v7, vcc_lo, s1, v5, vcc_lo
	v_mov_b32_e32 v4, v2
	global_store_b128 v[6:7], v[1:4], off
.LBB314_6:
	s_nop 0
	s_sendmsg sendmsg(MSG_DEALLOC_VGPRS)
	s_endpgm
.LBB314_7:
	s_cmp_lt_u32 s6, s4
	s_mov_b32 s5, exec_lo
	s_cselect_b32 s2, s6, 0
	s_delay_alu instid0(SALU_CYCLE_1)
	v_cmpx_eq_u32_e64 s2, v1
	s_cbranch_execz .LBB314_13
; %bb.8:
	s_add_i32 s2, s6, 32
	s_mov_b32 s3, 0
	v_mov_b32_e32 v6, 0
	s_lshl_b64 s[6:7], s[2:3], 4
	s_mov_b32 s2, exec_lo
	s_add_u32 s6, s0, s6
	s_addc_u32 s7, s1, s7
	s_delay_alu instid0(SALU_CYCLE_1) | instskip(SKIP_2) | instid1(VALU_DEP_1)
	v_dual_mov_b32 v2, s6 :: v_dual_mov_b32 v3, s7
	;;#ASMSTART
	global_load_dwordx4 v[2:5], v[2:3] off glc	
s_waitcnt vmcnt(0)
	;;#ASMEND
	v_and_b32_e32 v5, 0xff, v4
	v_cmpx_eq_u64_e32 0, v[5:6]
	s_cbranch_execz .LBB314_12
; %bb.9:
	v_dual_mov_b32 v8, s7 :: v_dual_mov_b32 v7, s6
.LBB314_10:                             ; =>This Inner Loop Header: Depth=1
	;;#ASMSTART
	global_load_dwordx4 v[2:5], v[7:8] off glc	
s_waitcnt vmcnt(0)
	;;#ASMEND
	v_and_b32_e32 v5, 0xff, v4
	s_delay_alu instid0(VALU_DEP_1) | instskip(SKIP_1) | instid1(SALU_CYCLE_1)
	v_cmp_ne_u64_e32 vcc_lo, 0, v[5:6]
	s_or_b32 s3, vcc_lo, s3
	s_and_not1_b32 exec_lo, exec_lo, s3
	s_cbranch_execnz .LBB314_10
; %bb.11:
	s_or_b32 exec_lo, exec_lo, s3
.LBB314_12:
	s_delay_alu instid0(SALU_CYCLE_1)
	s_or_b32 exec_lo, exec_lo, s2
	v_mov_b32_e32 v0, 0
	global_load_b64 v[4:5], v0, s[8:9]
	s_waitcnt vmcnt(0)
	v_add_co_u32 v4, vcc_lo, v4, v2
	v_add_co_ci_u32_e32 v5, vcc_lo, 0, v5, vcc_lo
	s_clause 0x1
	global_store_b64 v0, v[4:5], s[8:9]
	global_store_b32 v0, v3, s[10:11]
.LBB314_13:
	s_or_b32 exec_lo, exec_lo, s5
	s_cbranch_execnz .LBB314_2
.LBB314_14:
	s_delay_alu instid0(VALU_DEP_1) | instskip(SKIP_2) | instid1(SALU_CYCLE_1)
	v_cmp_eq_u32_e32 vcc_lo, 0, v1
	s_cmp_lg_u64 s[8:9], 0
	s_cselect_b32 s2, -1, 0
	s_and_b32 s3, s2, vcc_lo
	s_delay_alu instid0(SALU_CYCLE_1)
	s_and_saveexec_b32 s2, s3
	s_cbranch_execz .LBB314_16
; %bb.15:
	v_mov_b32_e32 v2, 0
	s_delay_alu instid0(VALU_DEP_1)
	v_mov_b32_e32 v3, v2
	global_store_b64 v2, v[2:3], s[8:9]
.LBB314_16:
	s_or_b32 exec_lo, exec_lo, s2
	s_delay_alu instid0(SALU_CYCLE_1)
	s_mov_b32 s2, exec_lo
	v_cmpx_gt_u32_e64 s4, v1
	s_cbranch_execnz .LBB314_3
	s_branch .LBB314_4
	.section	.rodata,"a",@progbits
	.p2align	6, 0x0
	.amdhsa_kernel _ZN7rocprim17ROCPRIM_400000_NS6detail25reduce_by_key_init_kernelINS1_19lookback_scan_stateINS0_5tupleIJjjEEELb0ELb1EEEjNS1_16block_id_wrapperIjLb0EEEEEvT_jbjPmPT0_T1_
		.amdhsa_group_segment_fixed_size 0
		.amdhsa_private_segment_fixed_size 0
		.amdhsa_kernarg_size 304
		.amdhsa_user_sgpr_count 15
		.amdhsa_user_sgpr_dispatch_ptr 0
		.amdhsa_user_sgpr_queue_ptr 0
		.amdhsa_user_sgpr_kernarg_segment_ptr 1
		.amdhsa_user_sgpr_dispatch_id 0
		.amdhsa_user_sgpr_private_segment_size 0
		.amdhsa_wavefront_size32 1
		.amdhsa_uses_dynamic_stack 0
		.amdhsa_enable_private_segment 0
		.amdhsa_system_sgpr_workgroup_id_x 1
		.amdhsa_system_sgpr_workgroup_id_y 0
		.amdhsa_system_sgpr_workgroup_id_z 0
		.amdhsa_system_sgpr_workgroup_info 0
		.amdhsa_system_vgpr_workitem_id 0
		.amdhsa_next_free_vgpr 9
		.amdhsa_next_free_sgpr 16
		.amdhsa_reserve_vcc 1
		.amdhsa_float_round_mode_32 0
		.amdhsa_float_round_mode_16_64 0
		.amdhsa_float_denorm_mode_32 3
		.amdhsa_float_denorm_mode_16_64 3
		.amdhsa_dx10_clamp 1
		.amdhsa_ieee_mode 1
		.amdhsa_fp16_overflow 0
		.amdhsa_workgroup_processor_mode 1
		.amdhsa_memory_ordered 1
		.amdhsa_forward_progress 0
		.amdhsa_shared_vgpr_count 0
		.amdhsa_exception_fp_ieee_invalid_op 0
		.amdhsa_exception_fp_denorm_src 0
		.amdhsa_exception_fp_ieee_div_zero 0
		.amdhsa_exception_fp_ieee_overflow 0
		.amdhsa_exception_fp_ieee_underflow 0
		.amdhsa_exception_fp_ieee_inexact 0
		.amdhsa_exception_int_div_zero 0
	.end_amdhsa_kernel
	.section	.text._ZN7rocprim17ROCPRIM_400000_NS6detail25reduce_by_key_init_kernelINS1_19lookback_scan_stateINS0_5tupleIJjjEEELb0ELb1EEEjNS1_16block_id_wrapperIjLb0EEEEEvT_jbjPmPT0_T1_,"axG",@progbits,_ZN7rocprim17ROCPRIM_400000_NS6detail25reduce_by_key_init_kernelINS1_19lookback_scan_stateINS0_5tupleIJjjEEELb0ELb1EEEjNS1_16block_id_wrapperIjLb0EEEEEvT_jbjPmPT0_T1_,comdat
.Lfunc_end314:
	.size	_ZN7rocprim17ROCPRIM_400000_NS6detail25reduce_by_key_init_kernelINS1_19lookback_scan_stateINS0_5tupleIJjjEEELb0ELb1EEEjNS1_16block_id_wrapperIjLb0EEEEEvT_jbjPmPT0_T1_, .Lfunc_end314-_ZN7rocprim17ROCPRIM_400000_NS6detail25reduce_by_key_init_kernelINS1_19lookback_scan_stateINS0_5tupleIJjjEEELb0ELb1EEEjNS1_16block_id_wrapperIjLb0EEEEEvT_jbjPmPT0_T1_
                                        ; -- End function
	.section	.AMDGPU.csdata,"",@progbits
; Kernel info:
; codeLenInByte = 584
; NumSgprs: 18
; NumVgprs: 9
; ScratchSize: 0
; MemoryBound: 0
; FloatMode: 240
; IeeeMode: 1
; LDSByteSize: 0 bytes/workgroup (compile time only)
; SGPRBlocks: 2
; VGPRBlocks: 1
; NumSGPRsForWavesPerEU: 18
; NumVGPRsForWavesPerEU: 9
; Occupancy: 16
; WaveLimiterHint : 0
; COMPUTE_PGM_RSRC2:SCRATCH_EN: 0
; COMPUTE_PGM_RSRC2:USER_SGPR: 15
; COMPUTE_PGM_RSRC2:TRAP_HANDLER: 0
; COMPUTE_PGM_RSRC2:TGID_X_EN: 1
; COMPUTE_PGM_RSRC2:TGID_Y_EN: 0
; COMPUTE_PGM_RSRC2:TGID_Z_EN: 0
; COMPUTE_PGM_RSRC2:TIDIG_COMP_CNT: 0
	.section	.text._ZN7rocprim17ROCPRIM_400000_NS6detail17trampoline_kernelINS0_14default_configENS1_29reduce_by_key_config_selectorIjjN6thrust23THRUST_200600_302600_NS4plusIjEEEEZZNS1_33reduce_by_key_impl_wrapped_configILNS1_25lookback_scan_determinismE0ES3_S9_NS6_6detail15normal_iteratorINS6_10device_ptrIjEEEESG_SG_SG_PmS8_NS6_8equal_toIjEEEE10hipError_tPvRmT2_T3_mT4_T5_T6_T7_T8_P12ihipStream_tbENKUlT_T0_E_clISt17integral_constantIbLb0EES11_EEDaSW_SX_EUlSW_E_NS1_11comp_targetILNS1_3genE0ELNS1_11target_archE4294967295ELNS1_3gpuE0ELNS1_3repE0EEENS1_30default_config_static_selectorELNS0_4arch9wavefront6targetE0EEEvT1_,"axG",@progbits,_ZN7rocprim17ROCPRIM_400000_NS6detail17trampoline_kernelINS0_14default_configENS1_29reduce_by_key_config_selectorIjjN6thrust23THRUST_200600_302600_NS4plusIjEEEEZZNS1_33reduce_by_key_impl_wrapped_configILNS1_25lookback_scan_determinismE0ES3_S9_NS6_6detail15normal_iteratorINS6_10device_ptrIjEEEESG_SG_SG_PmS8_NS6_8equal_toIjEEEE10hipError_tPvRmT2_T3_mT4_T5_T6_T7_T8_P12ihipStream_tbENKUlT_T0_E_clISt17integral_constantIbLb0EES11_EEDaSW_SX_EUlSW_E_NS1_11comp_targetILNS1_3genE0ELNS1_11target_archE4294967295ELNS1_3gpuE0ELNS1_3repE0EEENS1_30default_config_static_selectorELNS0_4arch9wavefront6targetE0EEEvT1_,comdat
	.protected	_ZN7rocprim17ROCPRIM_400000_NS6detail17trampoline_kernelINS0_14default_configENS1_29reduce_by_key_config_selectorIjjN6thrust23THRUST_200600_302600_NS4plusIjEEEEZZNS1_33reduce_by_key_impl_wrapped_configILNS1_25lookback_scan_determinismE0ES3_S9_NS6_6detail15normal_iteratorINS6_10device_ptrIjEEEESG_SG_SG_PmS8_NS6_8equal_toIjEEEE10hipError_tPvRmT2_T3_mT4_T5_T6_T7_T8_P12ihipStream_tbENKUlT_T0_E_clISt17integral_constantIbLb0EES11_EEDaSW_SX_EUlSW_E_NS1_11comp_targetILNS1_3genE0ELNS1_11target_archE4294967295ELNS1_3gpuE0ELNS1_3repE0EEENS1_30default_config_static_selectorELNS0_4arch9wavefront6targetE0EEEvT1_ ; -- Begin function _ZN7rocprim17ROCPRIM_400000_NS6detail17trampoline_kernelINS0_14default_configENS1_29reduce_by_key_config_selectorIjjN6thrust23THRUST_200600_302600_NS4plusIjEEEEZZNS1_33reduce_by_key_impl_wrapped_configILNS1_25lookback_scan_determinismE0ES3_S9_NS6_6detail15normal_iteratorINS6_10device_ptrIjEEEESG_SG_SG_PmS8_NS6_8equal_toIjEEEE10hipError_tPvRmT2_T3_mT4_T5_T6_T7_T8_P12ihipStream_tbENKUlT_T0_E_clISt17integral_constantIbLb0EES11_EEDaSW_SX_EUlSW_E_NS1_11comp_targetILNS1_3genE0ELNS1_11target_archE4294967295ELNS1_3gpuE0ELNS1_3repE0EEENS1_30default_config_static_selectorELNS0_4arch9wavefront6targetE0EEEvT1_
	.globl	_ZN7rocprim17ROCPRIM_400000_NS6detail17trampoline_kernelINS0_14default_configENS1_29reduce_by_key_config_selectorIjjN6thrust23THRUST_200600_302600_NS4plusIjEEEEZZNS1_33reduce_by_key_impl_wrapped_configILNS1_25lookback_scan_determinismE0ES3_S9_NS6_6detail15normal_iteratorINS6_10device_ptrIjEEEESG_SG_SG_PmS8_NS6_8equal_toIjEEEE10hipError_tPvRmT2_T3_mT4_T5_T6_T7_T8_P12ihipStream_tbENKUlT_T0_E_clISt17integral_constantIbLb0EES11_EEDaSW_SX_EUlSW_E_NS1_11comp_targetILNS1_3genE0ELNS1_11target_archE4294967295ELNS1_3gpuE0ELNS1_3repE0EEENS1_30default_config_static_selectorELNS0_4arch9wavefront6targetE0EEEvT1_
	.p2align	8
	.type	_ZN7rocprim17ROCPRIM_400000_NS6detail17trampoline_kernelINS0_14default_configENS1_29reduce_by_key_config_selectorIjjN6thrust23THRUST_200600_302600_NS4plusIjEEEEZZNS1_33reduce_by_key_impl_wrapped_configILNS1_25lookback_scan_determinismE0ES3_S9_NS6_6detail15normal_iteratorINS6_10device_ptrIjEEEESG_SG_SG_PmS8_NS6_8equal_toIjEEEE10hipError_tPvRmT2_T3_mT4_T5_T6_T7_T8_P12ihipStream_tbENKUlT_T0_E_clISt17integral_constantIbLb0EES11_EEDaSW_SX_EUlSW_E_NS1_11comp_targetILNS1_3genE0ELNS1_11target_archE4294967295ELNS1_3gpuE0ELNS1_3repE0EEENS1_30default_config_static_selectorELNS0_4arch9wavefront6targetE0EEEvT1_,@function
_ZN7rocprim17ROCPRIM_400000_NS6detail17trampoline_kernelINS0_14default_configENS1_29reduce_by_key_config_selectorIjjN6thrust23THRUST_200600_302600_NS4plusIjEEEEZZNS1_33reduce_by_key_impl_wrapped_configILNS1_25lookback_scan_determinismE0ES3_S9_NS6_6detail15normal_iteratorINS6_10device_ptrIjEEEESG_SG_SG_PmS8_NS6_8equal_toIjEEEE10hipError_tPvRmT2_T3_mT4_T5_T6_T7_T8_P12ihipStream_tbENKUlT_T0_E_clISt17integral_constantIbLb0EES11_EEDaSW_SX_EUlSW_E_NS1_11comp_targetILNS1_3genE0ELNS1_11target_archE4294967295ELNS1_3gpuE0ELNS1_3repE0EEENS1_30default_config_static_selectorELNS0_4arch9wavefront6targetE0EEEvT1_: ; @_ZN7rocprim17ROCPRIM_400000_NS6detail17trampoline_kernelINS0_14default_configENS1_29reduce_by_key_config_selectorIjjN6thrust23THRUST_200600_302600_NS4plusIjEEEEZZNS1_33reduce_by_key_impl_wrapped_configILNS1_25lookback_scan_determinismE0ES3_S9_NS6_6detail15normal_iteratorINS6_10device_ptrIjEEEESG_SG_SG_PmS8_NS6_8equal_toIjEEEE10hipError_tPvRmT2_T3_mT4_T5_T6_T7_T8_P12ihipStream_tbENKUlT_T0_E_clISt17integral_constantIbLb0EES11_EEDaSW_SX_EUlSW_E_NS1_11comp_targetILNS1_3genE0ELNS1_11target_archE4294967295ELNS1_3gpuE0ELNS1_3repE0EEENS1_30default_config_static_selectorELNS0_4arch9wavefront6targetE0EEEvT1_
; %bb.0:
	.section	.rodata,"a",@progbits
	.p2align	6, 0x0
	.amdhsa_kernel _ZN7rocprim17ROCPRIM_400000_NS6detail17trampoline_kernelINS0_14default_configENS1_29reduce_by_key_config_selectorIjjN6thrust23THRUST_200600_302600_NS4plusIjEEEEZZNS1_33reduce_by_key_impl_wrapped_configILNS1_25lookback_scan_determinismE0ES3_S9_NS6_6detail15normal_iteratorINS6_10device_ptrIjEEEESG_SG_SG_PmS8_NS6_8equal_toIjEEEE10hipError_tPvRmT2_T3_mT4_T5_T6_T7_T8_P12ihipStream_tbENKUlT_T0_E_clISt17integral_constantIbLb0EES11_EEDaSW_SX_EUlSW_E_NS1_11comp_targetILNS1_3genE0ELNS1_11target_archE4294967295ELNS1_3gpuE0ELNS1_3repE0EEENS1_30default_config_static_selectorELNS0_4arch9wavefront6targetE0EEEvT1_
		.amdhsa_group_segment_fixed_size 0
		.amdhsa_private_segment_fixed_size 0
		.amdhsa_kernarg_size 120
		.amdhsa_user_sgpr_count 15
		.amdhsa_user_sgpr_dispatch_ptr 0
		.amdhsa_user_sgpr_queue_ptr 0
		.amdhsa_user_sgpr_kernarg_segment_ptr 1
		.amdhsa_user_sgpr_dispatch_id 0
		.amdhsa_user_sgpr_private_segment_size 0
		.amdhsa_wavefront_size32 1
		.amdhsa_uses_dynamic_stack 0
		.amdhsa_enable_private_segment 0
		.amdhsa_system_sgpr_workgroup_id_x 1
		.amdhsa_system_sgpr_workgroup_id_y 0
		.amdhsa_system_sgpr_workgroup_id_z 0
		.amdhsa_system_sgpr_workgroup_info 0
		.amdhsa_system_vgpr_workitem_id 0
		.amdhsa_next_free_vgpr 1
		.amdhsa_next_free_sgpr 1
		.amdhsa_reserve_vcc 0
		.amdhsa_float_round_mode_32 0
		.amdhsa_float_round_mode_16_64 0
		.amdhsa_float_denorm_mode_32 3
		.amdhsa_float_denorm_mode_16_64 3
		.amdhsa_dx10_clamp 1
		.amdhsa_ieee_mode 1
		.amdhsa_fp16_overflow 0
		.amdhsa_workgroup_processor_mode 1
		.amdhsa_memory_ordered 1
		.amdhsa_forward_progress 0
		.amdhsa_shared_vgpr_count 0
		.amdhsa_exception_fp_ieee_invalid_op 0
		.amdhsa_exception_fp_denorm_src 0
		.amdhsa_exception_fp_ieee_div_zero 0
		.amdhsa_exception_fp_ieee_overflow 0
		.amdhsa_exception_fp_ieee_underflow 0
		.amdhsa_exception_fp_ieee_inexact 0
		.amdhsa_exception_int_div_zero 0
	.end_amdhsa_kernel
	.section	.text._ZN7rocprim17ROCPRIM_400000_NS6detail17trampoline_kernelINS0_14default_configENS1_29reduce_by_key_config_selectorIjjN6thrust23THRUST_200600_302600_NS4plusIjEEEEZZNS1_33reduce_by_key_impl_wrapped_configILNS1_25lookback_scan_determinismE0ES3_S9_NS6_6detail15normal_iteratorINS6_10device_ptrIjEEEESG_SG_SG_PmS8_NS6_8equal_toIjEEEE10hipError_tPvRmT2_T3_mT4_T5_T6_T7_T8_P12ihipStream_tbENKUlT_T0_E_clISt17integral_constantIbLb0EES11_EEDaSW_SX_EUlSW_E_NS1_11comp_targetILNS1_3genE0ELNS1_11target_archE4294967295ELNS1_3gpuE0ELNS1_3repE0EEENS1_30default_config_static_selectorELNS0_4arch9wavefront6targetE0EEEvT1_,"axG",@progbits,_ZN7rocprim17ROCPRIM_400000_NS6detail17trampoline_kernelINS0_14default_configENS1_29reduce_by_key_config_selectorIjjN6thrust23THRUST_200600_302600_NS4plusIjEEEEZZNS1_33reduce_by_key_impl_wrapped_configILNS1_25lookback_scan_determinismE0ES3_S9_NS6_6detail15normal_iteratorINS6_10device_ptrIjEEEESG_SG_SG_PmS8_NS6_8equal_toIjEEEE10hipError_tPvRmT2_T3_mT4_T5_T6_T7_T8_P12ihipStream_tbENKUlT_T0_E_clISt17integral_constantIbLb0EES11_EEDaSW_SX_EUlSW_E_NS1_11comp_targetILNS1_3genE0ELNS1_11target_archE4294967295ELNS1_3gpuE0ELNS1_3repE0EEENS1_30default_config_static_selectorELNS0_4arch9wavefront6targetE0EEEvT1_,comdat
.Lfunc_end315:
	.size	_ZN7rocprim17ROCPRIM_400000_NS6detail17trampoline_kernelINS0_14default_configENS1_29reduce_by_key_config_selectorIjjN6thrust23THRUST_200600_302600_NS4plusIjEEEEZZNS1_33reduce_by_key_impl_wrapped_configILNS1_25lookback_scan_determinismE0ES3_S9_NS6_6detail15normal_iteratorINS6_10device_ptrIjEEEESG_SG_SG_PmS8_NS6_8equal_toIjEEEE10hipError_tPvRmT2_T3_mT4_T5_T6_T7_T8_P12ihipStream_tbENKUlT_T0_E_clISt17integral_constantIbLb0EES11_EEDaSW_SX_EUlSW_E_NS1_11comp_targetILNS1_3genE0ELNS1_11target_archE4294967295ELNS1_3gpuE0ELNS1_3repE0EEENS1_30default_config_static_selectorELNS0_4arch9wavefront6targetE0EEEvT1_, .Lfunc_end315-_ZN7rocprim17ROCPRIM_400000_NS6detail17trampoline_kernelINS0_14default_configENS1_29reduce_by_key_config_selectorIjjN6thrust23THRUST_200600_302600_NS4plusIjEEEEZZNS1_33reduce_by_key_impl_wrapped_configILNS1_25lookback_scan_determinismE0ES3_S9_NS6_6detail15normal_iteratorINS6_10device_ptrIjEEEESG_SG_SG_PmS8_NS6_8equal_toIjEEEE10hipError_tPvRmT2_T3_mT4_T5_T6_T7_T8_P12ihipStream_tbENKUlT_T0_E_clISt17integral_constantIbLb0EES11_EEDaSW_SX_EUlSW_E_NS1_11comp_targetILNS1_3genE0ELNS1_11target_archE4294967295ELNS1_3gpuE0ELNS1_3repE0EEENS1_30default_config_static_selectorELNS0_4arch9wavefront6targetE0EEEvT1_
                                        ; -- End function
	.section	.AMDGPU.csdata,"",@progbits
; Kernel info:
; codeLenInByte = 0
; NumSgprs: 0
; NumVgprs: 0
; ScratchSize: 0
; MemoryBound: 0
; FloatMode: 240
; IeeeMode: 1
; LDSByteSize: 0 bytes/workgroup (compile time only)
; SGPRBlocks: 0
; VGPRBlocks: 0
; NumSGPRsForWavesPerEU: 1
; NumVGPRsForWavesPerEU: 1
; Occupancy: 16
; WaveLimiterHint : 0
; COMPUTE_PGM_RSRC2:SCRATCH_EN: 0
; COMPUTE_PGM_RSRC2:USER_SGPR: 15
; COMPUTE_PGM_RSRC2:TRAP_HANDLER: 0
; COMPUTE_PGM_RSRC2:TGID_X_EN: 1
; COMPUTE_PGM_RSRC2:TGID_Y_EN: 0
; COMPUTE_PGM_RSRC2:TGID_Z_EN: 0
; COMPUTE_PGM_RSRC2:TIDIG_COMP_CNT: 0
	.section	.text._ZN7rocprim17ROCPRIM_400000_NS6detail17trampoline_kernelINS0_14default_configENS1_29reduce_by_key_config_selectorIjjN6thrust23THRUST_200600_302600_NS4plusIjEEEEZZNS1_33reduce_by_key_impl_wrapped_configILNS1_25lookback_scan_determinismE0ES3_S9_NS6_6detail15normal_iteratorINS6_10device_ptrIjEEEESG_SG_SG_PmS8_NS6_8equal_toIjEEEE10hipError_tPvRmT2_T3_mT4_T5_T6_T7_T8_P12ihipStream_tbENKUlT_T0_E_clISt17integral_constantIbLb0EES11_EEDaSW_SX_EUlSW_E_NS1_11comp_targetILNS1_3genE5ELNS1_11target_archE942ELNS1_3gpuE9ELNS1_3repE0EEENS1_30default_config_static_selectorELNS0_4arch9wavefront6targetE0EEEvT1_,"axG",@progbits,_ZN7rocprim17ROCPRIM_400000_NS6detail17trampoline_kernelINS0_14default_configENS1_29reduce_by_key_config_selectorIjjN6thrust23THRUST_200600_302600_NS4plusIjEEEEZZNS1_33reduce_by_key_impl_wrapped_configILNS1_25lookback_scan_determinismE0ES3_S9_NS6_6detail15normal_iteratorINS6_10device_ptrIjEEEESG_SG_SG_PmS8_NS6_8equal_toIjEEEE10hipError_tPvRmT2_T3_mT4_T5_T6_T7_T8_P12ihipStream_tbENKUlT_T0_E_clISt17integral_constantIbLb0EES11_EEDaSW_SX_EUlSW_E_NS1_11comp_targetILNS1_3genE5ELNS1_11target_archE942ELNS1_3gpuE9ELNS1_3repE0EEENS1_30default_config_static_selectorELNS0_4arch9wavefront6targetE0EEEvT1_,comdat
	.protected	_ZN7rocprim17ROCPRIM_400000_NS6detail17trampoline_kernelINS0_14default_configENS1_29reduce_by_key_config_selectorIjjN6thrust23THRUST_200600_302600_NS4plusIjEEEEZZNS1_33reduce_by_key_impl_wrapped_configILNS1_25lookback_scan_determinismE0ES3_S9_NS6_6detail15normal_iteratorINS6_10device_ptrIjEEEESG_SG_SG_PmS8_NS6_8equal_toIjEEEE10hipError_tPvRmT2_T3_mT4_T5_T6_T7_T8_P12ihipStream_tbENKUlT_T0_E_clISt17integral_constantIbLb0EES11_EEDaSW_SX_EUlSW_E_NS1_11comp_targetILNS1_3genE5ELNS1_11target_archE942ELNS1_3gpuE9ELNS1_3repE0EEENS1_30default_config_static_selectorELNS0_4arch9wavefront6targetE0EEEvT1_ ; -- Begin function _ZN7rocprim17ROCPRIM_400000_NS6detail17trampoline_kernelINS0_14default_configENS1_29reduce_by_key_config_selectorIjjN6thrust23THRUST_200600_302600_NS4plusIjEEEEZZNS1_33reduce_by_key_impl_wrapped_configILNS1_25lookback_scan_determinismE0ES3_S9_NS6_6detail15normal_iteratorINS6_10device_ptrIjEEEESG_SG_SG_PmS8_NS6_8equal_toIjEEEE10hipError_tPvRmT2_T3_mT4_T5_T6_T7_T8_P12ihipStream_tbENKUlT_T0_E_clISt17integral_constantIbLb0EES11_EEDaSW_SX_EUlSW_E_NS1_11comp_targetILNS1_3genE5ELNS1_11target_archE942ELNS1_3gpuE9ELNS1_3repE0EEENS1_30default_config_static_selectorELNS0_4arch9wavefront6targetE0EEEvT1_
	.globl	_ZN7rocprim17ROCPRIM_400000_NS6detail17trampoline_kernelINS0_14default_configENS1_29reduce_by_key_config_selectorIjjN6thrust23THRUST_200600_302600_NS4plusIjEEEEZZNS1_33reduce_by_key_impl_wrapped_configILNS1_25lookback_scan_determinismE0ES3_S9_NS6_6detail15normal_iteratorINS6_10device_ptrIjEEEESG_SG_SG_PmS8_NS6_8equal_toIjEEEE10hipError_tPvRmT2_T3_mT4_T5_T6_T7_T8_P12ihipStream_tbENKUlT_T0_E_clISt17integral_constantIbLb0EES11_EEDaSW_SX_EUlSW_E_NS1_11comp_targetILNS1_3genE5ELNS1_11target_archE942ELNS1_3gpuE9ELNS1_3repE0EEENS1_30default_config_static_selectorELNS0_4arch9wavefront6targetE0EEEvT1_
	.p2align	8
	.type	_ZN7rocprim17ROCPRIM_400000_NS6detail17trampoline_kernelINS0_14default_configENS1_29reduce_by_key_config_selectorIjjN6thrust23THRUST_200600_302600_NS4plusIjEEEEZZNS1_33reduce_by_key_impl_wrapped_configILNS1_25lookback_scan_determinismE0ES3_S9_NS6_6detail15normal_iteratorINS6_10device_ptrIjEEEESG_SG_SG_PmS8_NS6_8equal_toIjEEEE10hipError_tPvRmT2_T3_mT4_T5_T6_T7_T8_P12ihipStream_tbENKUlT_T0_E_clISt17integral_constantIbLb0EES11_EEDaSW_SX_EUlSW_E_NS1_11comp_targetILNS1_3genE5ELNS1_11target_archE942ELNS1_3gpuE9ELNS1_3repE0EEENS1_30default_config_static_selectorELNS0_4arch9wavefront6targetE0EEEvT1_,@function
_ZN7rocprim17ROCPRIM_400000_NS6detail17trampoline_kernelINS0_14default_configENS1_29reduce_by_key_config_selectorIjjN6thrust23THRUST_200600_302600_NS4plusIjEEEEZZNS1_33reduce_by_key_impl_wrapped_configILNS1_25lookback_scan_determinismE0ES3_S9_NS6_6detail15normal_iteratorINS6_10device_ptrIjEEEESG_SG_SG_PmS8_NS6_8equal_toIjEEEE10hipError_tPvRmT2_T3_mT4_T5_T6_T7_T8_P12ihipStream_tbENKUlT_T0_E_clISt17integral_constantIbLb0EES11_EEDaSW_SX_EUlSW_E_NS1_11comp_targetILNS1_3genE5ELNS1_11target_archE942ELNS1_3gpuE9ELNS1_3repE0EEENS1_30default_config_static_selectorELNS0_4arch9wavefront6targetE0EEEvT1_: ; @_ZN7rocprim17ROCPRIM_400000_NS6detail17trampoline_kernelINS0_14default_configENS1_29reduce_by_key_config_selectorIjjN6thrust23THRUST_200600_302600_NS4plusIjEEEEZZNS1_33reduce_by_key_impl_wrapped_configILNS1_25lookback_scan_determinismE0ES3_S9_NS6_6detail15normal_iteratorINS6_10device_ptrIjEEEESG_SG_SG_PmS8_NS6_8equal_toIjEEEE10hipError_tPvRmT2_T3_mT4_T5_T6_T7_T8_P12ihipStream_tbENKUlT_T0_E_clISt17integral_constantIbLb0EES11_EEDaSW_SX_EUlSW_E_NS1_11comp_targetILNS1_3genE5ELNS1_11target_archE942ELNS1_3gpuE9ELNS1_3repE0EEENS1_30default_config_static_selectorELNS0_4arch9wavefront6targetE0EEEvT1_
; %bb.0:
	.section	.rodata,"a",@progbits
	.p2align	6, 0x0
	.amdhsa_kernel _ZN7rocprim17ROCPRIM_400000_NS6detail17trampoline_kernelINS0_14default_configENS1_29reduce_by_key_config_selectorIjjN6thrust23THRUST_200600_302600_NS4plusIjEEEEZZNS1_33reduce_by_key_impl_wrapped_configILNS1_25lookback_scan_determinismE0ES3_S9_NS6_6detail15normal_iteratorINS6_10device_ptrIjEEEESG_SG_SG_PmS8_NS6_8equal_toIjEEEE10hipError_tPvRmT2_T3_mT4_T5_T6_T7_T8_P12ihipStream_tbENKUlT_T0_E_clISt17integral_constantIbLb0EES11_EEDaSW_SX_EUlSW_E_NS1_11comp_targetILNS1_3genE5ELNS1_11target_archE942ELNS1_3gpuE9ELNS1_3repE0EEENS1_30default_config_static_selectorELNS0_4arch9wavefront6targetE0EEEvT1_
		.amdhsa_group_segment_fixed_size 0
		.amdhsa_private_segment_fixed_size 0
		.amdhsa_kernarg_size 120
		.amdhsa_user_sgpr_count 15
		.amdhsa_user_sgpr_dispatch_ptr 0
		.amdhsa_user_sgpr_queue_ptr 0
		.amdhsa_user_sgpr_kernarg_segment_ptr 1
		.amdhsa_user_sgpr_dispatch_id 0
		.amdhsa_user_sgpr_private_segment_size 0
		.amdhsa_wavefront_size32 1
		.amdhsa_uses_dynamic_stack 0
		.amdhsa_enable_private_segment 0
		.amdhsa_system_sgpr_workgroup_id_x 1
		.amdhsa_system_sgpr_workgroup_id_y 0
		.amdhsa_system_sgpr_workgroup_id_z 0
		.amdhsa_system_sgpr_workgroup_info 0
		.amdhsa_system_vgpr_workitem_id 0
		.amdhsa_next_free_vgpr 1
		.amdhsa_next_free_sgpr 1
		.amdhsa_reserve_vcc 0
		.amdhsa_float_round_mode_32 0
		.amdhsa_float_round_mode_16_64 0
		.amdhsa_float_denorm_mode_32 3
		.amdhsa_float_denorm_mode_16_64 3
		.amdhsa_dx10_clamp 1
		.amdhsa_ieee_mode 1
		.amdhsa_fp16_overflow 0
		.amdhsa_workgroup_processor_mode 1
		.amdhsa_memory_ordered 1
		.amdhsa_forward_progress 0
		.amdhsa_shared_vgpr_count 0
		.amdhsa_exception_fp_ieee_invalid_op 0
		.amdhsa_exception_fp_denorm_src 0
		.amdhsa_exception_fp_ieee_div_zero 0
		.amdhsa_exception_fp_ieee_overflow 0
		.amdhsa_exception_fp_ieee_underflow 0
		.amdhsa_exception_fp_ieee_inexact 0
		.amdhsa_exception_int_div_zero 0
	.end_amdhsa_kernel
	.section	.text._ZN7rocprim17ROCPRIM_400000_NS6detail17trampoline_kernelINS0_14default_configENS1_29reduce_by_key_config_selectorIjjN6thrust23THRUST_200600_302600_NS4plusIjEEEEZZNS1_33reduce_by_key_impl_wrapped_configILNS1_25lookback_scan_determinismE0ES3_S9_NS6_6detail15normal_iteratorINS6_10device_ptrIjEEEESG_SG_SG_PmS8_NS6_8equal_toIjEEEE10hipError_tPvRmT2_T3_mT4_T5_T6_T7_T8_P12ihipStream_tbENKUlT_T0_E_clISt17integral_constantIbLb0EES11_EEDaSW_SX_EUlSW_E_NS1_11comp_targetILNS1_3genE5ELNS1_11target_archE942ELNS1_3gpuE9ELNS1_3repE0EEENS1_30default_config_static_selectorELNS0_4arch9wavefront6targetE0EEEvT1_,"axG",@progbits,_ZN7rocprim17ROCPRIM_400000_NS6detail17trampoline_kernelINS0_14default_configENS1_29reduce_by_key_config_selectorIjjN6thrust23THRUST_200600_302600_NS4plusIjEEEEZZNS1_33reduce_by_key_impl_wrapped_configILNS1_25lookback_scan_determinismE0ES3_S9_NS6_6detail15normal_iteratorINS6_10device_ptrIjEEEESG_SG_SG_PmS8_NS6_8equal_toIjEEEE10hipError_tPvRmT2_T3_mT4_T5_T6_T7_T8_P12ihipStream_tbENKUlT_T0_E_clISt17integral_constantIbLb0EES11_EEDaSW_SX_EUlSW_E_NS1_11comp_targetILNS1_3genE5ELNS1_11target_archE942ELNS1_3gpuE9ELNS1_3repE0EEENS1_30default_config_static_selectorELNS0_4arch9wavefront6targetE0EEEvT1_,comdat
.Lfunc_end316:
	.size	_ZN7rocprim17ROCPRIM_400000_NS6detail17trampoline_kernelINS0_14default_configENS1_29reduce_by_key_config_selectorIjjN6thrust23THRUST_200600_302600_NS4plusIjEEEEZZNS1_33reduce_by_key_impl_wrapped_configILNS1_25lookback_scan_determinismE0ES3_S9_NS6_6detail15normal_iteratorINS6_10device_ptrIjEEEESG_SG_SG_PmS8_NS6_8equal_toIjEEEE10hipError_tPvRmT2_T3_mT4_T5_T6_T7_T8_P12ihipStream_tbENKUlT_T0_E_clISt17integral_constantIbLb0EES11_EEDaSW_SX_EUlSW_E_NS1_11comp_targetILNS1_3genE5ELNS1_11target_archE942ELNS1_3gpuE9ELNS1_3repE0EEENS1_30default_config_static_selectorELNS0_4arch9wavefront6targetE0EEEvT1_, .Lfunc_end316-_ZN7rocprim17ROCPRIM_400000_NS6detail17trampoline_kernelINS0_14default_configENS1_29reduce_by_key_config_selectorIjjN6thrust23THRUST_200600_302600_NS4plusIjEEEEZZNS1_33reduce_by_key_impl_wrapped_configILNS1_25lookback_scan_determinismE0ES3_S9_NS6_6detail15normal_iteratorINS6_10device_ptrIjEEEESG_SG_SG_PmS8_NS6_8equal_toIjEEEE10hipError_tPvRmT2_T3_mT4_T5_T6_T7_T8_P12ihipStream_tbENKUlT_T0_E_clISt17integral_constantIbLb0EES11_EEDaSW_SX_EUlSW_E_NS1_11comp_targetILNS1_3genE5ELNS1_11target_archE942ELNS1_3gpuE9ELNS1_3repE0EEENS1_30default_config_static_selectorELNS0_4arch9wavefront6targetE0EEEvT1_
                                        ; -- End function
	.section	.AMDGPU.csdata,"",@progbits
; Kernel info:
; codeLenInByte = 0
; NumSgprs: 0
; NumVgprs: 0
; ScratchSize: 0
; MemoryBound: 0
; FloatMode: 240
; IeeeMode: 1
; LDSByteSize: 0 bytes/workgroup (compile time only)
; SGPRBlocks: 0
; VGPRBlocks: 0
; NumSGPRsForWavesPerEU: 1
; NumVGPRsForWavesPerEU: 1
; Occupancy: 16
; WaveLimiterHint : 0
; COMPUTE_PGM_RSRC2:SCRATCH_EN: 0
; COMPUTE_PGM_RSRC2:USER_SGPR: 15
; COMPUTE_PGM_RSRC2:TRAP_HANDLER: 0
; COMPUTE_PGM_RSRC2:TGID_X_EN: 1
; COMPUTE_PGM_RSRC2:TGID_Y_EN: 0
; COMPUTE_PGM_RSRC2:TGID_Z_EN: 0
; COMPUTE_PGM_RSRC2:TIDIG_COMP_CNT: 0
	.section	.text._ZN7rocprim17ROCPRIM_400000_NS6detail17trampoline_kernelINS0_14default_configENS1_29reduce_by_key_config_selectorIjjN6thrust23THRUST_200600_302600_NS4plusIjEEEEZZNS1_33reduce_by_key_impl_wrapped_configILNS1_25lookback_scan_determinismE0ES3_S9_NS6_6detail15normal_iteratorINS6_10device_ptrIjEEEESG_SG_SG_PmS8_NS6_8equal_toIjEEEE10hipError_tPvRmT2_T3_mT4_T5_T6_T7_T8_P12ihipStream_tbENKUlT_T0_E_clISt17integral_constantIbLb0EES11_EEDaSW_SX_EUlSW_E_NS1_11comp_targetILNS1_3genE4ELNS1_11target_archE910ELNS1_3gpuE8ELNS1_3repE0EEENS1_30default_config_static_selectorELNS0_4arch9wavefront6targetE0EEEvT1_,"axG",@progbits,_ZN7rocprim17ROCPRIM_400000_NS6detail17trampoline_kernelINS0_14default_configENS1_29reduce_by_key_config_selectorIjjN6thrust23THRUST_200600_302600_NS4plusIjEEEEZZNS1_33reduce_by_key_impl_wrapped_configILNS1_25lookback_scan_determinismE0ES3_S9_NS6_6detail15normal_iteratorINS6_10device_ptrIjEEEESG_SG_SG_PmS8_NS6_8equal_toIjEEEE10hipError_tPvRmT2_T3_mT4_T5_T6_T7_T8_P12ihipStream_tbENKUlT_T0_E_clISt17integral_constantIbLb0EES11_EEDaSW_SX_EUlSW_E_NS1_11comp_targetILNS1_3genE4ELNS1_11target_archE910ELNS1_3gpuE8ELNS1_3repE0EEENS1_30default_config_static_selectorELNS0_4arch9wavefront6targetE0EEEvT1_,comdat
	.protected	_ZN7rocprim17ROCPRIM_400000_NS6detail17trampoline_kernelINS0_14default_configENS1_29reduce_by_key_config_selectorIjjN6thrust23THRUST_200600_302600_NS4plusIjEEEEZZNS1_33reduce_by_key_impl_wrapped_configILNS1_25lookback_scan_determinismE0ES3_S9_NS6_6detail15normal_iteratorINS6_10device_ptrIjEEEESG_SG_SG_PmS8_NS6_8equal_toIjEEEE10hipError_tPvRmT2_T3_mT4_T5_T6_T7_T8_P12ihipStream_tbENKUlT_T0_E_clISt17integral_constantIbLb0EES11_EEDaSW_SX_EUlSW_E_NS1_11comp_targetILNS1_3genE4ELNS1_11target_archE910ELNS1_3gpuE8ELNS1_3repE0EEENS1_30default_config_static_selectorELNS0_4arch9wavefront6targetE0EEEvT1_ ; -- Begin function _ZN7rocprim17ROCPRIM_400000_NS6detail17trampoline_kernelINS0_14default_configENS1_29reduce_by_key_config_selectorIjjN6thrust23THRUST_200600_302600_NS4plusIjEEEEZZNS1_33reduce_by_key_impl_wrapped_configILNS1_25lookback_scan_determinismE0ES3_S9_NS6_6detail15normal_iteratorINS6_10device_ptrIjEEEESG_SG_SG_PmS8_NS6_8equal_toIjEEEE10hipError_tPvRmT2_T3_mT4_T5_T6_T7_T8_P12ihipStream_tbENKUlT_T0_E_clISt17integral_constantIbLb0EES11_EEDaSW_SX_EUlSW_E_NS1_11comp_targetILNS1_3genE4ELNS1_11target_archE910ELNS1_3gpuE8ELNS1_3repE0EEENS1_30default_config_static_selectorELNS0_4arch9wavefront6targetE0EEEvT1_
	.globl	_ZN7rocprim17ROCPRIM_400000_NS6detail17trampoline_kernelINS0_14default_configENS1_29reduce_by_key_config_selectorIjjN6thrust23THRUST_200600_302600_NS4plusIjEEEEZZNS1_33reduce_by_key_impl_wrapped_configILNS1_25lookback_scan_determinismE0ES3_S9_NS6_6detail15normal_iteratorINS6_10device_ptrIjEEEESG_SG_SG_PmS8_NS6_8equal_toIjEEEE10hipError_tPvRmT2_T3_mT4_T5_T6_T7_T8_P12ihipStream_tbENKUlT_T0_E_clISt17integral_constantIbLb0EES11_EEDaSW_SX_EUlSW_E_NS1_11comp_targetILNS1_3genE4ELNS1_11target_archE910ELNS1_3gpuE8ELNS1_3repE0EEENS1_30default_config_static_selectorELNS0_4arch9wavefront6targetE0EEEvT1_
	.p2align	8
	.type	_ZN7rocprim17ROCPRIM_400000_NS6detail17trampoline_kernelINS0_14default_configENS1_29reduce_by_key_config_selectorIjjN6thrust23THRUST_200600_302600_NS4plusIjEEEEZZNS1_33reduce_by_key_impl_wrapped_configILNS1_25lookback_scan_determinismE0ES3_S9_NS6_6detail15normal_iteratorINS6_10device_ptrIjEEEESG_SG_SG_PmS8_NS6_8equal_toIjEEEE10hipError_tPvRmT2_T3_mT4_T5_T6_T7_T8_P12ihipStream_tbENKUlT_T0_E_clISt17integral_constantIbLb0EES11_EEDaSW_SX_EUlSW_E_NS1_11comp_targetILNS1_3genE4ELNS1_11target_archE910ELNS1_3gpuE8ELNS1_3repE0EEENS1_30default_config_static_selectorELNS0_4arch9wavefront6targetE0EEEvT1_,@function
_ZN7rocprim17ROCPRIM_400000_NS6detail17trampoline_kernelINS0_14default_configENS1_29reduce_by_key_config_selectorIjjN6thrust23THRUST_200600_302600_NS4plusIjEEEEZZNS1_33reduce_by_key_impl_wrapped_configILNS1_25lookback_scan_determinismE0ES3_S9_NS6_6detail15normal_iteratorINS6_10device_ptrIjEEEESG_SG_SG_PmS8_NS6_8equal_toIjEEEE10hipError_tPvRmT2_T3_mT4_T5_T6_T7_T8_P12ihipStream_tbENKUlT_T0_E_clISt17integral_constantIbLb0EES11_EEDaSW_SX_EUlSW_E_NS1_11comp_targetILNS1_3genE4ELNS1_11target_archE910ELNS1_3gpuE8ELNS1_3repE0EEENS1_30default_config_static_selectorELNS0_4arch9wavefront6targetE0EEEvT1_: ; @_ZN7rocprim17ROCPRIM_400000_NS6detail17trampoline_kernelINS0_14default_configENS1_29reduce_by_key_config_selectorIjjN6thrust23THRUST_200600_302600_NS4plusIjEEEEZZNS1_33reduce_by_key_impl_wrapped_configILNS1_25lookback_scan_determinismE0ES3_S9_NS6_6detail15normal_iteratorINS6_10device_ptrIjEEEESG_SG_SG_PmS8_NS6_8equal_toIjEEEE10hipError_tPvRmT2_T3_mT4_T5_T6_T7_T8_P12ihipStream_tbENKUlT_T0_E_clISt17integral_constantIbLb0EES11_EEDaSW_SX_EUlSW_E_NS1_11comp_targetILNS1_3genE4ELNS1_11target_archE910ELNS1_3gpuE8ELNS1_3repE0EEENS1_30default_config_static_selectorELNS0_4arch9wavefront6targetE0EEEvT1_
; %bb.0:
	.section	.rodata,"a",@progbits
	.p2align	6, 0x0
	.amdhsa_kernel _ZN7rocprim17ROCPRIM_400000_NS6detail17trampoline_kernelINS0_14default_configENS1_29reduce_by_key_config_selectorIjjN6thrust23THRUST_200600_302600_NS4plusIjEEEEZZNS1_33reduce_by_key_impl_wrapped_configILNS1_25lookback_scan_determinismE0ES3_S9_NS6_6detail15normal_iteratorINS6_10device_ptrIjEEEESG_SG_SG_PmS8_NS6_8equal_toIjEEEE10hipError_tPvRmT2_T3_mT4_T5_T6_T7_T8_P12ihipStream_tbENKUlT_T0_E_clISt17integral_constantIbLb0EES11_EEDaSW_SX_EUlSW_E_NS1_11comp_targetILNS1_3genE4ELNS1_11target_archE910ELNS1_3gpuE8ELNS1_3repE0EEENS1_30default_config_static_selectorELNS0_4arch9wavefront6targetE0EEEvT1_
		.amdhsa_group_segment_fixed_size 0
		.amdhsa_private_segment_fixed_size 0
		.amdhsa_kernarg_size 120
		.amdhsa_user_sgpr_count 15
		.amdhsa_user_sgpr_dispatch_ptr 0
		.amdhsa_user_sgpr_queue_ptr 0
		.amdhsa_user_sgpr_kernarg_segment_ptr 1
		.amdhsa_user_sgpr_dispatch_id 0
		.amdhsa_user_sgpr_private_segment_size 0
		.amdhsa_wavefront_size32 1
		.amdhsa_uses_dynamic_stack 0
		.amdhsa_enable_private_segment 0
		.amdhsa_system_sgpr_workgroup_id_x 1
		.amdhsa_system_sgpr_workgroup_id_y 0
		.amdhsa_system_sgpr_workgroup_id_z 0
		.amdhsa_system_sgpr_workgroup_info 0
		.amdhsa_system_vgpr_workitem_id 0
		.amdhsa_next_free_vgpr 1
		.amdhsa_next_free_sgpr 1
		.amdhsa_reserve_vcc 0
		.amdhsa_float_round_mode_32 0
		.amdhsa_float_round_mode_16_64 0
		.amdhsa_float_denorm_mode_32 3
		.amdhsa_float_denorm_mode_16_64 3
		.amdhsa_dx10_clamp 1
		.amdhsa_ieee_mode 1
		.amdhsa_fp16_overflow 0
		.amdhsa_workgroup_processor_mode 1
		.amdhsa_memory_ordered 1
		.amdhsa_forward_progress 0
		.amdhsa_shared_vgpr_count 0
		.amdhsa_exception_fp_ieee_invalid_op 0
		.amdhsa_exception_fp_denorm_src 0
		.amdhsa_exception_fp_ieee_div_zero 0
		.amdhsa_exception_fp_ieee_overflow 0
		.amdhsa_exception_fp_ieee_underflow 0
		.amdhsa_exception_fp_ieee_inexact 0
		.amdhsa_exception_int_div_zero 0
	.end_amdhsa_kernel
	.section	.text._ZN7rocprim17ROCPRIM_400000_NS6detail17trampoline_kernelINS0_14default_configENS1_29reduce_by_key_config_selectorIjjN6thrust23THRUST_200600_302600_NS4plusIjEEEEZZNS1_33reduce_by_key_impl_wrapped_configILNS1_25lookback_scan_determinismE0ES3_S9_NS6_6detail15normal_iteratorINS6_10device_ptrIjEEEESG_SG_SG_PmS8_NS6_8equal_toIjEEEE10hipError_tPvRmT2_T3_mT4_T5_T6_T7_T8_P12ihipStream_tbENKUlT_T0_E_clISt17integral_constantIbLb0EES11_EEDaSW_SX_EUlSW_E_NS1_11comp_targetILNS1_3genE4ELNS1_11target_archE910ELNS1_3gpuE8ELNS1_3repE0EEENS1_30default_config_static_selectorELNS0_4arch9wavefront6targetE0EEEvT1_,"axG",@progbits,_ZN7rocprim17ROCPRIM_400000_NS6detail17trampoline_kernelINS0_14default_configENS1_29reduce_by_key_config_selectorIjjN6thrust23THRUST_200600_302600_NS4plusIjEEEEZZNS1_33reduce_by_key_impl_wrapped_configILNS1_25lookback_scan_determinismE0ES3_S9_NS6_6detail15normal_iteratorINS6_10device_ptrIjEEEESG_SG_SG_PmS8_NS6_8equal_toIjEEEE10hipError_tPvRmT2_T3_mT4_T5_T6_T7_T8_P12ihipStream_tbENKUlT_T0_E_clISt17integral_constantIbLb0EES11_EEDaSW_SX_EUlSW_E_NS1_11comp_targetILNS1_3genE4ELNS1_11target_archE910ELNS1_3gpuE8ELNS1_3repE0EEENS1_30default_config_static_selectorELNS0_4arch9wavefront6targetE0EEEvT1_,comdat
.Lfunc_end317:
	.size	_ZN7rocprim17ROCPRIM_400000_NS6detail17trampoline_kernelINS0_14default_configENS1_29reduce_by_key_config_selectorIjjN6thrust23THRUST_200600_302600_NS4plusIjEEEEZZNS1_33reduce_by_key_impl_wrapped_configILNS1_25lookback_scan_determinismE0ES3_S9_NS6_6detail15normal_iteratorINS6_10device_ptrIjEEEESG_SG_SG_PmS8_NS6_8equal_toIjEEEE10hipError_tPvRmT2_T3_mT4_T5_T6_T7_T8_P12ihipStream_tbENKUlT_T0_E_clISt17integral_constantIbLb0EES11_EEDaSW_SX_EUlSW_E_NS1_11comp_targetILNS1_3genE4ELNS1_11target_archE910ELNS1_3gpuE8ELNS1_3repE0EEENS1_30default_config_static_selectorELNS0_4arch9wavefront6targetE0EEEvT1_, .Lfunc_end317-_ZN7rocprim17ROCPRIM_400000_NS6detail17trampoline_kernelINS0_14default_configENS1_29reduce_by_key_config_selectorIjjN6thrust23THRUST_200600_302600_NS4plusIjEEEEZZNS1_33reduce_by_key_impl_wrapped_configILNS1_25lookback_scan_determinismE0ES3_S9_NS6_6detail15normal_iteratorINS6_10device_ptrIjEEEESG_SG_SG_PmS8_NS6_8equal_toIjEEEE10hipError_tPvRmT2_T3_mT4_T5_T6_T7_T8_P12ihipStream_tbENKUlT_T0_E_clISt17integral_constantIbLb0EES11_EEDaSW_SX_EUlSW_E_NS1_11comp_targetILNS1_3genE4ELNS1_11target_archE910ELNS1_3gpuE8ELNS1_3repE0EEENS1_30default_config_static_selectorELNS0_4arch9wavefront6targetE0EEEvT1_
                                        ; -- End function
	.section	.AMDGPU.csdata,"",@progbits
; Kernel info:
; codeLenInByte = 0
; NumSgprs: 0
; NumVgprs: 0
; ScratchSize: 0
; MemoryBound: 0
; FloatMode: 240
; IeeeMode: 1
; LDSByteSize: 0 bytes/workgroup (compile time only)
; SGPRBlocks: 0
; VGPRBlocks: 0
; NumSGPRsForWavesPerEU: 1
; NumVGPRsForWavesPerEU: 1
; Occupancy: 16
; WaveLimiterHint : 0
; COMPUTE_PGM_RSRC2:SCRATCH_EN: 0
; COMPUTE_PGM_RSRC2:USER_SGPR: 15
; COMPUTE_PGM_RSRC2:TRAP_HANDLER: 0
; COMPUTE_PGM_RSRC2:TGID_X_EN: 1
; COMPUTE_PGM_RSRC2:TGID_Y_EN: 0
; COMPUTE_PGM_RSRC2:TGID_Z_EN: 0
; COMPUTE_PGM_RSRC2:TIDIG_COMP_CNT: 0
	.section	.text._ZN7rocprim17ROCPRIM_400000_NS6detail17trampoline_kernelINS0_14default_configENS1_29reduce_by_key_config_selectorIjjN6thrust23THRUST_200600_302600_NS4plusIjEEEEZZNS1_33reduce_by_key_impl_wrapped_configILNS1_25lookback_scan_determinismE0ES3_S9_NS6_6detail15normal_iteratorINS6_10device_ptrIjEEEESG_SG_SG_PmS8_NS6_8equal_toIjEEEE10hipError_tPvRmT2_T3_mT4_T5_T6_T7_T8_P12ihipStream_tbENKUlT_T0_E_clISt17integral_constantIbLb0EES11_EEDaSW_SX_EUlSW_E_NS1_11comp_targetILNS1_3genE3ELNS1_11target_archE908ELNS1_3gpuE7ELNS1_3repE0EEENS1_30default_config_static_selectorELNS0_4arch9wavefront6targetE0EEEvT1_,"axG",@progbits,_ZN7rocprim17ROCPRIM_400000_NS6detail17trampoline_kernelINS0_14default_configENS1_29reduce_by_key_config_selectorIjjN6thrust23THRUST_200600_302600_NS4plusIjEEEEZZNS1_33reduce_by_key_impl_wrapped_configILNS1_25lookback_scan_determinismE0ES3_S9_NS6_6detail15normal_iteratorINS6_10device_ptrIjEEEESG_SG_SG_PmS8_NS6_8equal_toIjEEEE10hipError_tPvRmT2_T3_mT4_T5_T6_T7_T8_P12ihipStream_tbENKUlT_T0_E_clISt17integral_constantIbLb0EES11_EEDaSW_SX_EUlSW_E_NS1_11comp_targetILNS1_3genE3ELNS1_11target_archE908ELNS1_3gpuE7ELNS1_3repE0EEENS1_30default_config_static_selectorELNS0_4arch9wavefront6targetE0EEEvT1_,comdat
	.protected	_ZN7rocprim17ROCPRIM_400000_NS6detail17trampoline_kernelINS0_14default_configENS1_29reduce_by_key_config_selectorIjjN6thrust23THRUST_200600_302600_NS4plusIjEEEEZZNS1_33reduce_by_key_impl_wrapped_configILNS1_25lookback_scan_determinismE0ES3_S9_NS6_6detail15normal_iteratorINS6_10device_ptrIjEEEESG_SG_SG_PmS8_NS6_8equal_toIjEEEE10hipError_tPvRmT2_T3_mT4_T5_T6_T7_T8_P12ihipStream_tbENKUlT_T0_E_clISt17integral_constantIbLb0EES11_EEDaSW_SX_EUlSW_E_NS1_11comp_targetILNS1_3genE3ELNS1_11target_archE908ELNS1_3gpuE7ELNS1_3repE0EEENS1_30default_config_static_selectorELNS0_4arch9wavefront6targetE0EEEvT1_ ; -- Begin function _ZN7rocprim17ROCPRIM_400000_NS6detail17trampoline_kernelINS0_14default_configENS1_29reduce_by_key_config_selectorIjjN6thrust23THRUST_200600_302600_NS4plusIjEEEEZZNS1_33reduce_by_key_impl_wrapped_configILNS1_25lookback_scan_determinismE0ES3_S9_NS6_6detail15normal_iteratorINS6_10device_ptrIjEEEESG_SG_SG_PmS8_NS6_8equal_toIjEEEE10hipError_tPvRmT2_T3_mT4_T5_T6_T7_T8_P12ihipStream_tbENKUlT_T0_E_clISt17integral_constantIbLb0EES11_EEDaSW_SX_EUlSW_E_NS1_11comp_targetILNS1_3genE3ELNS1_11target_archE908ELNS1_3gpuE7ELNS1_3repE0EEENS1_30default_config_static_selectorELNS0_4arch9wavefront6targetE0EEEvT1_
	.globl	_ZN7rocprim17ROCPRIM_400000_NS6detail17trampoline_kernelINS0_14default_configENS1_29reduce_by_key_config_selectorIjjN6thrust23THRUST_200600_302600_NS4plusIjEEEEZZNS1_33reduce_by_key_impl_wrapped_configILNS1_25lookback_scan_determinismE0ES3_S9_NS6_6detail15normal_iteratorINS6_10device_ptrIjEEEESG_SG_SG_PmS8_NS6_8equal_toIjEEEE10hipError_tPvRmT2_T3_mT4_T5_T6_T7_T8_P12ihipStream_tbENKUlT_T0_E_clISt17integral_constantIbLb0EES11_EEDaSW_SX_EUlSW_E_NS1_11comp_targetILNS1_3genE3ELNS1_11target_archE908ELNS1_3gpuE7ELNS1_3repE0EEENS1_30default_config_static_selectorELNS0_4arch9wavefront6targetE0EEEvT1_
	.p2align	8
	.type	_ZN7rocprim17ROCPRIM_400000_NS6detail17trampoline_kernelINS0_14default_configENS1_29reduce_by_key_config_selectorIjjN6thrust23THRUST_200600_302600_NS4plusIjEEEEZZNS1_33reduce_by_key_impl_wrapped_configILNS1_25lookback_scan_determinismE0ES3_S9_NS6_6detail15normal_iteratorINS6_10device_ptrIjEEEESG_SG_SG_PmS8_NS6_8equal_toIjEEEE10hipError_tPvRmT2_T3_mT4_T5_T6_T7_T8_P12ihipStream_tbENKUlT_T0_E_clISt17integral_constantIbLb0EES11_EEDaSW_SX_EUlSW_E_NS1_11comp_targetILNS1_3genE3ELNS1_11target_archE908ELNS1_3gpuE7ELNS1_3repE0EEENS1_30default_config_static_selectorELNS0_4arch9wavefront6targetE0EEEvT1_,@function
_ZN7rocprim17ROCPRIM_400000_NS6detail17trampoline_kernelINS0_14default_configENS1_29reduce_by_key_config_selectorIjjN6thrust23THRUST_200600_302600_NS4plusIjEEEEZZNS1_33reduce_by_key_impl_wrapped_configILNS1_25lookback_scan_determinismE0ES3_S9_NS6_6detail15normal_iteratorINS6_10device_ptrIjEEEESG_SG_SG_PmS8_NS6_8equal_toIjEEEE10hipError_tPvRmT2_T3_mT4_T5_T6_T7_T8_P12ihipStream_tbENKUlT_T0_E_clISt17integral_constantIbLb0EES11_EEDaSW_SX_EUlSW_E_NS1_11comp_targetILNS1_3genE3ELNS1_11target_archE908ELNS1_3gpuE7ELNS1_3repE0EEENS1_30default_config_static_selectorELNS0_4arch9wavefront6targetE0EEEvT1_: ; @_ZN7rocprim17ROCPRIM_400000_NS6detail17trampoline_kernelINS0_14default_configENS1_29reduce_by_key_config_selectorIjjN6thrust23THRUST_200600_302600_NS4plusIjEEEEZZNS1_33reduce_by_key_impl_wrapped_configILNS1_25lookback_scan_determinismE0ES3_S9_NS6_6detail15normal_iteratorINS6_10device_ptrIjEEEESG_SG_SG_PmS8_NS6_8equal_toIjEEEE10hipError_tPvRmT2_T3_mT4_T5_T6_T7_T8_P12ihipStream_tbENKUlT_T0_E_clISt17integral_constantIbLb0EES11_EEDaSW_SX_EUlSW_E_NS1_11comp_targetILNS1_3genE3ELNS1_11target_archE908ELNS1_3gpuE7ELNS1_3repE0EEENS1_30default_config_static_selectorELNS0_4arch9wavefront6targetE0EEEvT1_
; %bb.0:
	.section	.rodata,"a",@progbits
	.p2align	6, 0x0
	.amdhsa_kernel _ZN7rocprim17ROCPRIM_400000_NS6detail17trampoline_kernelINS0_14default_configENS1_29reduce_by_key_config_selectorIjjN6thrust23THRUST_200600_302600_NS4plusIjEEEEZZNS1_33reduce_by_key_impl_wrapped_configILNS1_25lookback_scan_determinismE0ES3_S9_NS6_6detail15normal_iteratorINS6_10device_ptrIjEEEESG_SG_SG_PmS8_NS6_8equal_toIjEEEE10hipError_tPvRmT2_T3_mT4_T5_T6_T7_T8_P12ihipStream_tbENKUlT_T0_E_clISt17integral_constantIbLb0EES11_EEDaSW_SX_EUlSW_E_NS1_11comp_targetILNS1_3genE3ELNS1_11target_archE908ELNS1_3gpuE7ELNS1_3repE0EEENS1_30default_config_static_selectorELNS0_4arch9wavefront6targetE0EEEvT1_
		.amdhsa_group_segment_fixed_size 0
		.amdhsa_private_segment_fixed_size 0
		.amdhsa_kernarg_size 120
		.amdhsa_user_sgpr_count 15
		.amdhsa_user_sgpr_dispatch_ptr 0
		.amdhsa_user_sgpr_queue_ptr 0
		.amdhsa_user_sgpr_kernarg_segment_ptr 1
		.amdhsa_user_sgpr_dispatch_id 0
		.amdhsa_user_sgpr_private_segment_size 0
		.amdhsa_wavefront_size32 1
		.amdhsa_uses_dynamic_stack 0
		.amdhsa_enable_private_segment 0
		.amdhsa_system_sgpr_workgroup_id_x 1
		.amdhsa_system_sgpr_workgroup_id_y 0
		.amdhsa_system_sgpr_workgroup_id_z 0
		.amdhsa_system_sgpr_workgroup_info 0
		.amdhsa_system_vgpr_workitem_id 0
		.amdhsa_next_free_vgpr 1
		.amdhsa_next_free_sgpr 1
		.amdhsa_reserve_vcc 0
		.amdhsa_float_round_mode_32 0
		.amdhsa_float_round_mode_16_64 0
		.amdhsa_float_denorm_mode_32 3
		.amdhsa_float_denorm_mode_16_64 3
		.amdhsa_dx10_clamp 1
		.amdhsa_ieee_mode 1
		.amdhsa_fp16_overflow 0
		.amdhsa_workgroup_processor_mode 1
		.amdhsa_memory_ordered 1
		.amdhsa_forward_progress 0
		.amdhsa_shared_vgpr_count 0
		.amdhsa_exception_fp_ieee_invalid_op 0
		.amdhsa_exception_fp_denorm_src 0
		.amdhsa_exception_fp_ieee_div_zero 0
		.amdhsa_exception_fp_ieee_overflow 0
		.amdhsa_exception_fp_ieee_underflow 0
		.amdhsa_exception_fp_ieee_inexact 0
		.amdhsa_exception_int_div_zero 0
	.end_amdhsa_kernel
	.section	.text._ZN7rocprim17ROCPRIM_400000_NS6detail17trampoline_kernelINS0_14default_configENS1_29reduce_by_key_config_selectorIjjN6thrust23THRUST_200600_302600_NS4plusIjEEEEZZNS1_33reduce_by_key_impl_wrapped_configILNS1_25lookback_scan_determinismE0ES3_S9_NS6_6detail15normal_iteratorINS6_10device_ptrIjEEEESG_SG_SG_PmS8_NS6_8equal_toIjEEEE10hipError_tPvRmT2_T3_mT4_T5_T6_T7_T8_P12ihipStream_tbENKUlT_T0_E_clISt17integral_constantIbLb0EES11_EEDaSW_SX_EUlSW_E_NS1_11comp_targetILNS1_3genE3ELNS1_11target_archE908ELNS1_3gpuE7ELNS1_3repE0EEENS1_30default_config_static_selectorELNS0_4arch9wavefront6targetE0EEEvT1_,"axG",@progbits,_ZN7rocprim17ROCPRIM_400000_NS6detail17trampoline_kernelINS0_14default_configENS1_29reduce_by_key_config_selectorIjjN6thrust23THRUST_200600_302600_NS4plusIjEEEEZZNS1_33reduce_by_key_impl_wrapped_configILNS1_25lookback_scan_determinismE0ES3_S9_NS6_6detail15normal_iteratorINS6_10device_ptrIjEEEESG_SG_SG_PmS8_NS6_8equal_toIjEEEE10hipError_tPvRmT2_T3_mT4_T5_T6_T7_T8_P12ihipStream_tbENKUlT_T0_E_clISt17integral_constantIbLb0EES11_EEDaSW_SX_EUlSW_E_NS1_11comp_targetILNS1_3genE3ELNS1_11target_archE908ELNS1_3gpuE7ELNS1_3repE0EEENS1_30default_config_static_selectorELNS0_4arch9wavefront6targetE0EEEvT1_,comdat
.Lfunc_end318:
	.size	_ZN7rocprim17ROCPRIM_400000_NS6detail17trampoline_kernelINS0_14default_configENS1_29reduce_by_key_config_selectorIjjN6thrust23THRUST_200600_302600_NS4plusIjEEEEZZNS1_33reduce_by_key_impl_wrapped_configILNS1_25lookback_scan_determinismE0ES3_S9_NS6_6detail15normal_iteratorINS6_10device_ptrIjEEEESG_SG_SG_PmS8_NS6_8equal_toIjEEEE10hipError_tPvRmT2_T3_mT4_T5_T6_T7_T8_P12ihipStream_tbENKUlT_T0_E_clISt17integral_constantIbLb0EES11_EEDaSW_SX_EUlSW_E_NS1_11comp_targetILNS1_3genE3ELNS1_11target_archE908ELNS1_3gpuE7ELNS1_3repE0EEENS1_30default_config_static_selectorELNS0_4arch9wavefront6targetE0EEEvT1_, .Lfunc_end318-_ZN7rocprim17ROCPRIM_400000_NS6detail17trampoline_kernelINS0_14default_configENS1_29reduce_by_key_config_selectorIjjN6thrust23THRUST_200600_302600_NS4plusIjEEEEZZNS1_33reduce_by_key_impl_wrapped_configILNS1_25lookback_scan_determinismE0ES3_S9_NS6_6detail15normal_iteratorINS6_10device_ptrIjEEEESG_SG_SG_PmS8_NS6_8equal_toIjEEEE10hipError_tPvRmT2_T3_mT4_T5_T6_T7_T8_P12ihipStream_tbENKUlT_T0_E_clISt17integral_constantIbLb0EES11_EEDaSW_SX_EUlSW_E_NS1_11comp_targetILNS1_3genE3ELNS1_11target_archE908ELNS1_3gpuE7ELNS1_3repE0EEENS1_30default_config_static_selectorELNS0_4arch9wavefront6targetE0EEEvT1_
                                        ; -- End function
	.section	.AMDGPU.csdata,"",@progbits
; Kernel info:
; codeLenInByte = 0
; NumSgprs: 0
; NumVgprs: 0
; ScratchSize: 0
; MemoryBound: 0
; FloatMode: 240
; IeeeMode: 1
; LDSByteSize: 0 bytes/workgroup (compile time only)
; SGPRBlocks: 0
; VGPRBlocks: 0
; NumSGPRsForWavesPerEU: 1
; NumVGPRsForWavesPerEU: 1
; Occupancy: 16
; WaveLimiterHint : 0
; COMPUTE_PGM_RSRC2:SCRATCH_EN: 0
; COMPUTE_PGM_RSRC2:USER_SGPR: 15
; COMPUTE_PGM_RSRC2:TRAP_HANDLER: 0
; COMPUTE_PGM_RSRC2:TGID_X_EN: 1
; COMPUTE_PGM_RSRC2:TGID_Y_EN: 0
; COMPUTE_PGM_RSRC2:TGID_Z_EN: 0
; COMPUTE_PGM_RSRC2:TIDIG_COMP_CNT: 0
	.section	.text._ZN7rocprim17ROCPRIM_400000_NS6detail17trampoline_kernelINS0_14default_configENS1_29reduce_by_key_config_selectorIjjN6thrust23THRUST_200600_302600_NS4plusIjEEEEZZNS1_33reduce_by_key_impl_wrapped_configILNS1_25lookback_scan_determinismE0ES3_S9_NS6_6detail15normal_iteratorINS6_10device_ptrIjEEEESG_SG_SG_PmS8_NS6_8equal_toIjEEEE10hipError_tPvRmT2_T3_mT4_T5_T6_T7_T8_P12ihipStream_tbENKUlT_T0_E_clISt17integral_constantIbLb0EES11_EEDaSW_SX_EUlSW_E_NS1_11comp_targetILNS1_3genE2ELNS1_11target_archE906ELNS1_3gpuE6ELNS1_3repE0EEENS1_30default_config_static_selectorELNS0_4arch9wavefront6targetE0EEEvT1_,"axG",@progbits,_ZN7rocprim17ROCPRIM_400000_NS6detail17trampoline_kernelINS0_14default_configENS1_29reduce_by_key_config_selectorIjjN6thrust23THRUST_200600_302600_NS4plusIjEEEEZZNS1_33reduce_by_key_impl_wrapped_configILNS1_25lookback_scan_determinismE0ES3_S9_NS6_6detail15normal_iteratorINS6_10device_ptrIjEEEESG_SG_SG_PmS8_NS6_8equal_toIjEEEE10hipError_tPvRmT2_T3_mT4_T5_T6_T7_T8_P12ihipStream_tbENKUlT_T0_E_clISt17integral_constantIbLb0EES11_EEDaSW_SX_EUlSW_E_NS1_11comp_targetILNS1_3genE2ELNS1_11target_archE906ELNS1_3gpuE6ELNS1_3repE0EEENS1_30default_config_static_selectorELNS0_4arch9wavefront6targetE0EEEvT1_,comdat
	.protected	_ZN7rocprim17ROCPRIM_400000_NS6detail17trampoline_kernelINS0_14default_configENS1_29reduce_by_key_config_selectorIjjN6thrust23THRUST_200600_302600_NS4plusIjEEEEZZNS1_33reduce_by_key_impl_wrapped_configILNS1_25lookback_scan_determinismE0ES3_S9_NS6_6detail15normal_iteratorINS6_10device_ptrIjEEEESG_SG_SG_PmS8_NS6_8equal_toIjEEEE10hipError_tPvRmT2_T3_mT4_T5_T6_T7_T8_P12ihipStream_tbENKUlT_T0_E_clISt17integral_constantIbLb0EES11_EEDaSW_SX_EUlSW_E_NS1_11comp_targetILNS1_3genE2ELNS1_11target_archE906ELNS1_3gpuE6ELNS1_3repE0EEENS1_30default_config_static_selectorELNS0_4arch9wavefront6targetE0EEEvT1_ ; -- Begin function _ZN7rocprim17ROCPRIM_400000_NS6detail17trampoline_kernelINS0_14default_configENS1_29reduce_by_key_config_selectorIjjN6thrust23THRUST_200600_302600_NS4plusIjEEEEZZNS1_33reduce_by_key_impl_wrapped_configILNS1_25lookback_scan_determinismE0ES3_S9_NS6_6detail15normal_iteratorINS6_10device_ptrIjEEEESG_SG_SG_PmS8_NS6_8equal_toIjEEEE10hipError_tPvRmT2_T3_mT4_T5_T6_T7_T8_P12ihipStream_tbENKUlT_T0_E_clISt17integral_constantIbLb0EES11_EEDaSW_SX_EUlSW_E_NS1_11comp_targetILNS1_3genE2ELNS1_11target_archE906ELNS1_3gpuE6ELNS1_3repE0EEENS1_30default_config_static_selectorELNS0_4arch9wavefront6targetE0EEEvT1_
	.globl	_ZN7rocprim17ROCPRIM_400000_NS6detail17trampoline_kernelINS0_14default_configENS1_29reduce_by_key_config_selectorIjjN6thrust23THRUST_200600_302600_NS4plusIjEEEEZZNS1_33reduce_by_key_impl_wrapped_configILNS1_25lookback_scan_determinismE0ES3_S9_NS6_6detail15normal_iteratorINS6_10device_ptrIjEEEESG_SG_SG_PmS8_NS6_8equal_toIjEEEE10hipError_tPvRmT2_T3_mT4_T5_T6_T7_T8_P12ihipStream_tbENKUlT_T0_E_clISt17integral_constantIbLb0EES11_EEDaSW_SX_EUlSW_E_NS1_11comp_targetILNS1_3genE2ELNS1_11target_archE906ELNS1_3gpuE6ELNS1_3repE0EEENS1_30default_config_static_selectorELNS0_4arch9wavefront6targetE0EEEvT1_
	.p2align	8
	.type	_ZN7rocprim17ROCPRIM_400000_NS6detail17trampoline_kernelINS0_14default_configENS1_29reduce_by_key_config_selectorIjjN6thrust23THRUST_200600_302600_NS4plusIjEEEEZZNS1_33reduce_by_key_impl_wrapped_configILNS1_25lookback_scan_determinismE0ES3_S9_NS6_6detail15normal_iteratorINS6_10device_ptrIjEEEESG_SG_SG_PmS8_NS6_8equal_toIjEEEE10hipError_tPvRmT2_T3_mT4_T5_T6_T7_T8_P12ihipStream_tbENKUlT_T0_E_clISt17integral_constantIbLb0EES11_EEDaSW_SX_EUlSW_E_NS1_11comp_targetILNS1_3genE2ELNS1_11target_archE906ELNS1_3gpuE6ELNS1_3repE0EEENS1_30default_config_static_selectorELNS0_4arch9wavefront6targetE0EEEvT1_,@function
_ZN7rocprim17ROCPRIM_400000_NS6detail17trampoline_kernelINS0_14default_configENS1_29reduce_by_key_config_selectorIjjN6thrust23THRUST_200600_302600_NS4plusIjEEEEZZNS1_33reduce_by_key_impl_wrapped_configILNS1_25lookback_scan_determinismE0ES3_S9_NS6_6detail15normal_iteratorINS6_10device_ptrIjEEEESG_SG_SG_PmS8_NS6_8equal_toIjEEEE10hipError_tPvRmT2_T3_mT4_T5_T6_T7_T8_P12ihipStream_tbENKUlT_T0_E_clISt17integral_constantIbLb0EES11_EEDaSW_SX_EUlSW_E_NS1_11comp_targetILNS1_3genE2ELNS1_11target_archE906ELNS1_3gpuE6ELNS1_3repE0EEENS1_30default_config_static_selectorELNS0_4arch9wavefront6targetE0EEEvT1_: ; @_ZN7rocprim17ROCPRIM_400000_NS6detail17trampoline_kernelINS0_14default_configENS1_29reduce_by_key_config_selectorIjjN6thrust23THRUST_200600_302600_NS4plusIjEEEEZZNS1_33reduce_by_key_impl_wrapped_configILNS1_25lookback_scan_determinismE0ES3_S9_NS6_6detail15normal_iteratorINS6_10device_ptrIjEEEESG_SG_SG_PmS8_NS6_8equal_toIjEEEE10hipError_tPvRmT2_T3_mT4_T5_T6_T7_T8_P12ihipStream_tbENKUlT_T0_E_clISt17integral_constantIbLb0EES11_EEDaSW_SX_EUlSW_E_NS1_11comp_targetILNS1_3genE2ELNS1_11target_archE906ELNS1_3gpuE6ELNS1_3repE0EEENS1_30default_config_static_selectorELNS0_4arch9wavefront6targetE0EEEvT1_
; %bb.0:
	.section	.rodata,"a",@progbits
	.p2align	6, 0x0
	.amdhsa_kernel _ZN7rocprim17ROCPRIM_400000_NS6detail17trampoline_kernelINS0_14default_configENS1_29reduce_by_key_config_selectorIjjN6thrust23THRUST_200600_302600_NS4plusIjEEEEZZNS1_33reduce_by_key_impl_wrapped_configILNS1_25lookback_scan_determinismE0ES3_S9_NS6_6detail15normal_iteratorINS6_10device_ptrIjEEEESG_SG_SG_PmS8_NS6_8equal_toIjEEEE10hipError_tPvRmT2_T3_mT4_T5_T6_T7_T8_P12ihipStream_tbENKUlT_T0_E_clISt17integral_constantIbLb0EES11_EEDaSW_SX_EUlSW_E_NS1_11comp_targetILNS1_3genE2ELNS1_11target_archE906ELNS1_3gpuE6ELNS1_3repE0EEENS1_30default_config_static_selectorELNS0_4arch9wavefront6targetE0EEEvT1_
		.amdhsa_group_segment_fixed_size 0
		.amdhsa_private_segment_fixed_size 0
		.amdhsa_kernarg_size 120
		.amdhsa_user_sgpr_count 15
		.amdhsa_user_sgpr_dispatch_ptr 0
		.amdhsa_user_sgpr_queue_ptr 0
		.amdhsa_user_sgpr_kernarg_segment_ptr 1
		.amdhsa_user_sgpr_dispatch_id 0
		.amdhsa_user_sgpr_private_segment_size 0
		.amdhsa_wavefront_size32 1
		.amdhsa_uses_dynamic_stack 0
		.amdhsa_enable_private_segment 0
		.amdhsa_system_sgpr_workgroup_id_x 1
		.amdhsa_system_sgpr_workgroup_id_y 0
		.amdhsa_system_sgpr_workgroup_id_z 0
		.amdhsa_system_sgpr_workgroup_info 0
		.amdhsa_system_vgpr_workitem_id 0
		.amdhsa_next_free_vgpr 1
		.amdhsa_next_free_sgpr 1
		.amdhsa_reserve_vcc 0
		.amdhsa_float_round_mode_32 0
		.amdhsa_float_round_mode_16_64 0
		.amdhsa_float_denorm_mode_32 3
		.amdhsa_float_denorm_mode_16_64 3
		.amdhsa_dx10_clamp 1
		.amdhsa_ieee_mode 1
		.amdhsa_fp16_overflow 0
		.amdhsa_workgroup_processor_mode 1
		.amdhsa_memory_ordered 1
		.amdhsa_forward_progress 0
		.amdhsa_shared_vgpr_count 0
		.amdhsa_exception_fp_ieee_invalid_op 0
		.amdhsa_exception_fp_denorm_src 0
		.amdhsa_exception_fp_ieee_div_zero 0
		.amdhsa_exception_fp_ieee_overflow 0
		.amdhsa_exception_fp_ieee_underflow 0
		.amdhsa_exception_fp_ieee_inexact 0
		.amdhsa_exception_int_div_zero 0
	.end_amdhsa_kernel
	.section	.text._ZN7rocprim17ROCPRIM_400000_NS6detail17trampoline_kernelINS0_14default_configENS1_29reduce_by_key_config_selectorIjjN6thrust23THRUST_200600_302600_NS4plusIjEEEEZZNS1_33reduce_by_key_impl_wrapped_configILNS1_25lookback_scan_determinismE0ES3_S9_NS6_6detail15normal_iteratorINS6_10device_ptrIjEEEESG_SG_SG_PmS8_NS6_8equal_toIjEEEE10hipError_tPvRmT2_T3_mT4_T5_T6_T7_T8_P12ihipStream_tbENKUlT_T0_E_clISt17integral_constantIbLb0EES11_EEDaSW_SX_EUlSW_E_NS1_11comp_targetILNS1_3genE2ELNS1_11target_archE906ELNS1_3gpuE6ELNS1_3repE0EEENS1_30default_config_static_selectorELNS0_4arch9wavefront6targetE0EEEvT1_,"axG",@progbits,_ZN7rocprim17ROCPRIM_400000_NS6detail17trampoline_kernelINS0_14default_configENS1_29reduce_by_key_config_selectorIjjN6thrust23THRUST_200600_302600_NS4plusIjEEEEZZNS1_33reduce_by_key_impl_wrapped_configILNS1_25lookback_scan_determinismE0ES3_S9_NS6_6detail15normal_iteratorINS6_10device_ptrIjEEEESG_SG_SG_PmS8_NS6_8equal_toIjEEEE10hipError_tPvRmT2_T3_mT4_T5_T6_T7_T8_P12ihipStream_tbENKUlT_T0_E_clISt17integral_constantIbLb0EES11_EEDaSW_SX_EUlSW_E_NS1_11comp_targetILNS1_3genE2ELNS1_11target_archE906ELNS1_3gpuE6ELNS1_3repE0EEENS1_30default_config_static_selectorELNS0_4arch9wavefront6targetE0EEEvT1_,comdat
.Lfunc_end319:
	.size	_ZN7rocprim17ROCPRIM_400000_NS6detail17trampoline_kernelINS0_14default_configENS1_29reduce_by_key_config_selectorIjjN6thrust23THRUST_200600_302600_NS4plusIjEEEEZZNS1_33reduce_by_key_impl_wrapped_configILNS1_25lookback_scan_determinismE0ES3_S9_NS6_6detail15normal_iteratorINS6_10device_ptrIjEEEESG_SG_SG_PmS8_NS6_8equal_toIjEEEE10hipError_tPvRmT2_T3_mT4_T5_T6_T7_T8_P12ihipStream_tbENKUlT_T0_E_clISt17integral_constantIbLb0EES11_EEDaSW_SX_EUlSW_E_NS1_11comp_targetILNS1_3genE2ELNS1_11target_archE906ELNS1_3gpuE6ELNS1_3repE0EEENS1_30default_config_static_selectorELNS0_4arch9wavefront6targetE0EEEvT1_, .Lfunc_end319-_ZN7rocprim17ROCPRIM_400000_NS6detail17trampoline_kernelINS0_14default_configENS1_29reduce_by_key_config_selectorIjjN6thrust23THRUST_200600_302600_NS4plusIjEEEEZZNS1_33reduce_by_key_impl_wrapped_configILNS1_25lookback_scan_determinismE0ES3_S9_NS6_6detail15normal_iteratorINS6_10device_ptrIjEEEESG_SG_SG_PmS8_NS6_8equal_toIjEEEE10hipError_tPvRmT2_T3_mT4_T5_T6_T7_T8_P12ihipStream_tbENKUlT_T0_E_clISt17integral_constantIbLb0EES11_EEDaSW_SX_EUlSW_E_NS1_11comp_targetILNS1_3genE2ELNS1_11target_archE906ELNS1_3gpuE6ELNS1_3repE0EEENS1_30default_config_static_selectorELNS0_4arch9wavefront6targetE0EEEvT1_
                                        ; -- End function
	.section	.AMDGPU.csdata,"",@progbits
; Kernel info:
; codeLenInByte = 0
; NumSgprs: 0
; NumVgprs: 0
; ScratchSize: 0
; MemoryBound: 0
; FloatMode: 240
; IeeeMode: 1
; LDSByteSize: 0 bytes/workgroup (compile time only)
; SGPRBlocks: 0
; VGPRBlocks: 0
; NumSGPRsForWavesPerEU: 1
; NumVGPRsForWavesPerEU: 1
; Occupancy: 16
; WaveLimiterHint : 0
; COMPUTE_PGM_RSRC2:SCRATCH_EN: 0
; COMPUTE_PGM_RSRC2:USER_SGPR: 15
; COMPUTE_PGM_RSRC2:TRAP_HANDLER: 0
; COMPUTE_PGM_RSRC2:TGID_X_EN: 1
; COMPUTE_PGM_RSRC2:TGID_Y_EN: 0
; COMPUTE_PGM_RSRC2:TGID_Z_EN: 0
; COMPUTE_PGM_RSRC2:TIDIG_COMP_CNT: 0
	.section	.text._ZN7rocprim17ROCPRIM_400000_NS6detail17trampoline_kernelINS0_14default_configENS1_29reduce_by_key_config_selectorIjjN6thrust23THRUST_200600_302600_NS4plusIjEEEEZZNS1_33reduce_by_key_impl_wrapped_configILNS1_25lookback_scan_determinismE0ES3_S9_NS6_6detail15normal_iteratorINS6_10device_ptrIjEEEESG_SG_SG_PmS8_NS6_8equal_toIjEEEE10hipError_tPvRmT2_T3_mT4_T5_T6_T7_T8_P12ihipStream_tbENKUlT_T0_E_clISt17integral_constantIbLb0EES11_EEDaSW_SX_EUlSW_E_NS1_11comp_targetILNS1_3genE10ELNS1_11target_archE1201ELNS1_3gpuE5ELNS1_3repE0EEENS1_30default_config_static_selectorELNS0_4arch9wavefront6targetE0EEEvT1_,"axG",@progbits,_ZN7rocprim17ROCPRIM_400000_NS6detail17trampoline_kernelINS0_14default_configENS1_29reduce_by_key_config_selectorIjjN6thrust23THRUST_200600_302600_NS4plusIjEEEEZZNS1_33reduce_by_key_impl_wrapped_configILNS1_25lookback_scan_determinismE0ES3_S9_NS6_6detail15normal_iteratorINS6_10device_ptrIjEEEESG_SG_SG_PmS8_NS6_8equal_toIjEEEE10hipError_tPvRmT2_T3_mT4_T5_T6_T7_T8_P12ihipStream_tbENKUlT_T0_E_clISt17integral_constantIbLb0EES11_EEDaSW_SX_EUlSW_E_NS1_11comp_targetILNS1_3genE10ELNS1_11target_archE1201ELNS1_3gpuE5ELNS1_3repE0EEENS1_30default_config_static_selectorELNS0_4arch9wavefront6targetE0EEEvT1_,comdat
	.protected	_ZN7rocprim17ROCPRIM_400000_NS6detail17trampoline_kernelINS0_14default_configENS1_29reduce_by_key_config_selectorIjjN6thrust23THRUST_200600_302600_NS4plusIjEEEEZZNS1_33reduce_by_key_impl_wrapped_configILNS1_25lookback_scan_determinismE0ES3_S9_NS6_6detail15normal_iteratorINS6_10device_ptrIjEEEESG_SG_SG_PmS8_NS6_8equal_toIjEEEE10hipError_tPvRmT2_T3_mT4_T5_T6_T7_T8_P12ihipStream_tbENKUlT_T0_E_clISt17integral_constantIbLb0EES11_EEDaSW_SX_EUlSW_E_NS1_11comp_targetILNS1_3genE10ELNS1_11target_archE1201ELNS1_3gpuE5ELNS1_3repE0EEENS1_30default_config_static_selectorELNS0_4arch9wavefront6targetE0EEEvT1_ ; -- Begin function _ZN7rocprim17ROCPRIM_400000_NS6detail17trampoline_kernelINS0_14default_configENS1_29reduce_by_key_config_selectorIjjN6thrust23THRUST_200600_302600_NS4plusIjEEEEZZNS1_33reduce_by_key_impl_wrapped_configILNS1_25lookback_scan_determinismE0ES3_S9_NS6_6detail15normal_iteratorINS6_10device_ptrIjEEEESG_SG_SG_PmS8_NS6_8equal_toIjEEEE10hipError_tPvRmT2_T3_mT4_T5_T6_T7_T8_P12ihipStream_tbENKUlT_T0_E_clISt17integral_constantIbLb0EES11_EEDaSW_SX_EUlSW_E_NS1_11comp_targetILNS1_3genE10ELNS1_11target_archE1201ELNS1_3gpuE5ELNS1_3repE0EEENS1_30default_config_static_selectorELNS0_4arch9wavefront6targetE0EEEvT1_
	.globl	_ZN7rocprim17ROCPRIM_400000_NS6detail17trampoline_kernelINS0_14default_configENS1_29reduce_by_key_config_selectorIjjN6thrust23THRUST_200600_302600_NS4plusIjEEEEZZNS1_33reduce_by_key_impl_wrapped_configILNS1_25lookback_scan_determinismE0ES3_S9_NS6_6detail15normal_iteratorINS6_10device_ptrIjEEEESG_SG_SG_PmS8_NS6_8equal_toIjEEEE10hipError_tPvRmT2_T3_mT4_T5_T6_T7_T8_P12ihipStream_tbENKUlT_T0_E_clISt17integral_constantIbLb0EES11_EEDaSW_SX_EUlSW_E_NS1_11comp_targetILNS1_3genE10ELNS1_11target_archE1201ELNS1_3gpuE5ELNS1_3repE0EEENS1_30default_config_static_selectorELNS0_4arch9wavefront6targetE0EEEvT1_
	.p2align	8
	.type	_ZN7rocprim17ROCPRIM_400000_NS6detail17trampoline_kernelINS0_14default_configENS1_29reduce_by_key_config_selectorIjjN6thrust23THRUST_200600_302600_NS4plusIjEEEEZZNS1_33reduce_by_key_impl_wrapped_configILNS1_25lookback_scan_determinismE0ES3_S9_NS6_6detail15normal_iteratorINS6_10device_ptrIjEEEESG_SG_SG_PmS8_NS6_8equal_toIjEEEE10hipError_tPvRmT2_T3_mT4_T5_T6_T7_T8_P12ihipStream_tbENKUlT_T0_E_clISt17integral_constantIbLb0EES11_EEDaSW_SX_EUlSW_E_NS1_11comp_targetILNS1_3genE10ELNS1_11target_archE1201ELNS1_3gpuE5ELNS1_3repE0EEENS1_30default_config_static_selectorELNS0_4arch9wavefront6targetE0EEEvT1_,@function
_ZN7rocprim17ROCPRIM_400000_NS6detail17trampoline_kernelINS0_14default_configENS1_29reduce_by_key_config_selectorIjjN6thrust23THRUST_200600_302600_NS4plusIjEEEEZZNS1_33reduce_by_key_impl_wrapped_configILNS1_25lookback_scan_determinismE0ES3_S9_NS6_6detail15normal_iteratorINS6_10device_ptrIjEEEESG_SG_SG_PmS8_NS6_8equal_toIjEEEE10hipError_tPvRmT2_T3_mT4_T5_T6_T7_T8_P12ihipStream_tbENKUlT_T0_E_clISt17integral_constantIbLb0EES11_EEDaSW_SX_EUlSW_E_NS1_11comp_targetILNS1_3genE10ELNS1_11target_archE1201ELNS1_3gpuE5ELNS1_3repE0EEENS1_30default_config_static_selectorELNS0_4arch9wavefront6targetE0EEEvT1_: ; @_ZN7rocprim17ROCPRIM_400000_NS6detail17trampoline_kernelINS0_14default_configENS1_29reduce_by_key_config_selectorIjjN6thrust23THRUST_200600_302600_NS4plusIjEEEEZZNS1_33reduce_by_key_impl_wrapped_configILNS1_25lookback_scan_determinismE0ES3_S9_NS6_6detail15normal_iteratorINS6_10device_ptrIjEEEESG_SG_SG_PmS8_NS6_8equal_toIjEEEE10hipError_tPvRmT2_T3_mT4_T5_T6_T7_T8_P12ihipStream_tbENKUlT_T0_E_clISt17integral_constantIbLb0EES11_EEDaSW_SX_EUlSW_E_NS1_11comp_targetILNS1_3genE10ELNS1_11target_archE1201ELNS1_3gpuE5ELNS1_3repE0EEENS1_30default_config_static_selectorELNS0_4arch9wavefront6targetE0EEEvT1_
; %bb.0:
	.section	.rodata,"a",@progbits
	.p2align	6, 0x0
	.amdhsa_kernel _ZN7rocprim17ROCPRIM_400000_NS6detail17trampoline_kernelINS0_14default_configENS1_29reduce_by_key_config_selectorIjjN6thrust23THRUST_200600_302600_NS4plusIjEEEEZZNS1_33reduce_by_key_impl_wrapped_configILNS1_25lookback_scan_determinismE0ES3_S9_NS6_6detail15normal_iteratorINS6_10device_ptrIjEEEESG_SG_SG_PmS8_NS6_8equal_toIjEEEE10hipError_tPvRmT2_T3_mT4_T5_T6_T7_T8_P12ihipStream_tbENKUlT_T0_E_clISt17integral_constantIbLb0EES11_EEDaSW_SX_EUlSW_E_NS1_11comp_targetILNS1_3genE10ELNS1_11target_archE1201ELNS1_3gpuE5ELNS1_3repE0EEENS1_30default_config_static_selectorELNS0_4arch9wavefront6targetE0EEEvT1_
		.amdhsa_group_segment_fixed_size 0
		.amdhsa_private_segment_fixed_size 0
		.amdhsa_kernarg_size 120
		.amdhsa_user_sgpr_count 15
		.amdhsa_user_sgpr_dispatch_ptr 0
		.amdhsa_user_sgpr_queue_ptr 0
		.amdhsa_user_sgpr_kernarg_segment_ptr 1
		.amdhsa_user_sgpr_dispatch_id 0
		.amdhsa_user_sgpr_private_segment_size 0
		.amdhsa_wavefront_size32 1
		.amdhsa_uses_dynamic_stack 0
		.amdhsa_enable_private_segment 0
		.amdhsa_system_sgpr_workgroup_id_x 1
		.amdhsa_system_sgpr_workgroup_id_y 0
		.amdhsa_system_sgpr_workgroup_id_z 0
		.amdhsa_system_sgpr_workgroup_info 0
		.amdhsa_system_vgpr_workitem_id 0
		.amdhsa_next_free_vgpr 1
		.amdhsa_next_free_sgpr 1
		.amdhsa_reserve_vcc 0
		.amdhsa_float_round_mode_32 0
		.amdhsa_float_round_mode_16_64 0
		.amdhsa_float_denorm_mode_32 3
		.amdhsa_float_denorm_mode_16_64 3
		.amdhsa_dx10_clamp 1
		.amdhsa_ieee_mode 1
		.amdhsa_fp16_overflow 0
		.amdhsa_workgroup_processor_mode 1
		.amdhsa_memory_ordered 1
		.amdhsa_forward_progress 0
		.amdhsa_shared_vgpr_count 0
		.amdhsa_exception_fp_ieee_invalid_op 0
		.amdhsa_exception_fp_denorm_src 0
		.amdhsa_exception_fp_ieee_div_zero 0
		.amdhsa_exception_fp_ieee_overflow 0
		.amdhsa_exception_fp_ieee_underflow 0
		.amdhsa_exception_fp_ieee_inexact 0
		.amdhsa_exception_int_div_zero 0
	.end_amdhsa_kernel
	.section	.text._ZN7rocprim17ROCPRIM_400000_NS6detail17trampoline_kernelINS0_14default_configENS1_29reduce_by_key_config_selectorIjjN6thrust23THRUST_200600_302600_NS4plusIjEEEEZZNS1_33reduce_by_key_impl_wrapped_configILNS1_25lookback_scan_determinismE0ES3_S9_NS6_6detail15normal_iteratorINS6_10device_ptrIjEEEESG_SG_SG_PmS8_NS6_8equal_toIjEEEE10hipError_tPvRmT2_T3_mT4_T5_T6_T7_T8_P12ihipStream_tbENKUlT_T0_E_clISt17integral_constantIbLb0EES11_EEDaSW_SX_EUlSW_E_NS1_11comp_targetILNS1_3genE10ELNS1_11target_archE1201ELNS1_3gpuE5ELNS1_3repE0EEENS1_30default_config_static_selectorELNS0_4arch9wavefront6targetE0EEEvT1_,"axG",@progbits,_ZN7rocprim17ROCPRIM_400000_NS6detail17trampoline_kernelINS0_14default_configENS1_29reduce_by_key_config_selectorIjjN6thrust23THRUST_200600_302600_NS4plusIjEEEEZZNS1_33reduce_by_key_impl_wrapped_configILNS1_25lookback_scan_determinismE0ES3_S9_NS6_6detail15normal_iteratorINS6_10device_ptrIjEEEESG_SG_SG_PmS8_NS6_8equal_toIjEEEE10hipError_tPvRmT2_T3_mT4_T5_T6_T7_T8_P12ihipStream_tbENKUlT_T0_E_clISt17integral_constantIbLb0EES11_EEDaSW_SX_EUlSW_E_NS1_11comp_targetILNS1_3genE10ELNS1_11target_archE1201ELNS1_3gpuE5ELNS1_3repE0EEENS1_30default_config_static_selectorELNS0_4arch9wavefront6targetE0EEEvT1_,comdat
.Lfunc_end320:
	.size	_ZN7rocprim17ROCPRIM_400000_NS6detail17trampoline_kernelINS0_14default_configENS1_29reduce_by_key_config_selectorIjjN6thrust23THRUST_200600_302600_NS4plusIjEEEEZZNS1_33reduce_by_key_impl_wrapped_configILNS1_25lookback_scan_determinismE0ES3_S9_NS6_6detail15normal_iteratorINS6_10device_ptrIjEEEESG_SG_SG_PmS8_NS6_8equal_toIjEEEE10hipError_tPvRmT2_T3_mT4_T5_T6_T7_T8_P12ihipStream_tbENKUlT_T0_E_clISt17integral_constantIbLb0EES11_EEDaSW_SX_EUlSW_E_NS1_11comp_targetILNS1_3genE10ELNS1_11target_archE1201ELNS1_3gpuE5ELNS1_3repE0EEENS1_30default_config_static_selectorELNS0_4arch9wavefront6targetE0EEEvT1_, .Lfunc_end320-_ZN7rocprim17ROCPRIM_400000_NS6detail17trampoline_kernelINS0_14default_configENS1_29reduce_by_key_config_selectorIjjN6thrust23THRUST_200600_302600_NS4plusIjEEEEZZNS1_33reduce_by_key_impl_wrapped_configILNS1_25lookback_scan_determinismE0ES3_S9_NS6_6detail15normal_iteratorINS6_10device_ptrIjEEEESG_SG_SG_PmS8_NS6_8equal_toIjEEEE10hipError_tPvRmT2_T3_mT4_T5_T6_T7_T8_P12ihipStream_tbENKUlT_T0_E_clISt17integral_constantIbLb0EES11_EEDaSW_SX_EUlSW_E_NS1_11comp_targetILNS1_3genE10ELNS1_11target_archE1201ELNS1_3gpuE5ELNS1_3repE0EEENS1_30default_config_static_selectorELNS0_4arch9wavefront6targetE0EEEvT1_
                                        ; -- End function
	.section	.AMDGPU.csdata,"",@progbits
; Kernel info:
; codeLenInByte = 0
; NumSgprs: 0
; NumVgprs: 0
; ScratchSize: 0
; MemoryBound: 0
; FloatMode: 240
; IeeeMode: 1
; LDSByteSize: 0 bytes/workgroup (compile time only)
; SGPRBlocks: 0
; VGPRBlocks: 0
; NumSGPRsForWavesPerEU: 1
; NumVGPRsForWavesPerEU: 1
; Occupancy: 16
; WaveLimiterHint : 0
; COMPUTE_PGM_RSRC2:SCRATCH_EN: 0
; COMPUTE_PGM_RSRC2:USER_SGPR: 15
; COMPUTE_PGM_RSRC2:TRAP_HANDLER: 0
; COMPUTE_PGM_RSRC2:TGID_X_EN: 1
; COMPUTE_PGM_RSRC2:TGID_Y_EN: 0
; COMPUTE_PGM_RSRC2:TGID_Z_EN: 0
; COMPUTE_PGM_RSRC2:TIDIG_COMP_CNT: 0
	.section	.text._ZN7rocprim17ROCPRIM_400000_NS6detail17trampoline_kernelINS0_14default_configENS1_29reduce_by_key_config_selectorIjjN6thrust23THRUST_200600_302600_NS4plusIjEEEEZZNS1_33reduce_by_key_impl_wrapped_configILNS1_25lookback_scan_determinismE0ES3_S9_NS6_6detail15normal_iteratorINS6_10device_ptrIjEEEESG_SG_SG_PmS8_NS6_8equal_toIjEEEE10hipError_tPvRmT2_T3_mT4_T5_T6_T7_T8_P12ihipStream_tbENKUlT_T0_E_clISt17integral_constantIbLb0EES11_EEDaSW_SX_EUlSW_E_NS1_11comp_targetILNS1_3genE10ELNS1_11target_archE1200ELNS1_3gpuE4ELNS1_3repE0EEENS1_30default_config_static_selectorELNS0_4arch9wavefront6targetE0EEEvT1_,"axG",@progbits,_ZN7rocprim17ROCPRIM_400000_NS6detail17trampoline_kernelINS0_14default_configENS1_29reduce_by_key_config_selectorIjjN6thrust23THRUST_200600_302600_NS4plusIjEEEEZZNS1_33reduce_by_key_impl_wrapped_configILNS1_25lookback_scan_determinismE0ES3_S9_NS6_6detail15normal_iteratorINS6_10device_ptrIjEEEESG_SG_SG_PmS8_NS6_8equal_toIjEEEE10hipError_tPvRmT2_T3_mT4_T5_T6_T7_T8_P12ihipStream_tbENKUlT_T0_E_clISt17integral_constantIbLb0EES11_EEDaSW_SX_EUlSW_E_NS1_11comp_targetILNS1_3genE10ELNS1_11target_archE1200ELNS1_3gpuE4ELNS1_3repE0EEENS1_30default_config_static_selectorELNS0_4arch9wavefront6targetE0EEEvT1_,comdat
	.protected	_ZN7rocprim17ROCPRIM_400000_NS6detail17trampoline_kernelINS0_14default_configENS1_29reduce_by_key_config_selectorIjjN6thrust23THRUST_200600_302600_NS4plusIjEEEEZZNS1_33reduce_by_key_impl_wrapped_configILNS1_25lookback_scan_determinismE0ES3_S9_NS6_6detail15normal_iteratorINS6_10device_ptrIjEEEESG_SG_SG_PmS8_NS6_8equal_toIjEEEE10hipError_tPvRmT2_T3_mT4_T5_T6_T7_T8_P12ihipStream_tbENKUlT_T0_E_clISt17integral_constantIbLb0EES11_EEDaSW_SX_EUlSW_E_NS1_11comp_targetILNS1_3genE10ELNS1_11target_archE1200ELNS1_3gpuE4ELNS1_3repE0EEENS1_30default_config_static_selectorELNS0_4arch9wavefront6targetE0EEEvT1_ ; -- Begin function _ZN7rocprim17ROCPRIM_400000_NS6detail17trampoline_kernelINS0_14default_configENS1_29reduce_by_key_config_selectorIjjN6thrust23THRUST_200600_302600_NS4plusIjEEEEZZNS1_33reduce_by_key_impl_wrapped_configILNS1_25lookback_scan_determinismE0ES3_S9_NS6_6detail15normal_iteratorINS6_10device_ptrIjEEEESG_SG_SG_PmS8_NS6_8equal_toIjEEEE10hipError_tPvRmT2_T3_mT4_T5_T6_T7_T8_P12ihipStream_tbENKUlT_T0_E_clISt17integral_constantIbLb0EES11_EEDaSW_SX_EUlSW_E_NS1_11comp_targetILNS1_3genE10ELNS1_11target_archE1200ELNS1_3gpuE4ELNS1_3repE0EEENS1_30default_config_static_selectorELNS0_4arch9wavefront6targetE0EEEvT1_
	.globl	_ZN7rocprim17ROCPRIM_400000_NS6detail17trampoline_kernelINS0_14default_configENS1_29reduce_by_key_config_selectorIjjN6thrust23THRUST_200600_302600_NS4plusIjEEEEZZNS1_33reduce_by_key_impl_wrapped_configILNS1_25lookback_scan_determinismE0ES3_S9_NS6_6detail15normal_iteratorINS6_10device_ptrIjEEEESG_SG_SG_PmS8_NS6_8equal_toIjEEEE10hipError_tPvRmT2_T3_mT4_T5_T6_T7_T8_P12ihipStream_tbENKUlT_T0_E_clISt17integral_constantIbLb0EES11_EEDaSW_SX_EUlSW_E_NS1_11comp_targetILNS1_3genE10ELNS1_11target_archE1200ELNS1_3gpuE4ELNS1_3repE0EEENS1_30default_config_static_selectorELNS0_4arch9wavefront6targetE0EEEvT1_
	.p2align	8
	.type	_ZN7rocprim17ROCPRIM_400000_NS6detail17trampoline_kernelINS0_14default_configENS1_29reduce_by_key_config_selectorIjjN6thrust23THRUST_200600_302600_NS4plusIjEEEEZZNS1_33reduce_by_key_impl_wrapped_configILNS1_25lookback_scan_determinismE0ES3_S9_NS6_6detail15normal_iteratorINS6_10device_ptrIjEEEESG_SG_SG_PmS8_NS6_8equal_toIjEEEE10hipError_tPvRmT2_T3_mT4_T5_T6_T7_T8_P12ihipStream_tbENKUlT_T0_E_clISt17integral_constantIbLb0EES11_EEDaSW_SX_EUlSW_E_NS1_11comp_targetILNS1_3genE10ELNS1_11target_archE1200ELNS1_3gpuE4ELNS1_3repE0EEENS1_30default_config_static_selectorELNS0_4arch9wavefront6targetE0EEEvT1_,@function
_ZN7rocprim17ROCPRIM_400000_NS6detail17trampoline_kernelINS0_14default_configENS1_29reduce_by_key_config_selectorIjjN6thrust23THRUST_200600_302600_NS4plusIjEEEEZZNS1_33reduce_by_key_impl_wrapped_configILNS1_25lookback_scan_determinismE0ES3_S9_NS6_6detail15normal_iteratorINS6_10device_ptrIjEEEESG_SG_SG_PmS8_NS6_8equal_toIjEEEE10hipError_tPvRmT2_T3_mT4_T5_T6_T7_T8_P12ihipStream_tbENKUlT_T0_E_clISt17integral_constantIbLb0EES11_EEDaSW_SX_EUlSW_E_NS1_11comp_targetILNS1_3genE10ELNS1_11target_archE1200ELNS1_3gpuE4ELNS1_3repE0EEENS1_30default_config_static_selectorELNS0_4arch9wavefront6targetE0EEEvT1_: ; @_ZN7rocprim17ROCPRIM_400000_NS6detail17trampoline_kernelINS0_14default_configENS1_29reduce_by_key_config_selectorIjjN6thrust23THRUST_200600_302600_NS4plusIjEEEEZZNS1_33reduce_by_key_impl_wrapped_configILNS1_25lookback_scan_determinismE0ES3_S9_NS6_6detail15normal_iteratorINS6_10device_ptrIjEEEESG_SG_SG_PmS8_NS6_8equal_toIjEEEE10hipError_tPvRmT2_T3_mT4_T5_T6_T7_T8_P12ihipStream_tbENKUlT_T0_E_clISt17integral_constantIbLb0EES11_EEDaSW_SX_EUlSW_E_NS1_11comp_targetILNS1_3genE10ELNS1_11target_archE1200ELNS1_3gpuE4ELNS1_3repE0EEENS1_30default_config_static_selectorELNS0_4arch9wavefront6targetE0EEEvT1_
; %bb.0:
	.section	.rodata,"a",@progbits
	.p2align	6, 0x0
	.amdhsa_kernel _ZN7rocprim17ROCPRIM_400000_NS6detail17trampoline_kernelINS0_14default_configENS1_29reduce_by_key_config_selectorIjjN6thrust23THRUST_200600_302600_NS4plusIjEEEEZZNS1_33reduce_by_key_impl_wrapped_configILNS1_25lookback_scan_determinismE0ES3_S9_NS6_6detail15normal_iteratorINS6_10device_ptrIjEEEESG_SG_SG_PmS8_NS6_8equal_toIjEEEE10hipError_tPvRmT2_T3_mT4_T5_T6_T7_T8_P12ihipStream_tbENKUlT_T0_E_clISt17integral_constantIbLb0EES11_EEDaSW_SX_EUlSW_E_NS1_11comp_targetILNS1_3genE10ELNS1_11target_archE1200ELNS1_3gpuE4ELNS1_3repE0EEENS1_30default_config_static_selectorELNS0_4arch9wavefront6targetE0EEEvT1_
		.amdhsa_group_segment_fixed_size 0
		.amdhsa_private_segment_fixed_size 0
		.amdhsa_kernarg_size 120
		.amdhsa_user_sgpr_count 15
		.amdhsa_user_sgpr_dispatch_ptr 0
		.amdhsa_user_sgpr_queue_ptr 0
		.amdhsa_user_sgpr_kernarg_segment_ptr 1
		.amdhsa_user_sgpr_dispatch_id 0
		.amdhsa_user_sgpr_private_segment_size 0
		.amdhsa_wavefront_size32 1
		.amdhsa_uses_dynamic_stack 0
		.amdhsa_enable_private_segment 0
		.amdhsa_system_sgpr_workgroup_id_x 1
		.amdhsa_system_sgpr_workgroup_id_y 0
		.amdhsa_system_sgpr_workgroup_id_z 0
		.amdhsa_system_sgpr_workgroup_info 0
		.amdhsa_system_vgpr_workitem_id 0
		.amdhsa_next_free_vgpr 1
		.amdhsa_next_free_sgpr 1
		.amdhsa_reserve_vcc 0
		.amdhsa_float_round_mode_32 0
		.amdhsa_float_round_mode_16_64 0
		.amdhsa_float_denorm_mode_32 3
		.amdhsa_float_denorm_mode_16_64 3
		.amdhsa_dx10_clamp 1
		.amdhsa_ieee_mode 1
		.amdhsa_fp16_overflow 0
		.amdhsa_workgroup_processor_mode 1
		.amdhsa_memory_ordered 1
		.amdhsa_forward_progress 0
		.amdhsa_shared_vgpr_count 0
		.amdhsa_exception_fp_ieee_invalid_op 0
		.amdhsa_exception_fp_denorm_src 0
		.amdhsa_exception_fp_ieee_div_zero 0
		.amdhsa_exception_fp_ieee_overflow 0
		.amdhsa_exception_fp_ieee_underflow 0
		.amdhsa_exception_fp_ieee_inexact 0
		.amdhsa_exception_int_div_zero 0
	.end_amdhsa_kernel
	.section	.text._ZN7rocprim17ROCPRIM_400000_NS6detail17trampoline_kernelINS0_14default_configENS1_29reduce_by_key_config_selectorIjjN6thrust23THRUST_200600_302600_NS4plusIjEEEEZZNS1_33reduce_by_key_impl_wrapped_configILNS1_25lookback_scan_determinismE0ES3_S9_NS6_6detail15normal_iteratorINS6_10device_ptrIjEEEESG_SG_SG_PmS8_NS6_8equal_toIjEEEE10hipError_tPvRmT2_T3_mT4_T5_T6_T7_T8_P12ihipStream_tbENKUlT_T0_E_clISt17integral_constantIbLb0EES11_EEDaSW_SX_EUlSW_E_NS1_11comp_targetILNS1_3genE10ELNS1_11target_archE1200ELNS1_3gpuE4ELNS1_3repE0EEENS1_30default_config_static_selectorELNS0_4arch9wavefront6targetE0EEEvT1_,"axG",@progbits,_ZN7rocprim17ROCPRIM_400000_NS6detail17trampoline_kernelINS0_14default_configENS1_29reduce_by_key_config_selectorIjjN6thrust23THRUST_200600_302600_NS4plusIjEEEEZZNS1_33reduce_by_key_impl_wrapped_configILNS1_25lookback_scan_determinismE0ES3_S9_NS6_6detail15normal_iteratorINS6_10device_ptrIjEEEESG_SG_SG_PmS8_NS6_8equal_toIjEEEE10hipError_tPvRmT2_T3_mT4_T5_T6_T7_T8_P12ihipStream_tbENKUlT_T0_E_clISt17integral_constantIbLb0EES11_EEDaSW_SX_EUlSW_E_NS1_11comp_targetILNS1_3genE10ELNS1_11target_archE1200ELNS1_3gpuE4ELNS1_3repE0EEENS1_30default_config_static_selectorELNS0_4arch9wavefront6targetE0EEEvT1_,comdat
.Lfunc_end321:
	.size	_ZN7rocprim17ROCPRIM_400000_NS6detail17trampoline_kernelINS0_14default_configENS1_29reduce_by_key_config_selectorIjjN6thrust23THRUST_200600_302600_NS4plusIjEEEEZZNS1_33reduce_by_key_impl_wrapped_configILNS1_25lookback_scan_determinismE0ES3_S9_NS6_6detail15normal_iteratorINS6_10device_ptrIjEEEESG_SG_SG_PmS8_NS6_8equal_toIjEEEE10hipError_tPvRmT2_T3_mT4_T5_T6_T7_T8_P12ihipStream_tbENKUlT_T0_E_clISt17integral_constantIbLb0EES11_EEDaSW_SX_EUlSW_E_NS1_11comp_targetILNS1_3genE10ELNS1_11target_archE1200ELNS1_3gpuE4ELNS1_3repE0EEENS1_30default_config_static_selectorELNS0_4arch9wavefront6targetE0EEEvT1_, .Lfunc_end321-_ZN7rocprim17ROCPRIM_400000_NS6detail17trampoline_kernelINS0_14default_configENS1_29reduce_by_key_config_selectorIjjN6thrust23THRUST_200600_302600_NS4plusIjEEEEZZNS1_33reduce_by_key_impl_wrapped_configILNS1_25lookback_scan_determinismE0ES3_S9_NS6_6detail15normal_iteratorINS6_10device_ptrIjEEEESG_SG_SG_PmS8_NS6_8equal_toIjEEEE10hipError_tPvRmT2_T3_mT4_T5_T6_T7_T8_P12ihipStream_tbENKUlT_T0_E_clISt17integral_constantIbLb0EES11_EEDaSW_SX_EUlSW_E_NS1_11comp_targetILNS1_3genE10ELNS1_11target_archE1200ELNS1_3gpuE4ELNS1_3repE0EEENS1_30default_config_static_selectorELNS0_4arch9wavefront6targetE0EEEvT1_
                                        ; -- End function
	.section	.AMDGPU.csdata,"",@progbits
; Kernel info:
; codeLenInByte = 0
; NumSgprs: 0
; NumVgprs: 0
; ScratchSize: 0
; MemoryBound: 0
; FloatMode: 240
; IeeeMode: 1
; LDSByteSize: 0 bytes/workgroup (compile time only)
; SGPRBlocks: 0
; VGPRBlocks: 0
; NumSGPRsForWavesPerEU: 1
; NumVGPRsForWavesPerEU: 1
; Occupancy: 16
; WaveLimiterHint : 0
; COMPUTE_PGM_RSRC2:SCRATCH_EN: 0
; COMPUTE_PGM_RSRC2:USER_SGPR: 15
; COMPUTE_PGM_RSRC2:TRAP_HANDLER: 0
; COMPUTE_PGM_RSRC2:TGID_X_EN: 1
; COMPUTE_PGM_RSRC2:TGID_Y_EN: 0
; COMPUTE_PGM_RSRC2:TGID_Z_EN: 0
; COMPUTE_PGM_RSRC2:TIDIG_COMP_CNT: 0
	.section	.text._ZN7rocprim17ROCPRIM_400000_NS6detail17trampoline_kernelINS0_14default_configENS1_29reduce_by_key_config_selectorIjjN6thrust23THRUST_200600_302600_NS4plusIjEEEEZZNS1_33reduce_by_key_impl_wrapped_configILNS1_25lookback_scan_determinismE0ES3_S9_NS6_6detail15normal_iteratorINS6_10device_ptrIjEEEESG_SG_SG_PmS8_NS6_8equal_toIjEEEE10hipError_tPvRmT2_T3_mT4_T5_T6_T7_T8_P12ihipStream_tbENKUlT_T0_E_clISt17integral_constantIbLb0EES11_EEDaSW_SX_EUlSW_E_NS1_11comp_targetILNS1_3genE9ELNS1_11target_archE1100ELNS1_3gpuE3ELNS1_3repE0EEENS1_30default_config_static_selectorELNS0_4arch9wavefront6targetE0EEEvT1_,"axG",@progbits,_ZN7rocprim17ROCPRIM_400000_NS6detail17trampoline_kernelINS0_14default_configENS1_29reduce_by_key_config_selectorIjjN6thrust23THRUST_200600_302600_NS4plusIjEEEEZZNS1_33reduce_by_key_impl_wrapped_configILNS1_25lookback_scan_determinismE0ES3_S9_NS6_6detail15normal_iteratorINS6_10device_ptrIjEEEESG_SG_SG_PmS8_NS6_8equal_toIjEEEE10hipError_tPvRmT2_T3_mT4_T5_T6_T7_T8_P12ihipStream_tbENKUlT_T0_E_clISt17integral_constantIbLb0EES11_EEDaSW_SX_EUlSW_E_NS1_11comp_targetILNS1_3genE9ELNS1_11target_archE1100ELNS1_3gpuE3ELNS1_3repE0EEENS1_30default_config_static_selectorELNS0_4arch9wavefront6targetE0EEEvT1_,comdat
	.protected	_ZN7rocprim17ROCPRIM_400000_NS6detail17trampoline_kernelINS0_14default_configENS1_29reduce_by_key_config_selectorIjjN6thrust23THRUST_200600_302600_NS4plusIjEEEEZZNS1_33reduce_by_key_impl_wrapped_configILNS1_25lookback_scan_determinismE0ES3_S9_NS6_6detail15normal_iteratorINS6_10device_ptrIjEEEESG_SG_SG_PmS8_NS6_8equal_toIjEEEE10hipError_tPvRmT2_T3_mT4_T5_T6_T7_T8_P12ihipStream_tbENKUlT_T0_E_clISt17integral_constantIbLb0EES11_EEDaSW_SX_EUlSW_E_NS1_11comp_targetILNS1_3genE9ELNS1_11target_archE1100ELNS1_3gpuE3ELNS1_3repE0EEENS1_30default_config_static_selectorELNS0_4arch9wavefront6targetE0EEEvT1_ ; -- Begin function _ZN7rocprim17ROCPRIM_400000_NS6detail17trampoline_kernelINS0_14default_configENS1_29reduce_by_key_config_selectorIjjN6thrust23THRUST_200600_302600_NS4plusIjEEEEZZNS1_33reduce_by_key_impl_wrapped_configILNS1_25lookback_scan_determinismE0ES3_S9_NS6_6detail15normal_iteratorINS6_10device_ptrIjEEEESG_SG_SG_PmS8_NS6_8equal_toIjEEEE10hipError_tPvRmT2_T3_mT4_T5_T6_T7_T8_P12ihipStream_tbENKUlT_T0_E_clISt17integral_constantIbLb0EES11_EEDaSW_SX_EUlSW_E_NS1_11comp_targetILNS1_3genE9ELNS1_11target_archE1100ELNS1_3gpuE3ELNS1_3repE0EEENS1_30default_config_static_selectorELNS0_4arch9wavefront6targetE0EEEvT1_
	.globl	_ZN7rocprim17ROCPRIM_400000_NS6detail17trampoline_kernelINS0_14default_configENS1_29reduce_by_key_config_selectorIjjN6thrust23THRUST_200600_302600_NS4plusIjEEEEZZNS1_33reduce_by_key_impl_wrapped_configILNS1_25lookback_scan_determinismE0ES3_S9_NS6_6detail15normal_iteratorINS6_10device_ptrIjEEEESG_SG_SG_PmS8_NS6_8equal_toIjEEEE10hipError_tPvRmT2_T3_mT4_T5_T6_T7_T8_P12ihipStream_tbENKUlT_T0_E_clISt17integral_constantIbLb0EES11_EEDaSW_SX_EUlSW_E_NS1_11comp_targetILNS1_3genE9ELNS1_11target_archE1100ELNS1_3gpuE3ELNS1_3repE0EEENS1_30default_config_static_selectorELNS0_4arch9wavefront6targetE0EEEvT1_
	.p2align	8
	.type	_ZN7rocprim17ROCPRIM_400000_NS6detail17trampoline_kernelINS0_14default_configENS1_29reduce_by_key_config_selectorIjjN6thrust23THRUST_200600_302600_NS4plusIjEEEEZZNS1_33reduce_by_key_impl_wrapped_configILNS1_25lookback_scan_determinismE0ES3_S9_NS6_6detail15normal_iteratorINS6_10device_ptrIjEEEESG_SG_SG_PmS8_NS6_8equal_toIjEEEE10hipError_tPvRmT2_T3_mT4_T5_T6_T7_T8_P12ihipStream_tbENKUlT_T0_E_clISt17integral_constantIbLb0EES11_EEDaSW_SX_EUlSW_E_NS1_11comp_targetILNS1_3genE9ELNS1_11target_archE1100ELNS1_3gpuE3ELNS1_3repE0EEENS1_30default_config_static_selectorELNS0_4arch9wavefront6targetE0EEEvT1_,@function
_ZN7rocprim17ROCPRIM_400000_NS6detail17trampoline_kernelINS0_14default_configENS1_29reduce_by_key_config_selectorIjjN6thrust23THRUST_200600_302600_NS4plusIjEEEEZZNS1_33reduce_by_key_impl_wrapped_configILNS1_25lookback_scan_determinismE0ES3_S9_NS6_6detail15normal_iteratorINS6_10device_ptrIjEEEESG_SG_SG_PmS8_NS6_8equal_toIjEEEE10hipError_tPvRmT2_T3_mT4_T5_T6_T7_T8_P12ihipStream_tbENKUlT_T0_E_clISt17integral_constantIbLb0EES11_EEDaSW_SX_EUlSW_E_NS1_11comp_targetILNS1_3genE9ELNS1_11target_archE1100ELNS1_3gpuE3ELNS1_3repE0EEENS1_30default_config_static_selectorELNS0_4arch9wavefront6targetE0EEEvT1_: ; @_ZN7rocprim17ROCPRIM_400000_NS6detail17trampoline_kernelINS0_14default_configENS1_29reduce_by_key_config_selectorIjjN6thrust23THRUST_200600_302600_NS4plusIjEEEEZZNS1_33reduce_by_key_impl_wrapped_configILNS1_25lookback_scan_determinismE0ES3_S9_NS6_6detail15normal_iteratorINS6_10device_ptrIjEEEESG_SG_SG_PmS8_NS6_8equal_toIjEEEE10hipError_tPvRmT2_T3_mT4_T5_T6_T7_T8_P12ihipStream_tbENKUlT_T0_E_clISt17integral_constantIbLb0EES11_EEDaSW_SX_EUlSW_E_NS1_11comp_targetILNS1_3genE9ELNS1_11target_archE1100ELNS1_3gpuE3ELNS1_3repE0EEENS1_30default_config_static_selectorELNS0_4arch9wavefront6targetE0EEEvT1_
; %bb.0:
	s_clause 0x4
	s_load_b256 s[16:23], s[0:1], 0x0
	s_load_b256 s[24:31], s[0:1], 0x38
	s_load_b128 s[36:39], s[0:1], 0x20
	s_load_b64 s[34:35], s[0:1], 0x68
	s_load_b128 s[40:43], s[0:1], 0x58
	s_mov_b32 s3, 0
	s_mul_i32 s2, s15, 0xf00
	s_waitcnt lgkmcnt(0)
	s_lshl_b64 s[0:1], s[18:19], 2
	s_mul_i32 s4, s28, s27
	s_add_u32 s8, s16, s0
	s_mul_hi_u32 s5, s28, s26
	s_addc_u32 s9, s17, s1
	s_add_u32 s10, s20, s0
	s_mul_i32 s6, s29, s26
	s_addc_u32 s11, s21, s1
	s_add_i32 s4, s5, s4
	s_lshl_b64 s[0:1], s[2:3], 2
	s_add_i32 s4, s4, s6
	s_add_u32 s33, s8, s0
	s_addc_u32 s29, s9, s1
	s_mul_i32 s7, s28, s26
	s_add_u32 s18, s10, s0
	s_addc_u32 s19, s11, s1
	s_add_u32 s16, s7, s15
	s_addc_u32 s17, s4, 0
	s_add_u32 s0, s30, -1
	s_addc_u32 s1, s31, -1
	s_mul_i32 s21, s0, 0xfffff100
	s_cmp_eq_u64 s[16:17], s[0:1]
	s_cselect_b32 s20, -1, 0
	s_cmp_lg_u64 s[16:17], s[0:1]
	s_cselect_b32 s14, -1, 0
	s_and_b32 vcc_lo, exec_lo, s20
	s_cbranch_vccnz .LBB322_2
; %bb.1:
	v_lshlrev_b32_e32 v8, 2, v0
	s_delay_alu instid0(VALU_DEP_1) | instskip(NEXT) | instid1(VALU_DEP_1)
	v_add_co_u32 v1, s0, s33, v8
	v_add_co_ci_u32_e64 v2, null, s29, 0, s0
	s_delay_alu instid0(VALU_DEP_2) | instskip(NEXT) | instid1(VALU_DEP_2)
	v_add_co_u32 v3, vcc_lo, 0x1000, v1
	v_add_co_ci_u32_e32 v4, vcc_lo, 0, v2, vcc_lo
	s_clause 0x7
	flat_load_b32 v9, v[1:2]
	flat_load_b32 v10, v[1:2] offset:1024
	flat_load_b32 v11, v[1:2] offset:2048
	;; [unrolled: 1-line block ×3, first 2 shown]
	flat_load_b32 v13, v[3:4]
	flat_load_b32 v14, v[3:4] offset:1024
	flat_load_b32 v15, v[3:4] offset:2048
	;; [unrolled: 1-line block ×3, first 2 shown]
	v_add_co_u32 v3, vcc_lo, 0x2000, v1
	v_add_co_ci_u32_e32 v4, vcc_lo, 0, v2, vcc_lo
	v_add_co_u32 v1, vcc_lo, 0x3000, v1
	v_add_co_ci_u32_e32 v2, vcc_lo, 0, v2, vcc_lo
	s_clause 0x6
	flat_load_b32 v17, v[3:4]
	flat_load_b32 v18, v[3:4] offset:1024
	flat_load_b32 v19, v[3:4] offset:2048
	;; [unrolled: 1-line block ×3, first 2 shown]
	flat_load_b32 v21, v[1:2]
	flat_load_b32 v22, v[1:2] offset:1024
	flat_load_b32 v25, v[1:2] offset:2048
	v_add_co_u32 v2, s0, s18, v8
	s_delay_alu instid0(VALU_DEP_1) | instskip(SKIP_1) | instid1(VALU_DEP_3)
	v_add_co_ci_u32_e64 v3, null, s19, 0, s0
	v_mad_u32_u24 v1, v0, 56, v8
	v_add_co_u32 v4, vcc_lo, 0x1000, v2
	s_delay_alu instid0(VALU_DEP_3)
	v_add_co_ci_u32_e32 v5, vcc_lo, 0, v3, vcc_lo
	v_add_co_u32 v6, vcc_lo, 0x2000, v2
	v_add_co_ci_u32_e32 v7, vcc_lo, 0, v3, vcc_lo
	v_add_co_u32 v23, vcc_lo, 0x3000, v2
	v_add_co_ci_u32_e32 v24, vcc_lo, 0, v3, vcc_lo
	s_waitcnt vmcnt(13) lgkmcnt(13)
	ds_store_2addr_stride64_b32 v8, v9, v10 offset1:4
	s_waitcnt vmcnt(11) lgkmcnt(12)
	ds_store_2addr_stride64_b32 v8, v11, v12 offset0:8 offset1:12
	s_waitcnt vmcnt(9) lgkmcnt(11)
	ds_store_2addr_stride64_b32 v8, v13, v14 offset0:16 offset1:20
	;; [unrolled: 2-line block ×6, first 2 shown]
	s_waitcnt vmcnt(0) lgkmcnt(7)
	ds_store_b32 v8, v25 offset:14336
	s_waitcnt lgkmcnt(0)
	s_barrier
	buffer_gl0_inv
	ds_load_2addr_b32 v[21:22], v1 offset1:1
	ds_load_2addr_b32 v[19:20], v1 offset0:2 offset1:3
	ds_load_2addr_b32 v[17:18], v1 offset0:4 offset1:5
	;; [unrolled: 1-line block ×6, first 2 shown]
	ds_load_b32 v63, v1 offset:56
	s_waitcnt lgkmcnt(0)
	s_barrier
	buffer_gl0_inv
	s_clause 0xe
	flat_load_b32 v25, v[2:3]
	flat_load_b32 v26, v[2:3] offset:1024
	flat_load_b32 v27, v[2:3] offset:2048
	flat_load_b32 v2, v[2:3] offset:3072
	flat_load_b32 v3, v[4:5]
	flat_load_b32 v28, v[4:5] offset:1024
	flat_load_b32 v29, v[4:5] offset:2048
	flat_load_b32 v4, v[4:5] offset:3072
	;; [unrolled: 4-line block ×3, first 2 shown]
	flat_load_b32 v7, v[23:24]
	flat_load_b32 v32, v[23:24] offset:1024
	flat_load_b32 v23, v[23:24] offset:2048
	s_waitcnt vmcnt(13) lgkmcnt(13)
	ds_store_2addr_stride64_b32 v8, v25, v26 offset1:4
	s_waitcnt vmcnt(11) lgkmcnt(12)
	ds_store_2addr_stride64_b32 v8, v27, v2 offset0:8 offset1:12
	s_waitcnt vmcnt(9) lgkmcnt(11)
	ds_store_2addr_stride64_b32 v8, v3, v28 offset0:16 offset1:20
	;; [unrolled: 2-line block ×6, first 2 shown]
	s_waitcnt vmcnt(0) lgkmcnt(7)
	ds_store_b32 v8, v23 offset:14336
	s_waitcnt lgkmcnt(0)
	s_barrier
	s_and_not1_b32 vcc_lo, exec_lo, s3
	s_add_i32 s21, s21, s40
	s_cbranch_vccz .LBB322_3
	s_branch .LBB322_50
.LBB322_2:
                                        ; implicit-def: $vgpr1
                                        ; implicit-def: $vgpr21
                                        ; implicit-def: $vgpr19
                                        ; implicit-def: $vgpr17
                                        ; implicit-def: $vgpr15
                                        ; implicit-def: $vgpr13
                                        ; implicit-def: $vgpr11
                                        ; implicit-def: $vgpr9
                                        ; implicit-def: $vgpr63
	s_add_i32 s21, s21, s40
.LBB322_3:
	s_delay_alu instid0(SALU_CYCLE_1)
	v_cmp_gt_u32_e32 vcc_lo, s21, v0
                                        ; implicit-def: $vgpr1
	s_and_saveexec_b32 s0, vcc_lo
	s_cbranch_execz .LBB322_5
; %bb.4:
	v_lshlrev_b32_e32 v1, 2, v0
	s_delay_alu instid0(VALU_DEP_1) | instskip(NEXT) | instid1(VALU_DEP_1)
	v_add_co_u32 v1, s1, s33, v1
	v_add_co_ci_u32_e64 v2, null, s29, 0, s1
	flat_load_b32 v1, v[1:2]
.LBB322_5:
	s_or_b32 exec_lo, exec_lo, s0
	v_or_b32_e32 v2, 0x100, v0
                                        ; implicit-def: $vgpr9
	s_delay_alu instid0(VALU_DEP_1) | instskip(NEXT) | instid1(VALU_DEP_1)
	v_cmp_gt_u32_e64 s0, s21, v2
	s_and_saveexec_b32 s1, s0
	s_cbranch_execz .LBB322_7
; %bb.6:
	v_lshlrev_b32_e32 v2, 2, v0
	s_delay_alu instid0(VALU_DEP_1) | instskip(NEXT) | instid1(VALU_DEP_1)
	v_add_co_u32 v2, s2, s33, v2
	v_add_co_ci_u32_e64 v3, null, s29, 0, s2
	flat_load_b32 v9, v[2:3] offset:1024
.LBB322_7:
	s_or_b32 exec_lo, exec_lo, s1
	v_or_b32_e32 v2, 0x200, v0
                                        ; implicit-def: $vgpr10
	s_delay_alu instid0(VALU_DEP_1) | instskip(NEXT) | instid1(VALU_DEP_1)
	v_cmp_gt_u32_e64 s1, s21, v2
	s_and_saveexec_b32 s2, s1
	s_cbranch_execz .LBB322_9
; %bb.8:
	v_lshlrev_b32_e32 v2, 2, v0
	s_delay_alu instid0(VALU_DEP_1) | instskip(NEXT) | instid1(VALU_DEP_1)
	v_add_co_u32 v2, s3, s33, v2
	v_add_co_ci_u32_e64 v3, null, s29, 0, s3
	flat_load_b32 v10, v[2:3] offset:2048
.LBB322_9:
	s_or_b32 exec_lo, exec_lo, s2
	v_or_b32_e32 v2, 0x300, v0
                                        ; implicit-def: $vgpr11
	s_delay_alu instid0(VALU_DEP_1) | instskip(NEXT) | instid1(VALU_DEP_1)
	v_cmp_gt_u32_e64 s2, s21, v2
	s_and_saveexec_b32 s3, s2
	s_cbranch_execz .LBB322_11
; %bb.10:
	v_lshlrev_b32_e32 v2, 2, v0
	s_delay_alu instid0(VALU_DEP_1) | instskip(NEXT) | instid1(VALU_DEP_1)
	v_add_co_u32 v2, s4, s33, v2
	v_add_co_ci_u32_e64 v3, null, s29, 0, s4
	flat_load_b32 v11, v[2:3] offset:3072
.LBB322_11:
	s_or_b32 exec_lo, exec_lo, s3
	v_or_b32_e32 v2, 0x400, v0
                                        ; implicit-def: $vgpr12
	s_delay_alu instid0(VALU_DEP_1) | instskip(SKIP_1) | instid1(VALU_DEP_2)
	v_cmp_gt_u32_e64 s3, s21, v2
	v_lshlrev_b32_e32 v2, 2, v2
	s_and_saveexec_b32 s4, s3
	s_cbranch_execz .LBB322_13
; %bb.12:
	s_delay_alu instid0(VALU_DEP_1) | instskip(NEXT) | instid1(VALU_DEP_1)
	v_add_co_u32 v3, s5, s33, v2
	v_add_co_ci_u32_e64 v4, null, s29, 0, s5
	flat_load_b32 v12, v[3:4]
.LBB322_13:
	s_or_b32 exec_lo, exec_lo, s4
	v_or_b32_e32 v3, 0x500, v0
                                        ; implicit-def: $vgpr13
	s_delay_alu instid0(VALU_DEP_1) | instskip(SKIP_1) | instid1(VALU_DEP_2)
	v_cmp_gt_u32_e64 s4, s21, v3
	v_lshlrev_b32_e32 v3, 2, v3
	s_and_saveexec_b32 s5, s4
	s_cbranch_execz .LBB322_15
; %bb.14:
	s_delay_alu instid0(VALU_DEP_1) | instskip(NEXT) | instid1(VALU_DEP_1)
	v_add_co_u32 v4, s6, s33, v3
	v_add_co_ci_u32_e64 v5, null, s29, 0, s6
	flat_load_b32 v13, v[4:5]
.LBB322_15:
	s_or_b32 exec_lo, exec_lo, s5
	v_or_b32_e32 v4, 0x600, v0
                                        ; implicit-def: $vgpr14
	s_delay_alu instid0(VALU_DEP_1) | instskip(SKIP_1) | instid1(VALU_DEP_2)
	v_cmp_gt_u32_e64 s5, s21, v4
	v_lshlrev_b32_e32 v4, 2, v4
	s_and_saveexec_b32 s6, s5
	s_cbranch_execz .LBB322_17
; %bb.16:
	s_delay_alu instid0(VALU_DEP_1) | instskip(NEXT) | instid1(VALU_DEP_1)
	v_add_co_u32 v5, s7, s33, v4
	v_add_co_ci_u32_e64 v6, null, s29, 0, s7
	flat_load_b32 v14, v[5:6]
.LBB322_17:
	s_or_b32 exec_lo, exec_lo, s6
	v_or_b32_e32 v5, 0x700, v0
                                        ; implicit-def: $vgpr15
	s_delay_alu instid0(VALU_DEP_1) | instskip(SKIP_1) | instid1(VALU_DEP_2)
	v_cmp_gt_u32_e64 s6, s21, v5
	v_lshlrev_b32_e32 v5, 2, v5
	s_and_saveexec_b32 s7, s6
	s_cbranch_execz .LBB322_19
; %bb.18:
	s_delay_alu instid0(VALU_DEP_1) | instskip(NEXT) | instid1(VALU_DEP_1)
	v_add_co_u32 v6, s8, s33, v5
	v_add_co_ci_u32_e64 v7, null, s29, 0, s8
	flat_load_b32 v15, v[6:7]
.LBB322_19:
	s_or_b32 exec_lo, exec_lo, s7
	v_or_b32_e32 v6, 0x800, v0
                                        ; implicit-def: $vgpr16
	s_delay_alu instid0(VALU_DEP_1) | instskip(SKIP_1) | instid1(VALU_DEP_2)
	v_cmp_gt_u32_e64 s7, s21, v6
	v_lshlrev_b32_e32 v6, 2, v6
	s_and_saveexec_b32 s8, s7
	s_cbranch_execz .LBB322_21
; %bb.20:
	s_delay_alu instid0(VALU_DEP_1) | instskip(NEXT) | instid1(VALU_DEP_1)
	v_add_co_u32 v7, s9, s33, v6
	v_add_co_ci_u32_e64 v8, null, s29, 0, s9
	flat_load_b32 v16, v[7:8]
.LBB322_21:
	s_or_b32 exec_lo, exec_lo, s8
	v_or_b32_e32 v7, 0x900, v0
                                        ; implicit-def: $vgpr17
	s_delay_alu instid0(VALU_DEP_1) | instskip(SKIP_1) | instid1(VALU_DEP_2)
	v_cmp_gt_u32_e64 s8, s21, v7
	v_lshlrev_b32_e32 v7, 2, v7
	s_and_saveexec_b32 s9, s8
	s_cbranch_execz .LBB322_23
; %bb.22:
	s_delay_alu instid0(VALU_DEP_1) | instskip(NEXT) | instid1(VALU_DEP_1)
	v_add_co_u32 v17, s10, s33, v7
	v_add_co_ci_u32_e64 v18, null, s29, 0, s10
	flat_load_b32 v17, v[17:18]
.LBB322_23:
	s_or_b32 exec_lo, exec_lo, s9
	v_or_b32_e32 v8, 0xa00, v0
                                        ; implicit-def: $vgpr18
	s_delay_alu instid0(VALU_DEP_1) | instskip(SKIP_1) | instid1(VALU_DEP_2)
	v_cmp_gt_u32_e64 s9, s21, v8
	v_lshlrev_b32_e32 v23, 2, v8
	s_and_saveexec_b32 s10, s9
	s_cbranch_execz .LBB322_25
; %bb.24:
	s_delay_alu instid0(VALU_DEP_1) | instskip(NEXT) | instid1(VALU_DEP_1)
	v_add_co_u32 v18, s11, s33, v23
	v_add_co_ci_u32_e64 v19, null, s29, 0, s11
	flat_load_b32 v18, v[18:19]
.LBB322_25:
	s_or_b32 exec_lo, exec_lo, s10
	v_or_b32_e32 v8, 0xb00, v0
                                        ; implicit-def: $vgpr19
	s_delay_alu instid0(VALU_DEP_1) | instskip(SKIP_1) | instid1(VALU_DEP_2)
	v_cmp_gt_u32_e64 s10, s21, v8
	v_lshlrev_b32_e32 v24, 2, v8
	s_and_saveexec_b32 s11, s10
	s_cbranch_execz .LBB322_27
; %bb.26:
	s_delay_alu instid0(VALU_DEP_1) | instskip(NEXT) | instid1(VALU_DEP_1)
	v_add_co_u32 v19, s12, s33, v24
	v_add_co_ci_u32_e64 v20, null, s29, 0, s12
	flat_load_b32 v19, v[19:20]
.LBB322_27:
	s_or_b32 exec_lo, exec_lo, s11
	v_or_b32_e32 v8, 0xc00, v0
                                        ; implicit-def: $vgpr20
	s_delay_alu instid0(VALU_DEP_1) | instskip(SKIP_1) | instid1(VALU_DEP_2)
	v_cmp_gt_u32_e64 s11, s21, v8
	v_lshlrev_b32_e32 v25, 2, v8
	s_and_saveexec_b32 s12, s11
	s_cbranch_execz .LBB322_29
; %bb.28:
	s_delay_alu instid0(VALU_DEP_1) | instskip(NEXT) | instid1(VALU_DEP_1)
	v_add_co_u32 v20, s13, s33, v25
	v_add_co_ci_u32_e64 v21, null, s29, 0, s13
	flat_load_b32 v20, v[20:21]
.LBB322_29:
	s_or_b32 exec_lo, exec_lo, s12
	v_or_b32_e32 v8, 0xd00, v0
                                        ; implicit-def: $vgpr21
	s_delay_alu instid0(VALU_DEP_1) | instskip(SKIP_1) | instid1(VALU_DEP_2)
	v_cmp_gt_u32_e64 s12, s21, v8
	v_lshlrev_b32_e32 v26, 2, v8
	s_and_saveexec_b32 s13, s12
	s_cbranch_execz .LBB322_31
; %bb.30:
	s_delay_alu instid0(VALU_DEP_1) | instskip(NEXT) | instid1(VALU_DEP_1)
	v_add_co_u32 v21, s28, s33, v26
	v_add_co_ci_u32_e64 v22, null, s29, 0, s28
	flat_load_b32 v21, v[21:22]
.LBB322_31:
	s_or_b32 exec_lo, exec_lo, s13
	v_or_b32_e32 v8, 0xe00, v0
                                        ; implicit-def: $vgpr22
	s_delay_alu instid0(VALU_DEP_1) | instskip(SKIP_1) | instid1(VALU_DEP_2)
	v_cmp_gt_u32_e64 s13, s21, v8
	v_lshlrev_b32_e32 v27, 2, v8
	s_and_saveexec_b32 s28, s13
	s_cbranch_execz .LBB322_33
; %bb.32:
	s_delay_alu instid0(VALU_DEP_1) | instskip(NEXT) | instid1(VALU_DEP_1)
	v_add_co_u32 v28, s30, s33, v27
	v_add_co_ci_u32_e64 v29, null, s29, 0, s30
	flat_load_b32 v22, v[28:29]
.LBB322_33:
	s_or_b32 exec_lo, exec_lo, s28
	v_lshlrev_b32_e32 v8, 2, v0
                                        ; implicit-def: $vgpr28
	s_waitcnt vmcnt(0) lgkmcnt(0)
	ds_store_2addr_stride64_b32 v8, v1, v9 offset1:4
	ds_store_2addr_stride64_b32 v8, v10, v11 offset0:8 offset1:12
	ds_store_2addr_stride64_b32 v8, v12, v13 offset0:16 offset1:20
	ds_store_2addr_stride64_b32 v8, v14, v15 offset0:24 offset1:28
	ds_store_2addr_stride64_b32 v8, v16, v17 offset0:32 offset1:36
	ds_store_2addr_stride64_b32 v8, v18, v19 offset0:40 offset1:44
	ds_store_2addr_stride64_b32 v8, v20, v21 offset0:48 offset1:52
	v_mad_u32_u24 v1, v0, 56, v8
	ds_store_b32 v8, v22 offset:14336
	s_waitcnt lgkmcnt(0)
	s_barrier
	buffer_gl0_inv
	ds_load_2addr_b32 v[21:22], v1 offset1:1
	ds_load_2addr_b32 v[19:20], v1 offset0:2 offset1:3
	ds_load_2addr_b32 v[17:18], v1 offset0:4 offset1:5
	;; [unrolled: 1-line block ×6, first 2 shown]
	ds_load_b32 v63, v1 offset:56
	s_waitcnt lgkmcnt(0)
	s_barrier
	buffer_gl0_inv
	s_and_saveexec_b32 s28, vcc_lo
	s_cbranch_execnz .LBB322_57
; %bb.34:
	s_or_b32 exec_lo, exec_lo, s28
                                        ; implicit-def: $vgpr29
	s_and_saveexec_b32 s28, s0
	s_cbranch_execnz .LBB322_58
.LBB322_35:
	s_or_b32 exec_lo, exec_lo, s28
                                        ; implicit-def: $vgpr30
	s_and_saveexec_b32 s0, s1
	s_cbranch_execnz .LBB322_59
.LBB322_36:
	s_or_b32 exec_lo, exec_lo, s0
                                        ; implicit-def: $vgpr31
	s_and_saveexec_b32 s0, s2
	s_cbranch_execnz .LBB322_60
.LBB322_37:
	s_or_b32 exec_lo, exec_lo, s0
                                        ; implicit-def: $vgpr32
	s_and_saveexec_b32 s0, s3
	s_cbranch_execnz .LBB322_61
.LBB322_38:
	s_or_b32 exec_lo, exec_lo, s0
                                        ; implicit-def: $vgpr2
	s_and_saveexec_b32 s0, s4
	s_cbranch_execnz .LBB322_62
.LBB322_39:
	s_or_b32 exec_lo, exec_lo, s0
                                        ; implicit-def: $vgpr3
	s_and_saveexec_b32 s0, s5
	s_cbranch_execnz .LBB322_63
.LBB322_40:
	s_or_b32 exec_lo, exec_lo, s0
                                        ; implicit-def: $vgpr4
	s_and_saveexec_b32 s0, s6
	s_cbranch_execnz .LBB322_64
.LBB322_41:
	s_or_b32 exec_lo, exec_lo, s0
                                        ; implicit-def: $vgpr5
	s_and_saveexec_b32 s0, s7
	s_cbranch_execnz .LBB322_65
.LBB322_42:
	s_or_b32 exec_lo, exec_lo, s0
                                        ; implicit-def: $vgpr6
	s_and_saveexec_b32 s0, s8
	s_cbranch_execnz .LBB322_66
.LBB322_43:
	s_or_b32 exec_lo, exec_lo, s0
                                        ; implicit-def: $vgpr7
	s_and_saveexec_b32 s0, s9
	s_cbranch_execnz .LBB322_67
.LBB322_44:
	s_or_b32 exec_lo, exec_lo, s0
                                        ; implicit-def: $vgpr23
	s_and_saveexec_b32 s0, s10
	s_cbranch_execnz .LBB322_68
.LBB322_45:
	s_or_b32 exec_lo, exec_lo, s0
                                        ; implicit-def: $vgpr24
	s_and_saveexec_b32 s0, s11
	s_cbranch_execnz .LBB322_69
.LBB322_46:
	s_or_b32 exec_lo, exec_lo, s0
                                        ; implicit-def: $vgpr25
	s_and_saveexec_b32 s0, s12
	s_cbranch_execnz .LBB322_70
.LBB322_47:
	s_or_b32 exec_lo, exec_lo, s0
                                        ; implicit-def: $vgpr26
	s_and_saveexec_b32 s0, s13
	s_cbranch_execz .LBB322_49
.LBB322_48:
	v_add_co_u32 v26, s1, s18, v27
	s_delay_alu instid0(VALU_DEP_1)
	v_add_co_ci_u32_e64 v27, null, s19, 0, s1
	flat_load_b32 v26, v[26:27]
.LBB322_49:
	s_or_b32 exec_lo, exec_lo, s0
	s_waitcnt vmcnt(0) lgkmcnt(0)
	ds_store_2addr_stride64_b32 v8, v28, v29 offset1:4
	ds_store_2addr_stride64_b32 v8, v30, v31 offset0:8 offset1:12
	ds_store_2addr_stride64_b32 v8, v32, v2 offset0:16 offset1:20
	;; [unrolled: 1-line block ×6, first 2 shown]
	ds_store_b32 v8, v26 offset:14336
	s_waitcnt lgkmcnt(0)
	s_barrier
.LBB322_50:
	buffer_gl0_inv
	ds_load_2addr_b32 v[35:36], v1 offset1:1
	ds_load_2addr_b32 v[33:34], v1 offset0:2 offset1:3
	ds_load_2addr_b32 v[31:32], v1 offset0:4 offset1:5
	;; [unrolled: 1-line block ×6, first 2 shown]
	ds_load_b32 v79, v1 offset:56
	s_cmp_eq_u64 s[16:17], 0
	s_waitcnt lgkmcnt(0)
	s_cselect_b32 s28, -1, 0
	s_cmp_lg_u64 s[16:17], 0
	s_barrier
	s_cselect_b32 s31, -1, 0
	s_and_b32 vcc_lo, exec_lo, s14
	buffer_gl0_inv
	s_cbranch_vccz .LBB322_56
; %bb.51:
	s_and_b32 vcc_lo, exec_lo, s31
	s_cbranch_vccz .LBB322_71
; %bb.52:
	v_add_co_u32 v1, s0, -4, s33
	s_delay_alu instid0(VALU_DEP_1)
	v_add_co_ci_u32_e64 v2, null, -1, s29, s0
	v_cmp_ne_u32_e32 vcc_lo, v10, v63
	v_cmp_ne_u32_e64 s0, v9, v10
	v_cmp_ne_u32_e64 s1, v12, v9
	flat_load_b32 v1, v[1:2]
	v_lshlrev_b32_e32 v2, 2, v0
	v_cmp_ne_u32_e64 s2, v11, v12
	v_cmp_ne_u32_e64 s3, v14, v11
	;; [unrolled: 1-line block ×11, first 2 shown]
	s_mov_b32 s30, -1
	s_mov_b32 s14, 0
	s_mov_b32 s18, exec_lo
	ds_store_b32 v2, v63
	s_waitcnt vmcnt(0) lgkmcnt(0)
	s_barrier
	buffer_gl0_inv
	v_cmpx_ne_u32_e32 0, v0
	s_cbranch_execz .LBB322_54
; %bb.53:
	v_add_nc_u32_e32 v1, -4, v2
	ds_load_b32 v1, v1
.LBB322_54:
	s_or_b32 exec_lo, exec_lo, s18
	v_cndmask_b32_e64 v69, 0, 1, vcc_lo
	v_cndmask_b32_e64 v64, 0, 1, s0
	v_cndmask_b32_e64 v65, 0, 1, s1
	;; [unrolled: 1-line block ×13, first 2 shown]
	s_waitcnt lgkmcnt(0)
	v_cmp_ne_u32_e64 s0, v1, v21
	s_and_b32 vcc_lo, exec_lo, s14
	s_cbranch_vccnz .LBB322_72
.LBB322_55:
                                        ; implicit-def: $sgpr1
	s_branch .LBB322_83
.LBB322_56:
	s_mov_b32 s30, 0
                                        ; implicit-def: $sgpr0
                                        ; implicit-def: $vgpr69
                                        ; implicit-def: $vgpr64
                                        ; implicit-def: $vgpr65
                                        ; implicit-def: $vgpr66
                                        ; implicit-def: $vgpr67
                                        ; implicit-def: $vgpr68
                                        ; implicit-def: $vgpr70
                                        ; implicit-def: $vgpr71
                                        ; implicit-def: $vgpr72
                                        ; implicit-def: $vgpr73
                                        ; implicit-def: $vgpr74
                                        ; implicit-def: $vgpr75
                                        ; implicit-def: $vgpr76
                                        ; implicit-def: $vgpr77
                                        ; implicit-def: $sgpr1
	s_cbranch_execnz .LBB322_75
	s_branch .LBB322_83
.LBB322_57:
	v_add_co_u32 v28, s30, s18, v8
	s_delay_alu instid0(VALU_DEP_1)
	v_add_co_ci_u32_e64 v29, null, s19, 0, s30
	flat_load_b32 v28, v[28:29]
	s_or_b32 exec_lo, exec_lo, s28
                                        ; implicit-def: $vgpr29
	s_and_saveexec_b32 s28, s0
	s_cbranch_execz .LBB322_35
.LBB322_58:
	v_add_co_u32 v29, s0, s18, v8
	s_delay_alu instid0(VALU_DEP_1)
	v_add_co_ci_u32_e64 v30, null, s19, 0, s0
	flat_load_b32 v29, v[29:30] offset:1024
	s_or_b32 exec_lo, exec_lo, s28
                                        ; implicit-def: $vgpr30
	s_and_saveexec_b32 s0, s1
	s_cbranch_execz .LBB322_36
.LBB322_59:
	v_add_co_u32 v30, s1, s18, v8
	s_delay_alu instid0(VALU_DEP_1)
	v_add_co_ci_u32_e64 v31, null, s19, 0, s1
	flat_load_b32 v30, v[30:31] offset:2048
	s_or_b32 exec_lo, exec_lo, s0
                                        ; implicit-def: $vgpr31
	s_and_saveexec_b32 s0, s2
	s_cbranch_execz .LBB322_37
.LBB322_60:
	v_add_co_u32 v31, s1, s18, v8
	s_delay_alu instid0(VALU_DEP_1)
	v_add_co_ci_u32_e64 v32, null, s19, 0, s1
	flat_load_b32 v31, v[31:32] offset:3072
	s_or_b32 exec_lo, exec_lo, s0
                                        ; implicit-def: $vgpr32
	s_and_saveexec_b32 s0, s3
	s_cbranch_execz .LBB322_38
.LBB322_61:
	v_add_co_u32 v32, s1, s18, v2
	s_delay_alu instid0(VALU_DEP_1)
	v_add_co_ci_u32_e64 v33, null, s19, 0, s1
	flat_load_b32 v32, v[32:33]
	s_or_b32 exec_lo, exec_lo, s0
                                        ; implicit-def: $vgpr2
	s_and_saveexec_b32 s0, s4
	s_cbranch_execz .LBB322_39
.LBB322_62:
	v_add_co_u32 v2, s1, s18, v3
	s_delay_alu instid0(VALU_DEP_1)
	v_add_co_ci_u32_e64 v3, null, s19, 0, s1
	flat_load_b32 v2, v[2:3]
	s_or_b32 exec_lo, exec_lo, s0
                                        ; implicit-def: $vgpr3
	s_and_saveexec_b32 s0, s5
	s_cbranch_execz .LBB322_40
.LBB322_63:
	v_add_co_u32 v3, s1, s18, v4
	s_delay_alu instid0(VALU_DEP_1)
	v_add_co_ci_u32_e64 v4, null, s19, 0, s1
	flat_load_b32 v3, v[3:4]
	s_or_b32 exec_lo, exec_lo, s0
                                        ; implicit-def: $vgpr4
	s_and_saveexec_b32 s0, s6
	s_cbranch_execz .LBB322_41
.LBB322_64:
	v_add_co_u32 v4, s1, s18, v5
	s_delay_alu instid0(VALU_DEP_1)
	v_add_co_ci_u32_e64 v5, null, s19, 0, s1
	flat_load_b32 v4, v[4:5]
	s_or_b32 exec_lo, exec_lo, s0
                                        ; implicit-def: $vgpr5
	s_and_saveexec_b32 s0, s7
	s_cbranch_execz .LBB322_42
.LBB322_65:
	v_add_co_u32 v5, s1, s18, v6
	s_delay_alu instid0(VALU_DEP_1)
	v_add_co_ci_u32_e64 v6, null, s19, 0, s1
	flat_load_b32 v5, v[5:6]
	s_or_b32 exec_lo, exec_lo, s0
                                        ; implicit-def: $vgpr6
	s_and_saveexec_b32 s0, s8
	s_cbranch_execz .LBB322_43
.LBB322_66:
	v_add_co_u32 v6, s1, s18, v7
	s_delay_alu instid0(VALU_DEP_1)
	v_add_co_ci_u32_e64 v7, null, s19, 0, s1
	flat_load_b32 v6, v[6:7]
	s_or_b32 exec_lo, exec_lo, s0
                                        ; implicit-def: $vgpr7
	s_and_saveexec_b32 s0, s9
	s_cbranch_execz .LBB322_44
.LBB322_67:
	v_add_co_u32 v33, s1, s18, v23
	s_delay_alu instid0(VALU_DEP_1)
	v_add_co_ci_u32_e64 v34, null, s19, 0, s1
	flat_load_b32 v7, v[33:34]
	s_or_b32 exec_lo, exec_lo, s0
                                        ; implicit-def: $vgpr23
	s_and_saveexec_b32 s0, s10
	s_cbranch_execz .LBB322_45
.LBB322_68:
	v_add_co_u32 v23, s1, s18, v24
	s_delay_alu instid0(VALU_DEP_1)
	v_add_co_ci_u32_e64 v24, null, s19, 0, s1
	flat_load_b32 v23, v[23:24]
	s_or_b32 exec_lo, exec_lo, s0
                                        ; implicit-def: $vgpr24
	s_and_saveexec_b32 s0, s11
	s_cbranch_execz .LBB322_46
.LBB322_69:
	v_add_co_u32 v24, s1, s18, v25
	s_delay_alu instid0(VALU_DEP_1)
	v_add_co_ci_u32_e64 v25, null, s19, 0, s1
	flat_load_b32 v24, v[24:25]
	s_or_b32 exec_lo, exec_lo, s0
                                        ; implicit-def: $vgpr25
	s_and_saveexec_b32 s0, s12
	s_cbranch_execz .LBB322_47
.LBB322_70:
	v_add_co_u32 v25, s1, s18, v26
	s_delay_alu instid0(VALU_DEP_1)
	v_add_co_ci_u32_e64 v26, null, s19, 0, s1
	flat_load_b32 v25, v[25:26]
	s_or_b32 exec_lo, exec_lo, s0
                                        ; implicit-def: $vgpr26
	s_and_saveexec_b32 s0, s13
	s_cbranch_execnz .LBB322_48
	s_branch .LBB322_49
.LBB322_71:
	s_mov_b32 s30, 0
                                        ; implicit-def: $sgpr0
                                        ; implicit-def: $vgpr69
                                        ; implicit-def: $vgpr64
                                        ; implicit-def: $vgpr65
                                        ; implicit-def: $vgpr66
                                        ; implicit-def: $vgpr67
                                        ; implicit-def: $vgpr68
                                        ; implicit-def: $vgpr70
                                        ; implicit-def: $vgpr71
                                        ; implicit-def: $vgpr72
                                        ; implicit-def: $vgpr73
                                        ; implicit-def: $vgpr74
                                        ; implicit-def: $vgpr75
                                        ; implicit-def: $vgpr76
                                        ; implicit-def: $vgpr77
	s_cbranch_execz .LBB322_55
.LBB322_72:
	v_cmp_ne_u32_e32 vcc_lo, v10, v63
	v_lshlrev_b32_e32 v1, 2, v0
	s_mov_b32 s1, exec_lo
                                        ; implicit-def: $sgpr0
	v_cndmask_b32_e64 v69, 0, 1, vcc_lo
	v_cmp_ne_u32_e32 vcc_lo, v9, v10
	ds_store_b32 v1, v63
	s_waitcnt lgkmcnt(0)
	s_barrier
	buffer_gl0_inv
	v_cndmask_b32_e64 v64, 0, 1, vcc_lo
	v_cmp_ne_u32_e32 vcc_lo, v12, v9
	v_cndmask_b32_e64 v65, 0, 1, vcc_lo
	v_cmp_ne_u32_e32 vcc_lo, v11, v12
	;; [unrolled: 2-line block ×12, first 2 shown]
	v_cndmask_b32_e64 v77, 0, 1, vcc_lo
	v_cmpx_ne_u32_e32 0, v0
	s_xor_b32 s1, exec_lo, s1
	s_cbranch_execz .LBB322_74
; %bb.73:
	v_add_nc_u32_e32 v1, -4, v1
	s_or_b32 s30, s30, exec_lo
	ds_load_b32 v1, v1
	s_waitcnt lgkmcnt(0)
	v_cmp_ne_u32_e32 vcc_lo, v1, v21
	s_and_b32 s0, vcc_lo, exec_lo
.LBB322_74:
	s_or_b32 exec_lo, exec_lo, s1
	s_mov_b32 s1, 1
	s_branch .LBB322_83
.LBB322_75:
	s_mul_hi_u32 s0, s16, 0xfffff100
	s_mul_i32 s1, s17, 0xfffff100
	s_sub_i32 s0, s0, s16
	s_mul_i32 s2, s16, 0xfffff100
	s_add_i32 s0, s0, s1
	s_add_u32 s18, s2, s40
	s_addc_u32 s19, s0, s41
	v_cmp_ne_u32_e64 s13, v10, v63
	v_cmp_ne_u32_e64 s14, v9, v10
	;; [unrolled: 1-line block ×14, first 2 shown]
	v_mad_u32_u24 v1, v0, 15, 14
	v_mad_u32_u24 v55, v0, 15, 13
	;; [unrolled: 1-line block ×14, first 2 shown]
	v_cmp_ne_u32_e64 s6, 0, v0
	s_and_b32 vcc_lo, exec_lo, s31
	s_cbranch_vccz .LBB322_80
; %bb.76:
	v_add_co_u32 v56, s16, -4, s33
	s_delay_alu instid0(VALU_DEP_1)
	v_add_co_ci_u32_e64 v57, null, -1, s29, s16
	v_mov_b32_e32 v2, 0
	s_mov_b32 s30, -1
	s_mov_b32 s17, 0
	flat_load_b32 v58, v[56:57]
	v_lshlrev_b32_e32 v57, 2, v0
	v_cmp_gt_u64_e32 vcc_lo, s[18:19], v[1:2]
	v_mov_b32_e32 v56, v2
	v_mov_b32_e32 v54, v2
	;; [unrolled: 1-line block ×5, first 2 shown]
	v_cmp_gt_u64_e64 s16, s[18:19], v[55:56]
	s_and_b32 s29, vcc_lo, s13
	v_cmp_gt_u64_e32 vcc_lo, s[18:19], v[53:54]
	v_mov_b32_e32 v46, v2
	v_mov_b32_e32 v44, v2
	v_cmp_gt_u64_e64 s13, s[18:19], v[51:52]
	s_and_b32 s31, s16, s14
	v_mov_b32_e32 v42, v2
	s_and_b32 s33, vcc_lo, s12
	v_cmp_gt_u64_e32 vcc_lo, s[18:19], v[49:50]
	v_cmp_gt_u64_e64 s12, s[18:19], v[47:48]
	v_cmp_gt_u64_e64 s14, s[18:19], v[45:46]
	;; [unrolled: 1-line block ×3, first 2 shown]
	v_mov_b32_e32 v40, v2
	v_mov_b32_e32 v38, v2
	;; [unrolled: 1-line block ×5, first 2 shown]
	s_and_b32 s13, s13, s11
	s_and_b32 s40, vcc_lo, s7
	s_and_b32 s12, s12, s8
	s_and_b32 s14, s14, s9
	s_and_b32 s16, s16, s10
	v_cmp_gt_u64_e32 vcc_lo, s[18:19], v[41:42]
	v_cmp_gt_u64_e64 s7, s[18:19], v[39:40]
	v_cmp_gt_u64_e64 s8, s[18:19], v[37:38]
	;; [unrolled: 1-line block ×5, first 2 shown]
	v_mul_u32_u24_e32 v56, 15, v0
	s_and_b32 s0, vcc_lo, s0
	s_and_b32 s7, s7, s1
	s_and_b32 s8, s8, s2
	;; [unrolled: 1-line block ×5, first 2 shown]
	ds_store_b32 v57, v63
	s_waitcnt vmcnt(0) lgkmcnt(0)
	s_barrier
	buffer_gl0_inv
	s_and_saveexec_b32 s4, s6
	s_cbranch_execz .LBB322_78
; %bb.77:
	v_add_nc_u32_e32 v4, -4, v57
	ds_load_b32 v58, v4
.LBB322_78:
	s_or_b32 exec_lo, exec_lo, s4
	v_mov_b32_e32 v57, v2
	v_cndmask_b32_e64 v72, 0, 1, s0
	s_waitcnt lgkmcnt(0)
	v_cmp_ne_u32_e64 s0, v58, v21
	v_cndmask_b32_e64 v69, 0, 1, s29
	v_cndmask_b32_e64 v64, 0, 1, s31
	v_cmp_gt_u64_e32 vcc_lo, s[18:19], v[56:57]
	v_cndmask_b32_e64 v65, 0, 1, s33
	v_cndmask_b32_e64 v66, 0, 1, s13
	v_cndmask_b32_e64 v67, 0, 1, s40
	v_cndmask_b32_e64 v68, 0, 1, s12
	v_cndmask_b32_e64 v70, 0, 1, s14
	v_cndmask_b32_e64 v71, 0, 1, s16
	v_cndmask_b32_e64 v73, 0, 1, s7
	v_cndmask_b32_e64 v74, 0, 1, s8
	v_cndmask_b32_e64 v75, 0, 1, s3
	v_cndmask_b32_e64 v76, 0, 1, s1
	v_cndmask_b32_e64 v77, 0, 1, s2
	s_and_b32 s0, vcc_lo, s0
	s_and_b32 vcc_lo, exec_lo, s17
	s_cbranch_vccnz .LBB322_81
.LBB322_79:
                                        ; implicit-def: $sgpr1
	v_mov_b32_e32 v78, s1
	s_and_saveexec_b32 s1, s30
	s_cbranch_execnz .LBB322_84
	s_branch .LBB322_85
.LBB322_80:
                                        ; implicit-def: $sgpr0
                                        ; implicit-def: $vgpr69
                                        ; implicit-def: $vgpr64
                                        ; implicit-def: $vgpr65
                                        ; implicit-def: $vgpr66
                                        ; implicit-def: $vgpr67
                                        ; implicit-def: $vgpr68
                                        ; implicit-def: $vgpr70
                                        ; implicit-def: $vgpr71
                                        ; implicit-def: $vgpr72
                                        ; implicit-def: $vgpr73
                                        ; implicit-def: $vgpr74
                                        ; implicit-def: $vgpr75
                                        ; implicit-def: $vgpr76
                                        ; implicit-def: $vgpr77
	s_cbranch_execz .LBB322_79
.LBB322_81:
	v_dual_mov_b32 v2, 0 :: v_dual_lshlrev_b32 v57, 2, v0
	v_cmp_ne_u32_e64 s1, v12, v9
	v_cmp_ne_u32_e32 vcc_lo, v10, v63
	v_cmp_ne_u32_e64 s0, v9, v10
	s_delay_alu instid0(VALU_DEP_4)
	v_mov_b32_e32 v54, v2
	v_mov_b32_e32 v56, v2
	v_cmp_gt_u64_e64 s2, s[18:19], v[1:2]
	v_mov_b32_e32 v50, v2
	v_mov_b32_e32 v52, v2
	v_cmp_gt_u64_e64 s4, s[18:19], v[53:54]
	v_cmp_gt_u64_e64 s3, s[18:19], v[55:56]
	v_mov_b32_e32 v48, v2
	s_and_b32 s2, s2, vcc_lo
	v_cmp_gt_u64_e32 vcc_lo, s[18:19], v[51:52]
	v_cndmask_b32_e64 v69, 0, 1, s2
	s_and_b32 s1, s4, s1
	s_and_b32 s0, s3, s0
	v_cndmask_b32_e64 v65, 0, 1, s1
	v_cmp_gt_u64_e64 s1, s[18:19], v[49:50]
	v_cmp_ne_u32_e64 s2, v14, v11
	v_cndmask_b32_e64 v64, 0, 1, s0
	v_cmp_ne_u32_e64 s0, v11, v12
	v_mov_b32_e32 v46, v2
	v_mov_b32_e32 v44, v2
	s_and_b32 s1, s1, s2
	v_cmp_ne_u32_e64 s2, v16, v13
	s_and_b32 s0, vcc_lo, s0
	v_cmp_gt_u64_e32 vcc_lo, s[18:19], v[47:48]
	v_cndmask_b32_e64 v67, 0, 1, s1
	v_cmp_gt_u64_e64 s1, s[18:19], v[45:46]
	v_cndmask_b32_e64 v66, 0, 1, s0
	v_cmp_ne_u32_e64 s0, v13, v14
	v_mov_b32_e32 v42, v2
	v_mov_b32_e32 v40, v2
	;; [unrolled: 1-line block ×3, first 2 shown]
	s_and_b32 s1, s1, s2
	s_and_b32 s0, vcc_lo, s0
	v_cmp_gt_u64_e32 vcc_lo, s[18:19], v[43:44]
	v_cndmask_b32_e64 v68, 0, 1, s0
	v_cmp_ne_u32_e64 s0, v15, v16
	v_cndmask_b32_e64 v70, 0, 1, s1
	v_cmp_gt_u64_e64 s1, s[18:19], v[41:42]
	v_cmp_ne_u32_e64 s2, v18, v15
	v_mov_b32_e32 v8, v2
	s_and_b32 s0, vcc_lo, s0
	v_cmp_gt_u64_e32 vcc_lo, s[18:19], v[39:40]
	v_cndmask_b32_e64 v71, 0, 1, s0
	s_and_b32 s1, s1, s2
	v_cmp_ne_u32_e64 s0, v17, v18
	v_cndmask_b32_e64 v72, 0, 1, s1
	v_cmp_gt_u64_e64 s1, s[18:19], v[37:38]
	v_cmp_ne_u32_e64 s2, v20, v17
	v_mov_b32_e32 v6, v2
	s_and_b32 s0, vcc_lo, s0
	v_mov_b32_e32 v4, v2
	v_cndmask_b32_e64 v73, 0, 1, s0
	s_and_b32 s0, s1, s2
	v_cmp_gt_u64_e32 vcc_lo, s[18:19], v[7:8]
	v_cndmask_b32_e64 v74, 0, 1, s0
	v_cmp_ne_u32_e64 s0, v19, v20
	v_cmp_gt_u64_e64 s1, s[18:19], v[5:6]
	v_cmp_ne_u32_e64 s2, v22, v19
	v_cmp_gt_u64_e64 s3, s[18:19], v[3:4]
	v_cmp_ne_u32_e64 s4, v21, v22
	s_and_b32 s0, vcc_lo, s0
	ds_store_b32 v57, v63
	v_cndmask_b32_e64 v75, 0, 1, s0
	s_and_b32 s0, s1, s2
	s_mov_b32 s1, 1
	v_cndmask_b32_e64 v76, 0, 1, s0
	s_and_b32 s0, s3, s4
	s_mov_b32 s2, exec_lo
	v_cndmask_b32_e64 v77, 0, 1, s0
	s_waitcnt lgkmcnt(0)
	s_barrier
	buffer_gl0_inv
                                        ; implicit-def: $sgpr0
	v_cmpx_ne_u32_e32 0, v0
	s_cbranch_execz .LBB322_163
; %bb.82:
	v_add_nc_u32_e32 v1, -4, v57
	s_or_b32 s30, s30, exec_lo
	ds_load_b32 v3, v1
	v_mul_u32_u24_e32 v1, 15, v0
	s_delay_alu instid0(VALU_DEP_1) | instskip(SKIP_2) | instid1(VALU_DEP_1)
	v_cmp_gt_u64_e32 vcc_lo, s[18:19], v[1:2]
	s_waitcnt lgkmcnt(0)
	v_cmp_ne_u32_e64 s0, v3, v21
	s_and_b32 s0, vcc_lo, s0
	s_delay_alu instid0(SALU_CYCLE_1)
	s_and_b32 s0, s0, exec_lo
	s_or_b32 exec_lo, exec_lo, s2
.LBB322_83:
	v_mov_b32_e32 v78, s1
	s_and_saveexec_b32 s1, s30
.LBB322_84:
	v_cndmask_b32_e64 v78, 0, 1, s0
.LBB322_85:
	s_or_b32 exec_lo, exec_lo, s1
	s_delay_alu instid0(VALU_DEP_1)
	v_add3_u32 v1, v77, v78, v76
	v_cmp_eq_u32_e64 s12, 0, v77
	v_cmp_eq_u32_e64 s11, 0, v76
	;; [unrolled: 1-line block ×4, first 2 shown]
	v_add3_u32 v84, v1, v75, v74
	v_cmp_eq_u32_e64 s8, 0, v73
	v_cmp_eq_u32_e64 s7, 0, v72
	;; [unrolled: 1-line block ×9, first 2 shown]
	v_cmp_eq_u32_e32 vcc_lo, 0, v69
	v_mbcnt_lo_u32_b32 v81, -1, 0
	v_lshrrev_b32_e32 v82, 5, v0
	v_or_b32_e32 v83, 31, v0
	s_cmp_eq_u64 s[26:27], 0
	s_cselect_b32 s16, -1, 0
	s_cmp_lg_u32 s15, 0
	s_cbranch_scc0 .LBB322_111
; %bb.86:
	v_cndmask_b32_e64 v1, 0, v35, s12
	v_add3_u32 v2, v84, v73, v72
	s_delay_alu instid0(VALU_DEP_2) | instskip(NEXT) | instid1(VALU_DEP_2)
	v_add_nc_u32_e32 v1, v1, v36
	v_add3_u32 v2, v2, v71, v70
	s_delay_alu instid0(VALU_DEP_2) | instskip(NEXT) | instid1(VALU_DEP_2)
	v_cndmask_b32_e64 v1, 0, v1, s11
	v_add3_u32 v2, v2, v68, v67
	s_delay_alu instid0(VALU_DEP_2) | instskip(NEXT) | instid1(VALU_DEP_2)
	v_add_nc_u32_e32 v1, v1, v33
	v_add3_u32 v2, v2, v66, v65
	s_delay_alu instid0(VALU_DEP_2) | instskip(NEXT) | instid1(VALU_DEP_2)
	v_cndmask_b32_e64 v1, 0, v1, s10
	v_add3_u32 v2, v2, v64, v69
	s_delay_alu instid0(VALU_DEP_2) | instskip(NEXT) | instid1(VALU_DEP_2)
	v_add_nc_u32_e32 v1, v1, v34
	v_mov_b32_dpp v5, v2 row_shr:1 row_mask:0xf bank_mask:0xf
	s_delay_alu instid0(VALU_DEP_2) | instskip(NEXT) | instid1(VALU_DEP_1)
	v_cndmask_b32_e64 v1, 0, v1, s9
	v_add_nc_u32_e32 v1, v1, v31
	s_delay_alu instid0(VALU_DEP_1) | instskip(NEXT) | instid1(VALU_DEP_1)
	v_cndmask_b32_e64 v1, 0, v1, s8
	v_add_nc_u32_e32 v1, v1, v32
	s_delay_alu instid0(VALU_DEP_1) | instskip(NEXT) | instid1(VALU_DEP_1)
	;; [unrolled: 3-line block ×9, first 2 shown]
	v_cndmask_b32_e64 v1, 0, v1, s0
	v_add_nc_u32_e32 v1, v1, v24
	s_delay_alu instid0(VALU_DEP_1) | instskip(SKIP_1) | instid1(VALU_DEP_2)
	v_cndmask_b32_e32 v1, 0, v1, vcc_lo
	v_cmp_eq_u32_e32 vcc_lo, 0, v2
	v_add_nc_u32_e32 v1, v1, v79
	s_delay_alu instid0(VALU_DEP_1) | instskip(NEXT) | instid1(VALU_DEP_1)
	v_mov_b32_dpp v3, v1 row_shr:1 row_mask:0xf bank_mask:0xf
	v_dual_cndmask_b32 v3, 0, v3 :: v_dual_and_b32 v4, 15, v81
	s_delay_alu instid0(VALU_DEP_1) | instskip(SKIP_2) | instid1(VALU_DEP_4)
	v_cmp_eq_u32_e32 vcc_lo, 0, v4
	v_cmp_lt_u32_e64 s13, 1, v4
	v_cndmask_b32_e64 v5, v5, 0, vcc_lo
	v_cndmask_b32_e64 v3, v3, 0, vcc_lo
	s_delay_alu instid0(VALU_DEP_2) | instskip(NEXT) | instid1(VALU_DEP_2)
	v_add_nc_u32_e32 v2, v5, v2
	v_add_nc_u32_e32 v1, v3, v1
	s_delay_alu instid0(VALU_DEP_2) | instskip(SKIP_1) | instid1(VALU_DEP_3)
	v_mov_b32_dpp v3, v2 row_shr:2 row_mask:0xf bank_mask:0xf
	v_cmp_eq_u32_e32 vcc_lo, 0, v2
	v_mov_b32_dpp v5, v1 row_shr:2 row_mask:0xf bank_mask:0xf
	s_delay_alu instid0(VALU_DEP_3) | instskip(SKIP_2) | instid1(VALU_DEP_2)
	v_cndmask_b32_e64 v3, 0, v3, s13
	s_and_b32 vcc_lo, s13, vcc_lo
	v_cmp_lt_u32_e64 s13, 3, v4
	v_dual_cndmask_b32 v5, 0, v5 :: v_dual_add_nc_u32 v2, v2, v3
	s_delay_alu instid0(VALU_DEP_1) | instskip(NEXT) | instid1(VALU_DEP_2)
	v_add_nc_u32_e32 v1, v5, v1
	v_mov_b32_dpp v3, v2 row_shr:4 row_mask:0xf bank_mask:0xf
	v_cmp_eq_u32_e32 vcc_lo, 0, v2
	s_delay_alu instid0(VALU_DEP_3) | instskip(NEXT) | instid1(VALU_DEP_3)
	v_mov_b32_dpp v5, v1 row_shr:4 row_mask:0xf bank_mask:0xf
	v_cndmask_b32_e64 v3, 0, v3, s13
	s_and_b32 vcc_lo, s13, vcc_lo
	v_cmp_lt_u32_e64 s13, 7, v4
	s_delay_alu instid0(VALU_DEP_2) | instskip(NEXT) | instid1(VALU_DEP_1)
	v_dual_cndmask_b32 v5, 0, v5 :: v_dual_add_nc_u32 v2, v3, v2
	v_add_nc_u32_e32 v1, v1, v5
	v_bfe_i32 v5, v81, 4, 1
	s_delay_alu instid0(VALU_DEP_3) | instskip(SKIP_1) | instid1(VALU_DEP_4)
	v_cmp_eq_u32_e32 vcc_lo, 0, v2
	v_mov_b32_dpp v3, v2 row_shr:8 row_mask:0xf bank_mask:0xf
	v_mov_b32_dpp v4, v1 row_shr:8 row_mask:0xf bank_mask:0xf
	s_and_b32 vcc_lo, s13, vcc_lo
	s_delay_alu instid0(VALU_DEP_2) | instskip(SKIP_1) | instid1(VALU_DEP_2)
	v_cndmask_b32_e64 v3, 0, v3, s13
	s_mov_b32 s13, exec_lo
	v_cndmask_b32_e32 v4, 0, v4, vcc_lo
	s_delay_alu instid0(VALU_DEP_1) | instskip(NEXT) | instid1(VALU_DEP_3)
	v_add_nc_u32_e32 v4, v4, v1
	v_add_nc_u32_e32 v1, v3, v2
	ds_swizzle_b32 v2, v4 offset:swizzle(BROADCAST,32,15)
	ds_swizzle_b32 v3, v1 offset:swizzle(BROADCAST,32,15)
	v_cmp_eq_u32_e32 vcc_lo, 0, v1
	s_waitcnt lgkmcnt(0)
	v_dual_cndmask_b32 v2, 0, v2 :: v_dual_and_b32 v3, v5, v3
	s_delay_alu instid0(VALU_DEP_1) | instskip(NEXT) | instid1(VALU_DEP_2)
	v_and_b32_e32 v2, v5, v2
	v_add_nc_u32_e32 v1, v3, v1
	v_lshlrev_b32_e32 v3, 3, v82
	s_delay_alu instid0(VALU_DEP_3)
	v_add_nc_u32_e32 v2, v2, v4
	v_cmpx_eq_u32_e64 v83, v0
	s_cbranch_execz .LBB322_88
; %bb.87:
	ds_store_b64 v3, v[1:2] offset:2064
.LBB322_88:
	s_or_b32 exec_lo, exec_lo, s13
	s_delay_alu instid0(SALU_CYCLE_1)
	s_mov_b32 s14, exec_lo
	s_waitcnt lgkmcnt(0)
	s_barrier
	buffer_gl0_inv
	v_cmpx_gt_u32_e32 8, v0
	s_cbranch_execz .LBB322_90
; %bb.89:
	v_lshlrev_b32_e32 v6, 3, v0
	v_and_b32_e32 v8, 7, v81
	ds_load_b64 v[4:5], v6 offset:2064
	v_cmp_lt_u32_e64 s13, 1, v8
	s_waitcnt lgkmcnt(0)
	v_mov_b32_dpp v7, v5 row_shr:1 row_mask:0xf bank_mask:0xf
	v_cmp_eq_u32_e32 vcc_lo, 0, v4
	v_mov_b32_dpp v37, v4 row_shr:1 row_mask:0xf bank_mask:0xf
	s_delay_alu instid0(VALU_DEP_3) | instskip(SKIP_1) | instid1(VALU_DEP_3)
	v_cndmask_b32_e32 v7, 0, v7, vcc_lo
	v_cmp_eq_u32_e32 vcc_lo, 0, v8
	v_cndmask_b32_e64 v37, v37, 0, vcc_lo
	s_delay_alu instid0(VALU_DEP_3) | instskip(NEXT) | instid1(VALU_DEP_2)
	v_cndmask_b32_e64 v7, v7, 0, vcc_lo
	v_add_nc_u32_e32 v4, v37, v4
	s_delay_alu instid0(VALU_DEP_2) | instskip(NEXT) | instid1(VALU_DEP_2)
	v_add_nc_u32_e32 v5, v7, v5
	v_cmp_eq_u32_e32 vcc_lo, 0, v4
	s_delay_alu instid0(VALU_DEP_2) | instskip(SKIP_1) | instid1(VALU_DEP_1)
	v_mov_b32_dpp v37, v5 row_shr:2 row_mask:0xf bank_mask:0xf
	s_and_b32 vcc_lo, s13, vcc_lo
	v_cndmask_b32_e32 v37, 0, v37, vcc_lo
	v_mov_b32_dpp v7, v4 row_shr:2 row_mask:0xf bank_mask:0xf
	s_delay_alu instid0(VALU_DEP_2) | instskip(NEXT) | instid1(VALU_DEP_2)
	v_add_nc_u32_e32 v5, v37, v5
	v_cndmask_b32_e64 v7, 0, v7, s13
	v_cmp_lt_u32_e64 s13, 3, v8
	s_delay_alu instid0(VALU_DEP_3) | instskip(NEXT) | instid1(VALU_DEP_3)
	v_mov_b32_dpp v8, v5 row_shr:4 row_mask:0xf bank_mask:0xf
	v_add_nc_u32_e32 v4, v7, v4
	s_delay_alu instid0(VALU_DEP_1) | instskip(SKIP_2) | instid1(VALU_DEP_1)
	v_cmp_eq_u32_e32 vcc_lo, 0, v4
	v_mov_b32_dpp v7, v4 row_shr:4 row_mask:0xf bank_mask:0xf
	s_and_b32 vcc_lo, s13, vcc_lo
	v_cndmask_b32_e64 v7, 0, v7, s13
	v_cndmask_b32_e32 v8, 0, v8, vcc_lo
	s_delay_alu instid0(VALU_DEP_2) | instskip(NEXT) | instid1(VALU_DEP_2)
	v_add_nc_u32_e32 v4, v7, v4
	v_add_nc_u32_e32 v5, v8, v5
	ds_store_b64 v6, v[4:5] offset:2064
.LBB322_90:
	s_or_b32 exec_lo, exec_lo, s14
	v_cmp_gt_u32_e32 vcc_lo, 32, v0
	v_dual_mov_b32 v37, 0 :: v_dual_mov_b32 v38, 0
	s_mov_b32 s14, exec_lo
	s_waitcnt lgkmcnt(0)
	s_barrier
	buffer_gl0_inv
	v_cmpx_lt_u32_e32 31, v0
	s_cbranch_execz .LBB322_92
; %bb.91:
	ds_load_b64 v[37:38], v3 offset:2056
	v_cmp_eq_u32_e64 s13, 0, v1
	s_waitcnt lgkmcnt(0)
	s_delay_alu instid0(VALU_DEP_1) | instskip(SKIP_1) | instid1(VALU_DEP_2)
	v_cndmask_b32_e64 v3, 0, v38, s13
	v_add_nc_u32_e32 v1, v37, v1
	v_add_nc_u32_e32 v2, v3, v2
.LBB322_92:
	s_or_b32 exec_lo, exec_lo, s14
	v_add_nc_u32_e32 v3, -1, v81
	s_delay_alu instid0(VALU_DEP_1) | instskip(NEXT) | instid1(VALU_DEP_1)
	v_cmp_gt_i32_e64 s13, 0, v3
	v_cndmask_b32_e64 v3, v3, v81, s13
	v_cmp_eq_u32_e64 s13, 0, v81
	s_delay_alu instid0(VALU_DEP_2)
	v_lshlrev_b32_e32 v3, 2, v3
	ds_bpermute_b32 v43, v3, v1
	ds_bpermute_b32 v44, v3, v2
	s_and_saveexec_b32 s17, vcc_lo
	s_cbranch_execz .LBB322_110
; %bb.93:
	v_mov_b32_e32 v4, 0
	ds_load_b64 v[1:2], v4 offset:2120
	s_waitcnt lgkmcnt(0)
	v_readfirstlane_b32 s18, v2
	s_and_saveexec_b32 s14, s13
	s_cbranch_execz .LBB322_95
; %bb.94:
	s_add_i32 s26, s15, 32
	s_mov_b32 s27, 0
	v_mov_b32_e32 v3, 1
	s_lshl_b64 s[30:31], s[26:27], 4
	s_mov_b32 s40, s27
	s_add_u32 s30, s24, s30
	s_addc_u32 s31, s25, s31
	s_and_b32 s41, s18, 0xff000000
	s_and_b32 s45, s18, 0xff0000
	s_mov_b32 s44, s27
	v_dual_mov_b32 v5, s30 :: v_dual_mov_b32 v6, s31
	s_or_b64 s[40:41], s[44:45], s[40:41]
	s_and_b32 s45, s18, 0xff00
	s_delay_alu instid0(SALU_CYCLE_1) | instskip(SKIP_1) | instid1(SALU_CYCLE_1)
	s_or_b64 s[40:41], s[40:41], s[44:45]
	s_and_b32 s45, s18, 0xff
	s_or_b64 s[26:27], s[40:41], s[44:45]
	s_delay_alu instid0(SALU_CYCLE_1)
	v_mov_b32_e32 v2, s27
	;;#ASMSTART
	global_store_dwordx4 v[5:6], v[1:4] off	
s_waitcnt vmcnt(0)
	;;#ASMEND
.LBB322_95:
	s_or_b32 exec_lo, exec_lo, s14
	v_xad_u32 v39, v81, -1, s15
	s_mov_b32 s19, 0
	s_mov_b32 s14, exec_lo
	s_delay_alu instid0(VALU_DEP_1) | instskip(NEXT) | instid1(VALU_DEP_1)
	v_add_nc_u32_e32 v3, 32, v39
	v_lshlrev_b64 v[2:3], 4, v[3:4]
	s_delay_alu instid0(VALU_DEP_1) | instskip(NEXT) | instid1(VALU_DEP_2)
	v_add_co_u32 v2, vcc_lo, s24, v2
	v_add_co_ci_u32_e32 v3, vcc_lo, s25, v3, vcc_lo
	;;#ASMSTART
	global_load_dwordx4 v[5:8], v[2:3] off glc	
s_waitcnt vmcnt(0)
	;;#ASMEND
	v_and_b32_e32 v4, 0xff, v6
	v_and_b32_e32 v8, 0xff00, v6
	v_and_b32_e32 v40, 0xff0000, v6
	v_or3_b32 v5, v5, 0, 0
	v_and_b32_e32 v6, 0xff000000, v6
	s_delay_alu instid0(VALU_DEP_4) | instskip(SKIP_1) | instid1(VALU_DEP_4)
	v_or3_b32 v4, 0, v4, v8
	v_and_b32_e32 v8, 0xff, v7
	v_or3_b32 v5, v5, 0, 0
	s_delay_alu instid0(VALU_DEP_3) | instskip(NEXT) | instid1(VALU_DEP_3)
	v_or3_b32 v6, v4, v40, v6
	v_cmpx_eq_u16_e32 0, v8
	s_cbranch_execz .LBB322_98
.LBB322_96:                             ; =>This Inner Loop Header: Depth=1
	;;#ASMSTART
	global_load_dwordx4 v[5:8], v[2:3] off glc	
s_waitcnt vmcnt(0)
	;;#ASMEND
	v_and_b32_e32 v4, 0xff, v7
	s_delay_alu instid0(VALU_DEP_1) | instskip(SKIP_1) | instid1(SALU_CYCLE_1)
	v_cmp_ne_u16_e32 vcc_lo, 0, v4
	s_or_b32 s19, vcc_lo, s19
	s_and_not1_b32 exec_lo, exec_lo, s19
	s_cbranch_execnz .LBB322_96
; %bb.97:
	s_or_b32 exec_lo, exec_lo, s19
.LBB322_98:
	s_delay_alu instid0(SALU_CYCLE_1)
	s_or_b32 exec_lo, exec_lo, s14
	v_cmp_ne_u32_e32 vcc_lo, 31, v81
	v_and_b32_e32 v3, 0xff, v7
	v_lshlrev_b32_e64 v45, v81, -1
	v_add_nc_u32_e32 v47, 2, v81
	v_add_nc_u32_e32 v49, 4, v81
	v_add_co_ci_u32_e32 v2, vcc_lo, 0, v81, vcc_lo
	v_cmp_eq_u16_e32 vcc_lo, 2, v3
	v_add_nc_u32_e32 v51, 8, v81
	v_add_nc_u32_e32 v53, 16, v81
	v_and_or_b32 v8, vcc_lo, v45, 0x80000000
	v_cmp_gt_u32_e32 vcc_lo, 30, v81
	s_delay_alu instid0(VALU_DEP_2) | instskip(SKIP_2) | instid1(VALU_DEP_3)
	v_ctz_i32_b32_e32 v8, v8
	v_cndmask_b32_e64 v40, 0, 1, vcc_lo
	v_cmp_eq_u32_e32 vcc_lo, 0, v5
	v_cmp_lt_u32_e64 s14, v81, v8
	s_delay_alu instid0(VALU_DEP_3) | instskip(NEXT) | instid1(VALU_DEP_2)
	v_lshlrev_b32_e32 v40, 1, v40
	s_and_b32 vcc_lo, s14, vcc_lo
	v_lshlrev_b32_e32 v2, 2, v2
	s_delay_alu instid0(VALU_DEP_2)
	v_add_lshl_u32 v46, v40, v81, 2
	ds_bpermute_b32 v3, v2, v6
	s_waitcnt lgkmcnt(0)
	v_cndmask_b32_e32 v3, 0, v3, vcc_lo
	ds_bpermute_b32 v4, v2, v5
	v_cmp_gt_u32_e32 vcc_lo, 28, v81
	v_add_nc_u32_e32 v3, v3, v6
	ds_bpermute_b32 v6, v46, v3
	s_waitcnt lgkmcnt(1)
	v_cndmask_b32_e64 v4, 0, v4, s14
	s_delay_alu instid0(VALU_DEP_1) | instskip(SKIP_1) | instid1(VALU_DEP_2)
	v_add_nc_u32_e32 v4, v4, v5
	v_cndmask_b32_e64 v5, 0, 1, vcc_lo
	v_cmp_eq_u32_e32 vcc_lo, 0, v4
	ds_bpermute_b32 v40, v46, v4
	s_waitcnt lgkmcnt(1)
	v_dual_cndmask_b32 v6, 0, v6 :: v_dual_lshlrev_b32 v5, 2, v5
	v_cmp_gt_u32_e32 vcc_lo, v47, v8
	s_delay_alu instid0(VALU_DEP_2) | instskip(NEXT) | instid1(VALU_DEP_3)
	v_add_lshl_u32 v48, v5, v81, 2
	v_cndmask_b32_e64 v6, v6, 0, vcc_lo
	s_delay_alu instid0(VALU_DEP_1) | instskip(SKIP_4) | instid1(VALU_DEP_2)
	v_add_nc_u32_e32 v3, v6, v3
	ds_bpermute_b32 v5, v48, v3
	s_waitcnt lgkmcnt(1)
	v_cndmask_b32_e64 v6, v40, 0, vcc_lo
	v_cmp_gt_u32_e32 vcc_lo, 24, v81
	v_add_nc_u32_e32 v4, v4, v6
	v_cndmask_b32_e64 v40, 0, 1, vcc_lo
	ds_bpermute_b32 v6, v48, v4
	v_cmp_eq_u32_e32 vcc_lo, 0, v4
	v_lshlrev_b32_e32 v40, 3, v40
	s_delay_alu instid0(VALU_DEP_1) | instskip(SKIP_3) | instid1(VALU_DEP_2)
	v_add_lshl_u32 v50, v40, v81, 2
	s_waitcnt lgkmcnt(1)
	v_cndmask_b32_e32 v5, 0, v5, vcc_lo
	v_cmp_gt_u32_e32 vcc_lo, v49, v8
	v_cndmask_b32_e64 v5, v5, 0, vcc_lo
	s_delay_alu instid0(VALU_DEP_1)
	v_add_nc_u32_e32 v3, v3, v5
	s_waitcnt lgkmcnt(0)
	v_cndmask_b32_e64 v6, v6, 0, vcc_lo
	v_cmp_gt_u32_e32 vcc_lo, 16, v81
	ds_bpermute_b32 v5, v50, v3
	v_add_nc_u32_e32 v4, v4, v6
	v_cndmask_b32_e64 v40, 0, 1, vcc_lo
	ds_bpermute_b32 v6, v50, v4
	v_cmp_eq_u32_e32 vcc_lo, 0, v4
	v_lshlrev_b32_e32 v40, 4, v40
	s_delay_alu instid0(VALU_DEP_1) | instskip(SKIP_3) | instid1(VALU_DEP_2)
	v_add_lshl_u32 v52, v40, v81, 2
	s_waitcnt lgkmcnt(1)
	v_dual_mov_b32 v40, 0 :: v_dual_cndmask_b32 v5, 0, v5
	v_cmp_gt_u32_e32 vcc_lo, v51, v8
	v_cndmask_b32_e64 v5, v5, 0, vcc_lo
	s_delay_alu instid0(VALU_DEP_1)
	v_add_nc_u32_e32 v3, v3, v5
	s_waitcnt lgkmcnt(0)
	v_cndmask_b32_e64 v5, v6, 0, vcc_lo
	ds_bpermute_b32 v6, v52, v3
	v_add_nc_u32_e32 v4, v4, v5
	ds_bpermute_b32 v5, v52, v4
	v_cmp_eq_u32_e32 vcc_lo, 0, v4
	s_waitcnt lgkmcnt(1)
	v_cndmask_b32_e32 v6, 0, v6, vcc_lo
	v_cmp_gt_u32_e32 vcc_lo, v53, v8
	s_delay_alu instid0(VALU_DEP_2) | instskip(SKIP_2) | instid1(VALU_DEP_2)
	v_cndmask_b32_e64 v6, v6, 0, vcc_lo
	s_waitcnt lgkmcnt(0)
	v_cndmask_b32_e64 v5, v5, 0, vcc_lo
	v_add_nc_u32_e32 v6, v6, v3
	s_delay_alu instid0(VALU_DEP_2)
	v_add_nc_u32_e32 v5, v5, v4
	s_branch .LBB322_100
.LBB322_99:                             ;   in Loop: Header=BB322_100 Depth=1
	s_or_b32 exec_lo, exec_lo, s14
	v_and_b32_e32 v8, 0xff, v7
	ds_bpermute_b32 v41, v2, v5
	v_subrev_nc_u32_e32 v39, 32, v39
	v_cmp_eq_u16_e32 vcc_lo, 2, v8
	ds_bpermute_b32 v8, v2, v6
	v_and_or_b32 v42, vcc_lo, v45, 0x80000000
	v_cmp_eq_u32_e32 vcc_lo, 0, v5
	s_delay_alu instid0(VALU_DEP_2) | instskip(NEXT) | instid1(VALU_DEP_1)
	v_ctz_i32_b32_e32 v42, v42
	v_cmp_lt_u32_e64 s14, v81, v42
	s_delay_alu instid0(VALU_DEP_1) | instskip(SKIP_4) | instid1(VALU_DEP_2)
	s_and_b32 vcc_lo, s14, vcc_lo
	s_waitcnt lgkmcnt(1)
	v_cndmask_b32_e64 v41, 0, v41, s14
	s_waitcnt lgkmcnt(0)
	v_cndmask_b32_e32 v8, 0, v8, vcc_lo
	v_add_nc_u32_e32 v5, v41, v5
	s_delay_alu instid0(VALU_DEP_2)
	v_add_nc_u32_e32 v6, v8, v6
	ds_bpermute_b32 v41, v46, v5
	ds_bpermute_b32 v8, v46, v6
	v_cmp_eq_u32_e32 vcc_lo, 0, v5
	s_waitcnt lgkmcnt(0)
	v_cndmask_b32_e32 v8, 0, v8, vcc_lo
	v_cmp_gt_u32_e32 vcc_lo, v47, v42
	v_cndmask_b32_e64 v41, v41, 0, vcc_lo
	s_delay_alu instid0(VALU_DEP_1) | instskip(NEXT) | instid1(VALU_DEP_4)
	v_add_nc_u32_e32 v5, v5, v41
	v_cndmask_b32_e64 v8, v8, 0, vcc_lo
	ds_bpermute_b32 v41, v48, v5
	v_add_nc_u32_e32 v6, v8, v6
	v_cmp_eq_u32_e32 vcc_lo, 0, v5
	ds_bpermute_b32 v8, v48, v6
	s_waitcnt lgkmcnt(0)
	v_cndmask_b32_e32 v8, 0, v8, vcc_lo
	v_cmp_gt_u32_e32 vcc_lo, v49, v42
	v_cndmask_b32_e64 v41, v41, 0, vcc_lo
	s_delay_alu instid0(VALU_DEP_1) | instskip(NEXT) | instid1(VALU_DEP_4)
	v_add_nc_u32_e32 v5, v5, v41
	v_cndmask_b32_e64 v8, v8, 0, vcc_lo
	ds_bpermute_b32 v41, v50, v5
	v_add_nc_u32_e32 v6, v6, v8
	v_cmp_eq_u32_e32 vcc_lo, 0, v5
	ds_bpermute_b32 v8, v50, v6
	;; [unrolled: 11-line block ×3, first 2 shown]
	s_waitcnt lgkmcnt(0)
	v_cndmask_b32_e32 v8, 0, v8, vcc_lo
	v_cmp_gt_u32_e32 vcc_lo, v53, v42
	s_delay_alu instid0(VALU_DEP_2) | instskip(NEXT) | instid1(VALU_DEP_1)
	v_cndmask_b32_e64 v8, v8, 0, vcc_lo
	v_add_nc_u32_e32 v6, v8, v6
	v_cndmask_b32_e64 v8, v41, 0, vcc_lo
	v_cmp_eq_u32_e32 vcc_lo, 0, v3
	s_delay_alu instid0(VALU_DEP_2) | instskip(NEXT) | instid1(VALU_DEP_4)
	v_add3_u32 v5, v5, v3, v8
	v_cndmask_b32_e32 v6, 0, v6, vcc_lo
	s_delay_alu instid0(VALU_DEP_1)
	v_add_nc_u32_e32 v6, v6, v4
.LBB322_100:                            ; =>This Loop Header: Depth=1
                                        ;     Child Loop BB322_103 Depth 2
	s_delay_alu instid0(VALU_DEP_1) | instskip(NEXT) | instid1(VALU_DEP_1)
	v_dual_mov_b32 v4, v6 :: v_dual_and_b32 v3, 0xff, v7
	v_cmp_ne_u16_e32 vcc_lo, 2, v3
	v_cndmask_b32_e64 v3, 0, 1, vcc_lo
	;;#ASMSTART
	;;#ASMEND
	s_delay_alu instid0(VALU_DEP_1)
	v_cmp_ne_u32_e32 vcc_lo, 0, v3
	v_mov_b32_e32 v3, v5
	s_cmp_lg_u32 vcc_lo, exec_lo
	s_cbranch_scc1 .LBB322_105
; %bb.101:                              ;   in Loop: Header=BB322_100 Depth=1
	v_lshlrev_b64 v[5:6], 4, v[39:40]
	s_mov_b32 s14, exec_lo
	s_delay_alu instid0(VALU_DEP_1) | instskip(NEXT) | instid1(VALU_DEP_2)
	v_add_co_u32 v41, vcc_lo, s24, v5
	v_add_co_ci_u32_e32 v42, vcc_lo, s25, v6, vcc_lo
	;;#ASMSTART
	global_load_dwordx4 v[5:8], v[41:42] off glc	
s_waitcnt vmcnt(0)
	;;#ASMEND
	v_and_b32_e32 v8, 0xff, v6
	v_and_b32_e32 v54, 0xff00, v6
	;; [unrolled: 1-line block ×3, first 2 shown]
	v_or3_b32 v5, v5, 0, 0
	v_and_b32_e32 v6, 0xff000000, v6
	s_delay_alu instid0(VALU_DEP_4) | instskip(SKIP_1) | instid1(VALU_DEP_4)
	v_or3_b32 v8, 0, v8, v54
	v_and_b32_e32 v54, 0xff, v7
	v_or3_b32 v5, v5, 0, 0
	s_delay_alu instid0(VALU_DEP_3) | instskip(NEXT) | instid1(VALU_DEP_3)
	v_or3_b32 v6, v8, v55, v6
	v_cmpx_eq_u16_e32 0, v54
	s_cbranch_execz .LBB322_99
; %bb.102:                              ;   in Loop: Header=BB322_100 Depth=1
	s_mov_b32 s19, 0
.LBB322_103:                            ;   Parent Loop BB322_100 Depth=1
                                        ; =>  This Inner Loop Header: Depth=2
	;;#ASMSTART
	global_load_dwordx4 v[5:8], v[41:42] off glc	
s_waitcnt vmcnt(0)
	;;#ASMEND
	v_and_b32_e32 v8, 0xff, v7
	s_delay_alu instid0(VALU_DEP_1) | instskip(SKIP_1) | instid1(SALU_CYCLE_1)
	v_cmp_ne_u16_e32 vcc_lo, 0, v8
	s_or_b32 s19, vcc_lo, s19
	s_and_not1_b32 exec_lo, exec_lo, s19
	s_cbranch_execnz .LBB322_103
; %bb.104:                              ;   in Loop: Header=BB322_100 Depth=1
	s_or_b32 exec_lo, exec_lo, s19
	s_branch .LBB322_99
.LBB322_105:                            ;   in Loop: Header=BB322_100 Depth=1
                                        ; implicit-def: $vgpr6
                                        ; implicit-def: $vgpr5
                                        ; implicit-def: $vgpr7
	s_cbranch_execz .LBB322_100
; %bb.106:
	s_and_saveexec_b32 s14, s13
	s_cbranch_execz .LBB322_108
; %bb.107:
	v_cmp_eq_u32_e32 vcc_lo, 0, v1
	s_mov_b32 s27, 0
	s_add_i32 s26, s15, 32
	v_add_nc_u32_e32 v5, v3, v1
	s_lshl_b64 s[26:27], s[26:27], 4
	v_cndmask_b32_e32 v2, 0, v4, vcc_lo
	s_add_u32 s26, s24, s26
	s_addc_u32 s27, s25, s27
	v_mov_b32_e32 v8, 0
	s_delay_alu instid0(VALU_DEP_2) | instskip(NEXT) | instid1(VALU_DEP_1)
	v_add_nc_u32_e32 v2, s18, v2
	v_and_b32_e32 v6, 0xff000000, v2
	v_and_b32_e32 v7, 0xff0000, v2
	s_delay_alu instid0(VALU_DEP_1) | instskip(SKIP_3) | instid1(VALU_DEP_1)
	v_or_b32_e32 v6, v7, v6
	v_mov_b32_e32 v7, 2
	v_and_b32_e32 v39, 0xff00, v2
	v_and_b32_e32 v2, 0xff, v2
	v_or3_b32 v6, v6, v39, v2
	v_mov_b32_e32 v2, s18
	v_dual_mov_b32 v40, s27 :: v_dual_mov_b32 v39, s26
	;;#ASMSTART
	global_store_dwordx4 v[39:40], v[5:8] off	
s_waitcnt vmcnt(0)
	;;#ASMEND
	ds_store_b128 v8, v[1:4] offset:2048
.LBB322_108:
	s_or_b32 exec_lo, exec_lo, s14
	v_cmp_eq_u32_e32 vcc_lo, 0, v0
	s_and_b32 exec_lo, exec_lo, vcc_lo
	s_cbranch_execz .LBB322_110
; %bb.109:
	v_mov_b32_e32 v1, 0
	ds_store_b64 v1, v[3:4] offset:2120
.LBB322_110:
	s_or_b32 exec_lo, exec_lo, s17
	s_waitcnt lgkmcnt(1)
	v_cndmask_b32_e64 v4, v43, v37, s13
	s_waitcnt lgkmcnt(0)
	s_barrier
	buffer_gl0_inv
	v_cndmask_b32_e64 v5, v44, v38, s13
	v_cmp_eq_u32_e32 vcc_lo, 0, v4
	v_mov_b32_e32 v3, 0
	v_cmp_eq_u32_e64 s13, 0, v78
	ds_load_b64 v[1:2], v3 offset:2120
	s_waitcnt lgkmcnt(0)
	s_barrier
	buffer_gl0_inv
	v_cndmask_b32_e32 v6, 0, v2, vcc_lo
	v_cmp_eq_u32_e32 vcc_lo, 0, v0
	s_delay_alu instid0(VALU_DEP_2) | instskip(NEXT) | instid1(VALU_DEP_1)
	v_add_nc_u32_e32 v5, v6, v5
	v_cndmask_b32_e32 v54, v5, v2, vcc_lo
	s_delay_alu instid0(VALU_DEP_1) | instskip(NEXT) | instid1(VALU_DEP_1)
	v_cndmask_b32_e64 v2, 0, v54, s13
	v_add_nc_u32_e32 v60, v2, v35
	s_delay_alu instid0(VALU_DEP_1) | instskip(NEXT) | instid1(VALU_DEP_1)
	v_cndmask_b32_e64 v2, 0, v60, s12
	v_add_nc_u32_e32 v56, v2, v36
	s_delay_alu instid0(VALU_DEP_1) | instskip(NEXT) | instid1(VALU_DEP_1)
	v_cndmask_b32_e64 v2, 0, v56, s11
	v_add_nc_u32_e32 v52, v2, v33
	s_delay_alu instid0(VALU_DEP_1) | instskip(NEXT) | instid1(VALU_DEP_1)
	v_cndmask_b32_e64 v2, 0, v52, s10
	v_add_nc_u32_e32 v46, v2, v34
	s_delay_alu instid0(VALU_DEP_1) | instskip(NEXT) | instid1(VALU_DEP_1)
	v_cndmask_b32_e64 v2, 0, v46, s9
	v_add_nc_u32_e32 v42, v2, v31
	s_delay_alu instid0(VALU_DEP_1) | instskip(NEXT) | instid1(VALU_DEP_1)
	v_cndmask_b32_e64 v2, 0, v42, s8
	v_add_nc_u32_e32 v40, v2, v32
	v_cndmask_b32_e64 v2, v4, 0, vcc_lo
	s_delay_alu instid0(VALU_DEP_2) | instskip(NEXT) | instid1(VALU_DEP_2)
	v_cndmask_b32_e64 v4, 0, v40, s7
	v_add_nc_u32_e32 v53, v1, v2
	s_delay_alu instid0(VALU_DEP_2) | instskip(NEXT) | instid1(VALU_DEP_2)
	v_add_nc_u32_e32 v44, v4, v29
	v_add_nc_u32_e32 v59, v53, v78
	s_delay_alu instid0(VALU_DEP_2) | instskip(NEXT) | instid1(VALU_DEP_2)
	v_cndmask_b32_e64 v1, 0, v44, s6
	v_add_nc_u32_e32 v55, v59, v77
	s_delay_alu instid0(VALU_DEP_2) | instskip(NEXT) | instid1(VALU_DEP_2)
	v_add_nc_u32_e32 v48, v1, v30
	v_add_nc_u32_e32 v51, v55, v76
	;; [unrolled: 6-line block ×4, first 2 shown]
	s_delay_alu instid0(VALU_DEP_2) | instskip(NEXT) | instid1(VALU_DEP_2)
	v_cndmask_b32_e64 v1, 0, v8, s3
	v_add_nc_u32_e32 v47, v43, v71
	s_delay_alu instid0(VALU_DEP_2) | instskip(SKIP_3) | instid1(VALU_DEP_2)
	v_add_nc_u32_e32 v38, v1, v25
	ds_load_b128 v[1:4], v3 offset:2048
	v_add_nc_u32_e32 v5, v47, v70
	v_cndmask_b32_e64 v37, 0, v38, s2
	v_add_nc_u32_e32 v7, v5, v68
	s_delay_alu instid0(VALU_DEP_2) | instskip(NEXT) | instid1(VALU_DEP_2)
	v_add_nc_u32_e32 v62, v37, v26
	v_add_nc_u32_e32 v37, v7, v67
	s_delay_alu instid0(VALU_DEP_2) | instskip(NEXT) | instid1(VALU_DEP_2)
	v_cndmask_b32_e64 v49, 0, v62, s1
	v_add_nc_u32_e32 v61, v37, v66
	s_delay_alu instid0(VALU_DEP_2) | instskip(SKIP_2) | instid1(VALU_DEP_3)
	v_add_nc_u32_e32 v58, v49, v23
	s_waitcnt lgkmcnt(0)
	v_cmp_eq_u32_e32 vcc_lo, 0, v1
	v_add_nc_u32_e32 v57, v61, v65
	s_delay_alu instid0(VALU_DEP_3) | instskip(SKIP_1) | instid1(VALU_DEP_3)
	v_cndmask_b32_e64 v50, 0, v58, s0
	v_cndmask_b32_e32 v4, 0, v4, vcc_lo
	v_add_nc_u32_e32 v49, v57, v64
	s_delay_alu instid0(VALU_DEP_3) | instskip(NEXT) | instid1(VALU_DEP_3)
	v_add_nc_u32_e32 v50, v50, v24
	v_add_nc_u32_e32 v80, v4, v2
	s_branch .LBB322_123
.LBB322_111:
                                        ; implicit-def: $vgpr1
                                        ; implicit-def: $vgpr80
                                        ; implicit-def: $vgpr53_vgpr54
                                        ; implicit-def: $vgpr59_vgpr60
                                        ; implicit-def: $vgpr55_vgpr56
                                        ; implicit-def: $vgpr51_vgpr52
                                        ; implicit-def: $vgpr45_vgpr46
                                        ; implicit-def: $vgpr41_vgpr42
                                        ; implicit-def: $vgpr39_vgpr40
                                        ; implicit-def: $vgpr43_vgpr44
                                        ; implicit-def: $vgpr47_vgpr48
                                        ; implicit-def: $vgpr5_vgpr6
                                        ; implicit-def: $vgpr7_vgpr8
                                        ; implicit-def: $vgpr37_vgpr38
                                        ; implicit-def: $vgpr61_vgpr62
                                        ; implicit-def: $vgpr57_vgpr58
                                        ; implicit-def: $vgpr49_vgpr50
	s_cbranch_execz .LBB322_123
; %bb.112:
	s_and_b32 s0, s16, exec_lo
	v_mov_b32_e32 v49, v35
	s_cselect_b32 s1, 0, s35
	s_cselect_b32 s0, 0, s34
	s_delay_alu instid0(SALU_CYCLE_1)
	s_cmp_eq_u64 s[0:1], 0
	s_cbranch_scc1 .LBB322_114
; %bb.113:
	v_mov_b32_e32 v1, 0
	global_load_b32 v49, v1, s[0:1]
.LBB322_114:
	v_cmp_eq_u32_e64 s6, 0, v77
	v_cmp_eq_u32_e64 s7, 0, v76
	;; [unrolled: 1-line block ×5, first 2 shown]
	v_cndmask_b32_e64 v1, 0, v35, s6
	v_cmp_eq_u32_e64 s11, 0, v72
	v_cmp_eq_u32_e64 s5, 0, v71
	;; [unrolled: 1-line block ×4, first 2 shown]
	v_add_nc_u32_e32 v1, v1, v36
	v_cmp_eq_u32_e64 s2, 0, v67
	v_add3_u32 v2, v84, v73, v72
	v_cmp_eq_u32_e64 s1, 0, v66
	v_cmp_eq_u32_e32 vcc_lo, 0, v65
	v_cndmask_b32_e64 v1, 0, v1, s7
	v_cmp_eq_u32_e64 s0, 0, v64
	v_add3_u32 v2, v2, v71, v70
	v_cmp_eq_u32_e64 s12, 0, v69
	v_and_b32_e32 v4, 15, v81
	v_add_nc_u32_e32 v1, v1, v33
	s_delay_alu instid0(VALU_DEP_4) | instskip(NEXT) | instid1(VALU_DEP_3)
	v_add3_u32 v2, v2, v68, v67
	v_cmp_lt_u32_e64 s13, 1, v4
	s_delay_alu instid0(VALU_DEP_3) | instskip(NEXT) | instid1(VALU_DEP_3)
	v_cndmask_b32_e64 v1, 0, v1, s8
	v_add3_u32 v2, v2, v66, v65
	s_delay_alu instid0(VALU_DEP_2) | instskip(NEXT) | instid1(VALU_DEP_2)
	v_add_nc_u32_e32 v1, v1, v34
	v_add3_u32 v2, v2, v64, v69
	s_delay_alu instid0(VALU_DEP_2) | instskip(NEXT) | instid1(VALU_DEP_2)
	v_cndmask_b32_e64 v1, 0, v1, s9
	v_mov_b32_dpp v5, v2 row_shr:1 row_mask:0xf bank_mask:0xf
	s_delay_alu instid0(VALU_DEP_2) | instskip(NEXT) | instid1(VALU_DEP_1)
	v_add_nc_u32_e32 v1, v1, v31
	v_cndmask_b32_e64 v1, 0, v1, s10
	s_delay_alu instid0(VALU_DEP_1) | instskip(NEXT) | instid1(VALU_DEP_1)
	v_add_nc_u32_e32 v1, v1, v32
	v_cndmask_b32_e64 v1, 0, v1, s11
	s_delay_alu instid0(VALU_DEP_1) | instskip(NEXT) | instid1(VALU_DEP_1)
	v_add_nc_u32_e32 v1, v1, v29
	v_cndmask_b32_e64 v1, 0, v1, s5
	s_delay_alu instid0(VALU_DEP_1) | instskip(NEXT) | instid1(VALU_DEP_1)
	v_add_nc_u32_e32 v1, v1, v30
	v_cndmask_b32_e64 v1, 0, v1, s4
	s_delay_alu instid0(VALU_DEP_1) | instskip(NEXT) | instid1(VALU_DEP_1)
	v_add_nc_u32_e32 v1, v1, v27
	v_cndmask_b32_e64 v1, 0, v1, s3
	s_delay_alu instid0(VALU_DEP_1) | instskip(NEXT) | instid1(VALU_DEP_1)
	v_add_nc_u32_e32 v1, v1, v28
	v_cndmask_b32_e64 v1, 0, v1, s2
	s_delay_alu instid0(VALU_DEP_1) | instskip(NEXT) | instid1(VALU_DEP_1)
	v_add_nc_u32_e32 v1, v1, v25
	v_cndmask_b32_e64 v1, 0, v1, s1
	s_delay_alu instid0(VALU_DEP_1) | instskip(NEXT) | instid1(VALU_DEP_1)
	v_add_nc_u32_e32 v1, v1, v26
	v_cndmask_b32_e32 v1, 0, v1, vcc_lo
	s_delay_alu instid0(VALU_DEP_1) | instskip(NEXT) | instid1(VALU_DEP_1)
	v_add_nc_u32_e32 v1, v1, v23
	v_cndmask_b32_e64 v1, 0, v1, s0
	s_delay_alu instid0(VALU_DEP_1) | instskip(NEXT) | instid1(VALU_DEP_1)
	v_add_nc_u32_e32 v1, v1, v24
	v_cndmask_b32_e64 v1, 0, v1, s12
	v_cmp_eq_u32_e64 s12, 0, v2
	s_delay_alu instid0(VALU_DEP_2) | instskip(NEXT) | instid1(VALU_DEP_1)
	v_add_nc_u32_e32 v1, v1, v79
	v_mov_b32_dpp v3, v1 row_shr:1 row_mask:0xf bank_mask:0xf
	s_delay_alu instid0(VALU_DEP_1) | instskip(SKIP_1) | instid1(VALU_DEP_1)
	v_cndmask_b32_e64 v3, 0, v3, s12
	v_cmp_eq_u32_e64 s12, 0, v4
	v_cndmask_b32_e64 v5, v5, 0, s12
	s_delay_alu instid0(VALU_DEP_3) | instskip(NEXT) | instid1(VALU_DEP_2)
	v_cndmask_b32_e64 v3, v3, 0, s12
	v_add_nc_u32_e32 v2, v5, v2
	s_delay_alu instid0(VALU_DEP_2) | instskip(NEXT) | instid1(VALU_DEP_2)
	v_add_nc_u32_e32 v1, v3, v1
	v_mov_b32_dpp v3, v2 row_shr:2 row_mask:0xf bank_mask:0xf
	v_cmp_eq_u32_e64 s12, 0, v2
	s_delay_alu instid0(VALU_DEP_3) | instskip(NEXT) | instid1(VALU_DEP_3)
	v_mov_b32_dpp v5, v1 row_shr:2 row_mask:0xf bank_mask:0xf
	v_cndmask_b32_e64 v3, 0, v3, s13
	s_delay_alu instid0(VALU_DEP_3) | instskip(SKIP_1) | instid1(VALU_DEP_3)
	s_and_b32 s12, s13, s12
	v_cmp_lt_u32_e64 s13, 3, v4
	v_cndmask_b32_e64 v5, 0, v5, s12
	s_delay_alu instid0(VALU_DEP_3) | instskip(NEXT) | instid1(VALU_DEP_2)
	v_add_nc_u32_e32 v2, v2, v3
	v_add_nc_u32_e32 v1, v5, v1
	s_delay_alu instid0(VALU_DEP_2) | instskip(SKIP_1) | instid1(VALU_DEP_3)
	v_mov_b32_dpp v3, v2 row_shr:4 row_mask:0xf bank_mask:0xf
	v_cmp_eq_u32_e64 s12, 0, v2
	v_mov_b32_dpp v5, v1 row_shr:4 row_mask:0xf bank_mask:0xf
	s_delay_alu instid0(VALU_DEP_3) | instskip(NEXT) | instid1(VALU_DEP_3)
	v_cndmask_b32_e64 v3, 0, v3, s13
	s_and_b32 s12, s13, s12
	v_cmp_lt_u32_e64 s13, 7, v4
	s_delay_alu instid0(VALU_DEP_3) | instskip(NEXT) | instid1(VALU_DEP_3)
	v_cndmask_b32_e64 v5, 0, v5, s12
	v_add_nc_u32_e32 v2, v3, v2
	s_delay_alu instid0(VALU_DEP_2) | instskip(SKIP_1) | instid1(VALU_DEP_3)
	v_add_nc_u32_e32 v1, v1, v5
	v_bfe_i32 v5, v81, 4, 1
	v_cmp_eq_u32_e64 s12, 0, v2
	v_mov_b32_dpp v3, v2 row_shr:8 row_mask:0xf bank_mask:0xf
	s_delay_alu instid0(VALU_DEP_4) | instskip(NEXT) | instid1(VALU_DEP_3)
	v_mov_b32_dpp v4, v1 row_shr:8 row_mask:0xf bank_mask:0xf
	s_and_b32 s12, s13, s12
	s_delay_alu instid0(VALU_DEP_2) | instskip(SKIP_1) | instid1(VALU_DEP_2)
	v_cndmask_b32_e64 v3, 0, v3, s13
	s_mov_b32 s13, exec_lo
	v_cndmask_b32_e64 v4, 0, v4, s12
	s_delay_alu instid0(VALU_DEP_1) | instskip(NEXT) | instid1(VALU_DEP_3)
	v_add_nc_u32_e32 v4, v4, v1
	v_add_nc_u32_e32 v1, v3, v2
	ds_swizzle_b32 v2, v4 offset:swizzle(BROADCAST,32,15)
	ds_swizzle_b32 v3, v1 offset:swizzle(BROADCAST,32,15)
	v_cmp_eq_u32_e64 s12, 0, v1
	s_waitcnt lgkmcnt(1)
	s_delay_alu instid0(VALU_DEP_1) | instskip(SKIP_2) | instid1(VALU_DEP_2)
	v_cndmask_b32_e64 v2, 0, v2, s12
	s_waitcnt lgkmcnt(0)
	v_and_b32_e32 v3, v5, v3
	v_and_b32_e32 v2, v5, v2
	s_delay_alu instid0(VALU_DEP_2) | instskip(NEXT) | instid1(VALU_DEP_2)
	v_add_nc_u32_e32 v1, v3, v1
	v_add_nc_u32_e32 v2, v2, v4
	v_lshlrev_b32_e32 v4, 3, v82
	v_cmpx_eq_u32_e64 v83, v0
	s_cbranch_execz .LBB322_116
; %bb.115:
	ds_store_b64 v4, v[1:2] offset:2064
.LBB322_116:
	s_or_b32 exec_lo, exec_lo, s13
	s_delay_alu instid0(SALU_CYCLE_1)
	s_mov_b32 s14, exec_lo
	s_waitcnt vmcnt(0) lgkmcnt(0)
	s_barrier
	buffer_gl0_inv
	v_cmpx_gt_u32_e32 8, v0
	s_cbranch_execz .LBB322_118
; %bb.117:
	v_lshlrev_b32_e32 v3, 3, v0
	v_and_b32_e32 v8, 7, v81
	ds_load_b64 v[5:6], v3 offset:2064
	v_cmp_lt_u32_e64 s13, 1, v8
	s_waitcnt lgkmcnt(0)
	v_mov_b32_dpp v7, v6 row_shr:1 row_mask:0xf bank_mask:0xf
	v_cmp_eq_u32_e64 s12, 0, v5
	v_mov_b32_dpp v37, v5 row_shr:1 row_mask:0xf bank_mask:0xf
	s_delay_alu instid0(VALU_DEP_2) | instskip(SKIP_1) | instid1(VALU_DEP_1)
	v_cndmask_b32_e64 v7, 0, v7, s12
	v_cmp_eq_u32_e64 s12, 0, v8
	v_cndmask_b32_e64 v37, v37, 0, s12
	s_delay_alu instid0(VALU_DEP_3) | instskip(NEXT) | instid1(VALU_DEP_2)
	v_cndmask_b32_e64 v7, v7, 0, s12
	v_add_nc_u32_e32 v5, v37, v5
	s_delay_alu instid0(VALU_DEP_2) | instskip(NEXT) | instid1(VALU_DEP_2)
	v_add_nc_u32_e32 v6, v7, v6
	v_mov_b32_dpp v7, v5 row_shr:2 row_mask:0xf bank_mask:0xf
	v_cmp_eq_u32_e64 s12, 0, v5
	s_delay_alu instid0(VALU_DEP_3) | instskip(NEXT) | instid1(VALU_DEP_3)
	v_mov_b32_dpp v37, v6 row_shr:2 row_mask:0xf bank_mask:0xf
	v_cndmask_b32_e64 v7, 0, v7, s13
	s_delay_alu instid0(VALU_DEP_3) | instskip(SKIP_1) | instid1(VALU_DEP_3)
	s_and_b32 s12, s13, s12
	v_cmp_lt_u32_e64 s13, 3, v8
	v_cndmask_b32_e64 v37, 0, v37, s12
	s_delay_alu instid0(VALU_DEP_3) | instskip(NEXT) | instid1(VALU_DEP_2)
	v_add_nc_u32_e32 v5, v7, v5
	v_add_nc_u32_e32 v6, v37, v6
	s_delay_alu instid0(VALU_DEP_2) | instskip(SKIP_1) | instid1(VALU_DEP_3)
	v_cmp_eq_u32_e64 s12, 0, v5
	v_mov_b32_dpp v7, v5 row_shr:4 row_mask:0xf bank_mask:0xf
	v_mov_b32_dpp v8, v6 row_shr:4 row_mask:0xf bank_mask:0xf
	s_delay_alu instid0(VALU_DEP_3) | instskip(NEXT) | instid1(VALU_DEP_2)
	s_and_b32 s12, s13, s12
	v_cndmask_b32_e64 v7, 0, v7, s13
	s_delay_alu instid0(VALU_DEP_2) | instskip(NEXT) | instid1(VALU_DEP_2)
	v_cndmask_b32_e64 v8, 0, v8, s12
	v_add_nc_u32_e32 v5, v7, v5
	s_delay_alu instid0(VALU_DEP_2)
	v_add_nc_u32_e32 v6, v8, v6
	ds_store_b64 v3, v[5:6] offset:2064
.LBB322_118:
	s_or_b32 exec_lo, exec_lo, s14
	v_mov_b32_e32 v7, 0
	v_mov_b32_e32 v3, 0
	;; [unrolled: 1-line block ×3, first 2 shown]
	s_mov_b32 s13, exec_lo
	s_waitcnt lgkmcnt(0)
	s_barrier
	buffer_gl0_inv
	v_cmpx_lt_u32_e32 31, v0
	s_cbranch_execz .LBB322_120
; %bb.119:
	ds_load_b64 v[3:4], v4 offset:2056
	s_waitcnt lgkmcnt(0)
	v_cmp_eq_u32_e64 s12, 0, v3
	s_delay_alu instid0(VALU_DEP_1) | instskip(NEXT) | instid1(VALU_DEP_1)
	v_cndmask_b32_e64 v5, 0, v49, s12
	v_add_nc_u32_e32 v5, v5, v4
.LBB322_120:
	s_or_b32 exec_lo, exec_lo, s13
	v_add_nc_u32_e32 v4, -1, v81
	v_cmp_eq_u32_e64 s13, 0, v78
	s_delay_alu instid0(VALU_DEP_2) | instskip(NEXT) | instid1(VALU_DEP_1)
	v_cmp_gt_i32_e64 s12, 0, v4
	v_cndmask_b32_e64 v4, v4, v81, s12
	v_cmp_eq_u32_e64 s12, 0, v1
	v_add_nc_u32_e32 v1, v3, v1
	s_delay_alu instid0(VALU_DEP_3) | instskip(NEXT) | instid1(VALU_DEP_3)
	v_lshlrev_b32_e32 v4, 2, v4
	v_cndmask_b32_e64 v6, 0, v5, s12
	v_cmp_eq_u32_e64 s12, 0, v81
	ds_bpermute_b32 v1, v4, v1
	v_add_nc_u32_e32 v2, v6, v2
	ds_bpermute_b32 v2, v4, v2
	s_waitcnt lgkmcnt(1)
	v_cndmask_b32_e64 v1, v1, v3, s12
	s_waitcnt lgkmcnt(0)
	v_cndmask_b32_e64 v2, v2, v5, s12
	v_cmp_eq_u32_e64 s12, 0, v0
	s_delay_alu instid0(VALU_DEP_1) | instskip(SKIP_1) | instid1(VALU_DEP_2)
	v_cndmask_b32_e64 v54, v2, v49, s12
	v_cndmask_b32_e64 v53, v1, 0, s12
	;; [unrolled: 1-line block ×3, first 2 shown]
	s_delay_alu instid0(VALU_DEP_1) | instskip(NEXT) | instid1(VALU_DEP_1)
	v_add_nc_u32_e32 v60, v2, v35
	v_cndmask_b32_e64 v2, 0, v60, s6
	s_delay_alu instid0(VALU_DEP_1) | instskip(NEXT) | instid1(VALU_DEP_1)
	v_add_nc_u32_e32 v56, v2, v36
	v_cndmask_b32_e64 v2, 0, v56, s7
	;; [unrolled: 3-line block ×10, first 2 shown]
	s_delay_alu instid0(VALU_DEP_1) | instskip(SKIP_2) | instid1(VALU_DEP_1)
	v_add_nc_u32_e32 v38, v1, v25
	ds_load_b64 v[1:2], v7 offset:2120
	v_cndmask_b32_e64 v3, 0, v38, s1
	v_add_nc_u32_e32 v62, v3, v26
	s_delay_alu instid0(VALU_DEP_1) | instskip(NEXT) | instid1(VALU_DEP_1)
	v_cndmask_b32_e32 v3, 0, v62, vcc_lo
	v_add_nc_u32_e32 v58, v3, v23
	s_waitcnt lgkmcnt(0)
	v_cmp_eq_u32_e32 vcc_lo, 0, v1
	v_add_nc_u32_e32 v59, v53, v78
	s_delay_alu instid0(VALU_DEP_3) | instskip(SKIP_1) | instid1(VALU_DEP_3)
	v_cndmask_b32_e64 v3, 0, v58, s0
	v_cndmask_b32_e32 v4, 0, v49, vcc_lo
	v_add_nc_u32_e32 v55, v59, v77
	s_delay_alu instid0(VALU_DEP_3) | instskip(NEXT) | instid1(VALU_DEP_3)
	v_add_nc_u32_e32 v50, v3, v24
	v_add_nc_u32_e32 v80, v4, v2
	s_delay_alu instid0(VALU_DEP_3) | instskip(NEXT) | instid1(VALU_DEP_1)
	v_add_nc_u32_e32 v51, v55, v76
	v_add_nc_u32_e32 v45, v51, v75
	s_delay_alu instid0(VALU_DEP_1) | instskip(NEXT) | instid1(VALU_DEP_1)
	v_add_nc_u32_e32 v41, v45, v74
	v_add_nc_u32_e32 v39, v41, v73
	s_delay_alu instid0(VALU_DEP_1) | instskip(NEXT) | instid1(VALU_DEP_1)
	;; [unrolled: 3-line block ×5, first 2 shown]
	v_add_nc_u32_e32 v57, v61, v65
	v_add_nc_u32_e32 v49, v57, v64
	s_and_saveexec_b32 s0, s12
	s_cbranch_execz .LBB322_122
; %bb.121:
	v_and_b32_e32 v2, 0xff000000, v80
	v_dual_mov_b32 v4, 0 :: v_dual_and_b32 v3, 0xff0000, v80
	s_add_u32 s2, s24, 0x200
	v_and_b32_e32 v23, 0xff00, v80
	s_addc_u32 s3, s25, 0
	v_and_b32_e32 v24, 0xff, v80
	v_or_b32_e32 v2, v3, v2
	v_mov_b32_e32 v3, 2
	s_delay_alu instid0(VALU_DEP_2)
	v_or3_b32 v2, v2, v23, v24
	v_dual_mov_b32 v24, s3 :: v_dual_mov_b32 v23, s2
	;;#ASMSTART
	global_store_dwordx4 v[23:24], v[1:4] off	
s_waitcnt vmcnt(0)
	;;#ASMEND
.LBB322_122:
	s_or_b32 exec_lo, exec_lo, s0
	v_mov_b32_e32 v3, 0
.LBB322_123:
	v_mov_b32_e32 v23, 0
	s_and_b32 s0, s16, exec_lo
	v_mov_b32_e32 v24, 0
	s_cselect_b32 s1, 0, s43
	s_cselect_b32 s0, 0, s42
	s_delay_alu instid0(SALU_CYCLE_1)
	s_cmp_eq_u64 s[0:1], 0
	s_barrier
	buffer_gl0_inv
	s_cbranch_scc1 .LBB322_125
; %bb.124:
	v_mov_b32_e32 v2, 0
	global_load_b64 v[23:24], v2, s[0:1]
.LBB322_125:
	v_cmp_eq_u32_e32 vcc_lo, 0, v78
	v_cmp_ne_u32_e64 s14, 0, v78
	v_cmp_ne_u32_e64 s13, 0, v77
	;; [unrolled: 1-line block ×4, first 2 shown]
	v_cndmask_b32_e64 v2, 1, 2, vcc_lo
	v_cmp_eq_u32_e32 vcc_lo, 0, v77
	v_cmp_ne_u32_e64 s10, 0, v74
	v_cmp_ne_u32_e64 s9, 0, v73
	;; [unrolled: 1-line block ×4, first 2 shown]
	v_cndmask_b32_e64 v4, 1, 2, vcc_lo
	v_cmp_eq_u32_e32 vcc_lo, 0, v76
	v_cmp_ne_u32_e64 s8, 0, v70
	v_cmp_ne_u32_e64 s6, 0, v68
	;; [unrolled: 1-line block ×3, first 2 shown]
	v_and_b32_e32 v2, v4, v2
	v_cndmask_b32_e64 v25, 1, 2, vcc_lo
	v_cmp_eq_u32_e32 vcc_lo, 0, v75
	v_cmp_ne_u32_e64 s3, 0, v66
	v_cmp_ne_u32_e64 s2, 0, v65
	;; [unrolled: 1-line block ×3, first 2 shown]
	v_and_b32_e32 v2, v2, v25
	v_cndmask_b32_e64 v4, 1, 2, vcc_lo
	v_cmp_eq_u32_e32 vcc_lo, 0, v74
	v_cmp_ne_u32_e64 s0, 0, v69
	s_mov_b32 s16, -1
	s_delay_alu instid0(VALU_DEP_3) | instskip(SKIP_2) | instid1(VALU_DEP_2)
	v_and_b32_e32 v2, v2, v4
	v_cndmask_b32_e64 v25, 1, 2, vcc_lo
	v_cmp_eq_u32_e32 vcc_lo, 0, v73
	v_and_b32_e32 v2, v2, v25
	v_cndmask_b32_e64 v4, 1, 2, vcc_lo
	v_cmp_eq_u32_e32 vcc_lo, 0, v72
	s_waitcnt vmcnt(0)
	v_lshlrev_b64 v[25:26], 2, v[23:24]
	s_delay_alu instid0(VALU_DEP_3) | instskip(SKIP_2) | instid1(VALU_DEP_2)
	v_and_b32_e32 v2, v2, v4
	v_cndmask_b32_e64 v27, 1, 2, vcc_lo
	v_cmp_eq_u32_e32 vcc_lo, 0, v71
	v_and_b32_e32 v2, v2, v27
	v_cndmask_b32_e64 v28, 1, 2, vcc_lo
	v_cmp_eq_u32_e32 vcc_lo, 0, v70
	s_delay_alu instid0(VALU_DEP_2) | instskip(SKIP_2) | instid1(VALU_DEP_2)
	v_and_b32_e32 v2, v2, v28
	v_cndmask_b32_e64 v27, 1, 2, vcc_lo
	v_cmp_eq_u32_e32 vcc_lo, 0, v68
	v_and_b32_e32 v2, v2, v27
	v_cndmask_b32_e64 v28, 1, 2, vcc_lo
	v_cmp_eq_u32_e32 vcc_lo, 0, v67
	s_delay_alu instid0(VALU_DEP_2) | instskip(SKIP_2) | instid1(VALU_DEP_2)
	;; [unrolled: 7-line block ×3, first 2 shown]
	v_and_b32_e32 v2, v2, v29
	v_cndmask_b32_e64 v30, 1, 2, vcc_lo
	v_cmp_eq_u32_e32 vcc_lo, 0, v64
	v_and_b32_e32 v30, v2, v30
	v_cndmask_b32_e64 v31, 1, 2, vcc_lo
	v_mov_b32_e32 v4, 0
	s_delay_alu instid0(VALU_DEP_1) | instskip(SKIP_2) | instid1(VALU_DEP_2)
	v_lshlrev_b64 v[27:28], 2, v[3:4]
	v_add_co_u32 v4, vcc_lo, s22, v25
	v_add_co_ci_u32_e32 v29, vcc_lo, s23, v26, vcc_lo
	v_add_co_u32 v2, vcc_lo, v4, v27
	s_delay_alu instid0(VALU_DEP_2) | instskip(SKIP_4) | instid1(VALU_DEP_2)
	v_add_co_ci_u32_e32 v4, vcc_lo, v29, v28, vcc_lo
	v_and_b32_e32 v29, v30, v31
	v_cmp_eq_u32_e32 vcc_lo, 0, v69
	v_cndmask_b32_e64 v30, 1, 2, vcc_lo
	v_cmp_gt_u32_e32 vcc_lo, 0x100, v1
	v_and_b32_e32 v29, v29, v30
	s_delay_alu instid0(VALU_DEP_1)
	v_cmp_gt_i16_e64 s15, 2, v29
	s_cbranch_vccz .LBB322_132
; %bb.126:
	s_delay_alu instid0(VALU_DEP_1)
	s_and_saveexec_b32 s16, s15
	s_cbranch_execz .LBB322_131
; %bb.127:
	s_mov_b32 s17, 0
	s_mov_b32 s15, exec_lo
	v_cmpx_ne_u16_e32 1, v29
	s_xor_b32 s15, exec_lo, s15
	s_cbranch_execnz .LBB322_164
; %bb.128:
	s_and_not1_saveexec_b32 s15, s15
	s_cbranch_execnz .LBB322_180
.LBB322_129:
	s_or_b32 exec_lo, exec_lo, s15
	s_delay_alu instid0(SALU_CYCLE_1)
	s_and_b32 exec_lo, exec_lo, s17
	s_cbranch_execz .LBB322_131
.LBB322_130:
	v_sub_nc_u32_e32 v30, v49, v3
	v_mov_b32_e32 v31, 0
	s_delay_alu instid0(VALU_DEP_1) | instskip(NEXT) | instid1(VALU_DEP_1)
	v_lshlrev_b64 v[30:31], 2, v[30:31]
	v_add_co_u32 v30, vcc_lo, v2, v30
	s_delay_alu instid0(VALU_DEP_2)
	v_add_co_ci_u32_e32 v31, vcc_lo, v4, v31, vcc_lo
	global_store_b32 v[30:31], v63, off
.LBB322_131:
	s_or_b32 exec_lo, exec_lo, s16
	s_mov_b32 s16, 0
.LBB322_132:
	s_delay_alu instid0(SALU_CYCLE_1)
	s_and_b32 vcc_lo, exec_lo, s16
	s_cbranch_vccz .LBB322_142
; %bb.133:
	s_mov_b32 s15, exec_lo
	v_cmpx_gt_i16_e32 2, v29
	s_cbranch_execz .LBB322_138
; %bb.134:
	s_mov_b32 s17, 0
	s_mov_b32 s16, exec_lo
	v_cmpx_ne_u16_e32 1, v29
	s_xor_b32 s16, exec_lo, s16
	s_cbranch_execnz .LBB322_181
; %bb.135:
	s_and_not1_saveexec_b32 s0, s16
	s_cbranch_execnz .LBB322_197
.LBB322_136:
	s_or_b32 exec_lo, exec_lo, s0
	s_delay_alu instid0(SALU_CYCLE_1)
	s_and_b32 exec_lo, exec_lo, s17
	s_cbranch_execz .LBB322_138
.LBB322_137:
	v_sub_nc_u32_e32 v9, v49, v3
	s_delay_alu instid0(VALU_DEP_1)
	v_lshlrev_b32_e32 v9, 2, v9
	ds_store_b32 v9, v63
.LBB322_138:
	s_or_b32 exec_lo, exec_lo, s15
	s_delay_alu instid0(SALU_CYCLE_1)
	s_mov_b32 s1, exec_lo
	s_waitcnt lgkmcnt(0)
	s_waitcnt_vscnt null, 0x0
	s_barrier
	buffer_gl0_inv
	v_cmpx_lt_u32_e64 v0, v1
	s_cbranch_execz .LBB322_141
; %bb.139:
	v_dual_mov_b32 v10, 0 :: v_dual_lshlrev_b32 v11, 2, v0
	v_mov_b32_e32 v9, v0
	s_mov_b32 s2, 0
	.p2align	6
.LBB322_140:                            ; =>This Inner Loop Header: Depth=1
	ds_load_b32 v14, v11
	v_lshlrev_b64 v[12:13], 2, v[9:10]
	v_add_nc_u32_e32 v9, 0x100, v9
	v_add_nc_u32_e32 v11, 0x400, v11
	s_delay_alu instid0(VALU_DEP_2) | instskip(NEXT) | instid1(VALU_DEP_4)
	v_cmp_ge_u32_e32 vcc_lo, v9, v1
	v_add_co_u32 v12, s0, v2, v12
	s_delay_alu instid0(VALU_DEP_1)
	v_add_co_ci_u32_e64 v13, s0, v4, v13, s0
	s_or_b32 s2, vcc_lo, s2
	s_waitcnt lgkmcnt(0)
	global_store_b32 v[12:13], v14, off
	s_and_not1_b32 exec_lo, exec_lo, s2
	s_cbranch_execnz .LBB322_140
.LBB322_141:
	s_or_b32 exec_lo, exec_lo, s1
.LBB322_142:
	s_cmpk_lg_i32 s21, 0xf00
	v_cmp_eq_u32_e32 vcc_lo, 0, v0
	s_cselect_b32 s0, -1, 0
	v_cndmask_b32_e64 v4, 0, 1, s28
	s_and_b32 s0, s20, s0
	v_mad_i32_i24 v10, v0, -15, s21
	v_cndmask_b32_e64 v9, 0, 1, s0
	s_mul_hi_u32 s0, s21, 0x88888889
	s_and_b32 s1, vcc_lo, s28
	s_lshr_b32 s0, s0, 3
	v_sub_nc_u32_e32 v2, v1, v4
	v_cndmask_b32_e64 v11, v78, 0, s1
	v_cmp_eq_u32_e32 vcc_lo, s0, v0
	v_cmp_ne_u32_e64 s0, 0, v10
	s_mov_b32 s16, -1
	s_waitcnt_vscnt null, 0x0
	s_barrier
	s_and_b32 vcc_lo, s20, vcc_lo
	v_add_nc_u32_e32 v2, v2, v9
	v_cndmask_b32_e64 v9, 1, v11, s0
	v_cmp_ne_u32_e64 s0, 1, v10
	buffer_gl0_inv
	v_cndmask_b32_e64 v12, 1, v77, s0
	v_cmp_ne_u32_e64 s0, 14, v10
	s_delay_alu instid0(VALU_DEP_2) | instskip(NEXT) | instid1(VALU_DEP_2)
	v_cndmask_b32_e32 v17, v77, v12, vcc_lo
	v_cndmask_b32_e64 v13, 1, v69, s0
	v_cmp_ne_u32_e64 s0, 2, v10
	s_delay_alu instid0(VALU_DEP_3) | instskip(NEXT) | instid1(VALU_DEP_2)
	v_cmp_ne_u32_e64 s13, 0, v17
	v_cndmask_b32_e64 v14, 1, v76, s0
	v_cmp_ne_u32_e64 s0, 3, v10
	s_delay_alu instid0(VALU_DEP_2) | instskip(NEXT) | instid1(VALU_DEP_2)
	v_cndmask_b32_e32 v14, v76, v14, vcc_lo
	v_cndmask_b32_e64 v15, 1, v75, s0
	v_cmp_ne_u32_e64 s0, 4, v10
	v_cndmask_b32_e32 v16, v69, v13, vcc_lo
	v_cndmask_b32_e32 v13, v11, v9, vcc_lo
	v_cmp_ne_u32_e64 s12, 0, v14
	v_cndmask_b32_e32 v15, v75, v15, vcc_lo
	v_cndmask_b32_e64 v9, 1, v74, s0
	v_cmp_ne_u32_e64 s0, 5, v10
	v_cmp_ne_u32_e64 s14, 0, v13
	s_delay_alu instid0(VALU_DEP_4) | instskip(NEXT) | instid1(VALU_DEP_3)
	v_cmp_ne_u32_e64 s11, 0, v15
	v_cndmask_b32_e64 v11, 1, v73, s0
	v_cmp_eq_u32_e64 s0, 0, v13
	s_delay_alu instid0(VALU_DEP_2) | instskip(NEXT) | instid1(VALU_DEP_2)
	v_cndmask_b32_e32 v29, v73, v11, vcc_lo
	v_cndmask_b32_e64 v12, 1, 2, s0
	v_cmp_eq_u32_e64 s0, 0, v17
	s_delay_alu instid0(VALU_DEP_3) | instskip(NEXT) | instid1(VALU_DEP_2)
	v_cmp_ne_u32_e64 s9, 0, v29
	v_cndmask_b32_e64 v18, 1, 2, s0
	v_cmp_ne_u32_e64 s0, 6, v10
	s_delay_alu instid0(VALU_DEP_2) | instskip(NEXT) | instid1(VALU_DEP_2)
	v_and_b32_e32 v12, v18, v12
	v_cndmask_b32_e64 v19, 1, v72, s0
	v_cmp_eq_u32_e64 s0, 0, v14
	s_delay_alu instid0(VALU_DEP_1) | instskip(SKIP_1) | instid1(VALU_DEP_1)
	v_cndmask_b32_e64 v18, 1, 2, s0
	v_cmp_ne_u32_e64 s0, 7, v10
	v_cndmask_b32_e64 v20, 1, v71, s0
	v_cmp_ne_u32_e64 s0, 8, v10
	s_delay_alu instid0(VALU_DEP_2) | instskip(NEXT) | instid1(VALU_DEP_2)
	v_dual_cndmask_b32 v19, v72, v19 :: v_dual_cndmask_b32 v20, v71, v20
	v_cndmask_b32_e64 v21, 1, v70, s0
	v_cmp_eq_u32_e64 s0, 0, v15
	v_and_b32_e32 v12, v12, v18
	s_delay_alu instid0(VALU_DEP_4)
	v_cmp_ne_u32_e64 s8, 0, v19
	v_cmp_ne_u32_e64 s7, 0, v20
	v_cndmask_b32_e32 v21, v70, v21, vcc_lo
	v_cndmask_b32_e64 v18, 1, 2, s0
	v_cndmask_b32_e32 v22, v74, v9, vcc_lo
	v_cmp_ne_u32_e64 s0, 9, v10
	s_delay_alu instid0(VALU_DEP_4) | instskip(NEXT) | instid1(VALU_DEP_4)
	v_cmp_ne_u32_e64 s6, 0, v21
	v_and_b32_e32 v11, v12, v18
	s_delay_alu instid0(VALU_DEP_4) | instskip(NEXT) | instid1(VALU_DEP_4)
	v_cmp_ne_u32_e64 s10, 0, v22
	v_cndmask_b32_e64 v9, 1, v68, s0
	v_cmp_eq_u32_e64 s0, 0, v22
	s_delay_alu instid0(VALU_DEP_2) | instskip(NEXT) | instid1(VALU_DEP_2)
	v_cndmask_b32_e32 v33, v68, v9, vcc_lo
	v_cndmask_b32_e64 v12, 1, 2, s0
	v_cmp_ne_u32_e64 s0, 10, v10
	s_delay_alu instid0(VALU_DEP_1) | instskip(SKIP_1) | instid1(VALU_DEP_2)
	v_cndmask_b32_e64 v18, 1, v67, s0
	v_cmp_ne_u32_e64 s0, 12, v10
	v_cndmask_b32_e32 v18, v67, v18, vcc_lo
	s_delay_alu instid0(VALU_DEP_2) | instskip(SKIP_2) | instid1(VALU_DEP_4)
	v_cndmask_b32_e64 v30, 1, v65, s0
	v_cmp_eq_u32_e64 s0, 0, v29
	v_and_b32_e32 v11, v11, v12
	v_cmp_ne_u32_e64 s4, 0, v18
	s_delay_alu instid0(VALU_DEP_4) | instskip(NEXT) | instid1(VALU_DEP_4)
	v_cndmask_b32_e32 v30, v65, v30, vcc_lo
	v_cndmask_b32_e64 v12, 1, 2, s0
	v_cmp_ne_u32_e64 s0, 13, v10
	s_delay_alu instid0(VALU_DEP_3) | instskip(NEXT) | instid1(VALU_DEP_3)
	v_cmp_ne_u32_e64 s2, 0, v30
	v_and_b32_e32 v11, v11, v12
	s_delay_alu instid0(VALU_DEP_3) | instskip(SKIP_1) | instid1(VALU_DEP_2)
	v_cndmask_b32_e64 v31, 1, v64, s0
	v_cmp_eq_u32_e64 s0, 0, v19
	v_cndmask_b32_e32 v31, v64, v31, vcc_lo
	s_delay_alu instid0(VALU_DEP_2) | instskip(SKIP_1) | instid1(VALU_DEP_3)
	v_cndmask_b32_e64 v12, 1, 2, s0
	v_cmp_ne_u32_e64 s0, 11, v10
	v_cmp_ne_u32_e64 s1, 0, v31
	s_delay_alu instid0(VALU_DEP_2) | instskip(SKIP_1) | instid1(VALU_DEP_2)
	v_cndmask_b32_e64 v10, 1, v66, s0
	v_cmp_eq_u32_e64 s0, 0, v20
	v_dual_cndmask_b32 v32, v66, v10 :: v_dual_and_b32 v11, v11, v12
	s_delay_alu instid0(VALU_DEP_2) | instskip(SKIP_2) | instid1(VALU_DEP_4)
	v_cndmask_b32_e64 v12, 1, 2, s0
	v_cmp_eq_u32_e32 vcc_lo, 0, v21
	v_cmp_ne_u32_e64 s0, 0, v16
	v_cmp_ne_u32_e64 s3, 0, v32
	s_delay_alu instid0(VALU_DEP_4) | instskip(SKIP_4) | instid1(VALU_DEP_4)
	v_and_b32_e32 v9, v11, v12
	v_cndmask_b32_e64 v10, 1, 2, vcc_lo
	v_add_co_u32 v11, vcc_lo, s36, v25
	v_add_co_ci_u32_e32 v12, vcc_lo, s37, v26, vcc_lo
	v_cmp_eq_u32_e32 vcc_lo, 0, v33
	v_and_b32_e32 v25, v9, v10
	v_cndmask_b32_e64 v26, 1, 2, vcc_lo
	v_add_co_u32 v9, vcc_lo, v11, v27
	v_add_co_ci_u32_e32 v10, vcc_lo, v12, v28, vcc_lo
	v_lshlrev_b32_e32 v11, 2, v4
	v_cmp_eq_u32_e32 vcc_lo, 0, v18
	v_and_b32_e32 v12, v25, v26
	v_add_nc_u32_e32 v4, v3, v4
	v_cmp_ne_u32_e64 s5, 0, v33
	v_cndmask_b32_e64 v25, 1, 2, vcc_lo
	v_add_co_u32 v11, vcc_lo, v11, v9
	v_add_co_ci_u32_e32 v26, vcc_lo, 0, v10, vcc_lo
	v_cmp_eq_u32_e32 vcc_lo, 0, v32
	s_delay_alu instid0(VALU_DEP_4) | instskip(SKIP_4) | instid1(VALU_DEP_4)
	v_and_b32_e32 v25, v12, v25
	v_cndmask_b32_e64 v27, 1, 2, vcc_lo
	v_add_co_u32 v11, vcc_lo, v11, -4
	v_add_co_ci_u32_e32 v12, vcc_lo, -1, v26, vcc_lo
	v_cmp_eq_u32_e32 vcc_lo, 0, v30
	v_and_b32_e32 v25, v25, v27
	v_cndmask_b32_e64 v26, 1, 2, vcc_lo
	v_cmp_eq_u32_e32 vcc_lo, 0, v31
	s_delay_alu instid0(VALU_DEP_2) | instskip(SKIP_2) | instid1(VALU_DEP_2)
	v_and_b32_e32 v13, v25, v26
	v_cndmask_b32_e64 v14, 1, 2, vcc_lo
	v_cmp_eq_u32_e32 vcc_lo, 0, v16
	v_and_b32_e32 v13, v13, v14
	v_cndmask_b32_e64 v14, 1, 2, vcc_lo
	v_cmp_gt_u32_e32 vcc_lo, 0x100, v2
	s_delay_alu instid0(VALU_DEP_2) | instskip(NEXT) | instid1(VALU_DEP_1)
	v_and_b32_e32 v13, v13, v14
	v_cmp_gt_i16_e64 s15, 2, v13
	s_cbranch_vccnz .LBB322_146
; %bb.143:
	s_and_b32 vcc_lo, exec_lo, s16
	s_cbranch_vccnz .LBB322_152
.LBB322_144:
	v_cmp_eq_u32_e32 vcc_lo, 0xff, v0
	s_and_b32 s0, vcc_lo, s20
	s_delay_alu instid0(SALU_CYCLE_1)
	s_and_saveexec_b32 s1, s0
	s_cbranch_execnz .LBB322_161
.LBB322_145:
	s_nop 0
	s_sendmsg sendmsg(MSG_DEALLOC_VGPRS)
	s_endpgm
.LBB322_146:
	s_delay_alu instid0(VALU_DEP_1)
	s_and_saveexec_b32 s16, s15
	s_cbranch_execz .LBB322_151
; %bb.147:
	s_mov_b32 s17, 0
	s_mov_b32 s15, exec_lo
	v_cmpx_ne_u16_e32 1, v13
	s_xor_b32 s15, exec_lo, s15
	s_cbranch_execnz .LBB322_198
; %bb.148:
	s_and_not1_saveexec_b32 s15, s15
	s_cbranch_execnz .LBB322_214
.LBB322_149:
	s_or_b32 exec_lo, exec_lo, s15
	s_delay_alu instid0(SALU_CYCLE_1)
	s_and_b32 exec_lo, exec_lo, s17
	s_cbranch_execz .LBB322_151
.LBB322_150:
	v_sub_nc_u32_e32 v14, v49, v4
	v_mov_b32_e32 v15, 0
	s_delay_alu instid0(VALU_DEP_1) | instskip(NEXT) | instid1(VALU_DEP_1)
	v_lshlrev_b64 v[14:15], 2, v[14:15]
	v_add_co_u32 v14, vcc_lo, v11, v14
	s_delay_alu instid0(VALU_DEP_2)
	v_add_co_ci_u32_e32 v15, vcc_lo, v12, v15, vcc_lo
	global_store_b32 v[14:15], v50, off
.LBB322_151:
	s_or_b32 exec_lo, exec_lo, s16
	s_branch .LBB322_144
.LBB322_152:
	s_mov_b32 s15, exec_lo
	v_cmpx_gt_i16_e32 2, v13
	s_cbranch_execz .LBB322_157
; %bb.153:
	s_mov_b32 s17, 0
	s_mov_b32 s16, exec_lo
	v_cmpx_ne_u16_e32 1, v13
	s_xor_b32 s16, exec_lo, s16
	s_cbranch_execnz .LBB322_215
; %bb.154:
	s_and_not1_saveexec_b32 s0, s16
	s_cbranch_execnz .LBB322_231
.LBB322_155:
	s_or_b32 exec_lo, exec_lo, s0
	s_delay_alu instid0(SALU_CYCLE_1)
	s_and_b32 exec_lo, exec_lo, s17
	s_cbranch_execz .LBB322_157
.LBB322_156:
	v_sub_nc_u32_e32 v4, v49, v4
	s_delay_alu instid0(VALU_DEP_1)
	v_lshlrev_b32_e32 v4, 2, v4
	ds_store_b32 v4, v50
.LBB322_157:
	s_or_b32 exec_lo, exec_lo, s15
	s_delay_alu instid0(SALU_CYCLE_1)
	s_mov_b32 s1, exec_lo
	s_waitcnt lgkmcnt(0)
	s_waitcnt_vscnt null, 0x0
	s_barrier
	buffer_gl0_inv
	v_cmpx_lt_u32_e64 v0, v2
	s_cbranch_execz .LBB322_160
; %bb.158:
	v_dual_mov_b32 v5, 0 :: v_dual_lshlrev_b32 v6, 2, v0
	v_mov_b32_e32 v4, v0
	s_mov_b32 s2, 0
	.p2align	6
.LBB322_159:                            ; =>This Inner Loop Header: Depth=1
	ds_load_b32 v13, v6
	v_lshlrev_b64 v[7:8], 2, v[4:5]
	v_add_nc_u32_e32 v4, 0x100, v4
	v_add_nc_u32_e32 v6, 0x400, v6
	s_delay_alu instid0(VALU_DEP_2) | instskip(NEXT) | instid1(VALU_DEP_4)
	v_cmp_ge_u32_e32 vcc_lo, v4, v2
	v_add_co_u32 v7, s0, v11, v7
	s_delay_alu instid0(VALU_DEP_1)
	v_add_co_ci_u32_e64 v8, s0, v12, v8, s0
	s_or_b32 s2, vcc_lo, s2
	s_waitcnt lgkmcnt(0)
	global_store_b32 v[7:8], v13, off
	s_and_not1_b32 exec_lo, exec_lo, s2
	s_cbranch_execnz .LBB322_159
.LBB322_160:
	s_or_b32 exec_lo, exec_lo, s1
	v_cmp_eq_u32_e32 vcc_lo, 0xff, v0
	s_and_b32 s0, vcc_lo, s20
	s_delay_alu instid0(SALU_CYCLE_1)
	s_and_saveexec_b32 s1, s0
	s_cbranch_execz .LBB322_145
.LBB322_161:
	v_add_co_u32 v0, s0, v1, v3
	s_delay_alu instid0(VALU_DEP_1) | instskip(SKIP_1) | instid1(VALU_DEP_3)
	v_add_co_ci_u32_e64 v4, null, 0, 0, s0
	v_mov_b32_e32 v2, 0
	v_add_co_u32 v3, vcc_lo, v0, v23
	s_delay_alu instid0(VALU_DEP_3)
	v_add_co_ci_u32_e32 v4, vcc_lo, v4, v24, vcc_lo
	s_cmpk_lg_i32 s21, 0xf00
	global_store_b64 v2, v[3:4], s[38:39]
	s_cbranch_scc1 .LBB322_145
; %bb.162:
	v_lshlrev_b64 v[0:1], 2, v[1:2]
	s_delay_alu instid0(VALU_DEP_1) | instskip(NEXT) | instid1(VALU_DEP_2)
	v_add_co_u32 v0, vcc_lo, v9, v0
	v_add_co_ci_u32_e32 v1, vcc_lo, v10, v1, vcc_lo
	global_store_b32 v[0:1], v80, off offset:-4
	s_nop 0
	s_sendmsg sendmsg(MSG_DEALLOC_VGPRS)
	s_endpgm
.LBB322_163:
	s_or_b32 exec_lo, exec_lo, s2
	v_mov_b32_e32 v78, s1
	s_and_saveexec_b32 s1, s30
	s_cbranch_execnz .LBB322_84
	s_branch .LBB322_85
.LBB322_164:
	s_and_saveexec_b32 s17, s14
	s_cbranch_execnz .LBB322_232
; %bb.165:
	s_or_b32 exec_lo, exec_lo, s17
	s_and_saveexec_b32 s17, s13
	s_cbranch_execnz .LBB322_233
.LBB322_166:
	s_or_b32 exec_lo, exec_lo, s17
	s_and_saveexec_b32 s17, s12
	s_cbranch_execnz .LBB322_234
.LBB322_167:
	s_or_b32 exec_lo, exec_lo, s17
	s_and_saveexec_b32 s17, s11
	s_cbranch_execnz .LBB322_235
.LBB322_168:
	s_or_b32 exec_lo, exec_lo, s17
	s_and_saveexec_b32 s17, s10
	s_cbranch_execnz .LBB322_236
.LBB322_169:
	s_or_b32 exec_lo, exec_lo, s17
	s_and_saveexec_b32 s17, s9
	s_cbranch_execnz .LBB322_237
.LBB322_170:
	s_or_b32 exec_lo, exec_lo, s17
	s_and_saveexec_b32 s17, s7
	s_cbranch_execnz .LBB322_238
.LBB322_171:
	s_or_b32 exec_lo, exec_lo, s17
	s_and_saveexec_b32 s17, s5
	s_cbranch_execnz .LBB322_239
.LBB322_172:
	s_or_b32 exec_lo, exec_lo, s17
	s_and_saveexec_b32 s17, s8
	s_cbranch_execnz .LBB322_240
.LBB322_173:
	s_or_b32 exec_lo, exec_lo, s17
	s_and_saveexec_b32 s17, s6
	s_cbranch_execnz .LBB322_241
.LBB322_174:
	s_or_b32 exec_lo, exec_lo, s17
	s_and_saveexec_b32 s17, s4
	s_cbranch_execnz .LBB322_242
.LBB322_175:
	s_or_b32 exec_lo, exec_lo, s17
	s_and_saveexec_b32 s17, s3
	s_cbranch_execnz .LBB322_243
.LBB322_176:
	s_or_b32 exec_lo, exec_lo, s17
	s_and_saveexec_b32 s17, s2
	s_cbranch_execnz .LBB322_244
.LBB322_177:
	s_or_b32 exec_lo, exec_lo, s17
	s_and_saveexec_b32 s17, s1
	s_cbranch_execz .LBB322_179
.LBB322_178:
	v_sub_nc_u32_e32 v30, v57, v3
	v_mov_b32_e32 v31, 0
	s_delay_alu instid0(VALU_DEP_1) | instskip(NEXT) | instid1(VALU_DEP_1)
	v_lshlrev_b64 v[30:31], 2, v[30:31]
	v_add_co_u32 v30, vcc_lo, v2, v30
	s_delay_alu instid0(VALU_DEP_2)
	v_add_co_ci_u32_e32 v31, vcc_lo, v4, v31, vcc_lo
	global_store_b32 v[30:31], v10, off
.LBB322_179:
	s_or_b32 exec_lo, exec_lo, s17
	s_delay_alu instid0(SALU_CYCLE_1)
	s_and_b32 s17, s0, exec_lo
	s_and_not1_saveexec_b32 s15, s15
	s_cbranch_execz .LBB322_129
.LBB322_180:
	v_sub_nc_u32_e32 v30, v53, v3
	v_mov_b32_e32 v31, 0
	s_or_b32 s17, s17, exec_lo
	s_delay_alu instid0(VALU_DEP_1) | instskip(SKIP_1) | instid1(VALU_DEP_1)
	v_lshlrev_b64 v[32:33], 2, v[30:31]
	v_sub_nc_u32_e32 v30, v59, v3
	v_lshlrev_b64 v[34:35], 2, v[30:31]
	v_sub_nc_u32_e32 v30, v55, v3
	s_delay_alu instid0(VALU_DEP_4) | instskip(SKIP_1) | instid1(VALU_DEP_3)
	v_add_co_u32 v32, vcc_lo, v2, v32
	v_add_co_ci_u32_e32 v33, vcc_lo, v4, v33, vcc_lo
	v_lshlrev_b64 v[81:82], 2, v[30:31]
	v_sub_nc_u32_e32 v30, v51, v3
	v_add_co_u32 v34, vcc_lo, v2, v34
	v_add_co_ci_u32_e32 v35, vcc_lo, v4, v35, vcc_lo
	global_store_b32 v[32:33], v21, off
	v_lshlrev_b64 v[32:33], 2, v[30:31]
	v_sub_nc_u32_e32 v30, v45, v3
	global_store_b32 v[34:35], v22, off
	v_add_co_u32 v34, vcc_lo, v2, v81
	v_add_co_ci_u32_e32 v35, vcc_lo, v4, v82, vcc_lo
	v_lshlrev_b64 v[81:82], 2, v[30:31]
	v_sub_nc_u32_e32 v30, v41, v3
	v_add_co_u32 v32, vcc_lo, v2, v32
	v_add_co_ci_u32_e32 v33, vcc_lo, v4, v33, vcc_lo
	s_delay_alu instid0(VALU_DEP_3) | instskip(SKIP_3) | instid1(VALU_DEP_3)
	v_lshlrev_b64 v[83:84], 2, v[30:31]
	v_sub_nc_u32_e32 v30, v39, v3
	v_add_co_u32 v81, vcc_lo, v2, v81
	v_add_co_ci_u32_e32 v82, vcc_lo, v4, v82, vcc_lo
	v_lshlrev_b64 v[85:86], 2, v[30:31]
	v_sub_nc_u32_e32 v30, v43, v3
	v_add_co_u32 v83, vcc_lo, v2, v83
	v_add_co_ci_u32_e32 v84, vcc_lo, v4, v84, vcc_lo
	s_clause 0x3
	global_store_b32 v[34:35], v19, off
	global_store_b32 v[32:33], v20, off
	;; [unrolled: 1-line block ×4, first 2 shown]
	v_lshlrev_b64 v[32:33], 2, v[30:31]
	v_sub_nc_u32_e32 v30, v47, v3
	v_add_co_u32 v34, vcc_lo, v2, v85
	v_add_co_ci_u32_e32 v35, vcc_lo, v4, v86, vcc_lo
	s_delay_alu instid0(VALU_DEP_3) | instskip(SKIP_3) | instid1(VALU_DEP_3)
	v_lshlrev_b64 v[81:82], 2, v[30:31]
	v_sub_nc_u32_e32 v30, v5, v3
	v_add_co_u32 v32, vcc_lo, v2, v32
	v_add_co_ci_u32_e32 v33, vcc_lo, v4, v33, vcc_lo
	v_lshlrev_b64 v[83:84], 2, v[30:31]
	v_sub_nc_u32_e32 v30, v7, v3
	v_add_co_u32 v81, vcc_lo, v2, v81
	v_add_co_ci_u32_e32 v82, vcc_lo, v4, v82, vcc_lo
	s_delay_alu instid0(VALU_DEP_3)
	v_lshlrev_b64 v[85:86], 2, v[30:31]
	v_sub_nc_u32_e32 v30, v37, v3
	v_add_co_u32 v83, vcc_lo, v2, v83
	v_add_co_ci_u32_e32 v84, vcc_lo, v4, v84, vcc_lo
	s_clause 0x3
	global_store_b32 v[34:35], v15, off
	global_store_b32 v[32:33], v16, off
	global_store_b32 v[81:82], v13, off
	global_store_b32 v[83:84], v14, off
	v_lshlrev_b64 v[32:33], 2, v[30:31]
	v_sub_nc_u32_e32 v30, v61, v3
	v_add_co_u32 v34, vcc_lo, v2, v85
	v_add_co_ci_u32_e32 v35, vcc_lo, v4, v86, vcc_lo
	s_delay_alu instid0(VALU_DEP_3) | instskip(SKIP_3) | instid1(VALU_DEP_3)
	v_lshlrev_b64 v[81:82], 2, v[30:31]
	v_sub_nc_u32_e32 v30, v57, v3
	v_add_co_u32 v32, vcc_lo, v2, v32
	v_add_co_ci_u32_e32 v33, vcc_lo, v4, v33, vcc_lo
	v_lshlrev_b64 v[30:31], 2, v[30:31]
	v_add_co_u32 v81, vcc_lo, v2, v81
	v_add_co_ci_u32_e32 v82, vcc_lo, v4, v82, vcc_lo
	s_clause 0x2
	global_store_b32 v[34:35], v11, off
	global_store_b32 v[32:33], v12, off
	global_store_b32 v[81:82], v9, off
	v_add_co_u32 v30, vcc_lo, v2, v30
	v_add_co_ci_u32_e32 v31, vcc_lo, v4, v31, vcc_lo
	global_store_b32 v[30:31], v10, off
	s_or_b32 exec_lo, exec_lo, s15
	s_delay_alu instid0(SALU_CYCLE_1)
	s_and_b32 exec_lo, exec_lo, s17
	s_cbranch_execnz .LBB322_130
	s_branch .LBB322_131
.LBB322_181:
	s_and_saveexec_b32 s17, s14
	s_cbranch_execnz .LBB322_245
; %bb.182:
	s_or_b32 exec_lo, exec_lo, s17
	s_and_saveexec_b32 s14, s13
	s_cbranch_execnz .LBB322_246
.LBB322_183:
	s_or_b32 exec_lo, exec_lo, s14
	s_and_saveexec_b32 s13, s12
	s_cbranch_execnz .LBB322_247
.LBB322_184:
	s_or_b32 exec_lo, exec_lo, s13
	s_and_saveexec_b32 s12, s11
	s_cbranch_execnz .LBB322_248
.LBB322_185:
	s_or_b32 exec_lo, exec_lo, s12
	s_and_saveexec_b32 s11, s10
	s_cbranch_execnz .LBB322_249
.LBB322_186:
	s_or_b32 exec_lo, exec_lo, s11
	s_and_saveexec_b32 s10, s9
	s_cbranch_execnz .LBB322_250
.LBB322_187:
	s_or_b32 exec_lo, exec_lo, s10
	s_and_saveexec_b32 s9, s7
	s_cbranch_execnz .LBB322_251
.LBB322_188:
	s_or_b32 exec_lo, exec_lo, s9
	s_and_saveexec_b32 s7, s5
	s_cbranch_execnz .LBB322_252
.LBB322_189:
	s_or_b32 exec_lo, exec_lo, s7
	s_and_saveexec_b32 s5, s8
	s_cbranch_execnz .LBB322_253
.LBB322_190:
	s_or_b32 exec_lo, exec_lo, s5
	s_and_saveexec_b32 s5, s6
	s_cbranch_execnz .LBB322_254
.LBB322_191:
	s_or_b32 exec_lo, exec_lo, s5
	s_and_saveexec_b32 s5, s4
	s_cbranch_execnz .LBB322_255
.LBB322_192:
	s_or_b32 exec_lo, exec_lo, s5
	s_and_saveexec_b32 s4, s3
	s_cbranch_execnz .LBB322_256
.LBB322_193:
	s_or_b32 exec_lo, exec_lo, s4
	s_and_saveexec_b32 s3, s2
	s_cbranch_execnz .LBB322_257
.LBB322_194:
	s_or_b32 exec_lo, exec_lo, s3
	s_and_saveexec_b32 s2, s1
	s_cbranch_execz .LBB322_196
.LBB322_195:
	v_sub_nc_u32_e32 v9, v57, v3
	s_delay_alu instid0(VALU_DEP_1)
	v_lshlrev_b32_e32 v9, 2, v9
	ds_store_b32 v9, v10
.LBB322_196:
	s_or_b32 exec_lo, exec_lo, s2
	s_delay_alu instid0(SALU_CYCLE_1)
	s_and_b32 s17, s0, exec_lo
                                        ; implicit-def: $vgpr21
                                        ; implicit-def: $vgpr19
                                        ; implicit-def: $vgpr17
                                        ; implicit-def: $vgpr15
                                        ; implicit-def: $vgpr13
                                        ; implicit-def: $vgpr11
                                        ; implicit-def: $vgpr9
	s_and_not1_saveexec_b32 s0, s16
	s_cbranch_execz .LBB322_136
.LBB322_197:
	v_sub_nc_u32_e32 v29, v53, v3
	v_sub_nc_u32_e32 v32, v51, v3
	;; [unrolled: 1-line block ×4, first 2 shown]
	s_or_b32 s17, s17, exec_lo
	v_lshlrev_b32_e32 v29, 2, v29
	v_lshlrev_b32_e32 v32, 2, v32
	;; [unrolled: 1-line block ×4, first 2 shown]
	ds_store_b32 v29, v21
	ds_store_b32 v30, v22
	;; [unrolled: 1-line block ×3, first 2 shown]
	v_sub_nc_u32_e32 v19, v45, v3
	ds_store_b32 v32, v20
	v_sub_nc_u32_e32 v20, v41, v3
	v_sub_nc_u32_e32 v21, v39, v3
	;; [unrolled: 1-line block ×3, first 2 shown]
	v_lshlrev_b32_e32 v19, 2, v19
	v_sub_nc_u32_e32 v29, v47, v3
	v_lshlrev_b32_e32 v20, 2, v20
	v_lshlrev_b32_e32 v21, 2, v21
	;; [unrolled: 1-line block ×3, first 2 shown]
	ds_store_b32 v19, v17
	v_lshlrev_b32_e32 v17, 2, v29
	ds_store_b32 v20, v18
	ds_store_b32 v21, v15
	;; [unrolled: 1-line block ×3, first 2 shown]
	v_sub_nc_u32_e32 v15, v5, v3
	v_sub_nc_u32_e32 v18, v57, v3
	;; [unrolled: 1-line block ×3, first 2 shown]
	ds_store_b32 v17, v13
	v_sub_nc_u32_e32 v13, v7, v3
	v_lshlrev_b32_e32 v15, 2, v15
	v_sub_nc_u32_e32 v17, v61, v3
	v_lshlrev_b32_e32 v16, 2, v16
	s_delay_alu instid0(VALU_DEP_4)
	v_lshlrev_b32_e32 v13, 2, v13
	ds_store_b32 v15, v14
	v_lshlrev_b32_e32 v14, 2, v18
	v_lshlrev_b32_e32 v17, 2, v17
	ds_store_b32 v13, v11
	ds_store_b32 v16, v12
	;; [unrolled: 1-line block ×4, first 2 shown]
	s_or_b32 exec_lo, exec_lo, s0
	s_delay_alu instid0(SALU_CYCLE_1)
	s_and_b32 exec_lo, exec_lo, s17
	s_cbranch_execnz .LBB322_137
	s_branch .LBB322_138
.LBB322_198:
	s_and_saveexec_b32 s17, s14
	s_cbranch_execnz .LBB322_258
; %bb.199:
	s_or_b32 exec_lo, exec_lo, s17
	s_and_saveexec_b32 s17, s13
	s_cbranch_execnz .LBB322_259
.LBB322_200:
	s_or_b32 exec_lo, exec_lo, s17
	s_and_saveexec_b32 s17, s12
	s_cbranch_execnz .LBB322_260
.LBB322_201:
	s_or_b32 exec_lo, exec_lo, s17
	s_and_saveexec_b32 s17, s11
	s_cbranch_execnz .LBB322_261
.LBB322_202:
	s_or_b32 exec_lo, exec_lo, s17
	s_and_saveexec_b32 s17, s10
	s_cbranch_execnz .LBB322_262
.LBB322_203:
	s_or_b32 exec_lo, exec_lo, s17
	s_and_saveexec_b32 s17, s9
	s_cbranch_execnz .LBB322_263
.LBB322_204:
	s_or_b32 exec_lo, exec_lo, s17
	s_and_saveexec_b32 s17, s8
	s_cbranch_execnz .LBB322_264
.LBB322_205:
	s_or_b32 exec_lo, exec_lo, s17
	s_and_saveexec_b32 s17, s7
	s_cbranch_execnz .LBB322_265
.LBB322_206:
	s_or_b32 exec_lo, exec_lo, s17
	s_and_saveexec_b32 s17, s6
	s_cbranch_execnz .LBB322_266
.LBB322_207:
	s_or_b32 exec_lo, exec_lo, s17
	s_and_saveexec_b32 s17, s5
	s_cbranch_execnz .LBB322_267
.LBB322_208:
	s_or_b32 exec_lo, exec_lo, s17
	s_and_saveexec_b32 s17, s4
	s_cbranch_execnz .LBB322_268
.LBB322_209:
	s_or_b32 exec_lo, exec_lo, s17
	s_and_saveexec_b32 s17, s3
	s_cbranch_execnz .LBB322_269
.LBB322_210:
	s_or_b32 exec_lo, exec_lo, s17
	s_and_saveexec_b32 s17, s2
	s_cbranch_execnz .LBB322_270
.LBB322_211:
	s_or_b32 exec_lo, exec_lo, s17
	s_and_saveexec_b32 s17, s1
	s_cbranch_execz .LBB322_213
.LBB322_212:
	v_sub_nc_u32_e32 v14, v57, v4
	v_mov_b32_e32 v15, 0
	s_delay_alu instid0(VALU_DEP_1) | instskip(NEXT) | instid1(VALU_DEP_1)
	v_lshlrev_b64 v[14:15], 2, v[14:15]
	v_add_co_u32 v14, vcc_lo, v11, v14
	s_delay_alu instid0(VALU_DEP_2)
	v_add_co_ci_u32_e32 v15, vcc_lo, v12, v15, vcc_lo
	global_store_b32 v[14:15], v58, off
.LBB322_213:
	s_or_b32 exec_lo, exec_lo, s17
	s_delay_alu instid0(SALU_CYCLE_1)
	s_and_b32 s17, s0, exec_lo
	s_and_not1_saveexec_b32 s15, s15
	s_cbranch_execz .LBB322_149
.LBB322_214:
	v_sub_nc_u32_e32 v14, v53, v4
	v_mov_b32_e32 v15, 0
	s_or_b32 s17, s17, exec_lo
	s_delay_alu instid0(VALU_DEP_1) | instskip(SKIP_1) | instid1(VALU_DEP_1)
	v_lshlrev_b64 v[16:17], 2, v[14:15]
	v_sub_nc_u32_e32 v14, v59, v4
	v_lshlrev_b64 v[18:19], 2, v[14:15]
	v_sub_nc_u32_e32 v14, v55, v4
	s_delay_alu instid0(VALU_DEP_4) | instskip(SKIP_1) | instid1(VALU_DEP_3)
	v_add_co_u32 v16, vcc_lo, v11, v16
	v_add_co_ci_u32_e32 v17, vcc_lo, v12, v17, vcc_lo
	v_lshlrev_b64 v[20:21], 2, v[14:15]
	v_sub_nc_u32_e32 v14, v51, v4
	v_add_co_u32 v18, vcc_lo, v11, v18
	v_add_co_ci_u32_e32 v19, vcc_lo, v12, v19, vcc_lo
	global_store_b32 v[16:17], v54, off
	v_lshlrev_b64 v[16:17], 2, v[14:15]
	v_sub_nc_u32_e32 v14, v45, v4
	global_store_b32 v[18:19], v60, off
	v_add_co_u32 v18, vcc_lo, v11, v20
	v_add_co_ci_u32_e32 v19, vcc_lo, v12, v21, vcc_lo
	v_lshlrev_b64 v[20:21], 2, v[14:15]
	v_sub_nc_u32_e32 v14, v41, v4
	v_add_co_u32 v16, vcc_lo, v11, v16
	v_add_co_ci_u32_e32 v17, vcc_lo, v12, v17, vcc_lo
	s_delay_alu instid0(VALU_DEP_3) | instskip(SKIP_3) | instid1(VALU_DEP_3)
	v_lshlrev_b64 v[25:26], 2, v[14:15]
	v_sub_nc_u32_e32 v14, v39, v4
	v_add_co_u32 v20, vcc_lo, v11, v20
	v_add_co_ci_u32_e32 v21, vcc_lo, v12, v21, vcc_lo
	v_lshlrev_b64 v[27:28], 2, v[14:15]
	v_sub_nc_u32_e32 v14, v43, v4
	v_add_co_u32 v25, vcc_lo, v11, v25
	v_add_co_ci_u32_e32 v26, vcc_lo, v12, v26, vcc_lo
	s_clause 0x3
	global_store_b32 v[18:19], v56, off
	global_store_b32 v[16:17], v52, off
	;; [unrolled: 1-line block ×4, first 2 shown]
	v_lshlrev_b64 v[16:17], 2, v[14:15]
	v_sub_nc_u32_e32 v14, v47, v4
	v_add_co_u32 v18, vcc_lo, v11, v27
	v_add_co_ci_u32_e32 v19, vcc_lo, v12, v28, vcc_lo
	s_delay_alu instid0(VALU_DEP_3) | instskip(SKIP_3) | instid1(VALU_DEP_3)
	v_lshlrev_b64 v[20:21], 2, v[14:15]
	v_sub_nc_u32_e32 v14, v5, v4
	v_add_co_u32 v16, vcc_lo, v11, v16
	v_add_co_ci_u32_e32 v17, vcc_lo, v12, v17, vcc_lo
	v_lshlrev_b64 v[25:26], 2, v[14:15]
	v_sub_nc_u32_e32 v14, v7, v4
	v_add_co_u32 v20, vcc_lo, v11, v20
	v_add_co_ci_u32_e32 v21, vcc_lo, v12, v21, vcc_lo
	s_delay_alu instid0(VALU_DEP_3)
	v_lshlrev_b64 v[27:28], 2, v[14:15]
	v_sub_nc_u32_e32 v14, v37, v4
	v_add_co_u32 v25, vcc_lo, v11, v25
	v_add_co_ci_u32_e32 v26, vcc_lo, v12, v26, vcc_lo
	s_clause 0x3
	global_store_b32 v[18:19], v40, off
	global_store_b32 v[16:17], v44, off
	;; [unrolled: 1-line block ×4, first 2 shown]
	v_lshlrev_b64 v[16:17], 2, v[14:15]
	v_sub_nc_u32_e32 v14, v61, v4
	v_add_co_u32 v18, vcc_lo, v11, v27
	v_add_co_ci_u32_e32 v19, vcc_lo, v12, v28, vcc_lo
	s_delay_alu instid0(VALU_DEP_3) | instskip(SKIP_3) | instid1(VALU_DEP_3)
	v_lshlrev_b64 v[20:21], 2, v[14:15]
	v_sub_nc_u32_e32 v14, v57, v4
	v_add_co_u32 v16, vcc_lo, v11, v16
	v_add_co_ci_u32_e32 v17, vcc_lo, v12, v17, vcc_lo
	v_lshlrev_b64 v[14:15], 2, v[14:15]
	v_add_co_u32 v20, vcc_lo, v11, v20
	v_add_co_ci_u32_e32 v21, vcc_lo, v12, v21, vcc_lo
	s_clause 0x2
	global_store_b32 v[18:19], v8, off
	global_store_b32 v[16:17], v38, off
	;; [unrolled: 1-line block ×3, first 2 shown]
	v_add_co_u32 v14, vcc_lo, v11, v14
	v_add_co_ci_u32_e32 v15, vcc_lo, v12, v15, vcc_lo
	global_store_b32 v[14:15], v58, off
	s_or_b32 exec_lo, exec_lo, s15
	s_delay_alu instid0(SALU_CYCLE_1)
	s_and_b32 exec_lo, exec_lo, s17
	s_cbranch_execnz .LBB322_150
	s_branch .LBB322_151
.LBB322_215:
	s_and_saveexec_b32 s17, s14
	s_cbranch_execnz .LBB322_271
; %bb.216:
	s_or_b32 exec_lo, exec_lo, s17
	s_and_saveexec_b32 s14, s13
	s_cbranch_execnz .LBB322_272
.LBB322_217:
	s_or_b32 exec_lo, exec_lo, s14
	s_and_saveexec_b32 s13, s12
	s_cbranch_execnz .LBB322_273
.LBB322_218:
	s_or_b32 exec_lo, exec_lo, s13
	s_and_saveexec_b32 s12, s11
	s_cbranch_execnz .LBB322_274
.LBB322_219:
	s_or_b32 exec_lo, exec_lo, s12
	s_and_saveexec_b32 s11, s10
	s_cbranch_execnz .LBB322_275
.LBB322_220:
	s_or_b32 exec_lo, exec_lo, s11
	s_and_saveexec_b32 s10, s9
	s_cbranch_execnz .LBB322_276
.LBB322_221:
	s_or_b32 exec_lo, exec_lo, s10
	s_and_saveexec_b32 s9, s8
	s_cbranch_execnz .LBB322_277
.LBB322_222:
	s_or_b32 exec_lo, exec_lo, s9
	s_and_saveexec_b32 s8, s7
	s_cbranch_execnz .LBB322_278
.LBB322_223:
	s_or_b32 exec_lo, exec_lo, s8
	s_and_saveexec_b32 s7, s6
	s_cbranch_execnz .LBB322_279
.LBB322_224:
	s_or_b32 exec_lo, exec_lo, s7
	s_and_saveexec_b32 s6, s5
	s_cbranch_execnz .LBB322_280
.LBB322_225:
	s_or_b32 exec_lo, exec_lo, s6
	s_and_saveexec_b32 s5, s4
	s_cbranch_execnz .LBB322_281
.LBB322_226:
	s_or_b32 exec_lo, exec_lo, s5
	s_and_saveexec_b32 s4, s3
	s_cbranch_execnz .LBB322_282
.LBB322_227:
	s_or_b32 exec_lo, exec_lo, s4
	s_and_saveexec_b32 s3, s2
	s_cbranch_execnz .LBB322_283
.LBB322_228:
	s_or_b32 exec_lo, exec_lo, s3
	s_and_saveexec_b32 s2, s1
	s_cbranch_execz .LBB322_230
.LBB322_229:
	v_sub_nc_u32_e32 v5, v57, v4
	s_delay_alu instid0(VALU_DEP_1)
	v_lshlrev_b32_e32 v5, 2, v5
	ds_store_b32 v5, v58
.LBB322_230:
	s_or_b32 exec_lo, exec_lo, s2
	s_delay_alu instid0(SALU_CYCLE_1)
	s_and_b32 s17, s0, exec_lo
                                        ; implicit-def: $vgpr53_vgpr54
                                        ; implicit-def: $vgpr59_vgpr60
                                        ; implicit-def: $vgpr55_vgpr56
                                        ; implicit-def: $vgpr51_vgpr52
                                        ; implicit-def: $vgpr45_vgpr46
                                        ; implicit-def: $vgpr41_vgpr42
                                        ; implicit-def: $vgpr39_vgpr40
                                        ; implicit-def: $vgpr43_vgpr44
                                        ; implicit-def: $vgpr47_vgpr48
                                        ; implicit-def: $vgpr5_vgpr6
                                        ; implicit-def: $vgpr7_vgpr8
                                        ; implicit-def: $vgpr37_vgpr38
                                        ; implicit-def: $vgpr61_vgpr62
                                        ; implicit-def: $vgpr57_vgpr58
	s_and_not1_saveexec_b32 s0, s16
	s_cbranch_execz .LBB322_155
.LBB322_231:
	v_sub_nc_u32_e32 v13, v53, v4
	v_sub_nc_u32_e32 v14, v59, v4
	;; [unrolled: 1-line block ×5, first 2 shown]
	v_lshlrev_b32_e32 v13, 2, v13
	v_lshlrev_b32_e32 v14, 2, v14
	;; [unrolled: 1-line block ×4, first 2 shown]
	v_sub_nc_u32_e32 v5, v5, v4
	ds_store_b32 v13, v54
	ds_store_b32 v14, v60
	;; [unrolled: 1-line block ×3, first 2 shown]
	v_sub_nc_u32_e32 v13, v45, v4
	v_sub_nc_u32_e32 v14, v41, v4
	;; [unrolled: 1-line block ×3, first 2 shown]
	ds_store_b32 v16, v52
	v_sub_nc_u32_e32 v16, v43, v4
	v_lshlrev_b32_e32 v13, 2, v13
	v_lshlrev_b32_e32 v14, 2, v14
	;; [unrolled: 1-line block ×3, first 2 shown]
	v_sub_nc_u32_e32 v7, v7, v4
	v_lshlrev_b32_e32 v16, 2, v16
	ds_store_b32 v13, v46
	v_lshlrev_b32_e32 v13, 2, v17
	ds_store_b32 v14, v42
	ds_store_b32 v15, v40
	;; [unrolled: 1-line block ×3, first 2 shown]
	v_lshlrev_b32_e32 v5, 2, v5
	v_sub_nc_u32_e32 v15, v57, v4
	v_sub_nc_u32_e32 v14, v61, v4
	ds_store_b32 v13, v48
	v_sub_nc_u32_e32 v13, v37, v4
	v_lshlrev_b32_e32 v7, 2, v7
	ds_store_b32 v5, v6
	v_lshlrev_b32_e32 v5, 2, v15
	v_lshlrev_b32_e32 v14, 2, v14
	;; [unrolled: 1-line block ×3, first 2 shown]
	s_or_b32 s17, s17, exec_lo
	ds_store_b32 v7, v8
	ds_store_b32 v13, v38
	;; [unrolled: 1-line block ×4, first 2 shown]
	s_or_b32 exec_lo, exec_lo, s0
	s_delay_alu instid0(SALU_CYCLE_1)
	s_and_b32 exec_lo, exec_lo, s17
	s_cbranch_execnz .LBB322_156
	s_branch .LBB322_157
.LBB322_232:
	v_sub_nc_u32_e32 v30, v53, v3
	v_mov_b32_e32 v31, 0
	s_delay_alu instid0(VALU_DEP_1) | instskip(NEXT) | instid1(VALU_DEP_1)
	v_lshlrev_b64 v[30:31], 2, v[30:31]
	v_add_co_u32 v30, vcc_lo, v2, v30
	s_delay_alu instid0(VALU_DEP_2)
	v_add_co_ci_u32_e32 v31, vcc_lo, v4, v31, vcc_lo
	global_store_b32 v[30:31], v21, off
	s_or_b32 exec_lo, exec_lo, s17
	s_and_saveexec_b32 s17, s13
	s_cbranch_execz .LBB322_166
.LBB322_233:
	v_sub_nc_u32_e32 v30, v59, v3
	v_mov_b32_e32 v31, 0
	s_delay_alu instid0(VALU_DEP_1) | instskip(NEXT) | instid1(VALU_DEP_1)
	v_lshlrev_b64 v[30:31], 2, v[30:31]
	v_add_co_u32 v30, vcc_lo, v2, v30
	s_delay_alu instid0(VALU_DEP_2)
	v_add_co_ci_u32_e32 v31, vcc_lo, v4, v31, vcc_lo
	global_store_b32 v[30:31], v22, off
	s_or_b32 exec_lo, exec_lo, s17
	s_and_saveexec_b32 s17, s12
	s_cbranch_execz .LBB322_167
.LBB322_234:
	v_sub_nc_u32_e32 v30, v55, v3
	v_mov_b32_e32 v31, 0
	s_delay_alu instid0(VALU_DEP_1) | instskip(NEXT) | instid1(VALU_DEP_1)
	v_lshlrev_b64 v[30:31], 2, v[30:31]
	v_add_co_u32 v30, vcc_lo, v2, v30
	s_delay_alu instid0(VALU_DEP_2)
	v_add_co_ci_u32_e32 v31, vcc_lo, v4, v31, vcc_lo
	global_store_b32 v[30:31], v19, off
	s_or_b32 exec_lo, exec_lo, s17
	s_and_saveexec_b32 s17, s11
	s_cbranch_execz .LBB322_168
.LBB322_235:
	v_sub_nc_u32_e32 v30, v51, v3
	v_mov_b32_e32 v31, 0
	s_delay_alu instid0(VALU_DEP_1) | instskip(NEXT) | instid1(VALU_DEP_1)
	v_lshlrev_b64 v[30:31], 2, v[30:31]
	v_add_co_u32 v30, vcc_lo, v2, v30
	s_delay_alu instid0(VALU_DEP_2)
	v_add_co_ci_u32_e32 v31, vcc_lo, v4, v31, vcc_lo
	global_store_b32 v[30:31], v20, off
	s_or_b32 exec_lo, exec_lo, s17
	s_and_saveexec_b32 s17, s10
	s_cbranch_execz .LBB322_169
.LBB322_236:
	v_sub_nc_u32_e32 v30, v45, v3
	v_mov_b32_e32 v31, 0
	s_delay_alu instid0(VALU_DEP_1) | instskip(NEXT) | instid1(VALU_DEP_1)
	v_lshlrev_b64 v[30:31], 2, v[30:31]
	v_add_co_u32 v30, vcc_lo, v2, v30
	s_delay_alu instid0(VALU_DEP_2)
	v_add_co_ci_u32_e32 v31, vcc_lo, v4, v31, vcc_lo
	global_store_b32 v[30:31], v17, off
	s_or_b32 exec_lo, exec_lo, s17
	s_and_saveexec_b32 s17, s9
	s_cbranch_execz .LBB322_170
.LBB322_237:
	v_sub_nc_u32_e32 v30, v41, v3
	v_mov_b32_e32 v31, 0
	s_delay_alu instid0(VALU_DEP_1) | instskip(NEXT) | instid1(VALU_DEP_1)
	v_lshlrev_b64 v[30:31], 2, v[30:31]
	v_add_co_u32 v30, vcc_lo, v2, v30
	s_delay_alu instid0(VALU_DEP_2)
	v_add_co_ci_u32_e32 v31, vcc_lo, v4, v31, vcc_lo
	global_store_b32 v[30:31], v18, off
	s_or_b32 exec_lo, exec_lo, s17
	s_and_saveexec_b32 s17, s7
	s_cbranch_execz .LBB322_171
.LBB322_238:
	v_sub_nc_u32_e32 v30, v39, v3
	v_mov_b32_e32 v31, 0
	s_delay_alu instid0(VALU_DEP_1) | instskip(NEXT) | instid1(VALU_DEP_1)
	v_lshlrev_b64 v[30:31], 2, v[30:31]
	v_add_co_u32 v30, vcc_lo, v2, v30
	s_delay_alu instid0(VALU_DEP_2)
	v_add_co_ci_u32_e32 v31, vcc_lo, v4, v31, vcc_lo
	global_store_b32 v[30:31], v15, off
	s_or_b32 exec_lo, exec_lo, s17
	s_and_saveexec_b32 s17, s5
	s_cbranch_execz .LBB322_172
.LBB322_239:
	v_sub_nc_u32_e32 v30, v43, v3
	v_mov_b32_e32 v31, 0
	s_delay_alu instid0(VALU_DEP_1) | instskip(NEXT) | instid1(VALU_DEP_1)
	v_lshlrev_b64 v[30:31], 2, v[30:31]
	v_add_co_u32 v30, vcc_lo, v2, v30
	s_delay_alu instid0(VALU_DEP_2)
	v_add_co_ci_u32_e32 v31, vcc_lo, v4, v31, vcc_lo
	global_store_b32 v[30:31], v16, off
	s_or_b32 exec_lo, exec_lo, s17
	s_and_saveexec_b32 s17, s8
	s_cbranch_execz .LBB322_173
.LBB322_240:
	v_sub_nc_u32_e32 v30, v47, v3
	v_mov_b32_e32 v31, 0
	s_delay_alu instid0(VALU_DEP_1) | instskip(NEXT) | instid1(VALU_DEP_1)
	v_lshlrev_b64 v[30:31], 2, v[30:31]
	v_add_co_u32 v30, vcc_lo, v2, v30
	s_delay_alu instid0(VALU_DEP_2)
	v_add_co_ci_u32_e32 v31, vcc_lo, v4, v31, vcc_lo
	global_store_b32 v[30:31], v13, off
	s_or_b32 exec_lo, exec_lo, s17
	s_and_saveexec_b32 s17, s6
	s_cbranch_execz .LBB322_174
.LBB322_241:
	v_sub_nc_u32_e32 v30, v5, v3
	v_mov_b32_e32 v31, 0
	s_delay_alu instid0(VALU_DEP_1) | instskip(NEXT) | instid1(VALU_DEP_1)
	v_lshlrev_b64 v[30:31], 2, v[30:31]
	v_add_co_u32 v30, vcc_lo, v2, v30
	s_delay_alu instid0(VALU_DEP_2)
	v_add_co_ci_u32_e32 v31, vcc_lo, v4, v31, vcc_lo
	global_store_b32 v[30:31], v14, off
	s_or_b32 exec_lo, exec_lo, s17
	s_and_saveexec_b32 s17, s4
	s_cbranch_execz .LBB322_175
.LBB322_242:
	v_sub_nc_u32_e32 v30, v7, v3
	v_mov_b32_e32 v31, 0
	s_delay_alu instid0(VALU_DEP_1) | instskip(NEXT) | instid1(VALU_DEP_1)
	v_lshlrev_b64 v[30:31], 2, v[30:31]
	v_add_co_u32 v30, vcc_lo, v2, v30
	s_delay_alu instid0(VALU_DEP_2)
	v_add_co_ci_u32_e32 v31, vcc_lo, v4, v31, vcc_lo
	global_store_b32 v[30:31], v11, off
	s_or_b32 exec_lo, exec_lo, s17
	s_and_saveexec_b32 s17, s3
	s_cbranch_execz .LBB322_176
.LBB322_243:
	v_sub_nc_u32_e32 v30, v37, v3
	v_mov_b32_e32 v31, 0
	s_delay_alu instid0(VALU_DEP_1) | instskip(NEXT) | instid1(VALU_DEP_1)
	v_lshlrev_b64 v[30:31], 2, v[30:31]
	v_add_co_u32 v30, vcc_lo, v2, v30
	s_delay_alu instid0(VALU_DEP_2)
	v_add_co_ci_u32_e32 v31, vcc_lo, v4, v31, vcc_lo
	global_store_b32 v[30:31], v12, off
	s_or_b32 exec_lo, exec_lo, s17
	s_and_saveexec_b32 s17, s2
	s_cbranch_execz .LBB322_177
.LBB322_244:
	v_sub_nc_u32_e32 v30, v61, v3
	v_mov_b32_e32 v31, 0
	s_delay_alu instid0(VALU_DEP_1) | instskip(NEXT) | instid1(VALU_DEP_1)
	v_lshlrev_b64 v[30:31], 2, v[30:31]
	v_add_co_u32 v30, vcc_lo, v2, v30
	s_delay_alu instid0(VALU_DEP_2)
	v_add_co_ci_u32_e32 v31, vcc_lo, v4, v31, vcc_lo
	global_store_b32 v[30:31], v9, off
	s_or_b32 exec_lo, exec_lo, s17
	s_and_saveexec_b32 s17, s1
	s_cbranch_execnz .LBB322_178
	s_branch .LBB322_179
.LBB322_245:
	v_sub_nc_u32_e32 v29, v53, v3
	s_delay_alu instid0(VALU_DEP_1)
	v_lshlrev_b32_e32 v29, 2, v29
	ds_store_b32 v29, v21
	s_or_b32 exec_lo, exec_lo, s17
	s_and_saveexec_b32 s14, s13
	s_cbranch_execz .LBB322_183
.LBB322_246:
	v_sub_nc_u32_e32 v21, v59, v3
	s_delay_alu instid0(VALU_DEP_1)
	v_lshlrev_b32_e32 v21, 2, v21
	ds_store_b32 v21, v22
	s_or_b32 exec_lo, exec_lo, s14
	s_and_saveexec_b32 s13, s12
	s_cbranch_execz .LBB322_184
.LBB322_247:
	v_sub_nc_u32_e32 v21, v55, v3
	s_delay_alu instid0(VALU_DEP_1)
	v_lshlrev_b32_e32 v21, 2, v21
	ds_store_b32 v21, v19
	s_or_b32 exec_lo, exec_lo, s13
	s_and_saveexec_b32 s12, s11
	s_cbranch_execz .LBB322_185
.LBB322_248:
	v_sub_nc_u32_e32 v19, v51, v3
	s_delay_alu instid0(VALU_DEP_1)
	v_lshlrev_b32_e32 v19, 2, v19
	ds_store_b32 v19, v20
	s_or_b32 exec_lo, exec_lo, s12
	s_and_saveexec_b32 s11, s10
	s_cbranch_execz .LBB322_186
.LBB322_249:
	v_sub_nc_u32_e32 v19, v45, v3
	s_delay_alu instid0(VALU_DEP_1)
	v_lshlrev_b32_e32 v19, 2, v19
	ds_store_b32 v19, v17
	s_or_b32 exec_lo, exec_lo, s11
	s_and_saveexec_b32 s10, s9
	s_cbranch_execz .LBB322_187
.LBB322_250:
	v_sub_nc_u32_e32 v17, v41, v3
	s_delay_alu instid0(VALU_DEP_1)
	v_lshlrev_b32_e32 v17, 2, v17
	ds_store_b32 v17, v18
	s_or_b32 exec_lo, exec_lo, s10
	s_and_saveexec_b32 s9, s7
	s_cbranch_execz .LBB322_188
.LBB322_251:
	v_sub_nc_u32_e32 v17, v39, v3
	s_delay_alu instid0(VALU_DEP_1)
	v_lshlrev_b32_e32 v17, 2, v17
	ds_store_b32 v17, v15
	s_or_b32 exec_lo, exec_lo, s9
	s_and_saveexec_b32 s7, s5
	s_cbranch_execz .LBB322_189
.LBB322_252:
	v_sub_nc_u32_e32 v15, v43, v3
	s_delay_alu instid0(VALU_DEP_1)
	v_lshlrev_b32_e32 v15, 2, v15
	ds_store_b32 v15, v16
	s_or_b32 exec_lo, exec_lo, s7
	s_and_saveexec_b32 s5, s8
	s_cbranch_execz .LBB322_190
.LBB322_253:
	v_sub_nc_u32_e32 v15, v47, v3
	s_delay_alu instid0(VALU_DEP_1)
	v_lshlrev_b32_e32 v15, 2, v15
	ds_store_b32 v15, v13
	s_or_b32 exec_lo, exec_lo, s5
	s_and_saveexec_b32 s5, s6
	s_cbranch_execz .LBB322_191
.LBB322_254:
	v_sub_nc_u32_e32 v13, v5, v3
	s_delay_alu instid0(VALU_DEP_1)
	v_lshlrev_b32_e32 v13, 2, v13
	ds_store_b32 v13, v14
	s_or_b32 exec_lo, exec_lo, s5
	s_and_saveexec_b32 s5, s4
	s_cbranch_execz .LBB322_192
.LBB322_255:
	v_sub_nc_u32_e32 v13, v7, v3
	s_delay_alu instid0(VALU_DEP_1)
	v_lshlrev_b32_e32 v13, 2, v13
	ds_store_b32 v13, v11
	s_or_b32 exec_lo, exec_lo, s5
	s_and_saveexec_b32 s4, s3
	s_cbranch_execz .LBB322_193
.LBB322_256:
	v_sub_nc_u32_e32 v11, v37, v3
	s_delay_alu instid0(VALU_DEP_1)
	v_lshlrev_b32_e32 v11, 2, v11
	ds_store_b32 v11, v12
	s_or_b32 exec_lo, exec_lo, s4
	s_and_saveexec_b32 s3, s2
	s_cbranch_execz .LBB322_194
.LBB322_257:
	v_sub_nc_u32_e32 v11, v61, v3
	s_delay_alu instid0(VALU_DEP_1)
	v_lshlrev_b32_e32 v11, 2, v11
	ds_store_b32 v11, v9
	s_or_b32 exec_lo, exec_lo, s3
	s_and_saveexec_b32 s2, s1
	s_cbranch_execnz .LBB322_195
	s_branch .LBB322_196
.LBB322_258:
	v_sub_nc_u32_e32 v14, v53, v4
	v_mov_b32_e32 v15, 0
	s_delay_alu instid0(VALU_DEP_1) | instskip(NEXT) | instid1(VALU_DEP_1)
	v_lshlrev_b64 v[14:15], 2, v[14:15]
	v_add_co_u32 v14, vcc_lo, v11, v14
	s_delay_alu instid0(VALU_DEP_2)
	v_add_co_ci_u32_e32 v15, vcc_lo, v12, v15, vcc_lo
	global_store_b32 v[14:15], v54, off
	s_or_b32 exec_lo, exec_lo, s17
	s_and_saveexec_b32 s17, s13
	s_cbranch_execz .LBB322_200
.LBB322_259:
	v_sub_nc_u32_e32 v14, v59, v4
	v_mov_b32_e32 v15, 0
	s_delay_alu instid0(VALU_DEP_1) | instskip(NEXT) | instid1(VALU_DEP_1)
	v_lshlrev_b64 v[14:15], 2, v[14:15]
	v_add_co_u32 v14, vcc_lo, v11, v14
	s_delay_alu instid0(VALU_DEP_2)
	v_add_co_ci_u32_e32 v15, vcc_lo, v12, v15, vcc_lo
	global_store_b32 v[14:15], v60, off
	s_or_b32 exec_lo, exec_lo, s17
	s_and_saveexec_b32 s17, s12
	s_cbranch_execz .LBB322_201
.LBB322_260:
	v_sub_nc_u32_e32 v14, v55, v4
	v_mov_b32_e32 v15, 0
	s_delay_alu instid0(VALU_DEP_1) | instskip(NEXT) | instid1(VALU_DEP_1)
	v_lshlrev_b64 v[14:15], 2, v[14:15]
	v_add_co_u32 v14, vcc_lo, v11, v14
	s_delay_alu instid0(VALU_DEP_2)
	v_add_co_ci_u32_e32 v15, vcc_lo, v12, v15, vcc_lo
	global_store_b32 v[14:15], v56, off
	s_or_b32 exec_lo, exec_lo, s17
	s_and_saveexec_b32 s17, s11
	s_cbranch_execz .LBB322_202
.LBB322_261:
	v_sub_nc_u32_e32 v14, v51, v4
	v_mov_b32_e32 v15, 0
	s_delay_alu instid0(VALU_DEP_1) | instskip(NEXT) | instid1(VALU_DEP_1)
	v_lshlrev_b64 v[14:15], 2, v[14:15]
	v_add_co_u32 v14, vcc_lo, v11, v14
	s_delay_alu instid0(VALU_DEP_2)
	v_add_co_ci_u32_e32 v15, vcc_lo, v12, v15, vcc_lo
	global_store_b32 v[14:15], v52, off
	s_or_b32 exec_lo, exec_lo, s17
	s_and_saveexec_b32 s17, s10
	s_cbranch_execz .LBB322_203
.LBB322_262:
	v_sub_nc_u32_e32 v14, v45, v4
	v_mov_b32_e32 v15, 0
	s_delay_alu instid0(VALU_DEP_1) | instskip(NEXT) | instid1(VALU_DEP_1)
	v_lshlrev_b64 v[14:15], 2, v[14:15]
	v_add_co_u32 v14, vcc_lo, v11, v14
	s_delay_alu instid0(VALU_DEP_2)
	v_add_co_ci_u32_e32 v15, vcc_lo, v12, v15, vcc_lo
	global_store_b32 v[14:15], v46, off
	s_or_b32 exec_lo, exec_lo, s17
	s_and_saveexec_b32 s17, s9
	s_cbranch_execz .LBB322_204
.LBB322_263:
	v_sub_nc_u32_e32 v14, v41, v4
	v_mov_b32_e32 v15, 0
	s_delay_alu instid0(VALU_DEP_1) | instskip(NEXT) | instid1(VALU_DEP_1)
	v_lshlrev_b64 v[14:15], 2, v[14:15]
	v_add_co_u32 v14, vcc_lo, v11, v14
	s_delay_alu instid0(VALU_DEP_2)
	v_add_co_ci_u32_e32 v15, vcc_lo, v12, v15, vcc_lo
	global_store_b32 v[14:15], v42, off
	s_or_b32 exec_lo, exec_lo, s17
	s_and_saveexec_b32 s17, s8
	s_cbranch_execz .LBB322_205
.LBB322_264:
	v_sub_nc_u32_e32 v14, v39, v4
	v_mov_b32_e32 v15, 0
	s_delay_alu instid0(VALU_DEP_1) | instskip(NEXT) | instid1(VALU_DEP_1)
	v_lshlrev_b64 v[14:15], 2, v[14:15]
	v_add_co_u32 v14, vcc_lo, v11, v14
	s_delay_alu instid0(VALU_DEP_2)
	v_add_co_ci_u32_e32 v15, vcc_lo, v12, v15, vcc_lo
	global_store_b32 v[14:15], v40, off
	s_or_b32 exec_lo, exec_lo, s17
	s_and_saveexec_b32 s17, s7
	s_cbranch_execz .LBB322_206
.LBB322_265:
	v_sub_nc_u32_e32 v14, v43, v4
	v_mov_b32_e32 v15, 0
	s_delay_alu instid0(VALU_DEP_1) | instskip(NEXT) | instid1(VALU_DEP_1)
	v_lshlrev_b64 v[14:15], 2, v[14:15]
	v_add_co_u32 v14, vcc_lo, v11, v14
	s_delay_alu instid0(VALU_DEP_2)
	v_add_co_ci_u32_e32 v15, vcc_lo, v12, v15, vcc_lo
	global_store_b32 v[14:15], v44, off
	s_or_b32 exec_lo, exec_lo, s17
	s_and_saveexec_b32 s17, s6
	s_cbranch_execz .LBB322_207
.LBB322_266:
	v_sub_nc_u32_e32 v14, v47, v4
	v_mov_b32_e32 v15, 0
	s_delay_alu instid0(VALU_DEP_1) | instskip(NEXT) | instid1(VALU_DEP_1)
	v_lshlrev_b64 v[14:15], 2, v[14:15]
	v_add_co_u32 v14, vcc_lo, v11, v14
	s_delay_alu instid0(VALU_DEP_2)
	v_add_co_ci_u32_e32 v15, vcc_lo, v12, v15, vcc_lo
	global_store_b32 v[14:15], v48, off
	s_or_b32 exec_lo, exec_lo, s17
	s_and_saveexec_b32 s17, s5
	s_cbranch_execz .LBB322_208
.LBB322_267:
	v_sub_nc_u32_e32 v14, v5, v4
	v_mov_b32_e32 v15, 0
	s_delay_alu instid0(VALU_DEP_1) | instskip(NEXT) | instid1(VALU_DEP_1)
	v_lshlrev_b64 v[14:15], 2, v[14:15]
	v_add_co_u32 v14, vcc_lo, v11, v14
	s_delay_alu instid0(VALU_DEP_2)
	v_add_co_ci_u32_e32 v15, vcc_lo, v12, v15, vcc_lo
	global_store_b32 v[14:15], v6, off
	s_or_b32 exec_lo, exec_lo, s17
	s_and_saveexec_b32 s17, s4
	s_cbranch_execz .LBB322_209
.LBB322_268:
	v_sub_nc_u32_e32 v14, v7, v4
	v_mov_b32_e32 v15, 0
	s_delay_alu instid0(VALU_DEP_1) | instskip(NEXT) | instid1(VALU_DEP_1)
	v_lshlrev_b64 v[14:15], 2, v[14:15]
	v_add_co_u32 v14, vcc_lo, v11, v14
	s_delay_alu instid0(VALU_DEP_2)
	v_add_co_ci_u32_e32 v15, vcc_lo, v12, v15, vcc_lo
	global_store_b32 v[14:15], v8, off
	s_or_b32 exec_lo, exec_lo, s17
	s_and_saveexec_b32 s17, s3
	s_cbranch_execz .LBB322_210
.LBB322_269:
	v_sub_nc_u32_e32 v14, v37, v4
	v_mov_b32_e32 v15, 0
	s_delay_alu instid0(VALU_DEP_1) | instskip(NEXT) | instid1(VALU_DEP_1)
	v_lshlrev_b64 v[14:15], 2, v[14:15]
	v_add_co_u32 v14, vcc_lo, v11, v14
	s_delay_alu instid0(VALU_DEP_2)
	v_add_co_ci_u32_e32 v15, vcc_lo, v12, v15, vcc_lo
	global_store_b32 v[14:15], v38, off
	s_or_b32 exec_lo, exec_lo, s17
	s_and_saveexec_b32 s17, s2
	s_cbranch_execz .LBB322_211
.LBB322_270:
	v_sub_nc_u32_e32 v14, v61, v4
	v_mov_b32_e32 v15, 0
	s_delay_alu instid0(VALU_DEP_1) | instskip(NEXT) | instid1(VALU_DEP_1)
	v_lshlrev_b64 v[14:15], 2, v[14:15]
	v_add_co_u32 v14, vcc_lo, v11, v14
	s_delay_alu instid0(VALU_DEP_2)
	v_add_co_ci_u32_e32 v15, vcc_lo, v12, v15, vcc_lo
	global_store_b32 v[14:15], v62, off
	s_or_b32 exec_lo, exec_lo, s17
	s_and_saveexec_b32 s17, s1
	s_cbranch_execnz .LBB322_212
	s_branch .LBB322_213
.LBB322_271:
	v_sub_nc_u32_e32 v13, v53, v4
	s_delay_alu instid0(VALU_DEP_1)
	v_lshlrev_b32_e32 v13, 2, v13
	ds_store_b32 v13, v54
	s_or_b32 exec_lo, exec_lo, s17
	s_and_saveexec_b32 s14, s13
	s_cbranch_execz .LBB322_217
.LBB322_272:
	v_sub_nc_u32_e32 v13, v59, v4
	s_delay_alu instid0(VALU_DEP_1)
	v_lshlrev_b32_e32 v13, 2, v13
	ds_store_b32 v13, v60
	s_or_b32 exec_lo, exec_lo, s14
	s_and_saveexec_b32 s13, s12
	s_cbranch_execz .LBB322_218
.LBB322_273:
	v_sub_nc_u32_e32 v13, v55, v4
	s_delay_alu instid0(VALU_DEP_1)
	v_lshlrev_b32_e32 v13, 2, v13
	ds_store_b32 v13, v56
	s_or_b32 exec_lo, exec_lo, s13
	s_and_saveexec_b32 s12, s11
	s_cbranch_execz .LBB322_219
.LBB322_274:
	v_sub_nc_u32_e32 v13, v51, v4
	s_delay_alu instid0(VALU_DEP_1)
	v_lshlrev_b32_e32 v13, 2, v13
	ds_store_b32 v13, v52
	s_or_b32 exec_lo, exec_lo, s12
	s_and_saveexec_b32 s11, s10
	s_cbranch_execz .LBB322_220
.LBB322_275:
	v_sub_nc_u32_e32 v13, v45, v4
	s_delay_alu instid0(VALU_DEP_1)
	v_lshlrev_b32_e32 v13, 2, v13
	ds_store_b32 v13, v46
	s_or_b32 exec_lo, exec_lo, s11
	s_and_saveexec_b32 s10, s9
	s_cbranch_execz .LBB322_221
.LBB322_276:
	v_sub_nc_u32_e32 v13, v41, v4
	s_delay_alu instid0(VALU_DEP_1)
	v_lshlrev_b32_e32 v13, 2, v13
	ds_store_b32 v13, v42
	s_or_b32 exec_lo, exec_lo, s10
	s_and_saveexec_b32 s9, s8
	s_cbranch_execz .LBB322_222
.LBB322_277:
	v_sub_nc_u32_e32 v13, v39, v4
	s_delay_alu instid0(VALU_DEP_1)
	v_lshlrev_b32_e32 v13, 2, v13
	ds_store_b32 v13, v40
	s_or_b32 exec_lo, exec_lo, s9
	s_and_saveexec_b32 s8, s7
	s_cbranch_execz .LBB322_223
.LBB322_278:
	v_sub_nc_u32_e32 v13, v43, v4
	s_delay_alu instid0(VALU_DEP_1)
	v_lshlrev_b32_e32 v13, 2, v13
	ds_store_b32 v13, v44
	s_or_b32 exec_lo, exec_lo, s8
	s_and_saveexec_b32 s7, s6
	s_cbranch_execz .LBB322_224
.LBB322_279:
	v_sub_nc_u32_e32 v13, v47, v4
	s_delay_alu instid0(VALU_DEP_1)
	v_lshlrev_b32_e32 v13, 2, v13
	ds_store_b32 v13, v48
	s_or_b32 exec_lo, exec_lo, s7
	s_and_saveexec_b32 s6, s5
	s_cbranch_execz .LBB322_225
.LBB322_280:
	v_sub_nc_u32_e32 v5, v5, v4
	s_delay_alu instid0(VALU_DEP_1)
	v_lshlrev_b32_e32 v5, 2, v5
	ds_store_b32 v5, v6
	s_or_b32 exec_lo, exec_lo, s6
	s_and_saveexec_b32 s5, s4
	s_cbranch_execz .LBB322_226
.LBB322_281:
	v_sub_nc_u32_e32 v5, v7, v4
	s_delay_alu instid0(VALU_DEP_1)
	v_lshlrev_b32_e32 v5, 2, v5
	ds_store_b32 v5, v8
	s_or_b32 exec_lo, exec_lo, s5
	s_and_saveexec_b32 s4, s3
	s_cbranch_execz .LBB322_227
.LBB322_282:
	v_sub_nc_u32_e32 v5, v37, v4
	s_delay_alu instid0(VALU_DEP_1)
	v_lshlrev_b32_e32 v5, 2, v5
	ds_store_b32 v5, v38
	s_or_b32 exec_lo, exec_lo, s4
	s_and_saveexec_b32 s3, s2
	s_cbranch_execz .LBB322_228
.LBB322_283:
	v_sub_nc_u32_e32 v5, v61, v4
	s_delay_alu instid0(VALU_DEP_1)
	v_lshlrev_b32_e32 v5, 2, v5
	ds_store_b32 v5, v62
	s_or_b32 exec_lo, exec_lo, s3
	s_and_saveexec_b32 s2, s1
	s_cbranch_execnz .LBB322_229
	s_branch .LBB322_230
	.section	.rodata,"a",@progbits
	.p2align	6, 0x0
	.amdhsa_kernel _ZN7rocprim17ROCPRIM_400000_NS6detail17trampoline_kernelINS0_14default_configENS1_29reduce_by_key_config_selectorIjjN6thrust23THRUST_200600_302600_NS4plusIjEEEEZZNS1_33reduce_by_key_impl_wrapped_configILNS1_25lookback_scan_determinismE0ES3_S9_NS6_6detail15normal_iteratorINS6_10device_ptrIjEEEESG_SG_SG_PmS8_NS6_8equal_toIjEEEE10hipError_tPvRmT2_T3_mT4_T5_T6_T7_T8_P12ihipStream_tbENKUlT_T0_E_clISt17integral_constantIbLb0EES11_EEDaSW_SX_EUlSW_E_NS1_11comp_targetILNS1_3genE9ELNS1_11target_archE1100ELNS1_3gpuE3ELNS1_3repE0EEENS1_30default_config_static_selectorELNS0_4arch9wavefront6targetE0EEEvT1_
		.amdhsa_group_segment_fixed_size 15360
		.amdhsa_private_segment_fixed_size 0
		.amdhsa_kernarg_size 120
		.amdhsa_user_sgpr_count 15
		.amdhsa_user_sgpr_dispatch_ptr 0
		.amdhsa_user_sgpr_queue_ptr 0
		.amdhsa_user_sgpr_kernarg_segment_ptr 1
		.amdhsa_user_sgpr_dispatch_id 0
		.amdhsa_user_sgpr_private_segment_size 0
		.amdhsa_wavefront_size32 1
		.amdhsa_uses_dynamic_stack 0
		.amdhsa_enable_private_segment 0
		.amdhsa_system_sgpr_workgroup_id_x 1
		.amdhsa_system_sgpr_workgroup_id_y 0
		.amdhsa_system_sgpr_workgroup_id_z 0
		.amdhsa_system_sgpr_workgroup_info 0
		.amdhsa_system_vgpr_workitem_id 0
		.amdhsa_next_free_vgpr 87
		.amdhsa_next_free_sgpr 46
		.amdhsa_reserve_vcc 1
		.amdhsa_float_round_mode_32 0
		.amdhsa_float_round_mode_16_64 0
		.amdhsa_float_denorm_mode_32 3
		.amdhsa_float_denorm_mode_16_64 3
		.amdhsa_dx10_clamp 1
		.amdhsa_ieee_mode 1
		.amdhsa_fp16_overflow 0
		.amdhsa_workgroup_processor_mode 1
		.amdhsa_memory_ordered 1
		.amdhsa_forward_progress 0
		.amdhsa_shared_vgpr_count 0
		.amdhsa_exception_fp_ieee_invalid_op 0
		.amdhsa_exception_fp_denorm_src 0
		.amdhsa_exception_fp_ieee_div_zero 0
		.amdhsa_exception_fp_ieee_overflow 0
		.amdhsa_exception_fp_ieee_underflow 0
		.amdhsa_exception_fp_ieee_inexact 0
		.amdhsa_exception_int_div_zero 0
	.end_amdhsa_kernel
	.section	.text._ZN7rocprim17ROCPRIM_400000_NS6detail17trampoline_kernelINS0_14default_configENS1_29reduce_by_key_config_selectorIjjN6thrust23THRUST_200600_302600_NS4plusIjEEEEZZNS1_33reduce_by_key_impl_wrapped_configILNS1_25lookback_scan_determinismE0ES3_S9_NS6_6detail15normal_iteratorINS6_10device_ptrIjEEEESG_SG_SG_PmS8_NS6_8equal_toIjEEEE10hipError_tPvRmT2_T3_mT4_T5_T6_T7_T8_P12ihipStream_tbENKUlT_T0_E_clISt17integral_constantIbLb0EES11_EEDaSW_SX_EUlSW_E_NS1_11comp_targetILNS1_3genE9ELNS1_11target_archE1100ELNS1_3gpuE3ELNS1_3repE0EEENS1_30default_config_static_selectorELNS0_4arch9wavefront6targetE0EEEvT1_,"axG",@progbits,_ZN7rocprim17ROCPRIM_400000_NS6detail17trampoline_kernelINS0_14default_configENS1_29reduce_by_key_config_selectorIjjN6thrust23THRUST_200600_302600_NS4plusIjEEEEZZNS1_33reduce_by_key_impl_wrapped_configILNS1_25lookback_scan_determinismE0ES3_S9_NS6_6detail15normal_iteratorINS6_10device_ptrIjEEEESG_SG_SG_PmS8_NS6_8equal_toIjEEEE10hipError_tPvRmT2_T3_mT4_T5_T6_T7_T8_P12ihipStream_tbENKUlT_T0_E_clISt17integral_constantIbLb0EES11_EEDaSW_SX_EUlSW_E_NS1_11comp_targetILNS1_3genE9ELNS1_11target_archE1100ELNS1_3gpuE3ELNS1_3repE0EEENS1_30default_config_static_selectorELNS0_4arch9wavefront6targetE0EEEvT1_,comdat
.Lfunc_end322:
	.size	_ZN7rocprim17ROCPRIM_400000_NS6detail17trampoline_kernelINS0_14default_configENS1_29reduce_by_key_config_selectorIjjN6thrust23THRUST_200600_302600_NS4plusIjEEEEZZNS1_33reduce_by_key_impl_wrapped_configILNS1_25lookback_scan_determinismE0ES3_S9_NS6_6detail15normal_iteratorINS6_10device_ptrIjEEEESG_SG_SG_PmS8_NS6_8equal_toIjEEEE10hipError_tPvRmT2_T3_mT4_T5_T6_T7_T8_P12ihipStream_tbENKUlT_T0_E_clISt17integral_constantIbLb0EES11_EEDaSW_SX_EUlSW_E_NS1_11comp_targetILNS1_3genE9ELNS1_11target_archE1100ELNS1_3gpuE3ELNS1_3repE0EEENS1_30default_config_static_selectorELNS0_4arch9wavefront6targetE0EEEvT1_, .Lfunc_end322-_ZN7rocprim17ROCPRIM_400000_NS6detail17trampoline_kernelINS0_14default_configENS1_29reduce_by_key_config_selectorIjjN6thrust23THRUST_200600_302600_NS4plusIjEEEEZZNS1_33reduce_by_key_impl_wrapped_configILNS1_25lookback_scan_determinismE0ES3_S9_NS6_6detail15normal_iteratorINS6_10device_ptrIjEEEESG_SG_SG_PmS8_NS6_8equal_toIjEEEE10hipError_tPvRmT2_T3_mT4_T5_T6_T7_T8_P12ihipStream_tbENKUlT_T0_E_clISt17integral_constantIbLb0EES11_EEDaSW_SX_EUlSW_E_NS1_11comp_targetILNS1_3genE9ELNS1_11target_archE1100ELNS1_3gpuE3ELNS1_3repE0EEENS1_30default_config_static_selectorELNS0_4arch9wavefront6targetE0EEEvT1_
                                        ; -- End function
	.section	.AMDGPU.csdata,"",@progbits
; Kernel info:
; codeLenInByte = 17124
; NumSgprs: 48
; NumVgprs: 87
; ScratchSize: 0
; MemoryBound: 0
; FloatMode: 240
; IeeeMode: 1
; LDSByteSize: 15360 bytes/workgroup (compile time only)
; SGPRBlocks: 5
; VGPRBlocks: 10
; NumSGPRsForWavesPerEU: 48
; NumVGPRsForWavesPerEU: 87
; Occupancy: 16
; WaveLimiterHint : 1
; COMPUTE_PGM_RSRC2:SCRATCH_EN: 0
; COMPUTE_PGM_RSRC2:USER_SGPR: 15
; COMPUTE_PGM_RSRC2:TRAP_HANDLER: 0
; COMPUTE_PGM_RSRC2:TGID_X_EN: 1
; COMPUTE_PGM_RSRC2:TGID_Y_EN: 0
; COMPUTE_PGM_RSRC2:TGID_Z_EN: 0
; COMPUTE_PGM_RSRC2:TIDIG_COMP_CNT: 0
	.section	.text._ZN7rocprim17ROCPRIM_400000_NS6detail17trampoline_kernelINS0_14default_configENS1_29reduce_by_key_config_selectorIjjN6thrust23THRUST_200600_302600_NS4plusIjEEEEZZNS1_33reduce_by_key_impl_wrapped_configILNS1_25lookback_scan_determinismE0ES3_S9_NS6_6detail15normal_iteratorINS6_10device_ptrIjEEEESG_SG_SG_PmS8_NS6_8equal_toIjEEEE10hipError_tPvRmT2_T3_mT4_T5_T6_T7_T8_P12ihipStream_tbENKUlT_T0_E_clISt17integral_constantIbLb0EES11_EEDaSW_SX_EUlSW_E_NS1_11comp_targetILNS1_3genE8ELNS1_11target_archE1030ELNS1_3gpuE2ELNS1_3repE0EEENS1_30default_config_static_selectorELNS0_4arch9wavefront6targetE0EEEvT1_,"axG",@progbits,_ZN7rocprim17ROCPRIM_400000_NS6detail17trampoline_kernelINS0_14default_configENS1_29reduce_by_key_config_selectorIjjN6thrust23THRUST_200600_302600_NS4plusIjEEEEZZNS1_33reduce_by_key_impl_wrapped_configILNS1_25lookback_scan_determinismE0ES3_S9_NS6_6detail15normal_iteratorINS6_10device_ptrIjEEEESG_SG_SG_PmS8_NS6_8equal_toIjEEEE10hipError_tPvRmT2_T3_mT4_T5_T6_T7_T8_P12ihipStream_tbENKUlT_T0_E_clISt17integral_constantIbLb0EES11_EEDaSW_SX_EUlSW_E_NS1_11comp_targetILNS1_3genE8ELNS1_11target_archE1030ELNS1_3gpuE2ELNS1_3repE0EEENS1_30default_config_static_selectorELNS0_4arch9wavefront6targetE0EEEvT1_,comdat
	.protected	_ZN7rocprim17ROCPRIM_400000_NS6detail17trampoline_kernelINS0_14default_configENS1_29reduce_by_key_config_selectorIjjN6thrust23THRUST_200600_302600_NS4plusIjEEEEZZNS1_33reduce_by_key_impl_wrapped_configILNS1_25lookback_scan_determinismE0ES3_S9_NS6_6detail15normal_iteratorINS6_10device_ptrIjEEEESG_SG_SG_PmS8_NS6_8equal_toIjEEEE10hipError_tPvRmT2_T3_mT4_T5_T6_T7_T8_P12ihipStream_tbENKUlT_T0_E_clISt17integral_constantIbLb0EES11_EEDaSW_SX_EUlSW_E_NS1_11comp_targetILNS1_3genE8ELNS1_11target_archE1030ELNS1_3gpuE2ELNS1_3repE0EEENS1_30default_config_static_selectorELNS0_4arch9wavefront6targetE0EEEvT1_ ; -- Begin function _ZN7rocprim17ROCPRIM_400000_NS6detail17trampoline_kernelINS0_14default_configENS1_29reduce_by_key_config_selectorIjjN6thrust23THRUST_200600_302600_NS4plusIjEEEEZZNS1_33reduce_by_key_impl_wrapped_configILNS1_25lookback_scan_determinismE0ES3_S9_NS6_6detail15normal_iteratorINS6_10device_ptrIjEEEESG_SG_SG_PmS8_NS6_8equal_toIjEEEE10hipError_tPvRmT2_T3_mT4_T5_T6_T7_T8_P12ihipStream_tbENKUlT_T0_E_clISt17integral_constantIbLb0EES11_EEDaSW_SX_EUlSW_E_NS1_11comp_targetILNS1_3genE8ELNS1_11target_archE1030ELNS1_3gpuE2ELNS1_3repE0EEENS1_30default_config_static_selectorELNS0_4arch9wavefront6targetE0EEEvT1_
	.globl	_ZN7rocprim17ROCPRIM_400000_NS6detail17trampoline_kernelINS0_14default_configENS1_29reduce_by_key_config_selectorIjjN6thrust23THRUST_200600_302600_NS4plusIjEEEEZZNS1_33reduce_by_key_impl_wrapped_configILNS1_25lookback_scan_determinismE0ES3_S9_NS6_6detail15normal_iteratorINS6_10device_ptrIjEEEESG_SG_SG_PmS8_NS6_8equal_toIjEEEE10hipError_tPvRmT2_T3_mT4_T5_T6_T7_T8_P12ihipStream_tbENKUlT_T0_E_clISt17integral_constantIbLb0EES11_EEDaSW_SX_EUlSW_E_NS1_11comp_targetILNS1_3genE8ELNS1_11target_archE1030ELNS1_3gpuE2ELNS1_3repE0EEENS1_30default_config_static_selectorELNS0_4arch9wavefront6targetE0EEEvT1_
	.p2align	8
	.type	_ZN7rocprim17ROCPRIM_400000_NS6detail17trampoline_kernelINS0_14default_configENS1_29reduce_by_key_config_selectorIjjN6thrust23THRUST_200600_302600_NS4plusIjEEEEZZNS1_33reduce_by_key_impl_wrapped_configILNS1_25lookback_scan_determinismE0ES3_S9_NS6_6detail15normal_iteratorINS6_10device_ptrIjEEEESG_SG_SG_PmS8_NS6_8equal_toIjEEEE10hipError_tPvRmT2_T3_mT4_T5_T6_T7_T8_P12ihipStream_tbENKUlT_T0_E_clISt17integral_constantIbLb0EES11_EEDaSW_SX_EUlSW_E_NS1_11comp_targetILNS1_3genE8ELNS1_11target_archE1030ELNS1_3gpuE2ELNS1_3repE0EEENS1_30default_config_static_selectorELNS0_4arch9wavefront6targetE0EEEvT1_,@function
_ZN7rocprim17ROCPRIM_400000_NS6detail17trampoline_kernelINS0_14default_configENS1_29reduce_by_key_config_selectorIjjN6thrust23THRUST_200600_302600_NS4plusIjEEEEZZNS1_33reduce_by_key_impl_wrapped_configILNS1_25lookback_scan_determinismE0ES3_S9_NS6_6detail15normal_iteratorINS6_10device_ptrIjEEEESG_SG_SG_PmS8_NS6_8equal_toIjEEEE10hipError_tPvRmT2_T3_mT4_T5_T6_T7_T8_P12ihipStream_tbENKUlT_T0_E_clISt17integral_constantIbLb0EES11_EEDaSW_SX_EUlSW_E_NS1_11comp_targetILNS1_3genE8ELNS1_11target_archE1030ELNS1_3gpuE2ELNS1_3repE0EEENS1_30default_config_static_selectorELNS0_4arch9wavefront6targetE0EEEvT1_: ; @_ZN7rocprim17ROCPRIM_400000_NS6detail17trampoline_kernelINS0_14default_configENS1_29reduce_by_key_config_selectorIjjN6thrust23THRUST_200600_302600_NS4plusIjEEEEZZNS1_33reduce_by_key_impl_wrapped_configILNS1_25lookback_scan_determinismE0ES3_S9_NS6_6detail15normal_iteratorINS6_10device_ptrIjEEEESG_SG_SG_PmS8_NS6_8equal_toIjEEEE10hipError_tPvRmT2_T3_mT4_T5_T6_T7_T8_P12ihipStream_tbENKUlT_T0_E_clISt17integral_constantIbLb0EES11_EEDaSW_SX_EUlSW_E_NS1_11comp_targetILNS1_3genE8ELNS1_11target_archE1030ELNS1_3gpuE2ELNS1_3repE0EEENS1_30default_config_static_selectorELNS0_4arch9wavefront6targetE0EEEvT1_
; %bb.0:
	.section	.rodata,"a",@progbits
	.p2align	6, 0x0
	.amdhsa_kernel _ZN7rocprim17ROCPRIM_400000_NS6detail17trampoline_kernelINS0_14default_configENS1_29reduce_by_key_config_selectorIjjN6thrust23THRUST_200600_302600_NS4plusIjEEEEZZNS1_33reduce_by_key_impl_wrapped_configILNS1_25lookback_scan_determinismE0ES3_S9_NS6_6detail15normal_iteratorINS6_10device_ptrIjEEEESG_SG_SG_PmS8_NS6_8equal_toIjEEEE10hipError_tPvRmT2_T3_mT4_T5_T6_T7_T8_P12ihipStream_tbENKUlT_T0_E_clISt17integral_constantIbLb0EES11_EEDaSW_SX_EUlSW_E_NS1_11comp_targetILNS1_3genE8ELNS1_11target_archE1030ELNS1_3gpuE2ELNS1_3repE0EEENS1_30default_config_static_selectorELNS0_4arch9wavefront6targetE0EEEvT1_
		.amdhsa_group_segment_fixed_size 0
		.amdhsa_private_segment_fixed_size 0
		.amdhsa_kernarg_size 120
		.amdhsa_user_sgpr_count 15
		.amdhsa_user_sgpr_dispatch_ptr 0
		.amdhsa_user_sgpr_queue_ptr 0
		.amdhsa_user_sgpr_kernarg_segment_ptr 1
		.amdhsa_user_sgpr_dispatch_id 0
		.amdhsa_user_sgpr_private_segment_size 0
		.amdhsa_wavefront_size32 1
		.amdhsa_uses_dynamic_stack 0
		.amdhsa_enable_private_segment 0
		.amdhsa_system_sgpr_workgroup_id_x 1
		.amdhsa_system_sgpr_workgroup_id_y 0
		.amdhsa_system_sgpr_workgroup_id_z 0
		.amdhsa_system_sgpr_workgroup_info 0
		.amdhsa_system_vgpr_workitem_id 0
		.amdhsa_next_free_vgpr 1
		.amdhsa_next_free_sgpr 1
		.amdhsa_reserve_vcc 0
		.amdhsa_float_round_mode_32 0
		.amdhsa_float_round_mode_16_64 0
		.amdhsa_float_denorm_mode_32 3
		.amdhsa_float_denorm_mode_16_64 3
		.amdhsa_dx10_clamp 1
		.amdhsa_ieee_mode 1
		.amdhsa_fp16_overflow 0
		.amdhsa_workgroup_processor_mode 1
		.amdhsa_memory_ordered 1
		.amdhsa_forward_progress 0
		.amdhsa_shared_vgpr_count 0
		.amdhsa_exception_fp_ieee_invalid_op 0
		.amdhsa_exception_fp_denorm_src 0
		.amdhsa_exception_fp_ieee_div_zero 0
		.amdhsa_exception_fp_ieee_overflow 0
		.amdhsa_exception_fp_ieee_underflow 0
		.amdhsa_exception_fp_ieee_inexact 0
		.amdhsa_exception_int_div_zero 0
	.end_amdhsa_kernel
	.section	.text._ZN7rocprim17ROCPRIM_400000_NS6detail17trampoline_kernelINS0_14default_configENS1_29reduce_by_key_config_selectorIjjN6thrust23THRUST_200600_302600_NS4plusIjEEEEZZNS1_33reduce_by_key_impl_wrapped_configILNS1_25lookback_scan_determinismE0ES3_S9_NS6_6detail15normal_iteratorINS6_10device_ptrIjEEEESG_SG_SG_PmS8_NS6_8equal_toIjEEEE10hipError_tPvRmT2_T3_mT4_T5_T6_T7_T8_P12ihipStream_tbENKUlT_T0_E_clISt17integral_constantIbLb0EES11_EEDaSW_SX_EUlSW_E_NS1_11comp_targetILNS1_3genE8ELNS1_11target_archE1030ELNS1_3gpuE2ELNS1_3repE0EEENS1_30default_config_static_selectorELNS0_4arch9wavefront6targetE0EEEvT1_,"axG",@progbits,_ZN7rocprim17ROCPRIM_400000_NS6detail17trampoline_kernelINS0_14default_configENS1_29reduce_by_key_config_selectorIjjN6thrust23THRUST_200600_302600_NS4plusIjEEEEZZNS1_33reduce_by_key_impl_wrapped_configILNS1_25lookback_scan_determinismE0ES3_S9_NS6_6detail15normal_iteratorINS6_10device_ptrIjEEEESG_SG_SG_PmS8_NS6_8equal_toIjEEEE10hipError_tPvRmT2_T3_mT4_T5_T6_T7_T8_P12ihipStream_tbENKUlT_T0_E_clISt17integral_constantIbLb0EES11_EEDaSW_SX_EUlSW_E_NS1_11comp_targetILNS1_3genE8ELNS1_11target_archE1030ELNS1_3gpuE2ELNS1_3repE0EEENS1_30default_config_static_selectorELNS0_4arch9wavefront6targetE0EEEvT1_,comdat
.Lfunc_end323:
	.size	_ZN7rocprim17ROCPRIM_400000_NS6detail17trampoline_kernelINS0_14default_configENS1_29reduce_by_key_config_selectorIjjN6thrust23THRUST_200600_302600_NS4plusIjEEEEZZNS1_33reduce_by_key_impl_wrapped_configILNS1_25lookback_scan_determinismE0ES3_S9_NS6_6detail15normal_iteratorINS6_10device_ptrIjEEEESG_SG_SG_PmS8_NS6_8equal_toIjEEEE10hipError_tPvRmT2_T3_mT4_T5_T6_T7_T8_P12ihipStream_tbENKUlT_T0_E_clISt17integral_constantIbLb0EES11_EEDaSW_SX_EUlSW_E_NS1_11comp_targetILNS1_3genE8ELNS1_11target_archE1030ELNS1_3gpuE2ELNS1_3repE0EEENS1_30default_config_static_selectorELNS0_4arch9wavefront6targetE0EEEvT1_, .Lfunc_end323-_ZN7rocprim17ROCPRIM_400000_NS6detail17trampoline_kernelINS0_14default_configENS1_29reduce_by_key_config_selectorIjjN6thrust23THRUST_200600_302600_NS4plusIjEEEEZZNS1_33reduce_by_key_impl_wrapped_configILNS1_25lookback_scan_determinismE0ES3_S9_NS6_6detail15normal_iteratorINS6_10device_ptrIjEEEESG_SG_SG_PmS8_NS6_8equal_toIjEEEE10hipError_tPvRmT2_T3_mT4_T5_T6_T7_T8_P12ihipStream_tbENKUlT_T0_E_clISt17integral_constantIbLb0EES11_EEDaSW_SX_EUlSW_E_NS1_11comp_targetILNS1_3genE8ELNS1_11target_archE1030ELNS1_3gpuE2ELNS1_3repE0EEENS1_30default_config_static_selectorELNS0_4arch9wavefront6targetE0EEEvT1_
                                        ; -- End function
	.section	.AMDGPU.csdata,"",@progbits
; Kernel info:
; codeLenInByte = 0
; NumSgprs: 0
; NumVgprs: 0
; ScratchSize: 0
; MemoryBound: 0
; FloatMode: 240
; IeeeMode: 1
; LDSByteSize: 0 bytes/workgroup (compile time only)
; SGPRBlocks: 0
; VGPRBlocks: 0
; NumSGPRsForWavesPerEU: 1
; NumVGPRsForWavesPerEU: 1
; Occupancy: 16
; WaveLimiterHint : 0
; COMPUTE_PGM_RSRC2:SCRATCH_EN: 0
; COMPUTE_PGM_RSRC2:USER_SGPR: 15
; COMPUTE_PGM_RSRC2:TRAP_HANDLER: 0
; COMPUTE_PGM_RSRC2:TGID_X_EN: 1
; COMPUTE_PGM_RSRC2:TGID_Y_EN: 0
; COMPUTE_PGM_RSRC2:TGID_Z_EN: 0
; COMPUTE_PGM_RSRC2:TIDIG_COMP_CNT: 0
	.section	.text._ZN7rocprim17ROCPRIM_400000_NS6detail25reduce_by_key_init_kernelINS1_19lookback_scan_stateINS0_5tupleIJjjEEELb1ELb1EEEjNS1_16block_id_wrapperIjLb1EEEEEvT_jbjPmPT0_T1_,"axG",@progbits,_ZN7rocprim17ROCPRIM_400000_NS6detail25reduce_by_key_init_kernelINS1_19lookback_scan_stateINS0_5tupleIJjjEEELb1ELb1EEEjNS1_16block_id_wrapperIjLb1EEEEEvT_jbjPmPT0_T1_,comdat
	.protected	_ZN7rocprim17ROCPRIM_400000_NS6detail25reduce_by_key_init_kernelINS1_19lookback_scan_stateINS0_5tupleIJjjEEELb1ELb1EEEjNS1_16block_id_wrapperIjLb1EEEEEvT_jbjPmPT0_T1_ ; -- Begin function _ZN7rocprim17ROCPRIM_400000_NS6detail25reduce_by_key_init_kernelINS1_19lookback_scan_stateINS0_5tupleIJjjEEELb1ELb1EEEjNS1_16block_id_wrapperIjLb1EEEEEvT_jbjPmPT0_T1_
	.globl	_ZN7rocprim17ROCPRIM_400000_NS6detail25reduce_by_key_init_kernelINS1_19lookback_scan_stateINS0_5tupleIJjjEEELb1ELb1EEEjNS1_16block_id_wrapperIjLb1EEEEEvT_jbjPmPT0_T1_
	.p2align	8
	.type	_ZN7rocprim17ROCPRIM_400000_NS6detail25reduce_by_key_init_kernelINS1_19lookback_scan_stateINS0_5tupleIJjjEEELb1ELb1EEEjNS1_16block_id_wrapperIjLb1EEEEEvT_jbjPmPT0_T1_,@function
_ZN7rocprim17ROCPRIM_400000_NS6detail25reduce_by_key_init_kernelINS1_19lookback_scan_stateINS0_5tupleIJjjEEELb1ELb1EEEjNS1_16block_id_wrapperIjLb1EEEEEvT_jbjPmPT0_T1_: ; @_ZN7rocprim17ROCPRIM_400000_NS6detail25reduce_by_key_init_kernelINS1_19lookback_scan_stateINS0_5tupleIJjjEEELb1ELb1EEEjNS1_16block_id_wrapperIjLb1EEEEEvT_jbjPmPT0_T1_
; %bb.0:
	s_clause 0x3
	s_load_b32 s14, s[0:1], 0x3c
	s_load_b256 s[4:11], s[0:1], 0x8
	s_load_b64 s[12:13], s[0:1], 0x28
	s_load_b64 s[2:3], s[0:1], 0x0
	s_mov_b32 s1, -1
	s_waitcnt lgkmcnt(0)
	s_and_b32 s0, s14, 0xffff
	s_delay_alu instid0(SALU_CYCLE_1) | instskip(SKIP_1) | instid1(SALU_CYCLE_1)
	v_mad_u64_u32 v[1:2], null, s15, s0, v[0:1]
	s_and_b32 s0, s5, 1
	s_cmp_eq_u32 s0, 0
	s_cbranch_scc0 .LBB324_10
; %bb.1:
	s_cmp_lt_u32 s6, s4
	s_mov_b32 s5, exec_lo
	s_cselect_b32 s0, s6, 0
	s_delay_alu instid0(VALU_DEP_1) | instid1(SALU_CYCLE_1)
	v_cmpx_eq_u32_e64 s0, v1
	s_cbranch_execz .LBB324_9
; %bb.2:
	s_add_i32 s0, s6, 32
	s_mov_b32 s1, 0
	v_mov_b32_e32 v6, 0
	s_lshl_b64 s[6:7], s[0:1], 4
	s_mov_b32 s0, exec_lo
	s_add_u32 s6, s2, s6
	s_addc_u32 s7, s3, s7
	s_delay_alu instid0(SALU_CYCLE_1) | instskip(SKIP_2) | instid1(VALU_DEP_1)
	v_dual_mov_b32 v2, s6 :: v_dual_mov_b32 v3, s7
	;;#ASMSTART
	global_load_dwordx4 v[2:5], v[2:3] off glc	
s_waitcnt vmcnt(0)
	;;#ASMEND
	v_and_b32_e32 v5, 0xff, v4
	v_cmpx_eq_u64_e32 0, v[5:6]
	s_cbranch_execz .LBB324_8
; %bb.3:
	v_dual_mov_b32 v8, s7 :: v_dual_mov_b32 v7, s6
	s_mov_b32 s6, 1
	.p2align	6
.LBB324_4:                              ; =>This Loop Header: Depth=1
                                        ;     Child Loop BB324_5 Depth 2
	s_delay_alu instid0(SALU_CYCLE_1)
	s_max_u32 s7, s6, 1
.LBB324_5:                              ;   Parent Loop BB324_4 Depth=1
                                        ; =>  This Inner Loop Header: Depth=2
	s_delay_alu instid0(SALU_CYCLE_1)
	s_add_i32 s7, s7, -1
	s_sleep 1
	s_cmp_eq_u32 s7, 0
	s_cbranch_scc0 .LBB324_5
; %bb.6:                                ;   in Loop: Header=BB324_4 Depth=1
	;;#ASMSTART
	global_load_dwordx4 v[2:5], v[7:8] off glc	
s_waitcnt vmcnt(0)
	;;#ASMEND
	v_and_b32_e32 v5, 0xff, v4
	s_cmp_lt_u32 s6, 32
	s_cselect_b32 s7, -1, 0
	s_delay_alu instid0(SALU_CYCLE_1) | instskip(NEXT) | instid1(VALU_DEP_1)
	s_cmp_lg_u32 s7, 0
	v_cmp_ne_u64_e32 vcc_lo, 0, v[5:6]
	s_addc_u32 s6, s6, 0
	s_or_b32 s1, vcc_lo, s1
	s_delay_alu instid0(SALU_CYCLE_1)
	s_and_not1_b32 exec_lo, exec_lo, s1
	s_cbranch_execnz .LBB324_4
; %bb.7:
	s_or_b32 exec_lo, exec_lo, s1
.LBB324_8:
	s_delay_alu instid0(SALU_CYCLE_1)
	s_or_b32 exec_lo, exec_lo, s0
	v_mov_b32_e32 v0, 0
	global_load_b64 v[4:5], v0, s[8:9]
	s_waitcnt vmcnt(0)
	v_add_co_u32 v4, vcc_lo, v4, v2
	v_add_co_ci_u32_e32 v5, vcc_lo, 0, v5, vcc_lo
	s_clause 0x1
	global_store_b64 v0, v[4:5], s[8:9]
	global_store_b32 v0, v3, s[10:11]
.LBB324_9:
	s_or_b32 exec_lo, exec_lo, s5
	s_mov_b32 s1, 0
.LBB324_10:
	s_delay_alu instid0(VALU_DEP_1)
	v_cmp_eq_u32_e64 s0, 0, v1
	s_and_not1_b32 vcc_lo, exec_lo, s1
	s_cbranch_vccnz .LBB324_14
; %bb.11:
	s_cmp_lg_u64 s[8:9], 0
	s_cselect_b32 s1, -1, 0
	s_delay_alu instid0(SALU_CYCLE_1) | instskip(NEXT) | instid1(SALU_CYCLE_1)
	s_and_b32 s1, s1, s0
	s_and_saveexec_b32 s0, s1
	s_cbranch_execz .LBB324_13
; %bb.12:
	v_mov_b32_e32 v2, 0
	s_delay_alu instid0(VALU_DEP_1)
	v_mov_b32_e32 v3, v2
	global_store_b64 v2, v[2:3], s[8:9]
.LBB324_13:
	s_or_b32 exec_lo, exec_lo, s0
.LBB324_14:
	s_delay_alu instid0(SALU_CYCLE_1)
	s_mov_b32 s0, exec_lo
	v_cmpx_eq_u32_e32 0, v1
	s_cbranch_execz .LBB324_16
; %bb.15:
	v_mov_b32_e32 v0, 0
	global_store_b32 v0, v0, s[12:13]
.LBB324_16:
	s_or_b32 exec_lo, exec_lo, s0
	s_delay_alu instid0(SALU_CYCLE_1)
	s_mov_b32 s0, exec_lo
	v_cmpx_gt_u32_e64 s4, v1
	s_cbranch_execz .LBB324_18
; %bb.17:
	v_dual_mov_b32 v3, 0 :: v_dual_add_nc_u32 v2, 32, v1
	s_delay_alu instid0(VALU_DEP_1) | instskip(SKIP_2) | instid1(VALU_DEP_3)
	v_lshlrev_b64 v[5:6], 4, v[2:3]
	v_mov_b32_e32 v2, v3
	v_mov_b32_e32 v4, v3
	v_add_co_u32 v7, vcc_lo, s2, v5
	s_delay_alu instid0(VALU_DEP_4)
	v_add_co_ci_u32_e32 v8, vcc_lo, s3, v6, vcc_lo
	v_mov_b32_e32 v5, v3
	global_store_b128 v[7:8], v[2:5], off
.LBB324_18:
	s_or_b32 exec_lo, exec_lo, s0
	s_delay_alu instid0(SALU_CYCLE_1)
	s_mov_b32 s0, exec_lo
	v_cmpx_gt_u32_e32 32, v1
	s_cbranch_execz .LBB324_20
; %bb.19:
	v_dual_mov_b32 v2, 0 :: v_dual_mov_b32 v3, 0xff
	s_delay_alu instid0(VALU_DEP_1) | instskip(SKIP_1) | instid1(VALU_DEP_2)
	v_lshlrev_b64 v[4:5], 4, v[1:2]
	v_mov_b32_e32 v1, v2
	v_add_co_u32 v6, vcc_lo, s2, v4
	s_delay_alu instid0(VALU_DEP_3)
	v_add_co_ci_u32_e32 v7, vcc_lo, s3, v5, vcc_lo
	v_mov_b32_e32 v4, v2
	global_store_b128 v[6:7], v[1:4], off
.LBB324_20:
	s_nop 0
	s_sendmsg sendmsg(MSG_DEALLOC_VGPRS)
	s_endpgm
	.section	.rodata,"a",@progbits
	.p2align	6, 0x0
	.amdhsa_kernel _ZN7rocprim17ROCPRIM_400000_NS6detail25reduce_by_key_init_kernelINS1_19lookback_scan_stateINS0_5tupleIJjjEEELb1ELb1EEEjNS1_16block_id_wrapperIjLb1EEEEEvT_jbjPmPT0_T1_
		.amdhsa_group_segment_fixed_size 0
		.amdhsa_private_segment_fixed_size 0
		.amdhsa_kernarg_size 304
		.amdhsa_user_sgpr_count 15
		.amdhsa_user_sgpr_dispatch_ptr 0
		.amdhsa_user_sgpr_queue_ptr 0
		.amdhsa_user_sgpr_kernarg_segment_ptr 1
		.amdhsa_user_sgpr_dispatch_id 0
		.amdhsa_user_sgpr_private_segment_size 0
		.amdhsa_wavefront_size32 1
		.amdhsa_uses_dynamic_stack 0
		.amdhsa_enable_private_segment 0
		.amdhsa_system_sgpr_workgroup_id_x 1
		.amdhsa_system_sgpr_workgroup_id_y 0
		.amdhsa_system_sgpr_workgroup_id_z 0
		.amdhsa_system_sgpr_workgroup_info 0
		.amdhsa_system_vgpr_workitem_id 0
		.amdhsa_next_free_vgpr 9
		.amdhsa_next_free_sgpr 16
		.amdhsa_reserve_vcc 1
		.amdhsa_float_round_mode_32 0
		.amdhsa_float_round_mode_16_64 0
		.amdhsa_float_denorm_mode_32 3
		.amdhsa_float_denorm_mode_16_64 3
		.amdhsa_dx10_clamp 1
		.amdhsa_ieee_mode 1
		.amdhsa_fp16_overflow 0
		.amdhsa_workgroup_processor_mode 1
		.amdhsa_memory_ordered 1
		.amdhsa_forward_progress 0
		.amdhsa_shared_vgpr_count 0
		.amdhsa_exception_fp_ieee_invalid_op 0
		.amdhsa_exception_fp_denorm_src 0
		.amdhsa_exception_fp_ieee_div_zero 0
		.amdhsa_exception_fp_ieee_overflow 0
		.amdhsa_exception_fp_ieee_underflow 0
		.amdhsa_exception_fp_ieee_inexact 0
		.amdhsa_exception_int_div_zero 0
	.end_amdhsa_kernel
	.section	.text._ZN7rocprim17ROCPRIM_400000_NS6detail25reduce_by_key_init_kernelINS1_19lookback_scan_stateINS0_5tupleIJjjEEELb1ELb1EEEjNS1_16block_id_wrapperIjLb1EEEEEvT_jbjPmPT0_T1_,"axG",@progbits,_ZN7rocprim17ROCPRIM_400000_NS6detail25reduce_by_key_init_kernelINS1_19lookback_scan_stateINS0_5tupleIJjjEEELb1ELb1EEEjNS1_16block_id_wrapperIjLb1EEEEEvT_jbjPmPT0_T1_,comdat
.Lfunc_end324:
	.size	_ZN7rocprim17ROCPRIM_400000_NS6detail25reduce_by_key_init_kernelINS1_19lookback_scan_stateINS0_5tupleIJjjEEELb1ELb1EEEjNS1_16block_id_wrapperIjLb1EEEEEvT_jbjPmPT0_T1_, .Lfunc_end324-_ZN7rocprim17ROCPRIM_400000_NS6detail25reduce_by_key_init_kernelINS1_19lookback_scan_stateINS0_5tupleIJjjEEELb1ELb1EEEjNS1_16block_id_wrapperIjLb1EEEEEvT_jbjPmPT0_T1_
                                        ; -- End function
	.section	.AMDGPU.csdata,"",@progbits
; Kernel info:
; codeLenInByte = 660
; NumSgprs: 18
; NumVgprs: 9
; ScratchSize: 0
; MemoryBound: 0
; FloatMode: 240
; IeeeMode: 1
; LDSByteSize: 0 bytes/workgroup (compile time only)
; SGPRBlocks: 2
; VGPRBlocks: 1
; NumSGPRsForWavesPerEU: 18
; NumVGPRsForWavesPerEU: 9
; Occupancy: 16
; WaveLimiterHint : 0
; COMPUTE_PGM_RSRC2:SCRATCH_EN: 0
; COMPUTE_PGM_RSRC2:USER_SGPR: 15
; COMPUTE_PGM_RSRC2:TRAP_HANDLER: 0
; COMPUTE_PGM_RSRC2:TGID_X_EN: 1
; COMPUTE_PGM_RSRC2:TGID_Y_EN: 0
; COMPUTE_PGM_RSRC2:TGID_Z_EN: 0
; COMPUTE_PGM_RSRC2:TIDIG_COMP_CNT: 0
	.section	.text._ZN7rocprim17ROCPRIM_400000_NS6detail17trampoline_kernelINS0_14default_configENS1_29reduce_by_key_config_selectorIjjN6thrust23THRUST_200600_302600_NS4plusIjEEEEZZNS1_33reduce_by_key_impl_wrapped_configILNS1_25lookback_scan_determinismE0ES3_S9_NS6_6detail15normal_iteratorINS6_10device_ptrIjEEEESG_SG_SG_PmS8_NS6_8equal_toIjEEEE10hipError_tPvRmT2_T3_mT4_T5_T6_T7_T8_P12ihipStream_tbENKUlT_T0_E_clISt17integral_constantIbLb1EES11_EEDaSW_SX_EUlSW_E_NS1_11comp_targetILNS1_3genE0ELNS1_11target_archE4294967295ELNS1_3gpuE0ELNS1_3repE0EEENS1_30default_config_static_selectorELNS0_4arch9wavefront6targetE0EEEvT1_,"axG",@progbits,_ZN7rocprim17ROCPRIM_400000_NS6detail17trampoline_kernelINS0_14default_configENS1_29reduce_by_key_config_selectorIjjN6thrust23THRUST_200600_302600_NS4plusIjEEEEZZNS1_33reduce_by_key_impl_wrapped_configILNS1_25lookback_scan_determinismE0ES3_S9_NS6_6detail15normal_iteratorINS6_10device_ptrIjEEEESG_SG_SG_PmS8_NS6_8equal_toIjEEEE10hipError_tPvRmT2_T3_mT4_T5_T6_T7_T8_P12ihipStream_tbENKUlT_T0_E_clISt17integral_constantIbLb1EES11_EEDaSW_SX_EUlSW_E_NS1_11comp_targetILNS1_3genE0ELNS1_11target_archE4294967295ELNS1_3gpuE0ELNS1_3repE0EEENS1_30default_config_static_selectorELNS0_4arch9wavefront6targetE0EEEvT1_,comdat
	.protected	_ZN7rocprim17ROCPRIM_400000_NS6detail17trampoline_kernelINS0_14default_configENS1_29reduce_by_key_config_selectorIjjN6thrust23THRUST_200600_302600_NS4plusIjEEEEZZNS1_33reduce_by_key_impl_wrapped_configILNS1_25lookback_scan_determinismE0ES3_S9_NS6_6detail15normal_iteratorINS6_10device_ptrIjEEEESG_SG_SG_PmS8_NS6_8equal_toIjEEEE10hipError_tPvRmT2_T3_mT4_T5_T6_T7_T8_P12ihipStream_tbENKUlT_T0_E_clISt17integral_constantIbLb1EES11_EEDaSW_SX_EUlSW_E_NS1_11comp_targetILNS1_3genE0ELNS1_11target_archE4294967295ELNS1_3gpuE0ELNS1_3repE0EEENS1_30default_config_static_selectorELNS0_4arch9wavefront6targetE0EEEvT1_ ; -- Begin function _ZN7rocprim17ROCPRIM_400000_NS6detail17trampoline_kernelINS0_14default_configENS1_29reduce_by_key_config_selectorIjjN6thrust23THRUST_200600_302600_NS4plusIjEEEEZZNS1_33reduce_by_key_impl_wrapped_configILNS1_25lookback_scan_determinismE0ES3_S9_NS6_6detail15normal_iteratorINS6_10device_ptrIjEEEESG_SG_SG_PmS8_NS6_8equal_toIjEEEE10hipError_tPvRmT2_T3_mT4_T5_T6_T7_T8_P12ihipStream_tbENKUlT_T0_E_clISt17integral_constantIbLb1EES11_EEDaSW_SX_EUlSW_E_NS1_11comp_targetILNS1_3genE0ELNS1_11target_archE4294967295ELNS1_3gpuE0ELNS1_3repE0EEENS1_30default_config_static_selectorELNS0_4arch9wavefront6targetE0EEEvT1_
	.globl	_ZN7rocprim17ROCPRIM_400000_NS6detail17trampoline_kernelINS0_14default_configENS1_29reduce_by_key_config_selectorIjjN6thrust23THRUST_200600_302600_NS4plusIjEEEEZZNS1_33reduce_by_key_impl_wrapped_configILNS1_25lookback_scan_determinismE0ES3_S9_NS6_6detail15normal_iteratorINS6_10device_ptrIjEEEESG_SG_SG_PmS8_NS6_8equal_toIjEEEE10hipError_tPvRmT2_T3_mT4_T5_T6_T7_T8_P12ihipStream_tbENKUlT_T0_E_clISt17integral_constantIbLb1EES11_EEDaSW_SX_EUlSW_E_NS1_11comp_targetILNS1_3genE0ELNS1_11target_archE4294967295ELNS1_3gpuE0ELNS1_3repE0EEENS1_30default_config_static_selectorELNS0_4arch9wavefront6targetE0EEEvT1_
	.p2align	8
	.type	_ZN7rocprim17ROCPRIM_400000_NS6detail17trampoline_kernelINS0_14default_configENS1_29reduce_by_key_config_selectorIjjN6thrust23THRUST_200600_302600_NS4plusIjEEEEZZNS1_33reduce_by_key_impl_wrapped_configILNS1_25lookback_scan_determinismE0ES3_S9_NS6_6detail15normal_iteratorINS6_10device_ptrIjEEEESG_SG_SG_PmS8_NS6_8equal_toIjEEEE10hipError_tPvRmT2_T3_mT4_T5_T6_T7_T8_P12ihipStream_tbENKUlT_T0_E_clISt17integral_constantIbLb1EES11_EEDaSW_SX_EUlSW_E_NS1_11comp_targetILNS1_3genE0ELNS1_11target_archE4294967295ELNS1_3gpuE0ELNS1_3repE0EEENS1_30default_config_static_selectorELNS0_4arch9wavefront6targetE0EEEvT1_,@function
_ZN7rocprim17ROCPRIM_400000_NS6detail17trampoline_kernelINS0_14default_configENS1_29reduce_by_key_config_selectorIjjN6thrust23THRUST_200600_302600_NS4plusIjEEEEZZNS1_33reduce_by_key_impl_wrapped_configILNS1_25lookback_scan_determinismE0ES3_S9_NS6_6detail15normal_iteratorINS6_10device_ptrIjEEEESG_SG_SG_PmS8_NS6_8equal_toIjEEEE10hipError_tPvRmT2_T3_mT4_T5_T6_T7_T8_P12ihipStream_tbENKUlT_T0_E_clISt17integral_constantIbLb1EES11_EEDaSW_SX_EUlSW_E_NS1_11comp_targetILNS1_3genE0ELNS1_11target_archE4294967295ELNS1_3gpuE0ELNS1_3repE0EEENS1_30default_config_static_selectorELNS0_4arch9wavefront6targetE0EEEvT1_: ; @_ZN7rocprim17ROCPRIM_400000_NS6detail17trampoline_kernelINS0_14default_configENS1_29reduce_by_key_config_selectorIjjN6thrust23THRUST_200600_302600_NS4plusIjEEEEZZNS1_33reduce_by_key_impl_wrapped_configILNS1_25lookback_scan_determinismE0ES3_S9_NS6_6detail15normal_iteratorINS6_10device_ptrIjEEEESG_SG_SG_PmS8_NS6_8equal_toIjEEEE10hipError_tPvRmT2_T3_mT4_T5_T6_T7_T8_P12ihipStream_tbENKUlT_T0_E_clISt17integral_constantIbLb1EES11_EEDaSW_SX_EUlSW_E_NS1_11comp_targetILNS1_3genE0ELNS1_11target_archE4294967295ELNS1_3gpuE0ELNS1_3repE0EEENS1_30default_config_static_selectorELNS0_4arch9wavefront6targetE0EEEvT1_
; %bb.0:
	.section	.rodata,"a",@progbits
	.p2align	6, 0x0
	.amdhsa_kernel _ZN7rocprim17ROCPRIM_400000_NS6detail17trampoline_kernelINS0_14default_configENS1_29reduce_by_key_config_selectorIjjN6thrust23THRUST_200600_302600_NS4plusIjEEEEZZNS1_33reduce_by_key_impl_wrapped_configILNS1_25lookback_scan_determinismE0ES3_S9_NS6_6detail15normal_iteratorINS6_10device_ptrIjEEEESG_SG_SG_PmS8_NS6_8equal_toIjEEEE10hipError_tPvRmT2_T3_mT4_T5_T6_T7_T8_P12ihipStream_tbENKUlT_T0_E_clISt17integral_constantIbLb1EES11_EEDaSW_SX_EUlSW_E_NS1_11comp_targetILNS1_3genE0ELNS1_11target_archE4294967295ELNS1_3gpuE0ELNS1_3repE0EEENS1_30default_config_static_selectorELNS0_4arch9wavefront6targetE0EEEvT1_
		.amdhsa_group_segment_fixed_size 0
		.amdhsa_private_segment_fixed_size 0
		.amdhsa_kernarg_size 120
		.amdhsa_user_sgpr_count 15
		.amdhsa_user_sgpr_dispatch_ptr 0
		.amdhsa_user_sgpr_queue_ptr 0
		.amdhsa_user_sgpr_kernarg_segment_ptr 1
		.amdhsa_user_sgpr_dispatch_id 0
		.amdhsa_user_sgpr_private_segment_size 0
		.amdhsa_wavefront_size32 1
		.amdhsa_uses_dynamic_stack 0
		.amdhsa_enable_private_segment 0
		.amdhsa_system_sgpr_workgroup_id_x 1
		.amdhsa_system_sgpr_workgroup_id_y 0
		.amdhsa_system_sgpr_workgroup_id_z 0
		.amdhsa_system_sgpr_workgroup_info 0
		.amdhsa_system_vgpr_workitem_id 0
		.amdhsa_next_free_vgpr 1
		.amdhsa_next_free_sgpr 1
		.amdhsa_reserve_vcc 0
		.amdhsa_float_round_mode_32 0
		.amdhsa_float_round_mode_16_64 0
		.amdhsa_float_denorm_mode_32 3
		.amdhsa_float_denorm_mode_16_64 3
		.amdhsa_dx10_clamp 1
		.amdhsa_ieee_mode 1
		.amdhsa_fp16_overflow 0
		.amdhsa_workgroup_processor_mode 1
		.amdhsa_memory_ordered 1
		.amdhsa_forward_progress 0
		.amdhsa_shared_vgpr_count 0
		.amdhsa_exception_fp_ieee_invalid_op 0
		.amdhsa_exception_fp_denorm_src 0
		.amdhsa_exception_fp_ieee_div_zero 0
		.amdhsa_exception_fp_ieee_overflow 0
		.amdhsa_exception_fp_ieee_underflow 0
		.amdhsa_exception_fp_ieee_inexact 0
		.amdhsa_exception_int_div_zero 0
	.end_amdhsa_kernel
	.section	.text._ZN7rocprim17ROCPRIM_400000_NS6detail17trampoline_kernelINS0_14default_configENS1_29reduce_by_key_config_selectorIjjN6thrust23THRUST_200600_302600_NS4plusIjEEEEZZNS1_33reduce_by_key_impl_wrapped_configILNS1_25lookback_scan_determinismE0ES3_S9_NS6_6detail15normal_iteratorINS6_10device_ptrIjEEEESG_SG_SG_PmS8_NS6_8equal_toIjEEEE10hipError_tPvRmT2_T3_mT4_T5_T6_T7_T8_P12ihipStream_tbENKUlT_T0_E_clISt17integral_constantIbLb1EES11_EEDaSW_SX_EUlSW_E_NS1_11comp_targetILNS1_3genE0ELNS1_11target_archE4294967295ELNS1_3gpuE0ELNS1_3repE0EEENS1_30default_config_static_selectorELNS0_4arch9wavefront6targetE0EEEvT1_,"axG",@progbits,_ZN7rocprim17ROCPRIM_400000_NS6detail17trampoline_kernelINS0_14default_configENS1_29reduce_by_key_config_selectorIjjN6thrust23THRUST_200600_302600_NS4plusIjEEEEZZNS1_33reduce_by_key_impl_wrapped_configILNS1_25lookback_scan_determinismE0ES3_S9_NS6_6detail15normal_iteratorINS6_10device_ptrIjEEEESG_SG_SG_PmS8_NS6_8equal_toIjEEEE10hipError_tPvRmT2_T3_mT4_T5_T6_T7_T8_P12ihipStream_tbENKUlT_T0_E_clISt17integral_constantIbLb1EES11_EEDaSW_SX_EUlSW_E_NS1_11comp_targetILNS1_3genE0ELNS1_11target_archE4294967295ELNS1_3gpuE0ELNS1_3repE0EEENS1_30default_config_static_selectorELNS0_4arch9wavefront6targetE0EEEvT1_,comdat
.Lfunc_end325:
	.size	_ZN7rocprim17ROCPRIM_400000_NS6detail17trampoline_kernelINS0_14default_configENS1_29reduce_by_key_config_selectorIjjN6thrust23THRUST_200600_302600_NS4plusIjEEEEZZNS1_33reduce_by_key_impl_wrapped_configILNS1_25lookback_scan_determinismE0ES3_S9_NS6_6detail15normal_iteratorINS6_10device_ptrIjEEEESG_SG_SG_PmS8_NS6_8equal_toIjEEEE10hipError_tPvRmT2_T3_mT4_T5_T6_T7_T8_P12ihipStream_tbENKUlT_T0_E_clISt17integral_constantIbLb1EES11_EEDaSW_SX_EUlSW_E_NS1_11comp_targetILNS1_3genE0ELNS1_11target_archE4294967295ELNS1_3gpuE0ELNS1_3repE0EEENS1_30default_config_static_selectorELNS0_4arch9wavefront6targetE0EEEvT1_, .Lfunc_end325-_ZN7rocprim17ROCPRIM_400000_NS6detail17trampoline_kernelINS0_14default_configENS1_29reduce_by_key_config_selectorIjjN6thrust23THRUST_200600_302600_NS4plusIjEEEEZZNS1_33reduce_by_key_impl_wrapped_configILNS1_25lookback_scan_determinismE0ES3_S9_NS6_6detail15normal_iteratorINS6_10device_ptrIjEEEESG_SG_SG_PmS8_NS6_8equal_toIjEEEE10hipError_tPvRmT2_T3_mT4_T5_T6_T7_T8_P12ihipStream_tbENKUlT_T0_E_clISt17integral_constantIbLb1EES11_EEDaSW_SX_EUlSW_E_NS1_11comp_targetILNS1_3genE0ELNS1_11target_archE4294967295ELNS1_3gpuE0ELNS1_3repE0EEENS1_30default_config_static_selectorELNS0_4arch9wavefront6targetE0EEEvT1_
                                        ; -- End function
	.section	.AMDGPU.csdata,"",@progbits
; Kernel info:
; codeLenInByte = 0
; NumSgprs: 0
; NumVgprs: 0
; ScratchSize: 0
; MemoryBound: 0
; FloatMode: 240
; IeeeMode: 1
; LDSByteSize: 0 bytes/workgroup (compile time only)
; SGPRBlocks: 0
; VGPRBlocks: 0
; NumSGPRsForWavesPerEU: 1
; NumVGPRsForWavesPerEU: 1
; Occupancy: 16
; WaveLimiterHint : 0
; COMPUTE_PGM_RSRC2:SCRATCH_EN: 0
; COMPUTE_PGM_RSRC2:USER_SGPR: 15
; COMPUTE_PGM_RSRC2:TRAP_HANDLER: 0
; COMPUTE_PGM_RSRC2:TGID_X_EN: 1
; COMPUTE_PGM_RSRC2:TGID_Y_EN: 0
; COMPUTE_PGM_RSRC2:TGID_Z_EN: 0
; COMPUTE_PGM_RSRC2:TIDIG_COMP_CNT: 0
	.section	.text._ZN7rocprim17ROCPRIM_400000_NS6detail17trampoline_kernelINS0_14default_configENS1_29reduce_by_key_config_selectorIjjN6thrust23THRUST_200600_302600_NS4plusIjEEEEZZNS1_33reduce_by_key_impl_wrapped_configILNS1_25lookback_scan_determinismE0ES3_S9_NS6_6detail15normal_iteratorINS6_10device_ptrIjEEEESG_SG_SG_PmS8_NS6_8equal_toIjEEEE10hipError_tPvRmT2_T3_mT4_T5_T6_T7_T8_P12ihipStream_tbENKUlT_T0_E_clISt17integral_constantIbLb1EES11_EEDaSW_SX_EUlSW_E_NS1_11comp_targetILNS1_3genE5ELNS1_11target_archE942ELNS1_3gpuE9ELNS1_3repE0EEENS1_30default_config_static_selectorELNS0_4arch9wavefront6targetE0EEEvT1_,"axG",@progbits,_ZN7rocprim17ROCPRIM_400000_NS6detail17trampoline_kernelINS0_14default_configENS1_29reduce_by_key_config_selectorIjjN6thrust23THRUST_200600_302600_NS4plusIjEEEEZZNS1_33reduce_by_key_impl_wrapped_configILNS1_25lookback_scan_determinismE0ES3_S9_NS6_6detail15normal_iteratorINS6_10device_ptrIjEEEESG_SG_SG_PmS8_NS6_8equal_toIjEEEE10hipError_tPvRmT2_T3_mT4_T5_T6_T7_T8_P12ihipStream_tbENKUlT_T0_E_clISt17integral_constantIbLb1EES11_EEDaSW_SX_EUlSW_E_NS1_11comp_targetILNS1_3genE5ELNS1_11target_archE942ELNS1_3gpuE9ELNS1_3repE0EEENS1_30default_config_static_selectorELNS0_4arch9wavefront6targetE0EEEvT1_,comdat
	.protected	_ZN7rocprim17ROCPRIM_400000_NS6detail17trampoline_kernelINS0_14default_configENS1_29reduce_by_key_config_selectorIjjN6thrust23THRUST_200600_302600_NS4plusIjEEEEZZNS1_33reduce_by_key_impl_wrapped_configILNS1_25lookback_scan_determinismE0ES3_S9_NS6_6detail15normal_iteratorINS6_10device_ptrIjEEEESG_SG_SG_PmS8_NS6_8equal_toIjEEEE10hipError_tPvRmT2_T3_mT4_T5_T6_T7_T8_P12ihipStream_tbENKUlT_T0_E_clISt17integral_constantIbLb1EES11_EEDaSW_SX_EUlSW_E_NS1_11comp_targetILNS1_3genE5ELNS1_11target_archE942ELNS1_3gpuE9ELNS1_3repE0EEENS1_30default_config_static_selectorELNS0_4arch9wavefront6targetE0EEEvT1_ ; -- Begin function _ZN7rocprim17ROCPRIM_400000_NS6detail17trampoline_kernelINS0_14default_configENS1_29reduce_by_key_config_selectorIjjN6thrust23THRUST_200600_302600_NS4plusIjEEEEZZNS1_33reduce_by_key_impl_wrapped_configILNS1_25lookback_scan_determinismE0ES3_S9_NS6_6detail15normal_iteratorINS6_10device_ptrIjEEEESG_SG_SG_PmS8_NS6_8equal_toIjEEEE10hipError_tPvRmT2_T3_mT4_T5_T6_T7_T8_P12ihipStream_tbENKUlT_T0_E_clISt17integral_constantIbLb1EES11_EEDaSW_SX_EUlSW_E_NS1_11comp_targetILNS1_3genE5ELNS1_11target_archE942ELNS1_3gpuE9ELNS1_3repE0EEENS1_30default_config_static_selectorELNS0_4arch9wavefront6targetE0EEEvT1_
	.globl	_ZN7rocprim17ROCPRIM_400000_NS6detail17trampoline_kernelINS0_14default_configENS1_29reduce_by_key_config_selectorIjjN6thrust23THRUST_200600_302600_NS4plusIjEEEEZZNS1_33reduce_by_key_impl_wrapped_configILNS1_25lookback_scan_determinismE0ES3_S9_NS6_6detail15normal_iteratorINS6_10device_ptrIjEEEESG_SG_SG_PmS8_NS6_8equal_toIjEEEE10hipError_tPvRmT2_T3_mT4_T5_T6_T7_T8_P12ihipStream_tbENKUlT_T0_E_clISt17integral_constantIbLb1EES11_EEDaSW_SX_EUlSW_E_NS1_11comp_targetILNS1_3genE5ELNS1_11target_archE942ELNS1_3gpuE9ELNS1_3repE0EEENS1_30default_config_static_selectorELNS0_4arch9wavefront6targetE0EEEvT1_
	.p2align	8
	.type	_ZN7rocprim17ROCPRIM_400000_NS6detail17trampoline_kernelINS0_14default_configENS1_29reduce_by_key_config_selectorIjjN6thrust23THRUST_200600_302600_NS4plusIjEEEEZZNS1_33reduce_by_key_impl_wrapped_configILNS1_25lookback_scan_determinismE0ES3_S9_NS6_6detail15normal_iteratorINS6_10device_ptrIjEEEESG_SG_SG_PmS8_NS6_8equal_toIjEEEE10hipError_tPvRmT2_T3_mT4_T5_T6_T7_T8_P12ihipStream_tbENKUlT_T0_E_clISt17integral_constantIbLb1EES11_EEDaSW_SX_EUlSW_E_NS1_11comp_targetILNS1_3genE5ELNS1_11target_archE942ELNS1_3gpuE9ELNS1_3repE0EEENS1_30default_config_static_selectorELNS0_4arch9wavefront6targetE0EEEvT1_,@function
_ZN7rocprim17ROCPRIM_400000_NS6detail17trampoline_kernelINS0_14default_configENS1_29reduce_by_key_config_selectorIjjN6thrust23THRUST_200600_302600_NS4plusIjEEEEZZNS1_33reduce_by_key_impl_wrapped_configILNS1_25lookback_scan_determinismE0ES3_S9_NS6_6detail15normal_iteratorINS6_10device_ptrIjEEEESG_SG_SG_PmS8_NS6_8equal_toIjEEEE10hipError_tPvRmT2_T3_mT4_T5_T6_T7_T8_P12ihipStream_tbENKUlT_T0_E_clISt17integral_constantIbLb1EES11_EEDaSW_SX_EUlSW_E_NS1_11comp_targetILNS1_3genE5ELNS1_11target_archE942ELNS1_3gpuE9ELNS1_3repE0EEENS1_30default_config_static_selectorELNS0_4arch9wavefront6targetE0EEEvT1_: ; @_ZN7rocprim17ROCPRIM_400000_NS6detail17trampoline_kernelINS0_14default_configENS1_29reduce_by_key_config_selectorIjjN6thrust23THRUST_200600_302600_NS4plusIjEEEEZZNS1_33reduce_by_key_impl_wrapped_configILNS1_25lookback_scan_determinismE0ES3_S9_NS6_6detail15normal_iteratorINS6_10device_ptrIjEEEESG_SG_SG_PmS8_NS6_8equal_toIjEEEE10hipError_tPvRmT2_T3_mT4_T5_T6_T7_T8_P12ihipStream_tbENKUlT_T0_E_clISt17integral_constantIbLb1EES11_EEDaSW_SX_EUlSW_E_NS1_11comp_targetILNS1_3genE5ELNS1_11target_archE942ELNS1_3gpuE9ELNS1_3repE0EEENS1_30default_config_static_selectorELNS0_4arch9wavefront6targetE0EEEvT1_
; %bb.0:
	.section	.rodata,"a",@progbits
	.p2align	6, 0x0
	.amdhsa_kernel _ZN7rocprim17ROCPRIM_400000_NS6detail17trampoline_kernelINS0_14default_configENS1_29reduce_by_key_config_selectorIjjN6thrust23THRUST_200600_302600_NS4plusIjEEEEZZNS1_33reduce_by_key_impl_wrapped_configILNS1_25lookback_scan_determinismE0ES3_S9_NS6_6detail15normal_iteratorINS6_10device_ptrIjEEEESG_SG_SG_PmS8_NS6_8equal_toIjEEEE10hipError_tPvRmT2_T3_mT4_T5_T6_T7_T8_P12ihipStream_tbENKUlT_T0_E_clISt17integral_constantIbLb1EES11_EEDaSW_SX_EUlSW_E_NS1_11comp_targetILNS1_3genE5ELNS1_11target_archE942ELNS1_3gpuE9ELNS1_3repE0EEENS1_30default_config_static_selectorELNS0_4arch9wavefront6targetE0EEEvT1_
		.amdhsa_group_segment_fixed_size 0
		.amdhsa_private_segment_fixed_size 0
		.amdhsa_kernarg_size 120
		.amdhsa_user_sgpr_count 15
		.amdhsa_user_sgpr_dispatch_ptr 0
		.amdhsa_user_sgpr_queue_ptr 0
		.amdhsa_user_sgpr_kernarg_segment_ptr 1
		.amdhsa_user_sgpr_dispatch_id 0
		.amdhsa_user_sgpr_private_segment_size 0
		.amdhsa_wavefront_size32 1
		.amdhsa_uses_dynamic_stack 0
		.amdhsa_enable_private_segment 0
		.amdhsa_system_sgpr_workgroup_id_x 1
		.amdhsa_system_sgpr_workgroup_id_y 0
		.amdhsa_system_sgpr_workgroup_id_z 0
		.amdhsa_system_sgpr_workgroup_info 0
		.amdhsa_system_vgpr_workitem_id 0
		.amdhsa_next_free_vgpr 1
		.amdhsa_next_free_sgpr 1
		.amdhsa_reserve_vcc 0
		.amdhsa_float_round_mode_32 0
		.amdhsa_float_round_mode_16_64 0
		.amdhsa_float_denorm_mode_32 3
		.amdhsa_float_denorm_mode_16_64 3
		.amdhsa_dx10_clamp 1
		.amdhsa_ieee_mode 1
		.amdhsa_fp16_overflow 0
		.amdhsa_workgroup_processor_mode 1
		.amdhsa_memory_ordered 1
		.amdhsa_forward_progress 0
		.amdhsa_shared_vgpr_count 0
		.amdhsa_exception_fp_ieee_invalid_op 0
		.amdhsa_exception_fp_denorm_src 0
		.amdhsa_exception_fp_ieee_div_zero 0
		.amdhsa_exception_fp_ieee_overflow 0
		.amdhsa_exception_fp_ieee_underflow 0
		.amdhsa_exception_fp_ieee_inexact 0
		.amdhsa_exception_int_div_zero 0
	.end_amdhsa_kernel
	.section	.text._ZN7rocprim17ROCPRIM_400000_NS6detail17trampoline_kernelINS0_14default_configENS1_29reduce_by_key_config_selectorIjjN6thrust23THRUST_200600_302600_NS4plusIjEEEEZZNS1_33reduce_by_key_impl_wrapped_configILNS1_25lookback_scan_determinismE0ES3_S9_NS6_6detail15normal_iteratorINS6_10device_ptrIjEEEESG_SG_SG_PmS8_NS6_8equal_toIjEEEE10hipError_tPvRmT2_T3_mT4_T5_T6_T7_T8_P12ihipStream_tbENKUlT_T0_E_clISt17integral_constantIbLb1EES11_EEDaSW_SX_EUlSW_E_NS1_11comp_targetILNS1_3genE5ELNS1_11target_archE942ELNS1_3gpuE9ELNS1_3repE0EEENS1_30default_config_static_selectorELNS0_4arch9wavefront6targetE0EEEvT1_,"axG",@progbits,_ZN7rocprim17ROCPRIM_400000_NS6detail17trampoline_kernelINS0_14default_configENS1_29reduce_by_key_config_selectorIjjN6thrust23THRUST_200600_302600_NS4plusIjEEEEZZNS1_33reduce_by_key_impl_wrapped_configILNS1_25lookback_scan_determinismE0ES3_S9_NS6_6detail15normal_iteratorINS6_10device_ptrIjEEEESG_SG_SG_PmS8_NS6_8equal_toIjEEEE10hipError_tPvRmT2_T3_mT4_T5_T6_T7_T8_P12ihipStream_tbENKUlT_T0_E_clISt17integral_constantIbLb1EES11_EEDaSW_SX_EUlSW_E_NS1_11comp_targetILNS1_3genE5ELNS1_11target_archE942ELNS1_3gpuE9ELNS1_3repE0EEENS1_30default_config_static_selectorELNS0_4arch9wavefront6targetE0EEEvT1_,comdat
.Lfunc_end326:
	.size	_ZN7rocprim17ROCPRIM_400000_NS6detail17trampoline_kernelINS0_14default_configENS1_29reduce_by_key_config_selectorIjjN6thrust23THRUST_200600_302600_NS4plusIjEEEEZZNS1_33reduce_by_key_impl_wrapped_configILNS1_25lookback_scan_determinismE0ES3_S9_NS6_6detail15normal_iteratorINS6_10device_ptrIjEEEESG_SG_SG_PmS8_NS6_8equal_toIjEEEE10hipError_tPvRmT2_T3_mT4_T5_T6_T7_T8_P12ihipStream_tbENKUlT_T0_E_clISt17integral_constantIbLb1EES11_EEDaSW_SX_EUlSW_E_NS1_11comp_targetILNS1_3genE5ELNS1_11target_archE942ELNS1_3gpuE9ELNS1_3repE0EEENS1_30default_config_static_selectorELNS0_4arch9wavefront6targetE0EEEvT1_, .Lfunc_end326-_ZN7rocprim17ROCPRIM_400000_NS6detail17trampoline_kernelINS0_14default_configENS1_29reduce_by_key_config_selectorIjjN6thrust23THRUST_200600_302600_NS4plusIjEEEEZZNS1_33reduce_by_key_impl_wrapped_configILNS1_25lookback_scan_determinismE0ES3_S9_NS6_6detail15normal_iteratorINS6_10device_ptrIjEEEESG_SG_SG_PmS8_NS6_8equal_toIjEEEE10hipError_tPvRmT2_T3_mT4_T5_T6_T7_T8_P12ihipStream_tbENKUlT_T0_E_clISt17integral_constantIbLb1EES11_EEDaSW_SX_EUlSW_E_NS1_11comp_targetILNS1_3genE5ELNS1_11target_archE942ELNS1_3gpuE9ELNS1_3repE0EEENS1_30default_config_static_selectorELNS0_4arch9wavefront6targetE0EEEvT1_
                                        ; -- End function
	.section	.AMDGPU.csdata,"",@progbits
; Kernel info:
; codeLenInByte = 0
; NumSgprs: 0
; NumVgprs: 0
; ScratchSize: 0
; MemoryBound: 0
; FloatMode: 240
; IeeeMode: 1
; LDSByteSize: 0 bytes/workgroup (compile time only)
; SGPRBlocks: 0
; VGPRBlocks: 0
; NumSGPRsForWavesPerEU: 1
; NumVGPRsForWavesPerEU: 1
; Occupancy: 16
; WaveLimiterHint : 0
; COMPUTE_PGM_RSRC2:SCRATCH_EN: 0
; COMPUTE_PGM_RSRC2:USER_SGPR: 15
; COMPUTE_PGM_RSRC2:TRAP_HANDLER: 0
; COMPUTE_PGM_RSRC2:TGID_X_EN: 1
; COMPUTE_PGM_RSRC2:TGID_Y_EN: 0
; COMPUTE_PGM_RSRC2:TGID_Z_EN: 0
; COMPUTE_PGM_RSRC2:TIDIG_COMP_CNT: 0
	.section	.text._ZN7rocprim17ROCPRIM_400000_NS6detail17trampoline_kernelINS0_14default_configENS1_29reduce_by_key_config_selectorIjjN6thrust23THRUST_200600_302600_NS4plusIjEEEEZZNS1_33reduce_by_key_impl_wrapped_configILNS1_25lookback_scan_determinismE0ES3_S9_NS6_6detail15normal_iteratorINS6_10device_ptrIjEEEESG_SG_SG_PmS8_NS6_8equal_toIjEEEE10hipError_tPvRmT2_T3_mT4_T5_T6_T7_T8_P12ihipStream_tbENKUlT_T0_E_clISt17integral_constantIbLb1EES11_EEDaSW_SX_EUlSW_E_NS1_11comp_targetILNS1_3genE4ELNS1_11target_archE910ELNS1_3gpuE8ELNS1_3repE0EEENS1_30default_config_static_selectorELNS0_4arch9wavefront6targetE0EEEvT1_,"axG",@progbits,_ZN7rocprim17ROCPRIM_400000_NS6detail17trampoline_kernelINS0_14default_configENS1_29reduce_by_key_config_selectorIjjN6thrust23THRUST_200600_302600_NS4plusIjEEEEZZNS1_33reduce_by_key_impl_wrapped_configILNS1_25lookback_scan_determinismE0ES3_S9_NS6_6detail15normal_iteratorINS6_10device_ptrIjEEEESG_SG_SG_PmS8_NS6_8equal_toIjEEEE10hipError_tPvRmT2_T3_mT4_T5_T6_T7_T8_P12ihipStream_tbENKUlT_T0_E_clISt17integral_constantIbLb1EES11_EEDaSW_SX_EUlSW_E_NS1_11comp_targetILNS1_3genE4ELNS1_11target_archE910ELNS1_3gpuE8ELNS1_3repE0EEENS1_30default_config_static_selectorELNS0_4arch9wavefront6targetE0EEEvT1_,comdat
	.protected	_ZN7rocprim17ROCPRIM_400000_NS6detail17trampoline_kernelINS0_14default_configENS1_29reduce_by_key_config_selectorIjjN6thrust23THRUST_200600_302600_NS4plusIjEEEEZZNS1_33reduce_by_key_impl_wrapped_configILNS1_25lookback_scan_determinismE0ES3_S9_NS6_6detail15normal_iteratorINS6_10device_ptrIjEEEESG_SG_SG_PmS8_NS6_8equal_toIjEEEE10hipError_tPvRmT2_T3_mT4_T5_T6_T7_T8_P12ihipStream_tbENKUlT_T0_E_clISt17integral_constantIbLb1EES11_EEDaSW_SX_EUlSW_E_NS1_11comp_targetILNS1_3genE4ELNS1_11target_archE910ELNS1_3gpuE8ELNS1_3repE0EEENS1_30default_config_static_selectorELNS0_4arch9wavefront6targetE0EEEvT1_ ; -- Begin function _ZN7rocprim17ROCPRIM_400000_NS6detail17trampoline_kernelINS0_14default_configENS1_29reduce_by_key_config_selectorIjjN6thrust23THRUST_200600_302600_NS4plusIjEEEEZZNS1_33reduce_by_key_impl_wrapped_configILNS1_25lookback_scan_determinismE0ES3_S9_NS6_6detail15normal_iteratorINS6_10device_ptrIjEEEESG_SG_SG_PmS8_NS6_8equal_toIjEEEE10hipError_tPvRmT2_T3_mT4_T5_T6_T7_T8_P12ihipStream_tbENKUlT_T0_E_clISt17integral_constantIbLb1EES11_EEDaSW_SX_EUlSW_E_NS1_11comp_targetILNS1_3genE4ELNS1_11target_archE910ELNS1_3gpuE8ELNS1_3repE0EEENS1_30default_config_static_selectorELNS0_4arch9wavefront6targetE0EEEvT1_
	.globl	_ZN7rocprim17ROCPRIM_400000_NS6detail17trampoline_kernelINS0_14default_configENS1_29reduce_by_key_config_selectorIjjN6thrust23THRUST_200600_302600_NS4plusIjEEEEZZNS1_33reduce_by_key_impl_wrapped_configILNS1_25lookback_scan_determinismE0ES3_S9_NS6_6detail15normal_iteratorINS6_10device_ptrIjEEEESG_SG_SG_PmS8_NS6_8equal_toIjEEEE10hipError_tPvRmT2_T3_mT4_T5_T6_T7_T8_P12ihipStream_tbENKUlT_T0_E_clISt17integral_constantIbLb1EES11_EEDaSW_SX_EUlSW_E_NS1_11comp_targetILNS1_3genE4ELNS1_11target_archE910ELNS1_3gpuE8ELNS1_3repE0EEENS1_30default_config_static_selectorELNS0_4arch9wavefront6targetE0EEEvT1_
	.p2align	8
	.type	_ZN7rocprim17ROCPRIM_400000_NS6detail17trampoline_kernelINS0_14default_configENS1_29reduce_by_key_config_selectorIjjN6thrust23THRUST_200600_302600_NS4plusIjEEEEZZNS1_33reduce_by_key_impl_wrapped_configILNS1_25lookback_scan_determinismE0ES3_S9_NS6_6detail15normal_iteratorINS6_10device_ptrIjEEEESG_SG_SG_PmS8_NS6_8equal_toIjEEEE10hipError_tPvRmT2_T3_mT4_T5_T6_T7_T8_P12ihipStream_tbENKUlT_T0_E_clISt17integral_constantIbLb1EES11_EEDaSW_SX_EUlSW_E_NS1_11comp_targetILNS1_3genE4ELNS1_11target_archE910ELNS1_3gpuE8ELNS1_3repE0EEENS1_30default_config_static_selectorELNS0_4arch9wavefront6targetE0EEEvT1_,@function
_ZN7rocprim17ROCPRIM_400000_NS6detail17trampoline_kernelINS0_14default_configENS1_29reduce_by_key_config_selectorIjjN6thrust23THRUST_200600_302600_NS4plusIjEEEEZZNS1_33reduce_by_key_impl_wrapped_configILNS1_25lookback_scan_determinismE0ES3_S9_NS6_6detail15normal_iteratorINS6_10device_ptrIjEEEESG_SG_SG_PmS8_NS6_8equal_toIjEEEE10hipError_tPvRmT2_T3_mT4_T5_T6_T7_T8_P12ihipStream_tbENKUlT_T0_E_clISt17integral_constantIbLb1EES11_EEDaSW_SX_EUlSW_E_NS1_11comp_targetILNS1_3genE4ELNS1_11target_archE910ELNS1_3gpuE8ELNS1_3repE0EEENS1_30default_config_static_selectorELNS0_4arch9wavefront6targetE0EEEvT1_: ; @_ZN7rocprim17ROCPRIM_400000_NS6detail17trampoline_kernelINS0_14default_configENS1_29reduce_by_key_config_selectorIjjN6thrust23THRUST_200600_302600_NS4plusIjEEEEZZNS1_33reduce_by_key_impl_wrapped_configILNS1_25lookback_scan_determinismE0ES3_S9_NS6_6detail15normal_iteratorINS6_10device_ptrIjEEEESG_SG_SG_PmS8_NS6_8equal_toIjEEEE10hipError_tPvRmT2_T3_mT4_T5_T6_T7_T8_P12ihipStream_tbENKUlT_T0_E_clISt17integral_constantIbLb1EES11_EEDaSW_SX_EUlSW_E_NS1_11comp_targetILNS1_3genE4ELNS1_11target_archE910ELNS1_3gpuE8ELNS1_3repE0EEENS1_30default_config_static_selectorELNS0_4arch9wavefront6targetE0EEEvT1_
; %bb.0:
	.section	.rodata,"a",@progbits
	.p2align	6, 0x0
	.amdhsa_kernel _ZN7rocprim17ROCPRIM_400000_NS6detail17trampoline_kernelINS0_14default_configENS1_29reduce_by_key_config_selectorIjjN6thrust23THRUST_200600_302600_NS4plusIjEEEEZZNS1_33reduce_by_key_impl_wrapped_configILNS1_25lookback_scan_determinismE0ES3_S9_NS6_6detail15normal_iteratorINS6_10device_ptrIjEEEESG_SG_SG_PmS8_NS6_8equal_toIjEEEE10hipError_tPvRmT2_T3_mT4_T5_T6_T7_T8_P12ihipStream_tbENKUlT_T0_E_clISt17integral_constantIbLb1EES11_EEDaSW_SX_EUlSW_E_NS1_11comp_targetILNS1_3genE4ELNS1_11target_archE910ELNS1_3gpuE8ELNS1_3repE0EEENS1_30default_config_static_selectorELNS0_4arch9wavefront6targetE0EEEvT1_
		.amdhsa_group_segment_fixed_size 0
		.amdhsa_private_segment_fixed_size 0
		.amdhsa_kernarg_size 120
		.amdhsa_user_sgpr_count 15
		.amdhsa_user_sgpr_dispatch_ptr 0
		.amdhsa_user_sgpr_queue_ptr 0
		.amdhsa_user_sgpr_kernarg_segment_ptr 1
		.amdhsa_user_sgpr_dispatch_id 0
		.amdhsa_user_sgpr_private_segment_size 0
		.amdhsa_wavefront_size32 1
		.amdhsa_uses_dynamic_stack 0
		.amdhsa_enable_private_segment 0
		.amdhsa_system_sgpr_workgroup_id_x 1
		.amdhsa_system_sgpr_workgroup_id_y 0
		.amdhsa_system_sgpr_workgroup_id_z 0
		.amdhsa_system_sgpr_workgroup_info 0
		.amdhsa_system_vgpr_workitem_id 0
		.amdhsa_next_free_vgpr 1
		.amdhsa_next_free_sgpr 1
		.amdhsa_reserve_vcc 0
		.amdhsa_float_round_mode_32 0
		.amdhsa_float_round_mode_16_64 0
		.amdhsa_float_denorm_mode_32 3
		.amdhsa_float_denorm_mode_16_64 3
		.amdhsa_dx10_clamp 1
		.amdhsa_ieee_mode 1
		.amdhsa_fp16_overflow 0
		.amdhsa_workgroup_processor_mode 1
		.amdhsa_memory_ordered 1
		.amdhsa_forward_progress 0
		.amdhsa_shared_vgpr_count 0
		.amdhsa_exception_fp_ieee_invalid_op 0
		.amdhsa_exception_fp_denorm_src 0
		.amdhsa_exception_fp_ieee_div_zero 0
		.amdhsa_exception_fp_ieee_overflow 0
		.amdhsa_exception_fp_ieee_underflow 0
		.amdhsa_exception_fp_ieee_inexact 0
		.amdhsa_exception_int_div_zero 0
	.end_amdhsa_kernel
	.section	.text._ZN7rocprim17ROCPRIM_400000_NS6detail17trampoline_kernelINS0_14default_configENS1_29reduce_by_key_config_selectorIjjN6thrust23THRUST_200600_302600_NS4plusIjEEEEZZNS1_33reduce_by_key_impl_wrapped_configILNS1_25lookback_scan_determinismE0ES3_S9_NS6_6detail15normal_iteratorINS6_10device_ptrIjEEEESG_SG_SG_PmS8_NS6_8equal_toIjEEEE10hipError_tPvRmT2_T3_mT4_T5_T6_T7_T8_P12ihipStream_tbENKUlT_T0_E_clISt17integral_constantIbLb1EES11_EEDaSW_SX_EUlSW_E_NS1_11comp_targetILNS1_3genE4ELNS1_11target_archE910ELNS1_3gpuE8ELNS1_3repE0EEENS1_30default_config_static_selectorELNS0_4arch9wavefront6targetE0EEEvT1_,"axG",@progbits,_ZN7rocprim17ROCPRIM_400000_NS6detail17trampoline_kernelINS0_14default_configENS1_29reduce_by_key_config_selectorIjjN6thrust23THRUST_200600_302600_NS4plusIjEEEEZZNS1_33reduce_by_key_impl_wrapped_configILNS1_25lookback_scan_determinismE0ES3_S9_NS6_6detail15normal_iteratorINS6_10device_ptrIjEEEESG_SG_SG_PmS8_NS6_8equal_toIjEEEE10hipError_tPvRmT2_T3_mT4_T5_T6_T7_T8_P12ihipStream_tbENKUlT_T0_E_clISt17integral_constantIbLb1EES11_EEDaSW_SX_EUlSW_E_NS1_11comp_targetILNS1_3genE4ELNS1_11target_archE910ELNS1_3gpuE8ELNS1_3repE0EEENS1_30default_config_static_selectorELNS0_4arch9wavefront6targetE0EEEvT1_,comdat
.Lfunc_end327:
	.size	_ZN7rocprim17ROCPRIM_400000_NS6detail17trampoline_kernelINS0_14default_configENS1_29reduce_by_key_config_selectorIjjN6thrust23THRUST_200600_302600_NS4plusIjEEEEZZNS1_33reduce_by_key_impl_wrapped_configILNS1_25lookback_scan_determinismE0ES3_S9_NS6_6detail15normal_iteratorINS6_10device_ptrIjEEEESG_SG_SG_PmS8_NS6_8equal_toIjEEEE10hipError_tPvRmT2_T3_mT4_T5_T6_T7_T8_P12ihipStream_tbENKUlT_T0_E_clISt17integral_constantIbLb1EES11_EEDaSW_SX_EUlSW_E_NS1_11comp_targetILNS1_3genE4ELNS1_11target_archE910ELNS1_3gpuE8ELNS1_3repE0EEENS1_30default_config_static_selectorELNS0_4arch9wavefront6targetE0EEEvT1_, .Lfunc_end327-_ZN7rocprim17ROCPRIM_400000_NS6detail17trampoline_kernelINS0_14default_configENS1_29reduce_by_key_config_selectorIjjN6thrust23THRUST_200600_302600_NS4plusIjEEEEZZNS1_33reduce_by_key_impl_wrapped_configILNS1_25lookback_scan_determinismE0ES3_S9_NS6_6detail15normal_iteratorINS6_10device_ptrIjEEEESG_SG_SG_PmS8_NS6_8equal_toIjEEEE10hipError_tPvRmT2_T3_mT4_T5_T6_T7_T8_P12ihipStream_tbENKUlT_T0_E_clISt17integral_constantIbLb1EES11_EEDaSW_SX_EUlSW_E_NS1_11comp_targetILNS1_3genE4ELNS1_11target_archE910ELNS1_3gpuE8ELNS1_3repE0EEENS1_30default_config_static_selectorELNS0_4arch9wavefront6targetE0EEEvT1_
                                        ; -- End function
	.section	.AMDGPU.csdata,"",@progbits
; Kernel info:
; codeLenInByte = 0
; NumSgprs: 0
; NumVgprs: 0
; ScratchSize: 0
; MemoryBound: 0
; FloatMode: 240
; IeeeMode: 1
; LDSByteSize: 0 bytes/workgroup (compile time only)
; SGPRBlocks: 0
; VGPRBlocks: 0
; NumSGPRsForWavesPerEU: 1
; NumVGPRsForWavesPerEU: 1
; Occupancy: 16
; WaveLimiterHint : 0
; COMPUTE_PGM_RSRC2:SCRATCH_EN: 0
; COMPUTE_PGM_RSRC2:USER_SGPR: 15
; COMPUTE_PGM_RSRC2:TRAP_HANDLER: 0
; COMPUTE_PGM_RSRC2:TGID_X_EN: 1
; COMPUTE_PGM_RSRC2:TGID_Y_EN: 0
; COMPUTE_PGM_RSRC2:TGID_Z_EN: 0
; COMPUTE_PGM_RSRC2:TIDIG_COMP_CNT: 0
	.section	.text._ZN7rocprim17ROCPRIM_400000_NS6detail17trampoline_kernelINS0_14default_configENS1_29reduce_by_key_config_selectorIjjN6thrust23THRUST_200600_302600_NS4plusIjEEEEZZNS1_33reduce_by_key_impl_wrapped_configILNS1_25lookback_scan_determinismE0ES3_S9_NS6_6detail15normal_iteratorINS6_10device_ptrIjEEEESG_SG_SG_PmS8_NS6_8equal_toIjEEEE10hipError_tPvRmT2_T3_mT4_T5_T6_T7_T8_P12ihipStream_tbENKUlT_T0_E_clISt17integral_constantIbLb1EES11_EEDaSW_SX_EUlSW_E_NS1_11comp_targetILNS1_3genE3ELNS1_11target_archE908ELNS1_3gpuE7ELNS1_3repE0EEENS1_30default_config_static_selectorELNS0_4arch9wavefront6targetE0EEEvT1_,"axG",@progbits,_ZN7rocprim17ROCPRIM_400000_NS6detail17trampoline_kernelINS0_14default_configENS1_29reduce_by_key_config_selectorIjjN6thrust23THRUST_200600_302600_NS4plusIjEEEEZZNS1_33reduce_by_key_impl_wrapped_configILNS1_25lookback_scan_determinismE0ES3_S9_NS6_6detail15normal_iteratorINS6_10device_ptrIjEEEESG_SG_SG_PmS8_NS6_8equal_toIjEEEE10hipError_tPvRmT2_T3_mT4_T5_T6_T7_T8_P12ihipStream_tbENKUlT_T0_E_clISt17integral_constantIbLb1EES11_EEDaSW_SX_EUlSW_E_NS1_11comp_targetILNS1_3genE3ELNS1_11target_archE908ELNS1_3gpuE7ELNS1_3repE0EEENS1_30default_config_static_selectorELNS0_4arch9wavefront6targetE0EEEvT1_,comdat
	.protected	_ZN7rocprim17ROCPRIM_400000_NS6detail17trampoline_kernelINS0_14default_configENS1_29reduce_by_key_config_selectorIjjN6thrust23THRUST_200600_302600_NS4plusIjEEEEZZNS1_33reduce_by_key_impl_wrapped_configILNS1_25lookback_scan_determinismE0ES3_S9_NS6_6detail15normal_iteratorINS6_10device_ptrIjEEEESG_SG_SG_PmS8_NS6_8equal_toIjEEEE10hipError_tPvRmT2_T3_mT4_T5_T6_T7_T8_P12ihipStream_tbENKUlT_T0_E_clISt17integral_constantIbLb1EES11_EEDaSW_SX_EUlSW_E_NS1_11comp_targetILNS1_3genE3ELNS1_11target_archE908ELNS1_3gpuE7ELNS1_3repE0EEENS1_30default_config_static_selectorELNS0_4arch9wavefront6targetE0EEEvT1_ ; -- Begin function _ZN7rocprim17ROCPRIM_400000_NS6detail17trampoline_kernelINS0_14default_configENS1_29reduce_by_key_config_selectorIjjN6thrust23THRUST_200600_302600_NS4plusIjEEEEZZNS1_33reduce_by_key_impl_wrapped_configILNS1_25lookback_scan_determinismE0ES3_S9_NS6_6detail15normal_iteratorINS6_10device_ptrIjEEEESG_SG_SG_PmS8_NS6_8equal_toIjEEEE10hipError_tPvRmT2_T3_mT4_T5_T6_T7_T8_P12ihipStream_tbENKUlT_T0_E_clISt17integral_constantIbLb1EES11_EEDaSW_SX_EUlSW_E_NS1_11comp_targetILNS1_3genE3ELNS1_11target_archE908ELNS1_3gpuE7ELNS1_3repE0EEENS1_30default_config_static_selectorELNS0_4arch9wavefront6targetE0EEEvT1_
	.globl	_ZN7rocprim17ROCPRIM_400000_NS6detail17trampoline_kernelINS0_14default_configENS1_29reduce_by_key_config_selectorIjjN6thrust23THRUST_200600_302600_NS4plusIjEEEEZZNS1_33reduce_by_key_impl_wrapped_configILNS1_25lookback_scan_determinismE0ES3_S9_NS6_6detail15normal_iteratorINS6_10device_ptrIjEEEESG_SG_SG_PmS8_NS6_8equal_toIjEEEE10hipError_tPvRmT2_T3_mT4_T5_T6_T7_T8_P12ihipStream_tbENKUlT_T0_E_clISt17integral_constantIbLb1EES11_EEDaSW_SX_EUlSW_E_NS1_11comp_targetILNS1_3genE3ELNS1_11target_archE908ELNS1_3gpuE7ELNS1_3repE0EEENS1_30default_config_static_selectorELNS0_4arch9wavefront6targetE0EEEvT1_
	.p2align	8
	.type	_ZN7rocprim17ROCPRIM_400000_NS6detail17trampoline_kernelINS0_14default_configENS1_29reduce_by_key_config_selectorIjjN6thrust23THRUST_200600_302600_NS4plusIjEEEEZZNS1_33reduce_by_key_impl_wrapped_configILNS1_25lookback_scan_determinismE0ES3_S9_NS6_6detail15normal_iteratorINS6_10device_ptrIjEEEESG_SG_SG_PmS8_NS6_8equal_toIjEEEE10hipError_tPvRmT2_T3_mT4_T5_T6_T7_T8_P12ihipStream_tbENKUlT_T0_E_clISt17integral_constantIbLb1EES11_EEDaSW_SX_EUlSW_E_NS1_11comp_targetILNS1_3genE3ELNS1_11target_archE908ELNS1_3gpuE7ELNS1_3repE0EEENS1_30default_config_static_selectorELNS0_4arch9wavefront6targetE0EEEvT1_,@function
_ZN7rocprim17ROCPRIM_400000_NS6detail17trampoline_kernelINS0_14default_configENS1_29reduce_by_key_config_selectorIjjN6thrust23THRUST_200600_302600_NS4plusIjEEEEZZNS1_33reduce_by_key_impl_wrapped_configILNS1_25lookback_scan_determinismE0ES3_S9_NS6_6detail15normal_iteratorINS6_10device_ptrIjEEEESG_SG_SG_PmS8_NS6_8equal_toIjEEEE10hipError_tPvRmT2_T3_mT4_T5_T6_T7_T8_P12ihipStream_tbENKUlT_T0_E_clISt17integral_constantIbLb1EES11_EEDaSW_SX_EUlSW_E_NS1_11comp_targetILNS1_3genE3ELNS1_11target_archE908ELNS1_3gpuE7ELNS1_3repE0EEENS1_30default_config_static_selectorELNS0_4arch9wavefront6targetE0EEEvT1_: ; @_ZN7rocprim17ROCPRIM_400000_NS6detail17trampoline_kernelINS0_14default_configENS1_29reduce_by_key_config_selectorIjjN6thrust23THRUST_200600_302600_NS4plusIjEEEEZZNS1_33reduce_by_key_impl_wrapped_configILNS1_25lookback_scan_determinismE0ES3_S9_NS6_6detail15normal_iteratorINS6_10device_ptrIjEEEESG_SG_SG_PmS8_NS6_8equal_toIjEEEE10hipError_tPvRmT2_T3_mT4_T5_T6_T7_T8_P12ihipStream_tbENKUlT_T0_E_clISt17integral_constantIbLb1EES11_EEDaSW_SX_EUlSW_E_NS1_11comp_targetILNS1_3genE3ELNS1_11target_archE908ELNS1_3gpuE7ELNS1_3repE0EEENS1_30default_config_static_selectorELNS0_4arch9wavefront6targetE0EEEvT1_
; %bb.0:
	.section	.rodata,"a",@progbits
	.p2align	6, 0x0
	.amdhsa_kernel _ZN7rocprim17ROCPRIM_400000_NS6detail17trampoline_kernelINS0_14default_configENS1_29reduce_by_key_config_selectorIjjN6thrust23THRUST_200600_302600_NS4plusIjEEEEZZNS1_33reduce_by_key_impl_wrapped_configILNS1_25lookback_scan_determinismE0ES3_S9_NS6_6detail15normal_iteratorINS6_10device_ptrIjEEEESG_SG_SG_PmS8_NS6_8equal_toIjEEEE10hipError_tPvRmT2_T3_mT4_T5_T6_T7_T8_P12ihipStream_tbENKUlT_T0_E_clISt17integral_constantIbLb1EES11_EEDaSW_SX_EUlSW_E_NS1_11comp_targetILNS1_3genE3ELNS1_11target_archE908ELNS1_3gpuE7ELNS1_3repE0EEENS1_30default_config_static_selectorELNS0_4arch9wavefront6targetE0EEEvT1_
		.amdhsa_group_segment_fixed_size 0
		.amdhsa_private_segment_fixed_size 0
		.amdhsa_kernarg_size 120
		.amdhsa_user_sgpr_count 15
		.amdhsa_user_sgpr_dispatch_ptr 0
		.amdhsa_user_sgpr_queue_ptr 0
		.amdhsa_user_sgpr_kernarg_segment_ptr 1
		.amdhsa_user_sgpr_dispatch_id 0
		.amdhsa_user_sgpr_private_segment_size 0
		.amdhsa_wavefront_size32 1
		.amdhsa_uses_dynamic_stack 0
		.amdhsa_enable_private_segment 0
		.amdhsa_system_sgpr_workgroup_id_x 1
		.amdhsa_system_sgpr_workgroup_id_y 0
		.amdhsa_system_sgpr_workgroup_id_z 0
		.amdhsa_system_sgpr_workgroup_info 0
		.amdhsa_system_vgpr_workitem_id 0
		.amdhsa_next_free_vgpr 1
		.amdhsa_next_free_sgpr 1
		.amdhsa_reserve_vcc 0
		.amdhsa_float_round_mode_32 0
		.amdhsa_float_round_mode_16_64 0
		.amdhsa_float_denorm_mode_32 3
		.amdhsa_float_denorm_mode_16_64 3
		.amdhsa_dx10_clamp 1
		.amdhsa_ieee_mode 1
		.amdhsa_fp16_overflow 0
		.amdhsa_workgroup_processor_mode 1
		.amdhsa_memory_ordered 1
		.amdhsa_forward_progress 0
		.amdhsa_shared_vgpr_count 0
		.amdhsa_exception_fp_ieee_invalid_op 0
		.amdhsa_exception_fp_denorm_src 0
		.amdhsa_exception_fp_ieee_div_zero 0
		.amdhsa_exception_fp_ieee_overflow 0
		.amdhsa_exception_fp_ieee_underflow 0
		.amdhsa_exception_fp_ieee_inexact 0
		.amdhsa_exception_int_div_zero 0
	.end_amdhsa_kernel
	.section	.text._ZN7rocprim17ROCPRIM_400000_NS6detail17trampoline_kernelINS0_14default_configENS1_29reduce_by_key_config_selectorIjjN6thrust23THRUST_200600_302600_NS4plusIjEEEEZZNS1_33reduce_by_key_impl_wrapped_configILNS1_25lookback_scan_determinismE0ES3_S9_NS6_6detail15normal_iteratorINS6_10device_ptrIjEEEESG_SG_SG_PmS8_NS6_8equal_toIjEEEE10hipError_tPvRmT2_T3_mT4_T5_T6_T7_T8_P12ihipStream_tbENKUlT_T0_E_clISt17integral_constantIbLb1EES11_EEDaSW_SX_EUlSW_E_NS1_11comp_targetILNS1_3genE3ELNS1_11target_archE908ELNS1_3gpuE7ELNS1_3repE0EEENS1_30default_config_static_selectorELNS0_4arch9wavefront6targetE0EEEvT1_,"axG",@progbits,_ZN7rocprim17ROCPRIM_400000_NS6detail17trampoline_kernelINS0_14default_configENS1_29reduce_by_key_config_selectorIjjN6thrust23THRUST_200600_302600_NS4plusIjEEEEZZNS1_33reduce_by_key_impl_wrapped_configILNS1_25lookback_scan_determinismE0ES3_S9_NS6_6detail15normal_iteratorINS6_10device_ptrIjEEEESG_SG_SG_PmS8_NS6_8equal_toIjEEEE10hipError_tPvRmT2_T3_mT4_T5_T6_T7_T8_P12ihipStream_tbENKUlT_T0_E_clISt17integral_constantIbLb1EES11_EEDaSW_SX_EUlSW_E_NS1_11comp_targetILNS1_3genE3ELNS1_11target_archE908ELNS1_3gpuE7ELNS1_3repE0EEENS1_30default_config_static_selectorELNS0_4arch9wavefront6targetE0EEEvT1_,comdat
.Lfunc_end328:
	.size	_ZN7rocprim17ROCPRIM_400000_NS6detail17trampoline_kernelINS0_14default_configENS1_29reduce_by_key_config_selectorIjjN6thrust23THRUST_200600_302600_NS4plusIjEEEEZZNS1_33reduce_by_key_impl_wrapped_configILNS1_25lookback_scan_determinismE0ES3_S9_NS6_6detail15normal_iteratorINS6_10device_ptrIjEEEESG_SG_SG_PmS8_NS6_8equal_toIjEEEE10hipError_tPvRmT2_T3_mT4_T5_T6_T7_T8_P12ihipStream_tbENKUlT_T0_E_clISt17integral_constantIbLb1EES11_EEDaSW_SX_EUlSW_E_NS1_11comp_targetILNS1_3genE3ELNS1_11target_archE908ELNS1_3gpuE7ELNS1_3repE0EEENS1_30default_config_static_selectorELNS0_4arch9wavefront6targetE0EEEvT1_, .Lfunc_end328-_ZN7rocprim17ROCPRIM_400000_NS6detail17trampoline_kernelINS0_14default_configENS1_29reduce_by_key_config_selectorIjjN6thrust23THRUST_200600_302600_NS4plusIjEEEEZZNS1_33reduce_by_key_impl_wrapped_configILNS1_25lookback_scan_determinismE0ES3_S9_NS6_6detail15normal_iteratorINS6_10device_ptrIjEEEESG_SG_SG_PmS8_NS6_8equal_toIjEEEE10hipError_tPvRmT2_T3_mT4_T5_T6_T7_T8_P12ihipStream_tbENKUlT_T0_E_clISt17integral_constantIbLb1EES11_EEDaSW_SX_EUlSW_E_NS1_11comp_targetILNS1_3genE3ELNS1_11target_archE908ELNS1_3gpuE7ELNS1_3repE0EEENS1_30default_config_static_selectorELNS0_4arch9wavefront6targetE0EEEvT1_
                                        ; -- End function
	.section	.AMDGPU.csdata,"",@progbits
; Kernel info:
; codeLenInByte = 0
; NumSgprs: 0
; NumVgprs: 0
; ScratchSize: 0
; MemoryBound: 0
; FloatMode: 240
; IeeeMode: 1
; LDSByteSize: 0 bytes/workgroup (compile time only)
; SGPRBlocks: 0
; VGPRBlocks: 0
; NumSGPRsForWavesPerEU: 1
; NumVGPRsForWavesPerEU: 1
; Occupancy: 16
; WaveLimiterHint : 0
; COMPUTE_PGM_RSRC2:SCRATCH_EN: 0
; COMPUTE_PGM_RSRC2:USER_SGPR: 15
; COMPUTE_PGM_RSRC2:TRAP_HANDLER: 0
; COMPUTE_PGM_RSRC2:TGID_X_EN: 1
; COMPUTE_PGM_RSRC2:TGID_Y_EN: 0
; COMPUTE_PGM_RSRC2:TGID_Z_EN: 0
; COMPUTE_PGM_RSRC2:TIDIG_COMP_CNT: 0
	.section	.text._ZN7rocprim17ROCPRIM_400000_NS6detail17trampoline_kernelINS0_14default_configENS1_29reduce_by_key_config_selectorIjjN6thrust23THRUST_200600_302600_NS4plusIjEEEEZZNS1_33reduce_by_key_impl_wrapped_configILNS1_25lookback_scan_determinismE0ES3_S9_NS6_6detail15normal_iteratorINS6_10device_ptrIjEEEESG_SG_SG_PmS8_NS6_8equal_toIjEEEE10hipError_tPvRmT2_T3_mT4_T5_T6_T7_T8_P12ihipStream_tbENKUlT_T0_E_clISt17integral_constantIbLb1EES11_EEDaSW_SX_EUlSW_E_NS1_11comp_targetILNS1_3genE2ELNS1_11target_archE906ELNS1_3gpuE6ELNS1_3repE0EEENS1_30default_config_static_selectorELNS0_4arch9wavefront6targetE0EEEvT1_,"axG",@progbits,_ZN7rocprim17ROCPRIM_400000_NS6detail17trampoline_kernelINS0_14default_configENS1_29reduce_by_key_config_selectorIjjN6thrust23THRUST_200600_302600_NS4plusIjEEEEZZNS1_33reduce_by_key_impl_wrapped_configILNS1_25lookback_scan_determinismE0ES3_S9_NS6_6detail15normal_iteratorINS6_10device_ptrIjEEEESG_SG_SG_PmS8_NS6_8equal_toIjEEEE10hipError_tPvRmT2_T3_mT4_T5_T6_T7_T8_P12ihipStream_tbENKUlT_T0_E_clISt17integral_constantIbLb1EES11_EEDaSW_SX_EUlSW_E_NS1_11comp_targetILNS1_3genE2ELNS1_11target_archE906ELNS1_3gpuE6ELNS1_3repE0EEENS1_30default_config_static_selectorELNS0_4arch9wavefront6targetE0EEEvT1_,comdat
	.protected	_ZN7rocprim17ROCPRIM_400000_NS6detail17trampoline_kernelINS0_14default_configENS1_29reduce_by_key_config_selectorIjjN6thrust23THRUST_200600_302600_NS4plusIjEEEEZZNS1_33reduce_by_key_impl_wrapped_configILNS1_25lookback_scan_determinismE0ES3_S9_NS6_6detail15normal_iteratorINS6_10device_ptrIjEEEESG_SG_SG_PmS8_NS6_8equal_toIjEEEE10hipError_tPvRmT2_T3_mT4_T5_T6_T7_T8_P12ihipStream_tbENKUlT_T0_E_clISt17integral_constantIbLb1EES11_EEDaSW_SX_EUlSW_E_NS1_11comp_targetILNS1_3genE2ELNS1_11target_archE906ELNS1_3gpuE6ELNS1_3repE0EEENS1_30default_config_static_selectorELNS0_4arch9wavefront6targetE0EEEvT1_ ; -- Begin function _ZN7rocprim17ROCPRIM_400000_NS6detail17trampoline_kernelINS0_14default_configENS1_29reduce_by_key_config_selectorIjjN6thrust23THRUST_200600_302600_NS4plusIjEEEEZZNS1_33reduce_by_key_impl_wrapped_configILNS1_25lookback_scan_determinismE0ES3_S9_NS6_6detail15normal_iteratorINS6_10device_ptrIjEEEESG_SG_SG_PmS8_NS6_8equal_toIjEEEE10hipError_tPvRmT2_T3_mT4_T5_T6_T7_T8_P12ihipStream_tbENKUlT_T0_E_clISt17integral_constantIbLb1EES11_EEDaSW_SX_EUlSW_E_NS1_11comp_targetILNS1_3genE2ELNS1_11target_archE906ELNS1_3gpuE6ELNS1_3repE0EEENS1_30default_config_static_selectorELNS0_4arch9wavefront6targetE0EEEvT1_
	.globl	_ZN7rocprim17ROCPRIM_400000_NS6detail17trampoline_kernelINS0_14default_configENS1_29reduce_by_key_config_selectorIjjN6thrust23THRUST_200600_302600_NS4plusIjEEEEZZNS1_33reduce_by_key_impl_wrapped_configILNS1_25lookback_scan_determinismE0ES3_S9_NS6_6detail15normal_iteratorINS6_10device_ptrIjEEEESG_SG_SG_PmS8_NS6_8equal_toIjEEEE10hipError_tPvRmT2_T3_mT4_T5_T6_T7_T8_P12ihipStream_tbENKUlT_T0_E_clISt17integral_constantIbLb1EES11_EEDaSW_SX_EUlSW_E_NS1_11comp_targetILNS1_3genE2ELNS1_11target_archE906ELNS1_3gpuE6ELNS1_3repE0EEENS1_30default_config_static_selectorELNS0_4arch9wavefront6targetE0EEEvT1_
	.p2align	8
	.type	_ZN7rocprim17ROCPRIM_400000_NS6detail17trampoline_kernelINS0_14default_configENS1_29reduce_by_key_config_selectorIjjN6thrust23THRUST_200600_302600_NS4plusIjEEEEZZNS1_33reduce_by_key_impl_wrapped_configILNS1_25lookback_scan_determinismE0ES3_S9_NS6_6detail15normal_iteratorINS6_10device_ptrIjEEEESG_SG_SG_PmS8_NS6_8equal_toIjEEEE10hipError_tPvRmT2_T3_mT4_T5_T6_T7_T8_P12ihipStream_tbENKUlT_T0_E_clISt17integral_constantIbLb1EES11_EEDaSW_SX_EUlSW_E_NS1_11comp_targetILNS1_3genE2ELNS1_11target_archE906ELNS1_3gpuE6ELNS1_3repE0EEENS1_30default_config_static_selectorELNS0_4arch9wavefront6targetE0EEEvT1_,@function
_ZN7rocprim17ROCPRIM_400000_NS6detail17trampoline_kernelINS0_14default_configENS1_29reduce_by_key_config_selectorIjjN6thrust23THRUST_200600_302600_NS4plusIjEEEEZZNS1_33reduce_by_key_impl_wrapped_configILNS1_25lookback_scan_determinismE0ES3_S9_NS6_6detail15normal_iteratorINS6_10device_ptrIjEEEESG_SG_SG_PmS8_NS6_8equal_toIjEEEE10hipError_tPvRmT2_T3_mT4_T5_T6_T7_T8_P12ihipStream_tbENKUlT_T0_E_clISt17integral_constantIbLb1EES11_EEDaSW_SX_EUlSW_E_NS1_11comp_targetILNS1_3genE2ELNS1_11target_archE906ELNS1_3gpuE6ELNS1_3repE0EEENS1_30default_config_static_selectorELNS0_4arch9wavefront6targetE0EEEvT1_: ; @_ZN7rocprim17ROCPRIM_400000_NS6detail17trampoline_kernelINS0_14default_configENS1_29reduce_by_key_config_selectorIjjN6thrust23THRUST_200600_302600_NS4plusIjEEEEZZNS1_33reduce_by_key_impl_wrapped_configILNS1_25lookback_scan_determinismE0ES3_S9_NS6_6detail15normal_iteratorINS6_10device_ptrIjEEEESG_SG_SG_PmS8_NS6_8equal_toIjEEEE10hipError_tPvRmT2_T3_mT4_T5_T6_T7_T8_P12ihipStream_tbENKUlT_T0_E_clISt17integral_constantIbLb1EES11_EEDaSW_SX_EUlSW_E_NS1_11comp_targetILNS1_3genE2ELNS1_11target_archE906ELNS1_3gpuE6ELNS1_3repE0EEENS1_30default_config_static_selectorELNS0_4arch9wavefront6targetE0EEEvT1_
; %bb.0:
	.section	.rodata,"a",@progbits
	.p2align	6, 0x0
	.amdhsa_kernel _ZN7rocprim17ROCPRIM_400000_NS6detail17trampoline_kernelINS0_14default_configENS1_29reduce_by_key_config_selectorIjjN6thrust23THRUST_200600_302600_NS4plusIjEEEEZZNS1_33reduce_by_key_impl_wrapped_configILNS1_25lookback_scan_determinismE0ES3_S9_NS6_6detail15normal_iteratorINS6_10device_ptrIjEEEESG_SG_SG_PmS8_NS6_8equal_toIjEEEE10hipError_tPvRmT2_T3_mT4_T5_T6_T7_T8_P12ihipStream_tbENKUlT_T0_E_clISt17integral_constantIbLb1EES11_EEDaSW_SX_EUlSW_E_NS1_11comp_targetILNS1_3genE2ELNS1_11target_archE906ELNS1_3gpuE6ELNS1_3repE0EEENS1_30default_config_static_selectorELNS0_4arch9wavefront6targetE0EEEvT1_
		.amdhsa_group_segment_fixed_size 0
		.amdhsa_private_segment_fixed_size 0
		.amdhsa_kernarg_size 120
		.amdhsa_user_sgpr_count 15
		.amdhsa_user_sgpr_dispatch_ptr 0
		.amdhsa_user_sgpr_queue_ptr 0
		.amdhsa_user_sgpr_kernarg_segment_ptr 1
		.amdhsa_user_sgpr_dispatch_id 0
		.amdhsa_user_sgpr_private_segment_size 0
		.amdhsa_wavefront_size32 1
		.amdhsa_uses_dynamic_stack 0
		.amdhsa_enable_private_segment 0
		.amdhsa_system_sgpr_workgroup_id_x 1
		.amdhsa_system_sgpr_workgroup_id_y 0
		.amdhsa_system_sgpr_workgroup_id_z 0
		.amdhsa_system_sgpr_workgroup_info 0
		.amdhsa_system_vgpr_workitem_id 0
		.amdhsa_next_free_vgpr 1
		.amdhsa_next_free_sgpr 1
		.amdhsa_reserve_vcc 0
		.amdhsa_float_round_mode_32 0
		.amdhsa_float_round_mode_16_64 0
		.amdhsa_float_denorm_mode_32 3
		.amdhsa_float_denorm_mode_16_64 3
		.amdhsa_dx10_clamp 1
		.amdhsa_ieee_mode 1
		.amdhsa_fp16_overflow 0
		.amdhsa_workgroup_processor_mode 1
		.amdhsa_memory_ordered 1
		.amdhsa_forward_progress 0
		.amdhsa_shared_vgpr_count 0
		.amdhsa_exception_fp_ieee_invalid_op 0
		.amdhsa_exception_fp_denorm_src 0
		.amdhsa_exception_fp_ieee_div_zero 0
		.amdhsa_exception_fp_ieee_overflow 0
		.amdhsa_exception_fp_ieee_underflow 0
		.amdhsa_exception_fp_ieee_inexact 0
		.amdhsa_exception_int_div_zero 0
	.end_amdhsa_kernel
	.section	.text._ZN7rocprim17ROCPRIM_400000_NS6detail17trampoline_kernelINS0_14default_configENS1_29reduce_by_key_config_selectorIjjN6thrust23THRUST_200600_302600_NS4plusIjEEEEZZNS1_33reduce_by_key_impl_wrapped_configILNS1_25lookback_scan_determinismE0ES3_S9_NS6_6detail15normal_iteratorINS6_10device_ptrIjEEEESG_SG_SG_PmS8_NS6_8equal_toIjEEEE10hipError_tPvRmT2_T3_mT4_T5_T6_T7_T8_P12ihipStream_tbENKUlT_T0_E_clISt17integral_constantIbLb1EES11_EEDaSW_SX_EUlSW_E_NS1_11comp_targetILNS1_3genE2ELNS1_11target_archE906ELNS1_3gpuE6ELNS1_3repE0EEENS1_30default_config_static_selectorELNS0_4arch9wavefront6targetE0EEEvT1_,"axG",@progbits,_ZN7rocprim17ROCPRIM_400000_NS6detail17trampoline_kernelINS0_14default_configENS1_29reduce_by_key_config_selectorIjjN6thrust23THRUST_200600_302600_NS4plusIjEEEEZZNS1_33reduce_by_key_impl_wrapped_configILNS1_25lookback_scan_determinismE0ES3_S9_NS6_6detail15normal_iteratorINS6_10device_ptrIjEEEESG_SG_SG_PmS8_NS6_8equal_toIjEEEE10hipError_tPvRmT2_T3_mT4_T5_T6_T7_T8_P12ihipStream_tbENKUlT_T0_E_clISt17integral_constantIbLb1EES11_EEDaSW_SX_EUlSW_E_NS1_11comp_targetILNS1_3genE2ELNS1_11target_archE906ELNS1_3gpuE6ELNS1_3repE0EEENS1_30default_config_static_selectorELNS0_4arch9wavefront6targetE0EEEvT1_,comdat
.Lfunc_end329:
	.size	_ZN7rocprim17ROCPRIM_400000_NS6detail17trampoline_kernelINS0_14default_configENS1_29reduce_by_key_config_selectorIjjN6thrust23THRUST_200600_302600_NS4plusIjEEEEZZNS1_33reduce_by_key_impl_wrapped_configILNS1_25lookback_scan_determinismE0ES3_S9_NS6_6detail15normal_iteratorINS6_10device_ptrIjEEEESG_SG_SG_PmS8_NS6_8equal_toIjEEEE10hipError_tPvRmT2_T3_mT4_T5_T6_T7_T8_P12ihipStream_tbENKUlT_T0_E_clISt17integral_constantIbLb1EES11_EEDaSW_SX_EUlSW_E_NS1_11comp_targetILNS1_3genE2ELNS1_11target_archE906ELNS1_3gpuE6ELNS1_3repE0EEENS1_30default_config_static_selectorELNS0_4arch9wavefront6targetE0EEEvT1_, .Lfunc_end329-_ZN7rocprim17ROCPRIM_400000_NS6detail17trampoline_kernelINS0_14default_configENS1_29reduce_by_key_config_selectorIjjN6thrust23THRUST_200600_302600_NS4plusIjEEEEZZNS1_33reduce_by_key_impl_wrapped_configILNS1_25lookback_scan_determinismE0ES3_S9_NS6_6detail15normal_iteratorINS6_10device_ptrIjEEEESG_SG_SG_PmS8_NS6_8equal_toIjEEEE10hipError_tPvRmT2_T3_mT4_T5_T6_T7_T8_P12ihipStream_tbENKUlT_T0_E_clISt17integral_constantIbLb1EES11_EEDaSW_SX_EUlSW_E_NS1_11comp_targetILNS1_3genE2ELNS1_11target_archE906ELNS1_3gpuE6ELNS1_3repE0EEENS1_30default_config_static_selectorELNS0_4arch9wavefront6targetE0EEEvT1_
                                        ; -- End function
	.section	.AMDGPU.csdata,"",@progbits
; Kernel info:
; codeLenInByte = 0
; NumSgprs: 0
; NumVgprs: 0
; ScratchSize: 0
; MemoryBound: 0
; FloatMode: 240
; IeeeMode: 1
; LDSByteSize: 0 bytes/workgroup (compile time only)
; SGPRBlocks: 0
; VGPRBlocks: 0
; NumSGPRsForWavesPerEU: 1
; NumVGPRsForWavesPerEU: 1
; Occupancy: 16
; WaveLimiterHint : 0
; COMPUTE_PGM_RSRC2:SCRATCH_EN: 0
; COMPUTE_PGM_RSRC2:USER_SGPR: 15
; COMPUTE_PGM_RSRC2:TRAP_HANDLER: 0
; COMPUTE_PGM_RSRC2:TGID_X_EN: 1
; COMPUTE_PGM_RSRC2:TGID_Y_EN: 0
; COMPUTE_PGM_RSRC2:TGID_Z_EN: 0
; COMPUTE_PGM_RSRC2:TIDIG_COMP_CNT: 0
	.section	.text._ZN7rocprim17ROCPRIM_400000_NS6detail17trampoline_kernelINS0_14default_configENS1_29reduce_by_key_config_selectorIjjN6thrust23THRUST_200600_302600_NS4plusIjEEEEZZNS1_33reduce_by_key_impl_wrapped_configILNS1_25lookback_scan_determinismE0ES3_S9_NS6_6detail15normal_iteratorINS6_10device_ptrIjEEEESG_SG_SG_PmS8_NS6_8equal_toIjEEEE10hipError_tPvRmT2_T3_mT4_T5_T6_T7_T8_P12ihipStream_tbENKUlT_T0_E_clISt17integral_constantIbLb1EES11_EEDaSW_SX_EUlSW_E_NS1_11comp_targetILNS1_3genE10ELNS1_11target_archE1201ELNS1_3gpuE5ELNS1_3repE0EEENS1_30default_config_static_selectorELNS0_4arch9wavefront6targetE0EEEvT1_,"axG",@progbits,_ZN7rocprim17ROCPRIM_400000_NS6detail17trampoline_kernelINS0_14default_configENS1_29reduce_by_key_config_selectorIjjN6thrust23THRUST_200600_302600_NS4plusIjEEEEZZNS1_33reduce_by_key_impl_wrapped_configILNS1_25lookback_scan_determinismE0ES3_S9_NS6_6detail15normal_iteratorINS6_10device_ptrIjEEEESG_SG_SG_PmS8_NS6_8equal_toIjEEEE10hipError_tPvRmT2_T3_mT4_T5_T6_T7_T8_P12ihipStream_tbENKUlT_T0_E_clISt17integral_constantIbLb1EES11_EEDaSW_SX_EUlSW_E_NS1_11comp_targetILNS1_3genE10ELNS1_11target_archE1201ELNS1_3gpuE5ELNS1_3repE0EEENS1_30default_config_static_selectorELNS0_4arch9wavefront6targetE0EEEvT1_,comdat
	.protected	_ZN7rocprim17ROCPRIM_400000_NS6detail17trampoline_kernelINS0_14default_configENS1_29reduce_by_key_config_selectorIjjN6thrust23THRUST_200600_302600_NS4plusIjEEEEZZNS1_33reduce_by_key_impl_wrapped_configILNS1_25lookback_scan_determinismE0ES3_S9_NS6_6detail15normal_iteratorINS6_10device_ptrIjEEEESG_SG_SG_PmS8_NS6_8equal_toIjEEEE10hipError_tPvRmT2_T3_mT4_T5_T6_T7_T8_P12ihipStream_tbENKUlT_T0_E_clISt17integral_constantIbLb1EES11_EEDaSW_SX_EUlSW_E_NS1_11comp_targetILNS1_3genE10ELNS1_11target_archE1201ELNS1_3gpuE5ELNS1_3repE0EEENS1_30default_config_static_selectorELNS0_4arch9wavefront6targetE0EEEvT1_ ; -- Begin function _ZN7rocprim17ROCPRIM_400000_NS6detail17trampoline_kernelINS0_14default_configENS1_29reduce_by_key_config_selectorIjjN6thrust23THRUST_200600_302600_NS4plusIjEEEEZZNS1_33reduce_by_key_impl_wrapped_configILNS1_25lookback_scan_determinismE0ES3_S9_NS6_6detail15normal_iteratorINS6_10device_ptrIjEEEESG_SG_SG_PmS8_NS6_8equal_toIjEEEE10hipError_tPvRmT2_T3_mT4_T5_T6_T7_T8_P12ihipStream_tbENKUlT_T0_E_clISt17integral_constantIbLb1EES11_EEDaSW_SX_EUlSW_E_NS1_11comp_targetILNS1_3genE10ELNS1_11target_archE1201ELNS1_3gpuE5ELNS1_3repE0EEENS1_30default_config_static_selectorELNS0_4arch9wavefront6targetE0EEEvT1_
	.globl	_ZN7rocprim17ROCPRIM_400000_NS6detail17trampoline_kernelINS0_14default_configENS1_29reduce_by_key_config_selectorIjjN6thrust23THRUST_200600_302600_NS4plusIjEEEEZZNS1_33reduce_by_key_impl_wrapped_configILNS1_25lookback_scan_determinismE0ES3_S9_NS6_6detail15normal_iteratorINS6_10device_ptrIjEEEESG_SG_SG_PmS8_NS6_8equal_toIjEEEE10hipError_tPvRmT2_T3_mT4_T5_T6_T7_T8_P12ihipStream_tbENKUlT_T0_E_clISt17integral_constantIbLb1EES11_EEDaSW_SX_EUlSW_E_NS1_11comp_targetILNS1_3genE10ELNS1_11target_archE1201ELNS1_3gpuE5ELNS1_3repE0EEENS1_30default_config_static_selectorELNS0_4arch9wavefront6targetE0EEEvT1_
	.p2align	8
	.type	_ZN7rocprim17ROCPRIM_400000_NS6detail17trampoline_kernelINS0_14default_configENS1_29reduce_by_key_config_selectorIjjN6thrust23THRUST_200600_302600_NS4plusIjEEEEZZNS1_33reduce_by_key_impl_wrapped_configILNS1_25lookback_scan_determinismE0ES3_S9_NS6_6detail15normal_iteratorINS6_10device_ptrIjEEEESG_SG_SG_PmS8_NS6_8equal_toIjEEEE10hipError_tPvRmT2_T3_mT4_T5_T6_T7_T8_P12ihipStream_tbENKUlT_T0_E_clISt17integral_constantIbLb1EES11_EEDaSW_SX_EUlSW_E_NS1_11comp_targetILNS1_3genE10ELNS1_11target_archE1201ELNS1_3gpuE5ELNS1_3repE0EEENS1_30default_config_static_selectorELNS0_4arch9wavefront6targetE0EEEvT1_,@function
_ZN7rocprim17ROCPRIM_400000_NS6detail17trampoline_kernelINS0_14default_configENS1_29reduce_by_key_config_selectorIjjN6thrust23THRUST_200600_302600_NS4plusIjEEEEZZNS1_33reduce_by_key_impl_wrapped_configILNS1_25lookback_scan_determinismE0ES3_S9_NS6_6detail15normal_iteratorINS6_10device_ptrIjEEEESG_SG_SG_PmS8_NS6_8equal_toIjEEEE10hipError_tPvRmT2_T3_mT4_T5_T6_T7_T8_P12ihipStream_tbENKUlT_T0_E_clISt17integral_constantIbLb1EES11_EEDaSW_SX_EUlSW_E_NS1_11comp_targetILNS1_3genE10ELNS1_11target_archE1201ELNS1_3gpuE5ELNS1_3repE0EEENS1_30default_config_static_selectorELNS0_4arch9wavefront6targetE0EEEvT1_: ; @_ZN7rocprim17ROCPRIM_400000_NS6detail17trampoline_kernelINS0_14default_configENS1_29reduce_by_key_config_selectorIjjN6thrust23THRUST_200600_302600_NS4plusIjEEEEZZNS1_33reduce_by_key_impl_wrapped_configILNS1_25lookback_scan_determinismE0ES3_S9_NS6_6detail15normal_iteratorINS6_10device_ptrIjEEEESG_SG_SG_PmS8_NS6_8equal_toIjEEEE10hipError_tPvRmT2_T3_mT4_T5_T6_T7_T8_P12ihipStream_tbENKUlT_T0_E_clISt17integral_constantIbLb1EES11_EEDaSW_SX_EUlSW_E_NS1_11comp_targetILNS1_3genE10ELNS1_11target_archE1201ELNS1_3gpuE5ELNS1_3repE0EEENS1_30default_config_static_selectorELNS0_4arch9wavefront6targetE0EEEvT1_
; %bb.0:
	.section	.rodata,"a",@progbits
	.p2align	6, 0x0
	.amdhsa_kernel _ZN7rocprim17ROCPRIM_400000_NS6detail17trampoline_kernelINS0_14default_configENS1_29reduce_by_key_config_selectorIjjN6thrust23THRUST_200600_302600_NS4plusIjEEEEZZNS1_33reduce_by_key_impl_wrapped_configILNS1_25lookback_scan_determinismE0ES3_S9_NS6_6detail15normal_iteratorINS6_10device_ptrIjEEEESG_SG_SG_PmS8_NS6_8equal_toIjEEEE10hipError_tPvRmT2_T3_mT4_T5_T6_T7_T8_P12ihipStream_tbENKUlT_T0_E_clISt17integral_constantIbLb1EES11_EEDaSW_SX_EUlSW_E_NS1_11comp_targetILNS1_3genE10ELNS1_11target_archE1201ELNS1_3gpuE5ELNS1_3repE0EEENS1_30default_config_static_selectorELNS0_4arch9wavefront6targetE0EEEvT1_
		.amdhsa_group_segment_fixed_size 0
		.amdhsa_private_segment_fixed_size 0
		.amdhsa_kernarg_size 120
		.amdhsa_user_sgpr_count 15
		.amdhsa_user_sgpr_dispatch_ptr 0
		.amdhsa_user_sgpr_queue_ptr 0
		.amdhsa_user_sgpr_kernarg_segment_ptr 1
		.amdhsa_user_sgpr_dispatch_id 0
		.amdhsa_user_sgpr_private_segment_size 0
		.amdhsa_wavefront_size32 1
		.amdhsa_uses_dynamic_stack 0
		.amdhsa_enable_private_segment 0
		.amdhsa_system_sgpr_workgroup_id_x 1
		.amdhsa_system_sgpr_workgroup_id_y 0
		.amdhsa_system_sgpr_workgroup_id_z 0
		.amdhsa_system_sgpr_workgroup_info 0
		.amdhsa_system_vgpr_workitem_id 0
		.amdhsa_next_free_vgpr 1
		.amdhsa_next_free_sgpr 1
		.amdhsa_reserve_vcc 0
		.amdhsa_float_round_mode_32 0
		.amdhsa_float_round_mode_16_64 0
		.amdhsa_float_denorm_mode_32 3
		.amdhsa_float_denorm_mode_16_64 3
		.amdhsa_dx10_clamp 1
		.amdhsa_ieee_mode 1
		.amdhsa_fp16_overflow 0
		.amdhsa_workgroup_processor_mode 1
		.amdhsa_memory_ordered 1
		.amdhsa_forward_progress 0
		.amdhsa_shared_vgpr_count 0
		.amdhsa_exception_fp_ieee_invalid_op 0
		.amdhsa_exception_fp_denorm_src 0
		.amdhsa_exception_fp_ieee_div_zero 0
		.amdhsa_exception_fp_ieee_overflow 0
		.amdhsa_exception_fp_ieee_underflow 0
		.amdhsa_exception_fp_ieee_inexact 0
		.amdhsa_exception_int_div_zero 0
	.end_amdhsa_kernel
	.section	.text._ZN7rocprim17ROCPRIM_400000_NS6detail17trampoline_kernelINS0_14default_configENS1_29reduce_by_key_config_selectorIjjN6thrust23THRUST_200600_302600_NS4plusIjEEEEZZNS1_33reduce_by_key_impl_wrapped_configILNS1_25lookback_scan_determinismE0ES3_S9_NS6_6detail15normal_iteratorINS6_10device_ptrIjEEEESG_SG_SG_PmS8_NS6_8equal_toIjEEEE10hipError_tPvRmT2_T3_mT4_T5_T6_T7_T8_P12ihipStream_tbENKUlT_T0_E_clISt17integral_constantIbLb1EES11_EEDaSW_SX_EUlSW_E_NS1_11comp_targetILNS1_3genE10ELNS1_11target_archE1201ELNS1_3gpuE5ELNS1_3repE0EEENS1_30default_config_static_selectorELNS0_4arch9wavefront6targetE0EEEvT1_,"axG",@progbits,_ZN7rocprim17ROCPRIM_400000_NS6detail17trampoline_kernelINS0_14default_configENS1_29reduce_by_key_config_selectorIjjN6thrust23THRUST_200600_302600_NS4plusIjEEEEZZNS1_33reduce_by_key_impl_wrapped_configILNS1_25lookback_scan_determinismE0ES3_S9_NS6_6detail15normal_iteratorINS6_10device_ptrIjEEEESG_SG_SG_PmS8_NS6_8equal_toIjEEEE10hipError_tPvRmT2_T3_mT4_T5_T6_T7_T8_P12ihipStream_tbENKUlT_T0_E_clISt17integral_constantIbLb1EES11_EEDaSW_SX_EUlSW_E_NS1_11comp_targetILNS1_3genE10ELNS1_11target_archE1201ELNS1_3gpuE5ELNS1_3repE0EEENS1_30default_config_static_selectorELNS0_4arch9wavefront6targetE0EEEvT1_,comdat
.Lfunc_end330:
	.size	_ZN7rocprim17ROCPRIM_400000_NS6detail17trampoline_kernelINS0_14default_configENS1_29reduce_by_key_config_selectorIjjN6thrust23THRUST_200600_302600_NS4plusIjEEEEZZNS1_33reduce_by_key_impl_wrapped_configILNS1_25lookback_scan_determinismE0ES3_S9_NS6_6detail15normal_iteratorINS6_10device_ptrIjEEEESG_SG_SG_PmS8_NS6_8equal_toIjEEEE10hipError_tPvRmT2_T3_mT4_T5_T6_T7_T8_P12ihipStream_tbENKUlT_T0_E_clISt17integral_constantIbLb1EES11_EEDaSW_SX_EUlSW_E_NS1_11comp_targetILNS1_3genE10ELNS1_11target_archE1201ELNS1_3gpuE5ELNS1_3repE0EEENS1_30default_config_static_selectorELNS0_4arch9wavefront6targetE0EEEvT1_, .Lfunc_end330-_ZN7rocprim17ROCPRIM_400000_NS6detail17trampoline_kernelINS0_14default_configENS1_29reduce_by_key_config_selectorIjjN6thrust23THRUST_200600_302600_NS4plusIjEEEEZZNS1_33reduce_by_key_impl_wrapped_configILNS1_25lookback_scan_determinismE0ES3_S9_NS6_6detail15normal_iteratorINS6_10device_ptrIjEEEESG_SG_SG_PmS8_NS6_8equal_toIjEEEE10hipError_tPvRmT2_T3_mT4_T5_T6_T7_T8_P12ihipStream_tbENKUlT_T0_E_clISt17integral_constantIbLb1EES11_EEDaSW_SX_EUlSW_E_NS1_11comp_targetILNS1_3genE10ELNS1_11target_archE1201ELNS1_3gpuE5ELNS1_3repE0EEENS1_30default_config_static_selectorELNS0_4arch9wavefront6targetE0EEEvT1_
                                        ; -- End function
	.section	.AMDGPU.csdata,"",@progbits
; Kernel info:
; codeLenInByte = 0
; NumSgprs: 0
; NumVgprs: 0
; ScratchSize: 0
; MemoryBound: 0
; FloatMode: 240
; IeeeMode: 1
; LDSByteSize: 0 bytes/workgroup (compile time only)
; SGPRBlocks: 0
; VGPRBlocks: 0
; NumSGPRsForWavesPerEU: 1
; NumVGPRsForWavesPerEU: 1
; Occupancy: 16
; WaveLimiterHint : 0
; COMPUTE_PGM_RSRC2:SCRATCH_EN: 0
; COMPUTE_PGM_RSRC2:USER_SGPR: 15
; COMPUTE_PGM_RSRC2:TRAP_HANDLER: 0
; COMPUTE_PGM_RSRC2:TGID_X_EN: 1
; COMPUTE_PGM_RSRC2:TGID_Y_EN: 0
; COMPUTE_PGM_RSRC2:TGID_Z_EN: 0
; COMPUTE_PGM_RSRC2:TIDIG_COMP_CNT: 0
	.section	.text._ZN7rocprim17ROCPRIM_400000_NS6detail17trampoline_kernelINS0_14default_configENS1_29reduce_by_key_config_selectorIjjN6thrust23THRUST_200600_302600_NS4plusIjEEEEZZNS1_33reduce_by_key_impl_wrapped_configILNS1_25lookback_scan_determinismE0ES3_S9_NS6_6detail15normal_iteratorINS6_10device_ptrIjEEEESG_SG_SG_PmS8_NS6_8equal_toIjEEEE10hipError_tPvRmT2_T3_mT4_T5_T6_T7_T8_P12ihipStream_tbENKUlT_T0_E_clISt17integral_constantIbLb1EES11_EEDaSW_SX_EUlSW_E_NS1_11comp_targetILNS1_3genE10ELNS1_11target_archE1200ELNS1_3gpuE4ELNS1_3repE0EEENS1_30default_config_static_selectorELNS0_4arch9wavefront6targetE0EEEvT1_,"axG",@progbits,_ZN7rocprim17ROCPRIM_400000_NS6detail17trampoline_kernelINS0_14default_configENS1_29reduce_by_key_config_selectorIjjN6thrust23THRUST_200600_302600_NS4plusIjEEEEZZNS1_33reduce_by_key_impl_wrapped_configILNS1_25lookback_scan_determinismE0ES3_S9_NS6_6detail15normal_iteratorINS6_10device_ptrIjEEEESG_SG_SG_PmS8_NS6_8equal_toIjEEEE10hipError_tPvRmT2_T3_mT4_T5_T6_T7_T8_P12ihipStream_tbENKUlT_T0_E_clISt17integral_constantIbLb1EES11_EEDaSW_SX_EUlSW_E_NS1_11comp_targetILNS1_3genE10ELNS1_11target_archE1200ELNS1_3gpuE4ELNS1_3repE0EEENS1_30default_config_static_selectorELNS0_4arch9wavefront6targetE0EEEvT1_,comdat
	.protected	_ZN7rocprim17ROCPRIM_400000_NS6detail17trampoline_kernelINS0_14default_configENS1_29reduce_by_key_config_selectorIjjN6thrust23THRUST_200600_302600_NS4plusIjEEEEZZNS1_33reduce_by_key_impl_wrapped_configILNS1_25lookback_scan_determinismE0ES3_S9_NS6_6detail15normal_iteratorINS6_10device_ptrIjEEEESG_SG_SG_PmS8_NS6_8equal_toIjEEEE10hipError_tPvRmT2_T3_mT4_T5_T6_T7_T8_P12ihipStream_tbENKUlT_T0_E_clISt17integral_constantIbLb1EES11_EEDaSW_SX_EUlSW_E_NS1_11comp_targetILNS1_3genE10ELNS1_11target_archE1200ELNS1_3gpuE4ELNS1_3repE0EEENS1_30default_config_static_selectorELNS0_4arch9wavefront6targetE0EEEvT1_ ; -- Begin function _ZN7rocprim17ROCPRIM_400000_NS6detail17trampoline_kernelINS0_14default_configENS1_29reduce_by_key_config_selectorIjjN6thrust23THRUST_200600_302600_NS4plusIjEEEEZZNS1_33reduce_by_key_impl_wrapped_configILNS1_25lookback_scan_determinismE0ES3_S9_NS6_6detail15normal_iteratorINS6_10device_ptrIjEEEESG_SG_SG_PmS8_NS6_8equal_toIjEEEE10hipError_tPvRmT2_T3_mT4_T5_T6_T7_T8_P12ihipStream_tbENKUlT_T0_E_clISt17integral_constantIbLb1EES11_EEDaSW_SX_EUlSW_E_NS1_11comp_targetILNS1_3genE10ELNS1_11target_archE1200ELNS1_3gpuE4ELNS1_3repE0EEENS1_30default_config_static_selectorELNS0_4arch9wavefront6targetE0EEEvT1_
	.globl	_ZN7rocprim17ROCPRIM_400000_NS6detail17trampoline_kernelINS0_14default_configENS1_29reduce_by_key_config_selectorIjjN6thrust23THRUST_200600_302600_NS4plusIjEEEEZZNS1_33reduce_by_key_impl_wrapped_configILNS1_25lookback_scan_determinismE0ES3_S9_NS6_6detail15normal_iteratorINS6_10device_ptrIjEEEESG_SG_SG_PmS8_NS6_8equal_toIjEEEE10hipError_tPvRmT2_T3_mT4_T5_T6_T7_T8_P12ihipStream_tbENKUlT_T0_E_clISt17integral_constantIbLb1EES11_EEDaSW_SX_EUlSW_E_NS1_11comp_targetILNS1_3genE10ELNS1_11target_archE1200ELNS1_3gpuE4ELNS1_3repE0EEENS1_30default_config_static_selectorELNS0_4arch9wavefront6targetE0EEEvT1_
	.p2align	8
	.type	_ZN7rocprim17ROCPRIM_400000_NS6detail17trampoline_kernelINS0_14default_configENS1_29reduce_by_key_config_selectorIjjN6thrust23THRUST_200600_302600_NS4plusIjEEEEZZNS1_33reduce_by_key_impl_wrapped_configILNS1_25lookback_scan_determinismE0ES3_S9_NS6_6detail15normal_iteratorINS6_10device_ptrIjEEEESG_SG_SG_PmS8_NS6_8equal_toIjEEEE10hipError_tPvRmT2_T3_mT4_T5_T6_T7_T8_P12ihipStream_tbENKUlT_T0_E_clISt17integral_constantIbLb1EES11_EEDaSW_SX_EUlSW_E_NS1_11comp_targetILNS1_3genE10ELNS1_11target_archE1200ELNS1_3gpuE4ELNS1_3repE0EEENS1_30default_config_static_selectorELNS0_4arch9wavefront6targetE0EEEvT1_,@function
_ZN7rocprim17ROCPRIM_400000_NS6detail17trampoline_kernelINS0_14default_configENS1_29reduce_by_key_config_selectorIjjN6thrust23THRUST_200600_302600_NS4plusIjEEEEZZNS1_33reduce_by_key_impl_wrapped_configILNS1_25lookback_scan_determinismE0ES3_S9_NS6_6detail15normal_iteratorINS6_10device_ptrIjEEEESG_SG_SG_PmS8_NS6_8equal_toIjEEEE10hipError_tPvRmT2_T3_mT4_T5_T6_T7_T8_P12ihipStream_tbENKUlT_T0_E_clISt17integral_constantIbLb1EES11_EEDaSW_SX_EUlSW_E_NS1_11comp_targetILNS1_3genE10ELNS1_11target_archE1200ELNS1_3gpuE4ELNS1_3repE0EEENS1_30default_config_static_selectorELNS0_4arch9wavefront6targetE0EEEvT1_: ; @_ZN7rocprim17ROCPRIM_400000_NS6detail17trampoline_kernelINS0_14default_configENS1_29reduce_by_key_config_selectorIjjN6thrust23THRUST_200600_302600_NS4plusIjEEEEZZNS1_33reduce_by_key_impl_wrapped_configILNS1_25lookback_scan_determinismE0ES3_S9_NS6_6detail15normal_iteratorINS6_10device_ptrIjEEEESG_SG_SG_PmS8_NS6_8equal_toIjEEEE10hipError_tPvRmT2_T3_mT4_T5_T6_T7_T8_P12ihipStream_tbENKUlT_T0_E_clISt17integral_constantIbLb1EES11_EEDaSW_SX_EUlSW_E_NS1_11comp_targetILNS1_3genE10ELNS1_11target_archE1200ELNS1_3gpuE4ELNS1_3repE0EEENS1_30default_config_static_selectorELNS0_4arch9wavefront6targetE0EEEvT1_
; %bb.0:
	.section	.rodata,"a",@progbits
	.p2align	6, 0x0
	.amdhsa_kernel _ZN7rocprim17ROCPRIM_400000_NS6detail17trampoline_kernelINS0_14default_configENS1_29reduce_by_key_config_selectorIjjN6thrust23THRUST_200600_302600_NS4plusIjEEEEZZNS1_33reduce_by_key_impl_wrapped_configILNS1_25lookback_scan_determinismE0ES3_S9_NS6_6detail15normal_iteratorINS6_10device_ptrIjEEEESG_SG_SG_PmS8_NS6_8equal_toIjEEEE10hipError_tPvRmT2_T3_mT4_T5_T6_T7_T8_P12ihipStream_tbENKUlT_T0_E_clISt17integral_constantIbLb1EES11_EEDaSW_SX_EUlSW_E_NS1_11comp_targetILNS1_3genE10ELNS1_11target_archE1200ELNS1_3gpuE4ELNS1_3repE0EEENS1_30default_config_static_selectorELNS0_4arch9wavefront6targetE0EEEvT1_
		.amdhsa_group_segment_fixed_size 0
		.amdhsa_private_segment_fixed_size 0
		.amdhsa_kernarg_size 120
		.amdhsa_user_sgpr_count 15
		.amdhsa_user_sgpr_dispatch_ptr 0
		.amdhsa_user_sgpr_queue_ptr 0
		.amdhsa_user_sgpr_kernarg_segment_ptr 1
		.amdhsa_user_sgpr_dispatch_id 0
		.amdhsa_user_sgpr_private_segment_size 0
		.amdhsa_wavefront_size32 1
		.amdhsa_uses_dynamic_stack 0
		.amdhsa_enable_private_segment 0
		.amdhsa_system_sgpr_workgroup_id_x 1
		.amdhsa_system_sgpr_workgroup_id_y 0
		.amdhsa_system_sgpr_workgroup_id_z 0
		.amdhsa_system_sgpr_workgroup_info 0
		.amdhsa_system_vgpr_workitem_id 0
		.amdhsa_next_free_vgpr 1
		.amdhsa_next_free_sgpr 1
		.amdhsa_reserve_vcc 0
		.amdhsa_float_round_mode_32 0
		.amdhsa_float_round_mode_16_64 0
		.amdhsa_float_denorm_mode_32 3
		.amdhsa_float_denorm_mode_16_64 3
		.amdhsa_dx10_clamp 1
		.amdhsa_ieee_mode 1
		.amdhsa_fp16_overflow 0
		.amdhsa_workgroup_processor_mode 1
		.amdhsa_memory_ordered 1
		.amdhsa_forward_progress 0
		.amdhsa_shared_vgpr_count 0
		.amdhsa_exception_fp_ieee_invalid_op 0
		.amdhsa_exception_fp_denorm_src 0
		.amdhsa_exception_fp_ieee_div_zero 0
		.amdhsa_exception_fp_ieee_overflow 0
		.amdhsa_exception_fp_ieee_underflow 0
		.amdhsa_exception_fp_ieee_inexact 0
		.amdhsa_exception_int_div_zero 0
	.end_amdhsa_kernel
	.section	.text._ZN7rocprim17ROCPRIM_400000_NS6detail17trampoline_kernelINS0_14default_configENS1_29reduce_by_key_config_selectorIjjN6thrust23THRUST_200600_302600_NS4plusIjEEEEZZNS1_33reduce_by_key_impl_wrapped_configILNS1_25lookback_scan_determinismE0ES3_S9_NS6_6detail15normal_iteratorINS6_10device_ptrIjEEEESG_SG_SG_PmS8_NS6_8equal_toIjEEEE10hipError_tPvRmT2_T3_mT4_T5_T6_T7_T8_P12ihipStream_tbENKUlT_T0_E_clISt17integral_constantIbLb1EES11_EEDaSW_SX_EUlSW_E_NS1_11comp_targetILNS1_3genE10ELNS1_11target_archE1200ELNS1_3gpuE4ELNS1_3repE0EEENS1_30default_config_static_selectorELNS0_4arch9wavefront6targetE0EEEvT1_,"axG",@progbits,_ZN7rocprim17ROCPRIM_400000_NS6detail17trampoline_kernelINS0_14default_configENS1_29reduce_by_key_config_selectorIjjN6thrust23THRUST_200600_302600_NS4plusIjEEEEZZNS1_33reduce_by_key_impl_wrapped_configILNS1_25lookback_scan_determinismE0ES3_S9_NS6_6detail15normal_iteratorINS6_10device_ptrIjEEEESG_SG_SG_PmS8_NS6_8equal_toIjEEEE10hipError_tPvRmT2_T3_mT4_T5_T6_T7_T8_P12ihipStream_tbENKUlT_T0_E_clISt17integral_constantIbLb1EES11_EEDaSW_SX_EUlSW_E_NS1_11comp_targetILNS1_3genE10ELNS1_11target_archE1200ELNS1_3gpuE4ELNS1_3repE0EEENS1_30default_config_static_selectorELNS0_4arch9wavefront6targetE0EEEvT1_,comdat
.Lfunc_end331:
	.size	_ZN7rocprim17ROCPRIM_400000_NS6detail17trampoline_kernelINS0_14default_configENS1_29reduce_by_key_config_selectorIjjN6thrust23THRUST_200600_302600_NS4plusIjEEEEZZNS1_33reduce_by_key_impl_wrapped_configILNS1_25lookback_scan_determinismE0ES3_S9_NS6_6detail15normal_iteratorINS6_10device_ptrIjEEEESG_SG_SG_PmS8_NS6_8equal_toIjEEEE10hipError_tPvRmT2_T3_mT4_T5_T6_T7_T8_P12ihipStream_tbENKUlT_T0_E_clISt17integral_constantIbLb1EES11_EEDaSW_SX_EUlSW_E_NS1_11comp_targetILNS1_3genE10ELNS1_11target_archE1200ELNS1_3gpuE4ELNS1_3repE0EEENS1_30default_config_static_selectorELNS0_4arch9wavefront6targetE0EEEvT1_, .Lfunc_end331-_ZN7rocprim17ROCPRIM_400000_NS6detail17trampoline_kernelINS0_14default_configENS1_29reduce_by_key_config_selectorIjjN6thrust23THRUST_200600_302600_NS4plusIjEEEEZZNS1_33reduce_by_key_impl_wrapped_configILNS1_25lookback_scan_determinismE0ES3_S9_NS6_6detail15normal_iteratorINS6_10device_ptrIjEEEESG_SG_SG_PmS8_NS6_8equal_toIjEEEE10hipError_tPvRmT2_T3_mT4_T5_T6_T7_T8_P12ihipStream_tbENKUlT_T0_E_clISt17integral_constantIbLb1EES11_EEDaSW_SX_EUlSW_E_NS1_11comp_targetILNS1_3genE10ELNS1_11target_archE1200ELNS1_3gpuE4ELNS1_3repE0EEENS1_30default_config_static_selectorELNS0_4arch9wavefront6targetE0EEEvT1_
                                        ; -- End function
	.section	.AMDGPU.csdata,"",@progbits
; Kernel info:
; codeLenInByte = 0
; NumSgprs: 0
; NumVgprs: 0
; ScratchSize: 0
; MemoryBound: 0
; FloatMode: 240
; IeeeMode: 1
; LDSByteSize: 0 bytes/workgroup (compile time only)
; SGPRBlocks: 0
; VGPRBlocks: 0
; NumSGPRsForWavesPerEU: 1
; NumVGPRsForWavesPerEU: 1
; Occupancy: 16
; WaveLimiterHint : 0
; COMPUTE_PGM_RSRC2:SCRATCH_EN: 0
; COMPUTE_PGM_RSRC2:USER_SGPR: 15
; COMPUTE_PGM_RSRC2:TRAP_HANDLER: 0
; COMPUTE_PGM_RSRC2:TGID_X_EN: 1
; COMPUTE_PGM_RSRC2:TGID_Y_EN: 0
; COMPUTE_PGM_RSRC2:TGID_Z_EN: 0
; COMPUTE_PGM_RSRC2:TIDIG_COMP_CNT: 0
	.section	.text._ZN7rocprim17ROCPRIM_400000_NS6detail17trampoline_kernelINS0_14default_configENS1_29reduce_by_key_config_selectorIjjN6thrust23THRUST_200600_302600_NS4plusIjEEEEZZNS1_33reduce_by_key_impl_wrapped_configILNS1_25lookback_scan_determinismE0ES3_S9_NS6_6detail15normal_iteratorINS6_10device_ptrIjEEEESG_SG_SG_PmS8_NS6_8equal_toIjEEEE10hipError_tPvRmT2_T3_mT4_T5_T6_T7_T8_P12ihipStream_tbENKUlT_T0_E_clISt17integral_constantIbLb1EES11_EEDaSW_SX_EUlSW_E_NS1_11comp_targetILNS1_3genE9ELNS1_11target_archE1100ELNS1_3gpuE3ELNS1_3repE0EEENS1_30default_config_static_selectorELNS0_4arch9wavefront6targetE0EEEvT1_,"axG",@progbits,_ZN7rocprim17ROCPRIM_400000_NS6detail17trampoline_kernelINS0_14default_configENS1_29reduce_by_key_config_selectorIjjN6thrust23THRUST_200600_302600_NS4plusIjEEEEZZNS1_33reduce_by_key_impl_wrapped_configILNS1_25lookback_scan_determinismE0ES3_S9_NS6_6detail15normal_iteratorINS6_10device_ptrIjEEEESG_SG_SG_PmS8_NS6_8equal_toIjEEEE10hipError_tPvRmT2_T3_mT4_T5_T6_T7_T8_P12ihipStream_tbENKUlT_T0_E_clISt17integral_constantIbLb1EES11_EEDaSW_SX_EUlSW_E_NS1_11comp_targetILNS1_3genE9ELNS1_11target_archE1100ELNS1_3gpuE3ELNS1_3repE0EEENS1_30default_config_static_selectorELNS0_4arch9wavefront6targetE0EEEvT1_,comdat
	.protected	_ZN7rocprim17ROCPRIM_400000_NS6detail17trampoline_kernelINS0_14default_configENS1_29reduce_by_key_config_selectorIjjN6thrust23THRUST_200600_302600_NS4plusIjEEEEZZNS1_33reduce_by_key_impl_wrapped_configILNS1_25lookback_scan_determinismE0ES3_S9_NS6_6detail15normal_iteratorINS6_10device_ptrIjEEEESG_SG_SG_PmS8_NS6_8equal_toIjEEEE10hipError_tPvRmT2_T3_mT4_T5_T6_T7_T8_P12ihipStream_tbENKUlT_T0_E_clISt17integral_constantIbLb1EES11_EEDaSW_SX_EUlSW_E_NS1_11comp_targetILNS1_3genE9ELNS1_11target_archE1100ELNS1_3gpuE3ELNS1_3repE0EEENS1_30default_config_static_selectorELNS0_4arch9wavefront6targetE0EEEvT1_ ; -- Begin function _ZN7rocprim17ROCPRIM_400000_NS6detail17trampoline_kernelINS0_14default_configENS1_29reduce_by_key_config_selectorIjjN6thrust23THRUST_200600_302600_NS4plusIjEEEEZZNS1_33reduce_by_key_impl_wrapped_configILNS1_25lookback_scan_determinismE0ES3_S9_NS6_6detail15normal_iteratorINS6_10device_ptrIjEEEESG_SG_SG_PmS8_NS6_8equal_toIjEEEE10hipError_tPvRmT2_T3_mT4_T5_T6_T7_T8_P12ihipStream_tbENKUlT_T0_E_clISt17integral_constantIbLb1EES11_EEDaSW_SX_EUlSW_E_NS1_11comp_targetILNS1_3genE9ELNS1_11target_archE1100ELNS1_3gpuE3ELNS1_3repE0EEENS1_30default_config_static_selectorELNS0_4arch9wavefront6targetE0EEEvT1_
	.globl	_ZN7rocprim17ROCPRIM_400000_NS6detail17trampoline_kernelINS0_14default_configENS1_29reduce_by_key_config_selectorIjjN6thrust23THRUST_200600_302600_NS4plusIjEEEEZZNS1_33reduce_by_key_impl_wrapped_configILNS1_25lookback_scan_determinismE0ES3_S9_NS6_6detail15normal_iteratorINS6_10device_ptrIjEEEESG_SG_SG_PmS8_NS6_8equal_toIjEEEE10hipError_tPvRmT2_T3_mT4_T5_T6_T7_T8_P12ihipStream_tbENKUlT_T0_E_clISt17integral_constantIbLb1EES11_EEDaSW_SX_EUlSW_E_NS1_11comp_targetILNS1_3genE9ELNS1_11target_archE1100ELNS1_3gpuE3ELNS1_3repE0EEENS1_30default_config_static_selectorELNS0_4arch9wavefront6targetE0EEEvT1_
	.p2align	8
	.type	_ZN7rocprim17ROCPRIM_400000_NS6detail17trampoline_kernelINS0_14default_configENS1_29reduce_by_key_config_selectorIjjN6thrust23THRUST_200600_302600_NS4plusIjEEEEZZNS1_33reduce_by_key_impl_wrapped_configILNS1_25lookback_scan_determinismE0ES3_S9_NS6_6detail15normal_iteratorINS6_10device_ptrIjEEEESG_SG_SG_PmS8_NS6_8equal_toIjEEEE10hipError_tPvRmT2_T3_mT4_T5_T6_T7_T8_P12ihipStream_tbENKUlT_T0_E_clISt17integral_constantIbLb1EES11_EEDaSW_SX_EUlSW_E_NS1_11comp_targetILNS1_3genE9ELNS1_11target_archE1100ELNS1_3gpuE3ELNS1_3repE0EEENS1_30default_config_static_selectorELNS0_4arch9wavefront6targetE0EEEvT1_,@function
_ZN7rocprim17ROCPRIM_400000_NS6detail17trampoline_kernelINS0_14default_configENS1_29reduce_by_key_config_selectorIjjN6thrust23THRUST_200600_302600_NS4plusIjEEEEZZNS1_33reduce_by_key_impl_wrapped_configILNS1_25lookback_scan_determinismE0ES3_S9_NS6_6detail15normal_iteratorINS6_10device_ptrIjEEEESG_SG_SG_PmS8_NS6_8equal_toIjEEEE10hipError_tPvRmT2_T3_mT4_T5_T6_T7_T8_P12ihipStream_tbENKUlT_T0_E_clISt17integral_constantIbLb1EES11_EEDaSW_SX_EUlSW_E_NS1_11comp_targetILNS1_3genE9ELNS1_11target_archE1100ELNS1_3gpuE3ELNS1_3repE0EEENS1_30default_config_static_selectorELNS0_4arch9wavefront6targetE0EEEvT1_: ; @_ZN7rocprim17ROCPRIM_400000_NS6detail17trampoline_kernelINS0_14default_configENS1_29reduce_by_key_config_selectorIjjN6thrust23THRUST_200600_302600_NS4plusIjEEEEZZNS1_33reduce_by_key_impl_wrapped_configILNS1_25lookback_scan_determinismE0ES3_S9_NS6_6detail15normal_iteratorINS6_10device_ptrIjEEEESG_SG_SG_PmS8_NS6_8equal_toIjEEEE10hipError_tPvRmT2_T3_mT4_T5_T6_T7_T8_P12ihipStream_tbENKUlT_T0_E_clISt17integral_constantIbLb1EES11_EEDaSW_SX_EUlSW_E_NS1_11comp_targetILNS1_3genE9ELNS1_11target_archE1100ELNS1_3gpuE3ELNS1_3repE0EEENS1_30default_config_static_selectorELNS0_4arch9wavefront6targetE0EEEvT1_
; %bb.0:
	s_clause 0x4
	s_load_b256 s[20:27], s[0:1], 0x0
	s_load_b128 s[28:31], s[0:1], 0x20
	s_load_b256 s[36:43], s[0:1], 0x38
	s_load_b64 s[34:35], s[0:1], 0x68
	s_load_b128 s[44:47], s[0:1], 0x58
	v_cmp_ne_u32_e64 s3, 0, v0
	v_cmp_eq_u32_e64 s2, 0, v0
	s_delay_alu instid0(VALU_DEP_1)
	s_and_saveexec_b32 s4, s2
	s_cbranch_execz .LBB332_4
; %bb.1:
	s_mov_b32 s6, exec_lo
	s_mov_b32 s5, exec_lo
	v_mbcnt_lo_u32_b32 v1, s6, 0
                                        ; implicit-def: $vgpr2
	s_delay_alu instid0(VALU_DEP_1)
	v_cmpx_eq_u32_e32 0, v1
	s_cbranch_execz .LBB332_3
; %bb.2:
	s_load_b64 s[0:1], s[0:1], 0x70
	s_bcnt1_i32_b32 s6, s6
	s_delay_alu instid0(SALU_CYCLE_1)
	v_dual_mov_b32 v2, 0 :: v_dual_mov_b32 v3, s6
	s_waitcnt lgkmcnt(0)
	global_atomic_add_u32 v2, v2, v3, s[0:1] glc
.LBB332_3:
	s_or_b32 exec_lo, exec_lo, s5
	s_waitcnt vmcnt(0)
	v_readfirstlane_b32 s0, v2
	s_delay_alu instid0(VALU_DEP_1)
	v_dual_mov_b32 v2, 0 :: v_dual_add_nc_u32 v1, s0, v1
	ds_store_b32 v2, v1
.LBB332_4:
	s_or_b32 exec_lo, exec_lo, s4
	v_mov_b32_e32 v2, 0
	s_waitcnt lgkmcnt(0)
	s_barrier
	buffer_gl0_inv
	s_lshl_b64 s[4:5], s[22:23], 2
	ds_load_b32 v1, v2
	s_add_u32 s9, s20, s4
	s_mul_i32 s1, s40, s39
	s_mul_hi_u32 s6, s40, s38
	s_addc_u32 s10, s21, s5
	s_add_u32 s11, s24, s4
	s_mul_i32 s7, s41, s38
	s_addc_u32 s12, s25, s5
	s_add_i32 s1, s6, s1
	s_mul_i32 s8, s40, s38
	s_add_i32 s1, s1, s7
	s_mov_b32 s0, 0
	s_waitcnt lgkmcnt(0)
	s_barrier
	buffer_gl0_inv
	v_readfirstlane_b32 s48, v1
	v_mul_lo_u32 v1, 0xf00, v1
	s_delay_alu instid0(VALU_DEP_2) | instskip(SKIP_3) | instid1(VALU_DEP_1)
	s_add_u32 s18, s8, s48
	s_addc_u32 s19, s1, 0
	s_add_u32 s4, s42, -1
	s_addc_u32 s5, s43, -1
	v_lshlrev_b64 v[3:4], 2, v[1:2]
	s_cmp_eq_u64 s[18:19], s[4:5]
	s_mul_i32 s40, s4, 0xfffff100
	s_cselect_b32 s33, -1, 0
	s_cmp_lg_u64 s[18:19], s[4:5]
	s_delay_alu instid0(VALU_DEP_1)
	v_add_co_u32 v2, vcc_lo, s9, v3
	v_add_co_ci_u32_e32 v1, vcc_lo, s10, v4, vcc_lo
	v_add_co_u32 v3, vcc_lo, s11, v3
	v_add_co_ci_u32_e32 v4, vcc_lo, s12, v4, vcc_lo
	s_cselect_b32 s17, -1, 0
	s_and_b32 vcc_lo, exec_lo, s33
	s_cbranch_vccnz .LBB332_6
; %bb.5:
	v_lshlrev_b32_e32 v29, 2, v0
	s_delay_alu instid0(VALU_DEP_1) | instskip(SKIP_1) | instid1(VALU_DEP_2)
	v_add_co_u32 v5, vcc_lo, v2, v29
	v_add_co_ci_u32_e32 v6, vcc_lo, 0, v1, vcc_lo
	v_add_co_u32 v7, vcc_lo, 0x1000, v5
	s_delay_alu instid0(VALU_DEP_2)
	v_add_co_ci_u32_e32 v8, vcc_lo, 0, v6, vcc_lo
	s_clause 0x7
	flat_load_b32 v9, v[5:6]
	flat_load_b32 v10, v[5:6] offset:1024
	flat_load_b32 v11, v[5:6] offset:2048
	flat_load_b32 v12, v[5:6] offset:3072
	flat_load_b32 v13, v[7:8]
	flat_load_b32 v14, v[7:8] offset:1024
	flat_load_b32 v15, v[7:8] offset:2048
	;; [unrolled: 1-line block ×3, first 2 shown]
	v_add_co_u32 v7, vcc_lo, 0x2000, v5
	v_add_co_ci_u32_e32 v8, vcc_lo, 0, v6, vcc_lo
	v_add_co_u32 v5, vcc_lo, 0x3000, v5
	v_add_co_ci_u32_e32 v6, vcc_lo, 0, v6, vcc_lo
	s_clause 0x6
	flat_load_b32 v17, v[7:8]
	flat_load_b32 v18, v[7:8] offset:1024
	flat_load_b32 v19, v[7:8] offset:2048
	;; [unrolled: 1-line block ×3, first 2 shown]
	flat_load_b32 v20, v[5:6]
	flat_load_b32 v21, v[5:6] offset:1024
	flat_load_b32 v22, v[5:6] offset:2048
	v_add_co_u32 v6, vcc_lo, v3, v29
	v_add_co_ci_u32_e32 v7, vcc_lo, 0, v4, vcc_lo
	v_mad_u32_u24 v5, v0, 56, v29
	s_delay_alu instid0(VALU_DEP_3) | instskip(NEXT) | instid1(VALU_DEP_3)
	v_add_co_u32 v23, vcc_lo, 0x1000, v6
	v_add_co_ci_u32_e32 v24, vcc_lo, 0, v7, vcc_lo
	v_add_co_u32 v25, vcc_lo, 0x2000, v6
	v_add_co_ci_u32_e32 v26, vcc_lo, 0, v7, vcc_lo
	v_add_co_u32 v27, vcc_lo, 0x3000, v6
	v_add_co_ci_u32_e32 v28, vcc_lo, 0, v7, vcc_lo
	s_waitcnt vmcnt(13) lgkmcnt(13)
	ds_store_2addr_stride64_b32 v29, v9, v10 offset1:4
	s_waitcnt vmcnt(11) lgkmcnt(12)
	ds_store_2addr_stride64_b32 v29, v11, v12 offset0:8 offset1:12
	s_waitcnt vmcnt(9) lgkmcnt(11)
	ds_store_2addr_stride64_b32 v29, v13, v14 offset0:16 offset1:20
	;; [unrolled: 2-line block ×6, first 2 shown]
	s_waitcnt vmcnt(0) lgkmcnt(7)
	ds_store_b32 v29, v22 offset:14336
	s_waitcnt lgkmcnt(0)
	s_barrier
	buffer_gl0_inv
	ds_load_2addr_b32 v[21:22], v5 offset1:1
	ds_load_2addr_b32 v[19:20], v5 offset0:2 offset1:3
	ds_load_2addr_b32 v[17:18], v5 offset0:4 offset1:5
	;; [unrolled: 1-line block ×6, first 2 shown]
	ds_load_b32 v63, v5 offset:56
	s_waitcnt lgkmcnt(0)
	s_barrier
	buffer_gl0_inv
	s_clause 0xe
	flat_load_b32 v8, v[6:7]
	flat_load_b32 v30, v[6:7] offset:1024
	flat_load_b32 v31, v[6:7] offset:2048
	flat_load_b32 v6, v[6:7] offset:3072
	flat_load_b32 v7, v[23:24]
	flat_load_b32 v32, v[23:24] offset:1024
	flat_load_b32 v33, v[23:24] offset:2048
	flat_load_b32 v23, v[23:24] offset:3072
	flat_load_b32 v24, v[25:26]
	flat_load_b32 v34, v[25:26] offset:1024
	flat_load_b32 v35, v[25:26] offset:2048
	flat_load_b32 v25, v[25:26] offset:3072
	flat_load_b32 v26, v[27:28]
	flat_load_b32 v36, v[27:28] offset:1024
	flat_load_b32 v27, v[27:28] offset:2048
	s_waitcnt vmcnt(13) lgkmcnt(13)
	ds_store_2addr_stride64_b32 v29, v8, v30 offset1:4
	s_waitcnt vmcnt(11) lgkmcnt(12)
	ds_store_2addr_stride64_b32 v29, v31, v6 offset0:8 offset1:12
	s_waitcnt vmcnt(9) lgkmcnt(11)
	ds_store_2addr_stride64_b32 v29, v7, v32 offset0:16 offset1:20
	;; [unrolled: 2-line block ×6, first 2 shown]
	s_waitcnt vmcnt(0) lgkmcnt(7)
	ds_store_b32 v29, v27 offset:14336
	s_waitcnt lgkmcnt(0)
	s_barrier
	s_and_not1_b32 vcc_lo, exec_lo, s0
	s_add_i32 s40, s40, s44
	s_cbranch_vccz .LBB332_7
	s_branch .LBB332_54
.LBB332_6:
                                        ; implicit-def: $vgpr5
                                        ; implicit-def: $vgpr21
                                        ; implicit-def: $vgpr19
                                        ; implicit-def: $vgpr17
                                        ; implicit-def: $vgpr15
                                        ; implicit-def: $vgpr13
                                        ; implicit-def: $vgpr11
                                        ; implicit-def: $vgpr9
                                        ; implicit-def: $vgpr63
	s_add_i32 s40, s40, s44
.LBB332_7:
	s_delay_alu instid0(SALU_CYCLE_1)
	v_cmp_gt_u32_e32 vcc_lo, s40, v0
                                        ; implicit-def: $vgpr5
	s_and_saveexec_b32 s1, vcc_lo
	s_cbranch_execz .LBB332_9
; %bb.8:
	v_lshlrev_b32_e32 v5, 2, v0
	s_delay_alu instid0(VALU_DEP_1) | instskip(NEXT) | instid1(VALU_DEP_1)
	v_add_co_u32 v5, s0, v2, v5
	v_add_co_ci_u32_e64 v6, s0, 0, v1, s0
	flat_load_b32 v5, v[5:6]
.LBB332_9:
	s_or_b32 exec_lo, exec_lo, s1
	v_or_b32_e32 v6, 0x100, v0
                                        ; implicit-def: $vgpr9
	s_delay_alu instid0(VALU_DEP_1) | instskip(NEXT) | instid1(VALU_DEP_1)
	v_cmp_gt_u32_e64 s0, s40, v6
	s_and_saveexec_b32 s4, s0
	s_cbranch_execz .LBB332_11
; %bb.10:
	v_lshlrev_b32_e32 v6, 2, v0
	s_delay_alu instid0(VALU_DEP_1) | instskip(NEXT) | instid1(VALU_DEP_1)
	v_add_co_u32 v6, s1, v2, v6
	v_add_co_ci_u32_e64 v7, s1, 0, v1, s1
	flat_load_b32 v9, v[6:7] offset:1024
.LBB332_11:
	s_or_b32 exec_lo, exec_lo, s4
	v_or_b32_e32 v6, 0x200, v0
                                        ; implicit-def: $vgpr10
	s_delay_alu instid0(VALU_DEP_1) | instskip(NEXT) | instid1(VALU_DEP_1)
	v_cmp_gt_u32_e64 s1, s40, v6
	s_and_saveexec_b32 s5, s1
	s_cbranch_execz .LBB332_13
; %bb.12:
	v_lshlrev_b32_e32 v6, 2, v0
	s_delay_alu instid0(VALU_DEP_1) | instskip(NEXT) | instid1(VALU_DEP_1)
	v_add_co_u32 v6, s4, v2, v6
	v_add_co_ci_u32_e64 v7, s4, 0, v1, s4
	flat_load_b32 v10, v[6:7] offset:2048
.LBB332_13:
	s_or_b32 exec_lo, exec_lo, s5
	v_or_b32_e32 v6, 0x300, v0
                                        ; implicit-def: $vgpr11
	s_delay_alu instid0(VALU_DEP_1) | instskip(NEXT) | instid1(VALU_DEP_1)
	v_cmp_gt_u32_e64 s4, s40, v6
	s_and_saveexec_b32 s6, s4
	s_cbranch_execz .LBB332_15
; %bb.14:
	v_lshlrev_b32_e32 v6, 2, v0
	s_delay_alu instid0(VALU_DEP_1) | instskip(NEXT) | instid1(VALU_DEP_1)
	v_add_co_u32 v6, s5, v2, v6
	v_add_co_ci_u32_e64 v7, s5, 0, v1, s5
	flat_load_b32 v11, v[6:7] offset:3072
.LBB332_15:
	s_or_b32 exec_lo, exec_lo, s6
	v_or_b32_e32 v6, 0x400, v0
                                        ; implicit-def: $vgpr12
	s_delay_alu instid0(VALU_DEP_1) | instskip(NEXT) | instid1(VALU_DEP_1)
	v_cmp_gt_u32_e64 s5, s40, v6
	s_and_saveexec_b32 s7, s5
	s_cbranch_execz .LBB332_17
; %bb.16:
	v_lshlrev_b32_e32 v7, 2, v6
	s_delay_alu instid0(VALU_DEP_1) | instskip(NEXT) | instid1(VALU_DEP_1)
	v_add_co_u32 v7, s6, v2, v7
	v_add_co_ci_u32_e64 v8, s6, 0, v1, s6
	flat_load_b32 v12, v[7:8]
.LBB332_17:
	s_or_b32 exec_lo, exec_lo, s7
	v_or_b32_e32 v7, 0x500, v0
                                        ; implicit-def: $vgpr13
	s_delay_alu instid0(VALU_DEP_1) | instskip(NEXT) | instid1(VALU_DEP_1)
	v_cmp_gt_u32_e64 s6, s40, v7
	s_and_saveexec_b32 s8, s6
	s_cbranch_execz .LBB332_19
; %bb.18:
	v_lshlrev_b32_e32 v8, 2, v7
	s_delay_alu instid0(VALU_DEP_1) | instskip(NEXT) | instid1(VALU_DEP_1)
	v_add_co_u32 v13, s7, v2, v8
	v_add_co_ci_u32_e64 v14, s7, 0, v1, s7
	flat_load_b32 v13, v[13:14]
.LBB332_19:
	s_or_b32 exec_lo, exec_lo, s8
	v_or_b32_e32 v8, 0x600, v0
                                        ; implicit-def: $vgpr14
	s_delay_alu instid0(VALU_DEP_1) | instskip(NEXT) | instid1(VALU_DEP_1)
	v_cmp_gt_u32_e64 s7, s40, v8
	s_and_saveexec_b32 s9, s7
	s_cbranch_execz .LBB332_21
; %bb.20:
	v_lshlrev_b32_e32 v14, 2, v8
	s_delay_alu instid0(VALU_DEP_1) | instskip(NEXT) | instid1(VALU_DEP_1)
	v_add_co_u32 v14, s8, v2, v14
	v_add_co_ci_u32_e64 v15, s8, 0, v1, s8
	flat_load_b32 v14, v[14:15]
.LBB332_21:
	s_or_b32 exec_lo, exec_lo, s9
	v_or_b32_e32 v23, 0x700, v0
                                        ; implicit-def: $vgpr15
	s_delay_alu instid0(VALU_DEP_1) | instskip(NEXT) | instid1(VALU_DEP_1)
	v_cmp_gt_u32_e64 s8, s40, v23
	s_and_saveexec_b32 s10, s8
	s_cbranch_execz .LBB332_23
; %bb.22:
	v_lshlrev_b32_e32 v15, 2, v23
	s_delay_alu instid0(VALU_DEP_1) | instskip(NEXT) | instid1(VALU_DEP_1)
	v_add_co_u32 v15, s9, v2, v15
	v_add_co_ci_u32_e64 v16, s9, 0, v1, s9
	flat_load_b32 v15, v[15:16]
.LBB332_23:
	s_or_b32 exec_lo, exec_lo, s10
	v_or_b32_e32 v24, 0x800, v0
                                        ; implicit-def: $vgpr16
	s_delay_alu instid0(VALU_DEP_1) | instskip(NEXT) | instid1(VALU_DEP_1)
	v_cmp_gt_u32_e64 s9, s40, v24
	s_and_saveexec_b32 s11, s9
	s_cbranch_execz .LBB332_25
; %bb.24:
	v_lshlrev_b32_e32 v16, 2, v24
	s_delay_alu instid0(VALU_DEP_1) | instskip(NEXT) | instid1(VALU_DEP_1)
	v_add_co_u32 v16, s10, v2, v16
	v_add_co_ci_u32_e64 v17, s10, 0, v1, s10
	flat_load_b32 v16, v[16:17]
.LBB332_25:
	s_or_b32 exec_lo, exec_lo, s11
	v_or_b32_e32 v26, 0x900, v0
                                        ; implicit-def: $vgpr17
	s_delay_alu instid0(VALU_DEP_1) | instskip(NEXT) | instid1(VALU_DEP_1)
	v_cmp_gt_u32_e64 s10, s40, v26
	s_and_saveexec_b32 s12, s10
	s_cbranch_execz .LBB332_27
; %bb.26:
	v_lshlrev_b32_e32 v17, 2, v26
	s_delay_alu instid0(VALU_DEP_1) | instskip(NEXT) | instid1(VALU_DEP_1)
	v_add_co_u32 v17, s11, v2, v17
	v_add_co_ci_u32_e64 v18, s11, 0, v1, s11
	flat_load_b32 v17, v[17:18]
.LBB332_27:
	s_or_b32 exec_lo, exec_lo, s12
	v_or_b32_e32 v27, 0xa00, v0
                                        ; implicit-def: $vgpr18
	s_delay_alu instid0(VALU_DEP_1) | instskip(NEXT) | instid1(VALU_DEP_1)
	v_cmp_gt_u32_e64 s11, s40, v27
	s_and_saveexec_b32 s13, s11
	s_cbranch_execz .LBB332_29
; %bb.28:
	v_lshlrev_b32_e32 v18, 2, v27
	s_delay_alu instid0(VALU_DEP_1) | instskip(NEXT) | instid1(VALU_DEP_1)
	v_add_co_u32 v18, s12, v2, v18
	v_add_co_ci_u32_e64 v19, s12, 0, v1, s12
	flat_load_b32 v18, v[18:19]
.LBB332_29:
	s_or_b32 exec_lo, exec_lo, s13
	v_or_b32_e32 v28, 0xb00, v0
                                        ; implicit-def: $vgpr19
	s_delay_alu instid0(VALU_DEP_1) | instskip(NEXT) | instid1(VALU_DEP_1)
	v_cmp_gt_u32_e64 s12, s40, v28
	s_and_saveexec_b32 s14, s12
	s_cbranch_execz .LBB332_31
; %bb.30:
	v_lshlrev_b32_e32 v19, 2, v28
	s_delay_alu instid0(VALU_DEP_1) | instskip(NEXT) | instid1(VALU_DEP_1)
	v_add_co_u32 v19, s13, v2, v19
	v_add_co_ci_u32_e64 v20, s13, 0, v1, s13
	flat_load_b32 v19, v[19:20]
.LBB332_31:
	s_or_b32 exec_lo, exec_lo, s14
	v_or_b32_e32 v29, 0xc00, v0
                                        ; implicit-def: $vgpr20
	s_delay_alu instid0(VALU_DEP_1) | instskip(NEXT) | instid1(VALU_DEP_1)
	v_cmp_gt_u32_e64 s13, s40, v29
	s_and_saveexec_b32 s15, s13
	s_cbranch_execz .LBB332_33
; %bb.32:
	v_lshlrev_b32_e32 v20, 2, v29
	s_delay_alu instid0(VALU_DEP_1) | instskip(NEXT) | instid1(VALU_DEP_1)
	v_add_co_u32 v20, s14, v2, v20
	v_add_co_ci_u32_e64 v21, s14, 0, v1, s14
	flat_load_b32 v20, v[20:21]
.LBB332_33:
	s_or_b32 exec_lo, exec_lo, s15
	v_or_b32_e32 v30, 0xd00, v0
                                        ; implicit-def: $vgpr21
	s_delay_alu instid0(VALU_DEP_1) | instskip(NEXT) | instid1(VALU_DEP_1)
	v_cmp_gt_u32_e64 s14, s40, v30
	s_and_saveexec_b32 s16, s14
	s_cbranch_execz .LBB332_35
; %bb.34:
	v_lshlrev_b32_e32 v21, 2, v30
	s_delay_alu instid0(VALU_DEP_1) | instskip(NEXT) | instid1(VALU_DEP_1)
	v_add_co_u32 v21, s15, v2, v21
	v_add_co_ci_u32_e64 v22, s15, 0, v1, s15
	flat_load_b32 v21, v[21:22]
.LBB332_35:
	s_or_b32 exec_lo, exec_lo, s16
	v_or_b32_e32 v31, 0xe00, v0
                                        ; implicit-def: $vgpr22
	s_delay_alu instid0(VALU_DEP_1) | instskip(NEXT) | instid1(VALU_DEP_1)
	v_cmp_gt_u32_e64 s15, s40, v31
	s_and_saveexec_b32 s20, s15
	s_cbranch_execz .LBB332_37
; %bb.36:
	v_lshlrev_b32_e32 v22, 2, v31
	s_delay_alu instid0(VALU_DEP_1) | instskip(NEXT) | instid1(VALU_DEP_1)
	v_add_co_u32 v32, s16, v2, v22
	v_add_co_ci_u32_e64 v33, s16, 0, v1, s16
	flat_load_b32 v22, v[32:33]
.LBB332_37:
	s_or_b32 exec_lo, exec_lo, s20
	v_lshlrev_b32_e32 v25, 2, v0
                                        ; implicit-def: $vgpr32
	s_waitcnt vmcnt(0) lgkmcnt(0)
	ds_store_2addr_stride64_b32 v25, v5, v9 offset1:4
	ds_store_2addr_stride64_b32 v25, v10, v11 offset0:8 offset1:12
	ds_store_2addr_stride64_b32 v25, v12, v13 offset0:16 offset1:20
	;; [unrolled: 1-line block ×6, first 2 shown]
	v_mad_u32_u24 v5, v0, 56, v25
	ds_store_b32 v25, v22 offset:14336
	s_waitcnt lgkmcnt(0)
	s_barrier
	buffer_gl0_inv
	ds_load_2addr_b32 v[21:22], v5 offset1:1
	ds_load_2addr_b32 v[19:20], v5 offset0:2 offset1:3
	ds_load_2addr_b32 v[17:18], v5 offset0:4 offset1:5
	;; [unrolled: 1-line block ×6, first 2 shown]
	ds_load_b32 v63, v5 offset:56
	s_waitcnt lgkmcnt(0)
	s_barrier
	buffer_gl0_inv
	s_and_saveexec_b32 s16, vcc_lo
	s_cbranch_execnz .LBB332_61
; %bb.38:
	s_or_b32 exec_lo, exec_lo, s16
                                        ; implicit-def: $vgpr33
	s_and_saveexec_b32 s16, s0
	s_cbranch_execnz .LBB332_62
.LBB332_39:
	s_or_b32 exec_lo, exec_lo, s16
                                        ; implicit-def: $vgpr34
	s_and_saveexec_b32 s0, s1
	s_cbranch_execnz .LBB332_63
.LBB332_40:
	s_or_b32 exec_lo, exec_lo, s0
                                        ; implicit-def: $vgpr35
	s_and_saveexec_b32 s0, s4
	s_cbranch_execnz .LBB332_64
.LBB332_41:
	s_or_b32 exec_lo, exec_lo, s0
                                        ; implicit-def: $vgpr36
	s_and_saveexec_b32 s0, s5
	s_cbranch_execnz .LBB332_65
.LBB332_42:
	s_or_b32 exec_lo, exec_lo, s0
                                        ; implicit-def: $vgpr6
	s_and_saveexec_b32 s0, s6
	s_cbranch_execnz .LBB332_66
.LBB332_43:
	s_or_b32 exec_lo, exec_lo, s0
                                        ; implicit-def: $vgpr7
	s_and_saveexec_b32 s0, s7
	s_cbranch_execnz .LBB332_67
.LBB332_44:
	s_or_b32 exec_lo, exec_lo, s0
                                        ; implicit-def: $vgpr8
	s_and_saveexec_b32 s0, s8
	s_cbranch_execnz .LBB332_68
.LBB332_45:
	s_or_b32 exec_lo, exec_lo, s0
                                        ; implicit-def: $vgpr23
	s_and_saveexec_b32 s0, s9
	s_cbranch_execnz .LBB332_69
.LBB332_46:
	s_or_b32 exec_lo, exec_lo, s0
                                        ; implicit-def: $vgpr24
	s_and_saveexec_b32 s0, s10
	s_cbranch_execnz .LBB332_70
.LBB332_47:
	s_or_b32 exec_lo, exec_lo, s0
                                        ; implicit-def: $vgpr26
	s_and_saveexec_b32 s0, s11
	s_cbranch_execnz .LBB332_71
.LBB332_48:
	s_or_b32 exec_lo, exec_lo, s0
                                        ; implicit-def: $vgpr27
	s_and_saveexec_b32 s0, s12
	s_cbranch_execnz .LBB332_72
.LBB332_49:
	s_or_b32 exec_lo, exec_lo, s0
                                        ; implicit-def: $vgpr28
	s_and_saveexec_b32 s0, s13
	s_cbranch_execnz .LBB332_73
.LBB332_50:
	s_or_b32 exec_lo, exec_lo, s0
                                        ; implicit-def: $vgpr29
	s_and_saveexec_b32 s0, s14
	s_cbranch_execnz .LBB332_74
.LBB332_51:
	s_or_b32 exec_lo, exec_lo, s0
                                        ; implicit-def: $vgpr30
	s_and_saveexec_b32 s0, s15
	s_cbranch_execz .LBB332_53
.LBB332_52:
	v_lshlrev_b32_e32 v30, 2, v31
	s_delay_alu instid0(VALU_DEP_1)
	v_add_co_u32 v3, vcc_lo, v3, v30
	v_add_co_ci_u32_e32 v4, vcc_lo, 0, v4, vcc_lo
	flat_load_b32 v30, v[3:4]
.LBB332_53:
	s_or_b32 exec_lo, exec_lo, s0
	s_waitcnt vmcnt(0) lgkmcnt(0)
	ds_store_2addr_stride64_b32 v25, v32, v33 offset1:4
	ds_store_2addr_stride64_b32 v25, v34, v35 offset0:8 offset1:12
	ds_store_2addr_stride64_b32 v25, v36, v6 offset0:16 offset1:20
	;; [unrolled: 1-line block ×6, first 2 shown]
	ds_store_b32 v25, v30 offset:14336
	s_waitcnt lgkmcnt(0)
	s_barrier
.LBB332_54:
	buffer_gl0_inv
	ds_load_2addr_b32 v[35:36], v5 offset1:1
	ds_load_2addr_b32 v[33:34], v5 offset0:2 offset1:3
	ds_load_2addr_b32 v[31:32], v5 offset0:4 offset1:5
	;; [unrolled: 1-line block ×6, first 2 shown]
	ds_load_b32 v79, v5 offset:56
	s_cmp_eq_u64 s[18:19], 0
	s_waitcnt lgkmcnt(0)
	s_cselect_b32 s41, -1, 0
	s_cmp_lg_u64 s[18:19], 0
	s_barrier
	s_cselect_b32 s15, -1, 0
	s_and_b32 vcc_lo, exec_lo, s17
	buffer_gl0_inv
	s_cbranch_vccz .LBB332_60
; %bb.55:
	s_and_b32 vcc_lo, exec_lo, s15
	s_cbranch_vccz .LBB332_75
; %bb.56:
	v_add_co_u32 v3, vcc_lo, -4, v2
	v_add_co_ci_u32_e32 v4, vcc_lo, -1, v1, vcc_lo
	v_cmp_ne_u32_e32 vcc_lo, v10, v63
	v_cmp_ne_u32_e64 s0, v9, v10
	v_cmp_ne_u32_e64 s1, v12, v9
	flat_load_b32 v3, v[3:4]
	v_lshlrev_b32_e32 v4, 2, v0
	v_cmp_ne_u32_e64 s4, v11, v12
	v_cmp_ne_u32_e64 s5, v14, v11
	;; [unrolled: 1-line block ×11, first 2 shown]
	s_mov_b32 s42, -1
	ds_store_b32 v4, v63
	s_waitcnt vmcnt(0) lgkmcnt(0)
	s_barrier
	buffer_gl0_inv
	s_and_saveexec_b32 s16, s3
	s_cbranch_execz .LBB332_58
; %bb.57:
	v_add_nc_u32_e32 v3, -4, v4
	ds_load_b32 v3, v3
.LBB332_58:
	s_or_b32 exec_lo, exec_lo, s16
	v_cndmask_b32_e64 v71, 0, 1, vcc_lo
	v_cndmask_b32_e64 v64, 0, 1, s0
	v_cndmask_b32_e64 v65, 0, 1, s1
	;; [unrolled: 1-line block ×13, first 2 shown]
	s_waitcnt lgkmcnt(0)
	v_cmp_ne_u32_e64 s0, v3, v21
.LBB332_59:
                                        ; implicit-def: $sgpr1
	s_branch .LBB332_87
.LBB332_60:
	s_mov_b32 s42, 0
                                        ; implicit-def: $sgpr0
                                        ; implicit-def: $vgpr71
                                        ; implicit-def: $vgpr64
                                        ; implicit-def: $vgpr65
                                        ; implicit-def: $vgpr66
                                        ; implicit-def: $vgpr67
                                        ; implicit-def: $vgpr68
                                        ; implicit-def: $vgpr69
                                        ; implicit-def: $vgpr70
                                        ; implicit-def: $vgpr72
                                        ; implicit-def: $vgpr73
                                        ; implicit-def: $vgpr74
                                        ; implicit-def: $vgpr75
                                        ; implicit-def: $vgpr76
                                        ; implicit-def: $vgpr77
                                        ; implicit-def: $sgpr1
	s_cbranch_execnz .LBB332_79
	s_branch .LBB332_87
.LBB332_61:
	v_add_co_u32 v32, vcc_lo, v3, v25
	v_add_co_ci_u32_e32 v33, vcc_lo, 0, v4, vcc_lo
	flat_load_b32 v32, v[32:33]
	s_or_b32 exec_lo, exec_lo, s16
                                        ; implicit-def: $vgpr33
	s_and_saveexec_b32 s16, s0
	s_cbranch_execz .LBB332_39
.LBB332_62:
	v_add_co_u32 v33, vcc_lo, v3, v25
	v_add_co_ci_u32_e32 v34, vcc_lo, 0, v4, vcc_lo
	flat_load_b32 v33, v[33:34] offset:1024
	s_or_b32 exec_lo, exec_lo, s16
                                        ; implicit-def: $vgpr34
	s_and_saveexec_b32 s0, s1
	s_cbranch_execz .LBB332_40
.LBB332_63:
	v_add_co_u32 v34, vcc_lo, v3, v25
	v_add_co_ci_u32_e32 v35, vcc_lo, 0, v4, vcc_lo
	flat_load_b32 v34, v[34:35] offset:2048
	s_or_b32 exec_lo, exec_lo, s0
                                        ; implicit-def: $vgpr35
	s_and_saveexec_b32 s0, s4
	s_cbranch_execz .LBB332_41
.LBB332_64:
	v_add_co_u32 v35, vcc_lo, v3, v25
	v_add_co_ci_u32_e32 v36, vcc_lo, 0, v4, vcc_lo
	flat_load_b32 v35, v[35:36] offset:3072
	s_or_b32 exec_lo, exec_lo, s0
                                        ; implicit-def: $vgpr36
	s_and_saveexec_b32 s0, s5
	s_cbranch_execz .LBB332_42
.LBB332_65:
	v_lshlrev_b32_e32 v6, 2, v6
	s_delay_alu instid0(VALU_DEP_1)
	v_add_co_u32 v36, vcc_lo, v3, v6
	v_add_co_ci_u32_e32 v37, vcc_lo, 0, v4, vcc_lo
	flat_load_b32 v36, v[36:37]
	s_or_b32 exec_lo, exec_lo, s0
                                        ; implicit-def: $vgpr6
	s_and_saveexec_b32 s0, s6
	s_cbranch_execz .LBB332_43
.LBB332_66:
	v_lshlrev_b32_e32 v6, 2, v7
	s_delay_alu instid0(VALU_DEP_1)
	v_add_co_u32 v6, vcc_lo, v3, v6
	v_add_co_ci_u32_e32 v7, vcc_lo, 0, v4, vcc_lo
	flat_load_b32 v6, v[6:7]
	s_or_b32 exec_lo, exec_lo, s0
                                        ; implicit-def: $vgpr7
	s_and_saveexec_b32 s0, s7
	s_cbranch_execz .LBB332_44
.LBB332_67:
	v_lshlrev_b32_e32 v7, 2, v8
	s_delay_alu instid0(VALU_DEP_1)
	v_add_co_u32 v7, vcc_lo, v3, v7
	v_add_co_ci_u32_e32 v8, vcc_lo, 0, v4, vcc_lo
	flat_load_b32 v7, v[7:8]
	s_or_b32 exec_lo, exec_lo, s0
                                        ; implicit-def: $vgpr8
	s_and_saveexec_b32 s0, s8
	s_cbranch_execz .LBB332_45
.LBB332_68:
	v_lshlrev_b32_e32 v8, 2, v23
	s_delay_alu instid0(VALU_DEP_1)
	v_add_co_u32 v37, vcc_lo, v3, v8
	v_add_co_ci_u32_e32 v38, vcc_lo, 0, v4, vcc_lo
	flat_load_b32 v8, v[37:38]
	s_or_b32 exec_lo, exec_lo, s0
                                        ; implicit-def: $vgpr23
	s_and_saveexec_b32 s0, s9
	s_cbranch_execz .LBB332_46
.LBB332_69:
	v_lshlrev_b32_e32 v23, 2, v24
	s_delay_alu instid0(VALU_DEP_1)
	v_add_co_u32 v23, vcc_lo, v3, v23
	v_add_co_ci_u32_e32 v24, vcc_lo, 0, v4, vcc_lo
	flat_load_b32 v23, v[23:24]
	s_or_b32 exec_lo, exec_lo, s0
                                        ; implicit-def: $vgpr24
	s_and_saveexec_b32 s0, s10
	s_cbranch_execz .LBB332_47
.LBB332_70:
	v_lshlrev_b32_e32 v24, 2, v26
	s_delay_alu instid0(VALU_DEP_1)
	v_add_co_u32 v37, vcc_lo, v3, v24
	v_add_co_ci_u32_e32 v38, vcc_lo, 0, v4, vcc_lo
	flat_load_b32 v24, v[37:38]
	s_or_b32 exec_lo, exec_lo, s0
                                        ; implicit-def: $vgpr26
	s_and_saveexec_b32 s0, s11
	s_cbranch_execz .LBB332_48
.LBB332_71:
	v_lshlrev_b32_e32 v26, 2, v27
	s_delay_alu instid0(VALU_DEP_1)
	v_add_co_u32 v26, vcc_lo, v3, v26
	v_add_co_ci_u32_e32 v27, vcc_lo, 0, v4, vcc_lo
	flat_load_b32 v26, v[26:27]
	s_or_b32 exec_lo, exec_lo, s0
                                        ; implicit-def: $vgpr27
	s_and_saveexec_b32 s0, s12
	s_cbranch_execz .LBB332_49
.LBB332_72:
	v_lshlrev_b32_e32 v27, 2, v28
	s_delay_alu instid0(VALU_DEP_1)
	v_add_co_u32 v27, vcc_lo, v3, v27
	v_add_co_ci_u32_e32 v28, vcc_lo, 0, v4, vcc_lo
	flat_load_b32 v27, v[27:28]
	s_or_b32 exec_lo, exec_lo, s0
                                        ; implicit-def: $vgpr28
	s_and_saveexec_b32 s0, s13
	s_cbranch_execz .LBB332_50
.LBB332_73:
	v_lshlrev_b32_e32 v28, 2, v29
	s_delay_alu instid0(VALU_DEP_1)
	v_add_co_u32 v28, vcc_lo, v3, v28
	v_add_co_ci_u32_e32 v29, vcc_lo, 0, v4, vcc_lo
	flat_load_b32 v28, v[28:29]
	s_or_b32 exec_lo, exec_lo, s0
                                        ; implicit-def: $vgpr29
	s_and_saveexec_b32 s0, s14
	s_cbranch_execz .LBB332_51
.LBB332_74:
	v_lshlrev_b32_e32 v29, 2, v30
	s_delay_alu instid0(VALU_DEP_1)
	v_add_co_u32 v29, vcc_lo, v3, v29
	v_add_co_ci_u32_e32 v30, vcc_lo, 0, v4, vcc_lo
	flat_load_b32 v29, v[29:30]
	s_or_b32 exec_lo, exec_lo, s0
                                        ; implicit-def: $vgpr30
	s_and_saveexec_b32 s0, s15
	s_cbranch_execnz .LBB332_52
	s_branch .LBB332_53
.LBB332_75:
	s_mov_b32 s42, 0
                                        ; implicit-def: $sgpr0
                                        ; implicit-def: $vgpr71
                                        ; implicit-def: $vgpr64
                                        ; implicit-def: $vgpr65
                                        ; implicit-def: $vgpr66
                                        ; implicit-def: $vgpr67
                                        ; implicit-def: $vgpr68
                                        ; implicit-def: $vgpr69
                                        ; implicit-def: $vgpr70
                                        ; implicit-def: $vgpr72
                                        ; implicit-def: $vgpr73
                                        ; implicit-def: $vgpr74
                                        ; implicit-def: $vgpr75
                                        ; implicit-def: $vgpr76
                                        ; implicit-def: $vgpr77
	s_cbranch_execz .LBB332_59
; %bb.76:
	v_cmp_ne_u32_e32 vcc_lo, v10, v63
	v_lshlrev_b32_e32 v3, 2, v0
                                        ; implicit-def: $sgpr0
	v_cndmask_b32_e64 v71, 0, 1, vcc_lo
	v_cmp_ne_u32_e32 vcc_lo, v9, v10
	ds_store_b32 v3, v63
	s_waitcnt lgkmcnt(0)
	s_barrier
	buffer_gl0_inv
	v_cndmask_b32_e64 v64, 0, 1, vcc_lo
	v_cmp_ne_u32_e32 vcc_lo, v12, v9
	v_cndmask_b32_e64 v65, 0, 1, vcc_lo
	v_cmp_ne_u32_e32 vcc_lo, v11, v12
	;; [unrolled: 2-line block ×12, first 2 shown]
	v_cndmask_b32_e64 v77, 0, 1, vcc_lo
	s_and_saveexec_b32 s1, s3
	s_delay_alu instid0(SALU_CYCLE_1)
	s_xor_b32 s1, exec_lo, s1
	s_cbranch_execz .LBB332_78
; %bb.77:
	v_add_nc_u32_e32 v3, -4, v3
	s_or_b32 s42, s42, exec_lo
	ds_load_b32 v3, v3
	s_waitcnt lgkmcnt(0)
	v_cmp_ne_u32_e32 vcc_lo, v3, v21
	s_and_b32 s0, vcc_lo, exec_lo
.LBB332_78:
	s_or_b32 exec_lo, exec_lo, s1
	s_mov_b32 s1, 1
	s_branch .LBB332_87
.LBB332_79:
	s_mul_hi_u32 s0, s18, 0xfffff100
	s_mul_i32 s1, s19, 0xfffff100
	s_sub_i32 s0, s0, s18
	s_mul_i32 s4, s18, 0xfffff100
	s_add_i32 s0, s0, s1
	s_add_u32 s24, s4, s44
	s_addc_u32 s25, s0, s45
	s_and_b32 vcc_lo, exec_lo, s15
	s_cbranch_vccz .LBB332_84
; %bb.80:
	v_add_co_u32 v2, vcc_lo, -4, v2
	v_add_co_ci_u32_e32 v3, vcc_lo, -1, v1, vcc_lo
	v_mad_u32_u24 v1, v0, 15, 14
	v_cmp_ne_u32_e64 s8, v10, v63
	v_cmp_ne_u32_e64 s10, v12, v9
	flat_load_b32 v5, v[2:3]
	v_mov_b32_e32 v2, 0
	v_cmp_ne_u32_e64 s12, v14, v11
	v_cmp_ne_u32_e64 s11, v11, v12
	v_lshlrev_b32_e32 v4, 2, v0
	v_mul_u32_u24_e32 v3, 15, v0
	v_cmp_gt_u64_e32 vcc_lo, s[24:25], v[1:2]
	v_mad_u32_u24 v1, v0, 15, 13
	s_mov_b32 s42, -1
	s_mov_b32 s14, 0
	ds_store_b32 v4, v63
	s_waitcnt vmcnt(0) lgkmcnt(0)
	v_cmp_gt_u64_e64 s0, s[24:25], v[1:2]
	v_mad_u32_u24 v1, v0, 15, 12
	s_and_b32 s15, vcc_lo, s8
	v_cmp_ne_u32_e64 s8, v9, v10
	s_barrier
	buffer_gl0_inv
	v_cmp_gt_u64_e64 s1, s[24:25], v[1:2]
	v_mad_u32_u24 v1, v0, 15, 11
	s_and_b32 s16, s0, s8
	v_cmp_ne_u32_e64 s8, v18, v15
	s_delay_alu instid0(VALU_DEP_2) | instskip(SKIP_3) | instid1(VALU_DEP_2)
	v_cmp_gt_u64_e64 s4, s[24:25], v[1:2]
	v_mad_u32_u24 v1, v0, 15, 10
	s_and_b32 s17, s1, s10
	v_cmp_ne_u32_e64 s1, v13, v14
	v_cmp_gt_u64_e64 s5, s[24:25], v[1:2]
	v_mad_u32_u24 v1, v0, 15, 9
	s_and_b32 s11, s4, s11
	v_cmp_ne_u32_e64 s4, v16, v13
	s_delay_alu instid0(VALU_DEP_2) | instskip(SKIP_3) | instid1(VALU_DEP_2)
	v_cmp_gt_u64_e64 s6, s[24:25], v[1:2]
	v_mad_u32_u24 v1, v0, 15, 8
	s_and_b32 s12, s5, s12
	v_cmp_ne_u32_e64 s5, v15, v16
	v_cmp_gt_u64_e64 s7, s[24:25], v[1:2]
	v_mad_u32_u24 v1, v0, 15, 7
	s_and_b32 s18, s6, s1
	v_cmp_ne_u32_e64 s1, v17, v18
	v_cmp_ne_u32_e64 s6, v22, v19
	s_delay_alu instid0(VALU_DEP_3) | instskip(SKIP_3) | instid1(VALU_DEP_2)
	v_cmp_gt_u64_e64 s9, s[24:25], v[1:2]
	v_mad_u32_u24 v1, v0, 15, 6
	s_and_b32 s19, s7, s4
	v_cmp_ne_u32_e64 s4, v20, v17
	v_cmp_gt_u64_e32 vcc_lo, s[24:25], v[1:2]
	v_mad_u32_u24 v1, v0, 15, 5
	s_and_b32 s20, s9, s5
	v_cmp_ne_u32_e64 s5, v19, v20
	s_delay_alu instid0(VALU_DEP_2) | instskip(SKIP_3) | instid1(VALU_DEP_2)
	v_cmp_gt_u64_e64 s13, s[24:25], v[1:2]
	v_mad_u32_u24 v1, v0, 15, 4
	s_and_b32 s9, vcc_lo, s8
	v_cmp_ne_u32_e64 s8, v21, v22
	v_cmp_gt_u64_e64 s0, s[24:25], v[1:2]
	v_mad_u32_u24 v1, v0, 15, 3
	s_and_b32 s13, s13, s1
	s_delay_alu instid0(VALU_DEP_1) | instskip(SKIP_1) | instid1(VALU_DEP_4)
	v_cmp_gt_u64_e64 s10, s[24:25], v[1:2]
	v_mad_u32_u24 v1, v0, 15, 2
	s_and_b32 s0, s0, s4
	s_delay_alu instid0(VALU_DEP_1) | instskip(SKIP_1) | instid1(VALU_DEP_4)
	v_cmp_gt_u64_e32 vcc_lo, s[24:25], v[1:2]
	v_mad_u32_u24 v1, v0, 15, 1
	s_and_b32 s5, s10, s5
	s_delay_alu instid0(VALU_DEP_1) | instskip(SKIP_1) | instid1(VALU_DEP_1)
	v_cmp_gt_u64_e64 s7, s[24:25], v[1:2]
	s_and_b32 s1, vcc_lo, s6
	s_and_b32 s4, s7, s8
	s_and_saveexec_b32 s6, s3
	s_cbranch_execz .LBB332_82
; %bb.81:
	v_add_nc_u32_e32 v1, -4, v4
	ds_load_b32 v5, v1
.LBB332_82:
	s_or_b32 exec_lo, exec_lo, s6
	v_mov_b32_e32 v4, v2
	v_cndmask_b32_e64 v74, 0, 1, s0
	s_waitcnt lgkmcnt(0)
	v_cmp_ne_u32_e64 s0, v5, v21
	v_cndmask_b32_e64 v71, 0, 1, s15
	v_cndmask_b32_e64 v64, 0, 1, s16
	v_cmp_gt_u64_e32 vcc_lo, s[24:25], v[3:4]
	v_cndmask_b32_e64 v65, 0, 1, s17
	v_cndmask_b32_e64 v66, 0, 1, s11
	;; [unrolled: 1-line block ×11, first 2 shown]
	s_and_b32 s0, vcc_lo, s0
	s_and_b32 vcc_lo, exec_lo, s14
	s_cbranch_vccnz .LBB332_85
.LBB332_83:
                                        ; implicit-def: $sgpr1
	v_mov_b32_e32 v78, s1
	s_and_saveexec_b32 s1, s42
	s_cbranch_execnz .LBB332_88
	s_branch .LBB332_89
.LBB332_84:
                                        ; implicit-def: $sgpr0
                                        ; implicit-def: $vgpr71
                                        ; implicit-def: $vgpr64
                                        ; implicit-def: $vgpr65
                                        ; implicit-def: $vgpr66
                                        ; implicit-def: $vgpr67
                                        ; implicit-def: $vgpr68
                                        ; implicit-def: $vgpr69
                                        ; implicit-def: $vgpr70
                                        ; implicit-def: $vgpr72
                                        ; implicit-def: $vgpr73
                                        ; implicit-def: $vgpr74
                                        ; implicit-def: $vgpr75
                                        ; implicit-def: $vgpr76
                                        ; implicit-def: $vgpr77
	s_cbranch_execz .LBB332_83
.LBB332_85:
	v_mad_u32_u24 v1, v0, 15, 14
	v_dual_mov_b32 v2, 0 :: v_dual_lshlrev_b32 v3, 2, v0
	v_cmp_ne_u32_e64 s7, v9, v10
	v_cmp_ne_u32_e64 s6, v10, v63
	;; [unrolled: 1-line block ×3, first 2 shown]
	s_delay_alu instid0(VALU_DEP_4)
	v_cmp_gt_u64_e32 vcc_lo, s[24:25], v[1:2]
	v_mad_u32_u24 v1, v0, 15, 13
	v_cmp_ne_u32_e64 s10, v11, v12
	v_cmp_ne_u32_e64 s11, v14, v11
	;; [unrolled: 1-line block ×4, first 2 shown]
	v_cmp_gt_u64_e64 s0, s[24:25], v[1:2]
	v_mad_u32_u24 v1, v0, 15, 12
	s_and_b32 s6, vcc_lo, s6
	v_cmp_ne_u32_e64 s15, v15, v16
	v_cmp_ne_u32_e64 s16, v18, v15
	;; [unrolled: 1-line block ×3, first 2 shown]
	v_cmp_gt_u64_e64 s1, s[24:25], v[1:2]
	v_mad_u32_u24 v1, v0, 15, 11
	s_and_b32 s0, s0, s7
	v_cmp_ne_u32_e64 s18, v20, v17
	v_cndmask_b32_e64 v64, 0, 1, s0
	v_cmp_ne_u32_e64 s20, v19, v20
	v_cmp_gt_u64_e64 s4, s[24:25], v[1:2]
	v_mad_u32_u24 v1, v0, 15, 10
	s_and_b32 s0, s1, s8
	v_cmp_ne_u32_e64 s21, v22, v19
	v_cndmask_b32_e64 v65, 0, 1, s0
	v_cmp_ne_u32_e64 s22, v21, v22
	v_cmp_gt_u64_e64 s5, s[24:25], v[1:2]
	v_mad_u32_u24 v1, v0, 15, 9
	s_and_b32 s0, s4, s10
	v_cndmask_b32_e64 v71, 0, 1, s6
	v_cndmask_b32_e64 v66, 0, 1, s0
	ds_store_b32 v3, v63
	v_cmp_gt_u64_e64 s9, s[24:25], v[1:2]
	v_mad_u32_u24 v1, v0, 15, 8
	s_and_b32 s1, s5, s11
	s_waitcnt lgkmcnt(0)
	v_cndmask_b32_e64 v67, 0, 1, s1
	s_barrier
	v_cmp_gt_u64_e64 s14, s[24:25], v[1:2]
	v_mad_u32_u24 v1, v0, 15, 7
	s_and_b32 s1, s9, s12
	buffer_gl0_inv
	v_cndmask_b32_e64 v68, 0, 1, s1
	v_cmp_gt_u64_e64 s19, s[24:25], v[1:2]
	v_mad_u32_u24 v1, v0, 15, 6
	s_and_b32 s4, s14, s13
	s_delay_alu instid0(SALU_CYCLE_1) | instskip(NEXT) | instid1(VALU_DEP_2)
	v_cndmask_b32_e64 v69, 0, 1, s4
	v_cmp_gt_u64_e64 s23, s[24:25], v[1:2]
	v_mad_u32_u24 v1, v0, 15, 5
	s_and_b32 s4, s19, s15
	s_delay_alu instid0(SALU_CYCLE_1) | instskip(NEXT) | instid1(VALU_DEP_2)
	v_cndmask_b32_e64 v70, 0, 1, s4
	v_cmp_gt_u64_e32 vcc_lo, s[24:25], v[1:2]
	v_mad_u32_u24 v1, v0, 15, 4
	s_and_b32 s5, s23, s16
	s_delay_alu instid0(SALU_CYCLE_1) | instskip(NEXT) | instid1(VALU_DEP_2)
	v_cndmask_b32_e64 v72, 0, 1, s5
	v_cmp_gt_u64_e64 s0, s[24:25], v[1:2]
	v_mad_u32_u24 v1, v0, 15, 3
	s_and_b32 s5, vcc_lo, s17
	s_delay_alu instid0(SALU_CYCLE_1) | instskip(NEXT) | instid1(VALU_DEP_2)
	v_cndmask_b32_e64 v73, 0, 1, s5
	v_cmp_gt_u64_e64 s1, s[24:25], v[1:2]
	v_mad_u32_u24 v1, v0, 15, 2
	s_and_b32 s0, s0, s18
	s_delay_alu instid0(SALU_CYCLE_1) | instskip(NEXT) | instid1(VALU_DEP_2)
	v_cndmask_b32_e64 v74, 0, 1, s0
	v_cmp_gt_u64_e64 s4, s[24:25], v[1:2]
	v_mad_u32_u24 v1, v0, 15, 1
	s_and_b32 s0, s1, s20
	s_mov_b32 s1, 1
	v_cndmask_b32_e64 v75, 0, 1, s0
	s_delay_alu instid0(VALU_DEP_2) | instskip(SKIP_1) | instid1(SALU_CYCLE_1)
	v_cmp_gt_u64_e32 vcc_lo, s[24:25], v[1:2]
	s_and_b32 s0, s4, s21
	v_cndmask_b32_e64 v76, 0, 1, s0
	s_and_b32 s0, vcc_lo, s22
	s_delay_alu instid0(SALU_CYCLE_1)
	v_cndmask_b32_e64 v77, 0, 1, s0
                                        ; implicit-def: $sgpr0
	s_and_saveexec_b32 s4, s3
	s_cbranch_execz .LBB332_172
; %bb.86:
	v_add_nc_u32_e32 v1, -4, v3
	s_or_b32 s42, s42, exec_lo
	ds_load_b32 v3, v1
	v_mul_u32_u24_e32 v1, 15, v0
	s_delay_alu instid0(VALU_DEP_1) | instskip(SKIP_2) | instid1(VALU_DEP_1)
	v_cmp_gt_u64_e32 vcc_lo, s[24:25], v[1:2]
	s_waitcnt lgkmcnt(0)
	v_cmp_ne_u32_e64 s0, v3, v21
	s_and_b32 s0, vcc_lo, s0
	s_delay_alu instid0(SALU_CYCLE_1)
	s_and_b32 s0, s0, exec_lo
	s_or_b32 exec_lo, exec_lo, s4
.LBB332_87:
	v_mov_b32_e32 v78, s1
	s_and_saveexec_b32 s1, s42
.LBB332_88:
	s_delay_alu instid0(VALU_DEP_2)
	v_cndmask_b32_e64 v78, 0, 1, s0
.LBB332_89:
	s_or_b32 exec_lo, exec_lo, s1
	s_delay_alu instid0(VALU_DEP_1)
	v_add3_u32 v1, v77, v78, v76
	v_cmp_eq_u32_e64 s13, 0, v77
	v_cmp_eq_u32_e64 s12, 0, v76
	;; [unrolled: 1-line block ×4, first 2 shown]
	v_add3_u32 v84, v1, v75, v74
	v_cmp_eq_u32_e64 s9, 0, v73
	v_cmp_eq_u32_e64 s8, 0, v72
	v_cmp_eq_u32_e64 s7, 0, v70
	v_cmp_eq_u32_e64 s6, 0, v69
	v_cmp_eq_u32_e64 s5, 0, v68
	v_cmp_eq_u32_e64 s4, 0, v67
	v_cmp_eq_u32_e64 s3, 0, v66
	v_cmp_eq_u32_e64 s1, 0, v65
	v_cmp_eq_u32_e64 s0, 0, v64
	v_cmp_eq_u32_e32 vcc_lo, 0, v71
	v_mbcnt_lo_u32_b32 v81, -1, 0
	v_lshrrev_b32_e32 v82, 5, v0
	v_or_b32_e32 v83, 31, v0
	s_cmp_eq_u64 s[38:39], 0
	s_cselect_b32 s16, -1, 0
	s_cmp_lg_u32 s48, 0
	s_cbranch_scc0 .LBB332_120
; %bb.90:
	v_cndmask_b32_e64 v1, 0, v35, s13
	v_add3_u32 v2, v84, v73, v72
	s_delay_alu instid0(VALU_DEP_2) | instskip(NEXT) | instid1(VALU_DEP_2)
	v_add_nc_u32_e32 v1, v1, v36
	v_add3_u32 v2, v2, v70, v69
	s_delay_alu instid0(VALU_DEP_2) | instskip(NEXT) | instid1(VALU_DEP_2)
	v_cndmask_b32_e64 v1, 0, v1, s12
	v_add3_u32 v2, v2, v68, v67
	s_delay_alu instid0(VALU_DEP_2) | instskip(NEXT) | instid1(VALU_DEP_2)
	v_add_nc_u32_e32 v1, v1, v33
	v_add3_u32 v2, v2, v66, v65
	s_delay_alu instid0(VALU_DEP_2) | instskip(NEXT) | instid1(VALU_DEP_2)
	v_cndmask_b32_e64 v1, 0, v1, s11
	v_add3_u32 v2, v2, v64, v71
	s_delay_alu instid0(VALU_DEP_2) | instskip(NEXT) | instid1(VALU_DEP_2)
	v_add_nc_u32_e32 v1, v1, v34
	v_mov_b32_dpp v5, v2 row_shr:1 row_mask:0xf bank_mask:0xf
	s_delay_alu instid0(VALU_DEP_2) | instskip(NEXT) | instid1(VALU_DEP_1)
	v_cndmask_b32_e64 v1, 0, v1, s10
	v_add_nc_u32_e32 v1, v1, v31
	s_delay_alu instid0(VALU_DEP_1) | instskip(NEXT) | instid1(VALU_DEP_1)
	v_cndmask_b32_e64 v1, 0, v1, s9
	v_add_nc_u32_e32 v1, v1, v32
	s_delay_alu instid0(VALU_DEP_1) | instskip(NEXT) | instid1(VALU_DEP_1)
	;; [unrolled: 3-line block ×9, first 2 shown]
	v_cndmask_b32_e64 v1, 0, v1, s0
	v_add_nc_u32_e32 v1, v1, v24
	s_delay_alu instid0(VALU_DEP_1) | instskip(SKIP_1) | instid1(VALU_DEP_2)
	v_cndmask_b32_e32 v1, 0, v1, vcc_lo
	v_cmp_eq_u32_e32 vcc_lo, 0, v2
	v_add_nc_u32_e32 v1, v1, v79
	s_delay_alu instid0(VALU_DEP_1) | instskip(NEXT) | instid1(VALU_DEP_1)
	v_mov_b32_dpp v3, v1 row_shr:1 row_mask:0xf bank_mask:0xf
	v_dual_cndmask_b32 v3, 0, v3 :: v_dual_and_b32 v4, 15, v81
	s_delay_alu instid0(VALU_DEP_1) | instskip(SKIP_2) | instid1(VALU_DEP_4)
	v_cmp_eq_u32_e32 vcc_lo, 0, v4
	v_cmp_lt_u32_e64 s14, 1, v4
	v_cndmask_b32_e64 v5, v5, 0, vcc_lo
	v_cndmask_b32_e64 v3, v3, 0, vcc_lo
	s_delay_alu instid0(VALU_DEP_2) | instskip(NEXT) | instid1(VALU_DEP_2)
	v_add_nc_u32_e32 v2, v5, v2
	v_add_nc_u32_e32 v1, v3, v1
	s_delay_alu instid0(VALU_DEP_2) | instskip(SKIP_1) | instid1(VALU_DEP_3)
	v_mov_b32_dpp v3, v2 row_shr:2 row_mask:0xf bank_mask:0xf
	v_cmp_eq_u32_e32 vcc_lo, 0, v2
	v_mov_b32_dpp v5, v1 row_shr:2 row_mask:0xf bank_mask:0xf
	s_delay_alu instid0(VALU_DEP_3) | instskip(SKIP_2) | instid1(VALU_DEP_2)
	v_cndmask_b32_e64 v3, 0, v3, s14
	s_and_b32 vcc_lo, s14, vcc_lo
	v_cmp_lt_u32_e64 s14, 3, v4
	v_dual_cndmask_b32 v5, 0, v5 :: v_dual_add_nc_u32 v2, v2, v3
	s_delay_alu instid0(VALU_DEP_1) | instskip(NEXT) | instid1(VALU_DEP_2)
	v_add_nc_u32_e32 v1, v5, v1
	v_mov_b32_dpp v3, v2 row_shr:4 row_mask:0xf bank_mask:0xf
	v_cmp_eq_u32_e32 vcc_lo, 0, v2
	s_delay_alu instid0(VALU_DEP_3) | instskip(NEXT) | instid1(VALU_DEP_3)
	v_mov_b32_dpp v5, v1 row_shr:4 row_mask:0xf bank_mask:0xf
	v_cndmask_b32_e64 v3, 0, v3, s14
	s_and_b32 vcc_lo, s14, vcc_lo
	v_cmp_lt_u32_e64 s14, 7, v4
	s_delay_alu instid0(VALU_DEP_2) | instskip(NEXT) | instid1(VALU_DEP_1)
	v_dual_cndmask_b32 v5, 0, v5 :: v_dual_add_nc_u32 v2, v3, v2
	v_add_nc_u32_e32 v1, v1, v5
	v_bfe_i32 v5, v81, 4, 1
	s_delay_alu instid0(VALU_DEP_3) | instskip(SKIP_1) | instid1(VALU_DEP_4)
	v_cmp_eq_u32_e32 vcc_lo, 0, v2
	v_mov_b32_dpp v3, v2 row_shr:8 row_mask:0xf bank_mask:0xf
	v_mov_b32_dpp v4, v1 row_shr:8 row_mask:0xf bank_mask:0xf
	s_and_b32 vcc_lo, s14, vcc_lo
	s_delay_alu instid0(VALU_DEP_2) | instskip(SKIP_1) | instid1(VALU_DEP_2)
	v_cndmask_b32_e64 v3, 0, v3, s14
	s_mov_b32 s14, exec_lo
	v_cndmask_b32_e32 v4, 0, v4, vcc_lo
	s_delay_alu instid0(VALU_DEP_1) | instskip(NEXT) | instid1(VALU_DEP_3)
	v_add_nc_u32_e32 v4, v4, v1
	v_add_nc_u32_e32 v1, v3, v2
	ds_swizzle_b32 v2, v4 offset:swizzle(BROADCAST,32,15)
	ds_swizzle_b32 v3, v1 offset:swizzle(BROADCAST,32,15)
	v_cmp_eq_u32_e32 vcc_lo, 0, v1
	s_waitcnt lgkmcnt(0)
	v_dual_cndmask_b32 v2, 0, v2 :: v_dual_and_b32 v3, v5, v3
	s_delay_alu instid0(VALU_DEP_1) | instskip(NEXT) | instid1(VALU_DEP_2)
	v_and_b32_e32 v2, v5, v2
	v_add_nc_u32_e32 v1, v3, v1
	v_lshlrev_b32_e32 v3, 3, v82
	s_delay_alu instid0(VALU_DEP_3)
	v_add_nc_u32_e32 v2, v2, v4
	v_cmpx_eq_u32_e64 v83, v0
	s_cbranch_execz .LBB332_92
; %bb.91:
	ds_store_b64 v3, v[1:2] offset:2064
.LBB332_92:
	s_or_b32 exec_lo, exec_lo, s14
	s_delay_alu instid0(SALU_CYCLE_1)
	s_mov_b32 s15, exec_lo
	s_waitcnt lgkmcnt(0)
	s_barrier
	buffer_gl0_inv
	v_cmpx_gt_u32_e32 8, v0
	s_cbranch_execz .LBB332_94
; %bb.93:
	v_lshlrev_b32_e32 v6, 3, v0
	v_and_b32_e32 v8, 7, v81
	ds_load_b64 v[4:5], v6 offset:2064
	v_cmp_lt_u32_e64 s14, 1, v8
	s_waitcnt lgkmcnt(0)
	v_mov_b32_dpp v7, v5 row_shr:1 row_mask:0xf bank_mask:0xf
	v_cmp_eq_u32_e32 vcc_lo, 0, v4
	v_mov_b32_dpp v37, v4 row_shr:1 row_mask:0xf bank_mask:0xf
	s_delay_alu instid0(VALU_DEP_3) | instskip(SKIP_1) | instid1(VALU_DEP_3)
	v_cndmask_b32_e32 v7, 0, v7, vcc_lo
	v_cmp_eq_u32_e32 vcc_lo, 0, v8
	v_cndmask_b32_e64 v37, v37, 0, vcc_lo
	s_delay_alu instid0(VALU_DEP_3) | instskip(NEXT) | instid1(VALU_DEP_2)
	v_cndmask_b32_e64 v7, v7, 0, vcc_lo
	v_add_nc_u32_e32 v4, v37, v4
	s_delay_alu instid0(VALU_DEP_2) | instskip(NEXT) | instid1(VALU_DEP_2)
	v_add_nc_u32_e32 v5, v7, v5
	v_cmp_eq_u32_e32 vcc_lo, 0, v4
	s_delay_alu instid0(VALU_DEP_2) | instskip(SKIP_1) | instid1(VALU_DEP_1)
	v_mov_b32_dpp v37, v5 row_shr:2 row_mask:0xf bank_mask:0xf
	s_and_b32 vcc_lo, s14, vcc_lo
	v_cndmask_b32_e32 v37, 0, v37, vcc_lo
	v_mov_b32_dpp v7, v4 row_shr:2 row_mask:0xf bank_mask:0xf
	s_delay_alu instid0(VALU_DEP_2) | instskip(NEXT) | instid1(VALU_DEP_2)
	v_add_nc_u32_e32 v5, v37, v5
	v_cndmask_b32_e64 v7, 0, v7, s14
	v_cmp_lt_u32_e64 s14, 3, v8
	s_delay_alu instid0(VALU_DEP_3) | instskip(NEXT) | instid1(VALU_DEP_3)
	v_mov_b32_dpp v8, v5 row_shr:4 row_mask:0xf bank_mask:0xf
	v_add_nc_u32_e32 v4, v7, v4
	s_delay_alu instid0(VALU_DEP_1) | instskip(SKIP_2) | instid1(VALU_DEP_1)
	v_cmp_eq_u32_e32 vcc_lo, 0, v4
	v_mov_b32_dpp v7, v4 row_shr:4 row_mask:0xf bank_mask:0xf
	s_and_b32 vcc_lo, s14, vcc_lo
	v_cndmask_b32_e64 v7, 0, v7, s14
	v_cndmask_b32_e32 v8, 0, v8, vcc_lo
	s_delay_alu instid0(VALU_DEP_2) | instskip(NEXT) | instid1(VALU_DEP_2)
	v_add_nc_u32_e32 v4, v7, v4
	v_add_nc_u32_e32 v5, v8, v5
	ds_store_b64 v6, v[4:5] offset:2064
.LBB332_94:
	s_or_b32 exec_lo, exec_lo, s15
	v_cmp_gt_u32_e32 vcc_lo, 32, v0
	v_dual_mov_b32 v37, 0 :: v_dual_mov_b32 v38, 0
	s_mov_b32 s15, exec_lo
	s_waitcnt lgkmcnt(0)
	s_barrier
	buffer_gl0_inv
	v_cmpx_lt_u32_e32 31, v0
	s_cbranch_execz .LBB332_96
; %bb.95:
	ds_load_b64 v[37:38], v3 offset:2056
	v_cmp_eq_u32_e64 s14, 0, v1
	s_waitcnt lgkmcnt(0)
	s_delay_alu instid0(VALU_DEP_1) | instskip(SKIP_1) | instid1(VALU_DEP_2)
	v_cndmask_b32_e64 v3, 0, v38, s14
	v_add_nc_u32_e32 v1, v37, v1
	v_add_nc_u32_e32 v2, v3, v2
.LBB332_96:
	s_or_b32 exec_lo, exec_lo, s15
	v_add_nc_u32_e32 v3, -1, v81
	s_delay_alu instid0(VALU_DEP_1) | instskip(NEXT) | instid1(VALU_DEP_1)
	v_cmp_gt_i32_e64 s14, 0, v3
	v_cndmask_b32_e64 v3, v3, v81, s14
	v_cmp_eq_u32_e64 s14, 0, v81
	s_delay_alu instid0(VALU_DEP_2)
	v_lshlrev_b32_e32 v3, 2, v3
	ds_bpermute_b32 v43, v3, v1
	ds_bpermute_b32 v44, v3, v2
	s_and_saveexec_b32 s17, vcc_lo
	s_cbranch_execz .LBB332_119
; %bb.97:
	v_mov_b32_e32 v4, 0
	ds_load_b64 v[1:2], v4 offset:2120
	s_waitcnt lgkmcnt(0)
	v_readfirstlane_b32 s18, v2
	s_and_saveexec_b32 s15, s14
	s_cbranch_execz .LBB332_99
; %bb.98:
	s_add_i32 s20, s48, 32
	s_mov_b32 s21, 0
	v_mov_b32_e32 v3, 1
	s_lshl_b64 s[22:23], s[20:21], 4
	s_mov_b32 s24, s21
	s_add_u32 s22, s36, s22
	s_addc_u32 s23, s37, s23
	s_and_b32 s25, s18, 0xff000000
	s_and_b32 s39, s18, 0xff0000
	s_mov_b32 s38, s21
	v_dual_mov_b32 v5, s22 :: v_dual_mov_b32 v6, s23
	s_or_b64 s[24:25], s[38:39], s[24:25]
	s_and_b32 s39, s18, 0xff00
	s_delay_alu instid0(SALU_CYCLE_1) | instskip(SKIP_1) | instid1(SALU_CYCLE_1)
	s_or_b64 s[24:25], s[24:25], s[38:39]
	s_and_b32 s39, s18, 0xff
	s_or_b64 s[20:21], s[24:25], s[38:39]
	s_delay_alu instid0(SALU_CYCLE_1)
	v_mov_b32_e32 v2, s21
	;;#ASMSTART
	global_store_dwordx4 v[5:6], v[1:4] off	
s_waitcnt vmcnt(0)
	;;#ASMEND
.LBB332_99:
	s_or_b32 exec_lo, exec_lo, s15
	v_xad_u32 v39, v81, -1, s48
	s_mov_b32 s19, 0
	s_mov_b32 s15, exec_lo
	s_delay_alu instid0(VALU_DEP_1) | instskip(NEXT) | instid1(VALU_DEP_1)
	v_add_nc_u32_e32 v3, 32, v39
	v_lshlrev_b64 v[2:3], 4, v[3:4]
	s_delay_alu instid0(VALU_DEP_1) | instskip(NEXT) | instid1(VALU_DEP_2)
	v_add_co_u32 v2, vcc_lo, s36, v2
	v_add_co_ci_u32_e32 v3, vcc_lo, s37, v3, vcc_lo
	;;#ASMSTART
	global_load_dwordx4 v[5:8], v[2:3] off glc	
s_waitcnt vmcnt(0)
	;;#ASMEND
	v_and_b32_e32 v4, 0xff, v6
	v_and_b32_e32 v8, 0xff00, v6
	;; [unrolled: 1-line block ×3, first 2 shown]
	v_or3_b32 v5, v5, 0, 0
	v_and_b32_e32 v6, 0xff000000, v6
	s_delay_alu instid0(VALU_DEP_4) | instskip(SKIP_1) | instid1(VALU_DEP_4)
	v_or3_b32 v4, 0, v4, v8
	v_and_b32_e32 v8, 0xff, v7
	v_or3_b32 v5, v5, 0, 0
	s_delay_alu instid0(VALU_DEP_3) | instskip(NEXT) | instid1(VALU_DEP_3)
	v_or3_b32 v6, v4, v40, v6
	v_cmpx_eq_u16_e32 0, v8
	s_cbranch_execz .LBB332_105
; %bb.100:
	s_mov_b32 s20, 1
	.p2align	6
.LBB332_101:                            ; =>This Loop Header: Depth=1
                                        ;     Child Loop BB332_102 Depth 2
	s_delay_alu instid0(SALU_CYCLE_1)
	s_max_u32 s21, s20, 1
.LBB332_102:                            ;   Parent Loop BB332_101 Depth=1
                                        ; =>  This Inner Loop Header: Depth=2
	s_delay_alu instid0(SALU_CYCLE_1)
	s_add_i32 s21, s21, -1
	s_sleep 1
	s_cmp_eq_u32 s21, 0
	s_cbranch_scc0 .LBB332_102
; %bb.103:                              ;   in Loop: Header=BB332_101 Depth=1
	;;#ASMSTART
	global_load_dwordx4 v[5:8], v[2:3] off glc	
s_waitcnt vmcnt(0)
	;;#ASMEND
	v_and_b32_e32 v4, 0xff, v7
	s_cmp_lt_u32 s20, 32
	s_cselect_b32 s21, -1, 0
	s_delay_alu instid0(VALU_DEP_1) | instskip(SKIP_3) | instid1(SALU_CYCLE_1)
	v_cmp_ne_u16_e32 vcc_lo, 0, v4
	s_cmp_lg_u32 s21, 0
	s_addc_u32 s20, s20, 0
	s_or_b32 s19, vcc_lo, s19
	s_and_not1_b32 exec_lo, exec_lo, s19
	s_cbranch_execnz .LBB332_101
; %bb.104:
	s_or_b32 exec_lo, exec_lo, s19
.LBB332_105:
	s_delay_alu instid0(SALU_CYCLE_1)
	s_or_b32 exec_lo, exec_lo, s15
	v_cmp_ne_u32_e32 vcc_lo, 31, v81
	v_and_b32_e32 v3, 0xff, v7
	v_lshlrev_b32_e64 v45, v81, -1
	v_add_nc_u32_e32 v47, 2, v81
	v_add_nc_u32_e32 v49, 4, v81
	v_add_co_ci_u32_e32 v2, vcc_lo, 0, v81, vcc_lo
	v_cmp_eq_u16_e32 vcc_lo, 2, v3
	v_add_nc_u32_e32 v51, 8, v81
	v_add_nc_u32_e32 v53, 16, v81
	v_and_or_b32 v8, vcc_lo, v45, 0x80000000
	v_cmp_gt_u32_e32 vcc_lo, 30, v81
	s_delay_alu instid0(VALU_DEP_2) | instskip(SKIP_2) | instid1(VALU_DEP_3)
	v_ctz_i32_b32_e32 v8, v8
	v_cndmask_b32_e64 v40, 0, 1, vcc_lo
	v_cmp_eq_u32_e32 vcc_lo, 0, v5
	v_cmp_lt_u32_e64 s15, v81, v8
	s_delay_alu instid0(VALU_DEP_3) | instskip(NEXT) | instid1(VALU_DEP_2)
	v_lshlrev_b32_e32 v40, 1, v40
	s_and_b32 vcc_lo, s15, vcc_lo
	v_lshlrev_b32_e32 v2, 2, v2
	s_delay_alu instid0(VALU_DEP_2)
	v_add_lshl_u32 v46, v40, v81, 2
	ds_bpermute_b32 v3, v2, v6
	s_waitcnt lgkmcnt(0)
	v_cndmask_b32_e32 v3, 0, v3, vcc_lo
	ds_bpermute_b32 v4, v2, v5
	v_cmp_gt_u32_e32 vcc_lo, 28, v81
	v_add_nc_u32_e32 v3, v3, v6
	ds_bpermute_b32 v6, v46, v3
	s_waitcnt lgkmcnt(1)
	v_cndmask_b32_e64 v4, 0, v4, s15
	s_delay_alu instid0(VALU_DEP_1) | instskip(SKIP_1) | instid1(VALU_DEP_2)
	v_add_nc_u32_e32 v4, v4, v5
	v_cndmask_b32_e64 v5, 0, 1, vcc_lo
	v_cmp_eq_u32_e32 vcc_lo, 0, v4
	ds_bpermute_b32 v40, v46, v4
	s_waitcnt lgkmcnt(1)
	v_dual_cndmask_b32 v6, 0, v6 :: v_dual_lshlrev_b32 v5, 2, v5
	v_cmp_gt_u32_e32 vcc_lo, v47, v8
	s_delay_alu instid0(VALU_DEP_2) | instskip(NEXT) | instid1(VALU_DEP_3)
	v_add_lshl_u32 v48, v5, v81, 2
	v_cndmask_b32_e64 v6, v6, 0, vcc_lo
	s_delay_alu instid0(VALU_DEP_1) | instskip(SKIP_4) | instid1(VALU_DEP_2)
	v_add_nc_u32_e32 v3, v6, v3
	ds_bpermute_b32 v5, v48, v3
	s_waitcnt lgkmcnt(1)
	v_cndmask_b32_e64 v6, v40, 0, vcc_lo
	v_cmp_gt_u32_e32 vcc_lo, 24, v81
	v_add_nc_u32_e32 v4, v4, v6
	v_cndmask_b32_e64 v40, 0, 1, vcc_lo
	ds_bpermute_b32 v6, v48, v4
	v_cmp_eq_u32_e32 vcc_lo, 0, v4
	v_lshlrev_b32_e32 v40, 3, v40
	s_delay_alu instid0(VALU_DEP_1) | instskip(SKIP_3) | instid1(VALU_DEP_2)
	v_add_lshl_u32 v50, v40, v81, 2
	s_waitcnt lgkmcnt(1)
	v_cndmask_b32_e32 v5, 0, v5, vcc_lo
	v_cmp_gt_u32_e32 vcc_lo, v49, v8
	v_cndmask_b32_e64 v5, v5, 0, vcc_lo
	s_delay_alu instid0(VALU_DEP_1)
	v_add_nc_u32_e32 v3, v3, v5
	s_waitcnt lgkmcnt(0)
	v_cndmask_b32_e64 v6, v6, 0, vcc_lo
	v_cmp_gt_u32_e32 vcc_lo, 16, v81
	ds_bpermute_b32 v5, v50, v3
	v_add_nc_u32_e32 v4, v4, v6
	v_cndmask_b32_e64 v40, 0, 1, vcc_lo
	ds_bpermute_b32 v6, v50, v4
	v_cmp_eq_u32_e32 vcc_lo, 0, v4
	v_lshlrev_b32_e32 v40, 4, v40
	s_delay_alu instid0(VALU_DEP_1) | instskip(SKIP_3) | instid1(VALU_DEP_2)
	v_add_lshl_u32 v52, v40, v81, 2
	s_waitcnt lgkmcnt(1)
	v_dual_mov_b32 v40, 0 :: v_dual_cndmask_b32 v5, 0, v5
	v_cmp_gt_u32_e32 vcc_lo, v51, v8
	v_cndmask_b32_e64 v5, v5, 0, vcc_lo
	s_delay_alu instid0(VALU_DEP_1)
	v_add_nc_u32_e32 v3, v3, v5
	s_waitcnt lgkmcnt(0)
	v_cndmask_b32_e64 v5, v6, 0, vcc_lo
	ds_bpermute_b32 v6, v52, v3
	v_add_nc_u32_e32 v4, v4, v5
	ds_bpermute_b32 v5, v52, v4
	v_cmp_eq_u32_e32 vcc_lo, 0, v4
	s_waitcnt lgkmcnt(1)
	v_cndmask_b32_e32 v6, 0, v6, vcc_lo
	v_cmp_gt_u32_e32 vcc_lo, v53, v8
	s_delay_alu instid0(VALU_DEP_2) | instskip(SKIP_2) | instid1(VALU_DEP_2)
	v_cndmask_b32_e64 v6, v6, 0, vcc_lo
	s_waitcnt lgkmcnt(0)
	v_cndmask_b32_e64 v5, v5, 0, vcc_lo
	v_add_nc_u32_e32 v6, v6, v3
	s_delay_alu instid0(VALU_DEP_2)
	v_add_nc_u32_e32 v5, v5, v4
	s_branch .LBB332_107
.LBB332_106:                            ;   in Loop: Header=BB332_107 Depth=1
	s_or_b32 exec_lo, exec_lo, s15
	v_and_b32_e32 v8, 0xff, v7
	ds_bpermute_b32 v41, v2, v5
	v_subrev_nc_u32_e32 v39, 32, v39
	v_cmp_eq_u16_e32 vcc_lo, 2, v8
	ds_bpermute_b32 v8, v2, v6
	v_and_or_b32 v42, vcc_lo, v45, 0x80000000
	v_cmp_eq_u32_e32 vcc_lo, 0, v5
	s_delay_alu instid0(VALU_DEP_2) | instskip(NEXT) | instid1(VALU_DEP_1)
	v_ctz_i32_b32_e32 v42, v42
	v_cmp_lt_u32_e64 s15, v81, v42
	s_delay_alu instid0(VALU_DEP_1) | instskip(SKIP_4) | instid1(VALU_DEP_2)
	s_and_b32 vcc_lo, s15, vcc_lo
	s_waitcnt lgkmcnt(1)
	v_cndmask_b32_e64 v41, 0, v41, s15
	s_waitcnt lgkmcnt(0)
	v_cndmask_b32_e32 v8, 0, v8, vcc_lo
	v_add_nc_u32_e32 v5, v41, v5
	s_delay_alu instid0(VALU_DEP_2)
	v_add_nc_u32_e32 v6, v8, v6
	ds_bpermute_b32 v41, v46, v5
	ds_bpermute_b32 v8, v46, v6
	v_cmp_eq_u32_e32 vcc_lo, 0, v5
	s_waitcnt lgkmcnt(0)
	v_cndmask_b32_e32 v8, 0, v8, vcc_lo
	v_cmp_gt_u32_e32 vcc_lo, v47, v42
	v_cndmask_b32_e64 v41, v41, 0, vcc_lo
	s_delay_alu instid0(VALU_DEP_1) | instskip(NEXT) | instid1(VALU_DEP_4)
	v_add_nc_u32_e32 v5, v5, v41
	v_cndmask_b32_e64 v8, v8, 0, vcc_lo
	ds_bpermute_b32 v41, v48, v5
	v_add_nc_u32_e32 v6, v8, v6
	v_cmp_eq_u32_e32 vcc_lo, 0, v5
	ds_bpermute_b32 v8, v48, v6
	s_waitcnt lgkmcnt(0)
	v_cndmask_b32_e32 v8, 0, v8, vcc_lo
	v_cmp_gt_u32_e32 vcc_lo, v49, v42
	v_cndmask_b32_e64 v41, v41, 0, vcc_lo
	s_delay_alu instid0(VALU_DEP_1) | instskip(NEXT) | instid1(VALU_DEP_4)
	v_add_nc_u32_e32 v5, v5, v41
	v_cndmask_b32_e64 v8, v8, 0, vcc_lo
	ds_bpermute_b32 v41, v50, v5
	v_add_nc_u32_e32 v6, v6, v8
	v_cmp_eq_u32_e32 vcc_lo, 0, v5
	ds_bpermute_b32 v8, v50, v6
	;; [unrolled: 11-line block ×3, first 2 shown]
	s_waitcnt lgkmcnt(0)
	v_cndmask_b32_e32 v8, 0, v8, vcc_lo
	v_cmp_gt_u32_e32 vcc_lo, v53, v42
	s_delay_alu instid0(VALU_DEP_2) | instskip(NEXT) | instid1(VALU_DEP_1)
	v_cndmask_b32_e64 v8, v8, 0, vcc_lo
	v_add_nc_u32_e32 v6, v8, v6
	v_cndmask_b32_e64 v8, v41, 0, vcc_lo
	v_cmp_eq_u32_e32 vcc_lo, 0, v3
	s_delay_alu instid0(VALU_DEP_2) | instskip(NEXT) | instid1(VALU_DEP_4)
	v_add3_u32 v5, v5, v3, v8
	v_cndmask_b32_e32 v6, 0, v6, vcc_lo
	s_delay_alu instid0(VALU_DEP_1)
	v_add_nc_u32_e32 v6, v6, v4
.LBB332_107:                            ; =>This Loop Header: Depth=1
                                        ;     Child Loop BB332_110 Depth 2
                                        ;       Child Loop BB332_111 Depth 3
	s_delay_alu instid0(VALU_DEP_1) | instskip(NEXT) | instid1(VALU_DEP_1)
	v_dual_mov_b32 v4, v6 :: v_dual_and_b32 v3, 0xff, v7
	v_cmp_ne_u16_e32 vcc_lo, 2, v3
	v_cndmask_b32_e64 v3, 0, 1, vcc_lo
	;;#ASMSTART
	;;#ASMEND
	s_delay_alu instid0(VALU_DEP_1)
	v_cmp_ne_u32_e32 vcc_lo, 0, v3
	v_mov_b32_e32 v3, v5
	s_cmp_lg_u32 vcc_lo, exec_lo
	s_cbranch_scc1 .LBB332_114
; %bb.108:                              ;   in Loop: Header=BB332_107 Depth=1
	v_lshlrev_b64 v[5:6], 4, v[39:40]
	s_mov_b32 s15, exec_lo
	s_delay_alu instid0(VALU_DEP_1) | instskip(NEXT) | instid1(VALU_DEP_2)
	v_add_co_u32 v41, vcc_lo, s36, v5
	v_add_co_ci_u32_e32 v42, vcc_lo, s37, v6, vcc_lo
	;;#ASMSTART
	global_load_dwordx4 v[5:8], v[41:42] off glc	
s_waitcnt vmcnt(0)
	;;#ASMEND
	v_and_b32_e32 v8, 0xff, v6
	v_and_b32_e32 v54, 0xff00, v6
	;; [unrolled: 1-line block ×3, first 2 shown]
	v_or3_b32 v5, v5, 0, 0
	v_and_b32_e32 v6, 0xff000000, v6
	s_delay_alu instid0(VALU_DEP_4) | instskip(SKIP_1) | instid1(VALU_DEP_4)
	v_or3_b32 v8, 0, v8, v54
	v_and_b32_e32 v54, 0xff, v7
	v_or3_b32 v5, v5, 0, 0
	s_delay_alu instid0(VALU_DEP_3) | instskip(NEXT) | instid1(VALU_DEP_3)
	v_or3_b32 v6, v8, v55, v6
	v_cmpx_eq_u16_e32 0, v54
	s_cbranch_execz .LBB332_106
; %bb.109:                              ;   in Loop: Header=BB332_107 Depth=1
	s_mov_b32 s20, 1
	s_mov_b32 s19, 0
	.p2align	6
.LBB332_110:                            ;   Parent Loop BB332_107 Depth=1
                                        ; =>  This Loop Header: Depth=2
                                        ;       Child Loop BB332_111 Depth 3
	s_max_u32 s21, s20, 1
.LBB332_111:                            ;   Parent Loop BB332_107 Depth=1
                                        ;     Parent Loop BB332_110 Depth=2
                                        ; =>    This Inner Loop Header: Depth=3
	s_delay_alu instid0(SALU_CYCLE_1)
	s_add_i32 s21, s21, -1
	s_sleep 1
	s_cmp_eq_u32 s21, 0
	s_cbranch_scc0 .LBB332_111
; %bb.112:                              ;   in Loop: Header=BB332_110 Depth=2
	;;#ASMSTART
	global_load_dwordx4 v[5:8], v[41:42] off glc	
s_waitcnt vmcnt(0)
	;;#ASMEND
	v_and_b32_e32 v8, 0xff, v7
	s_cmp_lt_u32 s20, 32
	s_cselect_b32 s21, -1, 0
	s_delay_alu instid0(SALU_CYCLE_1) | instskip(NEXT) | instid1(VALU_DEP_1)
	s_cmp_lg_u32 s21, 0
	v_cmp_ne_u16_e32 vcc_lo, 0, v8
	s_addc_u32 s20, s20, 0
	s_or_b32 s19, vcc_lo, s19
	s_delay_alu instid0(SALU_CYCLE_1)
	s_and_not1_b32 exec_lo, exec_lo, s19
	s_cbranch_execnz .LBB332_110
; %bb.113:                              ;   in Loop: Header=BB332_107 Depth=1
	s_or_b32 exec_lo, exec_lo, s19
	s_branch .LBB332_106
.LBB332_114:                            ;   in Loop: Header=BB332_107 Depth=1
                                        ; implicit-def: $vgpr6
                                        ; implicit-def: $vgpr5
                                        ; implicit-def: $vgpr7
	s_cbranch_execz .LBB332_107
; %bb.115:
	s_and_saveexec_b32 s15, s14
	s_cbranch_execz .LBB332_117
; %bb.116:
	v_cmp_eq_u32_e32 vcc_lo, 0, v1
	s_mov_b32 s21, 0
	s_add_i32 s20, s48, 32
	v_add_nc_u32_e32 v5, v3, v1
	s_lshl_b64 s[20:21], s[20:21], 4
	v_cndmask_b32_e32 v2, 0, v4, vcc_lo
	s_add_u32 s20, s36, s20
	s_addc_u32 s21, s37, s21
	v_mov_b32_e32 v8, 0
	s_delay_alu instid0(VALU_DEP_2) | instskip(NEXT) | instid1(VALU_DEP_1)
	v_add_nc_u32_e32 v2, s18, v2
	v_and_b32_e32 v6, 0xff000000, v2
	v_and_b32_e32 v7, 0xff0000, v2
	s_delay_alu instid0(VALU_DEP_1) | instskip(SKIP_3) | instid1(VALU_DEP_1)
	v_or_b32_e32 v6, v7, v6
	v_mov_b32_e32 v7, 2
	v_and_b32_e32 v39, 0xff00, v2
	v_and_b32_e32 v2, 0xff, v2
	v_or3_b32 v6, v6, v39, v2
	v_mov_b32_e32 v2, s18
	v_dual_mov_b32 v40, s21 :: v_dual_mov_b32 v39, s20
	;;#ASMSTART
	global_store_dwordx4 v[39:40], v[5:8] off	
s_waitcnt vmcnt(0)
	;;#ASMEND
	ds_store_b128 v8, v[1:4] offset:2048
.LBB332_117:
	s_or_b32 exec_lo, exec_lo, s15
	s_delay_alu instid0(SALU_CYCLE_1)
	s_and_b32 exec_lo, exec_lo, s2
	s_cbranch_execz .LBB332_119
; %bb.118:
	v_mov_b32_e32 v1, 0
	ds_store_b64 v1, v[3:4] offset:2120
.LBB332_119:
	s_or_b32 exec_lo, exec_lo, s17
	s_waitcnt lgkmcnt(1)
	v_cndmask_b32_e64 v4, v43, v37, s14
	s_waitcnt lgkmcnt(0)
	s_barrier
	buffer_gl0_inv
	v_cndmask_b32_e64 v5, v44, v38, s14
	v_cmp_eq_u32_e32 vcc_lo, 0, v4
	v_mov_b32_e32 v3, 0
	ds_load_b64 v[1:2], v3 offset:2120
	s_waitcnt lgkmcnt(0)
	s_barrier
	buffer_gl0_inv
	v_cndmask_b32_e32 v6, 0, v2, vcc_lo
	v_cmp_eq_u32_e32 vcc_lo, 0, v78
	s_delay_alu instid0(VALU_DEP_2) | instskip(NEXT) | instid1(VALU_DEP_1)
	v_add_nc_u32_e32 v5, v6, v5
	v_cndmask_b32_e64 v54, v5, v2, s2
	s_delay_alu instid0(VALU_DEP_1) | instskip(NEXT) | instid1(VALU_DEP_1)
	v_cndmask_b32_e32 v2, 0, v54, vcc_lo
	v_add_nc_u32_e32 v60, v2, v35
	s_delay_alu instid0(VALU_DEP_1) | instskip(NEXT) | instid1(VALU_DEP_1)
	v_cndmask_b32_e64 v2, 0, v60, s13
	v_add_nc_u32_e32 v56, v2, v36
	s_delay_alu instid0(VALU_DEP_1) | instskip(NEXT) | instid1(VALU_DEP_1)
	v_cndmask_b32_e64 v2, 0, v56, s12
	;; [unrolled: 3-line block ×5, first 2 shown]
	v_add_nc_u32_e32 v40, v2, v32
	v_cndmask_b32_e64 v2, v4, 0, s2
	s_delay_alu instid0(VALU_DEP_2) | instskip(NEXT) | instid1(VALU_DEP_2)
	v_cndmask_b32_e64 v4, 0, v40, s8
	v_add_nc_u32_e32 v53, v1, v2
	s_delay_alu instid0(VALU_DEP_2) | instskip(NEXT) | instid1(VALU_DEP_1)
	v_add_nc_u32_e32 v44, v4, v29
	v_cndmask_b32_e64 v1, 0, v44, s7
	s_delay_alu instid0(VALU_DEP_1) | instskip(NEXT) | instid1(VALU_DEP_1)
	v_add_nc_u32_e32 v48, v1, v30
	v_cndmask_b32_e64 v1, 0, v48, s6
	s_delay_alu instid0(VALU_DEP_1) | instskip(NEXT) | instid1(VALU_DEP_1)
	v_add_nc_u32_e32 v6, v1, v27
	v_cndmask_b32_e64 v1, 0, v6, s5
	s_delay_alu instid0(VALU_DEP_1) | instskip(NEXT) | instid1(VALU_DEP_1)
	v_add_nc_u32_e32 v8, v1, v28
	v_cndmask_b32_e64 v1, 0, v8, s4
	s_delay_alu instid0(VALU_DEP_1) | instskip(SKIP_2) | instid1(VALU_DEP_1)
	v_add_nc_u32_e32 v38, v1, v25
	ds_load_b128 v[1:4], v3 offset:2048
	v_cndmask_b32_e64 v37, 0, v38, s3
	v_add_nc_u32_e32 v62, v37, v26
	s_delay_alu instid0(VALU_DEP_1) | instskip(NEXT) | instid1(VALU_DEP_1)
	v_cndmask_b32_e64 v49, 0, v62, s1
	v_add_nc_u32_e32 v58, v49, v23
	s_waitcnt lgkmcnt(0)
	v_cmp_eq_u32_e32 vcc_lo, 0, v1
	s_delay_alu instid0(VALU_DEP_2) | instskip(SKIP_1) | instid1(VALU_DEP_2)
	v_cndmask_b32_e64 v50, 0, v58, s0
	v_dual_cndmask_b32 v4, 0, v4 :: v_dual_add_nc_u32 v59, v53, v78
	v_add_nc_u32_e32 v50, v50, v24
	s_delay_alu instid0(VALU_DEP_2) | instskip(NEXT) | instid1(VALU_DEP_3)
	v_add_nc_u32_e32 v80, v4, v2
	v_add_nc_u32_e32 v55, v59, v77
	s_delay_alu instid0(VALU_DEP_1) | instskip(NEXT) | instid1(VALU_DEP_1)
	v_add_nc_u32_e32 v51, v55, v76
	v_add_nc_u32_e32 v45, v51, v75
	s_delay_alu instid0(VALU_DEP_1) | instskip(NEXT) | instid1(VALU_DEP_1)
	;; [unrolled: 3-line block ×6, first 2 shown]
	v_add_nc_u32_e32 v57, v61, v65
	v_add_nc_u32_e32 v49, v57, v64
	s_branch .LBB332_132
.LBB332_120:
                                        ; implicit-def: $vgpr1
                                        ; implicit-def: $vgpr80
                                        ; implicit-def: $vgpr53_vgpr54
                                        ; implicit-def: $vgpr59_vgpr60
                                        ; implicit-def: $vgpr55_vgpr56
                                        ; implicit-def: $vgpr51_vgpr52
                                        ; implicit-def: $vgpr45_vgpr46
                                        ; implicit-def: $vgpr41_vgpr42
                                        ; implicit-def: $vgpr39_vgpr40
                                        ; implicit-def: $vgpr43_vgpr44
                                        ; implicit-def: $vgpr47_vgpr48
                                        ; implicit-def: $vgpr5_vgpr6
                                        ; implicit-def: $vgpr7_vgpr8
                                        ; implicit-def: $vgpr37_vgpr38
                                        ; implicit-def: $vgpr61_vgpr62
                                        ; implicit-def: $vgpr57_vgpr58
                                        ; implicit-def: $vgpr49_vgpr50
	s_cbranch_execz .LBB332_132
; %bb.121:
	s_and_b32 s0, s16, exec_lo
	v_mov_b32_e32 v49, v35
	s_cselect_b32 s1, 0, s35
	s_cselect_b32 s0, 0, s34
	s_delay_alu instid0(SALU_CYCLE_1)
	s_cmp_eq_u64 s[0:1], 0
	s_cbranch_scc1 .LBB332_123
; %bb.122:
	v_mov_b32_e32 v1, 0
	global_load_b32 v49, v1, s[0:1]
.LBB332_123:
	v_cmp_eq_u32_e64 s7, 0, v77
	v_cmp_eq_u32_e64 s8, 0, v76
	;; [unrolled: 1-line block ×5, first 2 shown]
	v_cndmask_b32_e64 v1, 0, v35, s7
	v_cmp_eq_u32_e64 s12, 0, v72
	v_cmp_eq_u32_e64 s6, 0, v70
	;; [unrolled: 1-line block ×4, first 2 shown]
	v_add_nc_u32_e32 v1, v1, v36
	v_cmp_eq_u32_e64 s3, 0, v67
	v_add3_u32 v2, v84, v73, v72
	v_cmp_eq_u32_e64 s1, 0, v66
	v_cmp_eq_u32_e32 vcc_lo, 0, v65
	v_cndmask_b32_e64 v1, 0, v1, s8
	v_cmp_eq_u32_e64 s0, 0, v64
	v_add3_u32 v2, v2, v70, v69
	v_cmp_eq_u32_e64 s13, 0, v71
	v_and_b32_e32 v4, 15, v81
	v_add_nc_u32_e32 v1, v1, v33
	s_delay_alu instid0(VALU_DEP_4) | instskip(NEXT) | instid1(VALU_DEP_3)
	v_add3_u32 v2, v2, v68, v67
	v_cmp_lt_u32_e64 s14, 1, v4
	s_delay_alu instid0(VALU_DEP_3) | instskip(NEXT) | instid1(VALU_DEP_3)
	v_cndmask_b32_e64 v1, 0, v1, s9
	v_add3_u32 v2, v2, v66, v65
	s_delay_alu instid0(VALU_DEP_2) | instskip(NEXT) | instid1(VALU_DEP_2)
	v_add_nc_u32_e32 v1, v1, v34
	v_add3_u32 v2, v2, v64, v71
	s_delay_alu instid0(VALU_DEP_2) | instskip(NEXT) | instid1(VALU_DEP_2)
	v_cndmask_b32_e64 v1, 0, v1, s10
	v_mov_b32_dpp v5, v2 row_shr:1 row_mask:0xf bank_mask:0xf
	s_delay_alu instid0(VALU_DEP_2) | instskip(NEXT) | instid1(VALU_DEP_1)
	v_add_nc_u32_e32 v1, v1, v31
	v_cndmask_b32_e64 v1, 0, v1, s11
	s_delay_alu instid0(VALU_DEP_1) | instskip(NEXT) | instid1(VALU_DEP_1)
	v_add_nc_u32_e32 v1, v1, v32
	v_cndmask_b32_e64 v1, 0, v1, s12
	s_delay_alu instid0(VALU_DEP_1) | instskip(NEXT) | instid1(VALU_DEP_1)
	;; [unrolled: 3-line block ×7, first 2 shown]
	v_add_nc_u32_e32 v1, v1, v26
	v_cndmask_b32_e32 v1, 0, v1, vcc_lo
	s_delay_alu instid0(VALU_DEP_1) | instskip(NEXT) | instid1(VALU_DEP_1)
	v_add_nc_u32_e32 v1, v1, v23
	v_cndmask_b32_e64 v1, 0, v1, s0
	s_delay_alu instid0(VALU_DEP_1) | instskip(NEXT) | instid1(VALU_DEP_1)
	v_add_nc_u32_e32 v1, v1, v24
	v_cndmask_b32_e64 v1, 0, v1, s13
	v_cmp_eq_u32_e64 s13, 0, v2
	s_delay_alu instid0(VALU_DEP_2) | instskip(NEXT) | instid1(VALU_DEP_1)
	v_add_nc_u32_e32 v1, v1, v79
	v_mov_b32_dpp v3, v1 row_shr:1 row_mask:0xf bank_mask:0xf
	s_delay_alu instid0(VALU_DEP_1) | instskip(SKIP_1) | instid1(VALU_DEP_1)
	v_cndmask_b32_e64 v3, 0, v3, s13
	v_cmp_eq_u32_e64 s13, 0, v4
	v_cndmask_b32_e64 v5, v5, 0, s13
	s_delay_alu instid0(VALU_DEP_3) | instskip(NEXT) | instid1(VALU_DEP_2)
	v_cndmask_b32_e64 v3, v3, 0, s13
	v_add_nc_u32_e32 v2, v5, v2
	s_delay_alu instid0(VALU_DEP_2) | instskip(NEXT) | instid1(VALU_DEP_2)
	v_add_nc_u32_e32 v1, v3, v1
	v_mov_b32_dpp v3, v2 row_shr:2 row_mask:0xf bank_mask:0xf
	v_cmp_eq_u32_e64 s13, 0, v2
	s_delay_alu instid0(VALU_DEP_3) | instskip(NEXT) | instid1(VALU_DEP_3)
	v_mov_b32_dpp v5, v1 row_shr:2 row_mask:0xf bank_mask:0xf
	v_cndmask_b32_e64 v3, 0, v3, s14
	s_delay_alu instid0(VALU_DEP_3) | instskip(SKIP_1) | instid1(VALU_DEP_3)
	s_and_b32 s13, s14, s13
	v_cmp_lt_u32_e64 s14, 3, v4
	v_cndmask_b32_e64 v5, 0, v5, s13
	s_delay_alu instid0(VALU_DEP_3) | instskip(NEXT) | instid1(VALU_DEP_2)
	v_add_nc_u32_e32 v2, v2, v3
	v_add_nc_u32_e32 v1, v5, v1
	s_delay_alu instid0(VALU_DEP_2) | instskip(SKIP_1) | instid1(VALU_DEP_3)
	v_mov_b32_dpp v3, v2 row_shr:4 row_mask:0xf bank_mask:0xf
	v_cmp_eq_u32_e64 s13, 0, v2
	v_mov_b32_dpp v5, v1 row_shr:4 row_mask:0xf bank_mask:0xf
	s_delay_alu instid0(VALU_DEP_3) | instskip(NEXT) | instid1(VALU_DEP_3)
	v_cndmask_b32_e64 v3, 0, v3, s14
	s_and_b32 s13, s14, s13
	v_cmp_lt_u32_e64 s14, 7, v4
	s_delay_alu instid0(VALU_DEP_3) | instskip(NEXT) | instid1(VALU_DEP_3)
	v_cndmask_b32_e64 v5, 0, v5, s13
	v_add_nc_u32_e32 v2, v3, v2
	s_delay_alu instid0(VALU_DEP_2) | instskip(SKIP_1) | instid1(VALU_DEP_3)
	v_add_nc_u32_e32 v1, v1, v5
	v_bfe_i32 v5, v81, 4, 1
	v_cmp_eq_u32_e64 s13, 0, v2
	v_mov_b32_dpp v3, v2 row_shr:8 row_mask:0xf bank_mask:0xf
	s_delay_alu instid0(VALU_DEP_4) | instskip(NEXT) | instid1(VALU_DEP_3)
	v_mov_b32_dpp v4, v1 row_shr:8 row_mask:0xf bank_mask:0xf
	s_and_b32 s13, s14, s13
	s_delay_alu instid0(VALU_DEP_2) | instskip(SKIP_1) | instid1(VALU_DEP_2)
	v_cndmask_b32_e64 v3, 0, v3, s14
	s_mov_b32 s14, exec_lo
	v_cndmask_b32_e64 v4, 0, v4, s13
	s_delay_alu instid0(VALU_DEP_1) | instskip(NEXT) | instid1(VALU_DEP_3)
	v_add_nc_u32_e32 v4, v4, v1
	v_add_nc_u32_e32 v1, v3, v2
	ds_swizzle_b32 v2, v4 offset:swizzle(BROADCAST,32,15)
	ds_swizzle_b32 v3, v1 offset:swizzle(BROADCAST,32,15)
	v_cmp_eq_u32_e64 s13, 0, v1
	s_waitcnt lgkmcnt(1)
	s_delay_alu instid0(VALU_DEP_1) | instskip(SKIP_2) | instid1(VALU_DEP_2)
	v_cndmask_b32_e64 v2, 0, v2, s13
	s_waitcnt lgkmcnt(0)
	v_and_b32_e32 v3, v5, v3
	v_and_b32_e32 v2, v5, v2
	s_delay_alu instid0(VALU_DEP_2) | instskip(NEXT) | instid1(VALU_DEP_2)
	v_add_nc_u32_e32 v1, v3, v1
	v_add_nc_u32_e32 v2, v2, v4
	v_cmpx_eq_u32_e64 v83, v0
	s_cbranch_execz .LBB332_125
; %bb.124:
	v_lshlrev_b32_e32 v3, 3, v82
	ds_store_b64 v3, v[1:2] offset:2064
.LBB332_125:
	s_or_b32 exec_lo, exec_lo, s14
	s_delay_alu instid0(SALU_CYCLE_1)
	s_mov_b32 s15, exec_lo
	s_waitcnt vmcnt(0) lgkmcnt(0)
	s_barrier
	buffer_gl0_inv
	v_cmpx_gt_u32_e32 8, v0
	s_cbranch_execz .LBB332_127
; %bb.126:
	v_lshlrev_b32_e32 v5, 3, v0
	v_and_b32_e32 v7, 7, v81
	ds_load_b64 v[3:4], v5 offset:2064
	v_cmp_lt_u32_e64 s14, 1, v7
	s_waitcnt lgkmcnt(0)
	v_mov_b32_dpp v6, v4 row_shr:1 row_mask:0xf bank_mask:0xf
	v_cmp_eq_u32_e64 s13, 0, v3
	v_mov_b32_dpp v8, v3 row_shr:1 row_mask:0xf bank_mask:0xf
	s_delay_alu instid0(VALU_DEP_2) | instskip(SKIP_1) | instid1(VALU_DEP_1)
	v_cndmask_b32_e64 v6, 0, v6, s13
	v_cmp_eq_u32_e64 s13, 0, v7
	v_cndmask_b32_e64 v8, v8, 0, s13
	s_delay_alu instid0(VALU_DEP_3) | instskip(NEXT) | instid1(VALU_DEP_2)
	v_cndmask_b32_e64 v6, v6, 0, s13
	v_add_nc_u32_e32 v3, v8, v3
	s_delay_alu instid0(VALU_DEP_2) | instskip(NEXT) | instid1(VALU_DEP_2)
	v_add_nc_u32_e32 v4, v6, v4
	v_mov_b32_dpp v6, v3 row_shr:2 row_mask:0xf bank_mask:0xf
	v_cmp_eq_u32_e64 s13, 0, v3
	s_delay_alu instid0(VALU_DEP_3) | instskip(NEXT) | instid1(VALU_DEP_3)
	v_mov_b32_dpp v8, v4 row_shr:2 row_mask:0xf bank_mask:0xf
	v_cndmask_b32_e64 v6, 0, v6, s14
	s_delay_alu instid0(VALU_DEP_3) | instskip(SKIP_1) | instid1(VALU_DEP_3)
	s_and_b32 s13, s14, s13
	v_cmp_lt_u32_e64 s14, 3, v7
	v_cndmask_b32_e64 v8, 0, v8, s13
	s_delay_alu instid0(VALU_DEP_3) | instskip(NEXT) | instid1(VALU_DEP_2)
	v_add_nc_u32_e32 v3, v6, v3
	v_add_nc_u32_e32 v4, v8, v4
	s_delay_alu instid0(VALU_DEP_2) | instskip(SKIP_1) | instid1(VALU_DEP_3)
	v_cmp_eq_u32_e64 s13, 0, v3
	v_mov_b32_dpp v6, v3 row_shr:4 row_mask:0xf bank_mask:0xf
	v_mov_b32_dpp v7, v4 row_shr:4 row_mask:0xf bank_mask:0xf
	s_delay_alu instid0(VALU_DEP_3) | instskip(NEXT) | instid1(VALU_DEP_2)
	s_and_b32 s13, s14, s13
	v_cndmask_b32_e64 v6, 0, v6, s14
	s_delay_alu instid0(VALU_DEP_2) | instskip(NEXT) | instid1(VALU_DEP_2)
	v_cndmask_b32_e64 v7, 0, v7, s13
	v_add_nc_u32_e32 v3, v6, v3
	s_delay_alu instid0(VALU_DEP_2)
	v_add_nc_u32_e32 v4, v7, v4
	ds_store_b64 v5, v[3:4] offset:2064
.LBB332_127:
	s_or_b32 exec_lo, exec_lo, s15
	v_dual_mov_b32 v7, 0 :: v_dual_mov_b32 v4, v49
	v_mov_b32_e32 v3, 0
	s_mov_b32 s14, exec_lo
	s_waitcnt lgkmcnt(0)
	s_barrier
	buffer_gl0_inv
	v_cmpx_lt_u32_e32 31, v0
	s_cbranch_execz .LBB332_129
; %bb.128:
	v_lshlrev_b32_e32 v3, 3, v82
	ds_load_b64 v[3:4], v3 offset:2056
	s_waitcnt lgkmcnt(0)
	v_cmp_eq_u32_e64 s13, 0, v3
	s_delay_alu instid0(VALU_DEP_1) | instskip(NEXT) | instid1(VALU_DEP_1)
	v_cndmask_b32_e64 v5, 0, v49, s13
	v_add_nc_u32_e32 v4, v5, v4
.LBB332_129:
	s_or_b32 exec_lo, exec_lo, s14
	v_add_nc_u32_e32 v5, -1, v81
	s_delay_alu instid0(VALU_DEP_1) | instskip(NEXT) | instid1(VALU_DEP_1)
	v_cmp_gt_i32_e64 s13, 0, v5
	v_cndmask_b32_e64 v5, v5, v81, s13
	v_cmp_eq_u32_e64 s13, 0, v1
	v_add_nc_u32_e32 v1, v3, v1
	s_delay_alu instid0(VALU_DEP_3) | instskip(NEXT) | instid1(VALU_DEP_3)
	v_lshlrev_b32_e32 v5, 2, v5
	v_cndmask_b32_e64 v6, 0, v4, s13
	v_cmp_eq_u32_e64 s13, 0, v81
	ds_bpermute_b32 v1, v5, v1
	v_add_nc_u32_e32 v2, v6, v2
	ds_bpermute_b32 v2, v5, v2
	s_waitcnt lgkmcnt(1)
	v_cndmask_b32_e64 v1, v1, v3, s13
	s_delay_alu instid0(VALU_DEP_1) | instskip(SKIP_3) | instid1(VALU_DEP_2)
	v_cndmask_b32_e64 v53, v1, 0, s2
	s_waitcnt lgkmcnt(0)
	v_cndmask_b32_e64 v2, v2, v4, s13
	v_cmp_eq_u32_e64 s13, 0, v78
	v_cndmask_b32_e64 v54, v2, v49, s2
	s_delay_alu instid0(VALU_DEP_1) | instskip(NEXT) | instid1(VALU_DEP_1)
	v_cndmask_b32_e64 v2, 0, v54, s13
	v_add_nc_u32_e32 v60, v2, v35
	s_delay_alu instid0(VALU_DEP_1) | instskip(NEXT) | instid1(VALU_DEP_1)
	v_cndmask_b32_e64 v2, 0, v60, s7
	v_add_nc_u32_e32 v56, v2, v36
	;; [unrolled: 3-line block ×11, first 2 shown]
	ds_load_b64 v[1:2], v7 offset:2120
	v_cndmask_b32_e64 v3, 0, v38, s1
	s_delay_alu instid0(VALU_DEP_1) | instskip(NEXT) | instid1(VALU_DEP_1)
	v_add_nc_u32_e32 v62, v3, v26
	v_cndmask_b32_e32 v3, 0, v62, vcc_lo
	s_delay_alu instid0(VALU_DEP_1) | instskip(SKIP_3) | instid1(VALU_DEP_3)
	v_add_nc_u32_e32 v58, v3, v23
	s_waitcnt lgkmcnt(0)
	v_cmp_eq_u32_e32 vcc_lo, 0, v1
	v_add_nc_u32_e32 v59, v53, v78
	v_cndmask_b32_e64 v3, 0, v58, s0
	v_cndmask_b32_e32 v4, 0, v49, vcc_lo
	s_delay_alu instid0(VALU_DEP_3) | instskip(NEXT) | instid1(VALU_DEP_3)
	v_add_nc_u32_e32 v55, v59, v77
	v_add_nc_u32_e32 v50, v3, v24
	s_delay_alu instid0(VALU_DEP_3) | instskip(NEXT) | instid1(VALU_DEP_3)
	v_add_nc_u32_e32 v80, v4, v2
	v_add_nc_u32_e32 v51, v55, v76
	s_delay_alu instid0(VALU_DEP_1) | instskip(NEXT) | instid1(VALU_DEP_1)
	v_add_nc_u32_e32 v45, v51, v75
	v_add_nc_u32_e32 v41, v45, v74
	s_delay_alu instid0(VALU_DEP_1) | instskip(NEXT) | instid1(VALU_DEP_1)
	;; [unrolled: 3-line block ×5, first 2 shown]
	v_add_nc_u32_e32 v61, v37, v66
	v_add_nc_u32_e32 v57, v61, v65
	s_delay_alu instid0(VALU_DEP_1)
	v_add_nc_u32_e32 v49, v57, v64
	s_and_saveexec_b32 s0, s2
	s_cbranch_execz .LBB332_131
; %bb.130:
	v_and_b32_e32 v2, 0xff000000, v80
	v_dual_mov_b32 v4, 0 :: v_dual_and_b32 v3, 0xff0000, v80
	s_add_u32 s4, s36, 0x200
	v_and_b32_e32 v23, 0xff00, v80
	s_addc_u32 s5, s37, 0
	v_and_b32_e32 v24, 0xff, v80
	v_or_b32_e32 v2, v3, v2
	v_mov_b32_e32 v3, 2
	s_delay_alu instid0(VALU_DEP_2)
	v_or3_b32 v2, v2, v23, v24
	v_dual_mov_b32 v24, s5 :: v_dual_mov_b32 v23, s4
	;;#ASMSTART
	global_store_dwordx4 v[23:24], v[1:4] off	
s_waitcnt vmcnt(0)
	;;#ASMEND
.LBB332_131:
	s_or_b32 exec_lo, exec_lo, s0
	v_mov_b32_e32 v3, 0
.LBB332_132:
	v_mov_b32_e32 v23, 0
	s_and_b32 s0, s16, exec_lo
	v_mov_b32_e32 v24, 0
	s_cselect_b32 s1, 0, s47
	s_cselect_b32 s0, 0, s46
	s_delay_alu instid0(SALU_CYCLE_1)
	s_cmp_eq_u64 s[0:1], 0
	s_barrier
	buffer_gl0_inv
	s_cbranch_scc1 .LBB332_134
; %bb.133:
	v_mov_b32_e32 v2, 0
	global_load_b64 v[23:24], v2, s[0:1]
.LBB332_134:
	v_cmp_eq_u32_e32 vcc_lo, 0, v78
	v_cmp_ne_u32_e64 s15, 0, v78
	v_cmp_ne_u32_e64 s14, 0, v77
	;; [unrolled: 1-line block ×4, first 2 shown]
	v_cndmask_b32_e64 v2, 1, 2, vcc_lo
	v_cmp_eq_u32_e32 vcc_lo, 0, v77
	v_cmp_ne_u32_e64 s11, 0, v74
	v_cmp_ne_u32_e64 s10, 0, v73
	;; [unrolled: 1-line block ×4, first 2 shown]
	v_cndmask_b32_e64 v4, 1, 2, vcc_lo
	v_cmp_eq_u32_e32 vcc_lo, 0, v76
	v_cmp_ne_u32_e64 s9, 0, v69
	v_cmp_ne_u32_e64 s7, 0, v68
	v_cmp_ne_u32_e64 s5, 0, v67
	v_and_b32_e32 v2, v4, v2
	v_cndmask_b32_e64 v25, 1, 2, vcc_lo
	v_cmp_eq_u32_e32 vcc_lo, 0, v75
	v_cmp_ne_u32_e64 s4, 0, v66
	v_cmp_ne_u32_e64 s3, 0, v65
	;; [unrolled: 1-line block ×3, first 2 shown]
	v_and_b32_e32 v2, v2, v25
	v_cndmask_b32_e64 v4, 1, 2, vcc_lo
	v_cmp_eq_u32_e32 vcc_lo, 0, v74
	v_cmp_ne_u32_e64 s0, 0, v71
	s_mov_b32 s17, -1
	s_delay_alu instid0(VALU_DEP_3) | instskip(SKIP_2) | instid1(VALU_DEP_2)
	v_and_b32_e32 v2, v2, v4
	v_cndmask_b32_e64 v25, 1, 2, vcc_lo
	v_cmp_eq_u32_e32 vcc_lo, 0, v73
	v_and_b32_e32 v2, v2, v25
	v_cndmask_b32_e64 v4, 1, 2, vcc_lo
	v_cmp_eq_u32_e32 vcc_lo, 0, v72
	s_waitcnt vmcnt(0)
	v_lshlrev_b64 v[25:26], 2, v[23:24]
	s_delay_alu instid0(VALU_DEP_3) | instskip(SKIP_2) | instid1(VALU_DEP_2)
	v_and_b32_e32 v2, v2, v4
	v_cndmask_b32_e64 v27, 1, 2, vcc_lo
	v_cmp_eq_u32_e32 vcc_lo, 0, v70
	v_and_b32_e32 v2, v2, v27
	v_cndmask_b32_e64 v28, 1, 2, vcc_lo
	v_cmp_eq_u32_e32 vcc_lo, 0, v69
	s_delay_alu instid0(VALU_DEP_2) | instskip(SKIP_2) | instid1(VALU_DEP_2)
	v_and_b32_e32 v2, v2, v28
	v_cndmask_b32_e64 v27, 1, 2, vcc_lo
	v_cmp_eq_u32_e32 vcc_lo, 0, v68
	v_and_b32_e32 v2, v2, v27
	v_cndmask_b32_e64 v28, 1, 2, vcc_lo
	v_cmp_eq_u32_e32 vcc_lo, 0, v67
	s_delay_alu instid0(VALU_DEP_2) | instskip(SKIP_2) | instid1(VALU_DEP_2)
	;; [unrolled: 7-line block ×3, first 2 shown]
	v_and_b32_e32 v2, v2, v29
	v_cndmask_b32_e64 v30, 1, 2, vcc_lo
	v_cmp_eq_u32_e32 vcc_lo, 0, v64
	v_and_b32_e32 v30, v2, v30
	v_cndmask_b32_e64 v31, 1, 2, vcc_lo
	v_mov_b32_e32 v4, 0
	s_delay_alu instid0(VALU_DEP_1) | instskip(SKIP_2) | instid1(VALU_DEP_2)
	v_lshlrev_b64 v[27:28], 2, v[3:4]
	v_add_co_u32 v4, vcc_lo, s26, v25
	v_add_co_ci_u32_e32 v29, vcc_lo, s27, v26, vcc_lo
	v_add_co_u32 v2, vcc_lo, v4, v27
	s_delay_alu instid0(VALU_DEP_2) | instskip(SKIP_4) | instid1(VALU_DEP_2)
	v_add_co_ci_u32_e32 v4, vcc_lo, v29, v28, vcc_lo
	v_and_b32_e32 v29, v30, v31
	v_cmp_eq_u32_e32 vcc_lo, 0, v71
	v_cndmask_b32_e64 v30, 1, 2, vcc_lo
	v_cmp_gt_u32_e32 vcc_lo, 0x100, v1
	v_and_b32_e32 v29, v29, v30
	s_delay_alu instid0(VALU_DEP_1)
	v_cmp_gt_i16_e64 s16, 2, v29
	s_cbranch_vccz .LBB332_141
; %bb.135:
	s_delay_alu instid0(VALU_DEP_1)
	s_and_saveexec_b32 s17, s16
	s_cbranch_execz .LBB332_140
; %bb.136:
	s_mov_b32 s18, 0
	s_mov_b32 s16, exec_lo
	v_cmpx_ne_u16_e32 1, v29
	s_xor_b32 s16, exec_lo, s16
	s_cbranch_execnz .LBB332_173
; %bb.137:
	s_and_not1_saveexec_b32 s16, s16
	s_cbranch_execnz .LBB332_189
.LBB332_138:
	s_or_b32 exec_lo, exec_lo, s16
	s_delay_alu instid0(SALU_CYCLE_1)
	s_and_b32 exec_lo, exec_lo, s18
	s_cbranch_execz .LBB332_140
.LBB332_139:
	v_sub_nc_u32_e32 v30, v49, v3
	v_mov_b32_e32 v31, 0
	s_delay_alu instid0(VALU_DEP_1) | instskip(NEXT) | instid1(VALU_DEP_1)
	v_lshlrev_b64 v[30:31], 2, v[30:31]
	v_add_co_u32 v30, vcc_lo, v2, v30
	s_delay_alu instid0(VALU_DEP_2)
	v_add_co_ci_u32_e32 v31, vcc_lo, v4, v31, vcc_lo
	global_store_b32 v[30:31], v63, off
.LBB332_140:
	s_or_b32 exec_lo, exec_lo, s17
	s_mov_b32 s17, 0
.LBB332_141:
	s_delay_alu instid0(SALU_CYCLE_1)
	s_and_b32 vcc_lo, exec_lo, s17
	s_cbranch_vccz .LBB332_151
; %bb.142:
	s_mov_b32 s16, exec_lo
	v_cmpx_gt_i16_e32 2, v29
	s_cbranch_execz .LBB332_147
; %bb.143:
	s_mov_b32 s18, 0
	s_mov_b32 s17, exec_lo
	v_cmpx_ne_u16_e32 1, v29
	s_xor_b32 s17, exec_lo, s17
	s_cbranch_execnz .LBB332_190
; %bb.144:
	s_and_not1_saveexec_b32 s0, s17
	s_cbranch_execnz .LBB332_206
.LBB332_145:
	s_or_b32 exec_lo, exec_lo, s0
	s_delay_alu instid0(SALU_CYCLE_1)
	s_and_b32 exec_lo, exec_lo, s18
	s_cbranch_execz .LBB332_147
.LBB332_146:
	v_sub_nc_u32_e32 v9, v49, v3
	s_delay_alu instid0(VALU_DEP_1)
	v_lshlrev_b32_e32 v9, 2, v9
	ds_store_b32 v9, v63
.LBB332_147:
	s_or_b32 exec_lo, exec_lo, s16
	s_delay_alu instid0(SALU_CYCLE_1)
	s_mov_b32 s1, exec_lo
	s_waitcnt lgkmcnt(0)
	s_waitcnt_vscnt null, 0x0
	s_barrier
	buffer_gl0_inv
	v_cmpx_lt_u32_e64 v0, v1
	s_cbranch_execz .LBB332_150
; %bb.148:
	v_dual_mov_b32 v10, 0 :: v_dual_lshlrev_b32 v11, 2, v0
	v_mov_b32_e32 v9, v0
	s_mov_b32 s3, 0
	.p2align	6
.LBB332_149:                            ; =>This Inner Loop Header: Depth=1
	ds_load_b32 v14, v11
	v_lshlrev_b64 v[12:13], 2, v[9:10]
	v_add_nc_u32_e32 v9, 0x100, v9
	v_add_nc_u32_e32 v11, 0x400, v11
	s_delay_alu instid0(VALU_DEP_2) | instskip(NEXT) | instid1(VALU_DEP_4)
	v_cmp_ge_u32_e32 vcc_lo, v9, v1
	v_add_co_u32 v12, s0, v2, v12
	s_delay_alu instid0(VALU_DEP_1)
	v_add_co_ci_u32_e64 v13, s0, v4, v13, s0
	s_or_b32 s3, vcc_lo, s3
	s_waitcnt lgkmcnt(0)
	global_store_b32 v[12:13], v14, off
	s_and_not1_b32 exec_lo, exec_lo, s3
	s_cbranch_execnz .LBB332_149
.LBB332_150:
	s_or_b32 exec_lo, exec_lo, s1
.LBB332_151:
	s_cmpk_lg_i32 s40, 0xf00
	v_cndmask_b32_e64 v4, 0, 1, s41
	s_cselect_b32 s0, -1, 0
	v_mad_i32_i24 v10, v0, -15, s40
	s_and_b32 s0, s0, s33
	s_and_b32 s1, s2, s41
	v_cndmask_b32_e64 v9, 0, 1, s0
	s_mul_hi_u32 s0, s40, 0x88888889
	v_sub_nc_u32_e32 v2, v1, v4
	s_lshr_b32 s0, s0, 3
	v_cndmask_b32_e64 v11, v78, 0, s1
	v_cmp_eq_u32_e32 vcc_lo, s0, v0
	v_cmp_ne_u32_e64 s0, 0, v10
	s_mov_b32 s16, -1
	s_waitcnt_vscnt null, 0x0
	s_barrier
	s_and_b32 vcc_lo, vcc_lo, s33
	v_add_nc_u32_e32 v2, v2, v9
	v_cndmask_b32_e64 v9, 1, v11, s0
	v_cmp_ne_u32_e64 s0, 1, v10
	buffer_gl0_inv
	v_cndmask_b32_e64 v12, 1, v77, s0
	v_cmp_ne_u32_e64 s0, 14, v10
	s_delay_alu instid0(VALU_DEP_2) | instskip(NEXT) | instid1(VALU_DEP_2)
	v_cndmask_b32_e32 v17, v77, v12, vcc_lo
	v_cndmask_b32_e64 v13, 1, v71, s0
	v_cmp_ne_u32_e64 s0, 2, v10
	s_delay_alu instid0(VALU_DEP_3) | instskip(NEXT) | instid1(VALU_DEP_3)
	v_cmp_ne_u32_e64 s13, 0, v17
	v_cndmask_b32_e32 v16, v71, v13, vcc_lo
	s_delay_alu instid0(VALU_DEP_3) | instskip(SKIP_1) | instid1(VALU_DEP_2)
	v_cndmask_b32_e64 v14, 1, v76, s0
	v_cmp_ne_u32_e64 s0, 3, v10
	v_dual_cndmask_b32 v13, v11, v9 :: v_dual_cndmask_b32 v14, v76, v14
	s_delay_alu instid0(VALU_DEP_2) | instskip(SKIP_1) | instid1(VALU_DEP_3)
	v_cndmask_b32_e64 v15, 1, v75, s0
	v_cmp_ne_u32_e64 s0, 4, v10
	v_cmp_ne_u32_e64 s14, 0, v13
	s_delay_alu instid0(VALU_DEP_4) | instskip(NEXT) | instid1(VALU_DEP_3)
	v_cmp_ne_u32_e64 s12, 0, v14
	v_cndmask_b32_e64 v9, 1, v74, s0
	v_cmp_ne_u32_e64 s0, 5, v10
	s_delay_alu instid0(VALU_DEP_1) | instskip(SKIP_1) | instid1(VALU_DEP_2)
	v_cndmask_b32_e64 v11, 1, v73, s0
	v_cmp_eq_u32_e64 s0, 0, v13
	v_cndmask_b32_e32 v29, v73, v11, vcc_lo
	s_delay_alu instid0(VALU_DEP_2) | instskip(SKIP_1) | instid1(VALU_DEP_3)
	v_cndmask_b32_e64 v12, 1, 2, s0
	v_cmp_eq_u32_e64 s0, 0, v17
	v_cmp_ne_u32_e64 s9, 0, v29
	s_delay_alu instid0(VALU_DEP_2) | instskip(SKIP_1) | instid1(VALU_DEP_2)
	v_cndmask_b32_e64 v18, 1, 2, s0
	v_cmp_ne_u32_e64 s0, 6, v10
	v_dual_cndmask_b32 v15, v75, v15 :: v_dual_and_b32 v12, v18, v12
	s_delay_alu instid0(VALU_DEP_2) | instskip(SKIP_1) | instid1(VALU_DEP_3)
	v_cndmask_b32_e64 v19, 1, v72, s0
	v_cmp_eq_u32_e64 s0, 0, v14
	v_cmp_ne_u32_e64 s11, 0, v15
	s_delay_alu instid0(VALU_DEP_2) | instskip(SKIP_1) | instid1(VALU_DEP_1)
	v_cndmask_b32_e64 v18, 1, 2, s0
	v_cmp_ne_u32_e64 s0, 7, v10
	v_cndmask_b32_e64 v20, 1, v70, s0
	v_cmp_ne_u32_e64 s0, 8, v10
	s_delay_alu instid0(VALU_DEP_2) | instskip(NEXT) | instid1(VALU_DEP_2)
	v_dual_cndmask_b32 v19, v72, v19 :: v_dual_cndmask_b32 v20, v70, v20
	v_cndmask_b32_e64 v21, 1, v69, s0
	v_cmp_eq_u32_e64 s0, 0, v15
	v_and_b32_e32 v12, v12, v18
	s_delay_alu instid0(VALU_DEP_4)
	v_cmp_ne_u32_e64 s8, 0, v19
	v_cmp_ne_u32_e64 s7, 0, v20
	v_cndmask_b32_e32 v21, v69, v21, vcc_lo
	v_cndmask_b32_e64 v18, 1, 2, s0
	v_cndmask_b32_e32 v22, v74, v9, vcc_lo
	v_cmp_ne_u32_e64 s0, 9, v10
	s_delay_alu instid0(VALU_DEP_4) | instskip(NEXT) | instid1(VALU_DEP_4)
	v_cmp_ne_u32_e64 s6, 0, v21
	v_and_b32_e32 v11, v12, v18
	s_delay_alu instid0(VALU_DEP_4) | instskip(NEXT) | instid1(VALU_DEP_4)
	v_cmp_ne_u32_e64 s10, 0, v22
	v_cndmask_b32_e64 v9, 1, v68, s0
	v_cmp_eq_u32_e64 s0, 0, v22
	s_delay_alu instid0(VALU_DEP_2) | instskip(NEXT) | instid1(VALU_DEP_2)
	v_cndmask_b32_e32 v33, v68, v9, vcc_lo
	v_cndmask_b32_e64 v12, 1, 2, s0
	v_cmp_ne_u32_e64 s0, 10, v10
	s_delay_alu instid0(VALU_DEP_1) | instskip(SKIP_1) | instid1(VALU_DEP_2)
	v_cndmask_b32_e64 v18, 1, v67, s0
	v_cmp_ne_u32_e64 s0, 12, v10
	v_cndmask_b32_e32 v18, v67, v18, vcc_lo
	s_delay_alu instid0(VALU_DEP_2) | instskip(SKIP_2) | instid1(VALU_DEP_4)
	v_cndmask_b32_e64 v30, 1, v65, s0
	v_cmp_eq_u32_e64 s0, 0, v29
	v_and_b32_e32 v11, v11, v12
	v_cmp_ne_u32_e64 s4, 0, v18
	s_delay_alu instid0(VALU_DEP_4) | instskip(NEXT) | instid1(VALU_DEP_4)
	v_cndmask_b32_e32 v30, v65, v30, vcc_lo
	v_cndmask_b32_e64 v12, 1, 2, s0
	v_cmp_ne_u32_e64 s0, 13, v10
	s_delay_alu instid0(VALU_DEP_3) | instskip(NEXT) | instid1(VALU_DEP_3)
	v_cmp_ne_u32_e64 s2, 0, v30
	v_and_b32_e32 v11, v11, v12
	s_delay_alu instid0(VALU_DEP_3) | instskip(SKIP_1) | instid1(VALU_DEP_2)
	v_cndmask_b32_e64 v31, 1, v64, s0
	v_cmp_eq_u32_e64 s0, 0, v19
	v_cndmask_b32_e32 v31, v64, v31, vcc_lo
	s_delay_alu instid0(VALU_DEP_2) | instskip(SKIP_1) | instid1(VALU_DEP_3)
	v_cndmask_b32_e64 v12, 1, 2, s0
	v_cmp_ne_u32_e64 s0, 11, v10
	v_cmp_ne_u32_e64 s1, 0, v31
	s_delay_alu instid0(VALU_DEP_2) | instskip(SKIP_1) | instid1(VALU_DEP_2)
	v_cndmask_b32_e64 v10, 1, v66, s0
	v_cmp_eq_u32_e64 s0, 0, v20
	v_dual_cndmask_b32 v32, v66, v10 :: v_dual_and_b32 v11, v11, v12
	s_delay_alu instid0(VALU_DEP_2) | instskip(SKIP_2) | instid1(VALU_DEP_4)
	v_cndmask_b32_e64 v12, 1, 2, s0
	v_cmp_eq_u32_e32 vcc_lo, 0, v21
	v_cmp_ne_u32_e64 s0, 0, v16
	v_cmp_ne_u32_e64 s3, 0, v32
	s_delay_alu instid0(VALU_DEP_4) | instskip(SKIP_4) | instid1(VALU_DEP_4)
	v_and_b32_e32 v9, v11, v12
	v_cndmask_b32_e64 v10, 1, 2, vcc_lo
	v_add_co_u32 v11, vcc_lo, s28, v25
	v_add_co_ci_u32_e32 v12, vcc_lo, s29, v26, vcc_lo
	v_cmp_eq_u32_e32 vcc_lo, 0, v33
	v_and_b32_e32 v25, v9, v10
	v_cndmask_b32_e64 v26, 1, 2, vcc_lo
	v_add_co_u32 v9, vcc_lo, v11, v27
	v_add_co_ci_u32_e32 v10, vcc_lo, v12, v28, vcc_lo
	v_lshlrev_b32_e32 v11, 2, v4
	v_cmp_eq_u32_e32 vcc_lo, 0, v18
	v_and_b32_e32 v12, v25, v26
	v_add_nc_u32_e32 v4, v3, v4
	v_cmp_ne_u32_e64 s5, 0, v33
	v_cndmask_b32_e64 v25, 1, 2, vcc_lo
	v_add_co_u32 v11, vcc_lo, v11, v9
	v_add_co_ci_u32_e32 v26, vcc_lo, 0, v10, vcc_lo
	v_cmp_eq_u32_e32 vcc_lo, 0, v32
	s_delay_alu instid0(VALU_DEP_4) | instskip(SKIP_4) | instid1(VALU_DEP_4)
	v_and_b32_e32 v25, v12, v25
	v_cndmask_b32_e64 v27, 1, 2, vcc_lo
	v_add_co_u32 v11, vcc_lo, v11, -4
	v_add_co_ci_u32_e32 v12, vcc_lo, -1, v26, vcc_lo
	v_cmp_eq_u32_e32 vcc_lo, 0, v30
	v_and_b32_e32 v25, v25, v27
	v_cndmask_b32_e64 v26, 1, 2, vcc_lo
	v_cmp_eq_u32_e32 vcc_lo, 0, v31
	s_delay_alu instid0(VALU_DEP_2) | instskip(SKIP_2) | instid1(VALU_DEP_2)
	v_and_b32_e32 v13, v25, v26
	v_cndmask_b32_e64 v14, 1, 2, vcc_lo
	v_cmp_eq_u32_e32 vcc_lo, 0, v16
	v_and_b32_e32 v13, v13, v14
	v_cndmask_b32_e64 v14, 1, 2, vcc_lo
	v_cmp_gt_u32_e32 vcc_lo, 0x100, v2
	s_delay_alu instid0(VALU_DEP_2) | instskip(NEXT) | instid1(VALU_DEP_1)
	v_and_b32_e32 v13, v13, v14
	v_cmp_gt_i16_e64 s15, 2, v13
	s_cbranch_vccnz .LBB332_155
; %bb.152:
	s_and_b32 vcc_lo, exec_lo, s16
	s_cbranch_vccnz .LBB332_161
.LBB332_153:
	v_cmp_eq_u32_e32 vcc_lo, 0xff, v0
	s_and_b32 s0, vcc_lo, s33
	s_delay_alu instid0(SALU_CYCLE_1)
	s_and_saveexec_b32 s1, s0
	s_cbranch_execnz .LBB332_170
.LBB332_154:
	s_nop 0
	s_sendmsg sendmsg(MSG_DEALLOC_VGPRS)
	s_endpgm
.LBB332_155:
	s_delay_alu instid0(VALU_DEP_1)
	s_and_saveexec_b32 s16, s15
	s_cbranch_execz .LBB332_160
; %bb.156:
	s_mov_b32 s17, 0
	s_mov_b32 s15, exec_lo
	v_cmpx_ne_u16_e32 1, v13
	s_xor_b32 s15, exec_lo, s15
	s_cbranch_execnz .LBB332_207
; %bb.157:
	s_and_not1_saveexec_b32 s15, s15
	s_cbranch_execnz .LBB332_223
.LBB332_158:
	s_or_b32 exec_lo, exec_lo, s15
	s_delay_alu instid0(SALU_CYCLE_1)
	s_and_b32 exec_lo, exec_lo, s17
	s_cbranch_execz .LBB332_160
.LBB332_159:
	v_sub_nc_u32_e32 v14, v49, v4
	v_mov_b32_e32 v15, 0
	s_delay_alu instid0(VALU_DEP_1) | instskip(NEXT) | instid1(VALU_DEP_1)
	v_lshlrev_b64 v[14:15], 2, v[14:15]
	v_add_co_u32 v14, vcc_lo, v11, v14
	s_delay_alu instid0(VALU_DEP_2)
	v_add_co_ci_u32_e32 v15, vcc_lo, v12, v15, vcc_lo
	global_store_b32 v[14:15], v50, off
.LBB332_160:
	s_or_b32 exec_lo, exec_lo, s16
	s_branch .LBB332_153
.LBB332_161:
	s_mov_b32 s15, exec_lo
	v_cmpx_gt_i16_e32 2, v13
	s_cbranch_execz .LBB332_166
; %bb.162:
	s_mov_b32 s17, 0
	s_mov_b32 s16, exec_lo
	v_cmpx_ne_u16_e32 1, v13
	s_xor_b32 s16, exec_lo, s16
	s_cbranch_execnz .LBB332_224
; %bb.163:
	s_and_not1_saveexec_b32 s0, s16
	s_cbranch_execnz .LBB332_240
.LBB332_164:
	s_or_b32 exec_lo, exec_lo, s0
	s_delay_alu instid0(SALU_CYCLE_1)
	s_and_b32 exec_lo, exec_lo, s17
	s_cbranch_execz .LBB332_166
.LBB332_165:
	v_sub_nc_u32_e32 v4, v49, v4
	s_delay_alu instid0(VALU_DEP_1)
	v_lshlrev_b32_e32 v4, 2, v4
	ds_store_b32 v4, v50
.LBB332_166:
	s_or_b32 exec_lo, exec_lo, s15
	s_delay_alu instid0(SALU_CYCLE_1)
	s_mov_b32 s1, exec_lo
	s_waitcnt lgkmcnt(0)
	s_waitcnt_vscnt null, 0x0
	s_barrier
	buffer_gl0_inv
	v_cmpx_lt_u32_e64 v0, v2
	s_cbranch_execz .LBB332_169
; %bb.167:
	v_dual_mov_b32 v5, 0 :: v_dual_lshlrev_b32 v6, 2, v0
	v_mov_b32_e32 v4, v0
	s_mov_b32 s2, 0
	.p2align	6
.LBB332_168:                            ; =>This Inner Loop Header: Depth=1
	ds_load_b32 v13, v6
	v_lshlrev_b64 v[7:8], 2, v[4:5]
	v_add_nc_u32_e32 v4, 0x100, v4
	v_add_nc_u32_e32 v6, 0x400, v6
	s_delay_alu instid0(VALU_DEP_2) | instskip(NEXT) | instid1(VALU_DEP_4)
	v_cmp_ge_u32_e32 vcc_lo, v4, v2
	v_add_co_u32 v7, s0, v11, v7
	s_delay_alu instid0(VALU_DEP_1)
	v_add_co_ci_u32_e64 v8, s0, v12, v8, s0
	s_or_b32 s2, vcc_lo, s2
	s_waitcnt lgkmcnt(0)
	global_store_b32 v[7:8], v13, off
	s_and_not1_b32 exec_lo, exec_lo, s2
	s_cbranch_execnz .LBB332_168
.LBB332_169:
	s_or_b32 exec_lo, exec_lo, s1
	v_cmp_eq_u32_e32 vcc_lo, 0xff, v0
	s_and_b32 s0, vcc_lo, s33
	s_delay_alu instid0(SALU_CYCLE_1)
	s_and_saveexec_b32 s1, s0
	s_cbranch_execz .LBB332_154
.LBB332_170:
	v_add_co_u32 v0, s0, v1, v3
	s_delay_alu instid0(VALU_DEP_1) | instskip(SKIP_1) | instid1(VALU_DEP_3)
	v_add_co_ci_u32_e64 v4, null, 0, 0, s0
	v_mov_b32_e32 v2, 0
	v_add_co_u32 v3, vcc_lo, v0, v23
	s_delay_alu instid0(VALU_DEP_3)
	v_add_co_ci_u32_e32 v4, vcc_lo, v4, v24, vcc_lo
	s_cmpk_lg_i32 s40, 0xf00
	global_store_b64 v2, v[3:4], s[30:31]
	s_cbranch_scc1 .LBB332_154
; %bb.171:
	v_lshlrev_b64 v[0:1], 2, v[1:2]
	s_delay_alu instid0(VALU_DEP_1) | instskip(NEXT) | instid1(VALU_DEP_2)
	v_add_co_u32 v0, vcc_lo, v9, v0
	v_add_co_ci_u32_e32 v1, vcc_lo, v10, v1, vcc_lo
	global_store_b32 v[0:1], v80, off offset:-4
	s_nop 0
	s_sendmsg sendmsg(MSG_DEALLOC_VGPRS)
	s_endpgm
.LBB332_172:
	s_or_b32 exec_lo, exec_lo, s4
	v_mov_b32_e32 v78, s1
	s_and_saveexec_b32 s1, s42
	s_cbranch_execnz .LBB332_88
	s_branch .LBB332_89
.LBB332_173:
	s_and_saveexec_b32 s18, s15
	s_cbranch_execnz .LBB332_241
; %bb.174:
	s_or_b32 exec_lo, exec_lo, s18
	s_and_saveexec_b32 s18, s14
	s_cbranch_execnz .LBB332_242
.LBB332_175:
	s_or_b32 exec_lo, exec_lo, s18
	s_and_saveexec_b32 s18, s13
	s_cbranch_execnz .LBB332_243
.LBB332_176:
	s_or_b32 exec_lo, exec_lo, s18
	s_and_saveexec_b32 s18, s12
	s_cbranch_execnz .LBB332_244
.LBB332_177:
	s_or_b32 exec_lo, exec_lo, s18
	s_and_saveexec_b32 s18, s11
	s_cbranch_execnz .LBB332_245
.LBB332_178:
	s_or_b32 exec_lo, exec_lo, s18
	s_and_saveexec_b32 s18, s10
	s_cbranch_execnz .LBB332_246
.LBB332_179:
	s_or_b32 exec_lo, exec_lo, s18
	s_and_saveexec_b32 s18, s8
	s_cbranch_execnz .LBB332_247
.LBB332_180:
	s_or_b32 exec_lo, exec_lo, s18
	s_and_saveexec_b32 s18, s6
	s_cbranch_execnz .LBB332_248
.LBB332_181:
	s_or_b32 exec_lo, exec_lo, s18
	s_and_saveexec_b32 s18, s9
	s_cbranch_execnz .LBB332_249
.LBB332_182:
	s_or_b32 exec_lo, exec_lo, s18
	s_and_saveexec_b32 s18, s7
	s_cbranch_execnz .LBB332_250
.LBB332_183:
	s_or_b32 exec_lo, exec_lo, s18
	s_and_saveexec_b32 s18, s5
	s_cbranch_execnz .LBB332_251
.LBB332_184:
	s_or_b32 exec_lo, exec_lo, s18
	s_and_saveexec_b32 s18, s4
	s_cbranch_execnz .LBB332_252
.LBB332_185:
	s_or_b32 exec_lo, exec_lo, s18
	s_and_saveexec_b32 s18, s3
	s_cbranch_execnz .LBB332_253
.LBB332_186:
	s_or_b32 exec_lo, exec_lo, s18
	s_and_saveexec_b32 s18, s1
	s_cbranch_execz .LBB332_188
.LBB332_187:
	v_sub_nc_u32_e32 v30, v57, v3
	v_mov_b32_e32 v31, 0
	s_delay_alu instid0(VALU_DEP_1) | instskip(NEXT) | instid1(VALU_DEP_1)
	v_lshlrev_b64 v[30:31], 2, v[30:31]
	v_add_co_u32 v30, vcc_lo, v2, v30
	s_delay_alu instid0(VALU_DEP_2)
	v_add_co_ci_u32_e32 v31, vcc_lo, v4, v31, vcc_lo
	global_store_b32 v[30:31], v10, off
.LBB332_188:
	s_or_b32 exec_lo, exec_lo, s18
	s_delay_alu instid0(SALU_CYCLE_1)
	s_and_b32 s18, s0, exec_lo
	s_and_not1_saveexec_b32 s16, s16
	s_cbranch_execz .LBB332_138
.LBB332_189:
	v_sub_nc_u32_e32 v30, v53, v3
	v_mov_b32_e32 v31, 0
	s_or_b32 s18, s18, exec_lo
	s_delay_alu instid0(VALU_DEP_1) | instskip(SKIP_1) | instid1(VALU_DEP_1)
	v_lshlrev_b64 v[32:33], 2, v[30:31]
	v_sub_nc_u32_e32 v30, v59, v3
	v_lshlrev_b64 v[34:35], 2, v[30:31]
	v_sub_nc_u32_e32 v30, v55, v3
	s_delay_alu instid0(VALU_DEP_4) | instskip(SKIP_1) | instid1(VALU_DEP_3)
	v_add_co_u32 v32, vcc_lo, v2, v32
	v_add_co_ci_u32_e32 v33, vcc_lo, v4, v33, vcc_lo
	v_lshlrev_b64 v[81:82], 2, v[30:31]
	v_sub_nc_u32_e32 v30, v51, v3
	v_add_co_u32 v34, vcc_lo, v2, v34
	v_add_co_ci_u32_e32 v35, vcc_lo, v4, v35, vcc_lo
	global_store_b32 v[32:33], v21, off
	v_lshlrev_b64 v[32:33], 2, v[30:31]
	v_sub_nc_u32_e32 v30, v45, v3
	global_store_b32 v[34:35], v22, off
	v_add_co_u32 v34, vcc_lo, v2, v81
	v_add_co_ci_u32_e32 v35, vcc_lo, v4, v82, vcc_lo
	v_lshlrev_b64 v[81:82], 2, v[30:31]
	v_sub_nc_u32_e32 v30, v41, v3
	v_add_co_u32 v32, vcc_lo, v2, v32
	v_add_co_ci_u32_e32 v33, vcc_lo, v4, v33, vcc_lo
	s_delay_alu instid0(VALU_DEP_3) | instskip(SKIP_3) | instid1(VALU_DEP_3)
	v_lshlrev_b64 v[83:84], 2, v[30:31]
	v_sub_nc_u32_e32 v30, v39, v3
	v_add_co_u32 v81, vcc_lo, v2, v81
	v_add_co_ci_u32_e32 v82, vcc_lo, v4, v82, vcc_lo
	v_lshlrev_b64 v[85:86], 2, v[30:31]
	v_sub_nc_u32_e32 v30, v43, v3
	v_add_co_u32 v83, vcc_lo, v2, v83
	v_add_co_ci_u32_e32 v84, vcc_lo, v4, v84, vcc_lo
	s_clause 0x3
	global_store_b32 v[34:35], v19, off
	global_store_b32 v[32:33], v20, off
	;; [unrolled: 1-line block ×4, first 2 shown]
	v_lshlrev_b64 v[32:33], 2, v[30:31]
	v_sub_nc_u32_e32 v30, v47, v3
	v_add_co_u32 v34, vcc_lo, v2, v85
	v_add_co_ci_u32_e32 v35, vcc_lo, v4, v86, vcc_lo
	s_delay_alu instid0(VALU_DEP_3) | instskip(SKIP_3) | instid1(VALU_DEP_3)
	v_lshlrev_b64 v[81:82], 2, v[30:31]
	v_sub_nc_u32_e32 v30, v5, v3
	v_add_co_u32 v32, vcc_lo, v2, v32
	v_add_co_ci_u32_e32 v33, vcc_lo, v4, v33, vcc_lo
	v_lshlrev_b64 v[83:84], 2, v[30:31]
	v_sub_nc_u32_e32 v30, v7, v3
	v_add_co_u32 v81, vcc_lo, v2, v81
	v_add_co_ci_u32_e32 v82, vcc_lo, v4, v82, vcc_lo
	s_delay_alu instid0(VALU_DEP_3)
	v_lshlrev_b64 v[85:86], 2, v[30:31]
	v_sub_nc_u32_e32 v30, v37, v3
	v_add_co_u32 v83, vcc_lo, v2, v83
	v_add_co_ci_u32_e32 v84, vcc_lo, v4, v84, vcc_lo
	s_clause 0x3
	global_store_b32 v[34:35], v15, off
	global_store_b32 v[32:33], v16, off
	;; [unrolled: 1-line block ×4, first 2 shown]
	v_lshlrev_b64 v[32:33], 2, v[30:31]
	v_sub_nc_u32_e32 v30, v61, v3
	v_add_co_u32 v34, vcc_lo, v2, v85
	v_add_co_ci_u32_e32 v35, vcc_lo, v4, v86, vcc_lo
	s_delay_alu instid0(VALU_DEP_3) | instskip(SKIP_3) | instid1(VALU_DEP_3)
	v_lshlrev_b64 v[81:82], 2, v[30:31]
	v_sub_nc_u32_e32 v30, v57, v3
	v_add_co_u32 v32, vcc_lo, v2, v32
	v_add_co_ci_u32_e32 v33, vcc_lo, v4, v33, vcc_lo
	v_lshlrev_b64 v[30:31], 2, v[30:31]
	v_add_co_u32 v81, vcc_lo, v2, v81
	v_add_co_ci_u32_e32 v82, vcc_lo, v4, v82, vcc_lo
	s_clause 0x2
	global_store_b32 v[34:35], v11, off
	global_store_b32 v[32:33], v12, off
	;; [unrolled: 1-line block ×3, first 2 shown]
	v_add_co_u32 v30, vcc_lo, v2, v30
	v_add_co_ci_u32_e32 v31, vcc_lo, v4, v31, vcc_lo
	global_store_b32 v[30:31], v10, off
	s_or_b32 exec_lo, exec_lo, s16
	s_delay_alu instid0(SALU_CYCLE_1)
	s_and_b32 exec_lo, exec_lo, s18
	s_cbranch_execnz .LBB332_139
	s_branch .LBB332_140
.LBB332_190:
	s_and_saveexec_b32 s18, s15
	s_cbranch_execnz .LBB332_254
; %bb.191:
	s_or_b32 exec_lo, exec_lo, s18
	s_and_saveexec_b32 s15, s14
	s_cbranch_execnz .LBB332_255
.LBB332_192:
	s_or_b32 exec_lo, exec_lo, s15
	s_and_saveexec_b32 s14, s13
	s_cbranch_execnz .LBB332_256
.LBB332_193:
	s_or_b32 exec_lo, exec_lo, s14
	s_and_saveexec_b32 s13, s12
	s_cbranch_execnz .LBB332_257
.LBB332_194:
	s_or_b32 exec_lo, exec_lo, s13
	s_and_saveexec_b32 s12, s11
	s_cbranch_execnz .LBB332_258
.LBB332_195:
	s_or_b32 exec_lo, exec_lo, s12
	s_and_saveexec_b32 s11, s10
	s_cbranch_execnz .LBB332_259
.LBB332_196:
	s_or_b32 exec_lo, exec_lo, s11
	s_and_saveexec_b32 s10, s8
	s_cbranch_execnz .LBB332_260
.LBB332_197:
	s_or_b32 exec_lo, exec_lo, s10
	s_and_saveexec_b32 s8, s6
	s_cbranch_execnz .LBB332_261
.LBB332_198:
	s_or_b32 exec_lo, exec_lo, s8
	s_and_saveexec_b32 s6, s9
	s_cbranch_execnz .LBB332_262
.LBB332_199:
	s_or_b32 exec_lo, exec_lo, s6
	s_and_saveexec_b32 s6, s7
	s_cbranch_execnz .LBB332_263
.LBB332_200:
	s_or_b32 exec_lo, exec_lo, s6
	s_and_saveexec_b32 s6, s5
	s_cbranch_execnz .LBB332_264
.LBB332_201:
	s_or_b32 exec_lo, exec_lo, s6
	s_and_saveexec_b32 s5, s4
	s_cbranch_execnz .LBB332_265
.LBB332_202:
	s_or_b32 exec_lo, exec_lo, s5
	s_and_saveexec_b32 s4, s3
	s_cbranch_execnz .LBB332_266
.LBB332_203:
	s_or_b32 exec_lo, exec_lo, s4
	s_and_saveexec_b32 s3, s1
	s_cbranch_execz .LBB332_205
.LBB332_204:
	v_sub_nc_u32_e32 v9, v57, v3
	s_delay_alu instid0(VALU_DEP_1)
	v_lshlrev_b32_e32 v9, 2, v9
	ds_store_b32 v9, v10
.LBB332_205:
	s_or_b32 exec_lo, exec_lo, s3
	s_delay_alu instid0(SALU_CYCLE_1)
	s_and_b32 s18, s0, exec_lo
                                        ; implicit-def: $vgpr21
                                        ; implicit-def: $vgpr19
                                        ; implicit-def: $vgpr17
                                        ; implicit-def: $vgpr15
                                        ; implicit-def: $vgpr13
                                        ; implicit-def: $vgpr11
                                        ; implicit-def: $vgpr9
	s_and_not1_saveexec_b32 s0, s17
	s_cbranch_execz .LBB332_145
.LBB332_206:
	v_sub_nc_u32_e32 v29, v53, v3
	v_sub_nc_u32_e32 v32, v51, v3
	;; [unrolled: 1-line block ×4, first 2 shown]
	s_or_b32 s18, s18, exec_lo
	v_lshlrev_b32_e32 v29, 2, v29
	v_lshlrev_b32_e32 v32, 2, v32
	;; [unrolled: 1-line block ×4, first 2 shown]
	ds_store_b32 v29, v21
	ds_store_b32 v30, v22
	;; [unrolled: 1-line block ×3, first 2 shown]
	v_sub_nc_u32_e32 v19, v45, v3
	ds_store_b32 v32, v20
	v_sub_nc_u32_e32 v20, v41, v3
	v_sub_nc_u32_e32 v21, v39, v3
	;; [unrolled: 1-line block ×3, first 2 shown]
	v_lshlrev_b32_e32 v19, 2, v19
	v_sub_nc_u32_e32 v29, v47, v3
	v_lshlrev_b32_e32 v20, 2, v20
	v_lshlrev_b32_e32 v21, 2, v21
	;; [unrolled: 1-line block ×3, first 2 shown]
	ds_store_b32 v19, v17
	v_lshlrev_b32_e32 v17, 2, v29
	ds_store_b32 v20, v18
	ds_store_b32 v21, v15
	;; [unrolled: 1-line block ×3, first 2 shown]
	v_sub_nc_u32_e32 v15, v5, v3
	v_sub_nc_u32_e32 v18, v57, v3
	v_sub_nc_u32_e32 v16, v37, v3
	ds_store_b32 v17, v13
	v_sub_nc_u32_e32 v13, v7, v3
	v_lshlrev_b32_e32 v15, 2, v15
	v_sub_nc_u32_e32 v17, v61, v3
	v_lshlrev_b32_e32 v16, 2, v16
	s_delay_alu instid0(VALU_DEP_4)
	v_lshlrev_b32_e32 v13, 2, v13
	ds_store_b32 v15, v14
	v_lshlrev_b32_e32 v14, 2, v18
	v_lshlrev_b32_e32 v17, 2, v17
	ds_store_b32 v13, v11
	ds_store_b32 v16, v12
	;; [unrolled: 1-line block ×4, first 2 shown]
	s_or_b32 exec_lo, exec_lo, s0
	s_delay_alu instid0(SALU_CYCLE_1)
	s_and_b32 exec_lo, exec_lo, s18
	s_cbranch_execnz .LBB332_146
	s_branch .LBB332_147
.LBB332_207:
	s_and_saveexec_b32 s17, s14
	s_cbranch_execnz .LBB332_267
; %bb.208:
	s_or_b32 exec_lo, exec_lo, s17
	s_and_saveexec_b32 s17, s13
	s_cbranch_execnz .LBB332_268
.LBB332_209:
	s_or_b32 exec_lo, exec_lo, s17
	s_and_saveexec_b32 s17, s12
	s_cbranch_execnz .LBB332_269
.LBB332_210:
	s_or_b32 exec_lo, exec_lo, s17
	s_and_saveexec_b32 s17, s11
	s_cbranch_execnz .LBB332_270
.LBB332_211:
	s_or_b32 exec_lo, exec_lo, s17
	s_and_saveexec_b32 s17, s10
	s_cbranch_execnz .LBB332_271
.LBB332_212:
	s_or_b32 exec_lo, exec_lo, s17
	s_and_saveexec_b32 s17, s9
	s_cbranch_execnz .LBB332_272
.LBB332_213:
	s_or_b32 exec_lo, exec_lo, s17
	s_and_saveexec_b32 s17, s8
	s_cbranch_execnz .LBB332_273
.LBB332_214:
	s_or_b32 exec_lo, exec_lo, s17
	s_and_saveexec_b32 s17, s7
	s_cbranch_execnz .LBB332_274
.LBB332_215:
	s_or_b32 exec_lo, exec_lo, s17
	s_and_saveexec_b32 s17, s6
	s_cbranch_execnz .LBB332_275
.LBB332_216:
	s_or_b32 exec_lo, exec_lo, s17
	s_and_saveexec_b32 s17, s5
	s_cbranch_execnz .LBB332_276
.LBB332_217:
	s_or_b32 exec_lo, exec_lo, s17
	s_and_saveexec_b32 s17, s4
	s_cbranch_execnz .LBB332_277
.LBB332_218:
	s_or_b32 exec_lo, exec_lo, s17
	s_and_saveexec_b32 s17, s3
	s_cbranch_execnz .LBB332_278
.LBB332_219:
	s_or_b32 exec_lo, exec_lo, s17
	s_and_saveexec_b32 s17, s2
	s_cbranch_execnz .LBB332_279
.LBB332_220:
	s_or_b32 exec_lo, exec_lo, s17
	s_and_saveexec_b32 s17, s1
	s_cbranch_execz .LBB332_222
.LBB332_221:
	v_sub_nc_u32_e32 v14, v57, v4
	v_mov_b32_e32 v15, 0
	s_delay_alu instid0(VALU_DEP_1) | instskip(NEXT) | instid1(VALU_DEP_1)
	v_lshlrev_b64 v[14:15], 2, v[14:15]
	v_add_co_u32 v14, vcc_lo, v11, v14
	s_delay_alu instid0(VALU_DEP_2)
	v_add_co_ci_u32_e32 v15, vcc_lo, v12, v15, vcc_lo
	global_store_b32 v[14:15], v58, off
.LBB332_222:
	s_or_b32 exec_lo, exec_lo, s17
	s_delay_alu instid0(SALU_CYCLE_1)
	s_and_b32 s17, s0, exec_lo
	s_and_not1_saveexec_b32 s15, s15
	s_cbranch_execz .LBB332_158
.LBB332_223:
	v_sub_nc_u32_e32 v14, v53, v4
	v_mov_b32_e32 v15, 0
	s_or_b32 s17, s17, exec_lo
	s_delay_alu instid0(VALU_DEP_1) | instskip(SKIP_1) | instid1(VALU_DEP_1)
	v_lshlrev_b64 v[16:17], 2, v[14:15]
	v_sub_nc_u32_e32 v14, v59, v4
	v_lshlrev_b64 v[18:19], 2, v[14:15]
	v_sub_nc_u32_e32 v14, v55, v4
	s_delay_alu instid0(VALU_DEP_4) | instskip(SKIP_1) | instid1(VALU_DEP_3)
	v_add_co_u32 v16, vcc_lo, v11, v16
	v_add_co_ci_u32_e32 v17, vcc_lo, v12, v17, vcc_lo
	v_lshlrev_b64 v[20:21], 2, v[14:15]
	v_sub_nc_u32_e32 v14, v51, v4
	v_add_co_u32 v18, vcc_lo, v11, v18
	v_add_co_ci_u32_e32 v19, vcc_lo, v12, v19, vcc_lo
	global_store_b32 v[16:17], v54, off
	v_lshlrev_b64 v[16:17], 2, v[14:15]
	v_sub_nc_u32_e32 v14, v45, v4
	global_store_b32 v[18:19], v60, off
	v_add_co_u32 v18, vcc_lo, v11, v20
	v_add_co_ci_u32_e32 v19, vcc_lo, v12, v21, vcc_lo
	v_lshlrev_b64 v[20:21], 2, v[14:15]
	v_sub_nc_u32_e32 v14, v41, v4
	v_add_co_u32 v16, vcc_lo, v11, v16
	v_add_co_ci_u32_e32 v17, vcc_lo, v12, v17, vcc_lo
	s_delay_alu instid0(VALU_DEP_3) | instskip(SKIP_3) | instid1(VALU_DEP_3)
	v_lshlrev_b64 v[25:26], 2, v[14:15]
	v_sub_nc_u32_e32 v14, v39, v4
	v_add_co_u32 v20, vcc_lo, v11, v20
	v_add_co_ci_u32_e32 v21, vcc_lo, v12, v21, vcc_lo
	v_lshlrev_b64 v[27:28], 2, v[14:15]
	v_sub_nc_u32_e32 v14, v43, v4
	v_add_co_u32 v25, vcc_lo, v11, v25
	v_add_co_ci_u32_e32 v26, vcc_lo, v12, v26, vcc_lo
	s_clause 0x3
	global_store_b32 v[18:19], v56, off
	global_store_b32 v[16:17], v52, off
	;; [unrolled: 1-line block ×4, first 2 shown]
	v_lshlrev_b64 v[16:17], 2, v[14:15]
	v_sub_nc_u32_e32 v14, v47, v4
	v_add_co_u32 v18, vcc_lo, v11, v27
	v_add_co_ci_u32_e32 v19, vcc_lo, v12, v28, vcc_lo
	s_delay_alu instid0(VALU_DEP_3) | instskip(SKIP_3) | instid1(VALU_DEP_3)
	v_lshlrev_b64 v[20:21], 2, v[14:15]
	v_sub_nc_u32_e32 v14, v5, v4
	v_add_co_u32 v16, vcc_lo, v11, v16
	v_add_co_ci_u32_e32 v17, vcc_lo, v12, v17, vcc_lo
	v_lshlrev_b64 v[25:26], 2, v[14:15]
	v_sub_nc_u32_e32 v14, v7, v4
	v_add_co_u32 v20, vcc_lo, v11, v20
	v_add_co_ci_u32_e32 v21, vcc_lo, v12, v21, vcc_lo
	s_delay_alu instid0(VALU_DEP_3)
	v_lshlrev_b64 v[27:28], 2, v[14:15]
	v_sub_nc_u32_e32 v14, v37, v4
	v_add_co_u32 v25, vcc_lo, v11, v25
	v_add_co_ci_u32_e32 v26, vcc_lo, v12, v26, vcc_lo
	s_clause 0x3
	global_store_b32 v[18:19], v40, off
	global_store_b32 v[16:17], v44, off
	;; [unrolled: 1-line block ×4, first 2 shown]
	v_lshlrev_b64 v[16:17], 2, v[14:15]
	v_sub_nc_u32_e32 v14, v61, v4
	v_add_co_u32 v18, vcc_lo, v11, v27
	v_add_co_ci_u32_e32 v19, vcc_lo, v12, v28, vcc_lo
	s_delay_alu instid0(VALU_DEP_3) | instskip(SKIP_3) | instid1(VALU_DEP_3)
	v_lshlrev_b64 v[20:21], 2, v[14:15]
	v_sub_nc_u32_e32 v14, v57, v4
	v_add_co_u32 v16, vcc_lo, v11, v16
	v_add_co_ci_u32_e32 v17, vcc_lo, v12, v17, vcc_lo
	v_lshlrev_b64 v[14:15], 2, v[14:15]
	v_add_co_u32 v20, vcc_lo, v11, v20
	v_add_co_ci_u32_e32 v21, vcc_lo, v12, v21, vcc_lo
	s_clause 0x2
	global_store_b32 v[18:19], v8, off
	global_store_b32 v[16:17], v38, off
	;; [unrolled: 1-line block ×3, first 2 shown]
	v_add_co_u32 v14, vcc_lo, v11, v14
	v_add_co_ci_u32_e32 v15, vcc_lo, v12, v15, vcc_lo
	global_store_b32 v[14:15], v58, off
	s_or_b32 exec_lo, exec_lo, s15
	s_delay_alu instid0(SALU_CYCLE_1)
	s_and_b32 exec_lo, exec_lo, s17
	s_cbranch_execnz .LBB332_159
	s_branch .LBB332_160
.LBB332_224:
	s_and_saveexec_b32 s17, s14
	s_cbranch_execnz .LBB332_280
; %bb.225:
	s_or_b32 exec_lo, exec_lo, s17
	s_and_saveexec_b32 s14, s13
	s_cbranch_execnz .LBB332_281
.LBB332_226:
	s_or_b32 exec_lo, exec_lo, s14
	s_and_saveexec_b32 s13, s12
	s_cbranch_execnz .LBB332_282
.LBB332_227:
	s_or_b32 exec_lo, exec_lo, s13
	s_and_saveexec_b32 s12, s11
	s_cbranch_execnz .LBB332_283
.LBB332_228:
	s_or_b32 exec_lo, exec_lo, s12
	s_and_saveexec_b32 s11, s10
	s_cbranch_execnz .LBB332_284
.LBB332_229:
	s_or_b32 exec_lo, exec_lo, s11
	s_and_saveexec_b32 s10, s9
	s_cbranch_execnz .LBB332_285
.LBB332_230:
	s_or_b32 exec_lo, exec_lo, s10
	s_and_saveexec_b32 s9, s8
	s_cbranch_execnz .LBB332_286
.LBB332_231:
	s_or_b32 exec_lo, exec_lo, s9
	s_and_saveexec_b32 s8, s7
	s_cbranch_execnz .LBB332_287
.LBB332_232:
	s_or_b32 exec_lo, exec_lo, s8
	s_and_saveexec_b32 s7, s6
	s_cbranch_execnz .LBB332_288
.LBB332_233:
	s_or_b32 exec_lo, exec_lo, s7
	s_and_saveexec_b32 s6, s5
	s_cbranch_execnz .LBB332_289
.LBB332_234:
	s_or_b32 exec_lo, exec_lo, s6
	s_and_saveexec_b32 s5, s4
	s_cbranch_execnz .LBB332_290
.LBB332_235:
	s_or_b32 exec_lo, exec_lo, s5
	s_and_saveexec_b32 s4, s3
	s_cbranch_execnz .LBB332_291
.LBB332_236:
	s_or_b32 exec_lo, exec_lo, s4
	s_and_saveexec_b32 s3, s2
	s_cbranch_execnz .LBB332_292
.LBB332_237:
	s_or_b32 exec_lo, exec_lo, s3
	s_and_saveexec_b32 s2, s1
	s_cbranch_execz .LBB332_239
.LBB332_238:
	v_sub_nc_u32_e32 v5, v57, v4
	s_delay_alu instid0(VALU_DEP_1)
	v_lshlrev_b32_e32 v5, 2, v5
	ds_store_b32 v5, v58
.LBB332_239:
	s_or_b32 exec_lo, exec_lo, s2
	s_delay_alu instid0(SALU_CYCLE_1)
	s_and_b32 s17, s0, exec_lo
                                        ; implicit-def: $vgpr53_vgpr54
                                        ; implicit-def: $vgpr59_vgpr60
                                        ; implicit-def: $vgpr55_vgpr56
                                        ; implicit-def: $vgpr51_vgpr52
                                        ; implicit-def: $vgpr45_vgpr46
                                        ; implicit-def: $vgpr41_vgpr42
                                        ; implicit-def: $vgpr39_vgpr40
                                        ; implicit-def: $vgpr43_vgpr44
                                        ; implicit-def: $vgpr47_vgpr48
                                        ; implicit-def: $vgpr5_vgpr6
                                        ; implicit-def: $vgpr7_vgpr8
                                        ; implicit-def: $vgpr37_vgpr38
                                        ; implicit-def: $vgpr61_vgpr62
                                        ; implicit-def: $vgpr57_vgpr58
	s_and_not1_saveexec_b32 s0, s16
	s_cbranch_execz .LBB332_164
.LBB332_240:
	v_sub_nc_u32_e32 v13, v53, v4
	v_sub_nc_u32_e32 v14, v59, v4
	;; [unrolled: 1-line block ×5, first 2 shown]
	v_lshlrev_b32_e32 v13, 2, v13
	v_lshlrev_b32_e32 v14, 2, v14
	;; [unrolled: 1-line block ×4, first 2 shown]
	v_sub_nc_u32_e32 v5, v5, v4
	ds_store_b32 v13, v54
	ds_store_b32 v14, v60
	;; [unrolled: 1-line block ×3, first 2 shown]
	v_sub_nc_u32_e32 v13, v45, v4
	v_sub_nc_u32_e32 v14, v41, v4
	;; [unrolled: 1-line block ×3, first 2 shown]
	ds_store_b32 v16, v52
	v_sub_nc_u32_e32 v16, v43, v4
	v_lshlrev_b32_e32 v13, 2, v13
	v_lshlrev_b32_e32 v14, 2, v14
	;; [unrolled: 1-line block ×3, first 2 shown]
	v_sub_nc_u32_e32 v7, v7, v4
	v_lshlrev_b32_e32 v16, 2, v16
	ds_store_b32 v13, v46
	v_lshlrev_b32_e32 v13, 2, v17
	ds_store_b32 v14, v42
	ds_store_b32 v15, v40
	;; [unrolled: 1-line block ×3, first 2 shown]
	v_lshlrev_b32_e32 v5, 2, v5
	v_sub_nc_u32_e32 v15, v57, v4
	v_sub_nc_u32_e32 v14, v61, v4
	ds_store_b32 v13, v48
	v_sub_nc_u32_e32 v13, v37, v4
	v_lshlrev_b32_e32 v7, 2, v7
	ds_store_b32 v5, v6
	v_lshlrev_b32_e32 v5, 2, v15
	v_lshlrev_b32_e32 v14, 2, v14
	;; [unrolled: 1-line block ×3, first 2 shown]
	s_or_b32 s17, s17, exec_lo
	ds_store_b32 v7, v8
	ds_store_b32 v13, v38
	ds_store_b32 v14, v62
	ds_store_b32 v5, v58
	s_or_b32 exec_lo, exec_lo, s0
	s_delay_alu instid0(SALU_CYCLE_1)
	s_and_b32 exec_lo, exec_lo, s17
	s_cbranch_execnz .LBB332_165
	s_branch .LBB332_166
.LBB332_241:
	v_sub_nc_u32_e32 v30, v53, v3
	v_mov_b32_e32 v31, 0
	s_delay_alu instid0(VALU_DEP_1) | instskip(NEXT) | instid1(VALU_DEP_1)
	v_lshlrev_b64 v[30:31], 2, v[30:31]
	v_add_co_u32 v30, vcc_lo, v2, v30
	s_delay_alu instid0(VALU_DEP_2)
	v_add_co_ci_u32_e32 v31, vcc_lo, v4, v31, vcc_lo
	global_store_b32 v[30:31], v21, off
	s_or_b32 exec_lo, exec_lo, s18
	s_and_saveexec_b32 s18, s14
	s_cbranch_execz .LBB332_175
.LBB332_242:
	v_sub_nc_u32_e32 v30, v59, v3
	v_mov_b32_e32 v31, 0
	s_delay_alu instid0(VALU_DEP_1) | instskip(NEXT) | instid1(VALU_DEP_1)
	v_lshlrev_b64 v[30:31], 2, v[30:31]
	v_add_co_u32 v30, vcc_lo, v2, v30
	s_delay_alu instid0(VALU_DEP_2)
	v_add_co_ci_u32_e32 v31, vcc_lo, v4, v31, vcc_lo
	global_store_b32 v[30:31], v22, off
	s_or_b32 exec_lo, exec_lo, s18
	s_and_saveexec_b32 s18, s13
	s_cbranch_execz .LBB332_176
.LBB332_243:
	v_sub_nc_u32_e32 v30, v55, v3
	v_mov_b32_e32 v31, 0
	s_delay_alu instid0(VALU_DEP_1) | instskip(NEXT) | instid1(VALU_DEP_1)
	v_lshlrev_b64 v[30:31], 2, v[30:31]
	v_add_co_u32 v30, vcc_lo, v2, v30
	s_delay_alu instid0(VALU_DEP_2)
	v_add_co_ci_u32_e32 v31, vcc_lo, v4, v31, vcc_lo
	global_store_b32 v[30:31], v19, off
	s_or_b32 exec_lo, exec_lo, s18
	s_and_saveexec_b32 s18, s12
	s_cbranch_execz .LBB332_177
.LBB332_244:
	v_sub_nc_u32_e32 v30, v51, v3
	v_mov_b32_e32 v31, 0
	s_delay_alu instid0(VALU_DEP_1) | instskip(NEXT) | instid1(VALU_DEP_1)
	v_lshlrev_b64 v[30:31], 2, v[30:31]
	v_add_co_u32 v30, vcc_lo, v2, v30
	s_delay_alu instid0(VALU_DEP_2)
	v_add_co_ci_u32_e32 v31, vcc_lo, v4, v31, vcc_lo
	global_store_b32 v[30:31], v20, off
	s_or_b32 exec_lo, exec_lo, s18
	s_and_saveexec_b32 s18, s11
	s_cbranch_execz .LBB332_178
.LBB332_245:
	v_sub_nc_u32_e32 v30, v45, v3
	v_mov_b32_e32 v31, 0
	s_delay_alu instid0(VALU_DEP_1) | instskip(NEXT) | instid1(VALU_DEP_1)
	v_lshlrev_b64 v[30:31], 2, v[30:31]
	v_add_co_u32 v30, vcc_lo, v2, v30
	s_delay_alu instid0(VALU_DEP_2)
	v_add_co_ci_u32_e32 v31, vcc_lo, v4, v31, vcc_lo
	global_store_b32 v[30:31], v17, off
	s_or_b32 exec_lo, exec_lo, s18
	s_and_saveexec_b32 s18, s10
	s_cbranch_execz .LBB332_179
.LBB332_246:
	v_sub_nc_u32_e32 v30, v41, v3
	v_mov_b32_e32 v31, 0
	s_delay_alu instid0(VALU_DEP_1) | instskip(NEXT) | instid1(VALU_DEP_1)
	v_lshlrev_b64 v[30:31], 2, v[30:31]
	v_add_co_u32 v30, vcc_lo, v2, v30
	s_delay_alu instid0(VALU_DEP_2)
	v_add_co_ci_u32_e32 v31, vcc_lo, v4, v31, vcc_lo
	global_store_b32 v[30:31], v18, off
	s_or_b32 exec_lo, exec_lo, s18
	s_and_saveexec_b32 s18, s8
	s_cbranch_execz .LBB332_180
.LBB332_247:
	v_sub_nc_u32_e32 v30, v39, v3
	v_mov_b32_e32 v31, 0
	s_delay_alu instid0(VALU_DEP_1) | instskip(NEXT) | instid1(VALU_DEP_1)
	v_lshlrev_b64 v[30:31], 2, v[30:31]
	v_add_co_u32 v30, vcc_lo, v2, v30
	s_delay_alu instid0(VALU_DEP_2)
	v_add_co_ci_u32_e32 v31, vcc_lo, v4, v31, vcc_lo
	global_store_b32 v[30:31], v15, off
	s_or_b32 exec_lo, exec_lo, s18
	s_and_saveexec_b32 s18, s6
	s_cbranch_execz .LBB332_181
.LBB332_248:
	v_sub_nc_u32_e32 v30, v43, v3
	v_mov_b32_e32 v31, 0
	s_delay_alu instid0(VALU_DEP_1) | instskip(NEXT) | instid1(VALU_DEP_1)
	v_lshlrev_b64 v[30:31], 2, v[30:31]
	v_add_co_u32 v30, vcc_lo, v2, v30
	s_delay_alu instid0(VALU_DEP_2)
	v_add_co_ci_u32_e32 v31, vcc_lo, v4, v31, vcc_lo
	global_store_b32 v[30:31], v16, off
	s_or_b32 exec_lo, exec_lo, s18
	s_and_saveexec_b32 s18, s9
	s_cbranch_execz .LBB332_182
.LBB332_249:
	v_sub_nc_u32_e32 v30, v47, v3
	v_mov_b32_e32 v31, 0
	s_delay_alu instid0(VALU_DEP_1) | instskip(NEXT) | instid1(VALU_DEP_1)
	v_lshlrev_b64 v[30:31], 2, v[30:31]
	v_add_co_u32 v30, vcc_lo, v2, v30
	s_delay_alu instid0(VALU_DEP_2)
	v_add_co_ci_u32_e32 v31, vcc_lo, v4, v31, vcc_lo
	global_store_b32 v[30:31], v13, off
	s_or_b32 exec_lo, exec_lo, s18
	s_and_saveexec_b32 s18, s7
	s_cbranch_execz .LBB332_183
.LBB332_250:
	v_sub_nc_u32_e32 v30, v5, v3
	v_mov_b32_e32 v31, 0
	s_delay_alu instid0(VALU_DEP_1) | instskip(NEXT) | instid1(VALU_DEP_1)
	v_lshlrev_b64 v[30:31], 2, v[30:31]
	v_add_co_u32 v30, vcc_lo, v2, v30
	s_delay_alu instid0(VALU_DEP_2)
	v_add_co_ci_u32_e32 v31, vcc_lo, v4, v31, vcc_lo
	global_store_b32 v[30:31], v14, off
	s_or_b32 exec_lo, exec_lo, s18
	s_and_saveexec_b32 s18, s5
	s_cbranch_execz .LBB332_184
.LBB332_251:
	v_sub_nc_u32_e32 v30, v7, v3
	v_mov_b32_e32 v31, 0
	s_delay_alu instid0(VALU_DEP_1) | instskip(NEXT) | instid1(VALU_DEP_1)
	v_lshlrev_b64 v[30:31], 2, v[30:31]
	v_add_co_u32 v30, vcc_lo, v2, v30
	s_delay_alu instid0(VALU_DEP_2)
	v_add_co_ci_u32_e32 v31, vcc_lo, v4, v31, vcc_lo
	global_store_b32 v[30:31], v11, off
	s_or_b32 exec_lo, exec_lo, s18
	s_and_saveexec_b32 s18, s4
	s_cbranch_execz .LBB332_185
.LBB332_252:
	v_sub_nc_u32_e32 v30, v37, v3
	v_mov_b32_e32 v31, 0
	s_delay_alu instid0(VALU_DEP_1) | instskip(NEXT) | instid1(VALU_DEP_1)
	v_lshlrev_b64 v[30:31], 2, v[30:31]
	v_add_co_u32 v30, vcc_lo, v2, v30
	s_delay_alu instid0(VALU_DEP_2)
	v_add_co_ci_u32_e32 v31, vcc_lo, v4, v31, vcc_lo
	global_store_b32 v[30:31], v12, off
	s_or_b32 exec_lo, exec_lo, s18
	s_and_saveexec_b32 s18, s3
	s_cbranch_execz .LBB332_186
.LBB332_253:
	v_sub_nc_u32_e32 v30, v61, v3
	v_mov_b32_e32 v31, 0
	s_delay_alu instid0(VALU_DEP_1) | instskip(NEXT) | instid1(VALU_DEP_1)
	v_lshlrev_b64 v[30:31], 2, v[30:31]
	v_add_co_u32 v30, vcc_lo, v2, v30
	s_delay_alu instid0(VALU_DEP_2)
	v_add_co_ci_u32_e32 v31, vcc_lo, v4, v31, vcc_lo
	global_store_b32 v[30:31], v9, off
	s_or_b32 exec_lo, exec_lo, s18
	s_and_saveexec_b32 s18, s1
	s_cbranch_execnz .LBB332_187
	s_branch .LBB332_188
.LBB332_254:
	v_sub_nc_u32_e32 v29, v53, v3
	s_delay_alu instid0(VALU_DEP_1)
	v_lshlrev_b32_e32 v29, 2, v29
	ds_store_b32 v29, v21
	s_or_b32 exec_lo, exec_lo, s18
	s_and_saveexec_b32 s15, s14
	s_cbranch_execz .LBB332_192
.LBB332_255:
	v_sub_nc_u32_e32 v21, v59, v3
	s_delay_alu instid0(VALU_DEP_1)
	v_lshlrev_b32_e32 v21, 2, v21
	ds_store_b32 v21, v22
	s_or_b32 exec_lo, exec_lo, s15
	s_and_saveexec_b32 s14, s13
	s_cbranch_execz .LBB332_193
.LBB332_256:
	v_sub_nc_u32_e32 v21, v55, v3
	s_delay_alu instid0(VALU_DEP_1)
	v_lshlrev_b32_e32 v21, 2, v21
	ds_store_b32 v21, v19
	s_or_b32 exec_lo, exec_lo, s14
	s_and_saveexec_b32 s13, s12
	s_cbranch_execz .LBB332_194
.LBB332_257:
	v_sub_nc_u32_e32 v19, v51, v3
	s_delay_alu instid0(VALU_DEP_1)
	v_lshlrev_b32_e32 v19, 2, v19
	ds_store_b32 v19, v20
	s_or_b32 exec_lo, exec_lo, s13
	s_and_saveexec_b32 s12, s11
	s_cbranch_execz .LBB332_195
.LBB332_258:
	v_sub_nc_u32_e32 v19, v45, v3
	s_delay_alu instid0(VALU_DEP_1)
	v_lshlrev_b32_e32 v19, 2, v19
	ds_store_b32 v19, v17
	s_or_b32 exec_lo, exec_lo, s12
	s_and_saveexec_b32 s11, s10
	s_cbranch_execz .LBB332_196
.LBB332_259:
	v_sub_nc_u32_e32 v17, v41, v3
	s_delay_alu instid0(VALU_DEP_1)
	v_lshlrev_b32_e32 v17, 2, v17
	ds_store_b32 v17, v18
	s_or_b32 exec_lo, exec_lo, s11
	s_and_saveexec_b32 s10, s8
	s_cbranch_execz .LBB332_197
.LBB332_260:
	v_sub_nc_u32_e32 v17, v39, v3
	s_delay_alu instid0(VALU_DEP_1)
	v_lshlrev_b32_e32 v17, 2, v17
	ds_store_b32 v17, v15
	s_or_b32 exec_lo, exec_lo, s10
	s_and_saveexec_b32 s8, s6
	s_cbranch_execz .LBB332_198
.LBB332_261:
	v_sub_nc_u32_e32 v15, v43, v3
	s_delay_alu instid0(VALU_DEP_1)
	v_lshlrev_b32_e32 v15, 2, v15
	ds_store_b32 v15, v16
	s_or_b32 exec_lo, exec_lo, s8
	s_and_saveexec_b32 s6, s9
	s_cbranch_execz .LBB332_199
.LBB332_262:
	v_sub_nc_u32_e32 v15, v47, v3
	s_delay_alu instid0(VALU_DEP_1)
	v_lshlrev_b32_e32 v15, 2, v15
	ds_store_b32 v15, v13
	s_or_b32 exec_lo, exec_lo, s6
	s_and_saveexec_b32 s6, s7
	s_cbranch_execz .LBB332_200
.LBB332_263:
	v_sub_nc_u32_e32 v13, v5, v3
	s_delay_alu instid0(VALU_DEP_1)
	v_lshlrev_b32_e32 v13, 2, v13
	ds_store_b32 v13, v14
	s_or_b32 exec_lo, exec_lo, s6
	s_and_saveexec_b32 s6, s5
	s_cbranch_execz .LBB332_201
.LBB332_264:
	v_sub_nc_u32_e32 v13, v7, v3
	s_delay_alu instid0(VALU_DEP_1)
	v_lshlrev_b32_e32 v13, 2, v13
	ds_store_b32 v13, v11
	s_or_b32 exec_lo, exec_lo, s6
	s_and_saveexec_b32 s5, s4
	s_cbranch_execz .LBB332_202
.LBB332_265:
	v_sub_nc_u32_e32 v11, v37, v3
	s_delay_alu instid0(VALU_DEP_1)
	v_lshlrev_b32_e32 v11, 2, v11
	ds_store_b32 v11, v12
	s_or_b32 exec_lo, exec_lo, s5
	s_and_saveexec_b32 s4, s3
	s_cbranch_execz .LBB332_203
.LBB332_266:
	v_sub_nc_u32_e32 v11, v61, v3
	s_delay_alu instid0(VALU_DEP_1)
	v_lshlrev_b32_e32 v11, 2, v11
	ds_store_b32 v11, v9
	s_or_b32 exec_lo, exec_lo, s4
	s_and_saveexec_b32 s3, s1
	s_cbranch_execnz .LBB332_204
	s_branch .LBB332_205
.LBB332_267:
	v_sub_nc_u32_e32 v14, v53, v4
	v_mov_b32_e32 v15, 0
	s_delay_alu instid0(VALU_DEP_1) | instskip(NEXT) | instid1(VALU_DEP_1)
	v_lshlrev_b64 v[14:15], 2, v[14:15]
	v_add_co_u32 v14, vcc_lo, v11, v14
	s_delay_alu instid0(VALU_DEP_2)
	v_add_co_ci_u32_e32 v15, vcc_lo, v12, v15, vcc_lo
	global_store_b32 v[14:15], v54, off
	s_or_b32 exec_lo, exec_lo, s17
	s_and_saveexec_b32 s17, s13
	s_cbranch_execz .LBB332_209
.LBB332_268:
	v_sub_nc_u32_e32 v14, v59, v4
	v_mov_b32_e32 v15, 0
	s_delay_alu instid0(VALU_DEP_1) | instskip(NEXT) | instid1(VALU_DEP_1)
	v_lshlrev_b64 v[14:15], 2, v[14:15]
	v_add_co_u32 v14, vcc_lo, v11, v14
	s_delay_alu instid0(VALU_DEP_2)
	v_add_co_ci_u32_e32 v15, vcc_lo, v12, v15, vcc_lo
	global_store_b32 v[14:15], v60, off
	s_or_b32 exec_lo, exec_lo, s17
	s_and_saveexec_b32 s17, s12
	s_cbranch_execz .LBB332_210
.LBB332_269:
	v_sub_nc_u32_e32 v14, v55, v4
	v_mov_b32_e32 v15, 0
	s_delay_alu instid0(VALU_DEP_1) | instskip(NEXT) | instid1(VALU_DEP_1)
	v_lshlrev_b64 v[14:15], 2, v[14:15]
	v_add_co_u32 v14, vcc_lo, v11, v14
	s_delay_alu instid0(VALU_DEP_2)
	v_add_co_ci_u32_e32 v15, vcc_lo, v12, v15, vcc_lo
	global_store_b32 v[14:15], v56, off
	s_or_b32 exec_lo, exec_lo, s17
	s_and_saveexec_b32 s17, s11
	s_cbranch_execz .LBB332_211
.LBB332_270:
	v_sub_nc_u32_e32 v14, v51, v4
	v_mov_b32_e32 v15, 0
	s_delay_alu instid0(VALU_DEP_1) | instskip(NEXT) | instid1(VALU_DEP_1)
	v_lshlrev_b64 v[14:15], 2, v[14:15]
	v_add_co_u32 v14, vcc_lo, v11, v14
	s_delay_alu instid0(VALU_DEP_2)
	v_add_co_ci_u32_e32 v15, vcc_lo, v12, v15, vcc_lo
	global_store_b32 v[14:15], v52, off
	s_or_b32 exec_lo, exec_lo, s17
	s_and_saveexec_b32 s17, s10
	s_cbranch_execz .LBB332_212
.LBB332_271:
	v_sub_nc_u32_e32 v14, v45, v4
	v_mov_b32_e32 v15, 0
	s_delay_alu instid0(VALU_DEP_1) | instskip(NEXT) | instid1(VALU_DEP_1)
	v_lshlrev_b64 v[14:15], 2, v[14:15]
	v_add_co_u32 v14, vcc_lo, v11, v14
	s_delay_alu instid0(VALU_DEP_2)
	v_add_co_ci_u32_e32 v15, vcc_lo, v12, v15, vcc_lo
	global_store_b32 v[14:15], v46, off
	s_or_b32 exec_lo, exec_lo, s17
	s_and_saveexec_b32 s17, s9
	s_cbranch_execz .LBB332_213
.LBB332_272:
	v_sub_nc_u32_e32 v14, v41, v4
	v_mov_b32_e32 v15, 0
	s_delay_alu instid0(VALU_DEP_1) | instskip(NEXT) | instid1(VALU_DEP_1)
	v_lshlrev_b64 v[14:15], 2, v[14:15]
	v_add_co_u32 v14, vcc_lo, v11, v14
	s_delay_alu instid0(VALU_DEP_2)
	v_add_co_ci_u32_e32 v15, vcc_lo, v12, v15, vcc_lo
	global_store_b32 v[14:15], v42, off
	s_or_b32 exec_lo, exec_lo, s17
	s_and_saveexec_b32 s17, s8
	s_cbranch_execz .LBB332_214
.LBB332_273:
	v_sub_nc_u32_e32 v14, v39, v4
	v_mov_b32_e32 v15, 0
	s_delay_alu instid0(VALU_DEP_1) | instskip(NEXT) | instid1(VALU_DEP_1)
	v_lshlrev_b64 v[14:15], 2, v[14:15]
	v_add_co_u32 v14, vcc_lo, v11, v14
	s_delay_alu instid0(VALU_DEP_2)
	v_add_co_ci_u32_e32 v15, vcc_lo, v12, v15, vcc_lo
	global_store_b32 v[14:15], v40, off
	s_or_b32 exec_lo, exec_lo, s17
	s_and_saveexec_b32 s17, s7
	s_cbranch_execz .LBB332_215
.LBB332_274:
	v_sub_nc_u32_e32 v14, v43, v4
	v_mov_b32_e32 v15, 0
	s_delay_alu instid0(VALU_DEP_1) | instskip(NEXT) | instid1(VALU_DEP_1)
	v_lshlrev_b64 v[14:15], 2, v[14:15]
	v_add_co_u32 v14, vcc_lo, v11, v14
	s_delay_alu instid0(VALU_DEP_2)
	v_add_co_ci_u32_e32 v15, vcc_lo, v12, v15, vcc_lo
	global_store_b32 v[14:15], v44, off
	s_or_b32 exec_lo, exec_lo, s17
	s_and_saveexec_b32 s17, s6
	s_cbranch_execz .LBB332_216
.LBB332_275:
	v_sub_nc_u32_e32 v14, v47, v4
	v_mov_b32_e32 v15, 0
	s_delay_alu instid0(VALU_DEP_1) | instskip(NEXT) | instid1(VALU_DEP_1)
	v_lshlrev_b64 v[14:15], 2, v[14:15]
	v_add_co_u32 v14, vcc_lo, v11, v14
	s_delay_alu instid0(VALU_DEP_2)
	v_add_co_ci_u32_e32 v15, vcc_lo, v12, v15, vcc_lo
	global_store_b32 v[14:15], v48, off
	s_or_b32 exec_lo, exec_lo, s17
	s_and_saveexec_b32 s17, s5
	s_cbranch_execz .LBB332_217
.LBB332_276:
	v_sub_nc_u32_e32 v14, v5, v4
	v_mov_b32_e32 v15, 0
	s_delay_alu instid0(VALU_DEP_1) | instskip(NEXT) | instid1(VALU_DEP_1)
	v_lshlrev_b64 v[14:15], 2, v[14:15]
	v_add_co_u32 v14, vcc_lo, v11, v14
	s_delay_alu instid0(VALU_DEP_2)
	v_add_co_ci_u32_e32 v15, vcc_lo, v12, v15, vcc_lo
	global_store_b32 v[14:15], v6, off
	s_or_b32 exec_lo, exec_lo, s17
	s_and_saveexec_b32 s17, s4
	s_cbranch_execz .LBB332_218
.LBB332_277:
	v_sub_nc_u32_e32 v14, v7, v4
	v_mov_b32_e32 v15, 0
	s_delay_alu instid0(VALU_DEP_1) | instskip(NEXT) | instid1(VALU_DEP_1)
	v_lshlrev_b64 v[14:15], 2, v[14:15]
	v_add_co_u32 v14, vcc_lo, v11, v14
	s_delay_alu instid0(VALU_DEP_2)
	v_add_co_ci_u32_e32 v15, vcc_lo, v12, v15, vcc_lo
	global_store_b32 v[14:15], v8, off
	s_or_b32 exec_lo, exec_lo, s17
	s_and_saveexec_b32 s17, s3
	s_cbranch_execz .LBB332_219
.LBB332_278:
	v_sub_nc_u32_e32 v14, v37, v4
	v_mov_b32_e32 v15, 0
	s_delay_alu instid0(VALU_DEP_1) | instskip(NEXT) | instid1(VALU_DEP_1)
	v_lshlrev_b64 v[14:15], 2, v[14:15]
	v_add_co_u32 v14, vcc_lo, v11, v14
	s_delay_alu instid0(VALU_DEP_2)
	v_add_co_ci_u32_e32 v15, vcc_lo, v12, v15, vcc_lo
	global_store_b32 v[14:15], v38, off
	s_or_b32 exec_lo, exec_lo, s17
	s_and_saveexec_b32 s17, s2
	s_cbranch_execz .LBB332_220
.LBB332_279:
	v_sub_nc_u32_e32 v14, v61, v4
	v_mov_b32_e32 v15, 0
	s_delay_alu instid0(VALU_DEP_1) | instskip(NEXT) | instid1(VALU_DEP_1)
	v_lshlrev_b64 v[14:15], 2, v[14:15]
	v_add_co_u32 v14, vcc_lo, v11, v14
	s_delay_alu instid0(VALU_DEP_2)
	v_add_co_ci_u32_e32 v15, vcc_lo, v12, v15, vcc_lo
	global_store_b32 v[14:15], v62, off
	s_or_b32 exec_lo, exec_lo, s17
	s_and_saveexec_b32 s17, s1
	s_cbranch_execnz .LBB332_221
	s_branch .LBB332_222
.LBB332_280:
	v_sub_nc_u32_e32 v13, v53, v4
	s_delay_alu instid0(VALU_DEP_1)
	v_lshlrev_b32_e32 v13, 2, v13
	ds_store_b32 v13, v54
	s_or_b32 exec_lo, exec_lo, s17
	s_and_saveexec_b32 s14, s13
	s_cbranch_execz .LBB332_226
.LBB332_281:
	v_sub_nc_u32_e32 v13, v59, v4
	s_delay_alu instid0(VALU_DEP_1)
	v_lshlrev_b32_e32 v13, 2, v13
	ds_store_b32 v13, v60
	s_or_b32 exec_lo, exec_lo, s14
	s_and_saveexec_b32 s13, s12
	s_cbranch_execz .LBB332_227
.LBB332_282:
	v_sub_nc_u32_e32 v13, v55, v4
	s_delay_alu instid0(VALU_DEP_1)
	v_lshlrev_b32_e32 v13, 2, v13
	ds_store_b32 v13, v56
	s_or_b32 exec_lo, exec_lo, s13
	s_and_saveexec_b32 s12, s11
	s_cbranch_execz .LBB332_228
.LBB332_283:
	v_sub_nc_u32_e32 v13, v51, v4
	s_delay_alu instid0(VALU_DEP_1)
	v_lshlrev_b32_e32 v13, 2, v13
	ds_store_b32 v13, v52
	s_or_b32 exec_lo, exec_lo, s12
	s_and_saveexec_b32 s11, s10
	s_cbranch_execz .LBB332_229
.LBB332_284:
	v_sub_nc_u32_e32 v13, v45, v4
	s_delay_alu instid0(VALU_DEP_1)
	v_lshlrev_b32_e32 v13, 2, v13
	ds_store_b32 v13, v46
	s_or_b32 exec_lo, exec_lo, s11
	s_and_saveexec_b32 s10, s9
	s_cbranch_execz .LBB332_230
.LBB332_285:
	v_sub_nc_u32_e32 v13, v41, v4
	s_delay_alu instid0(VALU_DEP_1)
	v_lshlrev_b32_e32 v13, 2, v13
	ds_store_b32 v13, v42
	s_or_b32 exec_lo, exec_lo, s10
	s_and_saveexec_b32 s9, s8
	s_cbranch_execz .LBB332_231
.LBB332_286:
	v_sub_nc_u32_e32 v13, v39, v4
	s_delay_alu instid0(VALU_DEP_1)
	v_lshlrev_b32_e32 v13, 2, v13
	ds_store_b32 v13, v40
	s_or_b32 exec_lo, exec_lo, s9
	s_and_saveexec_b32 s8, s7
	s_cbranch_execz .LBB332_232
.LBB332_287:
	v_sub_nc_u32_e32 v13, v43, v4
	s_delay_alu instid0(VALU_DEP_1)
	v_lshlrev_b32_e32 v13, 2, v13
	ds_store_b32 v13, v44
	s_or_b32 exec_lo, exec_lo, s8
	s_and_saveexec_b32 s7, s6
	s_cbranch_execz .LBB332_233
.LBB332_288:
	v_sub_nc_u32_e32 v13, v47, v4
	s_delay_alu instid0(VALU_DEP_1)
	v_lshlrev_b32_e32 v13, 2, v13
	ds_store_b32 v13, v48
	s_or_b32 exec_lo, exec_lo, s7
	s_and_saveexec_b32 s6, s5
	s_cbranch_execz .LBB332_234
.LBB332_289:
	v_sub_nc_u32_e32 v5, v5, v4
	s_delay_alu instid0(VALU_DEP_1)
	v_lshlrev_b32_e32 v5, 2, v5
	ds_store_b32 v5, v6
	s_or_b32 exec_lo, exec_lo, s6
	s_and_saveexec_b32 s5, s4
	s_cbranch_execz .LBB332_235
.LBB332_290:
	v_sub_nc_u32_e32 v5, v7, v4
	s_delay_alu instid0(VALU_DEP_1)
	v_lshlrev_b32_e32 v5, 2, v5
	ds_store_b32 v5, v8
	s_or_b32 exec_lo, exec_lo, s5
	s_and_saveexec_b32 s4, s3
	s_cbranch_execz .LBB332_236
.LBB332_291:
	v_sub_nc_u32_e32 v5, v37, v4
	s_delay_alu instid0(VALU_DEP_1)
	v_lshlrev_b32_e32 v5, 2, v5
	ds_store_b32 v5, v38
	s_or_b32 exec_lo, exec_lo, s4
	s_and_saveexec_b32 s3, s2
	s_cbranch_execz .LBB332_237
.LBB332_292:
	v_sub_nc_u32_e32 v5, v61, v4
	s_delay_alu instid0(VALU_DEP_1)
	v_lshlrev_b32_e32 v5, 2, v5
	ds_store_b32 v5, v62
	s_or_b32 exec_lo, exec_lo, s3
	s_and_saveexec_b32 s2, s1
	s_cbranch_execnz .LBB332_238
	s_branch .LBB332_239
	.section	.rodata,"a",@progbits
	.p2align	6, 0x0
	.amdhsa_kernel _ZN7rocprim17ROCPRIM_400000_NS6detail17trampoline_kernelINS0_14default_configENS1_29reduce_by_key_config_selectorIjjN6thrust23THRUST_200600_302600_NS4plusIjEEEEZZNS1_33reduce_by_key_impl_wrapped_configILNS1_25lookback_scan_determinismE0ES3_S9_NS6_6detail15normal_iteratorINS6_10device_ptrIjEEEESG_SG_SG_PmS8_NS6_8equal_toIjEEEE10hipError_tPvRmT2_T3_mT4_T5_T6_T7_T8_P12ihipStream_tbENKUlT_T0_E_clISt17integral_constantIbLb1EES11_EEDaSW_SX_EUlSW_E_NS1_11comp_targetILNS1_3genE9ELNS1_11target_archE1100ELNS1_3gpuE3ELNS1_3repE0EEENS1_30default_config_static_selectorELNS0_4arch9wavefront6targetE0EEEvT1_
		.amdhsa_group_segment_fixed_size 15360
		.amdhsa_private_segment_fixed_size 0
		.amdhsa_kernarg_size 120
		.amdhsa_user_sgpr_count 15
		.amdhsa_user_sgpr_dispatch_ptr 0
		.amdhsa_user_sgpr_queue_ptr 0
		.amdhsa_user_sgpr_kernarg_segment_ptr 1
		.amdhsa_user_sgpr_dispatch_id 0
		.amdhsa_user_sgpr_private_segment_size 0
		.amdhsa_wavefront_size32 1
		.amdhsa_uses_dynamic_stack 0
		.amdhsa_enable_private_segment 0
		.amdhsa_system_sgpr_workgroup_id_x 1
		.amdhsa_system_sgpr_workgroup_id_y 0
		.amdhsa_system_sgpr_workgroup_id_z 0
		.amdhsa_system_sgpr_workgroup_info 0
		.amdhsa_system_vgpr_workitem_id 0
		.amdhsa_next_free_vgpr 87
		.amdhsa_next_free_sgpr 49
		.amdhsa_reserve_vcc 1
		.amdhsa_float_round_mode_32 0
		.amdhsa_float_round_mode_16_64 0
		.amdhsa_float_denorm_mode_32 3
		.amdhsa_float_denorm_mode_16_64 3
		.amdhsa_dx10_clamp 1
		.amdhsa_ieee_mode 1
		.amdhsa_fp16_overflow 0
		.amdhsa_workgroup_processor_mode 1
		.amdhsa_memory_ordered 1
		.amdhsa_forward_progress 0
		.amdhsa_shared_vgpr_count 0
		.amdhsa_exception_fp_ieee_invalid_op 0
		.amdhsa_exception_fp_denorm_src 0
		.amdhsa_exception_fp_ieee_div_zero 0
		.amdhsa_exception_fp_ieee_overflow 0
		.amdhsa_exception_fp_ieee_underflow 0
		.amdhsa_exception_fp_ieee_inexact 0
		.amdhsa_exception_int_div_zero 0
	.end_amdhsa_kernel
	.section	.text._ZN7rocprim17ROCPRIM_400000_NS6detail17trampoline_kernelINS0_14default_configENS1_29reduce_by_key_config_selectorIjjN6thrust23THRUST_200600_302600_NS4plusIjEEEEZZNS1_33reduce_by_key_impl_wrapped_configILNS1_25lookback_scan_determinismE0ES3_S9_NS6_6detail15normal_iteratorINS6_10device_ptrIjEEEESG_SG_SG_PmS8_NS6_8equal_toIjEEEE10hipError_tPvRmT2_T3_mT4_T5_T6_T7_T8_P12ihipStream_tbENKUlT_T0_E_clISt17integral_constantIbLb1EES11_EEDaSW_SX_EUlSW_E_NS1_11comp_targetILNS1_3genE9ELNS1_11target_archE1100ELNS1_3gpuE3ELNS1_3repE0EEENS1_30default_config_static_selectorELNS0_4arch9wavefront6targetE0EEEvT1_,"axG",@progbits,_ZN7rocprim17ROCPRIM_400000_NS6detail17trampoline_kernelINS0_14default_configENS1_29reduce_by_key_config_selectorIjjN6thrust23THRUST_200600_302600_NS4plusIjEEEEZZNS1_33reduce_by_key_impl_wrapped_configILNS1_25lookback_scan_determinismE0ES3_S9_NS6_6detail15normal_iteratorINS6_10device_ptrIjEEEESG_SG_SG_PmS8_NS6_8equal_toIjEEEE10hipError_tPvRmT2_T3_mT4_T5_T6_T7_T8_P12ihipStream_tbENKUlT_T0_E_clISt17integral_constantIbLb1EES11_EEDaSW_SX_EUlSW_E_NS1_11comp_targetILNS1_3genE9ELNS1_11target_archE1100ELNS1_3gpuE3ELNS1_3repE0EEENS1_30default_config_static_selectorELNS0_4arch9wavefront6targetE0EEEvT1_,comdat
.Lfunc_end332:
	.size	_ZN7rocprim17ROCPRIM_400000_NS6detail17trampoline_kernelINS0_14default_configENS1_29reduce_by_key_config_selectorIjjN6thrust23THRUST_200600_302600_NS4plusIjEEEEZZNS1_33reduce_by_key_impl_wrapped_configILNS1_25lookback_scan_determinismE0ES3_S9_NS6_6detail15normal_iteratorINS6_10device_ptrIjEEEESG_SG_SG_PmS8_NS6_8equal_toIjEEEE10hipError_tPvRmT2_T3_mT4_T5_T6_T7_T8_P12ihipStream_tbENKUlT_T0_E_clISt17integral_constantIbLb1EES11_EEDaSW_SX_EUlSW_E_NS1_11comp_targetILNS1_3genE9ELNS1_11target_archE1100ELNS1_3gpuE3ELNS1_3repE0EEENS1_30default_config_static_selectorELNS0_4arch9wavefront6targetE0EEEvT1_, .Lfunc_end332-_ZN7rocprim17ROCPRIM_400000_NS6detail17trampoline_kernelINS0_14default_configENS1_29reduce_by_key_config_selectorIjjN6thrust23THRUST_200600_302600_NS4plusIjEEEEZZNS1_33reduce_by_key_impl_wrapped_configILNS1_25lookback_scan_determinismE0ES3_S9_NS6_6detail15normal_iteratorINS6_10device_ptrIjEEEESG_SG_SG_PmS8_NS6_8equal_toIjEEEE10hipError_tPvRmT2_T3_mT4_T5_T6_T7_T8_P12ihipStream_tbENKUlT_T0_E_clISt17integral_constantIbLb1EES11_EEDaSW_SX_EUlSW_E_NS1_11comp_targetILNS1_3genE9ELNS1_11target_archE1100ELNS1_3gpuE3ELNS1_3repE0EEENS1_30default_config_static_selectorELNS0_4arch9wavefront6targetE0EEEvT1_
                                        ; -- End function
	.section	.AMDGPU.csdata,"",@progbits
; Kernel info:
; codeLenInByte = 17408
; NumSgprs: 51
; NumVgprs: 87
; ScratchSize: 0
; MemoryBound: 0
; FloatMode: 240
; IeeeMode: 1
; LDSByteSize: 15360 bytes/workgroup (compile time only)
; SGPRBlocks: 6
; VGPRBlocks: 10
; NumSGPRsForWavesPerEU: 51
; NumVGPRsForWavesPerEU: 87
; Occupancy: 16
; WaveLimiterHint : 1
; COMPUTE_PGM_RSRC2:SCRATCH_EN: 0
; COMPUTE_PGM_RSRC2:USER_SGPR: 15
; COMPUTE_PGM_RSRC2:TRAP_HANDLER: 0
; COMPUTE_PGM_RSRC2:TGID_X_EN: 1
; COMPUTE_PGM_RSRC2:TGID_Y_EN: 0
; COMPUTE_PGM_RSRC2:TGID_Z_EN: 0
; COMPUTE_PGM_RSRC2:TIDIG_COMP_CNT: 0
	.section	.text._ZN7rocprim17ROCPRIM_400000_NS6detail17trampoline_kernelINS0_14default_configENS1_29reduce_by_key_config_selectorIjjN6thrust23THRUST_200600_302600_NS4plusIjEEEEZZNS1_33reduce_by_key_impl_wrapped_configILNS1_25lookback_scan_determinismE0ES3_S9_NS6_6detail15normal_iteratorINS6_10device_ptrIjEEEESG_SG_SG_PmS8_NS6_8equal_toIjEEEE10hipError_tPvRmT2_T3_mT4_T5_T6_T7_T8_P12ihipStream_tbENKUlT_T0_E_clISt17integral_constantIbLb1EES11_EEDaSW_SX_EUlSW_E_NS1_11comp_targetILNS1_3genE8ELNS1_11target_archE1030ELNS1_3gpuE2ELNS1_3repE0EEENS1_30default_config_static_selectorELNS0_4arch9wavefront6targetE0EEEvT1_,"axG",@progbits,_ZN7rocprim17ROCPRIM_400000_NS6detail17trampoline_kernelINS0_14default_configENS1_29reduce_by_key_config_selectorIjjN6thrust23THRUST_200600_302600_NS4plusIjEEEEZZNS1_33reduce_by_key_impl_wrapped_configILNS1_25lookback_scan_determinismE0ES3_S9_NS6_6detail15normal_iteratorINS6_10device_ptrIjEEEESG_SG_SG_PmS8_NS6_8equal_toIjEEEE10hipError_tPvRmT2_T3_mT4_T5_T6_T7_T8_P12ihipStream_tbENKUlT_T0_E_clISt17integral_constantIbLb1EES11_EEDaSW_SX_EUlSW_E_NS1_11comp_targetILNS1_3genE8ELNS1_11target_archE1030ELNS1_3gpuE2ELNS1_3repE0EEENS1_30default_config_static_selectorELNS0_4arch9wavefront6targetE0EEEvT1_,comdat
	.protected	_ZN7rocprim17ROCPRIM_400000_NS6detail17trampoline_kernelINS0_14default_configENS1_29reduce_by_key_config_selectorIjjN6thrust23THRUST_200600_302600_NS4plusIjEEEEZZNS1_33reduce_by_key_impl_wrapped_configILNS1_25lookback_scan_determinismE0ES3_S9_NS6_6detail15normal_iteratorINS6_10device_ptrIjEEEESG_SG_SG_PmS8_NS6_8equal_toIjEEEE10hipError_tPvRmT2_T3_mT4_T5_T6_T7_T8_P12ihipStream_tbENKUlT_T0_E_clISt17integral_constantIbLb1EES11_EEDaSW_SX_EUlSW_E_NS1_11comp_targetILNS1_3genE8ELNS1_11target_archE1030ELNS1_3gpuE2ELNS1_3repE0EEENS1_30default_config_static_selectorELNS0_4arch9wavefront6targetE0EEEvT1_ ; -- Begin function _ZN7rocprim17ROCPRIM_400000_NS6detail17trampoline_kernelINS0_14default_configENS1_29reduce_by_key_config_selectorIjjN6thrust23THRUST_200600_302600_NS4plusIjEEEEZZNS1_33reduce_by_key_impl_wrapped_configILNS1_25lookback_scan_determinismE0ES3_S9_NS6_6detail15normal_iteratorINS6_10device_ptrIjEEEESG_SG_SG_PmS8_NS6_8equal_toIjEEEE10hipError_tPvRmT2_T3_mT4_T5_T6_T7_T8_P12ihipStream_tbENKUlT_T0_E_clISt17integral_constantIbLb1EES11_EEDaSW_SX_EUlSW_E_NS1_11comp_targetILNS1_3genE8ELNS1_11target_archE1030ELNS1_3gpuE2ELNS1_3repE0EEENS1_30default_config_static_selectorELNS0_4arch9wavefront6targetE0EEEvT1_
	.globl	_ZN7rocprim17ROCPRIM_400000_NS6detail17trampoline_kernelINS0_14default_configENS1_29reduce_by_key_config_selectorIjjN6thrust23THRUST_200600_302600_NS4plusIjEEEEZZNS1_33reduce_by_key_impl_wrapped_configILNS1_25lookback_scan_determinismE0ES3_S9_NS6_6detail15normal_iteratorINS6_10device_ptrIjEEEESG_SG_SG_PmS8_NS6_8equal_toIjEEEE10hipError_tPvRmT2_T3_mT4_T5_T6_T7_T8_P12ihipStream_tbENKUlT_T0_E_clISt17integral_constantIbLb1EES11_EEDaSW_SX_EUlSW_E_NS1_11comp_targetILNS1_3genE8ELNS1_11target_archE1030ELNS1_3gpuE2ELNS1_3repE0EEENS1_30default_config_static_selectorELNS0_4arch9wavefront6targetE0EEEvT1_
	.p2align	8
	.type	_ZN7rocprim17ROCPRIM_400000_NS6detail17trampoline_kernelINS0_14default_configENS1_29reduce_by_key_config_selectorIjjN6thrust23THRUST_200600_302600_NS4plusIjEEEEZZNS1_33reduce_by_key_impl_wrapped_configILNS1_25lookback_scan_determinismE0ES3_S9_NS6_6detail15normal_iteratorINS6_10device_ptrIjEEEESG_SG_SG_PmS8_NS6_8equal_toIjEEEE10hipError_tPvRmT2_T3_mT4_T5_T6_T7_T8_P12ihipStream_tbENKUlT_T0_E_clISt17integral_constantIbLb1EES11_EEDaSW_SX_EUlSW_E_NS1_11comp_targetILNS1_3genE8ELNS1_11target_archE1030ELNS1_3gpuE2ELNS1_3repE0EEENS1_30default_config_static_selectorELNS0_4arch9wavefront6targetE0EEEvT1_,@function
_ZN7rocprim17ROCPRIM_400000_NS6detail17trampoline_kernelINS0_14default_configENS1_29reduce_by_key_config_selectorIjjN6thrust23THRUST_200600_302600_NS4plusIjEEEEZZNS1_33reduce_by_key_impl_wrapped_configILNS1_25lookback_scan_determinismE0ES3_S9_NS6_6detail15normal_iteratorINS6_10device_ptrIjEEEESG_SG_SG_PmS8_NS6_8equal_toIjEEEE10hipError_tPvRmT2_T3_mT4_T5_T6_T7_T8_P12ihipStream_tbENKUlT_T0_E_clISt17integral_constantIbLb1EES11_EEDaSW_SX_EUlSW_E_NS1_11comp_targetILNS1_3genE8ELNS1_11target_archE1030ELNS1_3gpuE2ELNS1_3repE0EEENS1_30default_config_static_selectorELNS0_4arch9wavefront6targetE0EEEvT1_: ; @_ZN7rocprim17ROCPRIM_400000_NS6detail17trampoline_kernelINS0_14default_configENS1_29reduce_by_key_config_selectorIjjN6thrust23THRUST_200600_302600_NS4plusIjEEEEZZNS1_33reduce_by_key_impl_wrapped_configILNS1_25lookback_scan_determinismE0ES3_S9_NS6_6detail15normal_iteratorINS6_10device_ptrIjEEEESG_SG_SG_PmS8_NS6_8equal_toIjEEEE10hipError_tPvRmT2_T3_mT4_T5_T6_T7_T8_P12ihipStream_tbENKUlT_T0_E_clISt17integral_constantIbLb1EES11_EEDaSW_SX_EUlSW_E_NS1_11comp_targetILNS1_3genE8ELNS1_11target_archE1030ELNS1_3gpuE2ELNS1_3repE0EEENS1_30default_config_static_selectorELNS0_4arch9wavefront6targetE0EEEvT1_
; %bb.0:
	.section	.rodata,"a",@progbits
	.p2align	6, 0x0
	.amdhsa_kernel _ZN7rocprim17ROCPRIM_400000_NS6detail17trampoline_kernelINS0_14default_configENS1_29reduce_by_key_config_selectorIjjN6thrust23THRUST_200600_302600_NS4plusIjEEEEZZNS1_33reduce_by_key_impl_wrapped_configILNS1_25lookback_scan_determinismE0ES3_S9_NS6_6detail15normal_iteratorINS6_10device_ptrIjEEEESG_SG_SG_PmS8_NS6_8equal_toIjEEEE10hipError_tPvRmT2_T3_mT4_T5_T6_T7_T8_P12ihipStream_tbENKUlT_T0_E_clISt17integral_constantIbLb1EES11_EEDaSW_SX_EUlSW_E_NS1_11comp_targetILNS1_3genE8ELNS1_11target_archE1030ELNS1_3gpuE2ELNS1_3repE0EEENS1_30default_config_static_selectorELNS0_4arch9wavefront6targetE0EEEvT1_
		.amdhsa_group_segment_fixed_size 0
		.amdhsa_private_segment_fixed_size 0
		.amdhsa_kernarg_size 120
		.amdhsa_user_sgpr_count 15
		.amdhsa_user_sgpr_dispatch_ptr 0
		.amdhsa_user_sgpr_queue_ptr 0
		.amdhsa_user_sgpr_kernarg_segment_ptr 1
		.amdhsa_user_sgpr_dispatch_id 0
		.amdhsa_user_sgpr_private_segment_size 0
		.amdhsa_wavefront_size32 1
		.amdhsa_uses_dynamic_stack 0
		.amdhsa_enable_private_segment 0
		.amdhsa_system_sgpr_workgroup_id_x 1
		.amdhsa_system_sgpr_workgroup_id_y 0
		.amdhsa_system_sgpr_workgroup_id_z 0
		.amdhsa_system_sgpr_workgroup_info 0
		.amdhsa_system_vgpr_workitem_id 0
		.amdhsa_next_free_vgpr 1
		.amdhsa_next_free_sgpr 1
		.amdhsa_reserve_vcc 0
		.amdhsa_float_round_mode_32 0
		.amdhsa_float_round_mode_16_64 0
		.amdhsa_float_denorm_mode_32 3
		.amdhsa_float_denorm_mode_16_64 3
		.amdhsa_dx10_clamp 1
		.amdhsa_ieee_mode 1
		.amdhsa_fp16_overflow 0
		.amdhsa_workgroup_processor_mode 1
		.amdhsa_memory_ordered 1
		.amdhsa_forward_progress 0
		.amdhsa_shared_vgpr_count 0
		.amdhsa_exception_fp_ieee_invalid_op 0
		.amdhsa_exception_fp_denorm_src 0
		.amdhsa_exception_fp_ieee_div_zero 0
		.amdhsa_exception_fp_ieee_overflow 0
		.amdhsa_exception_fp_ieee_underflow 0
		.amdhsa_exception_fp_ieee_inexact 0
		.amdhsa_exception_int_div_zero 0
	.end_amdhsa_kernel
	.section	.text._ZN7rocprim17ROCPRIM_400000_NS6detail17trampoline_kernelINS0_14default_configENS1_29reduce_by_key_config_selectorIjjN6thrust23THRUST_200600_302600_NS4plusIjEEEEZZNS1_33reduce_by_key_impl_wrapped_configILNS1_25lookback_scan_determinismE0ES3_S9_NS6_6detail15normal_iteratorINS6_10device_ptrIjEEEESG_SG_SG_PmS8_NS6_8equal_toIjEEEE10hipError_tPvRmT2_T3_mT4_T5_T6_T7_T8_P12ihipStream_tbENKUlT_T0_E_clISt17integral_constantIbLb1EES11_EEDaSW_SX_EUlSW_E_NS1_11comp_targetILNS1_3genE8ELNS1_11target_archE1030ELNS1_3gpuE2ELNS1_3repE0EEENS1_30default_config_static_selectorELNS0_4arch9wavefront6targetE0EEEvT1_,"axG",@progbits,_ZN7rocprim17ROCPRIM_400000_NS6detail17trampoline_kernelINS0_14default_configENS1_29reduce_by_key_config_selectorIjjN6thrust23THRUST_200600_302600_NS4plusIjEEEEZZNS1_33reduce_by_key_impl_wrapped_configILNS1_25lookback_scan_determinismE0ES3_S9_NS6_6detail15normal_iteratorINS6_10device_ptrIjEEEESG_SG_SG_PmS8_NS6_8equal_toIjEEEE10hipError_tPvRmT2_T3_mT4_T5_T6_T7_T8_P12ihipStream_tbENKUlT_T0_E_clISt17integral_constantIbLb1EES11_EEDaSW_SX_EUlSW_E_NS1_11comp_targetILNS1_3genE8ELNS1_11target_archE1030ELNS1_3gpuE2ELNS1_3repE0EEENS1_30default_config_static_selectorELNS0_4arch9wavefront6targetE0EEEvT1_,comdat
.Lfunc_end333:
	.size	_ZN7rocprim17ROCPRIM_400000_NS6detail17trampoline_kernelINS0_14default_configENS1_29reduce_by_key_config_selectorIjjN6thrust23THRUST_200600_302600_NS4plusIjEEEEZZNS1_33reduce_by_key_impl_wrapped_configILNS1_25lookback_scan_determinismE0ES3_S9_NS6_6detail15normal_iteratorINS6_10device_ptrIjEEEESG_SG_SG_PmS8_NS6_8equal_toIjEEEE10hipError_tPvRmT2_T3_mT4_T5_T6_T7_T8_P12ihipStream_tbENKUlT_T0_E_clISt17integral_constantIbLb1EES11_EEDaSW_SX_EUlSW_E_NS1_11comp_targetILNS1_3genE8ELNS1_11target_archE1030ELNS1_3gpuE2ELNS1_3repE0EEENS1_30default_config_static_selectorELNS0_4arch9wavefront6targetE0EEEvT1_, .Lfunc_end333-_ZN7rocprim17ROCPRIM_400000_NS6detail17trampoline_kernelINS0_14default_configENS1_29reduce_by_key_config_selectorIjjN6thrust23THRUST_200600_302600_NS4plusIjEEEEZZNS1_33reduce_by_key_impl_wrapped_configILNS1_25lookback_scan_determinismE0ES3_S9_NS6_6detail15normal_iteratorINS6_10device_ptrIjEEEESG_SG_SG_PmS8_NS6_8equal_toIjEEEE10hipError_tPvRmT2_T3_mT4_T5_T6_T7_T8_P12ihipStream_tbENKUlT_T0_E_clISt17integral_constantIbLb1EES11_EEDaSW_SX_EUlSW_E_NS1_11comp_targetILNS1_3genE8ELNS1_11target_archE1030ELNS1_3gpuE2ELNS1_3repE0EEENS1_30default_config_static_selectorELNS0_4arch9wavefront6targetE0EEEvT1_
                                        ; -- End function
	.section	.AMDGPU.csdata,"",@progbits
; Kernel info:
; codeLenInByte = 0
; NumSgprs: 0
; NumVgprs: 0
; ScratchSize: 0
; MemoryBound: 0
; FloatMode: 240
; IeeeMode: 1
; LDSByteSize: 0 bytes/workgroup (compile time only)
; SGPRBlocks: 0
; VGPRBlocks: 0
; NumSGPRsForWavesPerEU: 1
; NumVGPRsForWavesPerEU: 1
; Occupancy: 16
; WaveLimiterHint : 0
; COMPUTE_PGM_RSRC2:SCRATCH_EN: 0
; COMPUTE_PGM_RSRC2:USER_SGPR: 15
; COMPUTE_PGM_RSRC2:TRAP_HANDLER: 0
; COMPUTE_PGM_RSRC2:TGID_X_EN: 1
; COMPUTE_PGM_RSRC2:TGID_Y_EN: 0
; COMPUTE_PGM_RSRC2:TGID_Z_EN: 0
; COMPUTE_PGM_RSRC2:TIDIG_COMP_CNT: 0
	.section	.text._ZN7rocprim17ROCPRIM_400000_NS6detail25reduce_by_key_init_kernelINS1_19lookback_scan_stateINS0_5tupleIJjjEEELb1ELb1EEEjNS1_16block_id_wrapperIjLb0EEEEEvT_jbjPmPT0_T1_,"axG",@progbits,_ZN7rocprim17ROCPRIM_400000_NS6detail25reduce_by_key_init_kernelINS1_19lookback_scan_stateINS0_5tupleIJjjEEELb1ELb1EEEjNS1_16block_id_wrapperIjLb0EEEEEvT_jbjPmPT0_T1_,comdat
	.protected	_ZN7rocprim17ROCPRIM_400000_NS6detail25reduce_by_key_init_kernelINS1_19lookback_scan_stateINS0_5tupleIJjjEEELb1ELb1EEEjNS1_16block_id_wrapperIjLb0EEEEEvT_jbjPmPT0_T1_ ; -- Begin function _ZN7rocprim17ROCPRIM_400000_NS6detail25reduce_by_key_init_kernelINS1_19lookback_scan_stateINS0_5tupleIJjjEEELb1ELb1EEEjNS1_16block_id_wrapperIjLb0EEEEEvT_jbjPmPT0_T1_
	.globl	_ZN7rocprim17ROCPRIM_400000_NS6detail25reduce_by_key_init_kernelINS1_19lookback_scan_stateINS0_5tupleIJjjEEELb1ELb1EEEjNS1_16block_id_wrapperIjLb0EEEEEvT_jbjPmPT0_T1_
	.p2align	8
	.type	_ZN7rocprim17ROCPRIM_400000_NS6detail25reduce_by_key_init_kernelINS1_19lookback_scan_stateINS0_5tupleIJjjEEELb1ELb1EEEjNS1_16block_id_wrapperIjLb0EEEEEvT_jbjPmPT0_T1_,@function
_ZN7rocprim17ROCPRIM_400000_NS6detail25reduce_by_key_init_kernelINS1_19lookback_scan_stateINS0_5tupleIJjjEEELb1ELb1EEEjNS1_16block_id_wrapperIjLb0EEEEEvT_jbjPmPT0_T1_: ; @_ZN7rocprim17ROCPRIM_400000_NS6detail25reduce_by_key_init_kernelINS1_19lookback_scan_stateINS0_5tupleIJjjEEELb1ELb1EEEjNS1_16block_id_wrapperIjLb0EEEEEvT_jbjPmPT0_T1_
; %bb.0:
	s_clause 0x2
	s_load_b32 s2, s[0:1], 0x3c
	s_load_b256 s[4:11], s[0:1], 0x8
	s_load_b64 s[0:1], s[0:1], 0x0
	s_waitcnt lgkmcnt(0)
	s_and_b32 s2, s2, 0xffff
	s_delay_alu instid0(SALU_CYCLE_1) | instskip(SKIP_1) | instid1(SALU_CYCLE_1)
	v_mad_u64_u32 v[1:2], null, s15, s2, v[0:1]
	s_and_b32 s2, s5, 1
	s_cmp_eq_u32 s2, 0
	s_mov_b32 s2, -1
	s_cbranch_scc1 .LBB334_7
; %bb.1:
	s_and_not1_b32 vcc_lo, exec_lo, s2
	s_cbranch_vccz .LBB334_16
.LBB334_2:
	s_mov_b32 s2, exec_lo
	v_cmpx_gt_u32_e64 s4, v1
	s_cbranch_execz .LBB334_4
.LBB334_3:
	v_dual_mov_b32 v3, 0 :: v_dual_add_nc_u32 v2, 32, v1
	s_delay_alu instid0(VALU_DEP_1) | instskip(SKIP_2) | instid1(VALU_DEP_3)
	v_lshlrev_b64 v[5:6], 4, v[2:3]
	v_mov_b32_e32 v2, v3
	v_mov_b32_e32 v4, v3
	v_add_co_u32 v7, vcc_lo, s0, v5
	s_delay_alu instid0(VALU_DEP_4)
	v_add_co_ci_u32_e32 v8, vcc_lo, s1, v6, vcc_lo
	v_mov_b32_e32 v5, v3
	global_store_b128 v[7:8], v[2:5], off
.LBB334_4:
	s_or_b32 exec_lo, exec_lo, s2
	s_delay_alu instid0(SALU_CYCLE_1)
	s_mov_b32 s2, exec_lo
	v_cmpx_gt_u32_e32 32, v1
	s_cbranch_execz .LBB334_6
; %bb.5:
	v_dual_mov_b32 v2, 0 :: v_dual_mov_b32 v3, 0xff
	s_delay_alu instid0(VALU_DEP_1) | instskip(SKIP_1) | instid1(VALU_DEP_2)
	v_lshlrev_b64 v[4:5], 4, v[1:2]
	v_mov_b32_e32 v1, v2
	v_add_co_u32 v6, vcc_lo, s0, v4
	s_delay_alu instid0(VALU_DEP_3)
	v_add_co_ci_u32_e32 v7, vcc_lo, s1, v5, vcc_lo
	v_mov_b32_e32 v4, v2
	global_store_b128 v[6:7], v[1:4], off
.LBB334_6:
	s_nop 0
	s_sendmsg sendmsg(MSG_DEALLOC_VGPRS)
	s_endpgm
.LBB334_7:
	s_cmp_lt_u32 s6, s4
	s_mov_b32 s5, exec_lo
	s_cselect_b32 s2, s6, 0
	s_delay_alu instid0(SALU_CYCLE_1)
	v_cmpx_eq_u32_e64 s2, v1
	s_cbranch_execz .LBB334_15
; %bb.8:
	s_add_i32 s2, s6, 32
	s_mov_b32 s3, 0
	v_mov_b32_e32 v6, 0
	s_lshl_b64 s[6:7], s[2:3], 4
	s_mov_b32 s2, exec_lo
	s_add_u32 s6, s0, s6
	s_addc_u32 s7, s1, s7
	s_delay_alu instid0(SALU_CYCLE_1) | instskip(SKIP_2) | instid1(VALU_DEP_1)
	v_dual_mov_b32 v2, s6 :: v_dual_mov_b32 v3, s7
	;;#ASMSTART
	global_load_dwordx4 v[2:5], v[2:3] off glc	
s_waitcnt vmcnt(0)
	;;#ASMEND
	v_and_b32_e32 v5, 0xff, v4
	v_cmpx_eq_u64_e32 0, v[5:6]
	s_cbranch_execz .LBB334_14
; %bb.9:
	v_dual_mov_b32 v8, s7 :: v_dual_mov_b32 v7, s6
	s_mov_b32 s6, 1
	.p2align	6
.LBB334_10:                             ; =>This Loop Header: Depth=1
                                        ;     Child Loop BB334_11 Depth 2
	s_delay_alu instid0(SALU_CYCLE_1)
	s_max_u32 s7, s6, 1
.LBB334_11:                             ;   Parent Loop BB334_10 Depth=1
                                        ; =>  This Inner Loop Header: Depth=2
	s_delay_alu instid0(SALU_CYCLE_1)
	s_add_i32 s7, s7, -1
	s_sleep 1
	s_cmp_eq_u32 s7, 0
	s_cbranch_scc0 .LBB334_11
; %bb.12:                               ;   in Loop: Header=BB334_10 Depth=1
	;;#ASMSTART
	global_load_dwordx4 v[2:5], v[7:8] off glc	
s_waitcnt vmcnt(0)
	;;#ASMEND
	v_and_b32_e32 v5, 0xff, v4
	s_cmp_lt_u32 s6, 32
	s_cselect_b32 s7, -1, 0
	s_delay_alu instid0(SALU_CYCLE_1) | instskip(NEXT) | instid1(VALU_DEP_1)
	s_cmp_lg_u32 s7, 0
	v_cmp_ne_u64_e32 vcc_lo, 0, v[5:6]
	s_addc_u32 s6, s6, 0
	s_or_b32 s3, vcc_lo, s3
	s_delay_alu instid0(SALU_CYCLE_1)
	s_and_not1_b32 exec_lo, exec_lo, s3
	s_cbranch_execnz .LBB334_10
; %bb.13:
	s_or_b32 exec_lo, exec_lo, s3
.LBB334_14:
	s_delay_alu instid0(SALU_CYCLE_1)
	s_or_b32 exec_lo, exec_lo, s2
	v_mov_b32_e32 v0, 0
	global_load_b64 v[4:5], v0, s[8:9]
	s_waitcnt vmcnt(0)
	v_add_co_u32 v4, vcc_lo, v4, v2
	v_add_co_ci_u32_e32 v5, vcc_lo, 0, v5, vcc_lo
	s_clause 0x1
	global_store_b64 v0, v[4:5], s[8:9]
	global_store_b32 v0, v3, s[10:11]
.LBB334_15:
	s_or_b32 exec_lo, exec_lo, s5
	s_cbranch_execnz .LBB334_2
.LBB334_16:
	s_delay_alu instid0(VALU_DEP_1) | instskip(SKIP_2) | instid1(SALU_CYCLE_1)
	v_cmp_eq_u32_e32 vcc_lo, 0, v1
	s_cmp_lg_u64 s[8:9], 0
	s_cselect_b32 s2, -1, 0
	s_and_b32 s3, s2, vcc_lo
	s_delay_alu instid0(SALU_CYCLE_1)
	s_and_saveexec_b32 s2, s3
	s_cbranch_execz .LBB334_18
; %bb.17:
	v_mov_b32_e32 v2, 0
	s_delay_alu instid0(VALU_DEP_1)
	v_mov_b32_e32 v3, v2
	global_store_b64 v2, v[2:3], s[8:9]
.LBB334_18:
	s_or_b32 exec_lo, exec_lo, s2
	s_delay_alu instid0(SALU_CYCLE_1)
	s_mov_b32 s2, exec_lo
	v_cmpx_gt_u32_e64 s4, v1
	s_cbranch_execnz .LBB334_3
	s_branch .LBB334_4
	.section	.rodata,"a",@progbits
	.p2align	6, 0x0
	.amdhsa_kernel _ZN7rocprim17ROCPRIM_400000_NS6detail25reduce_by_key_init_kernelINS1_19lookback_scan_stateINS0_5tupleIJjjEEELb1ELb1EEEjNS1_16block_id_wrapperIjLb0EEEEEvT_jbjPmPT0_T1_
		.amdhsa_group_segment_fixed_size 0
		.amdhsa_private_segment_fixed_size 0
		.amdhsa_kernarg_size 304
		.amdhsa_user_sgpr_count 15
		.amdhsa_user_sgpr_dispatch_ptr 0
		.amdhsa_user_sgpr_queue_ptr 0
		.amdhsa_user_sgpr_kernarg_segment_ptr 1
		.amdhsa_user_sgpr_dispatch_id 0
		.amdhsa_user_sgpr_private_segment_size 0
		.amdhsa_wavefront_size32 1
		.amdhsa_uses_dynamic_stack 0
		.amdhsa_enable_private_segment 0
		.amdhsa_system_sgpr_workgroup_id_x 1
		.amdhsa_system_sgpr_workgroup_id_y 0
		.amdhsa_system_sgpr_workgroup_id_z 0
		.amdhsa_system_sgpr_workgroup_info 0
		.amdhsa_system_vgpr_workitem_id 0
		.amdhsa_next_free_vgpr 9
		.amdhsa_next_free_sgpr 16
		.amdhsa_reserve_vcc 1
		.amdhsa_float_round_mode_32 0
		.amdhsa_float_round_mode_16_64 0
		.amdhsa_float_denorm_mode_32 3
		.amdhsa_float_denorm_mode_16_64 3
		.amdhsa_dx10_clamp 1
		.amdhsa_ieee_mode 1
		.amdhsa_fp16_overflow 0
		.amdhsa_workgroup_processor_mode 1
		.amdhsa_memory_ordered 1
		.amdhsa_forward_progress 0
		.amdhsa_shared_vgpr_count 0
		.amdhsa_exception_fp_ieee_invalid_op 0
		.amdhsa_exception_fp_denorm_src 0
		.amdhsa_exception_fp_ieee_div_zero 0
		.amdhsa_exception_fp_ieee_overflow 0
		.amdhsa_exception_fp_ieee_underflow 0
		.amdhsa_exception_fp_ieee_inexact 0
		.amdhsa_exception_int_div_zero 0
	.end_amdhsa_kernel
	.section	.text._ZN7rocprim17ROCPRIM_400000_NS6detail25reduce_by_key_init_kernelINS1_19lookback_scan_stateINS0_5tupleIJjjEEELb1ELb1EEEjNS1_16block_id_wrapperIjLb0EEEEEvT_jbjPmPT0_T1_,"axG",@progbits,_ZN7rocprim17ROCPRIM_400000_NS6detail25reduce_by_key_init_kernelINS1_19lookback_scan_stateINS0_5tupleIJjjEEELb1ELb1EEEjNS1_16block_id_wrapperIjLb0EEEEEvT_jbjPmPT0_T1_,comdat
.Lfunc_end334:
	.size	_ZN7rocprim17ROCPRIM_400000_NS6detail25reduce_by_key_init_kernelINS1_19lookback_scan_stateINS0_5tupleIJjjEEELb1ELb1EEEjNS1_16block_id_wrapperIjLb0EEEEEvT_jbjPmPT0_T1_, .Lfunc_end334-_ZN7rocprim17ROCPRIM_400000_NS6detail25reduce_by_key_init_kernelINS1_19lookback_scan_stateINS0_5tupleIJjjEEELb1ELb1EEEjNS1_16block_id_wrapperIjLb0EEEEEvT_jbjPmPT0_T1_
                                        ; -- End function
	.section	.AMDGPU.csdata,"",@progbits
; Kernel info:
; codeLenInByte = 636
; NumSgprs: 18
; NumVgprs: 9
; ScratchSize: 0
; MemoryBound: 0
; FloatMode: 240
; IeeeMode: 1
; LDSByteSize: 0 bytes/workgroup (compile time only)
; SGPRBlocks: 2
; VGPRBlocks: 1
; NumSGPRsForWavesPerEU: 18
; NumVGPRsForWavesPerEU: 9
; Occupancy: 16
; WaveLimiterHint : 0
; COMPUTE_PGM_RSRC2:SCRATCH_EN: 0
; COMPUTE_PGM_RSRC2:USER_SGPR: 15
; COMPUTE_PGM_RSRC2:TRAP_HANDLER: 0
; COMPUTE_PGM_RSRC2:TGID_X_EN: 1
; COMPUTE_PGM_RSRC2:TGID_Y_EN: 0
; COMPUTE_PGM_RSRC2:TGID_Z_EN: 0
; COMPUTE_PGM_RSRC2:TIDIG_COMP_CNT: 0
	.section	.text._ZN7rocprim17ROCPRIM_400000_NS6detail17trampoline_kernelINS0_14default_configENS1_29reduce_by_key_config_selectorIjjN6thrust23THRUST_200600_302600_NS4plusIjEEEEZZNS1_33reduce_by_key_impl_wrapped_configILNS1_25lookback_scan_determinismE0ES3_S9_NS6_6detail15normal_iteratorINS6_10device_ptrIjEEEESG_SG_SG_PmS8_NS6_8equal_toIjEEEE10hipError_tPvRmT2_T3_mT4_T5_T6_T7_T8_P12ihipStream_tbENKUlT_T0_E_clISt17integral_constantIbLb1EES10_IbLb0EEEEDaSW_SX_EUlSW_E_NS1_11comp_targetILNS1_3genE0ELNS1_11target_archE4294967295ELNS1_3gpuE0ELNS1_3repE0EEENS1_30default_config_static_selectorELNS0_4arch9wavefront6targetE0EEEvT1_,"axG",@progbits,_ZN7rocprim17ROCPRIM_400000_NS6detail17trampoline_kernelINS0_14default_configENS1_29reduce_by_key_config_selectorIjjN6thrust23THRUST_200600_302600_NS4plusIjEEEEZZNS1_33reduce_by_key_impl_wrapped_configILNS1_25lookback_scan_determinismE0ES3_S9_NS6_6detail15normal_iteratorINS6_10device_ptrIjEEEESG_SG_SG_PmS8_NS6_8equal_toIjEEEE10hipError_tPvRmT2_T3_mT4_T5_T6_T7_T8_P12ihipStream_tbENKUlT_T0_E_clISt17integral_constantIbLb1EES10_IbLb0EEEEDaSW_SX_EUlSW_E_NS1_11comp_targetILNS1_3genE0ELNS1_11target_archE4294967295ELNS1_3gpuE0ELNS1_3repE0EEENS1_30default_config_static_selectorELNS0_4arch9wavefront6targetE0EEEvT1_,comdat
	.protected	_ZN7rocprim17ROCPRIM_400000_NS6detail17trampoline_kernelINS0_14default_configENS1_29reduce_by_key_config_selectorIjjN6thrust23THRUST_200600_302600_NS4plusIjEEEEZZNS1_33reduce_by_key_impl_wrapped_configILNS1_25lookback_scan_determinismE0ES3_S9_NS6_6detail15normal_iteratorINS6_10device_ptrIjEEEESG_SG_SG_PmS8_NS6_8equal_toIjEEEE10hipError_tPvRmT2_T3_mT4_T5_T6_T7_T8_P12ihipStream_tbENKUlT_T0_E_clISt17integral_constantIbLb1EES10_IbLb0EEEEDaSW_SX_EUlSW_E_NS1_11comp_targetILNS1_3genE0ELNS1_11target_archE4294967295ELNS1_3gpuE0ELNS1_3repE0EEENS1_30default_config_static_selectorELNS0_4arch9wavefront6targetE0EEEvT1_ ; -- Begin function _ZN7rocprim17ROCPRIM_400000_NS6detail17trampoline_kernelINS0_14default_configENS1_29reduce_by_key_config_selectorIjjN6thrust23THRUST_200600_302600_NS4plusIjEEEEZZNS1_33reduce_by_key_impl_wrapped_configILNS1_25lookback_scan_determinismE0ES3_S9_NS6_6detail15normal_iteratorINS6_10device_ptrIjEEEESG_SG_SG_PmS8_NS6_8equal_toIjEEEE10hipError_tPvRmT2_T3_mT4_T5_T6_T7_T8_P12ihipStream_tbENKUlT_T0_E_clISt17integral_constantIbLb1EES10_IbLb0EEEEDaSW_SX_EUlSW_E_NS1_11comp_targetILNS1_3genE0ELNS1_11target_archE4294967295ELNS1_3gpuE0ELNS1_3repE0EEENS1_30default_config_static_selectorELNS0_4arch9wavefront6targetE0EEEvT1_
	.globl	_ZN7rocprim17ROCPRIM_400000_NS6detail17trampoline_kernelINS0_14default_configENS1_29reduce_by_key_config_selectorIjjN6thrust23THRUST_200600_302600_NS4plusIjEEEEZZNS1_33reduce_by_key_impl_wrapped_configILNS1_25lookback_scan_determinismE0ES3_S9_NS6_6detail15normal_iteratorINS6_10device_ptrIjEEEESG_SG_SG_PmS8_NS6_8equal_toIjEEEE10hipError_tPvRmT2_T3_mT4_T5_T6_T7_T8_P12ihipStream_tbENKUlT_T0_E_clISt17integral_constantIbLb1EES10_IbLb0EEEEDaSW_SX_EUlSW_E_NS1_11comp_targetILNS1_3genE0ELNS1_11target_archE4294967295ELNS1_3gpuE0ELNS1_3repE0EEENS1_30default_config_static_selectorELNS0_4arch9wavefront6targetE0EEEvT1_
	.p2align	8
	.type	_ZN7rocprim17ROCPRIM_400000_NS6detail17trampoline_kernelINS0_14default_configENS1_29reduce_by_key_config_selectorIjjN6thrust23THRUST_200600_302600_NS4plusIjEEEEZZNS1_33reduce_by_key_impl_wrapped_configILNS1_25lookback_scan_determinismE0ES3_S9_NS6_6detail15normal_iteratorINS6_10device_ptrIjEEEESG_SG_SG_PmS8_NS6_8equal_toIjEEEE10hipError_tPvRmT2_T3_mT4_T5_T6_T7_T8_P12ihipStream_tbENKUlT_T0_E_clISt17integral_constantIbLb1EES10_IbLb0EEEEDaSW_SX_EUlSW_E_NS1_11comp_targetILNS1_3genE0ELNS1_11target_archE4294967295ELNS1_3gpuE0ELNS1_3repE0EEENS1_30default_config_static_selectorELNS0_4arch9wavefront6targetE0EEEvT1_,@function
_ZN7rocprim17ROCPRIM_400000_NS6detail17trampoline_kernelINS0_14default_configENS1_29reduce_by_key_config_selectorIjjN6thrust23THRUST_200600_302600_NS4plusIjEEEEZZNS1_33reduce_by_key_impl_wrapped_configILNS1_25lookback_scan_determinismE0ES3_S9_NS6_6detail15normal_iteratorINS6_10device_ptrIjEEEESG_SG_SG_PmS8_NS6_8equal_toIjEEEE10hipError_tPvRmT2_T3_mT4_T5_T6_T7_T8_P12ihipStream_tbENKUlT_T0_E_clISt17integral_constantIbLb1EES10_IbLb0EEEEDaSW_SX_EUlSW_E_NS1_11comp_targetILNS1_3genE0ELNS1_11target_archE4294967295ELNS1_3gpuE0ELNS1_3repE0EEENS1_30default_config_static_selectorELNS0_4arch9wavefront6targetE0EEEvT1_: ; @_ZN7rocprim17ROCPRIM_400000_NS6detail17trampoline_kernelINS0_14default_configENS1_29reduce_by_key_config_selectorIjjN6thrust23THRUST_200600_302600_NS4plusIjEEEEZZNS1_33reduce_by_key_impl_wrapped_configILNS1_25lookback_scan_determinismE0ES3_S9_NS6_6detail15normal_iteratorINS6_10device_ptrIjEEEESG_SG_SG_PmS8_NS6_8equal_toIjEEEE10hipError_tPvRmT2_T3_mT4_T5_T6_T7_T8_P12ihipStream_tbENKUlT_T0_E_clISt17integral_constantIbLb1EES10_IbLb0EEEEDaSW_SX_EUlSW_E_NS1_11comp_targetILNS1_3genE0ELNS1_11target_archE4294967295ELNS1_3gpuE0ELNS1_3repE0EEENS1_30default_config_static_selectorELNS0_4arch9wavefront6targetE0EEEvT1_
; %bb.0:
	.section	.rodata,"a",@progbits
	.p2align	6, 0x0
	.amdhsa_kernel _ZN7rocprim17ROCPRIM_400000_NS6detail17trampoline_kernelINS0_14default_configENS1_29reduce_by_key_config_selectorIjjN6thrust23THRUST_200600_302600_NS4plusIjEEEEZZNS1_33reduce_by_key_impl_wrapped_configILNS1_25lookback_scan_determinismE0ES3_S9_NS6_6detail15normal_iteratorINS6_10device_ptrIjEEEESG_SG_SG_PmS8_NS6_8equal_toIjEEEE10hipError_tPvRmT2_T3_mT4_T5_T6_T7_T8_P12ihipStream_tbENKUlT_T0_E_clISt17integral_constantIbLb1EES10_IbLb0EEEEDaSW_SX_EUlSW_E_NS1_11comp_targetILNS1_3genE0ELNS1_11target_archE4294967295ELNS1_3gpuE0ELNS1_3repE0EEENS1_30default_config_static_selectorELNS0_4arch9wavefront6targetE0EEEvT1_
		.amdhsa_group_segment_fixed_size 0
		.amdhsa_private_segment_fixed_size 0
		.amdhsa_kernarg_size 120
		.amdhsa_user_sgpr_count 15
		.amdhsa_user_sgpr_dispatch_ptr 0
		.amdhsa_user_sgpr_queue_ptr 0
		.amdhsa_user_sgpr_kernarg_segment_ptr 1
		.amdhsa_user_sgpr_dispatch_id 0
		.amdhsa_user_sgpr_private_segment_size 0
		.amdhsa_wavefront_size32 1
		.amdhsa_uses_dynamic_stack 0
		.amdhsa_enable_private_segment 0
		.amdhsa_system_sgpr_workgroup_id_x 1
		.amdhsa_system_sgpr_workgroup_id_y 0
		.amdhsa_system_sgpr_workgroup_id_z 0
		.amdhsa_system_sgpr_workgroup_info 0
		.amdhsa_system_vgpr_workitem_id 0
		.amdhsa_next_free_vgpr 1
		.amdhsa_next_free_sgpr 1
		.amdhsa_reserve_vcc 0
		.amdhsa_float_round_mode_32 0
		.amdhsa_float_round_mode_16_64 0
		.amdhsa_float_denorm_mode_32 3
		.amdhsa_float_denorm_mode_16_64 3
		.amdhsa_dx10_clamp 1
		.amdhsa_ieee_mode 1
		.amdhsa_fp16_overflow 0
		.amdhsa_workgroup_processor_mode 1
		.amdhsa_memory_ordered 1
		.amdhsa_forward_progress 0
		.amdhsa_shared_vgpr_count 0
		.amdhsa_exception_fp_ieee_invalid_op 0
		.amdhsa_exception_fp_denorm_src 0
		.amdhsa_exception_fp_ieee_div_zero 0
		.amdhsa_exception_fp_ieee_overflow 0
		.amdhsa_exception_fp_ieee_underflow 0
		.amdhsa_exception_fp_ieee_inexact 0
		.amdhsa_exception_int_div_zero 0
	.end_amdhsa_kernel
	.section	.text._ZN7rocprim17ROCPRIM_400000_NS6detail17trampoline_kernelINS0_14default_configENS1_29reduce_by_key_config_selectorIjjN6thrust23THRUST_200600_302600_NS4plusIjEEEEZZNS1_33reduce_by_key_impl_wrapped_configILNS1_25lookback_scan_determinismE0ES3_S9_NS6_6detail15normal_iteratorINS6_10device_ptrIjEEEESG_SG_SG_PmS8_NS6_8equal_toIjEEEE10hipError_tPvRmT2_T3_mT4_T5_T6_T7_T8_P12ihipStream_tbENKUlT_T0_E_clISt17integral_constantIbLb1EES10_IbLb0EEEEDaSW_SX_EUlSW_E_NS1_11comp_targetILNS1_3genE0ELNS1_11target_archE4294967295ELNS1_3gpuE0ELNS1_3repE0EEENS1_30default_config_static_selectorELNS0_4arch9wavefront6targetE0EEEvT1_,"axG",@progbits,_ZN7rocprim17ROCPRIM_400000_NS6detail17trampoline_kernelINS0_14default_configENS1_29reduce_by_key_config_selectorIjjN6thrust23THRUST_200600_302600_NS4plusIjEEEEZZNS1_33reduce_by_key_impl_wrapped_configILNS1_25lookback_scan_determinismE0ES3_S9_NS6_6detail15normal_iteratorINS6_10device_ptrIjEEEESG_SG_SG_PmS8_NS6_8equal_toIjEEEE10hipError_tPvRmT2_T3_mT4_T5_T6_T7_T8_P12ihipStream_tbENKUlT_T0_E_clISt17integral_constantIbLb1EES10_IbLb0EEEEDaSW_SX_EUlSW_E_NS1_11comp_targetILNS1_3genE0ELNS1_11target_archE4294967295ELNS1_3gpuE0ELNS1_3repE0EEENS1_30default_config_static_selectorELNS0_4arch9wavefront6targetE0EEEvT1_,comdat
.Lfunc_end335:
	.size	_ZN7rocprim17ROCPRIM_400000_NS6detail17trampoline_kernelINS0_14default_configENS1_29reduce_by_key_config_selectorIjjN6thrust23THRUST_200600_302600_NS4plusIjEEEEZZNS1_33reduce_by_key_impl_wrapped_configILNS1_25lookback_scan_determinismE0ES3_S9_NS6_6detail15normal_iteratorINS6_10device_ptrIjEEEESG_SG_SG_PmS8_NS6_8equal_toIjEEEE10hipError_tPvRmT2_T3_mT4_T5_T6_T7_T8_P12ihipStream_tbENKUlT_T0_E_clISt17integral_constantIbLb1EES10_IbLb0EEEEDaSW_SX_EUlSW_E_NS1_11comp_targetILNS1_3genE0ELNS1_11target_archE4294967295ELNS1_3gpuE0ELNS1_3repE0EEENS1_30default_config_static_selectorELNS0_4arch9wavefront6targetE0EEEvT1_, .Lfunc_end335-_ZN7rocprim17ROCPRIM_400000_NS6detail17trampoline_kernelINS0_14default_configENS1_29reduce_by_key_config_selectorIjjN6thrust23THRUST_200600_302600_NS4plusIjEEEEZZNS1_33reduce_by_key_impl_wrapped_configILNS1_25lookback_scan_determinismE0ES3_S9_NS6_6detail15normal_iteratorINS6_10device_ptrIjEEEESG_SG_SG_PmS8_NS6_8equal_toIjEEEE10hipError_tPvRmT2_T3_mT4_T5_T6_T7_T8_P12ihipStream_tbENKUlT_T0_E_clISt17integral_constantIbLb1EES10_IbLb0EEEEDaSW_SX_EUlSW_E_NS1_11comp_targetILNS1_3genE0ELNS1_11target_archE4294967295ELNS1_3gpuE0ELNS1_3repE0EEENS1_30default_config_static_selectorELNS0_4arch9wavefront6targetE0EEEvT1_
                                        ; -- End function
	.section	.AMDGPU.csdata,"",@progbits
; Kernel info:
; codeLenInByte = 0
; NumSgprs: 0
; NumVgprs: 0
; ScratchSize: 0
; MemoryBound: 0
; FloatMode: 240
; IeeeMode: 1
; LDSByteSize: 0 bytes/workgroup (compile time only)
; SGPRBlocks: 0
; VGPRBlocks: 0
; NumSGPRsForWavesPerEU: 1
; NumVGPRsForWavesPerEU: 1
; Occupancy: 16
; WaveLimiterHint : 0
; COMPUTE_PGM_RSRC2:SCRATCH_EN: 0
; COMPUTE_PGM_RSRC2:USER_SGPR: 15
; COMPUTE_PGM_RSRC2:TRAP_HANDLER: 0
; COMPUTE_PGM_RSRC2:TGID_X_EN: 1
; COMPUTE_PGM_RSRC2:TGID_Y_EN: 0
; COMPUTE_PGM_RSRC2:TGID_Z_EN: 0
; COMPUTE_PGM_RSRC2:TIDIG_COMP_CNT: 0
	.section	.text._ZN7rocprim17ROCPRIM_400000_NS6detail17trampoline_kernelINS0_14default_configENS1_29reduce_by_key_config_selectorIjjN6thrust23THRUST_200600_302600_NS4plusIjEEEEZZNS1_33reduce_by_key_impl_wrapped_configILNS1_25lookback_scan_determinismE0ES3_S9_NS6_6detail15normal_iteratorINS6_10device_ptrIjEEEESG_SG_SG_PmS8_NS6_8equal_toIjEEEE10hipError_tPvRmT2_T3_mT4_T5_T6_T7_T8_P12ihipStream_tbENKUlT_T0_E_clISt17integral_constantIbLb1EES10_IbLb0EEEEDaSW_SX_EUlSW_E_NS1_11comp_targetILNS1_3genE5ELNS1_11target_archE942ELNS1_3gpuE9ELNS1_3repE0EEENS1_30default_config_static_selectorELNS0_4arch9wavefront6targetE0EEEvT1_,"axG",@progbits,_ZN7rocprim17ROCPRIM_400000_NS6detail17trampoline_kernelINS0_14default_configENS1_29reduce_by_key_config_selectorIjjN6thrust23THRUST_200600_302600_NS4plusIjEEEEZZNS1_33reduce_by_key_impl_wrapped_configILNS1_25lookback_scan_determinismE0ES3_S9_NS6_6detail15normal_iteratorINS6_10device_ptrIjEEEESG_SG_SG_PmS8_NS6_8equal_toIjEEEE10hipError_tPvRmT2_T3_mT4_T5_T6_T7_T8_P12ihipStream_tbENKUlT_T0_E_clISt17integral_constantIbLb1EES10_IbLb0EEEEDaSW_SX_EUlSW_E_NS1_11comp_targetILNS1_3genE5ELNS1_11target_archE942ELNS1_3gpuE9ELNS1_3repE0EEENS1_30default_config_static_selectorELNS0_4arch9wavefront6targetE0EEEvT1_,comdat
	.protected	_ZN7rocprim17ROCPRIM_400000_NS6detail17trampoline_kernelINS0_14default_configENS1_29reduce_by_key_config_selectorIjjN6thrust23THRUST_200600_302600_NS4plusIjEEEEZZNS1_33reduce_by_key_impl_wrapped_configILNS1_25lookback_scan_determinismE0ES3_S9_NS6_6detail15normal_iteratorINS6_10device_ptrIjEEEESG_SG_SG_PmS8_NS6_8equal_toIjEEEE10hipError_tPvRmT2_T3_mT4_T5_T6_T7_T8_P12ihipStream_tbENKUlT_T0_E_clISt17integral_constantIbLb1EES10_IbLb0EEEEDaSW_SX_EUlSW_E_NS1_11comp_targetILNS1_3genE5ELNS1_11target_archE942ELNS1_3gpuE9ELNS1_3repE0EEENS1_30default_config_static_selectorELNS0_4arch9wavefront6targetE0EEEvT1_ ; -- Begin function _ZN7rocprim17ROCPRIM_400000_NS6detail17trampoline_kernelINS0_14default_configENS1_29reduce_by_key_config_selectorIjjN6thrust23THRUST_200600_302600_NS4plusIjEEEEZZNS1_33reduce_by_key_impl_wrapped_configILNS1_25lookback_scan_determinismE0ES3_S9_NS6_6detail15normal_iteratorINS6_10device_ptrIjEEEESG_SG_SG_PmS8_NS6_8equal_toIjEEEE10hipError_tPvRmT2_T3_mT4_T5_T6_T7_T8_P12ihipStream_tbENKUlT_T0_E_clISt17integral_constantIbLb1EES10_IbLb0EEEEDaSW_SX_EUlSW_E_NS1_11comp_targetILNS1_3genE5ELNS1_11target_archE942ELNS1_3gpuE9ELNS1_3repE0EEENS1_30default_config_static_selectorELNS0_4arch9wavefront6targetE0EEEvT1_
	.globl	_ZN7rocprim17ROCPRIM_400000_NS6detail17trampoline_kernelINS0_14default_configENS1_29reduce_by_key_config_selectorIjjN6thrust23THRUST_200600_302600_NS4plusIjEEEEZZNS1_33reduce_by_key_impl_wrapped_configILNS1_25lookback_scan_determinismE0ES3_S9_NS6_6detail15normal_iteratorINS6_10device_ptrIjEEEESG_SG_SG_PmS8_NS6_8equal_toIjEEEE10hipError_tPvRmT2_T3_mT4_T5_T6_T7_T8_P12ihipStream_tbENKUlT_T0_E_clISt17integral_constantIbLb1EES10_IbLb0EEEEDaSW_SX_EUlSW_E_NS1_11comp_targetILNS1_3genE5ELNS1_11target_archE942ELNS1_3gpuE9ELNS1_3repE0EEENS1_30default_config_static_selectorELNS0_4arch9wavefront6targetE0EEEvT1_
	.p2align	8
	.type	_ZN7rocprim17ROCPRIM_400000_NS6detail17trampoline_kernelINS0_14default_configENS1_29reduce_by_key_config_selectorIjjN6thrust23THRUST_200600_302600_NS4plusIjEEEEZZNS1_33reduce_by_key_impl_wrapped_configILNS1_25lookback_scan_determinismE0ES3_S9_NS6_6detail15normal_iteratorINS6_10device_ptrIjEEEESG_SG_SG_PmS8_NS6_8equal_toIjEEEE10hipError_tPvRmT2_T3_mT4_T5_T6_T7_T8_P12ihipStream_tbENKUlT_T0_E_clISt17integral_constantIbLb1EES10_IbLb0EEEEDaSW_SX_EUlSW_E_NS1_11comp_targetILNS1_3genE5ELNS1_11target_archE942ELNS1_3gpuE9ELNS1_3repE0EEENS1_30default_config_static_selectorELNS0_4arch9wavefront6targetE0EEEvT1_,@function
_ZN7rocprim17ROCPRIM_400000_NS6detail17trampoline_kernelINS0_14default_configENS1_29reduce_by_key_config_selectorIjjN6thrust23THRUST_200600_302600_NS4plusIjEEEEZZNS1_33reduce_by_key_impl_wrapped_configILNS1_25lookback_scan_determinismE0ES3_S9_NS6_6detail15normal_iteratorINS6_10device_ptrIjEEEESG_SG_SG_PmS8_NS6_8equal_toIjEEEE10hipError_tPvRmT2_T3_mT4_T5_T6_T7_T8_P12ihipStream_tbENKUlT_T0_E_clISt17integral_constantIbLb1EES10_IbLb0EEEEDaSW_SX_EUlSW_E_NS1_11comp_targetILNS1_3genE5ELNS1_11target_archE942ELNS1_3gpuE9ELNS1_3repE0EEENS1_30default_config_static_selectorELNS0_4arch9wavefront6targetE0EEEvT1_: ; @_ZN7rocprim17ROCPRIM_400000_NS6detail17trampoline_kernelINS0_14default_configENS1_29reduce_by_key_config_selectorIjjN6thrust23THRUST_200600_302600_NS4plusIjEEEEZZNS1_33reduce_by_key_impl_wrapped_configILNS1_25lookback_scan_determinismE0ES3_S9_NS6_6detail15normal_iteratorINS6_10device_ptrIjEEEESG_SG_SG_PmS8_NS6_8equal_toIjEEEE10hipError_tPvRmT2_T3_mT4_T5_T6_T7_T8_P12ihipStream_tbENKUlT_T0_E_clISt17integral_constantIbLb1EES10_IbLb0EEEEDaSW_SX_EUlSW_E_NS1_11comp_targetILNS1_3genE5ELNS1_11target_archE942ELNS1_3gpuE9ELNS1_3repE0EEENS1_30default_config_static_selectorELNS0_4arch9wavefront6targetE0EEEvT1_
; %bb.0:
	.section	.rodata,"a",@progbits
	.p2align	6, 0x0
	.amdhsa_kernel _ZN7rocprim17ROCPRIM_400000_NS6detail17trampoline_kernelINS0_14default_configENS1_29reduce_by_key_config_selectorIjjN6thrust23THRUST_200600_302600_NS4plusIjEEEEZZNS1_33reduce_by_key_impl_wrapped_configILNS1_25lookback_scan_determinismE0ES3_S9_NS6_6detail15normal_iteratorINS6_10device_ptrIjEEEESG_SG_SG_PmS8_NS6_8equal_toIjEEEE10hipError_tPvRmT2_T3_mT4_T5_T6_T7_T8_P12ihipStream_tbENKUlT_T0_E_clISt17integral_constantIbLb1EES10_IbLb0EEEEDaSW_SX_EUlSW_E_NS1_11comp_targetILNS1_3genE5ELNS1_11target_archE942ELNS1_3gpuE9ELNS1_3repE0EEENS1_30default_config_static_selectorELNS0_4arch9wavefront6targetE0EEEvT1_
		.amdhsa_group_segment_fixed_size 0
		.amdhsa_private_segment_fixed_size 0
		.amdhsa_kernarg_size 120
		.amdhsa_user_sgpr_count 15
		.amdhsa_user_sgpr_dispatch_ptr 0
		.amdhsa_user_sgpr_queue_ptr 0
		.amdhsa_user_sgpr_kernarg_segment_ptr 1
		.amdhsa_user_sgpr_dispatch_id 0
		.amdhsa_user_sgpr_private_segment_size 0
		.amdhsa_wavefront_size32 1
		.amdhsa_uses_dynamic_stack 0
		.amdhsa_enable_private_segment 0
		.amdhsa_system_sgpr_workgroup_id_x 1
		.amdhsa_system_sgpr_workgroup_id_y 0
		.amdhsa_system_sgpr_workgroup_id_z 0
		.amdhsa_system_sgpr_workgroup_info 0
		.amdhsa_system_vgpr_workitem_id 0
		.amdhsa_next_free_vgpr 1
		.amdhsa_next_free_sgpr 1
		.amdhsa_reserve_vcc 0
		.amdhsa_float_round_mode_32 0
		.amdhsa_float_round_mode_16_64 0
		.amdhsa_float_denorm_mode_32 3
		.amdhsa_float_denorm_mode_16_64 3
		.amdhsa_dx10_clamp 1
		.amdhsa_ieee_mode 1
		.amdhsa_fp16_overflow 0
		.amdhsa_workgroup_processor_mode 1
		.amdhsa_memory_ordered 1
		.amdhsa_forward_progress 0
		.amdhsa_shared_vgpr_count 0
		.amdhsa_exception_fp_ieee_invalid_op 0
		.amdhsa_exception_fp_denorm_src 0
		.amdhsa_exception_fp_ieee_div_zero 0
		.amdhsa_exception_fp_ieee_overflow 0
		.amdhsa_exception_fp_ieee_underflow 0
		.amdhsa_exception_fp_ieee_inexact 0
		.amdhsa_exception_int_div_zero 0
	.end_amdhsa_kernel
	.section	.text._ZN7rocprim17ROCPRIM_400000_NS6detail17trampoline_kernelINS0_14default_configENS1_29reduce_by_key_config_selectorIjjN6thrust23THRUST_200600_302600_NS4plusIjEEEEZZNS1_33reduce_by_key_impl_wrapped_configILNS1_25lookback_scan_determinismE0ES3_S9_NS6_6detail15normal_iteratorINS6_10device_ptrIjEEEESG_SG_SG_PmS8_NS6_8equal_toIjEEEE10hipError_tPvRmT2_T3_mT4_T5_T6_T7_T8_P12ihipStream_tbENKUlT_T0_E_clISt17integral_constantIbLb1EES10_IbLb0EEEEDaSW_SX_EUlSW_E_NS1_11comp_targetILNS1_3genE5ELNS1_11target_archE942ELNS1_3gpuE9ELNS1_3repE0EEENS1_30default_config_static_selectorELNS0_4arch9wavefront6targetE0EEEvT1_,"axG",@progbits,_ZN7rocprim17ROCPRIM_400000_NS6detail17trampoline_kernelINS0_14default_configENS1_29reduce_by_key_config_selectorIjjN6thrust23THRUST_200600_302600_NS4plusIjEEEEZZNS1_33reduce_by_key_impl_wrapped_configILNS1_25lookback_scan_determinismE0ES3_S9_NS6_6detail15normal_iteratorINS6_10device_ptrIjEEEESG_SG_SG_PmS8_NS6_8equal_toIjEEEE10hipError_tPvRmT2_T3_mT4_T5_T6_T7_T8_P12ihipStream_tbENKUlT_T0_E_clISt17integral_constantIbLb1EES10_IbLb0EEEEDaSW_SX_EUlSW_E_NS1_11comp_targetILNS1_3genE5ELNS1_11target_archE942ELNS1_3gpuE9ELNS1_3repE0EEENS1_30default_config_static_selectorELNS0_4arch9wavefront6targetE0EEEvT1_,comdat
.Lfunc_end336:
	.size	_ZN7rocprim17ROCPRIM_400000_NS6detail17trampoline_kernelINS0_14default_configENS1_29reduce_by_key_config_selectorIjjN6thrust23THRUST_200600_302600_NS4plusIjEEEEZZNS1_33reduce_by_key_impl_wrapped_configILNS1_25lookback_scan_determinismE0ES3_S9_NS6_6detail15normal_iteratorINS6_10device_ptrIjEEEESG_SG_SG_PmS8_NS6_8equal_toIjEEEE10hipError_tPvRmT2_T3_mT4_T5_T6_T7_T8_P12ihipStream_tbENKUlT_T0_E_clISt17integral_constantIbLb1EES10_IbLb0EEEEDaSW_SX_EUlSW_E_NS1_11comp_targetILNS1_3genE5ELNS1_11target_archE942ELNS1_3gpuE9ELNS1_3repE0EEENS1_30default_config_static_selectorELNS0_4arch9wavefront6targetE0EEEvT1_, .Lfunc_end336-_ZN7rocprim17ROCPRIM_400000_NS6detail17trampoline_kernelINS0_14default_configENS1_29reduce_by_key_config_selectorIjjN6thrust23THRUST_200600_302600_NS4plusIjEEEEZZNS1_33reduce_by_key_impl_wrapped_configILNS1_25lookback_scan_determinismE0ES3_S9_NS6_6detail15normal_iteratorINS6_10device_ptrIjEEEESG_SG_SG_PmS8_NS6_8equal_toIjEEEE10hipError_tPvRmT2_T3_mT4_T5_T6_T7_T8_P12ihipStream_tbENKUlT_T0_E_clISt17integral_constantIbLb1EES10_IbLb0EEEEDaSW_SX_EUlSW_E_NS1_11comp_targetILNS1_3genE5ELNS1_11target_archE942ELNS1_3gpuE9ELNS1_3repE0EEENS1_30default_config_static_selectorELNS0_4arch9wavefront6targetE0EEEvT1_
                                        ; -- End function
	.section	.AMDGPU.csdata,"",@progbits
; Kernel info:
; codeLenInByte = 0
; NumSgprs: 0
; NumVgprs: 0
; ScratchSize: 0
; MemoryBound: 0
; FloatMode: 240
; IeeeMode: 1
; LDSByteSize: 0 bytes/workgroup (compile time only)
; SGPRBlocks: 0
; VGPRBlocks: 0
; NumSGPRsForWavesPerEU: 1
; NumVGPRsForWavesPerEU: 1
; Occupancy: 16
; WaveLimiterHint : 0
; COMPUTE_PGM_RSRC2:SCRATCH_EN: 0
; COMPUTE_PGM_RSRC2:USER_SGPR: 15
; COMPUTE_PGM_RSRC2:TRAP_HANDLER: 0
; COMPUTE_PGM_RSRC2:TGID_X_EN: 1
; COMPUTE_PGM_RSRC2:TGID_Y_EN: 0
; COMPUTE_PGM_RSRC2:TGID_Z_EN: 0
; COMPUTE_PGM_RSRC2:TIDIG_COMP_CNT: 0
	.section	.text._ZN7rocprim17ROCPRIM_400000_NS6detail17trampoline_kernelINS0_14default_configENS1_29reduce_by_key_config_selectorIjjN6thrust23THRUST_200600_302600_NS4plusIjEEEEZZNS1_33reduce_by_key_impl_wrapped_configILNS1_25lookback_scan_determinismE0ES3_S9_NS6_6detail15normal_iteratorINS6_10device_ptrIjEEEESG_SG_SG_PmS8_NS6_8equal_toIjEEEE10hipError_tPvRmT2_T3_mT4_T5_T6_T7_T8_P12ihipStream_tbENKUlT_T0_E_clISt17integral_constantIbLb1EES10_IbLb0EEEEDaSW_SX_EUlSW_E_NS1_11comp_targetILNS1_3genE4ELNS1_11target_archE910ELNS1_3gpuE8ELNS1_3repE0EEENS1_30default_config_static_selectorELNS0_4arch9wavefront6targetE0EEEvT1_,"axG",@progbits,_ZN7rocprim17ROCPRIM_400000_NS6detail17trampoline_kernelINS0_14default_configENS1_29reduce_by_key_config_selectorIjjN6thrust23THRUST_200600_302600_NS4plusIjEEEEZZNS1_33reduce_by_key_impl_wrapped_configILNS1_25lookback_scan_determinismE0ES3_S9_NS6_6detail15normal_iteratorINS6_10device_ptrIjEEEESG_SG_SG_PmS8_NS6_8equal_toIjEEEE10hipError_tPvRmT2_T3_mT4_T5_T6_T7_T8_P12ihipStream_tbENKUlT_T0_E_clISt17integral_constantIbLb1EES10_IbLb0EEEEDaSW_SX_EUlSW_E_NS1_11comp_targetILNS1_3genE4ELNS1_11target_archE910ELNS1_3gpuE8ELNS1_3repE0EEENS1_30default_config_static_selectorELNS0_4arch9wavefront6targetE0EEEvT1_,comdat
	.protected	_ZN7rocprim17ROCPRIM_400000_NS6detail17trampoline_kernelINS0_14default_configENS1_29reduce_by_key_config_selectorIjjN6thrust23THRUST_200600_302600_NS4plusIjEEEEZZNS1_33reduce_by_key_impl_wrapped_configILNS1_25lookback_scan_determinismE0ES3_S9_NS6_6detail15normal_iteratorINS6_10device_ptrIjEEEESG_SG_SG_PmS8_NS6_8equal_toIjEEEE10hipError_tPvRmT2_T3_mT4_T5_T6_T7_T8_P12ihipStream_tbENKUlT_T0_E_clISt17integral_constantIbLb1EES10_IbLb0EEEEDaSW_SX_EUlSW_E_NS1_11comp_targetILNS1_3genE4ELNS1_11target_archE910ELNS1_3gpuE8ELNS1_3repE0EEENS1_30default_config_static_selectorELNS0_4arch9wavefront6targetE0EEEvT1_ ; -- Begin function _ZN7rocprim17ROCPRIM_400000_NS6detail17trampoline_kernelINS0_14default_configENS1_29reduce_by_key_config_selectorIjjN6thrust23THRUST_200600_302600_NS4plusIjEEEEZZNS1_33reduce_by_key_impl_wrapped_configILNS1_25lookback_scan_determinismE0ES3_S9_NS6_6detail15normal_iteratorINS6_10device_ptrIjEEEESG_SG_SG_PmS8_NS6_8equal_toIjEEEE10hipError_tPvRmT2_T3_mT4_T5_T6_T7_T8_P12ihipStream_tbENKUlT_T0_E_clISt17integral_constantIbLb1EES10_IbLb0EEEEDaSW_SX_EUlSW_E_NS1_11comp_targetILNS1_3genE4ELNS1_11target_archE910ELNS1_3gpuE8ELNS1_3repE0EEENS1_30default_config_static_selectorELNS0_4arch9wavefront6targetE0EEEvT1_
	.globl	_ZN7rocprim17ROCPRIM_400000_NS6detail17trampoline_kernelINS0_14default_configENS1_29reduce_by_key_config_selectorIjjN6thrust23THRUST_200600_302600_NS4plusIjEEEEZZNS1_33reduce_by_key_impl_wrapped_configILNS1_25lookback_scan_determinismE0ES3_S9_NS6_6detail15normal_iteratorINS6_10device_ptrIjEEEESG_SG_SG_PmS8_NS6_8equal_toIjEEEE10hipError_tPvRmT2_T3_mT4_T5_T6_T7_T8_P12ihipStream_tbENKUlT_T0_E_clISt17integral_constantIbLb1EES10_IbLb0EEEEDaSW_SX_EUlSW_E_NS1_11comp_targetILNS1_3genE4ELNS1_11target_archE910ELNS1_3gpuE8ELNS1_3repE0EEENS1_30default_config_static_selectorELNS0_4arch9wavefront6targetE0EEEvT1_
	.p2align	8
	.type	_ZN7rocprim17ROCPRIM_400000_NS6detail17trampoline_kernelINS0_14default_configENS1_29reduce_by_key_config_selectorIjjN6thrust23THRUST_200600_302600_NS4plusIjEEEEZZNS1_33reduce_by_key_impl_wrapped_configILNS1_25lookback_scan_determinismE0ES3_S9_NS6_6detail15normal_iteratorINS6_10device_ptrIjEEEESG_SG_SG_PmS8_NS6_8equal_toIjEEEE10hipError_tPvRmT2_T3_mT4_T5_T6_T7_T8_P12ihipStream_tbENKUlT_T0_E_clISt17integral_constantIbLb1EES10_IbLb0EEEEDaSW_SX_EUlSW_E_NS1_11comp_targetILNS1_3genE4ELNS1_11target_archE910ELNS1_3gpuE8ELNS1_3repE0EEENS1_30default_config_static_selectorELNS0_4arch9wavefront6targetE0EEEvT1_,@function
_ZN7rocprim17ROCPRIM_400000_NS6detail17trampoline_kernelINS0_14default_configENS1_29reduce_by_key_config_selectorIjjN6thrust23THRUST_200600_302600_NS4plusIjEEEEZZNS1_33reduce_by_key_impl_wrapped_configILNS1_25lookback_scan_determinismE0ES3_S9_NS6_6detail15normal_iteratorINS6_10device_ptrIjEEEESG_SG_SG_PmS8_NS6_8equal_toIjEEEE10hipError_tPvRmT2_T3_mT4_T5_T6_T7_T8_P12ihipStream_tbENKUlT_T0_E_clISt17integral_constantIbLb1EES10_IbLb0EEEEDaSW_SX_EUlSW_E_NS1_11comp_targetILNS1_3genE4ELNS1_11target_archE910ELNS1_3gpuE8ELNS1_3repE0EEENS1_30default_config_static_selectorELNS0_4arch9wavefront6targetE0EEEvT1_: ; @_ZN7rocprim17ROCPRIM_400000_NS6detail17trampoline_kernelINS0_14default_configENS1_29reduce_by_key_config_selectorIjjN6thrust23THRUST_200600_302600_NS4plusIjEEEEZZNS1_33reduce_by_key_impl_wrapped_configILNS1_25lookback_scan_determinismE0ES3_S9_NS6_6detail15normal_iteratorINS6_10device_ptrIjEEEESG_SG_SG_PmS8_NS6_8equal_toIjEEEE10hipError_tPvRmT2_T3_mT4_T5_T6_T7_T8_P12ihipStream_tbENKUlT_T0_E_clISt17integral_constantIbLb1EES10_IbLb0EEEEDaSW_SX_EUlSW_E_NS1_11comp_targetILNS1_3genE4ELNS1_11target_archE910ELNS1_3gpuE8ELNS1_3repE0EEENS1_30default_config_static_selectorELNS0_4arch9wavefront6targetE0EEEvT1_
; %bb.0:
	.section	.rodata,"a",@progbits
	.p2align	6, 0x0
	.amdhsa_kernel _ZN7rocprim17ROCPRIM_400000_NS6detail17trampoline_kernelINS0_14default_configENS1_29reduce_by_key_config_selectorIjjN6thrust23THRUST_200600_302600_NS4plusIjEEEEZZNS1_33reduce_by_key_impl_wrapped_configILNS1_25lookback_scan_determinismE0ES3_S9_NS6_6detail15normal_iteratorINS6_10device_ptrIjEEEESG_SG_SG_PmS8_NS6_8equal_toIjEEEE10hipError_tPvRmT2_T3_mT4_T5_T6_T7_T8_P12ihipStream_tbENKUlT_T0_E_clISt17integral_constantIbLb1EES10_IbLb0EEEEDaSW_SX_EUlSW_E_NS1_11comp_targetILNS1_3genE4ELNS1_11target_archE910ELNS1_3gpuE8ELNS1_3repE0EEENS1_30default_config_static_selectorELNS0_4arch9wavefront6targetE0EEEvT1_
		.amdhsa_group_segment_fixed_size 0
		.amdhsa_private_segment_fixed_size 0
		.amdhsa_kernarg_size 120
		.amdhsa_user_sgpr_count 15
		.amdhsa_user_sgpr_dispatch_ptr 0
		.amdhsa_user_sgpr_queue_ptr 0
		.amdhsa_user_sgpr_kernarg_segment_ptr 1
		.amdhsa_user_sgpr_dispatch_id 0
		.amdhsa_user_sgpr_private_segment_size 0
		.amdhsa_wavefront_size32 1
		.amdhsa_uses_dynamic_stack 0
		.amdhsa_enable_private_segment 0
		.amdhsa_system_sgpr_workgroup_id_x 1
		.amdhsa_system_sgpr_workgroup_id_y 0
		.amdhsa_system_sgpr_workgroup_id_z 0
		.amdhsa_system_sgpr_workgroup_info 0
		.amdhsa_system_vgpr_workitem_id 0
		.amdhsa_next_free_vgpr 1
		.amdhsa_next_free_sgpr 1
		.amdhsa_reserve_vcc 0
		.amdhsa_float_round_mode_32 0
		.amdhsa_float_round_mode_16_64 0
		.amdhsa_float_denorm_mode_32 3
		.amdhsa_float_denorm_mode_16_64 3
		.amdhsa_dx10_clamp 1
		.amdhsa_ieee_mode 1
		.amdhsa_fp16_overflow 0
		.amdhsa_workgroup_processor_mode 1
		.amdhsa_memory_ordered 1
		.amdhsa_forward_progress 0
		.amdhsa_shared_vgpr_count 0
		.amdhsa_exception_fp_ieee_invalid_op 0
		.amdhsa_exception_fp_denorm_src 0
		.amdhsa_exception_fp_ieee_div_zero 0
		.amdhsa_exception_fp_ieee_overflow 0
		.amdhsa_exception_fp_ieee_underflow 0
		.amdhsa_exception_fp_ieee_inexact 0
		.amdhsa_exception_int_div_zero 0
	.end_amdhsa_kernel
	.section	.text._ZN7rocprim17ROCPRIM_400000_NS6detail17trampoline_kernelINS0_14default_configENS1_29reduce_by_key_config_selectorIjjN6thrust23THRUST_200600_302600_NS4plusIjEEEEZZNS1_33reduce_by_key_impl_wrapped_configILNS1_25lookback_scan_determinismE0ES3_S9_NS6_6detail15normal_iteratorINS6_10device_ptrIjEEEESG_SG_SG_PmS8_NS6_8equal_toIjEEEE10hipError_tPvRmT2_T3_mT4_T5_T6_T7_T8_P12ihipStream_tbENKUlT_T0_E_clISt17integral_constantIbLb1EES10_IbLb0EEEEDaSW_SX_EUlSW_E_NS1_11comp_targetILNS1_3genE4ELNS1_11target_archE910ELNS1_3gpuE8ELNS1_3repE0EEENS1_30default_config_static_selectorELNS0_4arch9wavefront6targetE0EEEvT1_,"axG",@progbits,_ZN7rocprim17ROCPRIM_400000_NS6detail17trampoline_kernelINS0_14default_configENS1_29reduce_by_key_config_selectorIjjN6thrust23THRUST_200600_302600_NS4plusIjEEEEZZNS1_33reduce_by_key_impl_wrapped_configILNS1_25lookback_scan_determinismE0ES3_S9_NS6_6detail15normal_iteratorINS6_10device_ptrIjEEEESG_SG_SG_PmS8_NS6_8equal_toIjEEEE10hipError_tPvRmT2_T3_mT4_T5_T6_T7_T8_P12ihipStream_tbENKUlT_T0_E_clISt17integral_constantIbLb1EES10_IbLb0EEEEDaSW_SX_EUlSW_E_NS1_11comp_targetILNS1_3genE4ELNS1_11target_archE910ELNS1_3gpuE8ELNS1_3repE0EEENS1_30default_config_static_selectorELNS0_4arch9wavefront6targetE0EEEvT1_,comdat
.Lfunc_end337:
	.size	_ZN7rocprim17ROCPRIM_400000_NS6detail17trampoline_kernelINS0_14default_configENS1_29reduce_by_key_config_selectorIjjN6thrust23THRUST_200600_302600_NS4plusIjEEEEZZNS1_33reduce_by_key_impl_wrapped_configILNS1_25lookback_scan_determinismE0ES3_S9_NS6_6detail15normal_iteratorINS6_10device_ptrIjEEEESG_SG_SG_PmS8_NS6_8equal_toIjEEEE10hipError_tPvRmT2_T3_mT4_T5_T6_T7_T8_P12ihipStream_tbENKUlT_T0_E_clISt17integral_constantIbLb1EES10_IbLb0EEEEDaSW_SX_EUlSW_E_NS1_11comp_targetILNS1_3genE4ELNS1_11target_archE910ELNS1_3gpuE8ELNS1_3repE0EEENS1_30default_config_static_selectorELNS0_4arch9wavefront6targetE0EEEvT1_, .Lfunc_end337-_ZN7rocprim17ROCPRIM_400000_NS6detail17trampoline_kernelINS0_14default_configENS1_29reduce_by_key_config_selectorIjjN6thrust23THRUST_200600_302600_NS4plusIjEEEEZZNS1_33reduce_by_key_impl_wrapped_configILNS1_25lookback_scan_determinismE0ES3_S9_NS6_6detail15normal_iteratorINS6_10device_ptrIjEEEESG_SG_SG_PmS8_NS6_8equal_toIjEEEE10hipError_tPvRmT2_T3_mT4_T5_T6_T7_T8_P12ihipStream_tbENKUlT_T0_E_clISt17integral_constantIbLb1EES10_IbLb0EEEEDaSW_SX_EUlSW_E_NS1_11comp_targetILNS1_3genE4ELNS1_11target_archE910ELNS1_3gpuE8ELNS1_3repE0EEENS1_30default_config_static_selectorELNS0_4arch9wavefront6targetE0EEEvT1_
                                        ; -- End function
	.section	.AMDGPU.csdata,"",@progbits
; Kernel info:
; codeLenInByte = 0
; NumSgprs: 0
; NumVgprs: 0
; ScratchSize: 0
; MemoryBound: 0
; FloatMode: 240
; IeeeMode: 1
; LDSByteSize: 0 bytes/workgroup (compile time only)
; SGPRBlocks: 0
; VGPRBlocks: 0
; NumSGPRsForWavesPerEU: 1
; NumVGPRsForWavesPerEU: 1
; Occupancy: 16
; WaveLimiterHint : 0
; COMPUTE_PGM_RSRC2:SCRATCH_EN: 0
; COMPUTE_PGM_RSRC2:USER_SGPR: 15
; COMPUTE_PGM_RSRC2:TRAP_HANDLER: 0
; COMPUTE_PGM_RSRC2:TGID_X_EN: 1
; COMPUTE_PGM_RSRC2:TGID_Y_EN: 0
; COMPUTE_PGM_RSRC2:TGID_Z_EN: 0
; COMPUTE_PGM_RSRC2:TIDIG_COMP_CNT: 0
	.section	.text._ZN7rocprim17ROCPRIM_400000_NS6detail17trampoline_kernelINS0_14default_configENS1_29reduce_by_key_config_selectorIjjN6thrust23THRUST_200600_302600_NS4plusIjEEEEZZNS1_33reduce_by_key_impl_wrapped_configILNS1_25lookback_scan_determinismE0ES3_S9_NS6_6detail15normal_iteratorINS6_10device_ptrIjEEEESG_SG_SG_PmS8_NS6_8equal_toIjEEEE10hipError_tPvRmT2_T3_mT4_T5_T6_T7_T8_P12ihipStream_tbENKUlT_T0_E_clISt17integral_constantIbLb1EES10_IbLb0EEEEDaSW_SX_EUlSW_E_NS1_11comp_targetILNS1_3genE3ELNS1_11target_archE908ELNS1_3gpuE7ELNS1_3repE0EEENS1_30default_config_static_selectorELNS0_4arch9wavefront6targetE0EEEvT1_,"axG",@progbits,_ZN7rocprim17ROCPRIM_400000_NS6detail17trampoline_kernelINS0_14default_configENS1_29reduce_by_key_config_selectorIjjN6thrust23THRUST_200600_302600_NS4plusIjEEEEZZNS1_33reduce_by_key_impl_wrapped_configILNS1_25lookback_scan_determinismE0ES3_S9_NS6_6detail15normal_iteratorINS6_10device_ptrIjEEEESG_SG_SG_PmS8_NS6_8equal_toIjEEEE10hipError_tPvRmT2_T3_mT4_T5_T6_T7_T8_P12ihipStream_tbENKUlT_T0_E_clISt17integral_constantIbLb1EES10_IbLb0EEEEDaSW_SX_EUlSW_E_NS1_11comp_targetILNS1_3genE3ELNS1_11target_archE908ELNS1_3gpuE7ELNS1_3repE0EEENS1_30default_config_static_selectorELNS0_4arch9wavefront6targetE0EEEvT1_,comdat
	.protected	_ZN7rocprim17ROCPRIM_400000_NS6detail17trampoline_kernelINS0_14default_configENS1_29reduce_by_key_config_selectorIjjN6thrust23THRUST_200600_302600_NS4plusIjEEEEZZNS1_33reduce_by_key_impl_wrapped_configILNS1_25lookback_scan_determinismE0ES3_S9_NS6_6detail15normal_iteratorINS6_10device_ptrIjEEEESG_SG_SG_PmS8_NS6_8equal_toIjEEEE10hipError_tPvRmT2_T3_mT4_T5_T6_T7_T8_P12ihipStream_tbENKUlT_T0_E_clISt17integral_constantIbLb1EES10_IbLb0EEEEDaSW_SX_EUlSW_E_NS1_11comp_targetILNS1_3genE3ELNS1_11target_archE908ELNS1_3gpuE7ELNS1_3repE0EEENS1_30default_config_static_selectorELNS0_4arch9wavefront6targetE0EEEvT1_ ; -- Begin function _ZN7rocprim17ROCPRIM_400000_NS6detail17trampoline_kernelINS0_14default_configENS1_29reduce_by_key_config_selectorIjjN6thrust23THRUST_200600_302600_NS4plusIjEEEEZZNS1_33reduce_by_key_impl_wrapped_configILNS1_25lookback_scan_determinismE0ES3_S9_NS6_6detail15normal_iteratorINS6_10device_ptrIjEEEESG_SG_SG_PmS8_NS6_8equal_toIjEEEE10hipError_tPvRmT2_T3_mT4_T5_T6_T7_T8_P12ihipStream_tbENKUlT_T0_E_clISt17integral_constantIbLb1EES10_IbLb0EEEEDaSW_SX_EUlSW_E_NS1_11comp_targetILNS1_3genE3ELNS1_11target_archE908ELNS1_3gpuE7ELNS1_3repE0EEENS1_30default_config_static_selectorELNS0_4arch9wavefront6targetE0EEEvT1_
	.globl	_ZN7rocprim17ROCPRIM_400000_NS6detail17trampoline_kernelINS0_14default_configENS1_29reduce_by_key_config_selectorIjjN6thrust23THRUST_200600_302600_NS4plusIjEEEEZZNS1_33reduce_by_key_impl_wrapped_configILNS1_25lookback_scan_determinismE0ES3_S9_NS6_6detail15normal_iteratorINS6_10device_ptrIjEEEESG_SG_SG_PmS8_NS6_8equal_toIjEEEE10hipError_tPvRmT2_T3_mT4_T5_T6_T7_T8_P12ihipStream_tbENKUlT_T0_E_clISt17integral_constantIbLb1EES10_IbLb0EEEEDaSW_SX_EUlSW_E_NS1_11comp_targetILNS1_3genE3ELNS1_11target_archE908ELNS1_3gpuE7ELNS1_3repE0EEENS1_30default_config_static_selectorELNS0_4arch9wavefront6targetE0EEEvT1_
	.p2align	8
	.type	_ZN7rocprim17ROCPRIM_400000_NS6detail17trampoline_kernelINS0_14default_configENS1_29reduce_by_key_config_selectorIjjN6thrust23THRUST_200600_302600_NS4plusIjEEEEZZNS1_33reduce_by_key_impl_wrapped_configILNS1_25lookback_scan_determinismE0ES3_S9_NS6_6detail15normal_iteratorINS6_10device_ptrIjEEEESG_SG_SG_PmS8_NS6_8equal_toIjEEEE10hipError_tPvRmT2_T3_mT4_T5_T6_T7_T8_P12ihipStream_tbENKUlT_T0_E_clISt17integral_constantIbLb1EES10_IbLb0EEEEDaSW_SX_EUlSW_E_NS1_11comp_targetILNS1_3genE3ELNS1_11target_archE908ELNS1_3gpuE7ELNS1_3repE0EEENS1_30default_config_static_selectorELNS0_4arch9wavefront6targetE0EEEvT1_,@function
_ZN7rocprim17ROCPRIM_400000_NS6detail17trampoline_kernelINS0_14default_configENS1_29reduce_by_key_config_selectorIjjN6thrust23THRUST_200600_302600_NS4plusIjEEEEZZNS1_33reduce_by_key_impl_wrapped_configILNS1_25lookback_scan_determinismE0ES3_S9_NS6_6detail15normal_iteratorINS6_10device_ptrIjEEEESG_SG_SG_PmS8_NS6_8equal_toIjEEEE10hipError_tPvRmT2_T3_mT4_T5_T6_T7_T8_P12ihipStream_tbENKUlT_T0_E_clISt17integral_constantIbLb1EES10_IbLb0EEEEDaSW_SX_EUlSW_E_NS1_11comp_targetILNS1_3genE3ELNS1_11target_archE908ELNS1_3gpuE7ELNS1_3repE0EEENS1_30default_config_static_selectorELNS0_4arch9wavefront6targetE0EEEvT1_: ; @_ZN7rocprim17ROCPRIM_400000_NS6detail17trampoline_kernelINS0_14default_configENS1_29reduce_by_key_config_selectorIjjN6thrust23THRUST_200600_302600_NS4plusIjEEEEZZNS1_33reduce_by_key_impl_wrapped_configILNS1_25lookback_scan_determinismE0ES3_S9_NS6_6detail15normal_iteratorINS6_10device_ptrIjEEEESG_SG_SG_PmS8_NS6_8equal_toIjEEEE10hipError_tPvRmT2_T3_mT4_T5_T6_T7_T8_P12ihipStream_tbENKUlT_T0_E_clISt17integral_constantIbLb1EES10_IbLb0EEEEDaSW_SX_EUlSW_E_NS1_11comp_targetILNS1_3genE3ELNS1_11target_archE908ELNS1_3gpuE7ELNS1_3repE0EEENS1_30default_config_static_selectorELNS0_4arch9wavefront6targetE0EEEvT1_
; %bb.0:
	.section	.rodata,"a",@progbits
	.p2align	6, 0x0
	.amdhsa_kernel _ZN7rocprim17ROCPRIM_400000_NS6detail17trampoline_kernelINS0_14default_configENS1_29reduce_by_key_config_selectorIjjN6thrust23THRUST_200600_302600_NS4plusIjEEEEZZNS1_33reduce_by_key_impl_wrapped_configILNS1_25lookback_scan_determinismE0ES3_S9_NS6_6detail15normal_iteratorINS6_10device_ptrIjEEEESG_SG_SG_PmS8_NS6_8equal_toIjEEEE10hipError_tPvRmT2_T3_mT4_T5_T6_T7_T8_P12ihipStream_tbENKUlT_T0_E_clISt17integral_constantIbLb1EES10_IbLb0EEEEDaSW_SX_EUlSW_E_NS1_11comp_targetILNS1_3genE3ELNS1_11target_archE908ELNS1_3gpuE7ELNS1_3repE0EEENS1_30default_config_static_selectorELNS0_4arch9wavefront6targetE0EEEvT1_
		.amdhsa_group_segment_fixed_size 0
		.amdhsa_private_segment_fixed_size 0
		.amdhsa_kernarg_size 120
		.amdhsa_user_sgpr_count 15
		.amdhsa_user_sgpr_dispatch_ptr 0
		.amdhsa_user_sgpr_queue_ptr 0
		.amdhsa_user_sgpr_kernarg_segment_ptr 1
		.amdhsa_user_sgpr_dispatch_id 0
		.amdhsa_user_sgpr_private_segment_size 0
		.amdhsa_wavefront_size32 1
		.amdhsa_uses_dynamic_stack 0
		.amdhsa_enable_private_segment 0
		.amdhsa_system_sgpr_workgroup_id_x 1
		.amdhsa_system_sgpr_workgroup_id_y 0
		.amdhsa_system_sgpr_workgroup_id_z 0
		.amdhsa_system_sgpr_workgroup_info 0
		.amdhsa_system_vgpr_workitem_id 0
		.amdhsa_next_free_vgpr 1
		.amdhsa_next_free_sgpr 1
		.amdhsa_reserve_vcc 0
		.amdhsa_float_round_mode_32 0
		.amdhsa_float_round_mode_16_64 0
		.amdhsa_float_denorm_mode_32 3
		.amdhsa_float_denorm_mode_16_64 3
		.amdhsa_dx10_clamp 1
		.amdhsa_ieee_mode 1
		.amdhsa_fp16_overflow 0
		.amdhsa_workgroup_processor_mode 1
		.amdhsa_memory_ordered 1
		.amdhsa_forward_progress 0
		.amdhsa_shared_vgpr_count 0
		.amdhsa_exception_fp_ieee_invalid_op 0
		.amdhsa_exception_fp_denorm_src 0
		.amdhsa_exception_fp_ieee_div_zero 0
		.amdhsa_exception_fp_ieee_overflow 0
		.amdhsa_exception_fp_ieee_underflow 0
		.amdhsa_exception_fp_ieee_inexact 0
		.amdhsa_exception_int_div_zero 0
	.end_amdhsa_kernel
	.section	.text._ZN7rocprim17ROCPRIM_400000_NS6detail17trampoline_kernelINS0_14default_configENS1_29reduce_by_key_config_selectorIjjN6thrust23THRUST_200600_302600_NS4plusIjEEEEZZNS1_33reduce_by_key_impl_wrapped_configILNS1_25lookback_scan_determinismE0ES3_S9_NS6_6detail15normal_iteratorINS6_10device_ptrIjEEEESG_SG_SG_PmS8_NS6_8equal_toIjEEEE10hipError_tPvRmT2_T3_mT4_T5_T6_T7_T8_P12ihipStream_tbENKUlT_T0_E_clISt17integral_constantIbLb1EES10_IbLb0EEEEDaSW_SX_EUlSW_E_NS1_11comp_targetILNS1_3genE3ELNS1_11target_archE908ELNS1_3gpuE7ELNS1_3repE0EEENS1_30default_config_static_selectorELNS0_4arch9wavefront6targetE0EEEvT1_,"axG",@progbits,_ZN7rocprim17ROCPRIM_400000_NS6detail17trampoline_kernelINS0_14default_configENS1_29reduce_by_key_config_selectorIjjN6thrust23THRUST_200600_302600_NS4plusIjEEEEZZNS1_33reduce_by_key_impl_wrapped_configILNS1_25lookback_scan_determinismE0ES3_S9_NS6_6detail15normal_iteratorINS6_10device_ptrIjEEEESG_SG_SG_PmS8_NS6_8equal_toIjEEEE10hipError_tPvRmT2_T3_mT4_T5_T6_T7_T8_P12ihipStream_tbENKUlT_T0_E_clISt17integral_constantIbLb1EES10_IbLb0EEEEDaSW_SX_EUlSW_E_NS1_11comp_targetILNS1_3genE3ELNS1_11target_archE908ELNS1_3gpuE7ELNS1_3repE0EEENS1_30default_config_static_selectorELNS0_4arch9wavefront6targetE0EEEvT1_,comdat
.Lfunc_end338:
	.size	_ZN7rocprim17ROCPRIM_400000_NS6detail17trampoline_kernelINS0_14default_configENS1_29reduce_by_key_config_selectorIjjN6thrust23THRUST_200600_302600_NS4plusIjEEEEZZNS1_33reduce_by_key_impl_wrapped_configILNS1_25lookback_scan_determinismE0ES3_S9_NS6_6detail15normal_iteratorINS6_10device_ptrIjEEEESG_SG_SG_PmS8_NS6_8equal_toIjEEEE10hipError_tPvRmT2_T3_mT4_T5_T6_T7_T8_P12ihipStream_tbENKUlT_T0_E_clISt17integral_constantIbLb1EES10_IbLb0EEEEDaSW_SX_EUlSW_E_NS1_11comp_targetILNS1_3genE3ELNS1_11target_archE908ELNS1_3gpuE7ELNS1_3repE0EEENS1_30default_config_static_selectorELNS0_4arch9wavefront6targetE0EEEvT1_, .Lfunc_end338-_ZN7rocprim17ROCPRIM_400000_NS6detail17trampoline_kernelINS0_14default_configENS1_29reduce_by_key_config_selectorIjjN6thrust23THRUST_200600_302600_NS4plusIjEEEEZZNS1_33reduce_by_key_impl_wrapped_configILNS1_25lookback_scan_determinismE0ES3_S9_NS6_6detail15normal_iteratorINS6_10device_ptrIjEEEESG_SG_SG_PmS8_NS6_8equal_toIjEEEE10hipError_tPvRmT2_T3_mT4_T5_T6_T7_T8_P12ihipStream_tbENKUlT_T0_E_clISt17integral_constantIbLb1EES10_IbLb0EEEEDaSW_SX_EUlSW_E_NS1_11comp_targetILNS1_3genE3ELNS1_11target_archE908ELNS1_3gpuE7ELNS1_3repE0EEENS1_30default_config_static_selectorELNS0_4arch9wavefront6targetE0EEEvT1_
                                        ; -- End function
	.section	.AMDGPU.csdata,"",@progbits
; Kernel info:
; codeLenInByte = 0
; NumSgprs: 0
; NumVgprs: 0
; ScratchSize: 0
; MemoryBound: 0
; FloatMode: 240
; IeeeMode: 1
; LDSByteSize: 0 bytes/workgroup (compile time only)
; SGPRBlocks: 0
; VGPRBlocks: 0
; NumSGPRsForWavesPerEU: 1
; NumVGPRsForWavesPerEU: 1
; Occupancy: 16
; WaveLimiterHint : 0
; COMPUTE_PGM_RSRC2:SCRATCH_EN: 0
; COMPUTE_PGM_RSRC2:USER_SGPR: 15
; COMPUTE_PGM_RSRC2:TRAP_HANDLER: 0
; COMPUTE_PGM_RSRC2:TGID_X_EN: 1
; COMPUTE_PGM_RSRC2:TGID_Y_EN: 0
; COMPUTE_PGM_RSRC2:TGID_Z_EN: 0
; COMPUTE_PGM_RSRC2:TIDIG_COMP_CNT: 0
	.section	.text._ZN7rocprim17ROCPRIM_400000_NS6detail17trampoline_kernelINS0_14default_configENS1_29reduce_by_key_config_selectorIjjN6thrust23THRUST_200600_302600_NS4plusIjEEEEZZNS1_33reduce_by_key_impl_wrapped_configILNS1_25lookback_scan_determinismE0ES3_S9_NS6_6detail15normal_iteratorINS6_10device_ptrIjEEEESG_SG_SG_PmS8_NS6_8equal_toIjEEEE10hipError_tPvRmT2_T3_mT4_T5_T6_T7_T8_P12ihipStream_tbENKUlT_T0_E_clISt17integral_constantIbLb1EES10_IbLb0EEEEDaSW_SX_EUlSW_E_NS1_11comp_targetILNS1_3genE2ELNS1_11target_archE906ELNS1_3gpuE6ELNS1_3repE0EEENS1_30default_config_static_selectorELNS0_4arch9wavefront6targetE0EEEvT1_,"axG",@progbits,_ZN7rocprim17ROCPRIM_400000_NS6detail17trampoline_kernelINS0_14default_configENS1_29reduce_by_key_config_selectorIjjN6thrust23THRUST_200600_302600_NS4plusIjEEEEZZNS1_33reduce_by_key_impl_wrapped_configILNS1_25lookback_scan_determinismE0ES3_S9_NS6_6detail15normal_iteratorINS6_10device_ptrIjEEEESG_SG_SG_PmS8_NS6_8equal_toIjEEEE10hipError_tPvRmT2_T3_mT4_T5_T6_T7_T8_P12ihipStream_tbENKUlT_T0_E_clISt17integral_constantIbLb1EES10_IbLb0EEEEDaSW_SX_EUlSW_E_NS1_11comp_targetILNS1_3genE2ELNS1_11target_archE906ELNS1_3gpuE6ELNS1_3repE0EEENS1_30default_config_static_selectorELNS0_4arch9wavefront6targetE0EEEvT1_,comdat
	.protected	_ZN7rocprim17ROCPRIM_400000_NS6detail17trampoline_kernelINS0_14default_configENS1_29reduce_by_key_config_selectorIjjN6thrust23THRUST_200600_302600_NS4plusIjEEEEZZNS1_33reduce_by_key_impl_wrapped_configILNS1_25lookback_scan_determinismE0ES3_S9_NS6_6detail15normal_iteratorINS6_10device_ptrIjEEEESG_SG_SG_PmS8_NS6_8equal_toIjEEEE10hipError_tPvRmT2_T3_mT4_T5_T6_T7_T8_P12ihipStream_tbENKUlT_T0_E_clISt17integral_constantIbLb1EES10_IbLb0EEEEDaSW_SX_EUlSW_E_NS1_11comp_targetILNS1_3genE2ELNS1_11target_archE906ELNS1_3gpuE6ELNS1_3repE0EEENS1_30default_config_static_selectorELNS0_4arch9wavefront6targetE0EEEvT1_ ; -- Begin function _ZN7rocprim17ROCPRIM_400000_NS6detail17trampoline_kernelINS0_14default_configENS1_29reduce_by_key_config_selectorIjjN6thrust23THRUST_200600_302600_NS4plusIjEEEEZZNS1_33reduce_by_key_impl_wrapped_configILNS1_25lookback_scan_determinismE0ES3_S9_NS6_6detail15normal_iteratorINS6_10device_ptrIjEEEESG_SG_SG_PmS8_NS6_8equal_toIjEEEE10hipError_tPvRmT2_T3_mT4_T5_T6_T7_T8_P12ihipStream_tbENKUlT_T0_E_clISt17integral_constantIbLb1EES10_IbLb0EEEEDaSW_SX_EUlSW_E_NS1_11comp_targetILNS1_3genE2ELNS1_11target_archE906ELNS1_3gpuE6ELNS1_3repE0EEENS1_30default_config_static_selectorELNS0_4arch9wavefront6targetE0EEEvT1_
	.globl	_ZN7rocprim17ROCPRIM_400000_NS6detail17trampoline_kernelINS0_14default_configENS1_29reduce_by_key_config_selectorIjjN6thrust23THRUST_200600_302600_NS4plusIjEEEEZZNS1_33reduce_by_key_impl_wrapped_configILNS1_25lookback_scan_determinismE0ES3_S9_NS6_6detail15normal_iteratorINS6_10device_ptrIjEEEESG_SG_SG_PmS8_NS6_8equal_toIjEEEE10hipError_tPvRmT2_T3_mT4_T5_T6_T7_T8_P12ihipStream_tbENKUlT_T0_E_clISt17integral_constantIbLb1EES10_IbLb0EEEEDaSW_SX_EUlSW_E_NS1_11comp_targetILNS1_3genE2ELNS1_11target_archE906ELNS1_3gpuE6ELNS1_3repE0EEENS1_30default_config_static_selectorELNS0_4arch9wavefront6targetE0EEEvT1_
	.p2align	8
	.type	_ZN7rocprim17ROCPRIM_400000_NS6detail17trampoline_kernelINS0_14default_configENS1_29reduce_by_key_config_selectorIjjN6thrust23THRUST_200600_302600_NS4plusIjEEEEZZNS1_33reduce_by_key_impl_wrapped_configILNS1_25lookback_scan_determinismE0ES3_S9_NS6_6detail15normal_iteratorINS6_10device_ptrIjEEEESG_SG_SG_PmS8_NS6_8equal_toIjEEEE10hipError_tPvRmT2_T3_mT4_T5_T6_T7_T8_P12ihipStream_tbENKUlT_T0_E_clISt17integral_constantIbLb1EES10_IbLb0EEEEDaSW_SX_EUlSW_E_NS1_11comp_targetILNS1_3genE2ELNS1_11target_archE906ELNS1_3gpuE6ELNS1_3repE0EEENS1_30default_config_static_selectorELNS0_4arch9wavefront6targetE0EEEvT1_,@function
_ZN7rocprim17ROCPRIM_400000_NS6detail17trampoline_kernelINS0_14default_configENS1_29reduce_by_key_config_selectorIjjN6thrust23THRUST_200600_302600_NS4plusIjEEEEZZNS1_33reduce_by_key_impl_wrapped_configILNS1_25lookback_scan_determinismE0ES3_S9_NS6_6detail15normal_iteratorINS6_10device_ptrIjEEEESG_SG_SG_PmS8_NS6_8equal_toIjEEEE10hipError_tPvRmT2_T3_mT4_T5_T6_T7_T8_P12ihipStream_tbENKUlT_T0_E_clISt17integral_constantIbLb1EES10_IbLb0EEEEDaSW_SX_EUlSW_E_NS1_11comp_targetILNS1_3genE2ELNS1_11target_archE906ELNS1_3gpuE6ELNS1_3repE0EEENS1_30default_config_static_selectorELNS0_4arch9wavefront6targetE0EEEvT1_: ; @_ZN7rocprim17ROCPRIM_400000_NS6detail17trampoline_kernelINS0_14default_configENS1_29reduce_by_key_config_selectorIjjN6thrust23THRUST_200600_302600_NS4plusIjEEEEZZNS1_33reduce_by_key_impl_wrapped_configILNS1_25lookback_scan_determinismE0ES3_S9_NS6_6detail15normal_iteratorINS6_10device_ptrIjEEEESG_SG_SG_PmS8_NS6_8equal_toIjEEEE10hipError_tPvRmT2_T3_mT4_T5_T6_T7_T8_P12ihipStream_tbENKUlT_T0_E_clISt17integral_constantIbLb1EES10_IbLb0EEEEDaSW_SX_EUlSW_E_NS1_11comp_targetILNS1_3genE2ELNS1_11target_archE906ELNS1_3gpuE6ELNS1_3repE0EEENS1_30default_config_static_selectorELNS0_4arch9wavefront6targetE0EEEvT1_
; %bb.0:
	.section	.rodata,"a",@progbits
	.p2align	6, 0x0
	.amdhsa_kernel _ZN7rocprim17ROCPRIM_400000_NS6detail17trampoline_kernelINS0_14default_configENS1_29reduce_by_key_config_selectorIjjN6thrust23THRUST_200600_302600_NS4plusIjEEEEZZNS1_33reduce_by_key_impl_wrapped_configILNS1_25lookback_scan_determinismE0ES3_S9_NS6_6detail15normal_iteratorINS6_10device_ptrIjEEEESG_SG_SG_PmS8_NS6_8equal_toIjEEEE10hipError_tPvRmT2_T3_mT4_T5_T6_T7_T8_P12ihipStream_tbENKUlT_T0_E_clISt17integral_constantIbLb1EES10_IbLb0EEEEDaSW_SX_EUlSW_E_NS1_11comp_targetILNS1_3genE2ELNS1_11target_archE906ELNS1_3gpuE6ELNS1_3repE0EEENS1_30default_config_static_selectorELNS0_4arch9wavefront6targetE0EEEvT1_
		.amdhsa_group_segment_fixed_size 0
		.amdhsa_private_segment_fixed_size 0
		.amdhsa_kernarg_size 120
		.amdhsa_user_sgpr_count 15
		.amdhsa_user_sgpr_dispatch_ptr 0
		.amdhsa_user_sgpr_queue_ptr 0
		.amdhsa_user_sgpr_kernarg_segment_ptr 1
		.amdhsa_user_sgpr_dispatch_id 0
		.amdhsa_user_sgpr_private_segment_size 0
		.amdhsa_wavefront_size32 1
		.amdhsa_uses_dynamic_stack 0
		.amdhsa_enable_private_segment 0
		.amdhsa_system_sgpr_workgroup_id_x 1
		.amdhsa_system_sgpr_workgroup_id_y 0
		.amdhsa_system_sgpr_workgroup_id_z 0
		.amdhsa_system_sgpr_workgroup_info 0
		.amdhsa_system_vgpr_workitem_id 0
		.amdhsa_next_free_vgpr 1
		.amdhsa_next_free_sgpr 1
		.amdhsa_reserve_vcc 0
		.amdhsa_float_round_mode_32 0
		.amdhsa_float_round_mode_16_64 0
		.amdhsa_float_denorm_mode_32 3
		.amdhsa_float_denorm_mode_16_64 3
		.amdhsa_dx10_clamp 1
		.amdhsa_ieee_mode 1
		.amdhsa_fp16_overflow 0
		.amdhsa_workgroup_processor_mode 1
		.amdhsa_memory_ordered 1
		.amdhsa_forward_progress 0
		.amdhsa_shared_vgpr_count 0
		.amdhsa_exception_fp_ieee_invalid_op 0
		.amdhsa_exception_fp_denorm_src 0
		.amdhsa_exception_fp_ieee_div_zero 0
		.amdhsa_exception_fp_ieee_overflow 0
		.amdhsa_exception_fp_ieee_underflow 0
		.amdhsa_exception_fp_ieee_inexact 0
		.amdhsa_exception_int_div_zero 0
	.end_amdhsa_kernel
	.section	.text._ZN7rocprim17ROCPRIM_400000_NS6detail17trampoline_kernelINS0_14default_configENS1_29reduce_by_key_config_selectorIjjN6thrust23THRUST_200600_302600_NS4plusIjEEEEZZNS1_33reduce_by_key_impl_wrapped_configILNS1_25lookback_scan_determinismE0ES3_S9_NS6_6detail15normal_iteratorINS6_10device_ptrIjEEEESG_SG_SG_PmS8_NS6_8equal_toIjEEEE10hipError_tPvRmT2_T3_mT4_T5_T6_T7_T8_P12ihipStream_tbENKUlT_T0_E_clISt17integral_constantIbLb1EES10_IbLb0EEEEDaSW_SX_EUlSW_E_NS1_11comp_targetILNS1_3genE2ELNS1_11target_archE906ELNS1_3gpuE6ELNS1_3repE0EEENS1_30default_config_static_selectorELNS0_4arch9wavefront6targetE0EEEvT1_,"axG",@progbits,_ZN7rocprim17ROCPRIM_400000_NS6detail17trampoline_kernelINS0_14default_configENS1_29reduce_by_key_config_selectorIjjN6thrust23THRUST_200600_302600_NS4plusIjEEEEZZNS1_33reduce_by_key_impl_wrapped_configILNS1_25lookback_scan_determinismE0ES3_S9_NS6_6detail15normal_iteratorINS6_10device_ptrIjEEEESG_SG_SG_PmS8_NS6_8equal_toIjEEEE10hipError_tPvRmT2_T3_mT4_T5_T6_T7_T8_P12ihipStream_tbENKUlT_T0_E_clISt17integral_constantIbLb1EES10_IbLb0EEEEDaSW_SX_EUlSW_E_NS1_11comp_targetILNS1_3genE2ELNS1_11target_archE906ELNS1_3gpuE6ELNS1_3repE0EEENS1_30default_config_static_selectorELNS0_4arch9wavefront6targetE0EEEvT1_,comdat
.Lfunc_end339:
	.size	_ZN7rocprim17ROCPRIM_400000_NS6detail17trampoline_kernelINS0_14default_configENS1_29reduce_by_key_config_selectorIjjN6thrust23THRUST_200600_302600_NS4plusIjEEEEZZNS1_33reduce_by_key_impl_wrapped_configILNS1_25lookback_scan_determinismE0ES3_S9_NS6_6detail15normal_iteratorINS6_10device_ptrIjEEEESG_SG_SG_PmS8_NS6_8equal_toIjEEEE10hipError_tPvRmT2_T3_mT4_T5_T6_T7_T8_P12ihipStream_tbENKUlT_T0_E_clISt17integral_constantIbLb1EES10_IbLb0EEEEDaSW_SX_EUlSW_E_NS1_11comp_targetILNS1_3genE2ELNS1_11target_archE906ELNS1_3gpuE6ELNS1_3repE0EEENS1_30default_config_static_selectorELNS0_4arch9wavefront6targetE0EEEvT1_, .Lfunc_end339-_ZN7rocprim17ROCPRIM_400000_NS6detail17trampoline_kernelINS0_14default_configENS1_29reduce_by_key_config_selectorIjjN6thrust23THRUST_200600_302600_NS4plusIjEEEEZZNS1_33reduce_by_key_impl_wrapped_configILNS1_25lookback_scan_determinismE0ES3_S9_NS6_6detail15normal_iteratorINS6_10device_ptrIjEEEESG_SG_SG_PmS8_NS6_8equal_toIjEEEE10hipError_tPvRmT2_T3_mT4_T5_T6_T7_T8_P12ihipStream_tbENKUlT_T0_E_clISt17integral_constantIbLb1EES10_IbLb0EEEEDaSW_SX_EUlSW_E_NS1_11comp_targetILNS1_3genE2ELNS1_11target_archE906ELNS1_3gpuE6ELNS1_3repE0EEENS1_30default_config_static_selectorELNS0_4arch9wavefront6targetE0EEEvT1_
                                        ; -- End function
	.section	.AMDGPU.csdata,"",@progbits
; Kernel info:
; codeLenInByte = 0
; NumSgprs: 0
; NumVgprs: 0
; ScratchSize: 0
; MemoryBound: 0
; FloatMode: 240
; IeeeMode: 1
; LDSByteSize: 0 bytes/workgroup (compile time only)
; SGPRBlocks: 0
; VGPRBlocks: 0
; NumSGPRsForWavesPerEU: 1
; NumVGPRsForWavesPerEU: 1
; Occupancy: 16
; WaveLimiterHint : 0
; COMPUTE_PGM_RSRC2:SCRATCH_EN: 0
; COMPUTE_PGM_RSRC2:USER_SGPR: 15
; COMPUTE_PGM_RSRC2:TRAP_HANDLER: 0
; COMPUTE_PGM_RSRC2:TGID_X_EN: 1
; COMPUTE_PGM_RSRC2:TGID_Y_EN: 0
; COMPUTE_PGM_RSRC2:TGID_Z_EN: 0
; COMPUTE_PGM_RSRC2:TIDIG_COMP_CNT: 0
	.section	.text._ZN7rocprim17ROCPRIM_400000_NS6detail17trampoline_kernelINS0_14default_configENS1_29reduce_by_key_config_selectorIjjN6thrust23THRUST_200600_302600_NS4plusIjEEEEZZNS1_33reduce_by_key_impl_wrapped_configILNS1_25lookback_scan_determinismE0ES3_S9_NS6_6detail15normal_iteratorINS6_10device_ptrIjEEEESG_SG_SG_PmS8_NS6_8equal_toIjEEEE10hipError_tPvRmT2_T3_mT4_T5_T6_T7_T8_P12ihipStream_tbENKUlT_T0_E_clISt17integral_constantIbLb1EES10_IbLb0EEEEDaSW_SX_EUlSW_E_NS1_11comp_targetILNS1_3genE10ELNS1_11target_archE1201ELNS1_3gpuE5ELNS1_3repE0EEENS1_30default_config_static_selectorELNS0_4arch9wavefront6targetE0EEEvT1_,"axG",@progbits,_ZN7rocprim17ROCPRIM_400000_NS6detail17trampoline_kernelINS0_14default_configENS1_29reduce_by_key_config_selectorIjjN6thrust23THRUST_200600_302600_NS4plusIjEEEEZZNS1_33reduce_by_key_impl_wrapped_configILNS1_25lookback_scan_determinismE0ES3_S9_NS6_6detail15normal_iteratorINS6_10device_ptrIjEEEESG_SG_SG_PmS8_NS6_8equal_toIjEEEE10hipError_tPvRmT2_T3_mT4_T5_T6_T7_T8_P12ihipStream_tbENKUlT_T0_E_clISt17integral_constantIbLb1EES10_IbLb0EEEEDaSW_SX_EUlSW_E_NS1_11comp_targetILNS1_3genE10ELNS1_11target_archE1201ELNS1_3gpuE5ELNS1_3repE0EEENS1_30default_config_static_selectorELNS0_4arch9wavefront6targetE0EEEvT1_,comdat
	.protected	_ZN7rocprim17ROCPRIM_400000_NS6detail17trampoline_kernelINS0_14default_configENS1_29reduce_by_key_config_selectorIjjN6thrust23THRUST_200600_302600_NS4plusIjEEEEZZNS1_33reduce_by_key_impl_wrapped_configILNS1_25lookback_scan_determinismE0ES3_S9_NS6_6detail15normal_iteratorINS6_10device_ptrIjEEEESG_SG_SG_PmS8_NS6_8equal_toIjEEEE10hipError_tPvRmT2_T3_mT4_T5_T6_T7_T8_P12ihipStream_tbENKUlT_T0_E_clISt17integral_constantIbLb1EES10_IbLb0EEEEDaSW_SX_EUlSW_E_NS1_11comp_targetILNS1_3genE10ELNS1_11target_archE1201ELNS1_3gpuE5ELNS1_3repE0EEENS1_30default_config_static_selectorELNS0_4arch9wavefront6targetE0EEEvT1_ ; -- Begin function _ZN7rocprim17ROCPRIM_400000_NS6detail17trampoline_kernelINS0_14default_configENS1_29reduce_by_key_config_selectorIjjN6thrust23THRUST_200600_302600_NS4plusIjEEEEZZNS1_33reduce_by_key_impl_wrapped_configILNS1_25lookback_scan_determinismE0ES3_S9_NS6_6detail15normal_iteratorINS6_10device_ptrIjEEEESG_SG_SG_PmS8_NS6_8equal_toIjEEEE10hipError_tPvRmT2_T3_mT4_T5_T6_T7_T8_P12ihipStream_tbENKUlT_T0_E_clISt17integral_constantIbLb1EES10_IbLb0EEEEDaSW_SX_EUlSW_E_NS1_11comp_targetILNS1_3genE10ELNS1_11target_archE1201ELNS1_3gpuE5ELNS1_3repE0EEENS1_30default_config_static_selectorELNS0_4arch9wavefront6targetE0EEEvT1_
	.globl	_ZN7rocprim17ROCPRIM_400000_NS6detail17trampoline_kernelINS0_14default_configENS1_29reduce_by_key_config_selectorIjjN6thrust23THRUST_200600_302600_NS4plusIjEEEEZZNS1_33reduce_by_key_impl_wrapped_configILNS1_25lookback_scan_determinismE0ES3_S9_NS6_6detail15normal_iteratorINS6_10device_ptrIjEEEESG_SG_SG_PmS8_NS6_8equal_toIjEEEE10hipError_tPvRmT2_T3_mT4_T5_T6_T7_T8_P12ihipStream_tbENKUlT_T0_E_clISt17integral_constantIbLb1EES10_IbLb0EEEEDaSW_SX_EUlSW_E_NS1_11comp_targetILNS1_3genE10ELNS1_11target_archE1201ELNS1_3gpuE5ELNS1_3repE0EEENS1_30default_config_static_selectorELNS0_4arch9wavefront6targetE0EEEvT1_
	.p2align	8
	.type	_ZN7rocprim17ROCPRIM_400000_NS6detail17trampoline_kernelINS0_14default_configENS1_29reduce_by_key_config_selectorIjjN6thrust23THRUST_200600_302600_NS4plusIjEEEEZZNS1_33reduce_by_key_impl_wrapped_configILNS1_25lookback_scan_determinismE0ES3_S9_NS6_6detail15normal_iteratorINS6_10device_ptrIjEEEESG_SG_SG_PmS8_NS6_8equal_toIjEEEE10hipError_tPvRmT2_T3_mT4_T5_T6_T7_T8_P12ihipStream_tbENKUlT_T0_E_clISt17integral_constantIbLb1EES10_IbLb0EEEEDaSW_SX_EUlSW_E_NS1_11comp_targetILNS1_3genE10ELNS1_11target_archE1201ELNS1_3gpuE5ELNS1_3repE0EEENS1_30default_config_static_selectorELNS0_4arch9wavefront6targetE0EEEvT1_,@function
_ZN7rocprim17ROCPRIM_400000_NS6detail17trampoline_kernelINS0_14default_configENS1_29reduce_by_key_config_selectorIjjN6thrust23THRUST_200600_302600_NS4plusIjEEEEZZNS1_33reduce_by_key_impl_wrapped_configILNS1_25lookback_scan_determinismE0ES3_S9_NS6_6detail15normal_iteratorINS6_10device_ptrIjEEEESG_SG_SG_PmS8_NS6_8equal_toIjEEEE10hipError_tPvRmT2_T3_mT4_T5_T6_T7_T8_P12ihipStream_tbENKUlT_T0_E_clISt17integral_constantIbLb1EES10_IbLb0EEEEDaSW_SX_EUlSW_E_NS1_11comp_targetILNS1_3genE10ELNS1_11target_archE1201ELNS1_3gpuE5ELNS1_3repE0EEENS1_30default_config_static_selectorELNS0_4arch9wavefront6targetE0EEEvT1_: ; @_ZN7rocprim17ROCPRIM_400000_NS6detail17trampoline_kernelINS0_14default_configENS1_29reduce_by_key_config_selectorIjjN6thrust23THRUST_200600_302600_NS4plusIjEEEEZZNS1_33reduce_by_key_impl_wrapped_configILNS1_25lookback_scan_determinismE0ES3_S9_NS6_6detail15normal_iteratorINS6_10device_ptrIjEEEESG_SG_SG_PmS8_NS6_8equal_toIjEEEE10hipError_tPvRmT2_T3_mT4_T5_T6_T7_T8_P12ihipStream_tbENKUlT_T0_E_clISt17integral_constantIbLb1EES10_IbLb0EEEEDaSW_SX_EUlSW_E_NS1_11comp_targetILNS1_3genE10ELNS1_11target_archE1201ELNS1_3gpuE5ELNS1_3repE0EEENS1_30default_config_static_selectorELNS0_4arch9wavefront6targetE0EEEvT1_
; %bb.0:
	.section	.rodata,"a",@progbits
	.p2align	6, 0x0
	.amdhsa_kernel _ZN7rocprim17ROCPRIM_400000_NS6detail17trampoline_kernelINS0_14default_configENS1_29reduce_by_key_config_selectorIjjN6thrust23THRUST_200600_302600_NS4plusIjEEEEZZNS1_33reduce_by_key_impl_wrapped_configILNS1_25lookback_scan_determinismE0ES3_S9_NS6_6detail15normal_iteratorINS6_10device_ptrIjEEEESG_SG_SG_PmS8_NS6_8equal_toIjEEEE10hipError_tPvRmT2_T3_mT4_T5_T6_T7_T8_P12ihipStream_tbENKUlT_T0_E_clISt17integral_constantIbLb1EES10_IbLb0EEEEDaSW_SX_EUlSW_E_NS1_11comp_targetILNS1_3genE10ELNS1_11target_archE1201ELNS1_3gpuE5ELNS1_3repE0EEENS1_30default_config_static_selectorELNS0_4arch9wavefront6targetE0EEEvT1_
		.amdhsa_group_segment_fixed_size 0
		.amdhsa_private_segment_fixed_size 0
		.amdhsa_kernarg_size 120
		.amdhsa_user_sgpr_count 15
		.amdhsa_user_sgpr_dispatch_ptr 0
		.amdhsa_user_sgpr_queue_ptr 0
		.amdhsa_user_sgpr_kernarg_segment_ptr 1
		.amdhsa_user_sgpr_dispatch_id 0
		.amdhsa_user_sgpr_private_segment_size 0
		.amdhsa_wavefront_size32 1
		.amdhsa_uses_dynamic_stack 0
		.amdhsa_enable_private_segment 0
		.amdhsa_system_sgpr_workgroup_id_x 1
		.amdhsa_system_sgpr_workgroup_id_y 0
		.amdhsa_system_sgpr_workgroup_id_z 0
		.amdhsa_system_sgpr_workgroup_info 0
		.amdhsa_system_vgpr_workitem_id 0
		.amdhsa_next_free_vgpr 1
		.amdhsa_next_free_sgpr 1
		.amdhsa_reserve_vcc 0
		.amdhsa_float_round_mode_32 0
		.amdhsa_float_round_mode_16_64 0
		.amdhsa_float_denorm_mode_32 3
		.amdhsa_float_denorm_mode_16_64 3
		.amdhsa_dx10_clamp 1
		.amdhsa_ieee_mode 1
		.amdhsa_fp16_overflow 0
		.amdhsa_workgroup_processor_mode 1
		.amdhsa_memory_ordered 1
		.amdhsa_forward_progress 0
		.amdhsa_shared_vgpr_count 0
		.amdhsa_exception_fp_ieee_invalid_op 0
		.amdhsa_exception_fp_denorm_src 0
		.amdhsa_exception_fp_ieee_div_zero 0
		.amdhsa_exception_fp_ieee_overflow 0
		.amdhsa_exception_fp_ieee_underflow 0
		.amdhsa_exception_fp_ieee_inexact 0
		.amdhsa_exception_int_div_zero 0
	.end_amdhsa_kernel
	.section	.text._ZN7rocprim17ROCPRIM_400000_NS6detail17trampoline_kernelINS0_14default_configENS1_29reduce_by_key_config_selectorIjjN6thrust23THRUST_200600_302600_NS4plusIjEEEEZZNS1_33reduce_by_key_impl_wrapped_configILNS1_25lookback_scan_determinismE0ES3_S9_NS6_6detail15normal_iteratorINS6_10device_ptrIjEEEESG_SG_SG_PmS8_NS6_8equal_toIjEEEE10hipError_tPvRmT2_T3_mT4_T5_T6_T7_T8_P12ihipStream_tbENKUlT_T0_E_clISt17integral_constantIbLb1EES10_IbLb0EEEEDaSW_SX_EUlSW_E_NS1_11comp_targetILNS1_3genE10ELNS1_11target_archE1201ELNS1_3gpuE5ELNS1_3repE0EEENS1_30default_config_static_selectorELNS0_4arch9wavefront6targetE0EEEvT1_,"axG",@progbits,_ZN7rocprim17ROCPRIM_400000_NS6detail17trampoline_kernelINS0_14default_configENS1_29reduce_by_key_config_selectorIjjN6thrust23THRUST_200600_302600_NS4plusIjEEEEZZNS1_33reduce_by_key_impl_wrapped_configILNS1_25lookback_scan_determinismE0ES3_S9_NS6_6detail15normal_iteratorINS6_10device_ptrIjEEEESG_SG_SG_PmS8_NS6_8equal_toIjEEEE10hipError_tPvRmT2_T3_mT4_T5_T6_T7_T8_P12ihipStream_tbENKUlT_T0_E_clISt17integral_constantIbLb1EES10_IbLb0EEEEDaSW_SX_EUlSW_E_NS1_11comp_targetILNS1_3genE10ELNS1_11target_archE1201ELNS1_3gpuE5ELNS1_3repE0EEENS1_30default_config_static_selectorELNS0_4arch9wavefront6targetE0EEEvT1_,comdat
.Lfunc_end340:
	.size	_ZN7rocprim17ROCPRIM_400000_NS6detail17trampoline_kernelINS0_14default_configENS1_29reduce_by_key_config_selectorIjjN6thrust23THRUST_200600_302600_NS4plusIjEEEEZZNS1_33reduce_by_key_impl_wrapped_configILNS1_25lookback_scan_determinismE0ES3_S9_NS6_6detail15normal_iteratorINS6_10device_ptrIjEEEESG_SG_SG_PmS8_NS6_8equal_toIjEEEE10hipError_tPvRmT2_T3_mT4_T5_T6_T7_T8_P12ihipStream_tbENKUlT_T0_E_clISt17integral_constantIbLb1EES10_IbLb0EEEEDaSW_SX_EUlSW_E_NS1_11comp_targetILNS1_3genE10ELNS1_11target_archE1201ELNS1_3gpuE5ELNS1_3repE0EEENS1_30default_config_static_selectorELNS0_4arch9wavefront6targetE0EEEvT1_, .Lfunc_end340-_ZN7rocprim17ROCPRIM_400000_NS6detail17trampoline_kernelINS0_14default_configENS1_29reduce_by_key_config_selectorIjjN6thrust23THRUST_200600_302600_NS4plusIjEEEEZZNS1_33reduce_by_key_impl_wrapped_configILNS1_25lookback_scan_determinismE0ES3_S9_NS6_6detail15normal_iteratorINS6_10device_ptrIjEEEESG_SG_SG_PmS8_NS6_8equal_toIjEEEE10hipError_tPvRmT2_T3_mT4_T5_T6_T7_T8_P12ihipStream_tbENKUlT_T0_E_clISt17integral_constantIbLb1EES10_IbLb0EEEEDaSW_SX_EUlSW_E_NS1_11comp_targetILNS1_3genE10ELNS1_11target_archE1201ELNS1_3gpuE5ELNS1_3repE0EEENS1_30default_config_static_selectorELNS0_4arch9wavefront6targetE0EEEvT1_
                                        ; -- End function
	.section	.AMDGPU.csdata,"",@progbits
; Kernel info:
; codeLenInByte = 0
; NumSgprs: 0
; NumVgprs: 0
; ScratchSize: 0
; MemoryBound: 0
; FloatMode: 240
; IeeeMode: 1
; LDSByteSize: 0 bytes/workgroup (compile time only)
; SGPRBlocks: 0
; VGPRBlocks: 0
; NumSGPRsForWavesPerEU: 1
; NumVGPRsForWavesPerEU: 1
; Occupancy: 16
; WaveLimiterHint : 0
; COMPUTE_PGM_RSRC2:SCRATCH_EN: 0
; COMPUTE_PGM_RSRC2:USER_SGPR: 15
; COMPUTE_PGM_RSRC2:TRAP_HANDLER: 0
; COMPUTE_PGM_RSRC2:TGID_X_EN: 1
; COMPUTE_PGM_RSRC2:TGID_Y_EN: 0
; COMPUTE_PGM_RSRC2:TGID_Z_EN: 0
; COMPUTE_PGM_RSRC2:TIDIG_COMP_CNT: 0
	.section	.text._ZN7rocprim17ROCPRIM_400000_NS6detail17trampoline_kernelINS0_14default_configENS1_29reduce_by_key_config_selectorIjjN6thrust23THRUST_200600_302600_NS4plusIjEEEEZZNS1_33reduce_by_key_impl_wrapped_configILNS1_25lookback_scan_determinismE0ES3_S9_NS6_6detail15normal_iteratorINS6_10device_ptrIjEEEESG_SG_SG_PmS8_NS6_8equal_toIjEEEE10hipError_tPvRmT2_T3_mT4_T5_T6_T7_T8_P12ihipStream_tbENKUlT_T0_E_clISt17integral_constantIbLb1EES10_IbLb0EEEEDaSW_SX_EUlSW_E_NS1_11comp_targetILNS1_3genE10ELNS1_11target_archE1200ELNS1_3gpuE4ELNS1_3repE0EEENS1_30default_config_static_selectorELNS0_4arch9wavefront6targetE0EEEvT1_,"axG",@progbits,_ZN7rocprim17ROCPRIM_400000_NS6detail17trampoline_kernelINS0_14default_configENS1_29reduce_by_key_config_selectorIjjN6thrust23THRUST_200600_302600_NS4plusIjEEEEZZNS1_33reduce_by_key_impl_wrapped_configILNS1_25lookback_scan_determinismE0ES3_S9_NS6_6detail15normal_iteratorINS6_10device_ptrIjEEEESG_SG_SG_PmS8_NS6_8equal_toIjEEEE10hipError_tPvRmT2_T3_mT4_T5_T6_T7_T8_P12ihipStream_tbENKUlT_T0_E_clISt17integral_constantIbLb1EES10_IbLb0EEEEDaSW_SX_EUlSW_E_NS1_11comp_targetILNS1_3genE10ELNS1_11target_archE1200ELNS1_3gpuE4ELNS1_3repE0EEENS1_30default_config_static_selectorELNS0_4arch9wavefront6targetE0EEEvT1_,comdat
	.protected	_ZN7rocprim17ROCPRIM_400000_NS6detail17trampoline_kernelINS0_14default_configENS1_29reduce_by_key_config_selectorIjjN6thrust23THRUST_200600_302600_NS4plusIjEEEEZZNS1_33reduce_by_key_impl_wrapped_configILNS1_25lookback_scan_determinismE0ES3_S9_NS6_6detail15normal_iteratorINS6_10device_ptrIjEEEESG_SG_SG_PmS8_NS6_8equal_toIjEEEE10hipError_tPvRmT2_T3_mT4_T5_T6_T7_T8_P12ihipStream_tbENKUlT_T0_E_clISt17integral_constantIbLb1EES10_IbLb0EEEEDaSW_SX_EUlSW_E_NS1_11comp_targetILNS1_3genE10ELNS1_11target_archE1200ELNS1_3gpuE4ELNS1_3repE0EEENS1_30default_config_static_selectorELNS0_4arch9wavefront6targetE0EEEvT1_ ; -- Begin function _ZN7rocprim17ROCPRIM_400000_NS6detail17trampoline_kernelINS0_14default_configENS1_29reduce_by_key_config_selectorIjjN6thrust23THRUST_200600_302600_NS4plusIjEEEEZZNS1_33reduce_by_key_impl_wrapped_configILNS1_25lookback_scan_determinismE0ES3_S9_NS6_6detail15normal_iteratorINS6_10device_ptrIjEEEESG_SG_SG_PmS8_NS6_8equal_toIjEEEE10hipError_tPvRmT2_T3_mT4_T5_T6_T7_T8_P12ihipStream_tbENKUlT_T0_E_clISt17integral_constantIbLb1EES10_IbLb0EEEEDaSW_SX_EUlSW_E_NS1_11comp_targetILNS1_3genE10ELNS1_11target_archE1200ELNS1_3gpuE4ELNS1_3repE0EEENS1_30default_config_static_selectorELNS0_4arch9wavefront6targetE0EEEvT1_
	.globl	_ZN7rocprim17ROCPRIM_400000_NS6detail17trampoline_kernelINS0_14default_configENS1_29reduce_by_key_config_selectorIjjN6thrust23THRUST_200600_302600_NS4plusIjEEEEZZNS1_33reduce_by_key_impl_wrapped_configILNS1_25lookback_scan_determinismE0ES3_S9_NS6_6detail15normal_iteratorINS6_10device_ptrIjEEEESG_SG_SG_PmS8_NS6_8equal_toIjEEEE10hipError_tPvRmT2_T3_mT4_T5_T6_T7_T8_P12ihipStream_tbENKUlT_T0_E_clISt17integral_constantIbLb1EES10_IbLb0EEEEDaSW_SX_EUlSW_E_NS1_11comp_targetILNS1_3genE10ELNS1_11target_archE1200ELNS1_3gpuE4ELNS1_3repE0EEENS1_30default_config_static_selectorELNS0_4arch9wavefront6targetE0EEEvT1_
	.p2align	8
	.type	_ZN7rocprim17ROCPRIM_400000_NS6detail17trampoline_kernelINS0_14default_configENS1_29reduce_by_key_config_selectorIjjN6thrust23THRUST_200600_302600_NS4plusIjEEEEZZNS1_33reduce_by_key_impl_wrapped_configILNS1_25lookback_scan_determinismE0ES3_S9_NS6_6detail15normal_iteratorINS6_10device_ptrIjEEEESG_SG_SG_PmS8_NS6_8equal_toIjEEEE10hipError_tPvRmT2_T3_mT4_T5_T6_T7_T8_P12ihipStream_tbENKUlT_T0_E_clISt17integral_constantIbLb1EES10_IbLb0EEEEDaSW_SX_EUlSW_E_NS1_11comp_targetILNS1_3genE10ELNS1_11target_archE1200ELNS1_3gpuE4ELNS1_3repE0EEENS1_30default_config_static_selectorELNS0_4arch9wavefront6targetE0EEEvT1_,@function
_ZN7rocprim17ROCPRIM_400000_NS6detail17trampoline_kernelINS0_14default_configENS1_29reduce_by_key_config_selectorIjjN6thrust23THRUST_200600_302600_NS4plusIjEEEEZZNS1_33reduce_by_key_impl_wrapped_configILNS1_25lookback_scan_determinismE0ES3_S9_NS6_6detail15normal_iteratorINS6_10device_ptrIjEEEESG_SG_SG_PmS8_NS6_8equal_toIjEEEE10hipError_tPvRmT2_T3_mT4_T5_T6_T7_T8_P12ihipStream_tbENKUlT_T0_E_clISt17integral_constantIbLb1EES10_IbLb0EEEEDaSW_SX_EUlSW_E_NS1_11comp_targetILNS1_3genE10ELNS1_11target_archE1200ELNS1_3gpuE4ELNS1_3repE0EEENS1_30default_config_static_selectorELNS0_4arch9wavefront6targetE0EEEvT1_: ; @_ZN7rocprim17ROCPRIM_400000_NS6detail17trampoline_kernelINS0_14default_configENS1_29reduce_by_key_config_selectorIjjN6thrust23THRUST_200600_302600_NS4plusIjEEEEZZNS1_33reduce_by_key_impl_wrapped_configILNS1_25lookback_scan_determinismE0ES3_S9_NS6_6detail15normal_iteratorINS6_10device_ptrIjEEEESG_SG_SG_PmS8_NS6_8equal_toIjEEEE10hipError_tPvRmT2_T3_mT4_T5_T6_T7_T8_P12ihipStream_tbENKUlT_T0_E_clISt17integral_constantIbLb1EES10_IbLb0EEEEDaSW_SX_EUlSW_E_NS1_11comp_targetILNS1_3genE10ELNS1_11target_archE1200ELNS1_3gpuE4ELNS1_3repE0EEENS1_30default_config_static_selectorELNS0_4arch9wavefront6targetE0EEEvT1_
; %bb.0:
	.section	.rodata,"a",@progbits
	.p2align	6, 0x0
	.amdhsa_kernel _ZN7rocprim17ROCPRIM_400000_NS6detail17trampoline_kernelINS0_14default_configENS1_29reduce_by_key_config_selectorIjjN6thrust23THRUST_200600_302600_NS4plusIjEEEEZZNS1_33reduce_by_key_impl_wrapped_configILNS1_25lookback_scan_determinismE0ES3_S9_NS6_6detail15normal_iteratorINS6_10device_ptrIjEEEESG_SG_SG_PmS8_NS6_8equal_toIjEEEE10hipError_tPvRmT2_T3_mT4_T5_T6_T7_T8_P12ihipStream_tbENKUlT_T0_E_clISt17integral_constantIbLb1EES10_IbLb0EEEEDaSW_SX_EUlSW_E_NS1_11comp_targetILNS1_3genE10ELNS1_11target_archE1200ELNS1_3gpuE4ELNS1_3repE0EEENS1_30default_config_static_selectorELNS0_4arch9wavefront6targetE0EEEvT1_
		.amdhsa_group_segment_fixed_size 0
		.amdhsa_private_segment_fixed_size 0
		.amdhsa_kernarg_size 120
		.amdhsa_user_sgpr_count 15
		.amdhsa_user_sgpr_dispatch_ptr 0
		.amdhsa_user_sgpr_queue_ptr 0
		.amdhsa_user_sgpr_kernarg_segment_ptr 1
		.amdhsa_user_sgpr_dispatch_id 0
		.amdhsa_user_sgpr_private_segment_size 0
		.amdhsa_wavefront_size32 1
		.amdhsa_uses_dynamic_stack 0
		.amdhsa_enable_private_segment 0
		.amdhsa_system_sgpr_workgroup_id_x 1
		.amdhsa_system_sgpr_workgroup_id_y 0
		.amdhsa_system_sgpr_workgroup_id_z 0
		.amdhsa_system_sgpr_workgroup_info 0
		.amdhsa_system_vgpr_workitem_id 0
		.amdhsa_next_free_vgpr 1
		.amdhsa_next_free_sgpr 1
		.amdhsa_reserve_vcc 0
		.amdhsa_float_round_mode_32 0
		.amdhsa_float_round_mode_16_64 0
		.amdhsa_float_denorm_mode_32 3
		.amdhsa_float_denorm_mode_16_64 3
		.amdhsa_dx10_clamp 1
		.amdhsa_ieee_mode 1
		.amdhsa_fp16_overflow 0
		.amdhsa_workgroup_processor_mode 1
		.amdhsa_memory_ordered 1
		.amdhsa_forward_progress 0
		.amdhsa_shared_vgpr_count 0
		.amdhsa_exception_fp_ieee_invalid_op 0
		.amdhsa_exception_fp_denorm_src 0
		.amdhsa_exception_fp_ieee_div_zero 0
		.amdhsa_exception_fp_ieee_overflow 0
		.amdhsa_exception_fp_ieee_underflow 0
		.amdhsa_exception_fp_ieee_inexact 0
		.amdhsa_exception_int_div_zero 0
	.end_amdhsa_kernel
	.section	.text._ZN7rocprim17ROCPRIM_400000_NS6detail17trampoline_kernelINS0_14default_configENS1_29reduce_by_key_config_selectorIjjN6thrust23THRUST_200600_302600_NS4plusIjEEEEZZNS1_33reduce_by_key_impl_wrapped_configILNS1_25lookback_scan_determinismE0ES3_S9_NS6_6detail15normal_iteratorINS6_10device_ptrIjEEEESG_SG_SG_PmS8_NS6_8equal_toIjEEEE10hipError_tPvRmT2_T3_mT4_T5_T6_T7_T8_P12ihipStream_tbENKUlT_T0_E_clISt17integral_constantIbLb1EES10_IbLb0EEEEDaSW_SX_EUlSW_E_NS1_11comp_targetILNS1_3genE10ELNS1_11target_archE1200ELNS1_3gpuE4ELNS1_3repE0EEENS1_30default_config_static_selectorELNS0_4arch9wavefront6targetE0EEEvT1_,"axG",@progbits,_ZN7rocprim17ROCPRIM_400000_NS6detail17trampoline_kernelINS0_14default_configENS1_29reduce_by_key_config_selectorIjjN6thrust23THRUST_200600_302600_NS4plusIjEEEEZZNS1_33reduce_by_key_impl_wrapped_configILNS1_25lookback_scan_determinismE0ES3_S9_NS6_6detail15normal_iteratorINS6_10device_ptrIjEEEESG_SG_SG_PmS8_NS6_8equal_toIjEEEE10hipError_tPvRmT2_T3_mT4_T5_T6_T7_T8_P12ihipStream_tbENKUlT_T0_E_clISt17integral_constantIbLb1EES10_IbLb0EEEEDaSW_SX_EUlSW_E_NS1_11comp_targetILNS1_3genE10ELNS1_11target_archE1200ELNS1_3gpuE4ELNS1_3repE0EEENS1_30default_config_static_selectorELNS0_4arch9wavefront6targetE0EEEvT1_,comdat
.Lfunc_end341:
	.size	_ZN7rocprim17ROCPRIM_400000_NS6detail17trampoline_kernelINS0_14default_configENS1_29reduce_by_key_config_selectorIjjN6thrust23THRUST_200600_302600_NS4plusIjEEEEZZNS1_33reduce_by_key_impl_wrapped_configILNS1_25lookback_scan_determinismE0ES3_S9_NS6_6detail15normal_iteratorINS6_10device_ptrIjEEEESG_SG_SG_PmS8_NS6_8equal_toIjEEEE10hipError_tPvRmT2_T3_mT4_T5_T6_T7_T8_P12ihipStream_tbENKUlT_T0_E_clISt17integral_constantIbLb1EES10_IbLb0EEEEDaSW_SX_EUlSW_E_NS1_11comp_targetILNS1_3genE10ELNS1_11target_archE1200ELNS1_3gpuE4ELNS1_3repE0EEENS1_30default_config_static_selectorELNS0_4arch9wavefront6targetE0EEEvT1_, .Lfunc_end341-_ZN7rocprim17ROCPRIM_400000_NS6detail17trampoline_kernelINS0_14default_configENS1_29reduce_by_key_config_selectorIjjN6thrust23THRUST_200600_302600_NS4plusIjEEEEZZNS1_33reduce_by_key_impl_wrapped_configILNS1_25lookback_scan_determinismE0ES3_S9_NS6_6detail15normal_iteratorINS6_10device_ptrIjEEEESG_SG_SG_PmS8_NS6_8equal_toIjEEEE10hipError_tPvRmT2_T3_mT4_T5_T6_T7_T8_P12ihipStream_tbENKUlT_T0_E_clISt17integral_constantIbLb1EES10_IbLb0EEEEDaSW_SX_EUlSW_E_NS1_11comp_targetILNS1_3genE10ELNS1_11target_archE1200ELNS1_3gpuE4ELNS1_3repE0EEENS1_30default_config_static_selectorELNS0_4arch9wavefront6targetE0EEEvT1_
                                        ; -- End function
	.section	.AMDGPU.csdata,"",@progbits
; Kernel info:
; codeLenInByte = 0
; NumSgprs: 0
; NumVgprs: 0
; ScratchSize: 0
; MemoryBound: 0
; FloatMode: 240
; IeeeMode: 1
; LDSByteSize: 0 bytes/workgroup (compile time only)
; SGPRBlocks: 0
; VGPRBlocks: 0
; NumSGPRsForWavesPerEU: 1
; NumVGPRsForWavesPerEU: 1
; Occupancy: 16
; WaveLimiterHint : 0
; COMPUTE_PGM_RSRC2:SCRATCH_EN: 0
; COMPUTE_PGM_RSRC2:USER_SGPR: 15
; COMPUTE_PGM_RSRC2:TRAP_HANDLER: 0
; COMPUTE_PGM_RSRC2:TGID_X_EN: 1
; COMPUTE_PGM_RSRC2:TGID_Y_EN: 0
; COMPUTE_PGM_RSRC2:TGID_Z_EN: 0
; COMPUTE_PGM_RSRC2:TIDIG_COMP_CNT: 0
	.section	.text._ZN7rocprim17ROCPRIM_400000_NS6detail17trampoline_kernelINS0_14default_configENS1_29reduce_by_key_config_selectorIjjN6thrust23THRUST_200600_302600_NS4plusIjEEEEZZNS1_33reduce_by_key_impl_wrapped_configILNS1_25lookback_scan_determinismE0ES3_S9_NS6_6detail15normal_iteratorINS6_10device_ptrIjEEEESG_SG_SG_PmS8_NS6_8equal_toIjEEEE10hipError_tPvRmT2_T3_mT4_T5_T6_T7_T8_P12ihipStream_tbENKUlT_T0_E_clISt17integral_constantIbLb1EES10_IbLb0EEEEDaSW_SX_EUlSW_E_NS1_11comp_targetILNS1_3genE9ELNS1_11target_archE1100ELNS1_3gpuE3ELNS1_3repE0EEENS1_30default_config_static_selectorELNS0_4arch9wavefront6targetE0EEEvT1_,"axG",@progbits,_ZN7rocprim17ROCPRIM_400000_NS6detail17trampoline_kernelINS0_14default_configENS1_29reduce_by_key_config_selectorIjjN6thrust23THRUST_200600_302600_NS4plusIjEEEEZZNS1_33reduce_by_key_impl_wrapped_configILNS1_25lookback_scan_determinismE0ES3_S9_NS6_6detail15normal_iteratorINS6_10device_ptrIjEEEESG_SG_SG_PmS8_NS6_8equal_toIjEEEE10hipError_tPvRmT2_T3_mT4_T5_T6_T7_T8_P12ihipStream_tbENKUlT_T0_E_clISt17integral_constantIbLb1EES10_IbLb0EEEEDaSW_SX_EUlSW_E_NS1_11comp_targetILNS1_3genE9ELNS1_11target_archE1100ELNS1_3gpuE3ELNS1_3repE0EEENS1_30default_config_static_selectorELNS0_4arch9wavefront6targetE0EEEvT1_,comdat
	.protected	_ZN7rocprim17ROCPRIM_400000_NS6detail17trampoline_kernelINS0_14default_configENS1_29reduce_by_key_config_selectorIjjN6thrust23THRUST_200600_302600_NS4plusIjEEEEZZNS1_33reduce_by_key_impl_wrapped_configILNS1_25lookback_scan_determinismE0ES3_S9_NS6_6detail15normal_iteratorINS6_10device_ptrIjEEEESG_SG_SG_PmS8_NS6_8equal_toIjEEEE10hipError_tPvRmT2_T3_mT4_T5_T6_T7_T8_P12ihipStream_tbENKUlT_T0_E_clISt17integral_constantIbLb1EES10_IbLb0EEEEDaSW_SX_EUlSW_E_NS1_11comp_targetILNS1_3genE9ELNS1_11target_archE1100ELNS1_3gpuE3ELNS1_3repE0EEENS1_30default_config_static_selectorELNS0_4arch9wavefront6targetE0EEEvT1_ ; -- Begin function _ZN7rocprim17ROCPRIM_400000_NS6detail17trampoline_kernelINS0_14default_configENS1_29reduce_by_key_config_selectorIjjN6thrust23THRUST_200600_302600_NS4plusIjEEEEZZNS1_33reduce_by_key_impl_wrapped_configILNS1_25lookback_scan_determinismE0ES3_S9_NS6_6detail15normal_iteratorINS6_10device_ptrIjEEEESG_SG_SG_PmS8_NS6_8equal_toIjEEEE10hipError_tPvRmT2_T3_mT4_T5_T6_T7_T8_P12ihipStream_tbENKUlT_T0_E_clISt17integral_constantIbLb1EES10_IbLb0EEEEDaSW_SX_EUlSW_E_NS1_11comp_targetILNS1_3genE9ELNS1_11target_archE1100ELNS1_3gpuE3ELNS1_3repE0EEENS1_30default_config_static_selectorELNS0_4arch9wavefront6targetE0EEEvT1_
	.globl	_ZN7rocprim17ROCPRIM_400000_NS6detail17trampoline_kernelINS0_14default_configENS1_29reduce_by_key_config_selectorIjjN6thrust23THRUST_200600_302600_NS4plusIjEEEEZZNS1_33reduce_by_key_impl_wrapped_configILNS1_25lookback_scan_determinismE0ES3_S9_NS6_6detail15normal_iteratorINS6_10device_ptrIjEEEESG_SG_SG_PmS8_NS6_8equal_toIjEEEE10hipError_tPvRmT2_T3_mT4_T5_T6_T7_T8_P12ihipStream_tbENKUlT_T0_E_clISt17integral_constantIbLb1EES10_IbLb0EEEEDaSW_SX_EUlSW_E_NS1_11comp_targetILNS1_3genE9ELNS1_11target_archE1100ELNS1_3gpuE3ELNS1_3repE0EEENS1_30default_config_static_selectorELNS0_4arch9wavefront6targetE0EEEvT1_
	.p2align	8
	.type	_ZN7rocprim17ROCPRIM_400000_NS6detail17trampoline_kernelINS0_14default_configENS1_29reduce_by_key_config_selectorIjjN6thrust23THRUST_200600_302600_NS4plusIjEEEEZZNS1_33reduce_by_key_impl_wrapped_configILNS1_25lookback_scan_determinismE0ES3_S9_NS6_6detail15normal_iteratorINS6_10device_ptrIjEEEESG_SG_SG_PmS8_NS6_8equal_toIjEEEE10hipError_tPvRmT2_T3_mT4_T5_T6_T7_T8_P12ihipStream_tbENKUlT_T0_E_clISt17integral_constantIbLb1EES10_IbLb0EEEEDaSW_SX_EUlSW_E_NS1_11comp_targetILNS1_3genE9ELNS1_11target_archE1100ELNS1_3gpuE3ELNS1_3repE0EEENS1_30default_config_static_selectorELNS0_4arch9wavefront6targetE0EEEvT1_,@function
_ZN7rocprim17ROCPRIM_400000_NS6detail17trampoline_kernelINS0_14default_configENS1_29reduce_by_key_config_selectorIjjN6thrust23THRUST_200600_302600_NS4plusIjEEEEZZNS1_33reduce_by_key_impl_wrapped_configILNS1_25lookback_scan_determinismE0ES3_S9_NS6_6detail15normal_iteratorINS6_10device_ptrIjEEEESG_SG_SG_PmS8_NS6_8equal_toIjEEEE10hipError_tPvRmT2_T3_mT4_T5_T6_T7_T8_P12ihipStream_tbENKUlT_T0_E_clISt17integral_constantIbLb1EES10_IbLb0EEEEDaSW_SX_EUlSW_E_NS1_11comp_targetILNS1_3genE9ELNS1_11target_archE1100ELNS1_3gpuE3ELNS1_3repE0EEENS1_30default_config_static_selectorELNS0_4arch9wavefront6targetE0EEEvT1_: ; @_ZN7rocprim17ROCPRIM_400000_NS6detail17trampoline_kernelINS0_14default_configENS1_29reduce_by_key_config_selectorIjjN6thrust23THRUST_200600_302600_NS4plusIjEEEEZZNS1_33reduce_by_key_impl_wrapped_configILNS1_25lookback_scan_determinismE0ES3_S9_NS6_6detail15normal_iteratorINS6_10device_ptrIjEEEESG_SG_SG_PmS8_NS6_8equal_toIjEEEE10hipError_tPvRmT2_T3_mT4_T5_T6_T7_T8_P12ihipStream_tbENKUlT_T0_E_clISt17integral_constantIbLb1EES10_IbLb0EEEEDaSW_SX_EUlSW_E_NS1_11comp_targetILNS1_3genE9ELNS1_11target_archE1100ELNS1_3gpuE3ELNS1_3repE0EEENS1_30default_config_static_selectorELNS0_4arch9wavefront6targetE0EEEvT1_
; %bb.0:
	s_clause 0x4
	s_load_b256 s[20:27], s[0:1], 0x0
	s_load_b256 s[36:43], s[0:1], 0x38
	s_load_b128 s[28:31], s[0:1], 0x20
	s_load_b64 s[34:35], s[0:1], 0x68
	s_load_b128 s[44:47], s[0:1], 0x58
	s_mov_b32 s3, 0
	s_mul_i32 s2, s15, 0xf00
	s_waitcnt lgkmcnt(0)
	s_lshl_b64 s[0:1], s[22:23], 2
	s_mul_i32 s4, s40, s39
	s_add_u32 s8, s20, s0
	s_mul_hi_u32 s5, s40, s38
	s_addc_u32 s9, s21, s1
	s_add_u32 s10, s24, s0
	s_mul_i32 s6, s41, s38
	s_addc_u32 s11, s25, s1
	s_add_i32 s4, s5, s4
	s_lshl_b64 s[0:1], s[2:3], 2
	s_add_i32 s4, s4, s6
	s_add_u32 s18, s8, s0
	s_addc_u32 s14, s9, s1
	s_mul_i32 s7, s40, s38
	s_add_u32 s20, s10, s0
	s_addc_u32 s21, s11, s1
	s_add_u32 s16, s7, s15
	s_addc_u32 s17, s4, 0
	s_add_u32 s0, s42, -1
	s_addc_u32 s1, s43, -1
	s_mul_i32 s33, s0, 0xfffff100
	s_cmp_eq_u64 s[16:17], s[0:1]
	s_cselect_b32 s23, -1, 0
	s_cmp_lg_u64 s[16:17], s[0:1]
	s_cselect_b32 s19, -1, 0
	s_and_b32 vcc_lo, exec_lo, s23
	s_cbranch_vccnz .LBB342_2
; %bb.1:
	v_lshlrev_b32_e32 v8, 2, v0
	s_delay_alu instid0(VALU_DEP_1) | instskip(NEXT) | instid1(VALU_DEP_1)
	v_add_co_u32 v1, s0, s18, v8
	v_add_co_ci_u32_e64 v2, null, s14, 0, s0
	s_delay_alu instid0(VALU_DEP_2) | instskip(NEXT) | instid1(VALU_DEP_2)
	v_add_co_u32 v3, vcc_lo, 0x1000, v1
	v_add_co_ci_u32_e32 v4, vcc_lo, 0, v2, vcc_lo
	s_clause 0x7
	flat_load_b32 v9, v[1:2]
	flat_load_b32 v10, v[1:2] offset:1024
	flat_load_b32 v11, v[1:2] offset:2048
	;; [unrolled: 1-line block ×3, first 2 shown]
	flat_load_b32 v13, v[3:4]
	flat_load_b32 v14, v[3:4] offset:1024
	flat_load_b32 v15, v[3:4] offset:2048
	;; [unrolled: 1-line block ×3, first 2 shown]
	v_add_co_u32 v3, vcc_lo, 0x2000, v1
	v_add_co_ci_u32_e32 v4, vcc_lo, 0, v2, vcc_lo
	v_add_co_u32 v1, vcc_lo, 0x3000, v1
	v_add_co_ci_u32_e32 v2, vcc_lo, 0, v2, vcc_lo
	s_clause 0x6
	flat_load_b32 v17, v[3:4]
	flat_load_b32 v18, v[3:4] offset:1024
	flat_load_b32 v19, v[3:4] offset:2048
	;; [unrolled: 1-line block ×3, first 2 shown]
	flat_load_b32 v21, v[1:2]
	flat_load_b32 v22, v[1:2] offset:1024
	flat_load_b32 v25, v[1:2] offset:2048
	v_add_co_u32 v2, s0, s20, v8
	s_delay_alu instid0(VALU_DEP_1) | instskip(SKIP_1) | instid1(VALU_DEP_3)
	v_add_co_ci_u32_e64 v3, null, s21, 0, s0
	v_mad_u32_u24 v1, v0, 56, v8
	v_add_co_u32 v4, vcc_lo, 0x1000, v2
	s_delay_alu instid0(VALU_DEP_3)
	v_add_co_ci_u32_e32 v5, vcc_lo, 0, v3, vcc_lo
	v_add_co_u32 v6, vcc_lo, 0x2000, v2
	v_add_co_ci_u32_e32 v7, vcc_lo, 0, v3, vcc_lo
	v_add_co_u32 v23, vcc_lo, 0x3000, v2
	v_add_co_ci_u32_e32 v24, vcc_lo, 0, v3, vcc_lo
	s_waitcnt vmcnt(13) lgkmcnt(13)
	ds_store_2addr_stride64_b32 v8, v9, v10 offset1:4
	s_waitcnt vmcnt(11) lgkmcnt(12)
	ds_store_2addr_stride64_b32 v8, v11, v12 offset0:8 offset1:12
	s_waitcnt vmcnt(9) lgkmcnt(11)
	ds_store_2addr_stride64_b32 v8, v13, v14 offset0:16 offset1:20
	;; [unrolled: 2-line block ×6, first 2 shown]
	s_waitcnt vmcnt(0) lgkmcnt(7)
	ds_store_b32 v8, v25 offset:14336
	s_waitcnt lgkmcnt(0)
	s_barrier
	buffer_gl0_inv
	ds_load_2addr_b32 v[21:22], v1 offset1:1
	ds_load_2addr_b32 v[19:20], v1 offset0:2 offset1:3
	ds_load_2addr_b32 v[17:18], v1 offset0:4 offset1:5
	;; [unrolled: 1-line block ×6, first 2 shown]
	ds_load_b32 v63, v1 offset:56
	s_waitcnt lgkmcnt(0)
	s_barrier
	buffer_gl0_inv
	s_clause 0xe
	flat_load_b32 v25, v[2:3]
	flat_load_b32 v26, v[2:3] offset:1024
	flat_load_b32 v27, v[2:3] offset:2048
	flat_load_b32 v2, v[2:3] offset:3072
	flat_load_b32 v3, v[4:5]
	flat_load_b32 v28, v[4:5] offset:1024
	flat_load_b32 v29, v[4:5] offset:2048
	flat_load_b32 v4, v[4:5] offset:3072
	;; [unrolled: 4-line block ×3, first 2 shown]
	flat_load_b32 v7, v[23:24]
	flat_load_b32 v32, v[23:24] offset:1024
	flat_load_b32 v23, v[23:24] offset:2048
	s_waitcnt vmcnt(13) lgkmcnt(13)
	ds_store_2addr_stride64_b32 v8, v25, v26 offset1:4
	s_waitcnt vmcnt(11) lgkmcnt(12)
	ds_store_2addr_stride64_b32 v8, v27, v2 offset0:8 offset1:12
	s_waitcnt vmcnt(9) lgkmcnt(11)
	ds_store_2addr_stride64_b32 v8, v3, v28 offset0:16 offset1:20
	;; [unrolled: 2-line block ×6, first 2 shown]
	s_waitcnt vmcnt(0) lgkmcnt(7)
	ds_store_b32 v8, v23 offset:14336
	s_waitcnt lgkmcnt(0)
	s_barrier
	s_and_not1_b32 vcc_lo, exec_lo, s3
	s_add_i32 s33, s33, s44
	s_cbranch_vccz .LBB342_3
	s_branch .LBB342_50
.LBB342_2:
                                        ; implicit-def: $vgpr1
                                        ; implicit-def: $vgpr21
                                        ; implicit-def: $vgpr19
                                        ; implicit-def: $vgpr17
                                        ; implicit-def: $vgpr15
                                        ; implicit-def: $vgpr13
                                        ; implicit-def: $vgpr11
                                        ; implicit-def: $vgpr9
                                        ; implicit-def: $vgpr63
	s_add_i32 s33, s33, s44
.LBB342_3:
	s_delay_alu instid0(SALU_CYCLE_1)
	v_cmp_gt_u32_e32 vcc_lo, s33, v0
                                        ; implicit-def: $vgpr1
	s_and_saveexec_b32 s0, vcc_lo
	s_cbranch_execz .LBB342_5
; %bb.4:
	v_lshlrev_b32_e32 v1, 2, v0
	s_delay_alu instid0(VALU_DEP_1) | instskip(NEXT) | instid1(VALU_DEP_1)
	v_add_co_u32 v1, s1, s18, v1
	v_add_co_ci_u32_e64 v2, null, s14, 0, s1
	flat_load_b32 v1, v[1:2]
.LBB342_5:
	s_or_b32 exec_lo, exec_lo, s0
	v_or_b32_e32 v2, 0x100, v0
                                        ; implicit-def: $vgpr9
	s_delay_alu instid0(VALU_DEP_1) | instskip(NEXT) | instid1(VALU_DEP_1)
	v_cmp_gt_u32_e64 s0, s33, v2
	s_and_saveexec_b32 s1, s0
	s_cbranch_execz .LBB342_7
; %bb.6:
	v_lshlrev_b32_e32 v2, 2, v0
	s_delay_alu instid0(VALU_DEP_1) | instskip(NEXT) | instid1(VALU_DEP_1)
	v_add_co_u32 v2, s2, s18, v2
	v_add_co_ci_u32_e64 v3, null, s14, 0, s2
	flat_load_b32 v9, v[2:3] offset:1024
.LBB342_7:
	s_or_b32 exec_lo, exec_lo, s1
	v_or_b32_e32 v2, 0x200, v0
                                        ; implicit-def: $vgpr10
	s_delay_alu instid0(VALU_DEP_1) | instskip(NEXT) | instid1(VALU_DEP_1)
	v_cmp_gt_u32_e64 s1, s33, v2
	s_and_saveexec_b32 s2, s1
	s_cbranch_execz .LBB342_9
; %bb.8:
	v_lshlrev_b32_e32 v2, 2, v0
	s_delay_alu instid0(VALU_DEP_1) | instskip(NEXT) | instid1(VALU_DEP_1)
	v_add_co_u32 v2, s3, s18, v2
	v_add_co_ci_u32_e64 v3, null, s14, 0, s3
	flat_load_b32 v10, v[2:3] offset:2048
.LBB342_9:
	s_or_b32 exec_lo, exec_lo, s2
	v_or_b32_e32 v2, 0x300, v0
                                        ; implicit-def: $vgpr11
	s_delay_alu instid0(VALU_DEP_1) | instskip(NEXT) | instid1(VALU_DEP_1)
	v_cmp_gt_u32_e64 s2, s33, v2
	s_and_saveexec_b32 s3, s2
	s_cbranch_execz .LBB342_11
; %bb.10:
	v_lshlrev_b32_e32 v2, 2, v0
	s_delay_alu instid0(VALU_DEP_1) | instskip(NEXT) | instid1(VALU_DEP_1)
	v_add_co_u32 v2, s4, s18, v2
	v_add_co_ci_u32_e64 v3, null, s14, 0, s4
	flat_load_b32 v11, v[2:3] offset:3072
.LBB342_11:
	s_or_b32 exec_lo, exec_lo, s3
	v_or_b32_e32 v2, 0x400, v0
                                        ; implicit-def: $vgpr12
	s_delay_alu instid0(VALU_DEP_1) | instskip(NEXT) | instid1(VALU_DEP_1)
	v_cmp_gt_u32_e64 s3, s33, v2
	s_and_saveexec_b32 s4, s3
	s_cbranch_execz .LBB342_13
; %bb.12:
	v_lshlrev_b32_e32 v3, 2, v2
	s_delay_alu instid0(VALU_DEP_1) | instskip(NEXT) | instid1(VALU_DEP_1)
	v_add_co_u32 v3, s5, s18, v3
	v_add_co_ci_u32_e64 v4, null, s14, 0, s5
	flat_load_b32 v12, v[3:4]
.LBB342_13:
	s_or_b32 exec_lo, exec_lo, s4
	v_or_b32_e32 v3, 0x500, v0
                                        ; implicit-def: $vgpr13
	s_delay_alu instid0(VALU_DEP_1) | instskip(NEXT) | instid1(VALU_DEP_1)
	v_cmp_gt_u32_e64 s4, s33, v3
	s_and_saveexec_b32 s5, s4
	s_cbranch_execz .LBB342_15
; %bb.14:
	v_lshlrev_b32_e32 v4, 2, v3
	s_delay_alu instid0(VALU_DEP_1) | instskip(NEXT) | instid1(VALU_DEP_1)
	v_add_co_u32 v4, s6, s18, v4
	v_add_co_ci_u32_e64 v5, null, s14, 0, s6
	flat_load_b32 v13, v[4:5]
.LBB342_15:
	s_or_b32 exec_lo, exec_lo, s5
	v_or_b32_e32 v4, 0x600, v0
                                        ; implicit-def: $vgpr14
	s_delay_alu instid0(VALU_DEP_1) | instskip(NEXT) | instid1(VALU_DEP_1)
	v_cmp_gt_u32_e64 s5, s33, v4
	s_and_saveexec_b32 s6, s5
	s_cbranch_execz .LBB342_17
; %bb.16:
	v_lshlrev_b32_e32 v5, 2, v4
	s_delay_alu instid0(VALU_DEP_1) | instskip(NEXT) | instid1(VALU_DEP_1)
	v_add_co_u32 v5, s7, s18, v5
	v_add_co_ci_u32_e64 v6, null, s14, 0, s7
	flat_load_b32 v14, v[5:6]
.LBB342_17:
	s_or_b32 exec_lo, exec_lo, s6
	v_or_b32_e32 v5, 0x700, v0
                                        ; implicit-def: $vgpr15
	s_delay_alu instid0(VALU_DEP_1) | instskip(NEXT) | instid1(VALU_DEP_1)
	v_cmp_gt_u32_e64 s6, s33, v5
	s_and_saveexec_b32 s7, s6
	s_cbranch_execz .LBB342_19
; %bb.18:
	v_lshlrev_b32_e32 v6, 2, v5
	s_delay_alu instid0(VALU_DEP_1) | instskip(NEXT) | instid1(VALU_DEP_1)
	v_add_co_u32 v6, s8, s18, v6
	v_add_co_ci_u32_e64 v7, null, s14, 0, s8
	flat_load_b32 v15, v[6:7]
.LBB342_19:
	s_or_b32 exec_lo, exec_lo, s7
	v_or_b32_e32 v6, 0x800, v0
                                        ; implicit-def: $vgpr16
	s_delay_alu instid0(VALU_DEP_1) | instskip(NEXT) | instid1(VALU_DEP_1)
	v_cmp_gt_u32_e64 s7, s33, v6
	s_and_saveexec_b32 s8, s7
	s_cbranch_execz .LBB342_21
; %bb.20:
	v_lshlrev_b32_e32 v7, 2, v6
	s_delay_alu instid0(VALU_DEP_1) | instskip(NEXT) | instid1(VALU_DEP_1)
	v_add_co_u32 v7, s9, s18, v7
	v_add_co_ci_u32_e64 v8, null, s14, 0, s9
	flat_load_b32 v16, v[7:8]
.LBB342_21:
	s_or_b32 exec_lo, exec_lo, s8
	v_or_b32_e32 v8, 0x900, v0
                                        ; implicit-def: $vgpr17
	s_delay_alu instid0(VALU_DEP_1) | instskip(NEXT) | instid1(VALU_DEP_1)
	v_cmp_gt_u32_e64 s8, s33, v8
	s_and_saveexec_b32 s9, s8
	s_cbranch_execz .LBB342_23
; %bb.22:
	v_lshlrev_b32_e32 v7, 2, v8
	s_delay_alu instid0(VALU_DEP_1) | instskip(NEXT) | instid1(VALU_DEP_1)
	v_add_co_u32 v17, s10, s18, v7
	v_add_co_ci_u32_e64 v18, null, s14, 0, s10
	flat_load_b32 v17, v[17:18]
.LBB342_23:
	s_or_b32 exec_lo, exec_lo, s9
	v_or_b32_e32 v23, 0xa00, v0
                                        ; implicit-def: $vgpr18
	s_delay_alu instid0(VALU_DEP_1) | instskip(NEXT) | instid1(VALU_DEP_1)
	v_cmp_gt_u32_e64 s9, s33, v23
	s_and_saveexec_b32 s10, s9
	s_cbranch_execz .LBB342_25
; %bb.24:
	v_lshlrev_b32_e32 v7, 2, v23
	s_delay_alu instid0(VALU_DEP_1) | instskip(NEXT) | instid1(VALU_DEP_1)
	v_add_co_u32 v18, s11, s18, v7
	v_add_co_ci_u32_e64 v19, null, s14, 0, s11
	flat_load_b32 v18, v[18:19]
.LBB342_25:
	s_or_b32 exec_lo, exec_lo, s10
	v_or_b32_e32 v24, 0xb00, v0
                                        ; implicit-def: $vgpr19
	s_delay_alu instid0(VALU_DEP_1) | instskip(NEXT) | instid1(VALU_DEP_1)
	v_cmp_gt_u32_e64 s10, s33, v24
	s_and_saveexec_b32 s11, s10
	s_cbranch_execz .LBB342_27
; %bb.26:
	v_lshlrev_b32_e32 v7, 2, v24
	s_delay_alu instid0(VALU_DEP_1) | instskip(NEXT) | instid1(VALU_DEP_1)
	v_add_co_u32 v19, s12, s18, v7
	v_add_co_ci_u32_e64 v20, null, s14, 0, s12
	flat_load_b32 v19, v[19:20]
.LBB342_27:
	s_or_b32 exec_lo, exec_lo, s11
	v_or_b32_e32 v25, 0xc00, v0
                                        ; implicit-def: $vgpr20
	s_delay_alu instid0(VALU_DEP_1) | instskip(NEXT) | instid1(VALU_DEP_1)
	v_cmp_gt_u32_e64 s11, s33, v25
	s_and_saveexec_b32 s12, s11
	s_cbranch_execz .LBB342_29
; %bb.28:
	v_lshlrev_b32_e32 v7, 2, v25
	s_delay_alu instid0(VALU_DEP_1) | instskip(NEXT) | instid1(VALU_DEP_1)
	v_add_co_u32 v20, s13, s18, v7
	v_add_co_ci_u32_e64 v21, null, s14, 0, s13
	flat_load_b32 v20, v[20:21]
.LBB342_29:
	s_or_b32 exec_lo, exec_lo, s12
	v_or_b32_e32 v26, 0xd00, v0
                                        ; implicit-def: $vgpr21
	s_delay_alu instid0(VALU_DEP_1) | instskip(NEXT) | instid1(VALU_DEP_1)
	v_cmp_gt_u32_e64 s12, s33, v26
	s_and_saveexec_b32 s13, s12
	s_cbranch_execz .LBB342_31
; %bb.30:
	v_lshlrev_b32_e32 v7, 2, v26
	s_delay_alu instid0(VALU_DEP_1) | instskip(NEXT) | instid1(VALU_DEP_1)
	v_add_co_u32 v21, s22, s18, v7
	v_add_co_ci_u32_e64 v22, null, s14, 0, s22
	flat_load_b32 v21, v[21:22]
.LBB342_31:
	s_or_b32 exec_lo, exec_lo, s13
	v_or_b32_e32 v27, 0xe00, v0
                                        ; implicit-def: $vgpr22
	s_delay_alu instid0(VALU_DEP_1) | instskip(NEXT) | instid1(VALU_DEP_1)
	v_cmp_gt_u32_e64 s13, s33, v27
	s_and_saveexec_b32 s22, s13
	s_cbranch_execz .LBB342_33
; %bb.32:
	v_lshlrev_b32_e32 v7, 2, v27
	s_delay_alu instid0(VALU_DEP_1) | instskip(NEXT) | instid1(VALU_DEP_1)
	v_add_co_u32 v28, s24, s18, v7
	v_add_co_ci_u32_e64 v29, null, s14, 0, s24
	flat_load_b32 v22, v[28:29]
.LBB342_33:
	s_or_b32 exec_lo, exec_lo, s22
	v_lshlrev_b32_e32 v7, 2, v0
                                        ; implicit-def: $vgpr28
	s_waitcnt vmcnt(0) lgkmcnt(0)
	ds_store_2addr_stride64_b32 v7, v1, v9 offset1:4
	ds_store_2addr_stride64_b32 v7, v10, v11 offset0:8 offset1:12
	ds_store_2addr_stride64_b32 v7, v12, v13 offset0:16 offset1:20
	;; [unrolled: 1-line block ×6, first 2 shown]
	v_mad_u32_u24 v1, v0, 56, v7
	ds_store_b32 v7, v22 offset:14336
	s_waitcnt lgkmcnt(0)
	s_barrier
	buffer_gl0_inv
	ds_load_2addr_b32 v[21:22], v1 offset1:1
	ds_load_2addr_b32 v[19:20], v1 offset0:2 offset1:3
	ds_load_2addr_b32 v[17:18], v1 offset0:4 offset1:5
	;; [unrolled: 1-line block ×6, first 2 shown]
	ds_load_b32 v63, v1 offset:56
	s_waitcnt lgkmcnt(0)
	s_barrier
	buffer_gl0_inv
	s_and_saveexec_b32 s22, vcc_lo
	s_cbranch_execnz .LBB342_57
; %bb.34:
	s_or_b32 exec_lo, exec_lo, s22
                                        ; implicit-def: $vgpr29
	s_and_saveexec_b32 s22, s0
	s_cbranch_execnz .LBB342_58
.LBB342_35:
	s_or_b32 exec_lo, exec_lo, s22
                                        ; implicit-def: $vgpr30
	s_and_saveexec_b32 s0, s1
	s_cbranch_execnz .LBB342_59
.LBB342_36:
	s_or_b32 exec_lo, exec_lo, s0
                                        ; implicit-def: $vgpr31
	s_and_saveexec_b32 s0, s2
	s_cbranch_execnz .LBB342_60
.LBB342_37:
	s_or_b32 exec_lo, exec_lo, s0
                                        ; implicit-def: $vgpr32
	s_and_saveexec_b32 s0, s3
	s_cbranch_execnz .LBB342_61
.LBB342_38:
	s_or_b32 exec_lo, exec_lo, s0
                                        ; implicit-def: $vgpr2
	s_and_saveexec_b32 s0, s4
	s_cbranch_execnz .LBB342_62
.LBB342_39:
	s_or_b32 exec_lo, exec_lo, s0
                                        ; implicit-def: $vgpr3
	s_and_saveexec_b32 s0, s5
	s_cbranch_execnz .LBB342_63
.LBB342_40:
	s_or_b32 exec_lo, exec_lo, s0
                                        ; implicit-def: $vgpr4
	s_and_saveexec_b32 s0, s6
	s_cbranch_execnz .LBB342_64
.LBB342_41:
	s_or_b32 exec_lo, exec_lo, s0
                                        ; implicit-def: $vgpr5
	s_and_saveexec_b32 s0, s7
	s_cbranch_execnz .LBB342_65
.LBB342_42:
	s_or_b32 exec_lo, exec_lo, s0
                                        ; implicit-def: $vgpr6
	s_and_saveexec_b32 s0, s8
	s_cbranch_execnz .LBB342_66
.LBB342_43:
	s_or_b32 exec_lo, exec_lo, s0
                                        ; implicit-def: $vgpr8
	s_and_saveexec_b32 s0, s9
	s_cbranch_execnz .LBB342_67
.LBB342_44:
	s_or_b32 exec_lo, exec_lo, s0
                                        ; implicit-def: $vgpr23
	s_and_saveexec_b32 s0, s10
	s_cbranch_execnz .LBB342_68
.LBB342_45:
	s_or_b32 exec_lo, exec_lo, s0
                                        ; implicit-def: $vgpr24
	s_and_saveexec_b32 s0, s11
	s_cbranch_execnz .LBB342_69
.LBB342_46:
	s_or_b32 exec_lo, exec_lo, s0
                                        ; implicit-def: $vgpr25
	s_and_saveexec_b32 s0, s12
	s_cbranch_execnz .LBB342_70
.LBB342_47:
	s_or_b32 exec_lo, exec_lo, s0
                                        ; implicit-def: $vgpr26
	s_and_saveexec_b32 s0, s13
	s_cbranch_execz .LBB342_49
.LBB342_48:
	v_lshlrev_b32_e32 v26, 2, v27
	s_delay_alu instid0(VALU_DEP_1) | instskip(NEXT) | instid1(VALU_DEP_1)
	v_add_co_u32 v26, s1, s20, v26
	v_add_co_ci_u32_e64 v27, null, s21, 0, s1
	flat_load_b32 v26, v[26:27]
.LBB342_49:
	s_or_b32 exec_lo, exec_lo, s0
	s_waitcnt vmcnt(0) lgkmcnt(0)
	ds_store_2addr_stride64_b32 v7, v28, v29 offset1:4
	ds_store_2addr_stride64_b32 v7, v30, v31 offset0:8 offset1:12
	ds_store_2addr_stride64_b32 v7, v32, v2 offset0:16 offset1:20
	;; [unrolled: 1-line block ×6, first 2 shown]
	ds_store_b32 v7, v26 offset:14336
	s_waitcnt lgkmcnt(0)
	s_barrier
.LBB342_50:
	buffer_gl0_inv
	ds_load_2addr_b32 v[35:36], v1 offset1:1
	ds_load_2addr_b32 v[33:34], v1 offset0:2 offset1:3
	ds_load_2addr_b32 v[31:32], v1 offset0:4 offset1:5
	;; [unrolled: 1-line block ×6, first 2 shown]
	ds_load_b32 v79, v1 offset:56
	s_cmp_eq_u64 s[16:17], 0
	s_waitcnt lgkmcnt(0)
	s_cselect_b32 s40, -1, 0
	s_cmp_lg_u64 s[16:17], 0
	s_barrier
	s_cselect_b32 s20, -1, 0
	s_and_b32 vcc_lo, exec_lo, s19
	buffer_gl0_inv
	s_cbranch_vccz .LBB342_56
; %bb.51:
	s_and_b32 vcc_lo, exec_lo, s20
	s_cbranch_vccz .LBB342_71
; %bb.52:
	v_add_co_u32 v1, s0, -4, s18
	s_delay_alu instid0(VALU_DEP_1)
	v_add_co_ci_u32_e64 v2, null, -1, s14, s0
	v_cmp_ne_u32_e32 vcc_lo, v10, v63
	v_cmp_ne_u32_e64 s0, v9, v10
	v_cmp_ne_u32_e64 s1, v12, v9
	flat_load_b32 v1, v[1:2]
	v_lshlrev_b32_e32 v2, 2, v0
	v_cmp_ne_u32_e64 s2, v11, v12
	v_cmp_ne_u32_e64 s3, v14, v11
	;; [unrolled: 1-line block ×11, first 2 shown]
	s_mov_b32 s41, -1
	s_mov_b32 s19, 0
	s_mov_b32 s21, exec_lo
	ds_store_b32 v2, v63
	s_waitcnt vmcnt(0) lgkmcnt(0)
	s_barrier
	buffer_gl0_inv
	v_cmpx_ne_u32_e32 0, v0
	s_cbranch_execz .LBB342_54
; %bb.53:
	v_add_nc_u32_e32 v1, -4, v2
	ds_load_b32 v1, v1
.LBB342_54:
	s_or_b32 exec_lo, exec_lo, s21
	v_cndmask_b32_e64 v71, 0, 1, vcc_lo
	v_cndmask_b32_e64 v64, 0, 1, s0
	v_cndmask_b32_e64 v65, 0, 1, s1
	v_cndmask_b32_e64 v66, 0, 1, s2
	v_cndmask_b32_e64 v67, 0, 1, s3
	v_cndmask_b32_e64 v68, 0, 1, s4
	v_cndmask_b32_e64 v69, 0, 1, s5
	v_cndmask_b32_e64 v70, 0, 1, s6
	v_cndmask_b32_e64 v72, 0, 1, s7
	v_cndmask_b32_e64 v73, 0, 1, s8
	v_cndmask_b32_e64 v74, 0, 1, s9
	v_cndmask_b32_e64 v75, 0, 1, s10
	v_cndmask_b32_e64 v76, 0, 1, s11
	v_cndmask_b32_e64 v77, 0, 1, s12
	s_waitcnt lgkmcnt(0)
	v_cmp_ne_u32_e64 s0, v1, v21
	s_and_b32 vcc_lo, exec_lo, s19
	s_cbranch_vccnz .LBB342_72
.LBB342_55:
                                        ; implicit-def: $sgpr1
	s_branch .LBB342_83
.LBB342_56:
	s_mov_b32 s41, 0
                                        ; implicit-def: $sgpr0
                                        ; implicit-def: $vgpr71
                                        ; implicit-def: $vgpr64
                                        ; implicit-def: $vgpr65
                                        ; implicit-def: $vgpr66
                                        ; implicit-def: $vgpr67
                                        ; implicit-def: $vgpr68
                                        ; implicit-def: $vgpr69
                                        ; implicit-def: $vgpr70
                                        ; implicit-def: $vgpr72
                                        ; implicit-def: $vgpr73
                                        ; implicit-def: $vgpr74
                                        ; implicit-def: $vgpr75
                                        ; implicit-def: $vgpr76
                                        ; implicit-def: $vgpr77
                                        ; implicit-def: $sgpr1
	s_cbranch_execnz .LBB342_75
	s_branch .LBB342_83
.LBB342_57:
	v_add_co_u32 v28, s24, s20, v7
	s_delay_alu instid0(VALU_DEP_1)
	v_add_co_ci_u32_e64 v29, null, s21, 0, s24
	flat_load_b32 v28, v[28:29]
	s_or_b32 exec_lo, exec_lo, s22
                                        ; implicit-def: $vgpr29
	s_and_saveexec_b32 s22, s0
	s_cbranch_execz .LBB342_35
.LBB342_58:
	v_add_co_u32 v29, s0, s20, v7
	s_delay_alu instid0(VALU_DEP_1)
	v_add_co_ci_u32_e64 v30, null, s21, 0, s0
	flat_load_b32 v29, v[29:30] offset:1024
	s_or_b32 exec_lo, exec_lo, s22
                                        ; implicit-def: $vgpr30
	s_and_saveexec_b32 s0, s1
	s_cbranch_execz .LBB342_36
.LBB342_59:
	v_add_co_u32 v30, s1, s20, v7
	s_delay_alu instid0(VALU_DEP_1)
	v_add_co_ci_u32_e64 v31, null, s21, 0, s1
	flat_load_b32 v30, v[30:31] offset:2048
	s_or_b32 exec_lo, exec_lo, s0
                                        ; implicit-def: $vgpr31
	s_and_saveexec_b32 s0, s2
	s_cbranch_execz .LBB342_37
.LBB342_60:
	v_add_co_u32 v31, s1, s20, v7
	s_delay_alu instid0(VALU_DEP_1)
	v_add_co_ci_u32_e64 v32, null, s21, 0, s1
	flat_load_b32 v31, v[31:32] offset:3072
	s_or_b32 exec_lo, exec_lo, s0
                                        ; implicit-def: $vgpr32
	s_and_saveexec_b32 s0, s3
	s_cbranch_execz .LBB342_38
.LBB342_61:
	v_lshlrev_b32_e32 v2, 2, v2
	s_delay_alu instid0(VALU_DEP_1) | instskip(NEXT) | instid1(VALU_DEP_1)
	v_add_co_u32 v32, s1, s20, v2
	v_add_co_ci_u32_e64 v33, null, s21, 0, s1
	flat_load_b32 v32, v[32:33]
	s_or_b32 exec_lo, exec_lo, s0
                                        ; implicit-def: $vgpr2
	s_and_saveexec_b32 s0, s4
	s_cbranch_execz .LBB342_39
.LBB342_62:
	v_lshlrev_b32_e32 v2, 2, v3
	s_delay_alu instid0(VALU_DEP_1) | instskip(NEXT) | instid1(VALU_DEP_1)
	v_add_co_u32 v2, s1, s20, v2
	v_add_co_ci_u32_e64 v3, null, s21, 0, s1
	flat_load_b32 v2, v[2:3]
	s_or_b32 exec_lo, exec_lo, s0
                                        ; implicit-def: $vgpr3
	s_and_saveexec_b32 s0, s5
	s_cbranch_execz .LBB342_40
.LBB342_63:
	v_lshlrev_b32_e32 v3, 2, v4
	s_delay_alu instid0(VALU_DEP_1) | instskip(NEXT) | instid1(VALU_DEP_1)
	v_add_co_u32 v3, s1, s20, v3
	v_add_co_ci_u32_e64 v4, null, s21, 0, s1
	flat_load_b32 v3, v[3:4]
	s_or_b32 exec_lo, exec_lo, s0
                                        ; implicit-def: $vgpr4
	s_and_saveexec_b32 s0, s6
	s_cbranch_execz .LBB342_41
.LBB342_64:
	v_lshlrev_b32_e32 v4, 2, v5
	s_delay_alu instid0(VALU_DEP_1) | instskip(NEXT) | instid1(VALU_DEP_1)
	v_add_co_u32 v4, s1, s20, v4
	v_add_co_ci_u32_e64 v5, null, s21, 0, s1
	flat_load_b32 v4, v[4:5]
	s_or_b32 exec_lo, exec_lo, s0
                                        ; implicit-def: $vgpr5
	s_and_saveexec_b32 s0, s7
	s_cbranch_execz .LBB342_42
.LBB342_65:
	v_lshlrev_b32_e32 v5, 2, v6
	s_delay_alu instid0(VALU_DEP_1) | instskip(NEXT) | instid1(VALU_DEP_1)
	v_add_co_u32 v5, s1, s20, v5
	v_add_co_ci_u32_e64 v6, null, s21, 0, s1
	flat_load_b32 v5, v[5:6]
	s_or_b32 exec_lo, exec_lo, s0
                                        ; implicit-def: $vgpr6
	s_and_saveexec_b32 s0, s8
	s_cbranch_execz .LBB342_43
.LBB342_66:
	v_lshlrev_b32_e32 v6, 2, v8
	s_delay_alu instid0(VALU_DEP_1) | instskip(NEXT) | instid1(VALU_DEP_1)
	v_add_co_u32 v33, s1, s20, v6
	v_add_co_ci_u32_e64 v34, null, s21, 0, s1
	flat_load_b32 v6, v[33:34]
	s_or_b32 exec_lo, exec_lo, s0
                                        ; implicit-def: $vgpr8
	s_and_saveexec_b32 s0, s9
	s_cbranch_execz .LBB342_44
.LBB342_67:
	v_lshlrev_b32_e32 v8, 2, v23
	s_delay_alu instid0(VALU_DEP_1) | instskip(NEXT) | instid1(VALU_DEP_1)
	v_add_co_u32 v33, s1, s20, v8
	v_add_co_ci_u32_e64 v34, null, s21, 0, s1
	flat_load_b32 v8, v[33:34]
	s_or_b32 exec_lo, exec_lo, s0
                                        ; implicit-def: $vgpr23
	s_and_saveexec_b32 s0, s10
	s_cbranch_execz .LBB342_45
.LBB342_68:
	v_lshlrev_b32_e32 v23, 2, v24
	s_delay_alu instid0(VALU_DEP_1) | instskip(NEXT) | instid1(VALU_DEP_1)
	v_add_co_u32 v23, s1, s20, v23
	v_add_co_ci_u32_e64 v24, null, s21, 0, s1
	flat_load_b32 v23, v[23:24]
	s_or_b32 exec_lo, exec_lo, s0
                                        ; implicit-def: $vgpr24
	s_and_saveexec_b32 s0, s11
	s_cbranch_execz .LBB342_46
.LBB342_69:
	v_lshlrev_b32_e32 v24, 2, v25
	s_delay_alu instid0(VALU_DEP_1) | instskip(NEXT) | instid1(VALU_DEP_1)
	v_add_co_u32 v24, s1, s20, v24
	v_add_co_ci_u32_e64 v25, null, s21, 0, s1
	flat_load_b32 v24, v[24:25]
	s_or_b32 exec_lo, exec_lo, s0
                                        ; implicit-def: $vgpr25
	s_and_saveexec_b32 s0, s12
	s_cbranch_execz .LBB342_47
.LBB342_70:
	v_lshlrev_b32_e32 v25, 2, v26
	s_delay_alu instid0(VALU_DEP_1) | instskip(NEXT) | instid1(VALU_DEP_1)
	v_add_co_u32 v25, s1, s20, v25
	v_add_co_ci_u32_e64 v26, null, s21, 0, s1
	flat_load_b32 v25, v[25:26]
	s_or_b32 exec_lo, exec_lo, s0
                                        ; implicit-def: $vgpr26
	s_and_saveexec_b32 s0, s13
	s_cbranch_execnz .LBB342_48
	s_branch .LBB342_49
.LBB342_71:
	s_mov_b32 s41, 0
                                        ; implicit-def: $sgpr0
                                        ; implicit-def: $vgpr71
                                        ; implicit-def: $vgpr64
                                        ; implicit-def: $vgpr65
                                        ; implicit-def: $vgpr66
                                        ; implicit-def: $vgpr67
                                        ; implicit-def: $vgpr68
                                        ; implicit-def: $vgpr69
                                        ; implicit-def: $vgpr70
                                        ; implicit-def: $vgpr72
                                        ; implicit-def: $vgpr73
                                        ; implicit-def: $vgpr74
                                        ; implicit-def: $vgpr75
                                        ; implicit-def: $vgpr76
                                        ; implicit-def: $vgpr77
	s_cbranch_execz .LBB342_55
.LBB342_72:
	v_cmp_ne_u32_e32 vcc_lo, v10, v63
	v_lshlrev_b32_e32 v1, 2, v0
	s_mov_b32 s1, exec_lo
                                        ; implicit-def: $sgpr0
	v_cndmask_b32_e64 v71, 0, 1, vcc_lo
	v_cmp_ne_u32_e32 vcc_lo, v9, v10
	ds_store_b32 v1, v63
	s_waitcnt lgkmcnt(0)
	s_barrier
	buffer_gl0_inv
	v_cndmask_b32_e64 v64, 0, 1, vcc_lo
	v_cmp_ne_u32_e32 vcc_lo, v12, v9
	v_cndmask_b32_e64 v65, 0, 1, vcc_lo
	v_cmp_ne_u32_e32 vcc_lo, v11, v12
	;; [unrolled: 2-line block ×12, first 2 shown]
	v_cndmask_b32_e64 v77, 0, 1, vcc_lo
	v_cmpx_ne_u32_e32 0, v0
	s_xor_b32 s1, exec_lo, s1
	s_cbranch_execz .LBB342_74
; %bb.73:
	v_add_nc_u32_e32 v1, -4, v1
	s_or_b32 s41, s41, exec_lo
	ds_load_b32 v1, v1
	s_waitcnt lgkmcnt(0)
	v_cmp_ne_u32_e32 vcc_lo, v1, v21
	s_and_b32 s0, vcc_lo, exec_lo
.LBB342_74:
	s_or_b32 exec_lo, exec_lo, s1
	s_mov_b32 s1, 1
	s_branch .LBB342_83
.LBB342_75:
	s_mul_hi_u32 s0, s16, 0xfffff100
	s_mul_i32 s1, s17, 0xfffff100
	s_sub_i32 s0, s0, s16
	s_mul_i32 s2, s16, 0xfffff100
	s_add_i32 s0, s0, s1
	s_add_u32 s24, s2, s44
	s_addc_u32 s25, s0, s45
	s_and_b32 vcc_lo, exec_lo, s20
	s_cbranch_vccz .LBB342_80
; %bb.76:
	v_add_co_u32 v1, s0, -4, s18
	s_delay_alu instid0(VALU_DEP_1)
	v_add_co_ci_u32_e64 v2, null, -1, s14, s0
	v_cmp_ne_u32_e64 s6, v10, v63
	v_cmp_ne_u32_e64 s8, v9, v10
	v_lshlrev_b32_e32 v4, 2, v0
	flat_load_b32 v5, v[1:2]
	v_mad_u32_u24 v1, v0, 15, 14
	v_mov_b32_e32 v2, 0
	v_mul_u32_u24_e32 v3, 15, v0
	s_mov_b32 s41, -1
	s_mov_b32 s10, 0
	ds_store_b32 v4, v63
	v_cmp_gt_u64_e32 vcc_lo, s[24:25], v[1:2]
	v_mad_u32_u24 v1, v0, 15, 13
	s_waitcnt vmcnt(0) lgkmcnt(0)
	s_barrier
	buffer_gl0_inv
	v_cmp_gt_u64_e64 s0, s[24:25], v[1:2]
	v_mad_u32_u24 v1, v0, 15, 12
	s_and_b32 s11, vcc_lo, s6
	v_cmp_ne_u32_e64 s6, v11, v12
	s_delay_alu instid0(VALU_DEP_2) | instskip(SKIP_4) | instid1(VALU_DEP_3)
	v_cmp_gt_u64_e64 s1, s[24:25], v[1:2]
	v_mad_u32_u24 v1, v0, 15, 11
	s_and_b32 s12, s0, s8
	v_cmp_ne_u32_e64 s0, v12, v9
	v_cmp_ne_u32_e64 s8, v14, v11
	v_cmp_gt_u64_e64 s2, s[24:25], v[1:2]
	v_mad_u32_u24 v1, v0, 15, 10
	s_delay_alu instid0(VALU_DEP_4) | instskip(SKIP_1) | instid1(VALU_DEP_2)
	s_and_b32 s13, s1, s0
	v_cmp_ne_u32_e64 s0, v13, v14
	v_cmp_gt_u64_e64 s3, s[24:25], v[1:2]
	v_mad_u32_u24 v1, v0, 15, 9
	s_and_b32 s14, s2, s6
	v_cmp_ne_u32_e64 s2, v15, v16
	v_cmp_ne_u32_e64 s6, v21, v22
	s_delay_alu instid0(VALU_DEP_3) | instskip(SKIP_3) | instid1(VALU_DEP_2)
	v_cmp_gt_u64_e64 s4, s[24:25], v[1:2]
	v_mad_u32_u24 v1, v0, 15, 8
	s_and_b32 s8, s3, s8
	v_cmp_ne_u32_e64 s3, v18, v15
	v_cmp_gt_u64_e64 s5, s[24:25], v[1:2]
	v_mad_u32_u24 v1, v0, 15, 7
	s_and_b32 s16, s4, s0
	v_cmp_ne_u32_e64 s0, v16, v13
	s_delay_alu instid0(VALU_DEP_2) | instskip(SKIP_1) | instid1(VALU_DEP_3)
	v_cmp_gt_u64_e64 s7, s[24:25], v[1:2]
	v_mad_u32_u24 v1, v0, 15, 6
	s_and_b32 s17, s5, s0
	v_cmp_ne_u32_e64 s0, v17, v18
	s_delay_alu instid0(VALU_DEP_2) | instskip(SKIP_3) | instid1(VALU_DEP_2)
	v_cmp_gt_u64_e32 vcc_lo, s[24:25], v[1:2]
	v_mad_u32_u24 v1, v0, 15, 5
	s_and_b32 s18, s7, s2
	v_cmp_ne_u32_e64 s2, v19, v20
	v_cmp_gt_u64_e64 s9, s[24:25], v[1:2]
	v_mad_u32_u24 v1, v0, 15, 4
	s_and_b32 s7, vcc_lo, s3
	v_cmp_ne_u32_e64 s3, v22, v19
	s_delay_alu instid0(VALU_DEP_2) | instskip(SKIP_3) | instid1(VALU_DEP_2)
	v_cmp_gt_u64_e64 s1, s[24:25], v[1:2]
	v_mad_u32_u24 v1, v0, 15, 3
	s_and_b32 s9, s9, s0
	v_cmp_ne_u32_e64 s0, v20, v17
	v_cmp_gt_u64_e64 s4, s[24:25], v[1:2]
	v_mad_u32_u24 v1, v0, 15, 2
	s_delay_alu instid0(VALU_DEP_3) | instskip(NEXT) | instid1(VALU_DEP_1)
	s_and_b32 s0, s1, s0
	v_cmp_gt_u64_e32 vcc_lo, s[24:25], v[1:2]
	v_mad_u32_u24 v1, v0, 15, 1
	s_delay_alu instid0(VALU_DEP_4) | instskip(SKIP_1) | instid1(VALU_DEP_1)
	s_and_b32 s2, s4, s2
	s_mov_b32 s4, exec_lo
	v_cmp_gt_u64_e64 s5, s[24:25], v[1:2]
	s_and_b32 s1, vcc_lo, s3
	s_delay_alu instid0(VALU_DEP_1)
	s_and_b32 s3, s5, s6
	v_cmpx_ne_u32_e32 0, v0
	s_cbranch_execz .LBB342_78
; %bb.77:
	v_add_nc_u32_e32 v1, -4, v4
	ds_load_b32 v5, v1
.LBB342_78:
	s_or_b32 exec_lo, exec_lo, s4
	v_mov_b32_e32 v4, v2
	v_cndmask_b32_e64 v74, 0, 1, s0
	s_waitcnt lgkmcnt(0)
	v_cmp_ne_u32_e64 s0, v5, v21
	v_cndmask_b32_e64 v71, 0, 1, s11
	v_cndmask_b32_e64 v64, 0, 1, s12
	v_cmp_gt_u64_e32 vcc_lo, s[24:25], v[3:4]
	v_cndmask_b32_e64 v65, 0, 1, s13
	v_cndmask_b32_e64 v66, 0, 1, s14
	;; [unrolled: 1-line block ×11, first 2 shown]
	s_and_b32 s0, vcc_lo, s0
	s_and_b32 vcc_lo, exec_lo, s10
	s_cbranch_vccnz .LBB342_81
.LBB342_79:
                                        ; implicit-def: $sgpr1
	v_mov_b32_e32 v78, s1
	s_and_saveexec_b32 s1, s41
	s_cbranch_execnz .LBB342_84
	s_branch .LBB342_85
.LBB342_80:
                                        ; implicit-def: $sgpr0
                                        ; implicit-def: $vgpr71
                                        ; implicit-def: $vgpr64
                                        ; implicit-def: $vgpr65
                                        ; implicit-def: $vgpr66
                                        ; implicit-def: $vgpr67
                                        ; implicit-def: $vgpr68
                                        ; implicit-def: $vgpr69
                                        ; implicit-def: $vgpr70
                                        ; implicit-def: $vgpr72
                                        ; implicit-def: $vgpr73
                                        ; implicit-def: $vgpr74
                                        ; implicit-def: $vgpr75
                                        ; implicit-def: $vgpr76
                                        ; implicit-def: $vgpr77
	s_cbranch_execz .LBB342_79
.LBB342_81:
	v_mad_u32_u24 v1, v0, 15, 14
	v_dual_mov_b32 v2, 0 :: v_dual_lshlrev_b32 v3, 2, v0
	v_cmp_ne_u32_e64 s5, v9, v10
	v_cmp_ne_u32_e64 s4, v10, v63
	;; [unrolled: 1-line block ×3, first 2 shown]
	s_delay_alu instid0(VALU_DEP_4)
	v_cmp_gt_u64_e32 vcc_lo, s[24:25], v[1:2]
	v_mad_u32_u24 v1, v0, 15, 13
	v_cmp_ne_u32_e64 s8, v11, v12
	v_cmp_ne_u32_e64 s9, v14, v11
	;; [unrolled: 1-line block ×4, first 2 shown]
	v_cmp_gt_u64_e64 s0, s[24:25], v[1:2]
	v_mad_u32_u24 v1, v0, 15, 12
	s_and_b32 s4, vcc_lo, s4
	v_cmp_ne_u32_e64 s13, v15, v16
	v_cmp_ne_u32_e64 s14, v18, v15
	;; [unrolled: 1-line block ×3, first 2 shown]
	v_cmp_gt_u64_e64 s1, s[24:25], v[1:2]
	v_mad_u32_u24 v1, v0, 15, 11
	s_and_b32 s0, s0, s5
	v_cmp_ne_u32_e64 s17, v20, v17
	v_cndmask_b32_e64 v64, 0, 1, s0
	v_cmp_ne_u32_e64 s19, v19, v20
	v_cmp_gt_u64_e64 s2, s[24:25], v[1:2]
	v_mad_u32_u24 v1, v0, 15, 10
	s_and_b32 s0, s1, s6
	v_cmp_ne_u32_e64 s20, v22, v19
	v_cndmask_b32_e64 v65, 0, 1, s0
	v_cmp_ne_u32_e64 s21, v21, v22
	v_cmp_gt_u64_e64 s3, s[24:25], v[1:2]
	v_mad_u32_u24 v1, v0, 15, 9
	s_and_b32 s0, s2, s8
	v_cndmask_b32_e64 v71, 0, 1, s4
	v_cndmask_b32_e64 v66, 0, 1, s0
	ds_store_b32 v3, v63
	v_cmp_gt_u64_e64 s7, s[24:25], v[1:2]
	v_mad_u32_u24 v1, v0, 15, 8
	s_and_b32 s1, s3, s9
	s_waitcnt lgkmcnt(0)
	v_cndmask_b32_e64 v67, 0, 1, s1
	s_barrier
	v_cmp_gt_u64_e64 s12, s[24:25], v[1:2]
	v_mad_u32_u24 v1, v0, 15, 7
	s_and_b32 s1, s7, s10
	buffer_gl0_inv
	v_cndmask_b32_e64 v68, 0, 1, s1
	v_cmp_gt_u64_e64 s18, s[24:25], v[1:2]
	v_mad_u32_u24 v1, v0, 15, 6
	s_and_b32 s2, s12, s11
	s_delay_alu instid0(SALU_CYCLE_1) | instskip(NEXT) | instid1(VALU_DEP_2)
	v_cndmask_b32_e64 v69, 0, 1, s2
	v_cmp_gt_u64_e64 s22, s[24:25], v[1:2]
	v_mad_u32_u24 v1, v0, 15, 5
	s_and_b32 s2, s18, s13
	s_delay_alu instid0(SALU_CYCLE_1) | instskip(NEXT) | instid1(VALU_DEP_2)
	v_cndmask_b32_e64 v70, 0, 1, s2
	v_cmp_gt_u64_e32 vcc_lo, s[24:25], v[1:2]
	v_mad_u32_u24 v1, v0, 15, 4
	s_and_b32 s3, s22, s14
	s_delay_alu instid0(SALU_CYCLE_1) | instskip(NEXT) | instid1(VALU_DEP_2)
	v_cndmask_b32_e64 v72, 0, 1, s3
	v_cmp_gt_u64_e64 s0, s[24:25], v[1:2]
	v_mad_u32_u24 v1, v0, 15, 3
	s_and_b32 s3, vcc_lo, s16
	s_delay_alu instid0(SALU_CYCLE_1) | instskip(NEXT) | instid1(VALU_DEP_2)
	v_cndmask_b32_e64 v73, 0, 1, s3
	v_cmp_gt_u64_e64 s1, s[24:25], v[1:2]
	v_mad_u32_u24 v1, v0, 15, 2
	s_and_b32 s0, s0, s17
	s_delay_alu instid0(SALU_CYCLE_1) | instskip(NEXT) | instid1(VALU_DEP_2)
	v_cndmask_b32_e64 v74, 0, 1, s0
	v_cmp_gt_u64_e64 s2, s[24:25], v[1:2]
	v_mad_u32_u24 v1, v0, 15, 1
	s_and_b32 s0, s1, s19
	s_mov_b32 s1, 1
	v_cndmask_b32_e64 v75, 0, 1, s0
	s_delay_alu instid0(VALU_DEP_2) | instskip(SKIP_4) | instid1(SALU_CYCLE_1)
	v_cmp_gt_u64_e32 vcc_lo, s[24:25], v[1:2]
	s_and_b32 s0, s2, s20
	s_mov_b32 s2, exec_lo
	v_cndmask_b32_e64 v76, 0, 1, s0
	s_and_b32 s0, vcc_lo, s21
	v_cndmask_b32_e64 v77, 0, 1, s0
                                        ; implicit-def: $sgpr0
	v_cmpx_ne_u32_e32 0, v0
	s_cbranch_execz .LBB342_168
; %bb.82:
	v_add_nc_u32_e32 v1, -4, v3
	s_or_b32 s41, s41, exec_lo
	ds_load_b32 v3, v1
	v_mul_u32_u24_e32 v1, 15, v0
	s_delay_alu instid0(VALU_DEP_1) | instskip(SKIP_2) | instid1(VALU_DEP_1)
	v_cmp_gt_u64_e32 vcc_lo, s[24:25], v[1:2]
	s_waitcnt lgkmcnt(0)
	v_cmp_ne_u32_e64 s0, v3, v21
	s_and_b32 s0, vcc_lo, s0
	s_delay_alu instid0(SALU_CYCLE_1)
	s_and_b32 s0, s0, exec_lo
	s_or_b32 exec_lo, exec_lo, s2
.LBB342_83:
	v_mov_b32_e32 v78, s1
	s_and_saveexec_b32 s1, s41
.LBB342_84:
	v_cndmask_b32_e64 v78, 0, 1, s0
.LBB342_85:
	s_or_b32 exec_lo, exec_lo, s1
	s_delay_alu instid0(VALU_DEP_1)
	v_add3_u32 v1, v77, v78, v76
	v_cmp_eq_u32_e64 s12, 0, v77
	v_cmp_eq_u32_e64 s11, 0, v76
	;; [unrolled: 1-line block ×4, first 2 shown]
	v_add3_u32 v84, v1, v75, v74
	v_cmp_eq_u32_e64 s8, 0, v73
	v_cmp_eq_u32_e64 s7, 0, v72
	;; [unrolled: 1-line block ×9, first 2 shown]
	v_cmp_eq_u32_e32 vcc_lo, 0, v71
	v_mbcnt_lo_u32_b32 v81, -1, 0
	v_lshrrev_b32_e32 v82, 5, v0
	v_or_b32_e32 v83, 31, v0
	s_cmp_eq_u64 s[38:39], 0
	s_cselect_b32 s16, -1, 0
	s_cmp_lg_u32 s15, 0
	s_cbranch_scc0 .LBB342_116
; %bb.86:
	v_cndmask_b32_e64 v1, 0, v35, s12
	v_add3_u32 v2, v84, v73, v72
	s_delay_alu instid0(VALU_DEP_2) | instskip(NEXT) | instid1(VALU_DEP_2)
	v_add_nc_u32_e32 v1, v1, v36
	v_add3_u32 v2, v2, v70, v69
	s_delay_alu instid0(VALU_DEP_2) | instskip(NEXT) | instid1(VALU_DEP_2)
	v_cndmask_b32_e64 v1, 0, v1, s11
	v_add3_u32 v2, v2, v68, v67
	s_delay_alu instid0(VALU_DEP_2) | instskip(NEXT) | instid1(VALU_DEP_2)
	v_add_nc_u32_e32 v1, v1, v33
	v_add3_u32 v2, v2, v66, v65
	s_delay_alu instid0(VALU_DEP_2) | instskip(NEXT) | instid1(VALU_DEP_2)
	v_cndmask_b32_e64 v1, 0, v1, s10
	v_add3_u32 v2, v2, v64, v71
	s_delay_alu instid0(VALU_DEP_2) | instskip(NEXT) | instid1(VALU_DEP_2)
	v_add_nc_u32_e32 v1, v1, v34
	v_mov_b32_dpp v5, v2 row_shr:1 row_mask:0xf bank_mask:0xf
	s_delay_alu instid0(VALU_DEP_2) | instskip(NEXT) | instid1(VALU_DEP_1)
	v_cndmask_b32_e64 v1, 0, v1, s9
	v_add_nc_u32_e32 v1, v1, v31
	s_delay_alu instid0(VALU_DEP_1) | instskip(NEXT) | instid1(VALU_DEP_1)
	v_cndmask_b32_e64 v1, 0, v1, s8
	v_add_nc_u32_e32 v1, v1, v32
	s_delay_alu instid0(VALU_DEP_1) | instskip(NEXT) | instid1(VALU_DEP_1)
	;; [unrolled: 3-line block ×9, first 2 shown]
	v_cndmask_b32_e64 v1, 0, v1, s0
	v_add_nc_u32_e32 v1, v1, v24
	s_delay_alu instid0(VALU_DEP_1) | instskip(SKIP_1) | instid1(VALU_DEP_2)
	v_cndmask_b32_e32 v1, 0, v1, vcc_lo
	v_cmp_eq_u32_e32 vcc_lo, 0, v2
	v_add_nc_u32_e32 v1, v1, v79
	s_delay_alu instid0(VALU_DEP_1) | instskip(NEXT) | instid1(VALU_DEP_1)
	v_mov_b32_dpp v3, v1 row_shr:1 row_mask:0xf bank_mask:0xf
	v_dual_cndmask_b32 v3, 0, v3 :: v_dual_and_b32 v4, 15, v81
	s_delay_alu instid0(VALU_DEP_1) | instskip(SKIP_2) | instid1(VALU_DEP_4)
	v_cmp_eq_u32_e32 vcc_lo, 0, v4
	v_cmp_lt_u32_e64 s13, 1, v4
	v_cndmask_b32_e64 v5, v5, 0, vcc_lo
	v_cndmask_b32_e64 v3, v3, 0, vcc_lo
	s_delay_alu instid0(VALU_DEP_2) | instskip(NEXT) | instid1(VALU_DEP_2)
	v_add_nc_u32_e32 v2, v5, v2
	v_add_nc_u32_e32 v1, v3, v1
	s_delay_alu instid0(VALU_DEP_2) | instskip(SKIP_1) | instid1(VALU_DEP_3)
	v_mov_b32_dpp v3, v2 row_shr:2 row_mask:0xf bank_mask:0xf
	v_cmp_eq_u32_e32 vcc_lo, 0, v2
	v_mov_b32_dpp v5, v1 row_shr:2 row_mask:0xf bank_mask:0xf
	s_delay_alu instid0(VALU_DEP_3) | instskip(SKIP_2) | instid1(VALU_DEP_2)
	v_cndmask_b32_e64 v3, 0, v3, s13
	s_and_b32 vcc_lo, s13, vcc_lo
	v_cmp_lt_u32_e64 s13, 3, v4
	v_dual_cndmask_b32 v5, 0, v5 :: v_dual_add_nc_u32 v2, v2, v3
	s_delay_alu instid0(VALU_DEP_1) | instskip(NEXT) | instid1(VALU_DEP_2)
	v_add_nc_u32_e32 v1, v5, v1
	v_mov_b32_dpp v3, v2 row_shr:4 row_mask:0xf bank_mask:0xf
	v_cmp_eq_u32_e32 vcc_lo, 0, v2
	s_delay_alu instid0(VALU_DEP_3) | instskip(NEXT) | instid1(VALU_DEP_3)
	v_mov_b32_dpp v5, v1 row_shr:4 row_mask:0xf bank_mask:0xf
	v_cndmask_b32_e64 v3, 0, v3, s13
	s_and_b32 vcc_lo, s13, vcc_lo
	v_cmp_lt_u32_e64 s13, 7, v4
	s_delay_alu instid0(VALU_DEP_2) | instskip(NEXT) | instid1(VALU_DEP_1)
	v_dual_cndmask_b32 v5, 0, v5 :: v_dual_add_nc_u32 v2, v3, v2
	v_add_nc_u32_e32 v1, v1, v5
	v_bfe_i32 v5, v81, 4, 1
	s_delay_alu instid0(VALU_DEP_3) | instskip(SKIP_1) | instid1(VALU_DEP_4)
	v_cmp_eq_u32_e32 vcc_lo, 0, v2
	v_mov_b32_dpp v3, v2 row_shr:8 row_mask:0xf bank_mask:0xf
	v_mov_b32_dpp v4, v1 row_shr:8 row_mask:0xf bank_mask:0xf
	s_and_b32 vcc_lo, s13, vcc_lo
	s_delay_alu instid0(VALU_DEP_2) | instskip(SKIP_1) | instid1(VALU_DEP_2)
	v_cndmask_b32_e64 v3, 0, v3, s13
	s_mov_b32 s13, exec_lo
	v_cndmask_b32_e32 v4, 0, v4, vcc_lo
	s_delay_alu instid0(VALU_DEP_1) | instskip(NEXT) | instid1(VALU_DEP_3)
	v_add_nc_u32_e32 v4, v4, v1
	v_add_nc_u32_e32 v1, v3, v2
	ds_swizzle_b32 v2, v4 offset:swizzle(BROADCAST,32,15)
	ds_swizzle_b32 v3, v1 offset:swizzle(BROADCAST,32,15)
	v_cmp_eq_u32_e32 vcc_lo, 0, v1
	s_waitcnt lgkmcnt(0)
	v_dual_cndmask_b32 v2, 0, v2 :: v_dual_and_b32 v3, v5, v3
	s_delay_alu instid0(VALU_DEP_1) | instskip(NEXT) | instid1(VALU_DEP_2)
	v_and_b32_e32 v2, v5, v2
	v_add_nc_u32_e32 v1, v3, v1
	v_lshlrev_b32_e32 v3, 3, v82
	s_delay_alu instid0(VALU_DEP_3)
	v_add_nc_u32_e32 v2, v2, v4
	v_cmpx_eq_u32_e64 v83, v0
	s_cbranch_execz .LBB342_88
; %bb.87:
	ds_store_b64 v3, v[1:2] offset:2064
.LBB342_88:
	s_or_b32 exec_lo, exec_lo, s13
	s_delay_alu instid0(SALU_CYCLE_1)
	s_mov_b32 s14, exec_lo
	s_waitcnt lgkmcnt(0)
	s_barrier
	buffer_gl0_inv
	v_cmpx_gt_u32_e32 8, v0
	s_cbranch_execz .LBB342_90
; %bb.89:
	v_lshlrev_b32_e32 v6, 3, v0
	v_and_b32_e32 v8, 7, v81
	ds_load_b64 v[4:5], v6 offset:2064
	v_cmp_lt_u32_e64 s13, 1, v8
	s_waitcnt lgkmcnt(0)
	v_mov_b32_dpp v7, v5 row_shr:1 row_mask:0xf bank_mask:0xf
	v_cmp_eq_u32_e32 vcc_lo, 0, v4
	v_mov_b32_dpp v37, v4 row_shr:1 row_mask:0xf bank_mask:0xf
	s_delay_alu instid0(VALU_DEP_3) | instskip(SKIP_1) | instid1(VALU_DEP_3)
	v_cndmask_b32_e32 v7, 0, v7, vcc_lo
	v_cmp_eq_u32_e32 vcc_lo, 0, v8
	v_cndmask_b32_e64 v37, v37, 0, vcc_lo
	s_delay_alu instid0(VALU_DEP_3) | instskip(NEXT) | instid1(VALU_DEP_2)
	v_cndmask_b32_e64 v7, v7, 0, vcc_lo
	v_add_nc_u32_e32 v4, v37, v4
	s_delay_alu instid0(VALU_DEP_2) | instskip(NEXT) | instid1(VALU_DEP_2)
	v_add_nc_u32_e32 v5, v7, v5
	v_cmp_eq_u32_e32 vcc_lo, 0, v4
	s_delay_alu instid0(VALU_DEP_2) | instskip(SKIP_1) | instid1(VALU_DEP_1)
	v_mov_b32_dpp v37, v5 row_shr:2 row_mask:0xf bank_mask:0xf
	s_and_b32 vcc_lo, s13, vcc_lo
	v_cndmask_b32_e32 v37, 0, v37, vcc_lo
	v_mov_b32_dpp v7, v4 row_shr:2 row_mask:0xf bank_mask:0xf
	s_delay_alu instid0(VALU_DEP_2) | instskip(NEXT) | instid1(VALU_DEP_2)
	v_add_nc_u32_e32 v5, v37, v5
	v_cndmask_b32_e64 v7, 0, v7, s13
	v_cmp_lt_u32_e64 s13, 3, v8
	s_delay_alu instid0(VALU_DEP_3) | instskip(NEXT) | instid1(VALU_DEP_3)
	v_mov_b32_dpp v8, v5 row_shr:4 row_mask:0xf bank_mask:0xf
	v_add_nc_u32_e32 v4, v7, v4
	s_delay_alu instid0(VALU_DEP_1) | instskip(SKIP_2) | instid1(VALU_DEP_1)
	v_cmp_eq_u32_e32 vcc_lo, 0, v4
	v_mov_b32_dpp v7, v4 row_shr:4 row_mask:0xf bank_mask:0xf
	s_and_b32 vcc_lo, s13, vcc_lo
	v_cndmask_b32_e64 v7, 0, v7, s13
	v_cndmask_b32_e32 v8, 0, v8, vcc_lo
	s_delay_alu instid0(VALU_DEP_2) | instskip(NEXT) | instid1(VALU_DEP_2)
	v_add_nc_u32_e32 v4, v7, v4
	v_add_nc_u32_e32 v5, v8, v5
	ds_store_b64 v6, v[4:5] offset:2064
.LBB342_90:
	s_or_b32 exec_lo, exec_lo, s14
	v_cmp_gt_u32_e32 vcc_lo, 32, v0
	v_dual_mov_b32 v37, 0 :: v_dual_mov_b32 v38, 0
	s_mov_b32 s14, exec_lo
	s_waitcnt lgkmcnt(0)
	s_barrier
	buffer_gl0_inv
	v_cmpx_lt_u32_e32 31, v0
	s_cbranch_execz .LBB342_92
; %bb.91:
	ds_load_b64 v[37:38], v3 offset:2056
	v_cmp_eq_u32_e64 s13, 0, v1
	s_waitcnt lgkmcnt(0)
	s_delay_alu instid0(VALU_DEP_1) | instskip(SKIP_1) | instid1(VALU_DEP_2)
	v_cndmask_b32_e64 v3, 0, v38, s13
	v_add_nc_u32_e32 v1, v37, v1
	v_add_nc_u32_e32 v2, v3, v2
.LBB342_92:
	s_or_b32 exec_lo, exec_lo, s14
	v_add_nc_u32_e32 v3, -1, v81
	s_delay_alu instid0(VALU_DEP_1) | instskip(NEXT) | instid1(VALU_DEP_1)
	v_cmp_gt_i32_e64 s13, 0, v3
	v_cndmask_b32_e64 v3, v3, v81, s13
	v_cmp_eq_u32_e64 s13, 0, v81
	s_delay_alu instid0(VALU_DEP_2)
	v_lshlrev_b32_e32 v3, 2, v3
	ds_bpermute_b32 v43, v3, v1
	ds_bpermute_b32 v44, v3, v2
	s_and_saveexec_b32 s17, vcc_lo
	s_cbranch_execz .LBB342_115
; %bb.93:
	v_mov_b32_e32 v4, 0
	ds_load_b64 v[1:2], v4 offset:2120
	s_waitcnt lgkmcnt(0)
	v_readfirstlane_b32 s18, v2
	s_and_saveexec_b32 s14, s13
	s_cbranch_execz .LBB342_95
; %bb.94:
	s_add_i32 s20, s15, 32
	s_mov_b32 s21, 0
	v_mov_b32_e32 v3, 1
	s_lshl_b64 s[24:25], s[20:21], 4
	s_mov_b32 s38, s21
	s_add_u32 s24, s36, s24
	s_addc_u32 s25, s37, s25
	s_and_b32 s39, s18, 0xff000000
	s_and_b32 s43, s18, 0xff0000
	s_mov_b32 s42, s21
	v_dual_mov_b32 v5, s24 :: v_dual_mov_b32 v6, s25
	s_or_b64 s[38:39], s[42:43], s[38:39]
	s_and_b32 s43, s18, 0xff00
	s_delay_alu instid0(SALU_CYCLE_1) | instskip(SKIP_1) | instid1(SALU_CYCLE_1)
	s_or_b64 s[38:39], s[38:39], s[42:43]
	s_and_b32 s43, s18, 0xff
	s_or_b64 s[20:21], s[38:39], s[42:43]
	s_delay_alu instid0(SALU_CYCLE_1)
	v_mov_b32_e32 v2, s21
	;;#ASMSTART
	global_store_dwordx4 v[5:6], v[1:4] off	
s_waitcnt vmcnt(0)
	;;#ASMEND
.LBB342_95:
	s_or_b32 exec_lo, exec_lo, s14
	v_xad_u32 v39, v81, -1, s15
	s_mov_b32 s19, 0
	s_mov_b32 s14, exec_lo
	s_delay_alu instid0(VALU_DEP_1) | instskip(NEXT) | instid1(VALU_DEP_1)
	v_add_nc_u32_e32 v3, 32, v39
	v_lshlrev_b64 v[2:3], 4, v[3:4]
	s_delay_alu instid0(VALU_DEP_1) | instskip(NEXT) | instid1(VALU_DEP_2)
	v_add_co_u32 v2, vcc_lo, s36, v2
	v_add_co_ci_u32_e32 v3, vcc_lo, s37, v3, vcc_lo
	;;#ASMSTART
	global_load_dwordx4 v[5:8], v[2:3] off glc	
s_waitcnt vmcnt(0)
	;;#ASMEND
	v_and_b32_e32 v4, 0xff, v6
	v_and_b32_e32 v8, 0xff00, v6
	;; [unrolled: 1-line block ×3, first 2 shown]
	v_or3_b32 v5, v5, 0, 0
	v_and_b32_e32 v6, 0xff000000, v6
	s_delay_alu instid0(VALU_DEP_4) | instskip(SKIP_1) | instid1(VALU_DEP_4)
	v_or3_b32 v4, 0, v4, v8
	v_and_b32_e32 v8, 0xff, v7
	v_or3_b32 v5, v5, 0, 0
	s_delay_alu instid0(VALU_DEP_3) | instskip(NEXT) | instid1(VALU_DEP_3)
	v_or3_b32 v6, v4, v40, v6
	v_cmpx_eq_u16_e32 0, v8
	s_cbranch_execz .LBB342_101
; %bb.96:
	s_mov_b32 s20, 1
	.p2align	6
.LBB342_97:                             ; =>This Loop Header: Depth=1
                                        ;     Child Loop BB342_98 Depth 2
	s_delay_alu instid0(SALU_CYCLE_1)
	s_max_u32 s21, s20, 1
.LBB342_98:                             ;   Parent Loop BB342_97 Depth=1
                                        ; =>  This Inner Loop Header: Depth=2
	s_delay_alu instid0(SALU_CYCLE_1)
	s_add_i32 s21, s21, -1
	s_sleep 1
	s_cmp_eq_u32 s21, 0
	s_cbranch_scc0 .LBB342_98
; %bb.99:                               ;   in Loop: Header=BB342_97 Depth=1
	;;#ASMSTART
	global_load_dwordx4 v[5:8], v[2:3] off glc	
s_waitcnt vmcnt(0)
	;;#ASMEND
	v_and_b32_e32 v4, 0xff, v7
	s_cmp_lt_u32 s20, 32
	s_cselect_b32 s21, -1, 0
	s_delay_alu instid0(VALU_DEP_1) | instskip(SKIP_3) | instid1(SALU_CYCLE_1)
	v_cmp_ne_u16_e32 vcc_lo, 0, v4
	s_cmp_lg_u32 s21, 0
	s_addc_u32 s20, s20, 0
	s_or_b32 s19, vcc_lo, s19
	s_and_not1_b32 exec_lo, exec_lo, s19
	s_cbranch_execnz .LBB342_97
; %bb.100:
	s_or_b32 exec_lo, exec_lo, s19
.LBB342_101:
	s_delay_alu instid0(SALU_CYCLE_1)
	s_or_b32 exec_lo, exec_lo, s14
	v_cmp_ne_u32_e32 vcc_lo, 31, v81
	v_and_b32_e32 v3, 0xff, v7
	v_lshlrev_b32_e64 v45, v81, -1
	v_add_nc_u32_e32 v47, 2, v81
	v_add_nc_u32_e32 v49, 4, v81
	v_add_co_ci_u32_e32 v2, vcc_lo, 0, v81, vcc_lo
	v_cmp_eq_u16_e32 vcc_lo, 2, v3
	v_add_nc_u32_e32 v51, 8, v81
	v_add_nc_u32_e32 v53, 16, v81
	v_and_or_b32 v8, vcc_lo, v45, 0x80000000
	v_cmp_gt_u32_e32 vcc_lo, 30, v81
	s_delay_alu instid0(VALU_DEP_2) | instskip(SKIP_2) | instid1(VALU_DEP_3)
	v_ctz_i32_b32_e32 v8, v8
	v_cndmask_b32_e64 v40, 0, 1, vcc_lo
	v_cmp_eq_u32_e32 vcc_lo, 0, v5
	v_cmp_lt_u32_e64 s14, v81, v8
	s_delay_alu instid0(VALU_DEP_3) | instskip(NEXT) | instid1(VALU_DEP_2)
	v_lshlrev_b32_e32 v40, 1, v40
	s_and_b32 vcc_lo, s14, vcc_lo
	v_lshlrev_b32_e32 v2, 2, v2
	s_delay_alu instid0(VALU_DEP_2)
	v_add_lshl_u32 v46, v40, v81, 2
	ds_bpermute_b32 v3, v2, v6
	s_waitcnt lgkmcnt(0)
	v_cndmask_b32_e32 v3, 0, v3, vcc_lo
	ds_bpermute_b32 v4, v2, v5
	v_cmp_gt_u32_e32 vcc_lo, 28, v81
	v_add_nc_u32_e32 v3, v3, v6
	ds_bpermute_b32 v6, v46, v3
	s_waitcnt lgkmcnt(1)
	v_cndmask_b32_e64 v4, 0, v4, s14
	s_delay_alu instid0(VALU_DEP_1) | instskip(SKIP_1) | instid1(VALU_DEP_2)
	v_add_nc_u32_e32 v4, v4, v5
	v_cndmask_b32_e64 v5, 0, 1, vcc_lo
	v_cmp_eq_u32_e32 vcc_lo, 0, v4
	ds_bpermute_b32 v40, v46, v4
	s_waitcnt lgkmcnt(1)
	v_dual_cndmask_b32 v6, 0, v6 :: v_dual_lshlrev_b32 v5, 2, v5
	v_cmp_gt_u32_e32 vcc_lo, v47, v8
	s_delay_alu instid0(VALU_DEP_2) | instskip(NEXT) | instid1(VALU_DEP_3)
	v_add_lshl_u32 v48, v5, v81, 2
	v_cndmask_b32_e64 v6, v6, 0, vcc_lo
	s_delay_alu instid0(VALU_DEP_1) | instskip(SKIP_4) | instid1(VALU_DEP_2)
	v_add_nc_u32_e32 v3, v6, v3
	ds_bpermute_b32 v5, v48, v3
	s_waitcnt lgkmcnt(1)
	v_cndmask_b32_e64 v6, v40, 0, vcc_lo
	v_cmp_gt_u32_e32 vcc_lo, 24, v81
	v_add_nc_u32_e32 v4, v4, v6
	v_cndmask_b32_e64 v40, 0, 1, vcc_lo
	ds_bpermute_b32 v6, v48, v4
	v_cmp_eq_u32_e32 vcc_lo, 0, v4
	v_lshlrev_b32_e32 v40, 3, v40
	s_delay_alu instid0(VALU_DEP_1) | instskip(SKIP_3) | instid1(VALU_DEP_2)
	v_add_lshl_u32 v50, v40, v81, 2
	s_waitcnt lgkmcnt(1)
	v_cndmask_b32_e32 v5, 0, v5, vcc_lo
	v_cmp_gt_u32_e32 vcc_lo, v49, v8
	v_cndmask_b32_e64 v5, v5, 0, vcc_lo
	s_delay_alu instid0(VALU_DEP_1)
	v_add_nc_u32_e32 v3, v3, v5
	s_waitcnt lgkmcnt(0)
	v_cndmask_b32_e64 v6, v6, 0, vcc_lo
	v_cmp_gt_u32_e32 vcc_lo, 16, v81
	ds_bpermute_b32 v5, v50, v3
	v_add_nc_u32_e32 v4, v4, v6
	v_cndmask_b32_e64 v40, 0, 1, vcc_lo
	ds_bpermute_b32 v6, v50, v4
	v_cmp_eq_u32_e32 vcc_lo, 0, v4
	v_lshlrev_b32_e32 v40, 4, v40
	s_delay_alu instid0(VALU_DEP_1) | instskip(SKIP_3) | instid1(VALU_DEP_2)
	v_add_lshl_u32 v52, v40, v81, 2
	s_waitcnt lgkmcnt(1)
	v_dual_mov_b32 v40, 0 :: v_dual_cndmask_b32 v5, 0, v5
	v_cmp_gt_u32_e32 vcc_lo, v51, v8
	v_cndmask_b32_e64 v5, v5, 0, vcc_lo
	s_delay_alu instid0(VALU_DEP_1)
	v_add_nc_u32_e32 v3, v3, v5
	s_waitcnt lgkmcnt(0)
	v_cndmask_b32_e64 v5, v6, 0, vcc_lo
	ds_bpermute_b32 v6, v52, v3
	v_add_nc_u32_e32 v4, v4, v5
	ds_bpermute_b32 v5, v52, v4
	v_cmp_eq_u32_e32 vcc_lo, 0, v4
	s_waitcnt lgkmcnt(1)
	v_cndmask_b32_e32 v6, 0, v6, vcc_lo
	v_cmp_gt_u32_e32 vcc_lo, v53, v8
	s_delay_alu instid0(VALU_DEP_2) | instskip(SKIP_2) | instid1(VALU_DEP_2)
	v_cndmask_b32_e64 v6, v6, 0, vcc_lo
	s_waitcnt lgkmcnt(0)
	v_cndmask_b32_e64 v5, v5, 0, vcc_lo
	v_add_nc_u32_e32 v6, v6, v3
	s_delay_alu instid0(VALU_DEP_2)
	v_add_nc_u32_e32 v5, v5, v4
	s_branch .LBB342_103
.LBB342_102:                            ;   in Loop: Header=BB342_103 Depth=1
	s_or_b32 exec_lo, exec_lo, s14
	v_and_b32_e32 v8, 0xff, v7
	ds_bpermute_b32 v41, v2, v5
	v_subrev_nc_u32_e32 v39, 32, v39
	v_cmp_eq_u16_e32 vcc_lo, 2, v8
	ds_bpermute_b32 v8, v2, v6
	v_and_or_b32 v42, vcc_lo, v45, 0x80000000
	v_cmp_eq_u32_e32 vcc_lo, 0, v5
	s_delay_alu instid0(VALU_DEP_2) | instskip(NEXT) | instid1(VALU_DEP_1)
	v_ctz_i32_b32_e32 v42, v42
	v_cmp_lt_u32_e64 s14, v81, v42
	s_delay_alu instid0(VALU_DEP_1) | instskip(SKIP_4) | instid1(VALU_DEP_2)
	s_and_b32 vcc_lo, s14, vcc_lo
	s_waitcnt lgkmcnt(1)
	v_cndmask_b32_e64 v41, 0, v41, s14
	s_waitcnt lgkmcnt(0)
	v_cndmask_b32_e32 v8, 0, v8, vcc_lo
	v_add_nc_u32_e32 v5, v41, v5
	s_delay_alu instid0(VALU_DEP_2)
	v_add_nc_u32_e32 v6, v8, v6
	ds_bpermute_b32 v41, v46, v5
	ds_bpermute_b32 v8, v46, v6
	v_cmp_eq_u32_e32 vcc_lo, 0, v5
	s_waitcnt lgkmcnt(0)
	v_cndmask_b32_e32 v8, 0, v8, vcc_lo
	v_cmp_gt_u32_e32 vcc_lo, v47, v42
	v_cndmask_b32_e64 v41, v41, 0, vcc_lo
	s_delay_alu instid0(VALU_DEP_1) | instskip(NEXT) | instid1(VALU_DEP_4)
	v_add_nc_u32_e32 v5, v5, v41
	v_cndmask_b32_e64 v8, v8, 0, vcc_lo
	ds_bpermute_b32 v41, v48, v5
	v_add_nc_u32_e32 v6, v8, v6
	v_cmp_eq_u32_e32 vcc_lo, 0, v5
	ds_bpermute_b32 v8, v48, v6
	s_waitcnt lgkmcnt(0)
	v_cndmask_b32_e32 v8, 0, v8, vcc_lo
	v_cmp_gt_u32_e32 vcc_lo, v49, v42
	v_cndmask_b32_e64 v41, v41, 0, vcc_lo
	s_delay_alu instid0(VALU_DEP_1) | instskip(NEXT) | instid1(VALU_DEP_4)
	v_add_nc_u32_e32 v5, v5, v41
	v_cndmask_b32_e64 v8, v8, 0, vcc_lo
	ds_bpermute_b32 v41, v50, v5
	v_add_nc_u32_e32 v6, v6, v8
	v_cmp_eq_u32_e32 vcc_lo, 0, v5
	ds_bpermute_b32 v8, v50, v6
	s_waitcnt lgkmcnt(0)
	v_cndmask_b32_e32 v8, 0, v8, vcc_lo
	v_cmp_gt_u32_e32 vcc_lo, v51, v42
	v_cndmask_b32_e64 v41, v41, 0, vcc_lo
	s_delay_alu instid0(VALU_DEP_1) | instskip(NEXT) | instid1(VALU_DEP_4)
	v_add_nc_u32_e32 v5, v5, v41
	v_cndmask_b32_e64 v8, v8, 0, vcc_lo
	ds_bpermute_b32 v41, v52, v5
	v_add_nc_u32_e32 v6, v6, v8
	v_cmp_eq_u32_e32 vcc_lo, 0, v5
	ds_bpermute_b32 v8, v52, v6
	s_waitcnt lgkmcnt(0)
	v_cndmask_b32_e32 v8, 0, v8, vcc_lo
	v_cmp_gt_u32_e32 vcc_lo, v53, v42
	s_delay_alu instid0(VALU_DEP_2) | instskip(NEXT) | instid1(VALU_DEP_1)
	v_cndmask_b32_e64 v8, v8, 0, vcc_lo
	v_add_nc_u32_e32 v6, v8, v6
	v_cndmask_b32_e64 v8, v41, 0, vcc_lo
	v_cmp_eq_u32_e32 vcc_lo, 0, v3
	s_delay_alu instid0(VALU_DEP_2) | instskip(NEXT) | instid1(VALU_DEP_4)
	v_add3_u32 v5, v5, v3, v8
	v_cndmask_b32_e32 v6, 0, v6, vcc_lo
	s_delay_alu instid0(VALU_DEP_1)
	v_add_nc_u32_e32 v6, v6, v4
.LBB342_103:                            ; =>This Loop Header: Depth=1
                                        ;     Child Loop BB342_106 Depth 2
                                        ;       Child Loop BB342_107 Depth 3
	s_delay_alu instid0(VALU_DEP_1) | instskip(NEXT) | instid1(VALU_DEP_1)
	v_dual_mov_b32 v4, v6 :: v_dual_and_b32 v3, 0xff, v7
	v_cmp_ne_u16_e32 vcc_lo, 2, v3
	v_cndmask_b32_e64 v3, 0, 1, vcc_lo
	;;#ASMSTART
	;;#ASMEND
	s_delay_alu instid0(VALU_DEP_1)
	v_cmp_ne_u32_e32 vcc_lo, 0, v3
	v_mov_b32_e32 v3, v5
	s_cmp_lg_u32 vcc_lo, exec_lo
	s_cbranch_scc1 .LBB342_110
; %bb.104:                              ;   in Loop: Header=BB342_103 Depth=1
	v_lshlrev_b64 v[5:6], 4, v[39:40]
	s_mov_b32 s14, exec_lo
	s_delay_alu instid0(VALU_DEP_1) | instskip(NEXT) | instid1(VALU_DEP_2)
	v_add_co_u32 v41, vcc_lo, s36, v5
	v_add_co_ci_u32_e32 v42, vcc_lo, s37, v6, vcc_lo
	;;#ASMSTART
	global_load_dwordx4 v[5:8], v[41:42] off glc	
s_waitcnt vmcnt(0)
	;;#ASMEND
	v_and_b32_e32 v8, 0xff, v6
	v_and_b32_e32 v54, 0xff00, v6
	;; [unrolled: 1-line block ×3, first 2 shown]
	v_or3_b32 v5, v5, 0, 0
	v_and_b32_e32 v6, 0xff000000, v6
	s_delay_alu instid0(VALU_DEP_4) | instskip(SKIP_1) | instid1(VALU_DEP_4)
	v_or3_b32 v8, 0, v8, v54
	v_and_b32_e32 v54, 0xff, v7
	v_or3_b32 v5, v5, 0, 0
	s_delay_alu instid0(VALU_DEP_3) | instskip(NEXT) | instid1(VALU_DEP_3)
	v_or3_b32 v6, v8, v55, v6
	v_cmpx_eq_u16_e32 0, v54
	s_cbranch_execz .LBB342_102
; %bb.105:                              ;   in Loop: Header=BB342_103 Depth=1
	s_mov_b32 s20, 1
	s_mov_b32 s19, 0
	.p2align	6
.LBB342_106:                            ;   Parent Loop BB342_103 Depth=1
                                        ; =>  This Loop Header: Depth=2
                                        ;       Child Loop BB342_107 Depth 3
	s_max_u32 s21, s20, 1
.LBB342_107:                            ;   Parent Loop BB342_103 Depth=1
                                        ;     Parent Loop BB342_106 Depth=2
                                        ; =>    This Inner Loop Header: Depth=3
	s_delay_alu instid0(SALU_CYCLE_1)
	s_add_i32 s21, s21, -1
	s_sleep 1
	s_cmp_eq_u32 s21, 0
	s_cbranch_scc0 .LBB342_107
; %bb.108:                              ;   in Loop: Header=BB342_106 Depth=2
	;;#ASMSTART
	global_load_dwordx4 v[5:8], v[41:42] off glc	
s_waitcnt vmcnt(0)
	;;#ASMEND
	v_and_b32_e32 v8, 0xff, v7
	s_cmp_lt_u32 s20, 32
	s_cselect_b32 s21, -1, 0
	s_delay_alu instid0(SALU_CYCLE_1) | instskip(NEXT) | instid1(VALU_DEP_1)
	s_cmp_lg_u32 s21, 0
	v_cmp_ne_u16_e32 vcc_lo, 0, v8
	s_addc_u32 s20, s20, 0
	s_or_b32 s19, vcc_lo, s19
	s_delay_alu instid0(SALU_CYCLE_1)
	s_and_not1_b32 exec_lo, exec_lo, s19
	s_cbranch_execnz .LBB342_106
; %bb.109:                              ;   in Loop: Header=BB342_103 Depth=1
	s_or_b32 exec_lo, exec_lo, s19
	s_branch .LBB342_102
.LBB342_110:                            ;   in Loop: Header=BB342_103 Depth=1
                                        ; implicit-def: $vgpr6
                                        ; implicit-def: $vgpr5
                                        ; implicit-def: $vgpr7
	s_cbranch_execz .LBB342_103
; %bb.111:
	s_and_saveexec_b32 s14, s13
	s_cbranch_execz .LBB342_113
; %bb.112:
	v_cmp_eq_u32_e32 vcc_lo, 0, v1
	s_mov_b32 s21, 0
	s_add_i32 s20, s15, 32
	v_add_nc_u32_e32 v5, v3, v1
	s_lshl_b64 s[20:21], s[20:21], 4
	v_cndmask_b32_e32 v2, 0, v4, vcc_lo
	s_add_u32 s20, s36, s20
	s_addc_u32 s21, s37, s21
	v_mov_b32_e32 v8, 0
	s_delay_alu instid0(VALU_DEP_2) | instskip(NEXT) | instid1(VALU_DEP_1)
	v_add_nc_u32_e32 v2, s18, v2
	v_and_b32_e32 v6, 0xff000000, v2
	v_and_b32_e32 v7, 0xff0000, v2
	s_delay_alu instid0(VALU_DEP_1) | instskip(SKIP_3) | instid1(VALU_DEP_1)
	v_or_b32_e32 v6, v7, v6
	v_mov_b32_e32 v7, 2
	v_and_b32_e32 v39, 0xff00, v2
	v_and_b32_e32 v2, 0xff, v2
	v_or3_b32 v6, v6, v39, v2
	v_mov_b32_e32 v2, s18
	v_dual_mov_b32 v40, s21 :: v_dual_mov_b32 v39, s20
	;;#ASMSTART
	global_store_dwordx4 v[39:40], v[5:8] off	
s_waitcnt vmcnt(0)
	;;#ASMEND
	ds_store_b128 v8, v[1:4] offset:2048
.LBB342_113:
	s_or_b32 exec_lo, exec_lo, s14
	v_cmp_eq_u32_e32 vcc_lo, 0, v0
	s_and_b32 exec_lo, exec_lo, vcc_lo
	s_cbranch_execz .LBB342_115
; %bb.114:
	v_mov_b32_e32 v1, 0
	ds_store_b64 v1, v[3:4] offset:2120
.LBB342_115:
	s_or_b32 exec_lo, exec_lo, s17
	s_waitcnt lgkmcnt(1)
	v_cndmask_b32_e64 v4, v43, v37, s13
	s_waitcnt lgkmcnt(0)
	s_barrier
	buffer_gl0_inv
	v_cndmask_b32_e64 v5, v44, v38, s13
	v_cmp_eq_u32_e32 vcc_lo, 0, v4
	v_mov_b32_e32 v3, 0
	v_cmp_eq_u32_e64 s13, 0, v78
	ds_load_b64 v[1:2], v3 offset:2120
	s_waitcnt lgkmcnt(0)
	s_barrier
	buffer_gl0_inv
	v_cndmask_b32_e32 v6, 0, v2, vcc_lo
	v_cmp_eq_u32_e32 vcc_lo, 0, v0
	s_delay_alu instid0(VALU_DEP_2) | instskip(NEXT) | instid1(VALU_DEP_1)
	v_add_nc_u32_e32 v5, v6, v5
	v_cndmask_b32_e32 v54, v5, v2, vcc_lo
	s_delay_alu instid0(VALU_DEP_1) | instskip(NEXT) | instid1(VALU_DEP_1)
	v_cndmask_b32_e64 v2, 0, v54, s13
	v_add_nc_u32_e32 v60, v2, v35
	s_delay_alu instid0(VALU_DEP_1) | instskip(NEXT) | instid1(VALU_DEP_1)
	v_cndmask_b32_e64 v2, 0, v60, s12
	v_add_nc_u32_e32 v56, v2, v36
	;; [unrolled: 3-line block ×6, first 2 shown]
	v_cndmask_b32_e64 v2, v4, 0, vcc_lo
	s_delay_alu instid0(VALU_DEP_2) | instskip(NEXT) | instid1(VALU_DEP_2)
	v_cndmask_b32_e64 v4, 0, v40, s7
	v_add_nc_u32_e32 v53, v1, v2
	s_delay_alu instid0(VALU_DEP_2) | instskip(NEXT) | instid1(VALU_DEP_2)
	v_add_nc_u32_e32 v44, v4, v29
	v_add_nc_u32_e32 v59, v53, v78
	s_delay_alu instid0(VALU_DEP_2) | instskip(NEXT) | instid1(VALU_DEP_2)
	v_cndmask_b32_e64 v1, 0, v44, s6
	v_add_nc_u32_e32 v55, v59, v77
	s_delay_alu instid0(VALU_DEP_2) | instskip(NEXT) | instid1(VALU_DEP_2)
	v_add_nc_u32_e32 v48, v1, v30
	v_add_nc_u32_e32 v51, v55, v76
	;; [unrolled: 6-line block ×4, first 2 shown]
	s_delay_alu instid0(VALU_DEP_2) | instskip(NEXT) | instid1(VALU_DEP_2)
	v_cndmask_b32_e64 v1, 0, v8, s3
	v_add_nc_u32_e32 v47, v43, v70
	s_delay_alu instid0(VALU_DEP_2) | instskip(SKIP_3) | instid1(VALU_DEP_2)
	v_add_nc_u32_e32 v38, v1, v25
	ds_load_b128 v[1:4], v3 offset:2048
	v_add_nc_u32_e32 v5, v47, v69
	v_cndmask_b32_e64 v37, 0, v38, s2
	v_add_nc_u32_e32 v7, v5, v68
	s_delay_alu instid0(VALU_DEP_2) | instskip(NEXT) | instid1(VALU_DEP_2)
	v_add_nc_u32_e32 v62, v37, v26
	v_add_nc_u32_e32 v37, v7, v67
	s_delay_alu instid0(VALU_DEP_2) | instskip(NEXT) | instid1(VALU_DEP_2)
	v_cndmask_b32_e64 v49, 0, v62, s1
	v_add_nc_u32_e32 v61, v37, v66
	s_delay_alu instid0(VALU_DEP_2) | instskip(SKIP_2) | instid1(VALU_DEP_3)
	v_add_nc_u32_e32 v58, v49, v23
	s_waitcnt lgkmcnt(0)
	v_cmp_eq_u32_e32 vcc_lo, 0, v1
	v_add_nc_u32_e32 v57, v61, v65
	s_delay_alu instid0(VALU_DEP_3) | instskip(SKIP_1) | instid1(VALU_DEP_3)
	v_cndmask_b32_e64 v50, 0, v58, s0
	v_cndmask_b32_e32 v4, 0, v4, vcc_lo
	v_add_nc_u32_e32 v49, v57, v64
	s_delay_alu instid0(VALU_DEP_3) | instskip(NEXT) | instid1(VALU_DEP_3)
	v_add_nc_u32_e32 v50, v50, v24
	v_add_nc_u32_e32 v80, v4, v2
	s_branch .LBB342_128
.LBB342_116:
                                        ; implicit-def: $vgpr1
                                        ; implicit-def: $vgpr80
                                        ; implicit-def: $vgpr53_vgpr54
                                        ; implicit-def: $vgpr59_vgpr60
                                        ; implicit-def: $vgpr55_vgpr56
                                        ; implicit-def: $vgpr51_vgpr52
                                        ; implicit-def: $vgpr45_vgpr46
                                        ; implicit-def: $vgpr41_vgpr42
                                        ; implicit-def: $vgpr39_vgpr40
                                        ; implicit-def: $vgpr43_vgpr44
                                        ; implicit-def: $vgpr47_vgpr48
                                        ; implicit-def: $vgpr5_vgpr6
                                        ; implicit-def: $vgpr7_vgpr8
                                        ; implicit-def: $vgpr37_vgpr38
                                        ; implicit-def: $vgpr61_vgpr62
                                        ; implicit-def: $vgpr57_vgpr58
                                        ; implicit-def: $vgpr49_vgpr50
	s_cbranch_execz .LBB342_128
; %bb.117:
	s_and_b32 s0, s16, exec_lo
	v_mov_b32_e32 v49, v35
	s_cselect_b32 s1, 0, s35
	s_cselect_b32 s0, 0, s34
	s_delay_alu instid0(SALU_CYCLE_1)
	s_cmp_eq_u64 s[0:1], 0
	s_cbranch_scc1 .LBB342_119
; %bb.118:
	v_mov_b32_e32 v1, 0
	global_load_b32 v49, v1, s[0:1]
.LBB342_119:
	v_cmp_eq_u32_e64 s6, 0, v77
	v_cmp_eq_u32_e64 s7, 0, v76
	;; [unrolled: 1-line block ×5, first 2 shown]
	v_cndmask_b32_e64 v1, 0, v35, s6
	v_cmp_eq_u32_e64 s11, 0, v72
	v_cmp_eq_u32_e64 s5, 0, v70
	;; [unrolled: 1-line block ×4, first 2 shown]
	v_add_nc_u32_e32 v1, v1, v36
	v_cmp_eq_u32_e64 s2, 0, v67
	v_add3_u32 v2, v84, v73, v72
	v_cmp_eq_u32_e64 s1, 0, v66
	v_cmp_eq_u32_e32 vcc_lo, 0, v65
	v_cndmask_b32_e64 v1, 0, v1, s7
	v_cmp_eq_u32_e64 s0, 0, v64
	v_add3_u32 v2, v2, v70, v69
	v_cmp_eq_u32_e64 s12, 0, v71
	v_and_b32_e32 v4, 15, v81
	v_add_nc_u32_e32 v1, v1, v33
	s_delay_alu instid0(VALU_DEP_4) | instskip(NEXT) | instid1(VALU_DEP_3)
	v_add3_u32 v2, v2, v68, v67
	v_cmp_lt_u32_e64 s13, 1, v4
	s_delay_alu instid0(VALU_DEP_3) | instskip(NEXT) | instid1(VALU_DEP_3)
	v_cndmask_b32_e64 v1, 0, v1, s8
	v_add3_u32 v2, v2, v66, v65
	s_delay_alu instid0(VALU_DEP_2) | instskip(NEXT) | instid1(VALU_DEP_2)
	v_add_nc_u32_e32 v1, v1, v34
	v_add3_u32 v2, v2, v64, v71
	s_delay_alu instid0(VALU_DEP_2) | instskip(NEXT) | instid1(VALU_DEP_2)
	v_cndmask_b32_e64 v1, 0, v1, s9
	v_mov_b32_dpp v5, v2 row_shr:1 row_mask:0xf bank_mask:0xf
	s_delay_alu instid0(VALU_DEP_2) | instskip(NEXT) | instid1(VALU_DEP_1)
	v_add_nc_u32_e32 v1, v1, v31
	v_cndmask_b32_e64 v1, 0, v1, s10
	s_delay_alu instid0(VALU_DEP_1) | instskip(NEXT) | instid1(VALU_DEP_1)
	v_add_nc_u32_e32 v1, v1, v32
	v_cndmask_b32_e64 v1, 0, v1, s11
	s_delay_alu instid0(VALU_DEP_1) | instskip(NEXT) | instid1(VALU_DEP_1)
	;; [unrolled: 3-line block ×7, first 2 shown]
	v_add_nc_u32_e32 v1, v1, v26
	v_cndmask_b32_e32 v1, 0, v1, vcc_lo
	s_delay_alu instid0(VALU_DEP_1) | instskip(NEXT) | instid1(VALU_DEP_1)
	v_add_nc_u32_e32 v1, v1, v23
	v_cndmask_b32_e64 v1, 0, v1, s0
	s_delay_alu instid0(VALU_DEP_1) | instskip(NEXT) | instid1(VALU_DEP_1)
	v_add_nc_u32_e32 v1, v1, v24
	v_cndmask_b32_e64 v1, 0, v1, s12
	v_cmp_eq_u32_e64 s12, 0, v2
	s_delay_alu instid0(VALU_DEP_2) | instskip(NEXT) | instid1(VALU_DEP_1)
	v_add_nc_u32_e32 v1, v1, v79
	v_mov_b32_dpp v3, v1 row_shr:1 row_mask:0xf bank_mask:0xf
	s_delay_alu instid0(VALU_DEP_1) | instskip(SKIP_1) | instid1(VALU_DEP_1)
	v_cndmask_b32_e64 v3, 0, v3, s12
	v_cmp_eq_u32_e64 s12, 0, v4
	v_cndmask_b32_e64 v5, v5, 0, s12
	s_delay_alu instid0(VALU_DEP_3) | instskip(NEXT) | instid1(VALU_DEP_2)
	v_cndmask_b32_e64 v3, v3, 0, s12
	v_add_nc_u32_e32 v2, v5, v2
	s_delay_alu instid0(VALU_DEP_2) | instskip(NEXT) | instid1(VALU_DEP_2)
	v_add_nc_u32_e32 v1, v3, v1
	v_mov_b32_dpp v3, v2 row_shr:2 row_mask:0xf bank_mask:0xf
	v_cmp_eq_u32_e64 s12, 0, v2
	s_delay_alu instid0(VALU_DEP_3) | instskip(NEXT) | instid1(VALU_DEP_3)
	v_mov_b32_dpp v5, v1 row_shr:2 row_mask:0xf bank_mask:0xf
	v_cndmask_b32_e64 v3, 0, v3, s13
	s_delay_alu instid0(VALU_DEP_3) | instskip(SKIP_1) | instid1(VALU_DEP_3)
	s_and_b32 s12, s13, s12
	v_cmp_lt_u32_e64 s13, 3, v4
	v_cndmask_b32_e64 v5, 0, v5, s12
	s_delay_alu instid0(VALU_DEP_3) | instskip(NEXT) | instid1(VALU_DEP_2)
	v_add_nc_u32_e32 v2, v2, v3
	v_add_nc_u32_e32 v1, v5, v1
	s_delay_alu instid0(VALU_DEP_2) | instskip(SKIP_1) | instid1(VALU_DEP_3)
	v_mov_b32_dpp v3, v2 row_shr:4 row_mask:0xf bank_mask:0xf
	v_cmp_eq_u32_e64 s12, 0, v2
	v_mov_b32_dpp v5, v1 row_shr:4 row_mask:0xf bank_mask:0xf
	s_delay_alu instid0(VALU_DEP_3) | instskip(NEXT) | instid1(VALU_DEP_3)
	v_cndmask_b32_e64 v3, 0, v3, s13
	s_and_b32 s12, s13, s12
	v_cmp_lt_u32_e64 s13, 7, v4
	s_delay_alu instid0(VALU_DEP_3) | instskip(NEXT) | instid1(VALU_DEP_3)
	v_cndmask_b32_e64 v5, 0, v5, s12
	v_add_nc_u32_e32 v2, v3, v2
	s_delay_alu instid0(VALU_DEP_2) | instskip(SKIP_1) | instid1(VALU_DEP_3)
	v_add_nc_u32_e32 v1, v1, v5
	v_bfe_i32 v5, v81, 4, 1
	v_cmp_eq_u32_e64 s12, 0, v2
	v_mov_b32_dpp v3, v2 row_shr:8 row_mask:0xf bank_mask:0xf
	s_delay_alu instid0(VALU_DEP_4) | instskip(NEXT) | instid1(VALU_DEP_3)
	v_mov_b32_dpp v4, v1 row_shr:8 row_mask:0xf bank_mask:0xf
	s_and_b32 s12, s13, s12
	s_delay_alu instid0(VALU_DEP_2) | instskip(SKIP_1) | instid1(VALU_DEP_2)
	v_cndmask_b32_e64 v3, 0, v3, s13
	s_mov_b32 s13, exec_lo
	v_cndmask_b32_e64 v4, 0, v4, s12
	s_delay_alu instid0(VALU_DEP_1) | instskip(NEXT) | instid1(VALU_DEP_3)
	v_add_nc_u32_e32 v4, v4, v1
	v_add_nc_u32_e32 v1, v3, v2
	ds_swizzle_b32 v2, v4 offset:swizzle(BROADCAST,32,15)
	ds_swizzle_b32 v3, v1 offset:swizzle(BROADCAST,32,15)
	v_cmp_eq_u32_e64 s12, 0, v1
	s_waitcnt lgkmcnt(1)
	s_delay_alu instid0(VALU_DEP_1) | instskip(SKIP_2) | instid1(VALU_DEP_2)
	v_cndmask_b32_e64 v2, 0, v2, s12
	s_waitcnt lgkmcnt(0)
	v_and_b32_e32 v3, v5, v3
	v_and_b32_e32 v2, v5, v2
	s_delay_alu instid0(VALU_DEP_2) | instskip(NEXT) | instid1(VALU_DEP_2)
	v_add_nc_u32_e32 v1, v3, v1
	v_add_nc_u32_e32 v2, v2, v4
	v_cmpx_eq_u32_e64 v83, v0
	s_cbranch_execz .LBB342_121
; %bb.120:
	v_lshlrev_b32_e32 v3, 3, v82
	ds_store_b64 v3, v[1:2] offset:2064
.LBB342_121:
	s_or_b32 exec_lo, exec_lo, s13
	s_delay_alu instid0(SALU_CYCLE_1)
	s_mov_b32 s14, exec_lo
	s_waitcnt vmcnt(0) lgkmcnt(0)
	s_barrier
	buffer_gl0_inv
	v_cmpx_gt_u32_e32 8, v0
	s_cbranch_execz .LBB342_123
; %bb.122:
	v_lshlrev_b32_e32 v5, 3, v0
	v_and_b32_e32 v7, 7, v81
	ds_load_b64 v[3:4], v5 offset:2064
	v_cmp_lt_u32_e64 s13, 1, v7
	s_waitcnt lgkmcnt(0)
	v_mov_b32_dpp v6, v4 row_shr:1 row_mask:0xf bank_mask:0xf
	v_cmp_eq_u32_e64 s12, 0, v3
	v_mov_b32_dpp v8, v3 row_shr:1 row_mask:0xf bank_mask:0xf
	s_delay_alu instid0(VALU_DEP_2) | instskip(SKIP_1) | instid1(VALU_DEP_1)
	v_cndmask_b32_e64 v6, 0, v6, s12
	v_cmp_eq_u32_e64 s12, 0, v7
	v_cndmask_b32_e64 v8, v8, 0, s12
	s_delay_alu instid0(VALU_DEP_3) | instskip(NEXT) | instid1(VALU_DEP_2)
	v_cndmask_b32_e64 v6, v6, 0, s12
	v_add_nc_u32_e32 v3, v8, v3
	s_delay_alu instid0(VALU_DEP_2) | instskip(NEXT) | instid1(VALU_DEP_2)
	v_add_nc_u32_e32 v4, v6, v4
	v_mov_b32_dpp v6, v3 row_shr:2 row_mask:0xf bank_mask:0xf
	v_cmp_eq_u32_e64 s12, 0, v3
	s_delay_alu instid0(VALU_DEP_3) | instskip(NEXT) | instid1(VALU_DEP_3)
	v_mov_b32_dpp v8, v4 row_shr:2 row_mask:0xf bank_mask:0xf
	v_cndmask_b32_e64 v6, 0, v6, s13
	s_delay_alu instid0(VALU_DEP_3) | instskip(SKIP_1) | instid1(VALU_DEP_3)
	s_and_b32 s12, s13, s12
	v_cmp_lt_u32_e64 s13, 3, v7
	v_cndmask_b32_e64 v8, 0, v8, s12
	s_delay_alu instid0(VALU_DEP_3) | instskip(NEXT) | instid1(VALU_DEP_2)
	v_add_nc_u32_e32 v3, v6, v3
	v_add_nc_u32_e32 v4, v8, v4
	s_delay_alu instid0(VALU_DEP_2) | instskip(SKIP_1) | instid1(VALU_DEP_3)
	v_cmp_eq_u32_e64 s12, 0, v3
	v_mov_b32_dpp v6, v3 row_shr:4 row_mask:0xf bank_mask:0xf
	v_mov_b32_dpp v7, v4 row_shr:4 row_mask:0xf bank_mask:0xf
	s_delay_alu instid0(VALU_DEP_3) | instskip(NEXT) | instid1(VALU_DEP_2)
	s_and_b32 s12, s13, s12
	v_cndmask_b32_e64 v6, 0, v6, s13
	s_delay_alu instid0(VALU_DEP_2) | instskip(NEXT) | instid1(VALU_DEP_2)
	v_cndmask_b32_e64 v7, 0, v7, s12
	v_add_nc_u32_e32 v3, v6, v3
	s_delay_alu instid0(VALU_DEP_2)
	v_add_nc_u32_e32 v4, v7, v4
	ds_store_b64 v5, v[3:4] offset:2064
.LBB342_123:
	s_or_b32 exec_lo, exec_lo, s14
	v_dual_mov_b32 v7, 0 :: v_dual_mov_b32 v4, v49
	v_mov_b32_e32 v3, 0
	s_mov_b32 s13, exec_lo
	s_waitcnt lgkmcnt(0)
	s_barrier
	buffer_gl0_inv
	v_cmpx_lt_u32_e32 31, v0
	s_cbranch_execz .LBB342_125
; %bb.124:
	v_lshlrev_b32_e32 v3, 3, v82
	ds_load_b64 v[3:4], v3 offset:2056
	s_waitcnt lgkmcnt(0)
	v_cmp_eq_u32_e64 s12, 0, v3
	s_delay_alu instid0(VALU_DEP_1) | instskip(NEXT) | instid1(VALU_DEP_1)
	v_cndmask_b32_e64 v5, 0, v49, s12
	v_add_nc_u32_e32 v4, v5, v4
.LBB342_125:
	s_or_b32 exec_lo, exec_lo, s13
	v_add_nc_u32_e32 v5, -1, v81
	v_cmp_eq_u32_e64 s13, 0, v78
	s_delay_alu instid0(VALU_DEP_2) | instskip(NEXT) | instid1(VALU_DEP_1)
	v_cmp_gt_i32_e64 s12, 0, v5
	v_cndmask_b32_e64 v5, v5, v81, s12
	v_cmp_eq_u32_e64 s12, 0, v1
	v_add_nc_u32_e32 v1, v3, v1
	s_delay_alu instid0(VALU_DEP_3) | instskip(NEXT) | instid1(VALU_DEP_3)
	v_lshlrev_b32_e32 v5, 2, v5
	v_cndmask_b32_e64 v6, 0, v4, s12
	v_cmp_eq_u32_e64 s12, 0, v81
	ds_bpermute_b32 v1, v5, v1
	v_add_nc_u32_e32 v2, v6, v2
	ds_bpermute_b32 v2, v5, v2
	s_waitcnt lgkmcnt(1)
	v_cndmask_b32_e64 v1, v1, v3, s12
	s_waitcnt lgkmcnt(0)
	v_cndmask_b32_e64 v2, v2, v4, s12
	v_cmp_eq_u32_e64 s12, 0, v0
	s_delay_alu instid0(VALU_DEP_1) | instskip(SKIP_1) | instid1(VALU_DEP_2)
	v_cndmask_b32_e64 v54, v2, v49, s12
	v_cndmask_b32_e64 v53, v1, 0, s12
	;; [unrolled: 1-line block ×3, first 2 shown]
	s_delay_alu instid0(VALU_DEP_1) | instskip(NEXT) | instid1(VALU_DEP_1)
	v_add_nc_u32_e32 v60, v2, v35
	v_cndmask_b32_e64 v2, 0, v60, s6
	s_delay_alu instid0(VALU_DEP_1) | instskip(NEXT) | instid1(VALU_DEP_1)
	v_add_nc_u32_e32 v56, v2, v36
	v_cndmask_b32_e64 v2, 0, v56, s7
	;; [unrolled: 3-line block ×10, first 2 shown]
	s_delay_alu instid0(VALU_DEP_1) | instskip(SKIP_2) | instid1(VALU_DEP_1)
	v_add_nc_u32_e32 v38, v1, v25
	ds_load_b64 v[1:2], v7 offset:2120
	v_cndmask_b32_e64 v3, 0, v38, s1
	v_add_nc_u32_e32 v62, v3, v26
	s_delay_alu instid0(VALU_DEP_1) | instskip(NEXT) | instid1(VALU_DEP_1)
	v_cndmask_b32_e32 v3, 0, v62, vcc_lo
	v_add_nc_u32_e32 v58, v3, v23
	s_waitcnt lgkmcnt(0)
	v_cmp_eq_u32_e32 vcc_lo, 0, v1
	v_add_nc_u32_e32 v59, v53, v78
	s_delay_alu instid0(VALU_DEP_3) | instskip(SKIP_1) | instid1(VALU_DEP_3)
	v_cndmask_b32_e64 v3, 0, v58, s0
	v_cndmask_b32_e32 v4, 0, v49, vcc_lo
	v_add_nc_u32_e32 v55, v59, v77
	s_delay_alu instid0(VALU_DEP_3) | instskip(NEXT) | instid1(VALU_DEP_3)
	v_add_nc_u32_e32 v50, v3, v24
	v_add_nc_u32_e32 v80, v4, v2
	s_delay_alu instid0(VALU_DEP_3) | instskip(NEXT) | instid1(VALU_DEP_1)
	v_add_nc_u32_e32 v51, v55, v76
	v_add_nc_u32_e32 v45, v51, v75
	s_delay_alu instid0(VALU_DEP_1) | instskip(NEXT) | instid1(VALU_DEP_1)
	v_add_nc_u32_e32 v41, v45, v74
	v_add_nc_u32_e32 v39, v41, v73
	s_delay_alu instid0(VALU_DEP_1) | instskip(NEXT) | instid1(VALU_DEP_1)
	;; [unrolled: 3-line block ×5, first 2 shown]
	v_add_nc_u32_e32 v57, v61, v65
	v_add_nc_u32_e32 v49, v57, v64
	s_and_saveexec_b32 s0, s12
	s_cbranch_execz .LBB342_127
; %bb.126:
	v_and_b32_e32 v2, 0xff000000, v80
	v_dual_mov_b32 v4, 0 :: v_dual_and_b32 v3, 0xff0000, v80
	s_add_u32 s2, s36, 0x200
	v_and_b32_e32 v23, 0xff00, v80
	s_addc_u32 s3, s37, 0
	v_and_b32_e32 v24, 0xff, v80
	v_or_b32_e32 v2, v3, v2
	v_mov_b32_e32 v3, 2
	s_delay_alu instid0(VALU_DEP_2)
	v_or3_b32 v2, v2, v23, v24
	v_dual_mov_b32 v24, s3 :: v_dual_mov_b32 v23, s2
	;;#ASMSTART
	global_store_dwordx4 v[23:24], v[1:4] off	
s_waitcnt vmcnt(0)
	;;#ASMEND
.LBB342_127:
	s_or_b32 exec_lo, exec_lo, s0
	v_mov_b32_e32 v3, 0
.LBB342_128:
	v_mov_b32_e32 v23, 0
	s_and_b32 s0, s16, exec_lo
	v_mov_b32_e32 v24, 0
	s_cselect_b32 s1, 0, s47
	s_cselect_b32 s0, 0, s46
	s_delay_alu instid0(SALU_CYCLE_1)
	s_cmp_eq_u64 s[0:1], 0
	s_barrier
	buffer_gl0_inv
	s_cbranch_scc1 .LBB342_130
; %bb.129:
	v_mov_b32_e32 v2, 0
	global_load_b64 v[23:24], v2, s[0:1]
.LBB342_130:
	v_cmp_eq_u32_e32 vcc_lo, 0, v78
	v_cmp_ne_u32_e64 s14, 0, v78
	v_cmp_ne_u32_e64 s13, 0, v77
	;; [unrolled: 1-line block ×4, first 2 shown]
	v_cndmask_b32_e64 v2, 1, 2, vcc_lo
	v_cmp_eq_u32_e32 vcc_lo, 0, v77
	v_cmp_ne_u32_e64 s10, 0, v74
	v_cmp_ne_u32_e64 s9, 0, v73
	;; [unrolled: 1-line block ×4, first 2 shown]
	v_cndmask_b32_e64 v4, 1, 2, vcc_lo
	v_cmp_eq_u32_e32 vcc_lo, 0, v76
	v_cmp_ne_u32_e64 s8, 0, v69
	v_cmp_ne_u32_e64 s6, 0, v68
	;; [unrolled: 1-line block ×3, first 2 shown]
	v_and_b32_e32 v2, v4, v2
	v_cndmask_b32_e64 v25, 1, 2, vcc_lo
	v_cmp_eq_u32_e32 vcc_lo, 0, v75
	v_cmp_ne_u32_e64 s3, 0, v66
	v_cmp_ne_u32_e64 s2, 0, v65
	;; [unrolled: 1-line block ×3, first 2 shown]
	v_and_b32_e32 v2, v2, v25
	v_cndmask_b32_e64 v4, 1, 2, vcc_lo
	v_cmp_eq_u32_e32 vcc_lo, 0, v74
	v_cmp_ne_u32_e64 s0, 0, v71
	s_mov_b32 s16, -1
	s_delay_alu instid0(VALU_DEP_3) | instskip(SKIP_2) | instid1(VALU_DEP_2)
	v_and_b32_e32 v2, v2, v4
	v_cndmask_b32_e64 v25, 1, 2, vcc_lo
	v_cmp_eq_u32_e32 vcc_lo, 0, v73
	v_and_b32_e32 v2, v2, v25
	v_cndmask_b32_e64 v4, 1, 2, vcc_lo
	v_cmp_eq_u32_e32 vcc_lo, 0, v72
	s_waitcnt vmcnt(0)
	v_lshlrev_b64 v[25:26], 2, v[23:24]
	s_delay_alu instid0(VALU_DEP_3) | instskip(SKIP_2) | instid1(VALU_DEP_2)
	v_and_b32_e32 v2, v2, v4
	v_cndmask_b32_e64 v27, 1, 2, vcc_lo
	v_cmp_eq_u32_e32 vcc_lo, 0, v70
	v_and_b32_e32 v2, v2, v27
	v_cndmask_b32_e64 v28, 1, 2, vcc_lo
	v_cmp_eq_u32_e32 vcc_lo, 0, v69
	s_delay_alu instid0(VALU_DEP_2) | instskip(SKIP_2) | instid1(VALU_DEP_2)
	v_and_b32_e32 v2, v2, v28
	v_cndmask_b32_e64 v27, 1, 2, vcc_lo
	v_cmp_eq_u32_e32 vcc_lo, 0, v68
	v_and_b32_e32 v2, v2, v27
	v_cndmask_b32_e64 v28, 1, 2, vcc_lo
	v_cmp_eq_u32_e32 vcc_lo, 0, v67
	s_delay_alu instid0(VALU_DEP_2) | instskip(SKIP_2) | instid1(VALU_DEP_2)
	;; [unrolled: 7-line block ×3, first 2 shown]
	v_and_b32_e32 v2, v2, v29
	v_cndmask_b32_e64 v30, 1, 2, vcc_lo
	v_cmp_eq_u32_e32 vcc_lo, 0, v64
	v_and_b32_e32 v30, v2, v30
	v_cndmask_b32_e64 v31, 1, 2, vcc_lo
	v_mov_b32_e32 v4, 0
	s_delay_alu instid0(VALU_DEP_1) | instskip(SKIP_2) | instid1(VALU_DEP_2)
	v_lshlrev_b64 v[27:28], 2, v[3:4]
	v_add_co_u32 v4, vcc_lo, s26, v25
	v_add_co_ci_u32_e32 v29, vcc_lo, s27, v26, vcc_lo
	v_add_co_u32 v2, vcc_lo, v4, v27
	s_delay_alu instid0(VALU_DEP_2) | instskip(SKIP_4) | instid1(VALU_DEP_2)
	v_add_co_ci_u32_e32 v4, vcc_lo, v29, v28, vcc_lo
	v_and_b32_e32 v29, v30, v31
	v_cmp_eq_u32_e32 vcc_lo, 0, v71
	v_cndmask_b32_e64 v30, 1, 2, vcc_lo
	v_cmp_gt_u32_e32 vcc_lo, 0x100, v1
	v_and_b32_e32 v29, v29, v30
	s_delay_alu instid0(VALU_DEP_1)
	v_cmp_gt_i16_e64 s15, 2, v29
	s_cbranch_vccz .LBB342_137
; %bb.131:
	s_delay_alu instid0(VALU_DEP_1)
	s_and_saveexec_b32 s16, s15
	s_cbranch_execz .LBB342_136
; %bb.132:
	s_mov_b32 s17, 0
	s_mov_b32 s15, exec_lo
	v_cmpx_ne_u16_e32 1, v29
	s_xor_b32 s15, exec_lo, s15
	s_cbranch_execnz .LBB342_169
; %bb.133:
	s_and_not1_saveexec_b32 s15, s15
	s_cbranch_execnz .LBB342_185
.LBB342_134:
	s_or_b32 exec_lo, exec_lo, s15
	s_delay_alu instid0(SALU_CYCLE_1)
	s_and_b32 exec_lo, exec_lo, s17
	s_cbranch_execz .LBB342_136
.LBB342_135:
	v_sub_nc_u32_e32 v30, v49, v3
	v_mov_b32_e32 v31, 0
	s_delay_alu instid0(VALU_DEP_1) | instskip(NEXT) | instid1(VALU_DEP_1)
	v_lshlrev_b64 v[30:31], 2, v[30:31]
	v_add_co_u32 v30, vcc_lo, v2, v30
	s_delay_alu instid0(VALU_DEP_2)
	v_add_co_ci_u32_e32 v31, vcc_lo, v4, v31, vcc_lo
	global_store_b32 v[30:31], v63, off
.LBB342_136:
	s_or_b32 exec_lo, exec_lo, s16
	s_mov_b32 s16, 0
.LBB342_137:
	s_delay_alu instid0(SALU_CYCLE_1)
	s_and_b32 vcc_lo, exec_lo, s16
	s_cbranch_vccz .LBB342_147
; %bb.138:
	s_mov_b32 s15, exec_lo
	v_cmpx_gt_i16_e32 2, v29
	s_cbranch_execz .LBB342_143
; %bb.139:
	s_mov_b32 s17, 0
	s_mov_b32 s16, exec_lo
	v_cmpx_ne_u16_e32 1, v29
	s_xor_b32 s16, exec_lo, s16
	s_cbranch_execnz .LBB342_186
; %bb.140:
	s_and_not1_saveexec_b32 s0, s16
	s_cbranch_execnz .LBB342_202
.LBB342_141:
	s_or_b32 exec_lo, exec_lo, s0
	s_delay_alu instid0(SALU_CYCLE_1)
	s_and_b32 exec_lo, exec_lo, s17
	s_cbranch_execz .LBB342_143
.LBB342_142:
	v_sub_nc_u32_e32 v9, v49, v3
	s_delay_alu instid0(VALU_DEP_1)
	v_lshlrev_b32_e32 v9, 2, v9
	ds_store_b32 v9, v63
.LBB342_143:
	s_or_b32 exec_lo, exec_lo, s15
	s_delay_alu instid0(SALU_CYCLE_1)
	s_mov_b32 s1, exec_lo
	s_waitcnt lgkmcnt(0)
	s_waitcnt_vscnt null, 0x0
	s_barrier
	buffer_gl0_inv
	v_cmpx_lt_u32_e64 v0, v1
	s_cbranch_execz .LBB342_146
; %bb.144:
	v_dual_mov_b32 v10, 0 :: v_dual_lshlrev_b32 v11, 2, v0
	v_mov_b32_e32 v9, v0
	s_mov_b32 s2, 0
	.p2align	6
.LBB342_145:                            ; =>This Inner Loop Header: Depth=1
	ds_load_b32 v14, v11
	v_lshlrev_b64 v[12:13], 2, v[9:10]
	v_add_nc_u32_e32 v9, 0x100, v9
	v_add_nc_u32_e32 v11, 0x400, v11
	s_delay_alu instid0(VALU_DEP_2) | instskip(NEXT) | instid1(VALU_DEP_4)
	v_cmp_ge_u32_e32 vcc_lo, v9, v1
	v_add_co_u32 v12, s0, v2, v12
	s_delay_alu instid0(VALU_DEP_1)
	v_add_co_ci_u32_e64 v13, s0, v4, v13, s0
	s_or_b32 s2, vcc_lo, s2
	s_waitcnt lgkmcnt(0)
	global_store_b32 v[12:13], v14, off
	s_and_not1_b32 exec_lo, exec_lo, s2
	s_cbranch_execnz .LBB342_145
.LBB342_146:
	s_or_b32 exec_lo, exec_lo, s1
.LBB342_147:
	s_cmpk_lg_i32 s33, 0xf00
	v_cmp_eq_u32_e32 vcc_lo, 0, v0
	s_cselect_b32 s0, -1, 0
	v_cndmask_b32_e64 v4, 0, 1, s40
	s_and_b32 s0, s23, s0
	v_mad_i32_i24 v10, v0, -15, s33
	v_cndmask_b32_e64 v9, 0, 1, s0
	s_mul_hi_u32 s0, s33, 0x88888889
	s_and_b32 s1, vcc_lo, s40
	s_lshr_b32 s0, s0, 3
	v_sub_nc_u32_e32 v2, v1, v4
	v_cndmask_b32_e64 v11, v78, 0, s1
	v_cmp_eq_u32_e32 vcc_lo, s0, v0
	v_cmp_ne_u32_e64 s0, 0, v10
	s_mov_b32 s16, -1
	s_waitcnt_vscnt null, 0x0
	s_barrier
	s_and_b32 vcc_lo, s23, vcc_lo
	v_add_nc_u32_e32 v2, v2, v9
	v_cndmask_b32_e64 v9, 1, v11, s0
	v_cmp_ne_u32_e64 s0, 1, v10
	buffer_gl0_inv
	v_cndmask_b32_e64 v12, 1, v77, s0
	v_cmp_ne_u32_e64 s0, 14, v10
	s_delay_alu instid0(VALU_DEP_2) | instskip(NEXT) | instid1(VALU_DEP_2)
	v_cndmask_b32_e32 v17, v77, v12, vcc_lo
	v_cndmask_b32_e64 v13, 1, v71, s0
	v_cmp_ne_u32_e64 s0, 2, v10
	s_delay_alu instid0(VALU_DEP_3) | instskip(NEXT) | instid1(VALU_DEP_3)
	v_cmp_ne_u32_e64 s13, 0, v17
	v_cndmask_b32_e32 v16, v71, v13, vcc_lo
	s_delay_alu instid0(VALU_DEP_3) | instskip(SKIP_1) | instid1(VALU_DEP_2)
	v_cndmask_b32_e64 v14, 1, v76, s0
	v_cmp_ne_u32_e64 s0, 3, v10
	v_dual_cndmask_b32 v13, v11, v9 :: v_dual_cndmask_b32 v14, v76, v14
	s_delay_alu instid0(VALU_DEP_2) | instskip(SKIP_1) | instid1(VALU_DEP_3)
	v_cndmask_b32_e64 v15, 1, v75, s0
	v_cmp_ne_u32_e64 s0, 4, v10
	v_cmp_ne_u32_e64 s14, 0, v13
	s_delay_alu instid0(VALU_DEP_4) | instskip(NEXT) | instid1(VALU_DEP_3)
	v_cmp_ne_u32_e64 s12, 0, v14
	v_cndmask_b32_e64 v9, 1, v74, s0
	v_cmp_ne_u32_e64 s0, 5, v10
	s_delay_alu instid0(VALU_DEP_1) | instskip(SKIP_1) | instid1(VALU_DEP_2)
	v_cndmask_b32_e64 v11, 1, v73, s0
	v_cmp_eq_u32_e64 s0, 0, v13
	v_cndmask_b32_e32 v29, v73, v11, vcc_lo
	s_delay_alu instid0(VALU_DEP_2) | instskip(SKIP_1) | instid1(VALU_DEP_3)
	v_cndmask_b32_e64 v12, 1, 2, s0
	v_cmp_eq_u32_e64 s0, 0, v17
	v_cmp_ne_u32_e64 s9, 0, v29
	s_delay_alu instid0(VALU_DEP_2) | instskip(SKIP_1) | instid1(VALU_DEP_2)
	v_cndmask_b32_e64 v18, 1, 2, s0
	v_cmp_ne_u32_e64 s0, 6, v10
	v_dual_cndmask_b32 v15, v75, v15 :: v_dual_and_b32 v12, v18, v12
	s_delay_alu instid0(VALU_DEP_2) | instskip(SKIP_1) | instid1(VALU_DEP_3)
	v_cndmask_b32_e64 v19, 1, v72, s0
	v_cmp_eq_u32_e64 s0, 0, v14
	v_cmp_ne_u32_e64 s11, 0, v15
	s_delay_alu instid0(VALU_DEP_2) | instskip(SKIP_1) | instid1(VALU_DEP_1)
	v_cndmask_b32_e64 v18, 1, 2, s0
	v_cmp_ne_u32_e64 s0, 7, v10
	v_cndmask_b32_e64 v20, 1, v70, s0
	v_cmp_ne_u32_e64 s0, 8, v10
	s_delay_alu instid0(VALU_DEP_2) | instskip(NEXT) | instid1(VALU_DEP_2)
	v_dual_cndmask_b32 v19, v72, v19 :: v_dual_cndmask_b32 v20, v70, v20
	v_cndmask_b32_e64 v21, 1, v69, s0
	v_cmp_eq_u32_e64 s0, 0, v15
	v_and_b32_e32 v12, v12, v18
	s_delay_alu instid0(VALU_DEP_4)
	v_cmp_ne_u32_e64 s8, 0, v19
	v_cmp_ne_u32_e64 s7, 0, v20
	v_cndmask_b32_e32 v21, v69, v21, vcc_lo
	v_cndmask_b32_e64 v18, 1, 2, s0
	v_cndmask_b32_e32 v22, v74, v9, vcc_lo
	v_cmp_ne_u32_e64 s0, 9, v10
	s_delay_alu instid0(VALU_DEP_4) | instskip(NEXT) | instid1(VALU_DEP_4)
	v_cmp_ne_u32_e64 s6, 0, v21
	v_and_b32_e32 v11, v12, v18
	s_delay_alu instid0(VALU_DEP_4) | instskip(NEXT) | instid1(VALU_DEP_4)
	v_cmp_ne_u32_e64 s10, 0, v22
	v_cndmask_b32_e64 v9, 1, v68, s0
	v_cmp_eq_u32_e64 s0, 0, v22
	s_delay_alu instid0(VALU_DEP_2) | instskip(NEXT) | instid1(VALU_DEP_2)
	v_cndmask_b32_e32 v33, v68, v9, vcc_lo
	v_cndmask_b32_e64 v12, 1, 2, s0
	v_cmp_ne_u32_e64 s0, 10, v10
	s_delay_alu instid0(VALU_DEP_1) | instskip(SKIP_1) | instid1(VALU_DEP_2)
	v_cndmask_b32_e64 v18, 1, v67, s0
	v_cmp_ne_u32_e64 s0, 12, v10
	v_cndmask_b32_e32 v18, v67, v18, vcc_lo
	s_delay_alu instid0(VALU_DEP_2) | instskip(SKIP_2) | instid1(VALU_DEP_4)
	v_cndmask_b32_e64 v30, 1, v65, s0
	v_cmp_eq_u32_e64 s0, 0, v29
	v_and_b32_e32 v11, v11, v12
	v_cmp_ne_u32_e64 s4, 0, v18
	s_delay_alu instid0(VALU_DEP_4) | instskip(NEXT) | instid1(VALU_DEP_4)
	v_cndmask_b32_e32 v30, v65, v30, vcc_lo
	v_cndmask_b32_e64 v12, 1, 2, s0
	v_cmp_ne_u32_e64 s0, 13, v10
	s_delay_alu instid0(VALU_DEP_3) | instskip(NEXT) | instid1(VALU_DEP_3)
	v_cmp_ne_u32_e64 s2, 0, v30
	v_and_b32_e32 v11, v11, v12
	s_delay_alu instid0(VALU_DEP_3) | instskip(SKIP_1) | instid1(VALU_DEP_2)
	v_cndmask_b32_e64 v31, 1, v64, s0
	v_cmp_eq_u32_e64 s0, 0, v19
	v_cndmask_b32_e32 v31, v64, v31, vcc_lo
	s_delay_alu instid0(VALU_DEP_2) | instskip(SKIP_1) | instid1(VALU_DEP_3)
	v_cndmask_b32_e64 v12, 1, 2, s0
	v_cmp_ne_u32_e64 s0, 11, v10
	v_cmp_ne_u32_e64 s1, 0, v31
	s_delay_alu instid0(VALU_DEP_2) | instskip(SKIP_1) | instid1(VALU_DEP_2)
	v_cndmask_b32_e64 v10, 1, v66, s0
	v_cmp_eq_u32_e64 s0, 0, v20
	v_dual_cndmask_b32 v32, v66, v10 :: v_dual_and_b32 v11, v11, v12
	s_delay_alu instid0(VALU_DEP_2) | instskip(SKIP_2) | instid1(VALU_DEP_4)
	v_cndmask_b32_e64 v12, 1, 2, s0
	v_cmp_eq_u32_e32 vcc_lo, 0, v21
	v_cmp_ne_u32_e64 s0, 0, v16
	v_cmp_ne_u32_e64 s3, 0, v32
	s_delay_alu instid0(VALU_DEP_4) | instskip(SKIP_4) | instid1(VALU_DEP_4)
	v_and_b32_e32 v9, v11, v12
	v_cndmask_b32_e64 v10, 1, 2, vcc_lo
	v_add_co_u32 v11, vcc_lo, s28, v25
	v_add_co_ci_u32_e32 v12, vcc_lo, s29, v26, vcc_lo
	v_cmp_eq_u32_e32 vcc_lo, 0, v33
	v_and_b32_e32 v25, v9, v10
	v_cndmask_b32_e64 v26, 1, 2, vcc_lo
	v_add_co_u32 v9, vcc_lo, v11, v27
	v_add_co_ci_u32_e32 v10, vcc_lo, v12, v28, vcc_lo
	v_lshlrev_b32_e32 v11, 2, v4
	v_cmp_eq_u32_e32 vcc_lo, 0, v18
	v_and_b32_e32 v12, v25, v26
	v_add_nc_u32_e32 v4, v3, v4
	v_cmp_ne_u32_e64 s5, 0, v33
	v_cndmask_b32_e64 v25, 1, 2, vcc_lo
	v_add_co_u32 v11, vcc_lo, v11, v9
	v_add_co_ci_u32_e32 v26, vcc_lo, 0, v10, vcc_lo
	v_cmp_eq_u32_e32 vcc_lo, 0, v32
	s_delay_alu instid0(VALU_DEP_4) | instskip(SKIP_4) | instid1(VALU_DEP_4)
	v_and_b32_e32 v25, v12, v25
	v_cndmask_b32_e64 v27, 1, 2, vcc_lo
	v_add_co_u32 v11, vcc_lo, v11, -4
	v_add_co_ci_u32_e32 v12, vcc_lo, -1, v26, vcc_lo
	v_cmp_eq_u32_e32 vcc_lo, 0, v30
	v_and_b32_e32 v25, v25, v27
	v_cndmask_b32_e64 v26, 1, 2, vcc_lo
	v_cmp_eq_u32_e32 vcc_lo, 0, v31
	s_delay_alu instid0(VALU_DEP_2) | instskip(SKIP_2) | instid1(VALU_DEP_2)
	v_and_b32_e32 v13, v25, v26
	v_cndmask_b32_e64 v14, 1, 2, vcc_lo
	v_cmp_eq_u32_e32 vcc_lo, 0, v16
	v_and_b32_e32 v13, v13, v14
	v_cndmask_b32_e64 v14, 1, 2, vcc_lo
	v_cmp_gt_u32_e32 vcc_lo, 0x100, v2
	s_delay_alu instid0(VALU_DEP_2) | instskip(NEXT) | instid1(VALU_DEP_1)
	v_and_b32_e32 v13, v13, v14
	v_cmp_gt_i16_e64 s15, 2, v13
	s_cbranch_vccnz .LBB342_151
; %bb.148:
	s_and_b32 vcc_lo, exec_lo, s16
	s_cbranch_vccnz .LBB342_157
.LBB342_149:
	v_cmp_eq_u32_e32 vcc_lo, 0xff, v0
	s_and_b32 s0, vcc_lo, s23
	s_delay_alu instid0(SALU_CYCLE_1)
	s_and_saveexec_b32 s1, s0
	s_cbranch_execnz .LBB342_166
.LBB342_150:
	s_nop 0
	s_sendmsg sendmsg(MSG_DEALLOC_VGPRS)
	s_endpgm
.LBB342_151:
	s_delay_alu instid0(VALU_DEP_1)
	s_and_saveexec_b32 s16, s15
	s_cbranch_execz .LBB342_156
; %bb.152:
	s_mov_b32 s17, 0
	s_mov_b32 s15, exec_lo
	v_cmpx_ne_u16_e32 1, v13
	s_xor_b32 s15, exec_lo, s15
	s_cbranch_execnz .LBB342_203
; %bb.153:
	s_and_not1_saveexec_b32 s15, s15
	s_cbranch_execnz .LBB342_219
.LBB342_154:
	s_or_b32 exec_lo, exec_lo, s15
	s_delay_alu instid0(SALU_CYCLE_1)
	s_and_b32 exec_lo, exec_lo, s17
	s_cbranch_execz .LBB342_156
.LBB342_155:
	v_sub_nc_u32_e32 v14, v49, v4
	v_mov_b32_e32 v15, 0
	s_delay_alu instid0(VALU_DEP_1) | instskip(NEXT) | instid1(VALU_DEP_1)
	v_lshlrev_b64 v[14:15], 2, v[14:15]
	v_add_co_u32 v14, vcc_lo, v11, v14
	s_delay_alu instid0(VALU_DEP_2)
	v_add_co_ci_u32_e32 v15, vcc_lo, v12, v15, vcc_lo
	global_store_b32 v[14:15], v50, off
.LBB342_156:
	s_or_b32 exec_lo, exec_lo, s16
	s_branch .LBB342_149
.LBB342_157:
	s_mov_b32 s15, exec_lo
	v_cmpx_gt_i16_e32 2, v13
	s_cbranch_execz .LBB342_162
; %bb.158:
	s_mov_b32 s17, 0
	s_mov_b32 s16, exec_lo
	v_cmpx_ne_u16_e32 1, v13
	s_xor_b32 s16, exec_lo, s16
	s_cbranch_execnz .LBB342_220
; %bb.159:
	s_and_not1_saveexec_b32 s0, s16
	s_cbranch_execnz .LBB342_236
.LBB342_160:
	s_or_b32 exec_lo, exec_lo, s0
	s_delay_alu instid0(SALU_CYCLE_1)
	s_and_b32 exec_lo, exec_lo, s17
	s_cbranch_execz .LBB342_162
.LBB342_161:
	v_sub_nc_u32_e32 v4, v49, v4
	s_delay_alu instid0(VALU_DEP_1)
	v_lshlrev_b32_e32 v4, 2, v4
	ds_store_b32 v4, v50
.LBB342_162:
	s_or_b32 exec_lo, exec_lo, s15
	s_delay_alu instid0(SALU_CYCLE_1)
	s_mov_b32 s1, exec_lo
	s_waitcnt lgkmcnt(0)
	s_waitcnt_vscnt null, 0x0
	s_barrier
	buffer_gl0_inv
	v_cmpx_lt_u32_e64 v0, v2
	s_cbranch_execz .LBB342_165
; %bb.163:
	v_dual_mov_b32 v5, 0 :: v_dual_lshlrev_b32 v6, 2, v0
	v_mov_b32_e32 v4, v0
	s_mov_b32 s2, 0
	.p2align	6
.LBB342_164:                            ; =>This Inner Loop Header: Depth=1
	ds_load_b32 v13, v6
	v_lshlrev_b64 v[7:8], 2, v[4:5]
	v_add_nc_u32_e32 v4, 0x100, v4
	v_add_nc_u32_e32 v6, 0x400, v6
	s_delay_alu instid0(VALU_DEP_2) | instskip(NEXT) | instid1(VALU_DEP_4)
	v_cmp_ge_u32_e32 vcc_lo, v4, v2
	v_add_co_u32 v7, s0, v11, v7
	s_delay_alu instid0(VALU_DEP_1)
	v_add_co_ci_u32_e64 v8, s0, v12, v8, s0
	s_or_b32 s2, vcc_lo, s2
	s_waitcnt lgkmcnt(0)
	global_store_b32 v[7:8], v13, off
	s_and_not1_b32 exec_lo, exec_lo, s2
	s_cbranch_execnz .LBB342_164
.LBB342_165:
	s_or_b32 exec_lo, exec_lo, s1
	v_cmp_eq_u32_e32 vcc_lo, 0xff, v0
	s_and_b32 s0, vcc_lo, s23
	s_delay_alu instid0(SALU_CYCLE_1)
	s_and_saveexec_b32 s1, s0
	s_cbranch_execz .LBB342_150
.LBB342_166:
	v_add_co_u32 v0, s0, v1, v3
	s_delay_alu instid0(VALU_DEP_1) | instskip(SKIP_1) | instid1(VALU_DEP_3)
	v_add_co_ci_u32_e64 v4, null, 0, 0, s0
	v_mov_b32_e32 v2, 0
	v_add_co_u32 v3, vcc_lo, v0, v23
	s_delay_alu instid0(VALU_DEP_3)
	v_add_co_ci_u32_e32 v4, vcc_lo, v4, v24, vcc_lo
	s_cmpk_lg_i32 s33, 0xf00
	global_store_b64 v2, v[3:4], s[30:31]
	s_cbranch_scc1 .LBB342_150
; %bb.167:
	v_lshlrev_b64 v[0:1], 2, v[1:2]
	s_delay_alu instid0(VALU_DEP_1) | instskip(NEXT) | instid1(VALU_DEP_2)
	v_add_co_u32 v0, vcc_lo, v9, v0
	v_add_co_ci_u32_e32 v1, vcc_lo, v10, v1, vcc_lo
	global_store_b32 v[0:1], v80, off offset:-4
	s_nop 0
	s_sendmsg sendmsg(MSG_DEALLOC_VGPRS)
	s_endpgm
.LBB342_168:
	s_or_b32 exec_lo, exec_lo, s2
	v_mov_b32_e32 v78, s1
	s_and_saveexec_b32 s1, s41
	s_cbranch_execnz .LBB342_84
	s_branch .LBB342_85
.LBB342_169:
	s_and_saveexec_b32 s17, s14
	s_cbranch_execnz .LBB342_237
; %bb.170:
	s_or_b32 exec_lo, exec_lo, s17
	s_and_saveexec_b32 s17, s13
	s_cbranch_execnz .LBB342_238
.LBB342_171:
	s_or_b32 exec_lo, exec_lo, s17
	s_and_saveexec_b32 s17, s12
	s_cbranch_execnz .LBB342_239
.LBB342_172:
	s_or_b32 exec_lo, exec_lo, s17
	s_and_saveexec_b32 s17, s11
	s_cbranch_execnz .LBB342_240
.LBB342_173:
	s_or_b32 exec_lo, exec_lo, s17
	s_and_saveexec_b32 s17, s10
	s_cbranch_execnz .LBB342_241
.LBB342_174:
	s_or_b32 exec_lo, exec_lo, s17
	s_and_saveexec_b32 s17, s9
	s_cbranch_execnz .LBB342_242
.LBB342_175:
	s_or_b32 exec_lo, exec_lo, s17
	s_and_saveexec_b32 s17, s7
	s_cbranch_execnz .LBB342_243
.LBB342_176:
	s_or_b32 exec_lo, exec_lo, s17
	s_and_saveexec_b32 s17, s5
	s_cbranch_execnz .LBB342_244
.LBB342_177:
	s_or_b32 exec_lo, exec_lo, s17
	s_and_saveexec_b32 s17, s8
	s_cbranch_execnz .LBB342_245
.LBB342_178:
	s_or_b32 exec_lo, exec_lo, s17
	s_and_saveexec_b32 s17, s6
	s_cbranch_execnz .LBB342_246
.LBB342_179:
	s_or_b32 exec_lo, exec_lo, s17
	s_and_saveexec_b32 s17, s4
	s_cbranch_execnz .LBB342_247
.LBB342_180:
	s_or_b32 exec_lo, exec_lo, s17
	s_and_saveexec_b32 s17, s3
	s_cbranch_execnz .LBB342_248
.LBB342_181:
	s_or_b32 exec_lo, exec_lo, s17
	s_and_saveexec_b32 s17, s2
	s_cbranch_execnz .LBB342_249
.LBB342_182:
	s_or_b32 exec_lo, exec_lo, s17
	s_and_saveexec_b32 s17, s1
	s_cbranch_execz .LBB342_184
.LBB342_183:
	v_sub_nc_u32_e32 v30, v57, v3
	v_mov_b32_e32 v31, 0
	s_delay_alu instid0(VALU_DEP_1) | instskip(NEXT) | instid1(VALU_DEP_1)
	v_lshlrev_b64 v[30:31], 2, v[30:31]
	v_add_co_u32 v30, vcc_lo, v2, v30
	s_delay_alu instid0(VALU_DEP_2)
	v_add_co_ci_u32_e32 v31, vcc_lo, v4, v31, vcc_lo
	global_store_b32 v[30:31], v10, off
.LBB342_184:
	s_or_b32 exec_lo, exec_lo, s17
	s_delay_alu instid0(SALU_CYCLE_1)
	s_and_b32 s17, s0, exec_lo
	s_and_not1_saveexec_b32 s15, s15
	s_cbranch_execz .LBB342_134
.LBB342_185:
	v_sub_nc_u32_e32 v30, v53, v3
	v_mov_b32_e32 v31, 0
	s_or_b32 s17, s17, exec_lo
	s_delay_alu instid0(VALU_DEP_1) | instskip(SKIP_1) | instid1(VALU_DEP_1)
	v_lshlrev_b64 v[32:33], 2, v[30:31]
	v_sub_nc_u32_e32 v30, v59, v3
	v_lshlrev_b64 v[34:35], 2, v[30:31]
	v_sub_nc_u32_e32 v30, v55, v3
	s_delay_alu instid0(VALU_DEP_4) | instskip(SKIP_1) | instid1(VALU_DEP_3)
	v_add_co_u32 v32, vcc_lo, v2, v32
	v_add_co_ci_u32_e32 v33, vcc_lo, v4, v33, vcc_lo
	v_lshlrev_b64 v[81:82], 2, v[30:31]
	v_sub_nc_u32_e32 v30, v51, v3
	v_add_co_u32 v34, vcc_lo, v2, v34
	v_add_co_ci_u32_e32 v35, vcc_lo, v4, v35, vcc_lo
	global_store_b32 v[32:33], v21, off
	v_lshlrev_b64 v[32:33], 2, v[30:31]
	v_sub_nc_u32_e32 v30, v45, v3
	global_store_b32 v[34:35], v22, off
	v_add_co_u32 v34, vcc_lo, v2, v81
	v_add_co_ci_u32_e32 v35, vcc_lo, v4, v82, vcc_lo
	v_lshlrev_b64 v[81:82], 2, v[30:31]
	v_sub_nc_u32_e32 v30, v41, v3
	v_add_co_u32 v32, vcc_lo, v2, v32
	v_add_co_ci_u32_e32 v33, vcc_lo, v4, v33, vcc_lo
	s_delay_alu instid0(VALU_DEP_3) | instskip(SKIP_3) | instid1(VALU_DEP_3)
	v_lshlrev_b64 v[83:84], 2, v[30:31]
	v_sub_nc_u32_e32 v30, v39, v3
	v_add_co_u32 v81, vcc_lo, v2, v81
	v_add_co_ci_u32_e32 v82, vcc_lo, v4, v82, vcc_lo
	v_lshlrev_b64 v[85:86], 2, v[30:31]
	v_sub_nc_u32_e32 v30, v43, v3
	v_add_co_u32 v83, vcc_lo, v2, v83
	v_add_co_ci_u32_e32 v84, vcc_lo, v4, v84, vcc_lo
	s_clause 0x3
	global_store_b32 v[34:35], v19, off
	global_store_b32 v[32:33], v20, off
	;; [unrolled: 1-line block ×4, first 2 shown]
	v_lshlrev_b64 v[32:33], 2, v[30:31]
	v_sub_nc_u32_e32 v30, v47, v3
	v_add_co_u32 v34, vcc_lo, v2, v85
	v_add_co_ci_u32_e32 v35, vcc_lo, v4, v86, vcc_lo
	s_delay_alu instid0(VALU_DEP_3) | instskip(SKIP_3) | instid1(VALU_DEP_3)
	v_lshlrev_b64 v[81:82], 2, v[30:31]
	v_sub_nc_u32_e32 v30, v5, v3
	v_add_co_u32 v32, vcc_lo, v2, v32
	v_add_co_ci_u32_e32 v33, vcc_lo, v4, v33, vcc_lo
	v_lshlrev_b64 v[83:84], 2, v[30:31]
	v_sub_nc_u32_e32 v30, v7, v3
	v_add_co_u32 v81, vcc_lo, v2, v81
	v_add_co_ci_u32_e32 v82, vcc_lo, v4, v82, vcc_lo
	s_delay_alu instid0(VALU_DEP_3)
	v_lshlrev_b64 v[85:86], 2, v[30:31]
	v_sub_nc_u32_e32 v30, v37, v3
	v_add_co_u32 v83, vcc_lo, v2, v83
	v_add_co_ci_u32_e32 v84, vcc_lo, v4, v84, vcc_lo
	s_clause 0x3
	global_store_b32 v[34:35], v15, off
	global_store_b32 v[32:33], v16, off
	;; [unrolled: 1-line block ×4, first 2 shown]
	v_lshlrev_b64 v[32:33], 2, v[30:31]
	v_sub_nc_u32_e32 v30, v61, v3
	v_add_co_u32 v34, vcc_lo, v2, v85
	v_add_co_ci_u32_e32 v35, vcc_lo, v4, v86, vcc_lo
	s_delay_alu instid0(VALU_DEP_3) | instskip(SKIP_3) | instid1(VALU_DEP_3)
	v_lshlrev_b64 v[81:82], 2, v[30:31]
	v_sub_nc_u32_e32 v30, v57, v3
	v_add_co_u32 v32, vcc_lo, v2, v32
	v_add_co_ci_u32_e32 v33, vcc_lo, v4, v33, vcc_lo
	v_lshlrev_b64 v[30:31], 2, v[30:31]
	v_add_co_u32 v81, vcc_lo, v2, v81
	v_add_co_ci_u32_e32 v82, vcc_lo, v4, v82, vcc_lo
	s_clause 0x2
	global_store_b32 v[34:35], v11, off
	global_store_b32 v[32:33], v12, off
	;; [unrolled: 1-line block ×3, first 2 shown]
	v_add_co_u32 v30, vcc_lo, v2, v30
	v_add_co_ci_u32_e32 v31, vcc_lo, v4, v31, vcc_lo
	global_store_b32 v[30:31], v10, off
	s_or_b32 exec_lo, exec_lo, s15
	s_delay_alu instid0(SALU_CYCLE_1)
	s_and_b32 exec_lo, exec_lo, s17
	s_cbranch_execnz .LBB342_135
	s_branch .LBB342_136
.LBB342_186:
	s_and_saveexec_b32 s17, s14
	s_cbranch_execnz .LBB342_250
; %bb.187:
	s_or_b32 exec_lo, exec_lo, s17
	s_and_saveexec_b32 s14, s13
	s_cbranch_execnz .LBB342_251
.LBB342_188:
	s_or_b32 exec_lo, exec_lo, s14
	s_and_saveexec_b32 s13, s12
	s_cbranch_execnz .LBB342_252
.LBB342_189:
	s_or_b32 exec_lo, exec_lo, s13
	s_and_saveexec_b32 s12, s11
	s_cbranch_execnz .LBB342_253
.LBB342_190:
	s_or_b32 exec_lo, exec_lo, s12
	s_and_saveexec_b32 s11, s10
	s_cbranch_execnz .LBB342_254
.LBB342_191:
	s_or_b32 exec_lo, exec_lo, s11
	s_and_saveexec_b32 s10, s9
	s_cbranch_execnz .LBB342_255
.LBB342_192:
	s_or_b32 exec_lo, exec_lo, s10
	s_and_saveexec_b32 s9, s7
	s_cbranch_execnz .LBB342_256
.LBB342_193:
	s_or_b32 exec_lo, exec_lo, s9
	s_and_saveexec_b32 s7, s5
	s_cbranch_execnz .LBB342_257
.LBB342_194:
	s_or_b32 exec_lo, exec_lo, s7
	s_and_saveexec_b32 s5, s8
	s_cbranch_execnz .LBB342_258
.LBB342_195:
	s_or_b32 exec_lo, exec_lo, s5
	s_and_saveexec_b32 s5, s6
	s_cbranch_execnz .LBB342_259
.LBB342_196:
	s_or_b32 exec_lo, exec_lo, s5
	s_and_saveexec_b32 s5, s4
	s_cbranch_execnz .LBB342_260
.LBB342_197:
	s_or_b32 exec_lo, exec_lo, s5
	s_and_saveexec_b32 s4, s3
	s_cbranch_execnz .LBB342_261
.LBB342_198:
	s_or_b32 exec_lo, exec_lo, s4
	s_and_saveexec_b32 s3, s2
	s_cbranch_execnz .LBB342_262
.LBB342_199:
	s_or_b32 exec_lo, exec_lo, s3
	s_and_saveexec_b32 s2, s1
	s_cbranch_execz .LBB342_201
.LBB342_200:
	v_sub_nc_u32_e32 v9, v57, v3
	s_delay_alu instid0(VALU_DEP_1)
	v_lshlrev_b32_e32 v9, 2, v9
	ds_store_b32 v9, v10
.LBB342_201:
	s_or_b32 exec_lo, exec_lo, s2
	s_delay_alu instid0(SALU_CYCLE_1)
	s_and_b32 s17, s0, exec_lo
                                        ; implicit-def: $vgpr21
                                        ; implicit-def: $vgpr19
                                        ; implicit-def: $vgpr17
                                        ; implicit-def: $vgpr15
                                        ; implicit-def: $vgpr13
                                        ; implicit-def: $vgpr11
                                        ; implicit-def: $vgpr9
	s_and_not1_saveexec_b32 s0, s16
	s_cbranch_execz .LBB342_141
.LBB342_202:
	v_sub_nc_u32_e32 v29, v53, v3
	v_sub_nc_u32_e32 v32, v51, v3
	;; [unrolled: 1-line block ×4, first 2 shown]
	s_or_b32 s17, s17, exec_lo
	v_lshlrev_b32_e32 v29, 2, v29
	v_lshlrev_b32_e32 v32, 2, v32
	v_lshlrev_b32_e32 v30, 2, v30
	v_lshlrev_b32_e32 v31, 2, v31
	ds_store_b32 v29, v21
	ds_store_b32 v30, v22
	;; [unrolled: 1-line block ×3, first 2 shown]
	v_sub_nc_u32_e32 v19, v45, v3
	ds_store_b32 v32, v20
	v_sub_nc_u32_e32 v20, v41, v3
	v_sub_nc_u32_e32 v21, v39, v3
	;; [unrolled: 1-line block ×3, first 2 shown]
	v_lshlrev_b32_e32 v19, 2, v19
	v_sub_nc_u32_e32 v29, v47, v3
	v_lshlrev_b32_e32 v20, 2, v20
	v_lshlrev_b32_e32 v21, 2, v21
	;; [unrolled: 1-line block ×3, first 2 shown]
	ds_store_b32 v19, v17
	v_lshlrev_b32_e32 v17, 2, v29
	ds_store_b32 v20, v18
	ds_store_b32 v21, v15
	;; [unrolled: 1-line block ×3, first 2 shown]
	v_sub_nc_u32_e32 v15, v5, v3
	v_sub_nc_u32_e32 v18, v57, v3
	;; [unrolled: 1-line block ×3, first 2 shown]
	ds_store_b32 v17, v13
	v_sub_nc_u32_e32 v13, v7, v3
	v_lshlrev_b32_e32 v15, 2, v15
	v_sub_nc_u32_e32 v17, v61, v3
	v_lshlrev_b32_e32 v16, 2, v16
	s_delay_alu instid0(VALU_DEP_4)
	v_lshlrev_b32_e32 v13, 2, v13
	ds_store_b32 v15, v14
	v_lshlrev_b32_e32 v14, 2, v18
	v_lshlrev_b32_e32 v17, 2, v17
	ds_store_b32 v13, v11
	ds_store_b32 v16, v12
	ds_store_b32 v17, v9
	ds_store_b32 v14, v10
	s_or_b32 exec_lo, exec_lo, s0
	s_delay_alu instid0(SALU_CYCLE_1)
	s_and_b32 exec_lo, exec_lo, s17
	s_cbranch_execnz .LBB342_142
	s_branch .LBB342_143
.LBB342_203:
	s_and_saveexec_b32 s17, s14
	s_cbranch_execnz .LBB342_263
; %bb.204:
	s_or_b32 exec_lo, exec_lo, s17
	s_and_saveexec_b32 s17, s13
	s_cbranch_execnz .LBB342_264
.LBB342_205:
	s_or_b32 exec_lo, exec_lo, s17
	s_and_saveexec_b32 s17, s12
	s_cbranch_execnz .LBB342_265
.LBB342_206:
	s_or_b32 exec_lo, exec_lo, s17
	s_and_saveexec_b32 s17, s11
	s_cbranch_execnz .LBB342_266
.LBB342_207:
	s_or_b32 exec_lo, exec_lo, s17
	s_and_saveexec_b32 s17, s10
	s_cbranch_execnz .LBB342_267
.LBB342_208:
	s_or_b32 exec_lo, exec_lo, s17
	s_and_saveexec_b32 s17, s9
	s_cbranch_execnz .LBB342_268
.LBB342_209:
	s_or_b32 exec_lo, exec_lo, s17
	s_and_saveexec_b32 s17, s8
	s_cbranch_execnz .LBB342_269
.LBB342_210:
	s_or_b32 exec_lo, exec_lo, s17
	s_and_saveexec_b32 s17, s7
	s_cbranch_execnz .LBB342_270
.LBB342_211:
	s_or_b32 exec_lo, exec_lo, s17
	s_and_saveexec_b32 s17, s6
	s_cbranch_execnz .LBB342_271
.LBB342_212:
	s_or_b32 exec_lo, exec_lo, s17
	s_and_saveexec_b32 s17, s5
	s_cbranch_execnz .LBB342_272
.LBB342_213:
	s_or_b32 exec_lo, exec_lo, s17
	s_and_saveexec_b32 s17, s4
	s_cbranch_execnz .LBB342_273
.LBB342_214:
	s_or_b32 exec_lo, exec_lo, s17
	s_and_saveexec_b32 s17, s3
	s_cbranch_execnz .LBB342_274
.LBB342_215:
	s_or_b32 exec_lo, exec_lo, s17
	s_and_saveexec_b32 s17, s2
	s_cbranch_execnz .LBB342_275
.LBB342_216:
	s_or_b32 exec_lo, exec_lo, s17
	s_and_saveexec_b32 s17, s1
	s_cbranch_execz .LBB342_218
.LBB342_217:
	v_sub_nc_u32_e32 v14, v57, v4
	v_mov_b32_e32 v15, 0
	s_delay_alu instid0(VALU_DEP_1) | instskip(NEXT) | instid1(VALU_DEP_1)
	v_lshlrev_b64 v[14:15], 2, v[14:15]
	v_add_co_u32 v14, vcc_lo, v11, v14
	s_delay_alu instid0(VALU_DEP_2)
	v_add_co_ci_u32_e32 v15, vcc_lo, v12, v15, vcc_lo
	global_store_b32 v[14:15], v58, off
.LBB342_218:
	s_or_b32 exec_lo, exec_lo, s17
	s_delay_alu instid0(SALU_CYCLE_1)
	s_and_b32 s17, s0, exec_lo
	s_and_not1_saveexec_b32 s15, s15
	s_cbranch_execz .LBB342_154
.LBB342_219:
	v_sub_nc_u32_e32 v14, v53, v4
	v_mov_b32_e32 v15, 0
	s_or_b32 s17, s17, exec_lo
	s_delay_alu instid0(VALU_DEP_1) | instskip(SKIP_1) | instid1(VALU_DEP_1)
	v_lshlrev_b64 v[16:17], 2, v[14:15]
	v_sub_nc_u32_e32 v14, v59, v4
	v_lshlrev_b64 v[18:19], 2, v[14:15]
	v_sub_nc_u32_e32 v14, v55, v4
	s_delay_alu instid0(VALU_DEP_4) | instskip(SKIP_1) | instid1(VALU_DEP_3)
	v_add_co_u32 v16, vcc_lo, v11, v16
	v_add_co_ci_u32_e32 v17, vcc_lo, v12, v17, vcc_lo
	v_lshlrev_b64 v[20:21], 2, v[14:15]
	v_sub_nc_u32_e32 v14, v51, v4
	v_add_co_u32 v18, vcc_lo, v11, v18
	v_add_co_ci_u32_e32 v19, vcc_lo, v12, v19, vcc_lo
	global_store_b32 v[16:17], v54, off
	v_lshlrev_b64 v[16:17], 2, v[14:15]
	v_sub_nc_u32_e32 v14, v45, v4
	global_store_b32 v[18:19], v60, off
	v_add_co_u32 v18, vcc_lo, v11, v20
	v_add_co_ci_u32_e32 v19, vcc_lo, v12, v21, vcc_lo
	v_lshlrev_b64 v[20:21], 2, v[14:15]
	v_sub_nc_u32_e32 v14, v41, v4
	v_add_co_u32 v16, vcc_lo, v11, v16
	v_add_co_ci_u32_e32 v17, vcc_lo, v12, v17, vcc_lo
	s_delay_alu instid0(VALU_DEP_3) | instskip(SKIP_3) | instid1(VALU_DEP_3)
	v_lshlrev_b64 v[25:26], 2, v[14:15]
	v_sub_nc_u32_e32 v14, v39, v4
	v_add_co_u32 v20, vcc_lo, v11, v20
	v_add_co_ci_u32_e32 v21, vcc_lo, v12, v21, vcc_lo
	v_lshlrev_b64 v[27:28], 2, v[14:15]
	v_sub_nc_u32_e32 v14, v43, v4
	v_add_co_u32 v25, vcc_lo, v11, v25
	v_add_co_ci_u32_e32 v26, vcc_lo, v12, v26, vcc_lo
	s_clause 0x3
	global_store_b32 v[18:19], v56, off
	global_store_b32 v[16:17], v52, off
	;; [unrolled: 1-line block ×4, first 2 shown]
	v_lshlrev_b64 v[16:17], 2, v[14:15]
	v_sub_nc_u32_e32 v14, v47, v4
	v_add_co_u32 v18, vcc_lo, v11, v27
	v_add_co_ci_u32_e32 v19, vcc_lo, v12, v28, vcc_lo
	s_delay_alu instid0(VALU_DEP_3) | instskip(SKIP_3) | instid1(VALU_DEP_3)
	v_lshlrev_b64 v[20:21], 2, v[14:15]
	v_sub_nc_u32_e32 v14, v5, v4
	v_add_co_u32 v16, vcc_lo, v11, v16
	v_add_co_ci_u32_e32 v17, vcc_lo, v12, v17, vcc_lo
	v_lshlrev_b64 v[25:26], 2, v[14:15]
	v_sub_nc_u32_e32 v14, v7, v4
	v_add_co_u32 v20, vcc_lo, v11, v20
	v_add_co_ci_u32_e32 v21, vcc_lo, v12, v21, vcc_lo
	s_delay_alu instid0(VALU_DEP_3)
	v_lshlrev_b64 v[27:28], 2, v[14:15]
	v_sub_nc_u32_e32 v14, v37, v4
	v_add_co_u32 v25, vcc_lo, v11, v25
	v_add_co_ci_u32_e32 v26, vcc_lo, v12, v26, vcc_lo
	s_clause 0x3
	global_store_b32 v[18:19], v40, off
	global_store_b32 v[16:17], v44, off
	;; [unrolled: 1-line block ×4, first 2 shown]
	v_lshlrev_b64 v[16:17], 2, v[14:15]
	v_sub_nc_u32_e32 v14, v61, v4
	v_add_co_u32 v18, vcc_lo, v11, v27
	v_add_co_ci_u32_e32 v19, vcc_lo, v12, v28, vcc_lo
	s_delay_alu instid0(VALU_DEP_3) | instskip(SKIP_3) | instid1(VALU_DEP_3)
	v_lshlrev_b64 v[20:21], 2, v[14:15]
	v_sub_nc_u32_e32 v14, v57, v4
	v_add_co_u32 v16, vcc_lo, v11, v16
	v_add_co_ci_u32_e32 v17, vcc_lo, v12, v17, vcc_lo
	v_lshlrev_b64 v[14:15], 2, v[14:15]
	v_add_co_u32 v20, vcc_lo, v11, v20
	v_add_co_ci_u32_e32 v21, vcc_lo, v12, v21, vcc_lo
	s_clause 0x2
	global_store_b32 v[18:19], v8, off
	global_store_b32 v[16:17], v38, off
	;; [unrolled: 1-line block ×3, first 2 shown]
	v_add_co_u32 v14, vcc_lo, v11, v14
	v_add_co_ci_u32_e32 v15, vcc_lo, v12, v15, vcc_lo
	global_store_b32 v[14:15], v58, off
	s_or_b32 exec_lo, exec_lo, s15
	s_delay_alu instid0(SALU_CYCLE_1)
	s_and_b32 exec_lo, exec_lo, s17
	s_cbranch_execnz .LBB342_155
	s_branch .LBB342_156
.LBB342_220:
	s_and_saveexec_b32 s17, s14
	s_cbranch_execnz .LBB342_276
; %bb.221:
	s_or_b32 exec_lo, exec_lo, s17
	s_and_saveexec_b32 s14, s13
	s_cbranch_execnz .LBB342_277
.LBB342_222:
	s_or_b32 exec_lo, exec_lo, s14
	s_and_saveexec_b32 s13, s12
	s_cbranch_execnz .LBB342_278
.LBB342_223:
	s_or_b32 exec_lo, exec_lo, s13
	s_and_saveexec_b32 s12, s11
	s_cbranch_execnz .LBB342_279
.LBB342_224:
	s_or_b32 exec_lo, exec_lo, s12
	s_and_saveexec_b32 s11, s10
	s_cbranch_execnz .LBB342_280
.LBB342_225:
	s_or_b32 exec_lo, exec_lo, s11
	s_and_saveexec_b32 s10, s9
	s_cbranch_execnz .LBB342_281
.LBB342_226:
	s_or_b32 exec_lo, exec_lo, s10
	s_and_saveexec_b32 s9, s8
	s_cbranch_execnz .LBB342_282
.LBB342_227:
	s_or_b32 exec_lo, exec_lo, s9
	s_and_saveexec_b32 s8, s7
	s_cbranch_execnz .LBB342_283
.LBB342_228:
	s_or_b32 exec_lo, exec_lo, s8
	s_and_saveexec_b32 s7, s6
	s_cbranch_execnz .LBB342_284
.LBB342_229:
	s_or_b32 exec_lo, exec_lo, s7
	s_and_saveexec_b32 s6, s5
	s_cbranch_execnz .LBB342_285
.LBB342_230:
	s_or_b32 exec_lo, exec_lo, s6
	s_and_saveexec_b32 s5, s4
	s_cbranch_execnz .LBB342_286
.LBB342_231:
	s_or_b32 exec_lo, exec_lo, s5
	s_and_saveexec_b32 s4, s3
	s_cbranch_execnz .LBB342_287
.LBB342_232:
	s_or_b32 exec_lo, exec_lo, s4
	s_and_saveexec_b32 s3, s2
	s_cbranch_execnz .LBB342_288
.LBB342_233:
	s_or_b32 exec_lo, exec_lo, s3
	s_and_saveexec_b32 s2, s1
	s_cbranch_execz .LBB342_235
.LBB342_234:
	v_sub_nc_u32_e32 v5, v57, v4
	s_delay_alu instid0(VALU_DEP_1)
	v_lshlrev_b32_e32 v5, 2, v5
	ds_store_b32 v5, v58
.LBB342_235:
	s_or_b32 exec_lo, exec_lo, s2
	s_delay_alu instid0(SALU_CYCLE_1)
	s_and_b32 s17, s0, exec_lo
                                        ; implicit-def: $vgpr53_vgpr54
                                        ; implicit-def: $vgpr59_vgpr60
                                        ; implicit-def: $vgpr55_vgpr56
                                        ; implicit-def: $vgpr51_vgpr52
                                        ; implicit-def: $vgpr45_vgpr46
                                        ; implicit-def: $vgpr41_vgpr42
                                        ; implicit-def: $vgpr39_vgpr40
                                        ; implicit-def: $vgpr43_vgpr44
                                        ; implicit-def: $vgpr47_vgpr48
                                        ; implicit-def: $vgpr5_vgpr6
                                        ; implicit-def: $vgpr7_vgpr8
                                        ; implicit-def: $vgpr37_vgpr38
                                        ; implicit-def: $vgpr61_vgpr62
                                        ; implicit-def: $vgpr57_vgpr58
	s_and_not1_saveexec_b32 s0, s16
	s_cbranch_execz .LBB342_160
.LBB342_236:
	v_sub_nc_u32_e32 v13, v53, v4
	v_sub_nc_u32_e32 v14, v59, v4
	v_sub_nc_u32_e32 v15, v55, v4
	v_sub_nc_u32_e32 v16, v51, v4
	v_sub_nc_u32_e32 v17, v47, v4
	v_lshlrev_b32_e32 v13, 2, v13
	v_lshlrev_b32_e32 v14, 2, v14
	;; [unrolled: 1-line block ×4, first 2 shown]
	v_sub_nc_u32_e32 v5, v5, v4
	ds_store_b32 v13, v54
	ds_store_b32 v14, v60
	;; [unrolled: 1-line block ×3, first 2 shown]
	v_sub_nc_u32_e32 v13, v45, v4
	v_sub_nc_u32_e32 v14, v41, v4
	;; [unrolled: 1-line block ×3, first 2 shown]
	ds_store_b32 v16, v52
	v_sub_nc_u32_e32 v16, v43, v4
	v_lshlrev_b32_e32 v13, 2, v13
	v_lshlrev_b32_e32 v14, 2, v14
	v_lshlrev_b32_e32 v15, 2, v15
	v_sub_nc_u32_e32 v7, v7, v4
	v_lshlrev_b32_e32 v16, 2, v16
	ds_store_b32 v13, v46
	v_lshlrev_b32_e32 v13, 2, v17
	ds_store_b32 v14, v42
	ds_store_b32 v15, v40
	;; [unrolled: 1-line block ×3, first 2 shown]
	v_lshlrev_b32_e32 v5, 2, v5
	v_sub_nc_u32_e32 v15, v57, v4
	v_sub_nc_u32_e32 v14, v61, v4
	ds_store_b32 v13, v48
	v_sub_nc_u32_e32 v13, v37, v4
	v_lshlrev_b32_e32 v7, 2, v7
	ds_store_b32 v5, v6
	v_lshlrev_b32_e32 v5, 2, v15
	v_lshlrev_b32_e32 v14, 2, v14
	;; [unrolled: 1-line block ×3, first 2 shown]
	s_or_b32 s17, s17, exec_lo
	ds_store_b32 v7, v8
	ds_store_b32 v13, v38
	;; [unrolled: 1-line block ×4, first 2 shown]
	s_or_b32 exec_lo, exec_lo, s0
	s_delay_alu instid0(SALU_CYCLE_1)
	s_and_b32 exec_lo, exec_lo, s17
	s_cbranch_execnz .LBB342_161
	s_branch .LBB342_162
.LBB342_237:
	v_sub_nc_u32_e32 v30, v53, v3
	v_mov_b32_e32 v31, 0
	s_delay_alu instid0(VALU_DEP_1) | instskip(NEXT) | instid1(VALU_DEP_1)
	v_lshlrev_b64 v[30:31], 2, v[30:31]
	v_add_co_u32 v30, vcc_lo, v2, v30
	s_delay_alu instid0(VALU_DEP_2)
	v_add_co_ci_u32_e32 v31, vcc_lo, v4, v31, vcc_lo
	global_store_b32 v[30:31], v21, off
	s_or_b32 exec_lo, exec_lo, s17
	s_and_saveexec_b32 s17, s13
	s_cbranch_execz .LBB342_171
.LBB342_238:
	v_sub_nc_u32_e32 v30, v59, v3
	v_mov_b32_e32 v31, 0
	s_delay_alu instid0(VALU_DEP_1) | instskip(NEXT) | instid1(VALU_DEP_1)
	v_lshlrev_b64 v[30:31], 2, v[30:31]
	v_add_co_u32 v30, vcc_lo, v2, v30
	s_delay_alu instid0(VALU_DEP_2)
	v_add_co_ci_u32_e32 v31, vcc_lo, v4, v31, vcc_lo
	global_store_b32 v[30:31], v22, off
	s_or_b32 exec_lo, exec_lo, s17
	s_and_saveexec_b32 s17, s12
	s_cbranch_execz .LBB342_172
.LBB342_239:
	v_sub_nc_u32_e32 v30, v55, v3
	v_mov_b32_e32 v31, 0
	s_delay_alu instid0(VALU_DEP_1) | instskip(NEXT) | instid1(VALU_DEP_1)
	v_lshlrev_b64 v[30:31], 2, v[30:31]
	v_add_co_u32 v30, vcc_lo, v2, v30
	s_delay_alu instid0(VALU_DEP_2)
	v_add_co_ci_u32_e32 v31, vcc_lo, v4, v31, vcc_lo
	global_store_b32 v[30:31], v19, off
	s_or_b32 exec_lo, exec_lo, s17
	s_and_saveexec_b32 s17, s11
	s_cbranch_execz .LBB342_173
.LBB342_240:
	v_sub_nc_u32_e32 v30, v51, v3
	v_mov_b32_e32 v31, 0
	s_delay_alu instid0(VALU_DEP_1) | instskip(NEXT) | instid1(VALU_DEP_1)
	v_lshlrev_b64 v[30:31], 2, v[30:31]
	v_add_co_u32 v30, vcc_lo, v2, v30
	s_delay_alu instid0(VALU_DEP_2)
	v_add_co_ci_u32_e32 v31, vcc_lo, v4, v31, vcc_lo
	global_store_b32 v[30:31], v20, off
	s_or_b32 exec_lo, exec_lo, s17
	s_and_saveexec_b32 s17, s10
	s_cbranch_execz .LBB342_174
.LBB342_241:
	v_sub_nc_u32_e32 v30, v45, v3
	v_mov_b32_e32 v31, 0
	s_delay_alu instid0(VALU_DEP_1) | instskip(NEXT) | instid1(VALU_DEP_1)
	v_lshlrev_b64 v[30:31], 2, v[30:31]
	v_add_co_u32 v30, vcc_lo, v2, v30
	s_delay_alu instid0(VALU_DEP_2)
	v_add_co_ci_u32_e32 v31, vcc_lo, v4, v31, vcc_lo
	global_store_b32 v[30:31], v17, off
	s_or_b32 exec_lo, exec_lo, s17
	s_and_saveexec_b32 s17, s9
	s_cbranch_execz .LBB342_175
.LBB342_242:
	v_sub_nc_u32_e32 v30, v41, v3
	v_mov_b32_e32 v31, 0
	s_delay_alu instid0(VALU_DEP_1) | instskip(NEXT) | instid1(VALU_DEP_1)
	v_lshlrev_b64 v[30:31], 2, v[30:31]
	v_add_co_u32 v30, vcc_lo, v2, v30
	s_delay_alu instid0(VALU_DEP_2)
	v_add_co_ci_u32_e32 v31, vcc_lo, v4, v31, vcc_lo
	global_store_b32 v[30:31], v18, off
	s_or_b32 exec_lo, exec_lo, s17
	s_and_saveexec_b32 s17, s7
	s_cbranch_execz .LBB342_176
.LBB342_243:
	v_sub_nc_u32_e32 v30, v39, v3
	v_mov_b32_e32 v31, 0
	s_delay_alu instid0(VALU_DEP_1) | instskip(NEXT) | instid1(VALU_DEP_1)
	v_lshlrev_b64 v[30:31], 2, v[30:31]
	v_add_co_u32 v30, vcc_lo, v2, v30
	s_delay_alu instid0(VALU_DEP_2)
	v_add_co_ci_u32_e32 v31, vcc_lo, v4, v31, vcc_lo
	global_store_b32 v[30:31], v15, off
	s_or_b32 exec_lo, exec_lo, s17
	s_and_saveexec_b32 s17, s5
	s_cbranch_execz .LBB342_177
.LBB342_244:
	v_sub_nc_u32_e32 v30, v43, v3
	v_mov_b32_e32 v31, 0
	s_delay_alu instid0(VALU_DEP_1) | instskip(NEXT) | instid1(VALU_DEP_1)
	v_lshlrev_b64 v[30:31], 2, v[30:31]
	v_add_co_u32 v30, vcc_lo, v2, v30
	s_delay_alu instid0(VALU_DEP_2)
	v_add_co_ci_u32_e32 v31, vcc_lo, v4, v31, vcc_lo
	global_store_b32 v[30:31], v16, off
	s_or_b32 exec_lo, exec_lo, s17
	s_and_saveexec_b32 s17, s8
	s_cbranch_execz .LBB342_178
.LBB342_245:
	v_sub_nc_u32_e32 v30, v47, v3
	v_mov_b32_e32 v31, 0
	s_delay_alu instid0(VALU_DEP_1) | instskip(NEXT) | instid1(VALU_DEP_1)
	v_lshlrev_b64 v[30:31], 2, v[30:31]
	v_add_co_u32 v30, vcc_lo, v2, v30
	s_delay_alu instid0(VALU_DEP_2)
	v_add_co_ci_u32_e32 v31, vcc_lo, v4, v31, vcc_lo
	global_store_b32 v[30:31], v13, off
	s_or_b32 exec_lo, exec_lo, s17
	s_and_saveexec_b32 s17, s6
	s_cbranch_execz .LBB342_179
.LBB342_246:
	v_sub_nc_u32_e32 v30, v5, v3
	v_mov_b32_e32 v31, 0
	s_delay_alu instid0(VALU_DEP_1) | instskip(NEXT) | instid1(VALU_DEP_1)
	v_lshlrev_b64 v[30:31], 2, v[30:31]
	v_add_co_u32 v30, vcc_lo, v2, v30
	s_delay_alu instid0(VALU_DEP_2)
	v_add_co_ci_u32_e32 v31, vcc_lo, v4, v31, vcc_lo
	global_store_b32 v[30:31], v14, off
	s_or_b32 exec_lo, exec_lo, s17
	s_and_saveexec_b32 s17, s4
	s_cbranch_execz .LBB342_180
.LBB342_247:
	v_sub_nc_u32_e32 v30, v7, v3
	v_mov_b32_e32 v31, 0
	s_delay_alu instid0(VALU_DEP_1) | instskip(NEXT) | instid1(VALU_DEP_1)
	v_lshlrev_b64 v[30:31], 2, v[30:31]
	v_add_co_u32 v30, vcc_lo, v2, v30
	s_delay_alu instid0(VALU_DEP_2)
	v_add_co_ci_u32_e32 v31, vcc_lo, v4, v31, vcc_lo
	global_store_b32 v[30:31], v11, off
	s_or_b32 exec_lo, exec_lo, s17
	s_and_saveexec_b32 s17, s3
	s_cbranch_execz .LBB342_181
.LBB342_248:
	v_sub_nc_u32_e32 v30, v37, v3
	v_mov_b32_e32 v31, 0
	s_delay_alu instid0(VALU_DEP_1) | instskip(NEXT) | instid1(VALU_DEP_1)
	v_lshlrev_b64 v[30:31], 2, v[30:31]
	v_add_co_u32 v30, vcc_lo, v2, v30
	s_delay_alu instid0(VALU_DEP_2)
	v_add_co_ci_u32_e32 v31, vcc_lo, v4, v31, vcc_lo
	global_store_b32 v[30:31], v12, off
	s_or_b32 exec_lo, exec_lo, s17
	s_and_saveexec_b32 s17, s2
	s_cbranch_execz .LBB342_182
.LBB342_249:
	v_sub_nc_u32_e32 v30, v61, v3
	v_mov_b32_e32 v31, 0
	s_delay_alu instid0(VALU_DEP_1) | instskip(NEXT) | instid1(VALU_DEP_1)
	v_lshlrev_b64 v[30:31], 2, v[30:31]
	v_add_co_u32 v30, vcc_lo, v2, v30
	s_delay_alu instid0(VALU_DEP_2)
	v_add_co_ci_u32_e32 v31, vcc_lo, v4, v31, vcc_lo
	global_store_b32 v[30:31], v9, off
	s_or_b32 exec_lo, exec_lo, s17
	s_and_saveexec_b32 s17, s1
	s_cbranch_execnz .LBB342_183
	s_branch .LBB342_184
.LBB342_250:
	v_sub_nc_u32_e32 v29, v53, v3
	s_delay_alu instid0(VALU_DEP_1)
	v_lshlrev_b32_e32 v29, 2, v29
	ds_store_b32 v29, v21
	s_or_b32 exec_lo, exec_lo, s17
	s_and_saveexec_b32 s14, s13
	s_cbranch_execz .LBB342_188
.LBB342_251:
	v_sub_nc_u32_e32 v21, v59, v3
	s_delay_alu instid0(VALU_DEP_1)
	v_lshlrev_b32_e32 v21, 2, v21
	ds_store_b32 v21, v22
	s_or_b32 exec_lo, exec_lo, s14
	s_and_saveexec_b32 s13, s12
	s_cbranch_execz .LBB342_189
.LBB342_252:
	v_sub_nc_u32_e32 v21, v55, v3
	s_delay_alu instid0(VALU_DEP_1)
	v_lshlrev_b32_e32 v21, 2, v21
	ds_store_b32 v21, v19
	s_or_b32 exec_lo, exec_lo, s13
	s_and_saveexec_b32 s12, s11
	s_cbranch_execz .LBB342_190
.LBB342_253:
	v_sub_nc_u32_e32 v19, v51, v3
	s_delay_alu instid0(VALU_DEP_1)
	v_lshlrev_b32_e32 v19, 2, v19
	ds_store_b32 v19, v20
	s_or_b32 exec_lo, exec_lo, s12
	s_and_saveexec_b32 s11, s10
	s_cbranch_execz .LBB342_191
.LBB342_254:
	v_sub_nc_u32_e32 v19, v45, v3
	s_delay_alu instid0(VALU_DEP_1)
	v_lshlrev_b32_e32 v19, 2, v19
	ds_store_b32 v19, v17
	s_or_b32 exec_lo, exec_lo, s11
	s_and_saveexec_b32 s10, s9
	s_cbranch_execz .LBB342_192
.LBB342_255:
	v_sub_nc_u32_e32 v17, v41, v3
	s_delay_alu instid0(VALU_DEP_1)
	v_lshlrev_b32_e32 v17, 2, v17
	ds_store_b32 v17, v18
	s_or_b32 exec_lo, exec_lo, s10
	s_and_saveexec_b32 s9, s7
	s_cbranch_execz .LBB342_193
.LBB342_256:
	v_sub_nc_u32_e32 v17, v39, v3
	s_delay_alu instid0(VALU_DEP_1)
	v_lshlrev_b32_e32 v17, 2, v17
	ds_store_b32 v17, v15
	s_or_b32 exec_lo, exec_lo, s9
	s_and_saveexec_b32 s7, s5
	s_cbranch_execz .LBB342_194
.LBB342_257:
	v_sub_nc_u32_e32 v15, v43, v3
	s_delay_alu instid0(VALU_DEP_1)
	v_lshlrev_b32_e32 v15, 2, v15
	ds_store_b32 v15, v16
	s_or_b32 exec_lo, exec_lo, s7
	s_and_saveexec_b32 s5, s8
	s_cbranch_execz .LBB342_195
.LBB342_258:
	v_sub_nc_u32_e32 v15, v47, v3
	s_delay_alu instid0(VALU_DEP_1)
	v_lshlrev_b32_e32 v15, 2, v15
	ds_store_b32 v15, v13
	s_or_b32 exec_lo, exec_lo, s5
	s_and_saveexec_b32 s5, s6
	s_cbranch_execz .LBB342_196
.LBB342_259:
	v_sub_nc_u32_e32 v13, v5, v3
	s_delay_alu instid0(VALU_DEP_1)
	v_lshlrev_b32_e32 v13, 2, v13
	ds_store_b32 v13, v14
	s_or_b32 exec_lo, exec_lo, s5
	s_and_saveexec_b32 s5, s4
	s_cbranch_execz .LBB342_197
.LBB342_260:
	v_sub_nc_u32_e32 v13, v7, v3
	s_delay_alu instid0(VALU_DEP_1)
	v_lshlrev_b32_e32 v13, 2, v13
	ds_store_b32 v13, v11
	s_or_b32 exec_lo, exec_lo, s5
	s_and_saveexec_b32 s4, s3
	s_cbranch_execz .LBB342_198
.LBB342_261:
	v_sub_nc_u32_e32 v11, v37, v3
	s_delay_alu instid0(VALU_DEP_1)
	v_lshlrev_b32_e32 v11, 2, v11
	ds_store_b32 v11, v12
	s_or_b32 exec_lo, exec_lo, s4
	s_and_saveexec_b32 s3, s2
	s_cbranch_execz .LBB342_199
.LBB342_262:
	v_sub_nc_u32_e32 v11, v61, v3
	s_delay_alu instid0(VALU_DEP_1)
	v_lshlrev_b32_e32 v11, 2, v11
	ds_store_b32 v11, v9
	s_or_b32 exec_lo, exec_lo, s3
	s_and_saveexec_b32 s2, s1
	s_cbranch_execnz .LBB342_200
	s_branch .LBB342_201
.LBB342_263:
	v_sub_nc_u32_e32 v14, v53, v4
	v_mov_b32_e32 v15, 0
	s_delay_alu instid0(VALU_DEP_1) | instskip(NEXT) | instid1(VALU_DEP_1)
	v_lshlrev_b64 v[14:15], 2, v[14:15]
	v_add_co_u32 v14, vcc_lo, v11, v14
	s_delay_alu instid0(VALU_DEP_2)
	v_add_co_ci_u32_e32 v15, vcc_lo, v12, v15, vcc_lo
	global_store_b32 v[14:15], v54, off
	s_or_b32 exec_lo, exec_lo, s17
	s_and_saveexec_b32 s17, s13
	s_cbranch_execz .LBB342_205
.LBB342_264:
	v_sub_nc_u32_e32 v14, v59, v4
	v_mov_b32_e32 v15, 0
	s_delay_alu instid0(VALU_DEP_1) | instskip(NEXT) | instid1(VALU_DEP_1)
	v_lshlrev_b64 v[14:15], 2, v[14:15]
	v_add_co_u32 v14, vcc_lo, v11, v14
	s_delay_alu instid0(VALU_DEP_2)
	v_add_co_ci_u32_e32 v15, vcc_lo, v12, v15, vcc_lo
	global_store_b32 v[14:15], v60, off
	s_or_b32 exec_lo, exec_lo, s17
	s_and_saveexec_b32 s17, s12
	s_cbranch_execz .LBB342_206
.LBB342_265:
	v_sub_nc_u32_e32 v14, v55, v4
	v_mov_b32_e32 v15, 0
	s_delay_alu instid0(VALU_DEP_1) | instskip(NEXT) | instid1(VALU_DEP_1)
	v_lshlrev_b64 v[14:15], 2, v[14:15]
	v_add_co_u32 v14, vcc_lo, v11, v14
	s_delay_alu instid0(VALU_DEP_2)
	v_add_co_ci_u32_e32 v15, vcc_lo, v12, v15, vcc_lo
	global_store_b32 v[14:15], v56, off
	s_or_b32 exec_lo, exec_lo, s17
	s_and_saveexec_b32 s17, s11
	s_cbranch_execz .LBB342_207
.LBB342_266:
	v_sub_nc_u32_e32 v14, v51, v4
	v_mov_b32_e32 v15, 0
	s_delay_alu instid0(VALU_DEP_1) | instskip(NEXT) | instid1(VALU_DEP_1)
	v_lshlrev_b64 v[14:15], 2, v[14:15]
	v_add_co_u32 v14, vcc_lo, v11, v14
	s_delay_alu instid0(VALU_DEP_2)
	v_add_co_ci_u32_e32 v15, vcc_lo, v12, v15, vcc_lo
	global_store_b32 v[14:15], v52, off
	s_or_b32 exec_lo, exec_lo, s17
	s_and_saveexec_b32 s17, s10
	s_cbranch_execz .LBB342_208
.LBB342_267:
	v_sub_nc_u32_e32 v14, v45, v4
	v_mov_b32_e32 v15, 0
	s_delay_alu instid0(VALU_DEP_1) | instskip(NEXT) | instid1(VALU_DEP_1)
	v_lshlrev_b64 v[14:15], 2, v[14:15]
	v_add_co_u32 v14, vcc_lo, v11, v14
	s_delay_alu instid0(VALU_DEP_2)
	v_add_co_ci_u32_e32 v15, vcc_lo, v12, v15, vcc_lo
	global_store_b32 v[14:15], v46, off
	s_or_b32 exec_lo, exec_lo, s17
	s_and_saveexec_b32 s17, s9
	s_cbranch_execz .LBB342_209
.LBB342_268:
	v_sub_nc_u32_e32 v14, v41, v4
	v_mov_b32_e32 v15, 0
	s_delay_alu instid0(VALU_DEP_1) | instskip(NEXT) | instid1(VALU_DEP_1)
	v_lshlrev_b64 v[14:15], 2, v[14:15]
	v_add_co_u32 v14, vcc_lo, v11, v14
	s_delay_alu instid0(VALU_DEP_2)
	v_add_co_ci_u32_e32 v15, vcc_lo, v12, v15, vcc_lo
	global_store_b32 v[14:15], v42, off
	s_or_b32 exec_lo, exec_lo, s17
	s_and_saveexec_b32 s17, s8
	s_cbranch_execz .LBB342_210
.LBB342_269:
	v_sub_nc_u32_e32 v14, v39, v4
	v_mov_b32_e32 v15, 0
	s_delay_alu instid0(VALU_DEP_1) | instskip(NEXT) | instid1(VALU_DEP_1)
	v_lshlrev_b64 v[14:15], 2, v[14:15]
	v_add_co_u32 v14, vcc_lo, v11, v14
	s_delay_alu instid0(VALU_DEP_2)
	v_add_co_ci_u32_e32 v15, vcc_lo, v12, v15, vcc_lo
	global_store_b32 v[14:15], v40, off
	s_or_b32 exec_lo, exec_lo, s17
	s_and_saveexec_b32 s17, s7
	s_cbranch_execz .LBB342_211
.LBB342_270:
	v_sub_nc_u32_e32 v14, v43, v4
	v_mov_b32_e32 v15, 0
	s_delay_alu instid0(VALU_DEP_1) | instskip(NEXT) | instid1(VALU_DEP_1)
	v_lshlrev_b64 v[14:15], 2, v[14:15]
	v_add_co_u32 v14, vcc_lo, v11, v14
	s_delay_alu instid0(VALU_DEP_2)
	v_add_co_ci_u32_e32 v15, vcc_lo, v12, v15, vcc_lo
	global_store_b32 v[14:15], v44, off
	s_or_b32 exec_lo, exec_lo, s17
	s_and_saveexec_b32 s17, s6
	s_cbranch_execz .LBB342_212
.LBB342_271:
	v_sub_nc_u32_e32 v14, v47, v4
	v_mov_b32_e32 v15, 0
	s_delay_alu instid0(VALU_DEP_1) | instskip(NEXT) | instid1(VALU_DEP_1)
	v_lshlrev_b64 v[14:15], 2, v[14:15]
	v_add_co_u32 v14, vcc_lo, v11, v14
	s_delay_alu instid0(VALU_DEP_2)
	v_add_co_ci_u32_e32 v15, vcc_lo, v12, v15, vcc_lo
	global_store_b32 v[14:15], v48, off
	s_or_b32 exec_lo, exec_lo, s17
	s_and_saveexec_b32 s17, s5
	s_cbranch_execz .LBB342_213
.LBB342_272:
	v_sub_nc_u32_e32 v14, v5, v4
	v_mov_b32_e32 v15, 0
	s_delay_alu instid0(VALU_DEP_1) | instskip(NEXT) | instid1(VALU_DEP_1)
	v_lshlrev_b64 v[14:15], 2, v[14:15]
	v_add_co_u32 v14, vcc_lo, v11, v14
	s_delay_alu instid0(VALU_DEP_2)
	v_add_co_ci_u32_e32 v15, vcc_lo, v12, v15, vcc_lo
	global_store_b32 v[14:15], v6, off
	s_or_b32 exec_lo, exec_lo, s17
	s_and_saveexec_b32 s17, s4
	s_cbranch_execz .LBB342_214
.LBB342_273:
	v_sub_nc_u32_e32 v14, v7, v4
	v_mov_b32_e32 v15, 0
	s_delay_alu instid0(VALU_DEP_1) | instskip(NEXT) | instid1(VALU_DEP_1)
	v_lshlrev_b64 v[14:15], 2, v[14:15]
	v_add_co_u32 v14, vcc_lo, v11, v14
	s_delay_alu instid0(VALU_DEP_2)
	v_add_co_ci_u32_e32 v15, vcc_lo, v12, v15, vcc_lo
	global_store_b32 v[14:15], v8, off
	s_or_b32 exec_lo, exec_lo, s17
	s_and_saveexec_b32 s17, s3
	s_cbranch_execz .LBB342_215
.LBB342_274:
	v_sub_nc_u32_e32 v14, v37, v4
	v_mov_b32_e32 v15, 0
	s_delay_alu instid0(VALU_DEP_1) | instskip(NEXT) | instid1(VALU_DEP_1)
	v_lshlrev_b64 v[14:15], 2, v[14:15]
	v_add_co_u32 v14, vcc_lo, v11, v14
	s_delay_alu instid0(VALU_DEP_2)
	v_add_co_ci_u32_e32 v15, vcc_lo, v12, v15, vcc_lo
	global_store_b32 v[14:15], v38, off
	s_or_b32 exec_lo, exec_lo, s17
	s_and_saveexec_b32 s17, s2
	s_cbranch_execz .LBB342_216
.LBB342_275:
	v_sub_nc_u32_e32 v14, v61, v4
	v_mov_b32_e32 v15, 0
	s_delay_alu instid0(VALU_DEP_1) | instskip(NEXT) | instid1(VALU_DEP_1)
	v_lshlrev_b64 v[14:15], 2, v[14:15]
	v_add_co_u32 v14, vcc_lo, v11, v14
	s_delay_alu instid0(VALU_DEP_2)
	v_add_co_ci_u32_e32 v15, vcc_lo, v12, v15, vcc_lo
	global_store_b32 v[14:15], v62, off
	s_or_b32 exec_lo, exec_lo, s17
	s_and_saveexec_b32 s17, s1
	s_cbranch_execnz .LBB342_217
	s_branch .LBB342_218
.LBB342_276:
	v_sub_nc_u32_e32 v13, v53, v4
	s_delay_alu instid0(VALU_DEP_1)
	v_lshlrev_b32_e32 v13, 2, v13
	ds_store_b32 v13, v54
	s_or_b32 exec_lo, exec_lo, s17
	s_and_saveexec_b32 s14, s13
	s_cbranch_execz .LBB342_222
.LBB342_277:
	v_sub_nc_u32_e32 v13, v59, v4
	s_delay_alu instid0(VALU_DEP_1)
	v_lshlrev_b32_e32 v13, 2, v13
	ds_store_b32 v13, v60
	s_or_b32 exec_lo, exec_lo, s14
	s_and_saveexec_b32 s13, s12
	s_cbranch_execz .LBB342_223
.LBB342_278:
	v_sub_nc_u32_e32 v13, v55, v4
	s_delay_alu instid0(VALU_DEP_1)
	v_lshlrev_b32_e32 v13, 2, v13
	ds_store_b32 v13, v56
	s_or_b32 exec_lo, exec_lo, s13
	s_and_saveexec_b32 s12, s11
	s_cbranch_execz .LBB342_224
.LBB342_279:
	v_sub_nc_u32_e32 v13, v51, v4
	s_delay_alu instid0(VALU_DEP_1)
	v_lshlrev_b32_e32 v13, 2, v13
	ds_store_b32 v13, v52
	s_or_b32 exec_lo, exec_lo, s12
	s_and_saveexec_b32 s11, s10
	s_cbranch_execz .LBB342_225
.LBB342_280:
	v_sub_nc_u32_e32 v13, v45, v4
	s_delay_alu instid0(VALU_DEP_1)
	v_lshlrev_b32_e32 v13, 2, v13
	ds_store_b32 v13, v46
	s_or_b32 exec_lo, exec_lo, s11
	s_and_saveexec_b32 s10, s9
	s_cbranch_execz .LBB342_226
.LBB342_281:
	v_sub_nc_u32_e32 v13, v41, v4
	s_delay_alu instid0(VALU_DEP_1)
	v_lshlrev_b32_e32 v13, 2, v13
	ds_store_b32 v13, v42
	s_or_b32 exec_lo, exec_lo, s10
	s_and_saveexec_b32 s9, s8
	s_cbranch_execz .LBB342_227
.LBB342_282:
	v_sub_nc_u32_e32 v13, v39, v4
	s_delay_alu instid0(VALU_DEP_1)
	v_lshlrev_b32_e32 v13, 2, v13
	ds_store_b32 v13, v40
	s_or_b32 exec_lo, exec_lo, s9
	s_and_saveexec_b32 s8, s7
	s_cbranch_execz .LBB342_228
.LBB342_283:
	v_sub_nc_u32_e32 v13, v43, v4
	s_delay_alu instid0(VALU_DEP_1)
	v_lshlrev_b32_e32 v13, 2, v13
	ds_store_b32 v13, v44
	s_or_b32 exec_lo, exec_lo, s8
	s_and_saveexec_b32 s7, s6
	s_cbranch_execz .LBB342_229
.LBB342_284:
	v_sub_nc_u32_e32 v13, v47, v4
	s_delay_alu instid0(VALU_DEP_1)
	v_lshlrev_b32_e32 v13, 2, v13
	ds_store_b32 v13, v48
	s_or_b32 exec_lo, exec_lo, s7
	s_and_saveexec_b32 s6, s5
	s_cbranch_execz .LBB342_230
.LBB342_285:
	v_sub_nc_u32_e32 v5, v5, v4
	s_delay_alu instid0(VALU_DEP_1)
	v_lshlrev_b32_e32 v5, 2, v5
	ds_store_b32 v5, v6
	s_or_b32 exec_lo, exec_lo, s6
	s_and_saveexec_b32 s5, s4
	s_cbranch_execz .LBB342_231
.LBB342_286:
	v_sub_nc_u32_e32 v5, v7, v4
	s_delay_alu instid0(VALU_DEP_1)
	v_lshlrev_b32_e32 v5, 2, v5
	ds_store_b32 v5, v8
	s_or_b32 exec_lo, exec_lo, s5
	s_and_saveexec_b32 s4, s3
	s_cbranch_execz .LBB342_232
.LBB342_287:
	v_sub_nc_u32_e32 v5, v37, v4
	s_delay_alu instid0(VALU_DEP_1)
	v_lshlrev_b32_e32 v5, 2, v5
	ds_store_b32 v5, v38
	s_or_b32 exec_lo, exec_lo, s4
	s_and_saveexec_b32 s3, s2
	s_cbranch_execz .LBB342_233
.LBB342_288:
	v_sub_nc_u32_e32 v5, v61, v4
	s_delay_alu instid0(VALU_DEP_1)
	v_lshlrev_b32_e32 v5, 2, v5
	ds_store_b32 v5, v62
	s_or_b32 exec_lo, exec_lo, s3
	s_and_saveexec_b32 s2, s1
	s_cbranch_execnz .LBB342_234
	s_branch .LBB342_235
	.section	.rodata,"a",@progbits
	.p2align	6, 0x0
	.amdhsa_kernel _ZN7rocprim17ROCPRIM_400000_NS6detail17trampoline_kernelINS0_14default_configENS1_29reduce_by_key_config_selectorIjjN6thrust23THRUST_200600_302600_NS4plusIjEEEEZZNS1_33reduce_by_key_impl_wrapped_configILNS1_25lookback_scan_determinismE0ES3_S9_NS6_6detail15normal_iteratorINS6_10device_ptrIjEEEESG_SG_SG_PmS8_NS6_8equal_toIjEEEE10hipError_tPvRmT2_T3_mT4_T5_T6_T7_T8_P12ihipStream_tbENKUlT_T0_E_clISt17integral_constantIbLb1EES10_IbLb0EEEEDaSW_SX_EUlSW_E_NS1_11comp_targetILNS1_3genE9ELNS1_11target_archE1100ELNS1_3gpuE3ELNS1_3repE0EEENS1_30default_config_static_selectorELNS0_4arch9wavefront6targetE0EEEvT1_
		.amdhsa_group_segment_fixed_size 15360
		.amdhsa_private_segment_fixed_size 0
		.amdhsa_kernarg_size 120
		.amdhsa_user_sgpr_count 15
		.amdhsa_user_sgpr_dispatch_ptr 0
		.amdhsa_user_sgpr_queue_ptr 0
		.amdhsa_user_sgpr_kernarg_segment_ptr 1
		.amdhsa_user_sgpr_dispatch_id 0
		.amdhsa_user_sgpr_private_segment_size 0
		.amdhsa_wavefront_size32 1
		.amdhsa_uses_dynamic_stack 0
		.amdhsa_enable_private_segment 0
		.amdhsa_system_sgpr_workgroup_id_x 1
		.amdhsa_system_sgpr_workgroup_id_y 0
		.amdhsa_system_sgpr_workgroup_id_z 0
		.amdhsa_system_sgpr_workgroup_info 0
		.amdhsa_system_vgpr_workitem_id 0
		.amdhsa_next_free_vgpr 87
		.amdhsa_next_free_sgpr 48
		.amdhsa_reserve_vcc 1
		.amdhsa_float_round_mode_32 0
		.amdhsa_float_round_mode_16_64 0
		.amdhsa_float_denorm_mode_32 3
		.amdhsa_float_denorm_mode_16_64 3
		.amdhsa_dx10_clamp 1
		.amdhsa_ieee_mode 1
		.amdhsa_fp16_overflow 0
		.amdhsa_workgroup_processor_mode 1
		.amdhsa_memory_ordered 1
		.amdhsa_forward_progress 0
		.amdhsa_shared_vgpr_count 0
		.amdhsa_exception_fp_ieee_invalid_op 0
		.amdhsa_exception_fp_denorm_src 0
		.amdhsa_exception_fp_ieee_div_zero 0
		.amdhsa_exception_fp_ieee_overflow 0
		.amdhsa_exception_fp_ieee_underflow 0
		.amdhsa_exception_fp_ieee_inexact 0
		.amdhsa_exception_int_div_zero 0
	.end_amdhsa_kernel
	.section	.text._ZN7rocprim17ROCPRIM_400000_NS6detail17trampoline_kernelINS0_14default_configENS1_29reduce_by_key_config_selectorIjjN6thrust23THRUST_200600_302600_NS4plusIjEEEEZZNS1_33reduce_by_key_impl_wrapped_configILNS1_25lookback_scan_determinismE0ES3_S9_NS6_6detail15normal_iteratorINS6_10device_ptrIjEEEESG_SG_SG_PmS8_NS6_8equal_toIjEEEE10hipError_tPvRmT2_T3_mT4_T5_T6_T7_T8_P12ihipStream_tbENKUlT_T0_E_clISt17integral_constantIbLb1EES10_IbLb0EEEEDaSW_SX_EUlSW_E_NS1_11comp_targetILNS1_3genE9ELNS1_11target_archE1100ELNS1_3gpuE3ELNS1_3repE0EEENS1_30default_config_static_selectorELNS0_4arch9wavefront6targetE0EEEvT1_,"axG",@progbits,_ZN7rocprim17ROCPRIM_400000_NS6detail17trampoline_kernelINS0_14default_configENS1_29reduce_by_key_config_selectorIjjN6thrust23THRUST_200600_302600_NS4plusIjEEEEZZNS1_33reduce_by_key_impl_wrapped_configILNS1_25lookback_scan_determinismE0ES3_S9_NS6_6detail15normal_iteratorINS6_10device_ptrIjEEEESG_SG_SG_PmS8_NS6_8equal_toIjEEEE10hipError_tPvRmT2_T3_mT4_T5_T6_T7_T8_P12ihipStream_tbENKUlT_T0_E_clISt17integral_constantIbLb1EES10_IbLb0EEEEDaSW_SX_EUlSW_E_NS1_11comp_targetILNS1_3genE9ELNS1_11target_archE1100ELNS1_3gpuE3ELNS1_3repE0EEENS1_30default_config_static_selectorELNS0_4arch9wavefront6targetE0EEEvT1_,comdat
.Lfunc_end342:
	.size	_ZN7rocprim17ROCPRIM_400000_NS6detail17trampoline_kernelINS0_14default_configENS1_29reduce_by_key_config_selectorIjjN6thrust23THRUST_200600_302600_NS4plusIjEEEEZZNS1_33reduce_by_key_impl_wrapped_configILNS1_25lookback_scan_determinismE0ES3_S9_NS6_6detail15normal_iteratorINS6_10device_ptrIjEEEESG_SG_SG_PmS8_NS6_8equal_toIjEEEE10hipError_tPvRmT2_T3_mT4_T5_T6_T7_T8_P12ihipStream_tbENKUlT_T0_E_clISt17integral_constantIbLb1EES10_IbLb0EEEEDaSW_SX_EUlSW_E_NS1_11comp_targetILNS1_3genE9ELNS1_11target_archE1100ELNS1_3gpuE3ELNS1_3repE0EEENS1_30default_config_static_selectorELNS0_4arch9wavefront6targetE0EEEvT1_, .Lfunc_end342-_ZN7rocprim17ROCPRIM_400000_NS6detail17trampoline_kernelINS0_14default_configENS1_29reduce_by_key_config_selectorIjjN6thrust23THRUST_200600_302600_NS4plusIjEEEEZZNS1_33reduce_by_key_impl_wrapped_configILNS1_25lookback_scan_determinismE0ES3_S9_NS6_6detail15normal_iteratorINS6_10device_ptrIjEEEESG_SG_SG_PmS8_NS6_8equal_toIjEEEE10hipError_tPvRmT2_T3_mT4_T5_T6_T7_T8_P12ihipStream_tbENKUlT_T0_E_clISt17integral_constantIbLb1EES10_IbLb0EEEEDaSW_SX_EUlSW_E_NS1_11comp_targetILNS1_3genE9ELNS1_11target_archE1100ELNS1_3gpuE3ELNS1_3repE0EEENS1_30default_config_static_selectorELNS0_4arch9wavefront6targetE0EEEvT1_
                                        ; -- End function
	.section	.AMDGPU.csdata,"",@progbits
; Kernel info:
; codeLenInByte = 17356
; NumSgprs: 50
; NumVgprs: 87
; ScratchSize: 0
; MemoryBound: 0
; FloatMode: 240
; IeeeMode: 1
; LDSByteSize: 15360 bytes/workgroup (compile time only)
; SGPRBlocks: 6
; VGPRBlocks: 10
; NumSGPRsForWavesPerEU: 50
; NumVGPRsForWavesPerEU: 87
; Occupancy: 16
; WaveLimiterHint : 1
; COMPUTE_PGM_RSRC2:SCRATCH_EN: 0
; COMPUTE_PGM_RSRC2:USER_SGPR: 15
; COMPUTE_PGM_RSRC2:TRAP_HANDLER: 0
; COMPUTE_PGM_RSRC2:TGID_X_EN: 1
; COMPUTE_PGM_RSRC2:TGID_Y_EN: 0
; COMPUTE_PGM_RSRC2:TGID_Z_EN: 0
; COMPUTE_PGM_RSRC2:TIDIG_COMP_CNT: 0
	.section	.text._ZN7rocprim17ROCPRIM_400000_NS6detail17trampoline_kernelINS0_14default_configENS1_29reduce_by_key_config_selectorIjjN6thrust23THRUST_200600_302600_NS4plusIjEEEEZZNS1_33reduce_by_key_impl_wrapped_configILNS1_25lookback_scan_determinismE0ES3_S9_NS6_6detail15normal_iteratorINS6_10device_ptrIjEEEESG_SG_SG_PmS8_NS6_8equal_toIjEEEE10hipError_tPvRmT2_T3_mT4_T5_T6_T7_T8_P12ihipStream_tbENKUlT_T0_E_clISt17integral_constantIbLb1EES10_IbLb0EEEEDaSW_SX_EUlSW_E_NS1_11comp_targetILNS1_3genE8ELNS1_11target_archE1030ELNS1_3gpuE2ELNS1_3repE0EEENS1_30default_config_static_selectorELNS0_4arch9wavefront6targetE0EEEvT1_,"axG",@progbits,_ZN7rocprim17ROCPRIM_400000_NS6detail17trampoline_kernelINS0_14default_configENS1_29reduce_by_key_config_selectorIjjN6thrust23THRUST_200600_302600_NS4plusIjEEEEZZNS1_33reduce_by_key_impl_wrapped_configILNS1_25lookback_scan_determinismE0ES3_S9_NS6_6detail15normal_iteratorINS6_10device_ptrIjEEEESG_SG_SG_PmS8_NS6_8equal_toIjEEEE10hipError_tPvRmT2_T3_mT4_T5_T6_T7_T8_P12ihipStream_tbENKUlT_T0_E_clISt17integral_constantIbLb1EES10_IbLb0EEEEDaSW_SX_EUlSW_E_NS1_11comp_targetILNS1_3genE8ELNS1_11target_archE1030ELNS1_3gpuE2ELNS1_3repE0EEENS1_30default_config_static_selectorELNS0_4arch9wavefront6targetE0EEEvT1_,comdat
	.protected	_ZN7rocprim17ROCPRIM_400000_NS6detail17trampoline_kernelINS0_14default_configENS1_29reduce_by_key_config_selectorIjjN6thrust23THRUST_200600_302600_NS4plusIjEEEEZZNS1_33reduce_by_key_impl_wrapped_configILNS1_25lookback_scan_determinismE0ES3_S9_NS6_6detail15normal_iteratorINS6_10device_ptrIjEEEESG_SG_SG_PmS8_NS6_8equal_toIjEEEE10hipError_tPvRmT2_T3_mT4_T5_T6_T7_T8_P12ihipStream_tbENKUlT_T0_E_clISt17integral_constantIbLb1EES10_IbLb0EEEEDaSW_SX_EUlSW_E_NS1_11comp_targetILNS1_3genE8ELNS1_11target_archE1030ELNS1_3gpuE2ELNS1_3repE0EEENS1_30default_config_static_selectorELNS0_4arch9wavefront6targetE0EEEvT1_ ; -- Begin function _ZN7rocprim17ROCPRIM_400000_NS6detail17trampoline_kernelINS0_14default_configENS1_29reduce_by_key_config_selectorIjjN6thrust23THRUST_200600_302600_NS4plusIjEEEEZZNS1_33reduce_by_key_impl_wrapped_configILNS1_25lookback_scan_determinismE0ES3_S9_NS6_6detail15normal_iteratorINS6_10device_ptrIjEEEESG_SG_SG_PmS8_NS6_8equal_toIjEEEE10hipError_tPvRmT2_T3_mT4_T5_T6_T7_T8_P12ihipStream_tbENKUlT_T0_E_clISt17integral_constantIbLb1EES10_IbLb0EEEEDaSW_SX_EUlSW_E_NS1_11comp_targetILNS1_3genE8ELNS1_11target_archE1030ELNS1_3gpuE2ELNS1_3repE0EEENS1_30default_config_static_selectorELNS0_4arch9wavefront6targetE0EEEvT1_
	.globl	_ZN7rocprim17ROCPRIM_400000_NS6detail17trampoline_kernelINS0_14default_configENS1_29reduce_by_key_config_selectorIjjN6thrust23THRUST_200600_302600_NS4plusIjEEEEZZNS1_33reduce_by_key_impl_wrapped_configILNS1_25lookback_scan_determinismE0ES3_S9_NS6_6detail15normal_iteratorINS6_10device_ptrIjEEEESG_SG_SG_PmS8_NS6_8equal_toIjEEEE10hipError_tPvRmT2_T3_mT4_T5_T6_T7_T8_P12ihipStream_tbENKUlT_T0_E_clISt17integral_constantIbLb1EES10_IbLb0EEEEDaSW_SX_EUlSW_E_NS1_11comp_targetILNS1_3genE8ELNS1_11target_archE1030ELNS1_3gpuE2ELNS1_3repE0EEENS1_30default_config_static_selectorELNS0_4arch9wavefront6targetE0EEEvT1_
	.p2align	8
	.type	_ZN7rocprim17ROCPRIM_400000_NS6detail17trampoline_kernelINS0_14default_configENS1_29reduce_by_key_config_selectorIjjN6thrust23THRUST_200600_302600_NS4plusIjEEEEZZNS1_33reduce_by_key_impl_wrapped_configILNS1_25lookback_scan_determinismE0ES3_S9_NS6_6detail15normal_iteratorINS6_10device_ptrIjEEEESG_SG_SG_PmS8_NS6_8equal_toIjEEEE10hipError_tPvRmT2_T3_mT4_T5_T6_T7_T8_P12ihipStream_tbENKUlT_T0_E_clISt17integral_constantIbLb1EES10_IbLb0EEEEDaSW_SX_EUlSW_E_NS1_11comp_targetILNS1_3genE8ELNS1_11target_archE1030ELNS1_3gpuE2ELNS1_3repE0EEENS1_30default_config_static_selectorELNS0_4arch9wavefront6targetE0EEEvT1_,@function
_ZN7rocprim17ROCPRIM_400000_NS6detail17trampoline_kernelINS0_14default_configENS1_29reduce_by_key_config_selectorIjjN6thrust23THRUST_200600_302600_NS4plusIjEEEEZZNS1_33reduce_by_key_impl_wrapped_configILNS1_25lookback_scan_determinismE0ES3_S9_NS6_6detail15normal_iteratorINS6_10device_ptrIjEEEESG_SG_SG_PmS8_NS6_8equal_toIjEEEE10hipError_tPvRmT2_T3_mT4_T5_T6_T7_T8_P12ihipStream_tbENKUlT_T0_E_clISt17integral_constantIbLb1EES10_IbLb0EEEEDaSW_SX_EUlSW_E_NS1_11comp_targetILNS1_3genE8ELNS1_11target_archE1030ELNS1_3gpuE2ELNS1_3repE0EEENS1_30default_config_static_selectorELNS0_4arch9wavefront6targetE0EEEvT1_: ; @_ZN7rocprim17ROCPRIM_400000_NS6detail17trampoline_kernelINS0_14default_configENS1_29reduce_by_key_config_selectorIjjN6thrust23THRUST_200600_302600_NS4plusIjEEEEZZNS1_33reduce_by_key_impl_wrapped_configILNS1_25lookback_scan_determinismE0ES3_S9_NS6_6detail15normal_iteratorINS6_10device_ptrIjEEEESG_SG_SG_PmS8_NS6_8equal_toIjEEEE10hipError_tPvRmT2_T3_mT4_T5_T6_T7_T8_P12ihipStream_tbENKUlT_T0_E_clISt17integral_constantIbLb1EES10_IbLb0EEEEDaSW_SX_EUlSW_E_NS1_11comp_targetILNS1_3genE8ELNS1_11target_archE1030ELNS1_3gpuE2ELNS1_3repE0EEENS1_30default_config_static_selectorELNS0_4arch9wavefront6targetE0EEEvT1_
; %bb.0:
	.section	.rodata,"a",@progbits
	.p2align	6, 0x0
	.amdhsa_kernel _ZN7rocprim17ROCPRIM_400000_NS6detail17trampoline_kernelINS0_14default_configENS1_29reduce_by_key_config_selectorIjjN6thrust23THRUST_200600_302600_NS4plusIjEEEEZZNS1_33reduce_by_key_impl_wrapped_configILNS1_25lookback_scan_determinismE0ES3_S9_NS6_6detail15normal_iteratorINS6_10device_ptrIjEEEESG_SG_SG_PmS8_NS6_8equal_toIjEEEE10hipError_tPvRmT2_T3_mT4_T5_T6_T7_T8_P12ihipStream_tbENKUlT_T0_E_clISt17integral_constantIbLb1EES10_IbLb0EEEEDaSW_SX_EUlSW_E_NS1_11comp_targetILNS1_3genE8ELNS1_11target_archE1030ELNS1_3gpuE2ELNS1_3repE0EEENS1_30default_config_static_selectorELNS0_4arch9wavefront6targetE0EEEvT1_
		.amdhsa_group_segment_fixed_size 0
		.amdhsa_private_segment_fixed_size 0
		.amdhsa_kernarg_size 120
		.amdhsa_user_sgpr_count 15
		.amdhsa_user_sgpr_dispatch_ptr 0
		.amdhsa_user_sgpr_queue_ptr 0
		.amdhsa_user_sgpr_kernarg_segment_ptr 1
		.amdhsa_user_sgpr_dispatch_id 0
		.amdhsa_user_sgpr_private_segment_size 0
		.amdhsa_wavefront_size32 1
		.amdhsa_uses_dynamic_stack 0
		.amdhsa_enable_private_segment 0
		.amdhsa_system_sgpr_workgroup_id_x 1
		.amdhsa_system_sgpr_workgroup_id_y 0
		.amdhsa_system_sgpr_workgroup_id_z 0
		.amdhsa_system_sgpr_workgroup_info 0
		.amdhsa_system_vgpr_workitem_id 0
		.amdhsa_next_free_vgpr 1
		.amdhsa_next_free_sgpr 1
		.amdhsa_reserve_vcc 0
		.amdhsa_float_round_mode_32 0
		.amdhsa_float_round_mode_16_64 0
		.amdhsa_float_denorm_mode_32 3
		.amdhsa_float_denorm_mode_16_64 3
		.amdhsa_dx10_clamp 1
		.amdhsa_ieee_mode 1
		.amdhsa_fp16_overflow 0
		.amdhsa_workgroup_processor_mode 1
		.amdhsa_memory_ordered 1
		.amdhsa_forward_progress 0
		.amdhsa_shared_vgpr_count 0
		.amdhsa_exception_fp_ieee_invalid_op 0
		.amdhsa_exception_fp_denorm_src 0
		.amdhsa_exception_fp_ieee_div_zero 0
		.amdhsa_exception_fp_ieee_overflow 0
		.amdhsa_exception_fp_ieee_underflow 0
		.amdhsa_exception_fp_ieee_inexact 0
		.amdhsa_exception_int_div_zero 0
	.end_amdhsa_kernel
	.section	.text._ZN7rocprim17ROCPRIM_400000_NS6detail17trampoline_kernelINS0_14default_configENS1_29reduce_by_key_config_selectorIjjN6thrust23THRUST_200600_302600_NS4plusIjEEEEZZNS1_33reduce_by_key_impl_wrapped_configILNS1_25lookback_scan_determinismE0ES3_S9_NS6_6detail15normal_iteratorINS6_10device_ptrIjEEEESG_SG_SG_PmS8_NS6_8equal_toIjEEEE10hipError_tPvRmT2_T3_mT4_T5_T6_T7_T8_P12ihipStream_tbENKUlT_T0_E_clISt17integral_constantIbLb1EES10_IbLb0EEEEDaSW_SX_EUlSW_E_NS1_11comp_targetILNS1_3genE8ELNS1_11target_archE1030ELNS1_3gpuE2ELNS1_3repE0EEENS1_30default_config_static_selectorELNS0_4arch9wavefront6targetE0EEEvT1_,"axG",@progbits,_ZN7rocprim17ROCPRIM_400000_NS6detail17trampoline_kernelINS0_14default_configENS1_29reduce_by_key_config_selectorIjjN6thrust23THRUST_200600_302600_NS4plusIjEEEEZZNS1_33reduce_by_key_impl_wrapped_configILNS1_25lookback_scan_determinismE0ES3_S9_NS6_6detail15normal_iteratorINS6_10device_ptrIjEEEESG_SG_SG_PmS8_NS6_8equal_toIjEEEE10hipError_tPvRmT2_T3_mT4_T5_T6_T7_T8_P12ihipStream_tbENKUlT_T0_E_clISt17integral_constantIbLb1EES10_IbLb0EEEEDaSW_SX_EUlSW_E_NS1_11comp_targetILNS1_3genE8ELNS1_11target_archE1030ELNS1_3gpuE2ELNS1_3repE0EEENS1_30default_config_static_selectorELNS0_4arch9wavefront6targetE0EEEvT1_,comdat
.Lfunc_end343:
	.size	_ZN7rocprim17ROCPRIM_400000_NS6detail17trampoline_kernelINS0_14default_configENS1_29reduce_by_key_config_selectorIjjN6thrust23THRUST_200600_302600_NS4plusIjEEEEZZNS1_33reduce_by_key_impl_wrapped_configILNS1_25lookback_scan_determinismE0ES3_S9_NS6_6detail15normal_iteratorINS6_10device_ptrIjEEEESG_SG_SG_PmS8_NS6_8equal_toIjEEEE10hipError_tPvRmT2_T3_mT4_T5_T6_T7_T8_P12ihipStream_tbENKUlT_T0_E_clISt17integral_constantIbLb1EES10_IbLb0EEEEDaSW_SX_EUlSW_E_NS1_11comp_targetILNS1_3genE8ELNS1_11target_archE1030ELNS1_3gpuE2ELNS1_3repE0EEENS1_30default_config_static_selectorELNS0_4arch9wavefront6targetE0EEEvT1_, .Lfunc_end343-_ZN7rocprim17ROCPRIM_400000_NS6detail17trampoline_kernelINS0_14default_configENS1_29reduce_by_key_config_selectorIjjN6thrust23THRUST_200600_302600_NS4plusIjEEEEZZNS1_33reduce_by_key_impl_wrapped_configILNS1_25lookback_scan_determinismE0ES3_S9_NS6_6detail15normal_iteratorINS6_10device_ptrIjEEEESG_SG_SG_PmS8_NS6_8equal_toIjEEEE10hipError_tPvRmT2_T3_mT4_T5_T6_T7_T8_P12ihipStream_tbENKUlT_T0_E_clISt17integral_constantIbLb1EES10_IbLb0EEEEDaSW_SX_EUlSW_E_NS1_11comp_targetILNS1_3genE8ELNS1_11target_archE1030ELNS1_3gpuE2ELNS1_3repE0EEENS1_30default_config_static_selectorELNS0_4arch9wavefront6targetE0EEEvT1_
                                        ; -- End function
	.section	.AMDGPU.csdata,"",@progbits
; Kernel info:
; codeLenInByte = 0
; NumSgprs: 0
; NumVgprs: 0
; ScratchSize: 0
; MemoryBound: 0
; FloatMode: 240
; IeeeMode: 1
; LDSByteSize: 0 bytes/workgroup (compile time only)
; SGPRBlocks: 0
; VGPRBlocks: 0
; NumSGPRsForWavesPerEU: 1
; NumVGPRsForWavesPerEU: 1
; Occupancy: 16
; WaveLimiterHint : 0
; COMPUTE_PGM_RSRC2:SCRATCH_EN: 0
; COMPUTE_PGM_RSRC2:USER_SGPR: 15
; COMPUTE_PGM_RSRC2:TRAP_HANDLER: 0
; COMPUTE_PGM_RSRC2:TGID_X_EN: 1
; COMPUTE_PGM_RSRC2:TGID_Y_EN: 0
; COMPUTE_PGM_RSRC2:TGID_Z_EN: 0
; COMPUTE_PGM_RSRC2:TIDIG_COMP_CNT: 0
	.section	.text._ZN7rocprim17ROCPRIM_400000_NS6detail25reduce_by_key_init_kernelINS1_19lookback_scan_stateINS0_5tupleIJjjEEELb0ELb1EEEjNS1_16block_id_wrapperIjLb1EEEEEvT_jbjPmPT0_T1_,"axG",@progbits,_ZN7rocprim17ROCPRIM_400000_NS6detail25reduce_by_key_init_kernelINS1_19lookback_scan_stateINS0_5tupleIJjjEEELb0ELb1EEEjNS1_16block_id_wrapperIjLb1EEEEEvT_jbjPmPT0_T1_,comdat
	.protected	_ZN7rocprim17ROCPRIM_400000_NS6detail25reduce_by_key_init_kernelINS1_19lookback_scan_stateINS0_5tupleIJjjEEELb0ELb1EEEjNS1_16block_id_wrapperIjLb1EEEEEvT_jbjPmPT0_T1_ ; -- Begin function _ZN7rocprim17ROCPRIM_400000_NS6detail25reduce_by_key_init_kernelINS1_19lookback_scan_stateINS0_5tupleIJjjEEELb0ELb1EEEjNS1_16block_id_wrapperIjLb1EEEEEvT_jbjPmPT0_T1_
	.globl	_ZN7rocprim17ROCPRIM_400000_NS6detail25reduce_by_key_init_kernelINS1_19lookback_scan_stateINS0_5tupleIJjjEEELb0ELb1EEEjNS1_16block_id_wrapperIjLb1EEEEEvT_jbjPmPT0_T1_
	.p2align	8
	.type	_ZN7rocprim17ROCPRIM_400000_NS6detail25reduce_by_key_init_kernelINS1_19lookback_scan_stateINS0_5tupleIJjjEEELb0ELb1EEEjNS1_16block_id_wrapperIjLb1EEEEEvT_jbjPmPT0_T1_,@function
_ZN7rocprim17ROCPRIM_400000_NS6detail25reduce_by_key_init_kernelINS1_19lookback_scan_stateINS0_5tupleIJjjEEELb0ELb1EEEjNS1_16block_id_wrapperIjLb1EEEEEvT_jbjPmPT0_T1_: ; @_ZN7rocprim17ROCPRIM_400000_NS6detail25reduce_by_key_init_kernelINS1_19lookback_scan_stateINS0_5tupleIJjjEEELb0ELb1EEEjNS1_16block_id_wrapperIjLb1EEEEEvT_jbjPmPT0_T1_
; %bb.0:
	s_clause 0x3
	s_load_b32 s14, s[0:1], 0x3c
	s_load_b256 s[4:11], s[0:1], 0x8
	s_load_b64 s[12:13], s[0:1], 0x28
	s_load_b64 s[2:3], s[0:1], 0x0
	s_mov_b32 s1, -1
	s_waitcnt lgkmcnt(0)
	s_and_b32 s0, s14, 0xffff
	s_delay_alu instid0(SALU_CYCLE_1) | instskip(SKIP_1) | instid1(SALU_CYCLE_1)
	v_mad_u64_u32 v[1:2], null, s15, s0, v[0:1]
	s_and_b32 s0, s5, 1
	s_cmp_eq_u32 s0, 0
	s_cbranch_scc0 .LBB344_8
; %bb.1:
	s_cmp_lt_u32 s6, s4
	s_mov_b32 s5, exec_lo
	s_cselect_b32 s0, s6, 0
	s_delay_alu instid0(VALU_DEP_1) | instid1(SALU_CYCLE_1)
	v_cmpx_eq_u32_e64 s0, v1
	s_cbranch_execz .LBB344_7
; %bb.2:
	s_add_i32 s0, s6, 32
	s_mov_b32 s1, 0
	v_mov_b32_e32 v6, 0
	s_lshl_b64 s[6:7], s[0:1], 4
	s_mov_b32 s0, exec_lo
	s_add_u32 s6, s2, s6
	s_addc_u32 s7, s3, s7
	s_delay_alu instid0(SALU_CYCLE_1) | instskip(SKIP_2) | instid1(VALU_DEP_1)
	v_dual_mov_b32 v2, s6 :: v_dual_mov_b32 v3, s7
	;;#ASMSTART
	global_load_dwordx4 v[2:5], v[2:3] off glc	
s_waitcnt vmcnt(0)
	;;#ASMEND
	v_and_b32_e32 v5, 0xff, v4
	v_cmpx_eq_u64_e32 0, v[5:6]
	s_cbranch_execz .LBB344_6
; %bb.3:
	v_dual_mov_b32 v8, s7 :: v_dual_mov_b32 v7, s6
.LBB344_4:                              ; =>This Inner Loop Header: Depth=1
	;;#ASMSTART
	global_load_dwordx4 v[2:5], v[7:8] off glc	
s_waitcnt vmcnt(0)
	;;#ASMEND
	v_and_b32_e32 v5, 0xff, v4
	s_delay_alu instid0(VALU_DEP_1) | instskip(SKIP_1) | instid1(SALU_CYCLE_1)
	v_cmp_ne_u64_e32 vcc_lo, 0, v[5:6]
	s_or_b32 s1, vcc_lo, s1
	s_and_not1_b32 exec_lo, exec_lo, s1
	s_cbranch_execnz .LBB344_4
; %bb.5:
	s_or_b32 exec_lo, exec_lo, s1
.LBB344_6:
	s_delay_alu instid0(SALU_CYCLE_1)
	s_or_b32 exec_lo, exec_lo, s0
	v_mov_b32_e32 v0, 0
	global_load_b64 v[4:5], v0, s[8:9]
	s_waitcnt vmcnt(0)
	v_add_co_u32 v4, vcc_lo, v4, v2
	v_add_co_ci_u32_e32 v5, vcc_lo, 0, v5, vcc_lo
	s_clause 0x1
	global_store_b64 v0, v[4:5], s[8:9]
	global_store_b32 v0, v3, s[10:11]
.LBB344_7:
	s_or_b32 exec_lo, exec_lo, s5
	s_mov_b32 s1, 0
.LBB344_8:
	s_delay_alu instid0(VALU_DEP_1)
	v_cmp_eq_u32_e64 s0, 0, v1
	s_and_not1_b32 vcc_lo, exec_lo, s1
	s_cbranch_vccnz .LBB344_12
; %bb.9:
	s_cmp_lg_u64 s[8:9], 0
	s_cselect_b32 s1, -1, 0
	s_delay_alu instid0(SALU_CYCLE_1) | instskip(NEXT) | instid1(SALU_CYCLE_1)
	s_and_b32 s1, s1, s0
	s_and_saveexec_b32 s0, s1
	s_cbranch_execz .LBB344_11
; %bb.10:
	v_mov_b32_e32 v2, 0
	s_delay_alu instid0(VALU_DEP_1)
	v_mov_b32_e32 v3, v2
	global_store_b64 v2, v[2:3], s[8:9]
.LBB344_11:
	s_or_b32 exec_lo, exec_lo, s0
.LBB344_12:
	s_delay_alu instid0(SALU_CYCLE_1)
	s_mov_b32 s0, exec_lo
	v_cmpx_eq_u32_e32 0, v1
	s_cbranch_execz .LBB344_14
; %bb.13:
	v_mov_b32_e32 v0, 0
	global_store_b32 v0, v0, s[12:13]
.LBB344_14:
	s_or_b32 exec_lo, exec_lo, s0
	s_delay_alu instid0(SALU_CYCLE_1)
	s_mov_b32 s0, exec_lo
	v_cmpx_gt_u32_e64 s4, v1
	s_cbranch_execz .LBB344_16
; %bb.15:
	v_dual_mov_b32 v3, 0 :: v_dual_add_nc_u32 v2, 32, v1
	s_delay_alu instid0(VALU_DEP_1) | instskip(SKIP_2) | instid1(VALU_DEP_3)
	v_lshlrev_b64 v[5:6], 4, v[2:3]
	v_mov_b32_e32 v2, v3
	v_mov_b32_e32 v4, v3
	v_add_co_u32 v7, vcc_lo, s2, v5
	s_delay_alu instid0(VALU_DEP_4)
	v_add_co_ci_u32_e32 v8, vcc_lo, s3, v6, vcc_lo
	v_mov_b32_e32 v5, v3
	global_store_b128 v[7:8], v[2:5], off
.LBB344_16:
	s_or_b32 exec_lo, exec_lo, s0
	s_delay_alu instid0(SALU_CYCLE_1)
	s_mov_b32 s0, exec_lo
	v_cmpx_gt_u32_e32 32, v1
	s_cbranch_execz .LBB344_18
; %bb.17:
	v_dual_mov_b32 v2, 0 :: v_dual_mov_b32 v3, 0xff
	s_delay_alu instid0(VALU_DEP_1) | instskip(SKIP_1) | instid1(VALU_DEP_2)
	v_lshlrev_b64 v[4:5], 4, v[1:2]
	v_mov_b32_e32 v1, v2
	v_add_co_u32 v6, vcc_lo, s2, v4
	s_delay_alu instid0(VALU_DEP_3)
	v_add_co_ci_u32_e32 v7, vcc_lo, s3, v5, vcc_lo
	v_mov_b32_e32 v4, v2
	global_store_b128 v[6:7], v[1:4], off
.LBB344_18:
	s_nop 0
	s_sendmsg sendmsg(MSG_DEALLOC_VGPRS)
	s_endpgm
	.section	.rodata,"a",@progbits
	.p2align	6, 0x0
	.amdhsa_kernel _ZN7rocprim17ROCPRIM_400000_NS6detail25reduce_by_key_init_kernelINS1_19lookback_scan_stateINS0_5tupleIJjjEEELb0ELb1EEEjNS1_16block_id_wrapperIjLb1EEEEEvT_jbjPmPT0_T1_
		.amdhsa_group_segment_fixed_size 0
		.amdhsa_private_segment_fixed_size 0
		.amdhsa_kernarg_size 304
		.amdhsa_user_sgpr_count 15
		.amdhsa_user_sgpr_dispatch_ptr 0
		.amdhsa_user_sgpr_queue_ptr 0
		.amdhsa_user_sgpr_kernarg_segment_ptr 1
		.amdhsa_user_sgpr_dispatch_id 0
		.amdhsa_user_sgpr_private_segment_size 0
		.amdhsa_wavefront_size32 1
		.amdhsa_uses_dynamic_stack 0
		.amdhsa_enable_private_segment 0
		.amdhsa_system_sgpr_workgroup_id_x 1
		.amdhsa_system_sgpr_workgroup_id_y 0
		.amdhsa_system_sgpr_workgroup_id_z 0
		.amdhsa_system_sgpr_workgroup_info 0
		.amdhsa_system_vgpr_workitem_id 0
		.amdhsa_next_free_vgpr 9
		.amdhsa_next_free_sgpr 16
		.amdhsa_reserve_vcc 1
		.amdhsa_float_round_mode_32 0
		.amdhsa_float_round_mode_16_64 0
		.amdhsa_float_denorm_mode_32 3
		.amdhsa_float_denorm_mode_16_64 3
		.amdhsa_dx10_clamp 1
		.amdhsa_ieee_mode 1
		.amdhsa_fp16_overflow 0
		.amdhsa_workgroup_processor_mode 1
		.amdhsa_memory_ordered 1
		.amdhsa_forward_progress 0
		.amdhsa_shared_vgpr_count 0
		.amdhsa_exception_fp_ieee_invalid_op 0
		.amdhsa_exception_fp_denorm_src 0
		.amdhsa_exception_fp_ieee_div_zero 0
		.amdhsa_exception_fp_ieee_overflow 0
		.amdhsa_exception_fp_ieee_underflow 0
		.amdhsa_exception_fp_ieee_inexact 0
		.amdhsa_exception_int_div_zero 0
	.end_amdhsa_kernel
	.section	.text._ZN7rocprim17ROCPRIM_400000_NS6detail25reduce_by_key_init_kernelINS1_19lookback_scan_stateINS0_5tupleIJjjEEELb0ELb1EEEjNS1_16block_id_wrapperIjLb1EEEEEvT_jbjPmPT0_T1_,"axG",@progbits,_ZN7rocprim17ROCPRIM_400000_NS6detail25reduce_by_key_init_kernelINS1_19lookback_scan_stateINS0_5tupleIJjjEEELb0ELb1EEEjNS1_16block_id_wrapperIjLb1EEEEEvT_jbjPmPT0_T1_,comdat
.Lfunc_end344:
	.size	_ZN7rocprim17ROCPRIM_400000_NS6detail25reduce_by_key_init_kernelINS1_19lookback_scan_stateINS0_5tupleIJjjEEELb0ELb1EEEjNS1_16block_id_wrapperIjLb1EEEEEvT_jbjPmPT0_T1_, .Lfunc_end344-_ZN7rocprim17ROCPRIM_400000_NS6detail25reduce_by_key_init_kernelINS1_19lookback_scan_stateINS0_5tupleIJjjEEELb0ELb1EEEjNS1_16block_id_wrapperIjLb1EEEEEvT_jbjPmPT0_T1_
                                        ; -- End function
	.section	.AMDGPU.csdata,"",@progbits
; Kernel info:
; codeLenInByte = 608
; NumSgprs: 18
; NumVgprs: 9
; ScratchSize: 0
; MemoryBound: 0
; FloatMode: 240
; IeeeMode: 1
; LDSByteSize: 0 bytes/workgroup (compile time only)
; SGPRBlocks: 2
; VGPRBlocks: 1
; NumSGPRsForWavesPerEU: 18
; NumVGPRsForWavesPerEU: 9
; Occupancy: 16
; WaveLimiterHint : 0
; COMPUTE_PGM_RSRC2:SCRATCH_EN: 0
; COMPUTE_PGM_RSRC2:USER_SGPR: 15
; COMPUTE_PGM_RSRC2:TRAP_HANDLER: 0
; COMPUTE_PGM_RSRC2:TGID_X_EN: 1
; COMPUTE_PGM_RSRC2:TGID_Y_EN: 0
; COMPUTE_PGM_RSRC2:TGID_Z_EN: 0
; COMPUTE_PGM_RSRC2:TIDIG_COMP_CNT: 0
	.section	.text._ZN7rocprim17ROCPRIM_400000_NS6detail17trampoline_kernelINS0_14default_configENS1_29reduce_by_key_config_selectorIjjN6thrust23THRUST_200600_302600_NS4plusIjEEEEZZNS1_33reduce_by_key_impl_wrapped_configILNS1_25lookback_scan_determinismE0ES3_S9_NS6_6detail15normal_iteratorINS6_10device_ptrIjEEEESG_SG_SG_PmS8_NS6_8equal_toIjEEEE10hipError_tPvRmT2_T3_mT4_T5_T6_T7_T8_P12ihipStream_tbENKUlT_T0_E_clISt17integral_constantIbLb0EES10_IbLb1EEEEDaSW_SX_EUlSW_E_NS1_11comp_targetILNS1_3genE0ELNS1_11target_archE4294967295ELNS1_3gpuE0ELNS1_3repE0EEENS1_30default_config_static_selectorELNS0_4arch9wavefront6targetE0EEEvT1_,"axG",@progbits,_ZN7rocprim17ROCPRIM_400000_NS6detail17trampoline_kernelINS0_14default_configENS1_29reduce_by_key_config_selectorIjjN6thrust23THRUST_200600_302600_NS4plusIjEEEEZZNS1_33reduce_by_key_impl_wrapped_configILNS1_25lookback_scan_determinismE0ES3_S9_NS6_6detail15normal_iteratorINS6_10device_ptrIjEEEESG_SG_SG_PmS8_NS6_8equal_toIjEEEE10hipError_tPvRmT2_T3_mT4_T5_T6_T7_T8_P12ihipStream_tbENKUlT_T0_E_clISt17integral_constantIbLb0EES10_IbLb1EEEEDaSW_SX_EUlSW_E_NS1_11comp_targetILNS1_3genE0ELNS1_11target_archE4294967295ELNS1_3gpuE0ELNS1_3repE0EEENS1_30default_config_static_selectorELNS0_4arch9wavefront6targetE0EEEvT1_,comdat
	.protected	_ZN7rocprim17ROCPRIM_400000_NS6detail17trampoline_kernelINS0_14default_configENS1_29reduce_by_key_config_selectorIjjN6thrust23THRUST_200600_302600_NS4plusIjEEEEZZNS1_33reduce_by_key_impl_wrapped_configILNS1_25lookback_scan_determinismE0ES3_S9_NS6_6detail15normal_iteratorINS6_10device_ptrIjEEEESG_SG_SG_PmS8_NS6_8equal_toIjEEEE10hipError_tPvRmT2_T3_mT4_T5_T6_T7_T8_P12ihipStream_tbENKUlT_T0_E_clISt17integral_constantIbLb0EES10_IbLb1EEEEDaSW_SX_EUlSW_E_NS1_11comp_targetILNS1_3genE0ELNS1_11target_archE4294967295ELNS1_3gpuE0ELNS1_3repE0EEENS1_30default_config_static_selectorELNS0_4arch9wavefront6targetE0EEEvT1_ ; -- Begin function _ZN7rocprim17ROCPRIM_400000_NS6detail17trampoline_kernelINS0_14default_configENS1_29reduce_by_key_config_selectorIjjN6thrust23THRUST_200600_302600_NS4plusIjEEEEZZNS1_33reduce_by_key_impl_wrapped_configILNS1_25lookback_scan_determinismE0ES3_S9_NS6_6detail15normal_iteratorINS6_10device_ptrIjEEEESG_SG_SG_PmS8_NS6_8equal_toIjEEEE10hipError_tPvRmT2_T3_mT4_T5_T6_T7_T8_P12ihipStream_tbENKUlT_T0_E_clISt17integral_constantIbLb0EES10_IbLb1EEEEDaSW_SX_EUlSW_E_NS1_11comp_targetILNS1_3genE0ELNS1_11target_archE4294967295ELNS1_3gpuE0ELNS1_3repE0EEENS1_30default_config_static_selectorELNS0_4arch9wavefront6targetE0EEEvT1_
	.globl	_ZN7rocprim17ROCPRIM_400000_NS6detail17trampoline_kernelINS0_14default_configENS1_29reduce_by_key_config_selectorIjjN6thrust23THRUST_200600_302600_NS4plusIjEEEEZZNS1_33reduce_by_key_impl_wrapped_configILNS1_25lookback_scan_determinismE0ES3_S9_NS6_6detail15normal_iteratorINS6_10device_ptrIjEEEESG_SG_SG_PmS8_NS6_8equal_toIjEEEE10hipError_tPvRmT2_T3_mT4_T5_T6_T7_T8_P12ihipStream_tbENKUlT_T0_E_clISt17integral_constantIbLb0EES10_IbLb1EEEEDaSW_SX_EUlSW_E_NS1_11comp_targetILNS1_3genE0ELNS1_11target_archE4294967295ELNS1_3gpuE0ELNS1_3repE0EEENS1_30default_config_static_selectorELNS0_4arch9wavefront6targetE0EEEvT1_
	.p2align	8
	.type	_ZN7rocprim17ROCPRIM_400000_NS6detail17trampoline_kernelINS0_14default_configENS1_29reduce_by_key_config_selectorIjjN6thrust23THRUST_200600_302600_NS4plusIjEEEEZZNS1_33reduce_by_key_impl_wrapped_configILNS1_25lookback_scan_determinismE0ES3_S9_NS6_6detail15normal_iteratorINS6_10device_ptrIjEEEESG_SG_SG_PmS8_NS6_8equal_toIjEEEE10hipError_tPvRmT2_T3_mT4_T5_T6_T7_T8_P12ihipStream_tbENKUlT_T0_E_clISt17integral_constantIbLb0EES10_IbLb1EEEEDaSW_SX_EUlSW_E_NS1_11comp_targetILNS1_3genE0ELNS1_11target_archE4294967295ELNS1_3gpuE0ELNS1_3repE0EEENS1_30default_config_static_selectorELNS0_4arch9wavefront6targetE0EEEvT1_,@function
_ZN7rocprim17ROCPRIM_400000_NS6detail17trampoline_kernelINS0_14default_configENS1_29reduce_by_key_config_selectorIjjN6thrust23THRUST_200600_302600_NS4plusIjEEEEZZNS1_33reduce_by_key_impl_wrapped_configILNS1_25lookback_scan_determinismE0ES3_S9_NS6_6detail15normal_iteratorINS6_10device_ptrIjEEEESG_SG_SG_PmS8_NS6_8equal_toIjEEEE10hipError_tPvRmT2_T3_mT4_T5_T6_T7_T8_P12ihipStream_tbENKUlT_T0_E_clISt17integral_constantIbLb0EES10_IbLb1EEEEDaSW_SX_EUlSW_E_NS1_11comp_targetILNS1_3genE0ELNS1_11target_archE4294967295ELNS1_3gpuE0ELNS1_3repE0EEENS1_30default_config_static_selectorELNS0_4arch9wavefront6targetE0EEEvT1_: ; @_ZN7rocprim17ROCPRIM_400000_NS6detail17trampoline_kernelINS0_14default_configENS1_29reduce_by_key_config_selectorIjjN6thrust23THRUST_200600_302600_NS4plusIjEEEEZZNS1_33reduce_by_key_impl_wrapped_configILNS1_25lookback_scan_determinismE0ES3_S9_NS6_6detail15normal_iteratorINS6_10device_ptrIjEEEESG_SG_SG_PmS8_NS6_8equal_toIjEEEE10hipError_tPvRmT2_T3_mT4_T5_T6_T7_T8_P12ihipStream_tbENKUlT_T0_E_clISt17integral_constantIbLb0EES10_IbLb1EEEEDaSW_SX_EUlSW_E_NS1_11comp_targetILNS1_3genE0ELNS1_11target_archE4294967295ELNS1_3gpuE0ELNS1_3repE0EEENS1_30default_config_static_selectorELNS0_4arch9wavefront6targetE0EEEvT1_
; %bb.0:
	.section	.rodata,"a",@progbits
	.p2align	6, 0x0
	.amdhsa_kernel _ZN7rocprim17ROCPRIM_400000_NS6detail17trampoline_kernelINS0_14default_configENS1_29reduce_by_key_config_selectorIjjN6thrust23THRUST_200600_302600_NS4plusIjEEEEZZNS1_33reduce_by_key_impl_wrapped_configILNS1_25lookback_scan_determinismE0ES3_S9_NS6_6detail15normal_iteratorINS6_10device_ptrIjEEEESG_SG_SG_PmS8_NS6_8equal_toIjEEEE10hipError_tPvRmT2_T3_mT4_T5_T6_T7_T8_P12ihipStream_tbENKUlT_T0_E_clISt17integral_constantIbLb0EES10_IbLb1EEEEDaSW_SX_EUlSW_E_NS1_11comp_targetILNS1_3genE0ELNS1_11target_archE4294967295ELNS1_3gpuE0ELNS1_3repE0EEENS1_30default_config_static_selectorELNS0_4arch9wavefront6targetE0EEEvT1_
		.amdhsa_group_segment_fixed_size 0
		.amdhsa_private_segment_fixed_size 0
		.amdhsa_kernarg_size 120
		.amdhsa_user_sgpr_count 15
		.amdhsa_user_sgpr_dispatch_ptr 0
		.amdhsa_user_sgpr_queue_ptr 0
		.amdhsa_user_sgpr_kernarg_segment_ptr 1
		.amdhsa_user_sgpr_dispatch_id 0
		.amdhsa_user_sgpr_private_segment_size 0
		.amdhsa_wavefront_size32 1
		.amdhsa_uses_dynamic_stack 0
		.amdhsa_enable_private_segment 0
		.amdhsa_system_sgpr_workgroup_id_x 1
		.amdhsa_system_sgpr_workgroup_id_y 0
		.amdhsa_system_sgpr_workgroup_id_z 0
		.amdhsa_system_sgpr_workgroup_info 0
		.amdhsa_system_vgpr_workitem_id 0
		.amdhsa_next_free_vgpr 1
		.amdhsa_next_free_sgpr 1
		.amdhsa_reserve_vcc 0
		.amdhsa_float_round_mode_32 0
		.amdhsa_float_round_mode_16_64 0
		.amdhsa_float_denorm_mode_32 3
		.amdhsa_float_denorm_mode_16_64 3
		.amdhsa_dx10_clamp 1
		.amdhsa_ieee_mode 1
		.amdhsa_fp16_overflow 0
		.amdhsa_workgroup_processor_mode 1
		.amdhsa_memory_ordered 1
		.amdhsa_forward_progress 0
		.amdhsa_shared_vgpr_count 0
		.amdhsa_exception_fp_ieee_invalid_op 0
		.amdhsa_exception_fp_denorm_src 0
		.amdhsa_exception_fp_ieee_div_zero 0
		.amdhsa_exception_fp_ieee_overflow 0
		.amdhsa_exception_fp_ieee_underflow 0
		.amdhsa_exception_fp_ieee_inexact 0
		.amdhsa_exception_int_div_zero 0
	.end_amdhsa_kernel
	.section	.text._ZN7rocprim17ROCPRIM_400000_NS6detail17trampoline_kernelINS0_14default_configENS1_29reduce_by_key_config_selectorIjjN6thrust23THRUST_200600_302600_NS4plusIjEEEEZZNS1_33reduce_by_key_impl_wrapped_configILNS1_25lookback_scan_determinismE0ES3_S9_NS6_6detail15normal_iteratorINS6_10device_ptrIjEEEESG_SG_SG_PmS8_NS6_8equal_toIjEEEE10hipError_tPvRmT2_T3_mT4_T5_T6_T7_T8_P12ihipStream_tbENKUlT_T0_E_clISt17integral_constantIbLb0EES10_IbLb1EEEEDaSW_SX_EUlSW_E_NS1_11comp_targetILNS1_3genE0ELNS1_11target_archE4294967295ELNS1_3gpuE0ELNS1_3repE0EEENS1_30default_config_static_selectorELNS0_4arch9wavefront6targetE0EEEvT1_,"axG",@progbits,_ZN7rocprim17ROCPRIM_400000_NS6detail17trampoline_kernelINS0_14default_configENS1_29reduce_by_key_config_selectorIjjN6thrust23THRUST_200600_302600_NS4plusIjEEEEZZNS1_33reduce_by_key_impl_wrapped_configILNS1_25lookback_scan_determinismE0ES3_S9_NS6_6detail15normal_iteratorINS6_10device_ptrIjEEEESG_SG_SG_PmS8_NS6_8equal_toIjEEEE10hipError_tPvRmT2_T3_mT4_T5_T6_T7_T8_P12ihipStream_tbENKUlT_T0_E_clISt17integral_constantIbLb0EES10_IbLb1EEEEDaSW_SX_EUlSW_E_NS1_11comp_targetILNS1_3genE0ELNS1_11target_archE4294967295ELNS1_3gpuE0ELNS1_3repE0EEENS1_30default_config_static_selectorELNS0_4arch9wavefront6targetE0EEEvT1_,comdat
.Lfunc_end345:
	.size	_ZN7rocprim17ROCPRIM_400000_NS6detail17trampoline_kernelINS0_14default_configENS1_29reduce_by_key_config_selectorIjjN6thrust23THRUST_200600_302600_NS4plusIjEEEEZZNS1_33reduce_by_key_impl_wrapped_configILNS1_25lookback_scan_determinismE0ES3_S9_NS6_6detail15normal_iteratorINS6_10device_ptrIjEEEESG_SG_SG_PmS8_NS6_8equal_toIjEEEE10hipError_tPvRmT2_T3_mT4_T5_T6_T7_T8_P12ihipStream_tbENKUlT_T0_E_clISt17integral_constantIbLb0EES10_IbLb1EEEEDaSW_SX_EUlSW_E_NS1_11comp_targetILNS1_3genE0ELNS1_11target_archE4294967295ELNS1_3gpuE0ELNS1_3repE0EEENS1_30default_config_static_selectorELNS0_4arch9wavefront6targetE0EEEvT1_, .Lfunc_end345-_ZN7rocprim17ROCPRIM_400000_NS6detail17trampoline_kernelINS0_14default_configENS1_29reduce_by_key_config_selectorIjjN6thrust23THRUST_200600_302600_NS4plusIjEEEEZZNS1_33reduce_by_key_impl_wrapped_configILNS1_25lookback_scan_determinismE0ES3_S9_NS6_6detail15normal_iteratorINS6_10device_ptrIjEEEESG_SG_SG_PmS8_NS6_8equal_toIjEEEE10hipError_tPvRmT2_T3_mT4_T5_T6_T7_T8_P12ihipStream_tbENKUlT_T0_E_clISt17integral_constantIbLb0EES10_IbLb1EEEEDaSW_SX_EUlSW_E_NS1_11comp_targetILNS1_3genE0ELNS1_11target_archE4294967295ELNS1_3gpuE0ELNS1_3repE0EEENS1_30default_config_static_selectorELNS0_4arch9wavefront6targetE0EEEvT1_
                                        ; -- End function
	.section	.AMDGPU.csdata,"",@progbits
; Kernel info:
; codeLenInByte = 0
; NumSgprs: 0
; NumVgprs: 0
; ScratchSize: 0
; MemoryBound: 0
; FloatMode: 240
; IeeeMode: 1
; LDSByteSize: 0 bytes/workgroup (compile time only)
; SGPRBlocks: 0
; VGPRBlocks: 0
; NumSGPRsForWavesPerEU: 1
; NumVGPRsForWavesPerEU: 1
; Occupancy: 16
; WaveLimiterHint : 0
; COMPUTE_PGM_RSRC2:SCRATCH_EN: 0
; COMPUTE_PGM_RSRC2:USER_SGPR: 15
; COMPUTE_PGM_RSRC2:TRAP_HANDLER: 0
; COMPUTE_PGM_RSRC2:TGID_X_EN: 1
; COMPUTE_PGM_RSRC2:TGID_Y_EN: 0
; COMPUTE_PGM_RSRC2:TGID_Z_EN: 0
; COMPUTE_PGM_RSRC2:TIDIG_COMP_CNT: 0
	.section	.text._ZN7rocprim17ROCPRIM_400000_NS6detail17trampoline_kernelINS0_14default_configENS1_29reduce_by_key_config_selectorIjjN6thrust23THRUST_200600_302600_NS4plusIjEEEEZZNS1_33reduce_by_key_impl_wrapped_configILNS1_25lookback_scan_determinismE0ES3_S9_NS6_6detail15normal_iteratorINS6_10device_ptrIjEEEESG_SG_SG_PmS8_NS6_8equal_toIjEEEE10hipError_tPvRmT2_T3_mT4_T5_T6_T7_T8_P12ihipStream_tbENKUlT_T0_E_clISt17integral_constantIbLb0EES10_IbLb1EEEEDaSW_SX_EUlSW_E_NS1_11comp_targetILNS1_3genE5ELNS1_11target_archE942ELNS1_3gpuE9ELNS1_3repE0EEENS1_30default_config_static_selectorELNS0_4arch9wavefront6targetE0EEEvT1_,"axG",@progbits,_ZN7rocprim17ROCPRIM_400000_NS6detail17trampoline_kernelINS0_14default_configENS1_29reduce_by_key_config_selectorIjjN6thrust23THRUST_200600_302600_NS4plusIjEEEEZZNS1_33reduce_by_key_impl_wrapped_configILNS1_25lookback_scan_determinismE0ES3_S9_NS6_6detail15normal_iteratorINS6_10device_ptrIjEEEESG_SG_SG_PmS8_NS6_8equal_toIjEEEE10hipError_tPvRmT2_T3_mT4_T5_T6_T7_T8_P12ihipStream_tbENKUlT_T0_E_clISt17integral_constantIbLb0EES10_IbLb1EEEEDaSW_SX_EUlSW_E_NS1_11comp_targetILNS1_3genE5ELNS1_11target_archE942ELNS1_3gpuE9ELNS1_3repE0EEENS1_30default_config_static_selectorELNS0_4arch9wavefront6targetE0EEEvT1_,comdat
	.protected	_ZN7rocprim17ROCPRIM_400000_NS6detail17trampoline_kernelINS0_14default_configENS1_29reduce_by_key_config_selectorIjjN6thrust23THRUST_200600_302600_NS4plusIjEEEEZZNS1_33reduce_by_key_impl_wrapped_configILNS1_25lookback_scan_determinismE0ES3_S9_NS6_6detail15normal_iteratorINS6_10device_ptrIjEEEESG_SG_SG_PmS8_NS6_8equal_toIjEEEE10hipError_tPvRmT2_T3_mT4_T5_T6_T7_T8_P12ihipStream_tbENKUlT_T0_E_clISt17integral_constantIbLb0EES10_IbLb1EEEEDaSW_SX_EUlSW_E_NS1_11comp_targetILNS1_3genE5ELNS1_11target_archE942ELNS1_3gpuE9ELNS1_3repE0EEENS1_30default_config_static_selectorELNS0_4arch9wavefront6targetE0EEEvT1_ ; -- Begin function _ZN7rocprim17ROCPRIM_400000_NS6detail17trampoline_kernelINS0_14default_configENS1_29reduce_by_key_config_selectorIjjN6thrust23THRUST_200600_302600_NS4plusIjEEEEZZNS1_33reduce_by_key_impl_wrapped_configILNS1_25lookback_scan_determinismE0ES3_S9_NS6_6detail15normal_iteratorINS6_10device_ptrIjEEEESG_SG_SG_PmS8_NS6_8equal_toIjEEEE10hipError_tPvRmT2_T3_mT4_T5_T6_T7_T8_P12ihipStream_tbENKUlT_T0_E_clISt17integral_constantIbLb0EES10_IbLb1EEEEDaSW_SX_EUlSW_E_NS1_11comp_targetILNS1_3genE5ELNS1_11target_archE942ELNS1_3gpuE9ELNS1_3repE0EEENS1_30default_config_static_selectorELNS0_4arch9wavefront6targetE0EEEvT1_
	.globl	_ZN7rocprim17ROCPRIM_400000_NS6detail17trampoline_kernelINS0_14default_configENS1_29reduce_by_key_config_selectorIjjN6thrust23THRUST_200600_302600_NS4plusIjEEEEZZNS1_33reduce_by_key_impl_wrapped_configILNS1_25lookback_scan_determinismE0ES3_S9_NS6_6detail15normal_iteratorINS6_10device_ptrIjEEEESG_SG_SG_PmS8_NS6_8equal_toIjEEEE10hipError_tPvRmT2_T3_mT4_T5_T6_T7_T8_P12ihipStream_tbENKUlT_T0_E_clISt17integral_constantIbLb0EES10_IbLb1EEEEDaSW_SX_EUlSW_E_NS1_11comp_targetILNS1_3genE5ELNS1_11target_archE942ELNS1_3gpuE9ELNS1_3repE0EEENS1_30default_config_static_selectorELNS0_4arch9wavefront6targetE0EEEvT1_
	.p2align	8
	.type	_ZN7rocprim17ROCPRIM_400000_NS6detail17trampoline_kernelINS0_14default_configENS1_29reduce_by_key_config_selectorIjjN6thrust23THRUST_200600_302600_NS4plusIjEEEEZZNS1_33reduce_by_key_impl_wrapped_configILNS1_25lookback_scan_determinismE0ES3_S9_NS6_6detail15normal_iteratorINS6_10device_ptrIjEEEESG_SG_SG_PmS8_NS6_8equal_toIjEEEE10hipError_tPvRmT2_T3_mT4_T5_T6_T7_T8_P12ihipStream_tbENKUlT_T0_E_clISt17integral_constantIbLb0EES10_IbLb1EEEEDaSW_SX_EUlSW_E_NS1_11comp_targetILNS1_3genE5ELNS1_11target_archE942ELNS1_3gpuE9ELNS1_3repE0EEENS1_30default_config_static_selectorELNS0_4arch9wavefront6targetE0EEEvT1_,@function
_ZN7rocprim17ROCPRIM_400000_NS6detail17trampoline_kernelINS0_14default_configENS1_29reduce_by_key_config_selectorIjjN6thrust23THRUST_200600_302600_NS4plusIjEEEEZZNS1_33reduce_by_key_impl_wrapped_configILNS1_25lookback_scan_determinismE0ES3_S9_NS6_6detail15normal_iteratorINS6_10device_ptrIjEEEESG_SG_SG_PmS8_NS6_8equal_toIjEEEE10hipError_tPvRmT2_T3_mT4_T5_T6_T7_T8_P12ihipStream_tbENKUlT_T0_E_clISt17integral_constantIbLb0EES10_IbLb1EEEEDaSW_SX_EUlSW_E_NS1_11comp_targetILNS1_3genE5ELNS1_11target_archE942ELNS1_3gpuE9ELNS1_3repE0EEENS1_30default_config_static_selectorELNS0_4arch9wavefront6targetE0EEEvT1_: ; @_ZN7rocprim17ROCPRIM_400000_NS6detail17trampoline_kernelINS0_14default_configENS1_29reduce_by_key_config_selectorIjjN6thrust23THRUST_200600_302600_NS4plusIjEEEEZZNS1_33reduce_by_key_impl_wrapped_configILNS1_25lookback_scan_determinismE0ES3_S9_NS6_6detail15normal_iteratorINS6_10device_ptrIjEEEESG_SG_SG_PmS8_NS6_8equal_toIjEEEE10hipError_tPvRmT2_T3_mT4_T5_T6_T7_T8_P12ihipStream_tbENKUlT_T0_E_clISt17integral_constantIbLb0EES10_IbLb1EEEEDaSW_SX_EUlSW_E_NS1_11comp_targetILNS1_3genE5ELNS1_11target_archE942ELNS1_3gpuE9ELNS1_3repE0EEENS1_30default_config_static_selectorELNS0_4arch9wavefront6targetE0EEEvT1_
; %bb.0:
	.section	.rodata,"a",@progbits
	.p2align	6, 0x0
	.amdhsa_kernel _ZN7rocprim17ROCPRIM_400000_NS6detail17trampoline_kernelINS0_14default_configENS1_29reduce_by_key_config_selectorIjjN6thrust23THRUST_200600_302600_NS4plusIjEEEEZZNS1_33reduce_by_key_impl_wrapped_configILNS1_25lookback_scan_determinismE0ES3_S9_NS6_6detail15normal_iteratorINS6_10device_ptrIjEEEESG_SG_SG_PmS8_NS6_8equal_toIjEEEE10hipError_tPvRmT2_T3_mT4_T5_T6_T7_T8_P12ihipStream_tbENKUlT_T0_E_clISt17integral_constantIbLb0EES10_IbLb1EEEEDaSW_SX_EUlSW_E_NS1_11comp_targetILNS1_3genE5ELNS1_11target_archE942ELNS1_3gpuE9ELNS1_3repE0EEENS1_30default_config_static_selectorELNS0_4arch9wavefront6targetE0EEEvT1_
		.amdhsa_group_segment_fixed_size 0
		.amdhsa_private_segment_fixed_size 0
		.amdhsa_kernarg_size 120
		.amdhsa_user_sgpr_count 15
		.amdhsa_user_sgpr_dispatch_ptr 0
		.amdhsa_user_sgpr_queue_ptr 0
		.amdhsa_user_sgpr_kernarg_segment_ptr 1
		.amdhsa_user_sgpr_dispatch_id 0
		.amdhsa_user_sgpr_private_segment_size 0
		.amdhsa_wavefront_size32 1
		.amdhsa_uses_dynamic_stack 0
		.amdhsa_enable_private_segment 0
		.amdhsa_system_sgpr_workgroup_id_x 1
		.amdhsa_system_sgpr_workgroup_id_y 0
		.amdhsa_system_sgpr_workgroup_id_z 0
		.amdhsa_system_sgpr_workgroup_info 0
		.amdhsa_system_vgpr_workitem_id 0
		.amdhsa_next_free_vgpr 1
		.amdhsa_next_free_sgpr 1
		.amdhsa_reserve_vcc 0
		.amdhsa_float_round_mode_32 0
		.amdhsa_float_round_mode_16_64 0
		.amdhsa_float_denorm_mode_32 3
		.amdhsa_float_denorm_mode_16_64 3
		.amdhsa_dx10_clamp 1
		.amdhsa_ieee_mode 1
		.amdhsa_fp16_overflow 0
		.amdhsa_workgroup_processor_mode 1
		.amdhsa_memory_ordered 1
		.amdhsa_forward_progress 0
		.amdhsa_shared_vgpr_count 0
		.amdhsa_exception_fp_ieee_invalid_op 0
		.amdhsa_exception_fp_denorm_src 0
		.amdhsa_exception_fp_ieee_div_zero 0
		.amdhsa_exception_fp_ieee_overflow 0
		.amdhsa_exception_fp_ieee_underflow 0
		.amdhsa_exception_fp_ieee_inexact 0
		.amdhsa_exception_int_div_zero 0
	.end_amdhsa_kernel
	.section	.text._ZN7rocprim17ROCPRIM_400000_NS6detail17trampoline_kernelINS0_14default_configENS1_29reduce_by_key_config_selectorIjjN6thrust23THRUST_200600_302600_NS4plusIjEEEEZZNS1_33reduce_by_key_impl_wrapped_configILNS1_25lookback_scan_determinismE0ES3_S9_NS6_6detail15normal_iteratorINS6_10device_ptrIjEEEESG_SG_SG_PmS8_NS6_8equal_toIjEEEE10hipError_tPvRmT2_T3_mT4_T5_T6_T7_T8_P12ihipStream_tbENKUlT_T0_E_clISt17integral_constantIbLb0EES10_IbLb1EEEEDaSW_SX_EUlSW_E_NS1_11comp_targetILNS1_3genE5ELNS1_11target_archE942ELNS1_3gpuE9ELNS1_3repE0EEENS1_30default_config_static_selectorELNS0_4arch9wavefront6targetE0EEEvT1_,"axG",@progbits,_ZN7rocprim17ROCPRIM_400000_NS6detail17trampoline_kernelINS0_14default_configENS1_29reduce_by_key_config_selectorIjjN6thrust23THRUST_200600_302600_NS4plusIjEEEEZZNS1_33reduce_by_key_impl_wrapped_configILNS1_25lookback_scan_determinismE0ES3_S9_NS6_6detail15normal_iteratorINS6_10device_ptrIjEEEESG_SG_SG_PmS8_NS6_8equal_toIjEEEE10hipError_tPvRmT2_T3_mT4_T5_T6_T7_T8_P12ihipStream_tbENKUlT_T0_E_clISt17integral_constantIbLb0EES10_IbLb1EEEEDaSW_SX_EUlSW_E_NS1_11comp_targetILNS1_3genE5ELNS1_11target_archE942ELNS1_3gpuE9ELNS1_3repE0EEENS1_30default_config_static_selectorELNS0_4arch9wavefront6targetE0EEEvT1_,comdat
.Lfunc_end346:
	.size	_ZN7rocprim17ROCPRIM_400000_NS6detail17trampoline_kernelINS0_14default_configENS1_29reduce_by_key_config_selectorIjjN6thrust23THRUST_200600_302600_NS4plusIjEEEEZZNS1_33reduce_by_key_impl_wrapped_configILNS1_25lookback_scan_determinismE0ES3_S9_NS6_6detail15normal_iteratorINS6_10device_ptrIjEEEESG_SG_SG_PmS8_NS6_8equal_toIjEEEE10hipError_tPvRmT2_T3_mT4_T5_T6_T7_T8_P12ihipStream_tbENKUlT_T0_E_clISt17integral_constantIbLb0EES10_IbLb1EEEEDaSW_SX_EUlSW_E_NS1_11comp_targetILNS1_3genE5ELNS1_11target_archE942ELNS1_3gpuE9ELNS1_3repE0EEENS1_30default_config_static_selectorELNS0_4arch9wavefront6targetE0EEEvT1_, .Lfunc_end346-_ZN7rocprim17ROCPRIM_400000_NS6detail17trampoline_kernelINS0_14default_configENS1_29reduce_by_key_config_selectorIjjN6thrust23THRUST_200600_302600_NS4plusIjEEEEZZNS1_33reduce_by_key_impl_wrapped_configILNS1_25lookback_scan_determinismE0ES3_S9_NS6_6detail15normal_iteratorINS6_10device_ptrIjEEEESG_SG_SG_PmS8_NS6_8equal_toIjEEEE10hipError_tPvRmT2_T3_mT4_T5_T6_T7_T8_P12ihipStream_tbENKUlT_T0_E_clISt17integral_constantIbLb0EES10_IbLb1EEEEDaSW_SX_EUlSW_E_NS1_11comp_targetILNS1_3genE5ELNS1_11target_archE942ELNS1_3gpuE9ELNS1_3repE0EEENS1_30default_config_static_selectorELNS0_4arch9wavefront6targetE0EEEvT1_
                                        ; -- End function
	.section	.AMDGPU.csdata,"",@progbits
; Kernel info:
; codeLenInByte = 0
; NumSgprs: 0
; NumVgprs: 0
; ScratchSize: 0
; MemoryBound: 0
; FloatMode: 240
; IeeeMode: 1
; LDSByteSize: 0 bytes/workgroup (compile time only)
; SGPRBlocks: 0
; VGPRBlocks: 0
; NumSGPRsForWavesPerEU: 1
; NumVGPRsForWavesPerEU: 1
; Occupancy: 16
; WaveLimiterHint : 0
; COMPUTE_PGM_RSRC2:SCRATCH_EN: 0
; COMPUTE_PGM_RSRC2:USER_SGPR: 15
; COMPUTE_PGM_RSRC2:TRAP_HANDLER: 0
; COMPUTE_PGM_RSRC2:TGID_X_EN: 1
; COMPUTE_PGM_RSRC2:TGID_Y_EN: 0
; COMPUTE_PGM_RSRC2:TGID_Z_EN: 0
; COMPUTE_PGM_RSRC2:TIDIG_COMP_CNT: 0
	.section	.text._ZN7rocprim17ROCPRIM_400000_NS6detail17trampoline_kernelINS0_14default_configENS1_29reduce_by_key_config_selectorIjjN6thrust23THRUST_200600_302600_NS4plusIjEEEEZZNS1_33reduce_by_key_impl_wrapped_configILNS1_25lookback_scan_determinismE0ES3_S9_NS6_6detail15normal_iteratorINS6_10device_ptrIjEEEESG_SG_SG_PmS8_NS6_8equal_toIjEEEE10hipError_tPvRmT2_T3_mT4_T5_T6_T7_T8_P12ihipStream_tbENKUlT_T0_E_clISt17integral_constantIbLb0EES10_IbLb1EEEEDaSW_SX_EUlSW_E_NS1_11comp_targetILNS1_3genE4ELNS1_11target_archE910ELNS1_3gpuE8ELNS1_3repE0EEENS1_30default_config_static_selectorELNS0_4arch9wavefront6targetE0EEEvT1_,"axG",@progbits,_ZN7rocprim17ROCPRIM_400000_NS6detail17trampoline_kernelINS0_14default_configENS1_29reduce_by_key_config_selectorIjjN6thrust23THRUST_200600_302600_NS4plusIjEEEEZZNS1_33reduce_by_key_impl_wrapped_configILNS1_25lookback_scan_determinismE0ES3_S9_NS6_6detail15normal_iteratorINS6_10device_ptrIjEEEESG_SG_SG_PmS8_NS6_8equal_toIjEEEE10hipError_tPvRmT2_T3_mT4_T5_T6_T7_T8_P12ihipStream_tbENKUlT_T0_E_clISt17integral_constantIbLb0EES10_IbLb1EEEEDaSW_SX_EUlSW_E_NS1_11comp_targetILNS1_3genE4ELNS1_11target_archE910ELNS1_3gpuE8ELNS1_3repE0EEENS1_30default_config_static_selectorELNS0_4arch9wavefront6targetE0EEEvT1_,comdat
	.protected	_ZN7rocprim17ROCPRIM_400000_NS6detail17trampoline_kernelINS0_14default_configENS1_29reduce_by_key_config_selectorIjjN6thrust23THRUST_200600_302600_NS4plusIjEEEEZZNS1_33reduce_by_key_impl_wrapped_configILNS1_25lookback_scan_determinismE0ES3_S9_NS6_6detail15normal_iteratorINS6_10device_ptrIjEEEESG_SG_SG_PmS8_NS6_8equal_toIjEEEE10hipError_tPvRmT2_T3_mT4_T5_T6_T7_T8_P12ihipStream_tbENKUlT_T0_E_clISt17integral_constantIbLb0EES10_IbLb1EEEEDaSW_SX_EUlSW_E_NS1_11comp_targetILNS1_3genE4ELNS1_11target_archE910ELNS1_3gpuE8ELNS1_3repE0EEENS1_30default_config_static_selectorELNS0_4arch9wavefront6targetE0EEEvT1_ ; -- Begin function _ZN7rocprim17ROCPRIM_400000_NS6detail17trampoline_kernelINS0_14default_configENS1_29reduce_by_key_config_selectorIjjN6thrust23THRUST_200600_302600_NS4plusIjEEEEZZNS1_33reduce_by_key_impl_wrapped_configILNS1_25lookback_scan_determinismE0ES3_S9_NS6_6detail15normal_iteratorINS6_10device_ptrIjEEEESG_SG_SG_PmS8_NS6_8equal_toIjEEEE10hipError_tPvRmT2_T3_mT4_T5_T6_T7_T8_P12ihipStream_tbENKUlT_T0_E_clISt17integral_constantIbLb0EES10_IbLb1EEEEDaSW_SX_EUlSW_E_NS1_11comp_targetILNS1_3genE4ELNS1_11target_archE910ELNS1_3gpuE8ELNS1_3repE0EEENS1_30default_config_static_selectorELNS0_4arch9wavefront6targetE0EEEvT1_
	.globl	_ZN7rocprim17ROCPRIM_400000_NS6detail17trampoline_kernelINS0_14default_configENS1_29reduce_by_key_config_selectorIjjN6thrust23THRUST_200600_302600_NS4plusIjEEEEZZNS1_33reduce_by_key_impl_wrapped_configILNS1_25lookback_scan_determinismE0ES3_S9_NS6_6detail15normal_iteratorINS6_10device_ptrIjEEEESG_SG_SG_PmS8_NS6_8equal_toIjEEEE10hipError_tPvRmT2_T3_mT4_T5_T6_T7_T8_P12ihipStream_tbENKUlT_T0_E_clISt17integral_constantIbLb0EES10_IbLb1EEEEDaSW_SX_EUlSW_E_NS1_11comp_targetILNS1_3genE4ELNS1_11target_archE910ELNS1_3gpuE8ELNS1_3repE0EEENS1_30default_config_static_selectorELNS0_4arch9wavefront6targetE0EEEvT1_
	.p2align	8
	.type	_ZN7rocprim17ROCPRIM_400000_NS6detail17trampoline_kernelINS0_14default_configENS1_29reduce_by_key_config_selectorIjjN6thrust23THRUST_200600_302600_NS4plusIjEEEEZZNS1_33reduce_by_key_impl_wrapped_configILNS1_25lookback_scan_determinismE0ES3_S9_NS6_6detail15normal_iteratorINS6_10device_ptrIjEEEESG_SG_SG_PmS8_NS6_8equal_toIjEEEE10hipError_tPvRmT2_T3_mT4_T5_T6_T7_T8_P12ihipStream_tbENKUlT_T0_E_clISt17integral_constantIbLb0EES10_IbLb1EEEEDaSW_SX_EUlSW_E_NS1_11comp_targetILNS1_3genE4ELNS1_11target_archE910ELNS1_3gpuE8ELNS1_3repE0EEENS1_30default_config_static_selectorELNS0_4arch9wavefront6targetE0EEEvT1_,@function
_ZN7rocprim17ROCPRIM_400000_NS6detail17trampoline_kernelINS0_14default_configENS1_29reduce_by_key_config_selectorIjjN6thrust23THRUST_200600_302600_NS4plusIjEEEEZZNS1_33reduce_by_key_impl_wrapped_configILNS1_25lookback_scan_determinismE0ES3_S9_NS6_6detail15normal_iteratorINS6_10device_ptrIjEEEESG_SG_SG_PmS8_NS6_8equal_toIjEEEE10hipError_tPvRmT2_T3_mT4_T5_T6_T7_T8_P12ihipStream_tbENKUlT_T0_E_clISt17integral_constantIbLb0EES10_IbLb1EEEEDaSW_SX_EUlSW_E_NS1_11comp_targetILNS1_3genE4ELNS1_11target_archE910ELNS1_3gpuE8ELNS1_3repE0EEENS1_30default_config_static_selectorELNS0_4arch9wavefront6targetE0EEEvT1_: ; @_ZN7rocprim17ROCPRIM_400000_NS6detail17trampoline_kernelINS0_14default_configENS1_29reduce_by_key_config_selectorIjjN6thrust23THRUST_200600_302600_NS4plusIjEEEEZZNS1_33reduce_by_key_impl_wrapped_configILNS1_25lookback_scan_determinismE0ES3_S9_NS6_6detail15normal_iteratorINS6_10device_ptrIjEEEESG_SG_SG_PmS8_NS6_8equal_toIjEEEE10hipError_tPvRmT2_T3_mT4_T5_T6_T7_T8_P12ihipStream_tbENKUlT_T0_E_clISt17integral_constantIbLb0EES10_IbLb1EEEEDaSW_SX_EUlSW_E_NS1_11comp_targetILNS1_3genE4ELNS1_11target_archE910ELNS1_3gpuE8ELNS1_3repE0EEENS1_30default_config_static_selectorELNS0_4arch9wavefront6targetE0EEEvT1_
; %bb.0:
	.section	.rodata,"a",@progbits
	.p2align	6, 0x0
	.amdhsa_kernel _ZN7rocprim17ROCPRIM_400000_NS6detail17trampoline_kernelINS0_14default_configENS1_29reduce_by_key_config_selectorIjjN6thrust23THRUST_200600_302600_NS4plusIjEEEEZZNS1_33reduce_by_key_impl_wrapped_configILNS1_25lookback_scan_determinismE0ES3_S9_NS6_6detail15normal_iteratorINS6_10device_ptrIjEEEESG_SG_SG_PmS8_NS6_8equal_toIjEEEE10hipError_tPvRmT2_T3_mT4_T5_T6_T7_T8_P12ihipStream_tbENKUlT_T0_E_clISt17integral_constantIbLb0EES10_IbLb1EEEEDaSW_SX_EUlSW_E_NS1_11comp_targetILNS1_3genE4ELNS1_11target_archE910ELNS1_3gpuE8ELNS1_3repE0EEENS1_30default_config_static_selectorELNS0_4arch9wavefront6targetE0EEEvT1_
		.amdhsa_group_segment_fixed_size 0
		.amdhsa_private_segment_fixed_size 0
		.amdhsa_kernarg_size 120
		.amdhsa_user_sgpr_count 15
		.amdhsa_user_sgpr_dispatch_ptr 0
		.amdhsa_user_sgpr_queue_ptr 0
		.amdhsa_user_sgpr_kernarg_segment_ptr 1
		.amdhsa_user_sgpr_dispatch_id 0
		.amdhsa_user_sgpr_private_segment_size 0
		.amdhsa_wavefront_size32 1
		.amdhsa_uses_dynamic_stack 0
		.amdhsa_enable_private_segment 0
		.amdhsa_system_sgpr_workgroup_id_x 1
		.amdhsa_system_sgpr_workgroup_id_y 0
		.amdhsa_system_sgpr_workgroup_id_z 0
		.amdhsa_system_sgpr_workgroup_info 0
		.amdhsa_system_vgpr_workitem_id 0
		.amdhsa_next_free_vgpr 1
		.amdhsa_next_free_sgpr 1
		.amdhsa_reserve_vcc 0
		.amdhsa_float_round_mode_32 0
		.amdhsa_float_round_mode_16_64 0
		.amdhsa_float_denorm_mode_32 3
		.amdhsa_float_denorm_mode_16_64 3
		.amdhsa_dx10_clamp 1
		.amdhsa_ieee_mode 1
		.amdhsa_fp16_overflow 0
		.amdhsa_workgroup_processor_mode 1
		.amdhsa_memory_ordered 1
		.amdhsa_forward_progress 0
		.amdhsa_shared_vgpr_count 0
		.amdhsa_exception_fp_ieee_invalid_op 0
		.amdhsa_exception_fp_denorm_src 0
		.amdhsa_exception_fp_ieee_div_zero 0
		.amdhsa_exception_fp_ieee_overflow 0
		.amdhsa_exception_fp_ieee_underflow 0
		.amdhsa_exception_fp_ieee_inexact 0
		.amdhsa_exception_int_div_zero 0
	.end_amdhsa_kernel
	.section	.text._ZN7rocprim17ROCPRIM_400000_NS6detail17trampoline_kernelINS0_14default_configENS1_29reduce_by_key_config_selectorIjjN6thrust23THRUST_200600_302600_NS4plusIjEEEEZZNS1_33reduce_by_key_impl_wrapped_configILNS1_25lookback_scan_determinismE0ES3_S9_NS6_6detail15normal_iteratorINS6_10device_ptrIjEEEESG_SG_SG_PmS8_NS6_8equal_toIjEEEE10hipError_tPvRmT2_T3_mT4_T5_T6_T7_T8_P12ihipStream_tbENKUlT_T0_E_clISt17integral_constantIbLb0EES10_IbLb1EEEEDaSW_SX_EUlSW_E_NS1_11comp_targetILNS1_3genE4ELNS1_11target_archE910ELNS1_3gpuE8ELNS1_3repE0EEENS1_30default_config_static_selectorELNS0_4arch9wavefront6targetE0EEEvT1_,"axG",@progbits,_ZN7rocprim17ROCPRIM_400000_NS6detail17trampoline_kernelINS0_14default_configENS1_29reduce_by_key_config_selectorIjjN6thrust23THRUST_200600_302600_NS4plusIjEEEEZZNS1_33reduce_by_key_impl_wrapped_configILNS1_25lookback_scan_determinismE0ES3_S9_NS6_6detail15normal_iteratorINS6_10device_ptrIjEEEESG_SG_SG_PmS8_NS6_8equal_toIjEEEE10hipError_tPvRmT2_T3_mT4_T5_T6_T7_T8_P12ihipStream_tbENKUlT_T0_E_clISt17integral_constantIbLb0EES10_IbLb1EEEEDaSW_SX_EUlSW_E_NS1_11comp_targetILNS1_3genE4ELNS1_11target_archE910ELNS1_3gpuE8ELNS1_3repE0EEENS1_30default_config_static_selectorELNS0_4arch9wavefront6targetE0EEEvT1_,comdat
.Lfunc_end347:
	.size	_ZN7rocprim17ROCPRIM_400000_NS6detail17trampoline_kernelINS0_14default_configENS1_29reduce_by_key_config_selectorIjjN6thrust23THRUST_200600_302600_NS4plusIjEEEEZZNS1_33reduce_by_key_impl_wrapped_configILNS1_25lookback_scan_determinismE0ES3_S9_NS6_6detail15normal_iteratorINS6_10device_ptrIjEEEESG_SG_SG_PmS8_NS6_8equal_toIjEEEE10hipError_tPvRmT2_T3_mT4_T5_T6_T7_T8_P12ihipStream_tbENKUlT_T0_E_clISt17integral_constantIbLb0EES10_IbLb1EEEEDaSW_SX_EUlSW_E_NS1_11comp_targetILNS1_3genE4ELNS1_11target_archE910ELNS1_3gpuE8ELNS1_3repE0EEENS1_30default_config_static_selectorELNS0_4arch9wavefront6targetE0EEEvT1_, .Lfunc_end347-_ZN7rocprim17ROCPRIM_400000_NS6detail17trampoline_kernelINS0_14default_configENS1_29reduce_by_key_config_selectorIjjN6thrust23THRUST_200600_302600_NS4plusIjEEEEZZNS1_33reduce_by_key_impl_wrapped_configILNS1_25lookback_scan_determinismE0ES3_S9_NS6_6detail15normal_iteratorINS6_10device_ptrIjEEEESG_SG_SG_PmS8_NS6_8equal_toIjEEEE10hipError_tPvRmT2_T3_mT4_T5_T6_T7_T8_P12ihipStream_tbENKUlT_T0_E_clISt17integral_constantIbLb0EES10_IbLb1EEEEDaSW_SX_EUlSW_E_NS1_11comp_targetILNS1_3genE4ELNS1_11target_archE910ELNS1_3gpuE8ELNS1_3repE0EEENS1_30default_config_static_selectorELNS0_4arch9wavefront6targetE0EEEvT1_
                                        ; -- End function
	.section	.AMDGPU.csdata,"",@progbits
; Kernel info:
; codeLenInByte = 0
; NumSgprs: 0
; NumVgprs: 0
; ScratchSize: 0
; MemoryBound: 0
; FloatMode: 240
; IeeeMode: 1
; LDSByteSize: 0 bytes/workgroup (compile time only)
; SGPRBlocks: 0
; VGPRBlocks: 0
; NumSGPRsForWavesPerEU: 1
; NumVGPRsForWavesPerEU: 1
; Occupancy: 16
; WaveLimiterHint : 0
; COMPUTE_PGM_RSRC2:SCRATCH_EN: 0
; COMPUTE_PGM_RSRC2:USER_SGPR: 15
; COMPUTE_PGM_RSRC2:TRAP_HANDLER: 0
; COMPUTE_PGM_RSRC2:TGID_X_EN: 1
; COMPUTE_PGM_RSRC2:TGID_Y_EN: 0
; COMPUTE_PGM_RSRC2:TGID_Z_EN: 0
; COMPUTE_PGM_RSRC2:TIDIG_COMP_CNT: 0
	.section	.text._ZN7rocprim17ROCPRIM_400000_NS6detail17trampoline_kernelINS0_14default_configENS1_29reduce_by_key_config_selectorIjjN6thrust23THRUST_200600_302600_NS4plusIjEEEEZZNS1_33reduce_by_key_impl_wrapped_configILNS1_25lookback_scan_determinismE0ES3_S9_NS6_6detail15normal_iteratorINS6_10device_ptrIjEEEESG_SG_SG_PmS8_NS6_8equal_toIjEEEE10hipError_tPvRmT2_T3_mT4_T5_T6_T7_T8_P12ihipStream_tbENKUlT_T0_E_clISt17integral_constantIbLb0EES10_IbLb1EEEEDaSW_SX_EUlSW_E_NS1_11comp_targetILNS1_3genE3ELNS1_11target_archE908ELNS1_3gpuE7ELNS1_3repE0EEENS1_30default_config_static_selectorELNS0_4arch9wavefront6targetE0EEEvT1_,"axG",@progbits,_ZN7rocprim17ROCPRIM_400000_NS6detail17trampoline_kernelINS0_14default_configENS1_29reduce_by_key_config_selectorIjjN6thrust23THRUST_200600_302600_NS4plusIjEEEEZZNS1_33reduce_by_key_impl_wrapped_configILNS1_25lookback_scan_determinismE0ES3_S9_NS6_6detail15normal_iteratorINS6_10device_ptrIjEEEESG_SG_SG_PmS8_NS6_8equal_toIjEEEE10hipError_tPvRmT2_T3_mT4_T5_T6_T7_T8_P12ihipStream_tbENKUlT_T0_E_clISt17integral_constantIbLb0EES10_IbLb1EEEEDaSW_SX_EUlSW_E_NS1_11comp_targetILNS1_3genE3ELNS1_11target_archE908ELNS1_3gpuE7ELNS1_3repE0EEENS1_30default_config_static_selectorELNS0_4arch9wavefront6targetE0EEEvT1_,comdat
	.protected	_ZN7rocprim17ROCPRIM_400000_NS6detail17trampoline_kernelINS0_14default_configENS1_29reduce_by_key_config_selectorIjjN6thrust23THRUST_200600_302600_NS4plusIjEEEEZZNS1_33reduce_by_key_impl_wrapped_configILNS1_25lookback_scan_determinismE0ES3_S9_NS6_6detail15normal_iteratorINS6_10device_ptrIjEEEESG_SG_SG_PmS8_NS6_8equal_toIjEEEE10hipError_tPvRmT2_T3_mT4_T5_T6_T7_T8_P12ihipStream_tbENKUlT_T0_E_clISt17integral_constantIbLb0EES10_IbLb1EEEEDaSW_SX_EUlSW_E_NS1_11comp_targetILNS1_3genE3ELNS1_11target_archE908ELNS1_3gpuE7ELNS1_3repE0EEENS1_30default_config_static_selectorELNS0_4arch9wavefront6targetE0EEEvT1_ ; -- Begin function _ZN7rocprim17ROCPRIM_400000_NS6detail17trampoline_kernelINS0_14default_configENS1_29reduce_by_key_config_selectorIjjN6thrust23THRUST_200600_302600_NS4plusIjEEEEZZNS1_33reduce_by_key_impl_wrapped_configILNS1_25lookback_scan_determinismE0ES3_S9_NS6_6detail15normal_iteratorINS6_10device_ptrIjEEEESG_SG_SG_PmS8_NS6_8equal_toIjEEEE10hipError_tPvRmT2_T3_mT4_T5_T6_T7_T8_P12ihipStream_tbENKUlT_T0_E_clISt17integral_constantIbLb0EES10_IbLb1EEEEDaSW_SX_EUlSW_E_NS1_11comp_targetILNS1_3genE3ELNS1_11target_archE908ELNS1_3gpuE7ELNS1_3repE0EEENS1_30default_config_static_selectorELNS0_4arch9wavefront6targetE0EEEvT1_
	.globl	_ZN7rocprim17ROCPRIM_400000_NS6detail17trampoline_kernelINS0_14default_configENS1_29reduce_by_key_config_selectorIjjN6thrust23THRUST_200600_302600_NS4plusIjEEEEZZNS1_33reduce_by_key_impl_wrapped_configILNS1_25lookback_scan_determinismE0ES3_S9_NS6_6detail15normal_iteratorINS6_10device_ptrIjEEEESG_SG_SG_PmS8_NS6_8equal_toIjEEEE10hipError_tPvRmT2_T3_mT4_T5_T6_T7_T8_P12ihipStream_tbENKUlT_T0_E_clISt17integral_constantIbLb0EES10_IbLb1EEEEDaSW_SX_EUlSW_E_NS1_11comp_targetILNS1_3genE3ELNS1_11target_archE908ELNS1_3gpuE7ELNS1_3repE0EEENS1_30default_config_static_selectorELNS0_4arch9wavefront6targetE0EEEvT1_
	.p2align	8
	.type	_ZN7rocprim17ROCPRIM_400000_NS6detail17trampoline_kernelINS0_14default_configENS1_29reduce_by_key_config_selectorIjjN6thrust23THRUST_200600_302600_NS4plusIjEEEEZZNS1_33reduce_by_key_impl_wrapped_configILNS1_25lookback_scan_determinismE0ES3_S9_NS6_6detail15normal_iteratorINS6_10device_ptrIjEEEESG_SG_SG_PmS8_NS6_8equal_toIjEEEE10hipError_tPvRmT2_T3_mT4_T5_T6_T7_T8_P12ihipStream_tbENKUlT_T0_E_clISt17integral_constantIbLb0EES10_IbLb1EEEEDaSW_SX_EUlSW_E_NS1_11comp_targetILNS1_3genE3ELNS1_11target_archE908ELNS1_3gpuE7ELNS1_3repE0EEENS1_30default_config_static_selectorELNS0_4arch9wavefront6targetE0EEEvT1_,@function
_ZN7rocprim17ROCPRIM_400000_NS6detail17trampoline_kernelINS0_14default_configENS1_29reduce_by_key_config_selectorIjjN6thrust23THRUST_200600_302600_NS4plusIjEEEEZZNS1_33reduce_by_key_impl_wrapped_configILNS1_25lookback_scan_determinismE0ES3_S9_NS6_6detail15normal_iteratorINS6_10device_ptrIjEEEESG_SG_SG_PmS8_NS6_8equal_toIjEEEE10hipError_tPvRmT2_T3_mT4_T5_T6_T7_T8_P12ihipStream_tbENKUlT_T0_E_clISt17integral_constantIbLb0EES10_IbLb1EEEEDaSW_SX_EUlSW_E_NS1_11comp_targetILNS1_3genE3ELNS1_11target_archE908ELNS1_3gpuE7ELNS1_3repE0EEENS1_30default_config_static_selectorELNS0_4arch9wavefront6targetE0EEEvT1_: ; @_ZN7rocprim17ROCPRIM_400000_NS6detail17trampoline_kernelINS0_14default_configENS1_29reduce_by_key_config_selectorIjjN6thrust23THRUST_200600_302600_NS4plusIjEEEEZZNS1_33reduce_by_key_impl_wrapped_configILNS1_25lookback_scan_determinismE0ES3_S9_NS6_6detail15normal_iteratorINS6_10device_ptrIjEEEESG_SG_SG_PmS8_NS6_8equal_toIjEEEE10hipError_tPvRmT2_T3_mT4_T5_T6_T7_T8_P12ihipStream_tbENKUlT_T0_E_clISt17integral_constantIbLb0EES10_IbLb1EEEEDaSW_SX_EUlSW_E_NS1_11comp_targetILNS1_3genE3ELNS1_11target_archE908ELNS1_3gpuE7ELNS1_3repE0EEENS1_30default_config_static_selectorELNS0_4arch9wavefront6targetE0EEEvT1_
; %bb.0:
	.section	.rodata,"a",@progbits
	.p2align	6, 0x0
	.amdhsa_kernel _ZN7rocprim17ROCPRIM_400000_NS6detail17trampoline_kernelINS0_14default_configENS1_29reduce_by_key_config_selectorIjjN6thrust23THRUST_200600_302600_NS4plusIjEEEEZZNS1_33reduce_by_key_impl_wrapped_configILNS1_25lookback_scan_determinismE0ES3_S9_NS6_6detail15normal_iteratorINS6_10device_ptrIjEEEESG_SG_SG_PmS8_NS6_8equal_toIjEEEE10hipError_tPvRmT2_T3_mT4_T5_T6_T7_T8_P12ihipStream_tbENKUlT_T0_E_clISt17integral_constantIbLb0EES10_IbLb1EEEEDaSW_SX_EUlSW_E_NS1_11comp_targetILNS1_3genE3ELNS1_11target_archE908ELNS1_3gpuE7ELNS1_3repE0EEENS1_30default_config_static_selectorELNS0_4arch9wavefront6targetE0EEEvT1_
		.amdhsa_group_segment_fixed_size 0
		.amdhsa_private_segment_fixed_size 0
		.amdhsa_kernarg_size 120
		.amdhsa_user_sgpr_count 15
		.amdhsa_user_sgpr_dispatch_ptr 0
		.amdhsa_user_sgpr_queue_ptr 0
		.amdhsa_user_sgpr_kernarg_segment_ptr 1
		.amdhsa_user_sgpr_dispatch_id 0
		.amdhsa_user_sgpr_private_segment_size 0
		.amdhsa_wavefront_size32 1
		.amdhsa_uses_dynamic_stack 0
		.amdhsa_enable_private_segment 0
		.amdhsa_system_sgpr_workgroup_id_x 1
		.amdhsa_system_sgpr_workgroup_id_y 0
		.amdhsa_system_sgpr_workgroup_id_z 0
		.amdhsa_system_sgpr_workgroup_info 0
		.amdhsa_system_vgpr_workitem_id 0
		.amdhsa_next_free_vgpr 1
		.amdhsa_next_free_sgpr 1
		.amdhsa_reserve_vcc 0
		.amdhsa_float_round_mode_32 0
		.amdhsa_float_round_mode_16_64 0
		.amdhsa_float_denorm_mode_32 3
		.amdhsa_float_denorm_mode_16_64 3
		.amdhsa_dx10_clamp 1
		.amdhsa_ieee_mode 1
		.amdhsa_fp16_overflow 0
		.amdhsa_workgroup_processor_mode 1
		.amdhsa_memory_ordered 1
		.amdhsa_forward_progress 0
		.amdhsa_shared_vgpr_count 0
		.amdhsa_exception_fp_ieee_invalid_op 0
		.amdhsa_exception_fp_denorm_src 0
		.amdhsa_exception_fp_ieee_div_zero 0
		.amdhsa_exception_fp_ieee_overflow 0
		.amdhsa_exception_fp_ieee_underflow 0
		.amdhsa_exception_fp_ieee_inexact 0
		.amdhsa_exception_int_div_zero 0
	.end_amdhsa_kernel
	.section	.text._ZN7rocprim17ROCPRIM_400000_NS6detail17trampoline_kernelINS0_14default_configENS1_29reduce_by_key_config_selectorIjjN6thrust23THRUST_200600_302600_NS4plusIjEEEEZZNS1_33reduce_by_key_impl_wrapped_configILNS1_25lookback_scan_determinismE0ES3_S9_NS6_6detail15normal_iteratorINS6_10device_ptrIjEEEESG_SG_SG_PmS8_NS6_8equal_toIjEEEE10hipError_tPvRmT2_T3_mT4_T5_T6_T7_T8_P12ihipStream_tbENKUlT_T0_E_clISt17integral_constantIbLb0EES10_IbLb1EEEEDaSW_SX_EUlSW_E_NS1_11comp_targetILNS1_3genE3ELNS1_11target_archE908ELNS1_3gpuE7ELNS1_3repE0EEENS1_30default_config_static_selectorELNS0_4arch9wavefront6targetE0EEEvT1_,"axG",@progbits,_ZN7rocprim17ROCPRIM_400000_NS6detail17trampoline_kernelINS0_14default_configENS1_29reduce_by_key_config_selectorIjjN6thrust23THRUST_200600_302600_NS4plusIjEEEEZZNS1_33reduce_by_key_impl_wrapped_configILNS1_25lookback_scan_determinismE0ES3_S9_NS6_6detail15normal_iteratorINS6_10device_ptrIjEEEESG_SG_SG_PmS8_NS6_8equal_toIjEEEE10hipError_tPvRmT2_T3_mT4_T5_T6_T7_T8_P12ihipStream_tbENKUlT_T0_E_clISt17integral_constantIbLb0EES10_IbLb1EEEEDaSW_SX_EUlSW_E_NS1_11comp_targetILNS1_3genE3ELNS1_11target_archE908ELNS1_3gpuE7ELNS1_3repE0EEENS1_30default_config_static_selectorELNS0_4arch9wavefront6targetE0EEEvT1_,comdat
.Lfunc_end348:
	.size	_ZN7rocprim17ROCPRIM_400000_NS6detail17trampoline_kernelINS0_14default_configENS1_29reduce_by_key_config_selectorIjjN6thrust23THRUST_200600_302600_NS4plusIjEEEEZZNS1_33reduce_by_key_impl_wrapped_configILNS1_25lookback_scan_determinismE0ES3_S9_NS6_6detail15normal_iteratorINS6_10device_ptrIjEEEESG_SG_SG_PmS8_NS6_8equal_toIjEEEE10hipError_tPvRmT2_T3_mT4_T5_T6_T7_T8_P12ihipStream_tbENKUlT_T0_E_clISt17integral_constantIbLb0EES10_IbLb1EEEEDaSW_SX_EUlSW_E_NS1_11comp_targetILNS1_3genE3ELNS1_11target_archE908ELNS1_3gpuE7ELNS1_3repE0EEENS1_30default_config_static_selectorELNS0_4arch9wavefront6targetE0EEEvT1_, .Lfunc_end348-_ZN7rocprim17ROCPRIM_400000_NS6detail17trampoline_kernelINS0_14default_configENS1_29reduce_by_key_config_selectorIjjN6thrust23THRUST_200600_302600_NS4plusIjEEEEZZNS1_33reduce_by_key_impl_wrapped_configILNS1_25lookback_scan_determinismE0ES3_S9_NS6_6detail15normal_iteratorINS6_10device_ptrIjEEEESG_SG_SG_PmS8_NS6_8equal_toIjEEEE10hipError_tPvRmT2_T3_mT4_T5_T6_T7_T8_P12ihipStream_tbENKUlT_T0_E_clISt17integral_constantIbLb0EES10_IbLb1EEEEDaSW_SX_EUlSW_E_NS1_11comp_targetILNS1_3genE3ELNS1_11target_archE908ELNS1_3gpuE7ELNS1_3repE0EEENS1_30default_config_static_selectorELNS0_4arch9wavefront6targetE0EEEvT1_
                                        ; -- End function
	.section	.AMDGPU.csdata,"",@progbits
; Kernel info:
; codeLenInByte = 0
; NumSgprs: 0
; NumVgprs: 0
; ScratchSize: 0
; MemoryBound: 0
; FloatMode: 240
; IeeeMode: 1
; LDSByteSize: 0 bytes/workgroup (compile time only)
; SGPRBlocks: 0
; VGPRBlocks: 0
; NumSGPRsForWavesPerEU: 1
; NumVGPRsForWavesPerEU: 1
; Occupancy: 16
; WaveLimiterHint : 0
; COMPUTE_PGM_RSRC2:SCRATCH_EN: 0
; COMPUTE_PGM_RSRC2:USER_SGPR: 15
; COMPUTE_PGM_RSRC2:TRAP_HANDLER: 0
; COMPUTE_PGM_RSRC2:TGID_X_EN: 1
; COMPUTE_PGM_RSRC2:TGID_Y_EN: 0
; COMPUTE_PGM_RSRC2:TGID_Z_EN: 0
; COMPUTE_PGM_RSRC2:TIDIG_COMP_CNT: 0
	.section	.text._ZN7rocprim17ROCPRIM_400000_NS6detail17trampoline_kernelINS0_14default_configENS1_29reduce_by_key_config_selectorIjjN6thrust23THRUST_200600_302600_NS4plusIjEEEEZZNS1_33reduce_by_key_impl_wrapped_configILNS1_25lookback_scan_determinismE0ES3_S9_NS6_6detail15normal_iteratorINS6_10device_ptrIjEEEESG_SG_SG_PmS8_NS6_8equal_toIjEEEE10hipError_tPvRmT2_T3_mT4_T5_T6_T7_T8_P12ihipStream_tbENKUlT_T0_E_clISt17integral_constantIbLb0EES10_IbLb1EEEEDaSW_SX_EUlSW_E_NS1_11comp_targetILNS1_3genE2ELNS1_11target_archE906ELNS1_3gpuE6ELNS1_3repE0EEENS1_30default_config_static_selectorELNS0_4arch9wavefront6targetE0EEEvT1_,"axG",@progbits,_ZN7rocprim17ROCPRIM_400000_NS6detail17trampoline_kernelINS0_14default_configENS1_29reduce_by_key_config_selectorIjjN6thrust23THRUST_200600_302600_NS4plusIjEEEEZZNS1_33reduce_by_key_impl_wrapped_configILNS1_25lookback_scan_determinismE0ES3_S9_NS6_6detail15normal_iteratorINS6_10device_ptrIjEEEESG_SG_SG_PmS8_NS6_8equal_toIjEEEE10hipError_tPvRmT2_T3_mT4_T5_T6_T7_T8_P12ihipStream_tbENKUlT_T0_E_clISt17integral_constantIbLb0EES10_IbLb1EEEEDaSW_SX_EUlSW_E_NS1_11comp_targetILNS1_3genE2ELNS1_11target_archE906ELNS1_3gpuE6ELNS1_3repE0EEENS1_30default_config_static_selectorELNS0_4arch9wavefront6targetE0EEEvT1_,comdat
	.protected	_ZN7rocprim17ROCPRIM_400000_NS6detail17trampoline_kernelINS0_14default_configENS1_29reduce_by_key_config_selectorIjjN6thrust23THRUST_200600_302600_NS4plusIjEEEEZZNS1_33reduce_by_key_impl_wrapped_configILNS1_25lookback_scan_determinismE0ES3_S9_NS6_6detail15normal_iteratorINS6_10device_ptrIjEEEESG_SG_SG_PmS8_NS6_8equal_toIjEEEE10hipError_tPvRmT2_T3_mT4_T5_T6_T7_T8_P12ihipStream_tbENKUlT_T0_E_clISt17integral_constantIbLb0EES10_IbLb1EEEEDaSW_SX_EUlSW_E_NS1_11comp_targetILNS1_3genE2ELNS1_11target_archE906ELNS1_3gpuE6ELNS1_3repE0EEENS1_30default_config_static_selectorELNS0_4arch9wavefront6targetE0EEEvT1_ ; -- Begin function _ZN7rocprim17ROCPRIM_400000_NS6detail17trampoline_kernelINS0_14default_configENS1_29reduce_by_key_config_selectorIjjN6thrust23THRUST_200600_302600_NS4plusIjEEEEZZNS1_33reduce_by_key_impl_wrapped_configILNS1_25lookback_scan_determinismE0ES3_S9_NS6_6detail15normal_iteratorINS6_10device_ptrIjEEEESG_SG_SG_PmS8_NS6_8equal_toIjEEEE10hipError_tPvRmT2_T3_mT4_T5_T6_T7_T8_P12ihipStream_tbENKUlT_T0_E_clISt17integral_constantIbLb0EES10_IbLb1EEEEDaSW_SX_EUlSW_E_NS1_11comp_targetILNS1_3genE2ELNS1_11target_archE906ELNS1_3gpuE6ELNS1_3repE0EEENS1_30default_config_static_selectorELNS0_4arch9wavefront6targetE0EEEvT1_
	.globl	_ZN7rocprim17ROCPRIM_400000_NS6detail17trampoline_kernelINS0_14default_configENS1_29reduce_by_key_config_selectorIjjN6thrust23THRUST_200600_302600_NS4plusIjEEEEZZNS1_33reduce_by_key_impl_wrapped_configILNS1_25lookback_scan_determinismE0ES3_S9_NS6_6detail15normal_iteratorINS6_10device_ptrIjEEEESG_SG_SG_PmS8_NS6_8equal_toIjEEEE10hipError_tPvRmT2_T3_mT4_T5_T6_T7_T8_P12ihipStream_tbENKUlT_T0_E_clISt17integral_constantIbLb0EES10_IbLb1EEEEDaSW_SX_EUlSW_E_NS1_11comp_targetILNS1_3genE2ELNS1_11target_archE906ELNS1_3gpuE6ELNS1_3repE0EEENS1_30default_config_static_selectorELNS0_4arch9wavefront6targetE0EEEvT1_
	.p2align	8
	.type	_ZN7rocprim17ROCPRIM_400000_NS6detail17trampoline_kernelINS0_14default_configENS1_29reduce_by_key_config_selectorIjjN6thrust23THRUST_200600_302600_NS4plusIjEEEEZZNS1_33reduce_by_key_impl_wrapped_configILNS1_25lookback_scan_determinismE0ES3_S9_NS6_6detail15normal_iteratorINS6_10device_ptrIjEEEESG_SG_SG_PmS8_NS6_8equal_toIjEEEE10hipError_tPvRmT2_T3_mT4_T5_T6_T7_T8_P12ihipStream_tbENKUlT_T0_E_clISt17integral_constantIbLb0EES10_IbLb1EEEEDaSW_SX_EUlSW_E_NS1_11comp_targetILNS1_3genE2ELNS1_11target_archE906ELNS1_3gpuE6ELNS1_3repE0EEENS1_30default_config_static_selectorELNS0_4arch9wavefront6targetE0EEEvT1_,@function
_ZN7rocprim17ROCPRIM_400000_NS6detail17trampoline_kernelINS0_14default_configENS1_29reduce_by_key_config_selectorIjjN6thrust23THRUST_200600_302600_NS4plusIjEEEEZZNS1_33reduce_by_key_impl_wrapped_configILNS1_25lookback_scan_determinismE0ES3_S9_NS6_6detail15normal_iteratorINS6_10device_ptrIjEEEESG_SG_SG_PmS8_NS6_8equal_toIjEEEE10hipError_tPvRmT2_T3_mT4_T5_T6_T7_T8_P12ihipStream_tbENKUlT_T0_E_clISt17integral_constantIbLb0EES10_IbLb1EEEEDaSW_SX_EUlSW_E_NS1_11comp_targetILNS1_3genE2ELNS1_11target_archE906ELNS1_3gpuE6ELNS1_3repE0EEENS1_30default_config_static_selectorELNS0_4arch9wavefront6targetE0EEEvT1_: ; @_ZN7rocprim17ROCPRIM_400000_NS6detail17trampoline_kernelINS0_14default_configENS1_29reduce_by_key_config_selectorIjjN6thrust23THRUST_200600_302600_NS4plusIjEEEEZZNS1_33reduce_by_key_impl_wrapped_configILNS1_25lookback_scan_determinismE0ES3_S9_NS6_6detail15normal_iteratorINS6_10device_ptrIjEEEESG_SG_SG_PmS8_NS6_8equal_toIjEEEE10hipError_tPvRmT2_T3_mT4_T5_T6_T7_T8_P12ihipStream_tbENKUlT_T0_E_clISt17integral_constantIbLb0EES10_IbLb1EEEEDaSW_SX_EUlSW_E_NS1_11comp_targetILNS1_3genE2ELNS1_11target_archE906ELNS1_3gpuE6ELNS1_3repE0EEENS1_30default_config_static_selectorELNS0_4arch9wavefront6targetE0EEEvT1_
; %bb.0:
	.section	.rodata,"a",@progbits
	.p2align	6, 0x0
	.amdhsa_kernel _ZN7rocprim17ROCPRIM_400000_NS6detail17trampoline_kernelINS0_14default_configENS1_29reduce_by_key_config_selectorIjjN6thrust23THRUST_200600_302600_NS4plusIjEEEEZZNS1_33reduce_by_key_impl_wrapped_configILNS1_25lookback_scan_determinismE0ES3_S9_NS6_6detail15normal_iteratorINS6_10device_ptrIjEEEESG_SG_SG_PmS8_NS6_8equal_toIjEEEE10hipError_tPvRmT2_T3_mT4_T5_T6_T7_T8_P12ihipStream_tbENKUlT_T0_E_clISt17integral_constantIbLb0EES10_IbLb1EEEEDaSW_SX_EUlSW_E_NS1_11comp_targetILNS1_3genE2ELNS1_11target_archE906ELNS1_3gpuE6ELNS1_3repE0EEENS1_30default_config_static_selectorELNS0_4arch9wavefront6targetE0EEEvT1_
		.amdhsa_group_segment_fixed_size 0
		.amdhsa_private_segment_fixed_size 0
		.amdhsa_kernarg_size 120
		.amdhsa_user_sgpr_count 15
		.amdhsa_user_sgpr_dispatch_ptr 0
		.amdhsa_user_sgpr_queue_ptr 0
		.amdhsa_user_sgpr_kernarg_segment_ptr 1
		.amdhsa_user_sgpr_dispatch_id 0
		.amdhsa_user_sgpr_private_segment_size 0
		.amdhsa_wavefront_size32 1
		.amdhsa_uses_dynamic_stack 0
		.amdhsa_enable_private_segment 0
		.amdhsa_system_sgpr_workgroup_id_x 1
		.amdhsa_system_sgpr_workgroup_id_y 0
		.amdhsa_system_sgpr_workgroup_id_z 0
		.amdhsa_system_sgpr_workgroup_info 0
		.amdhsa_system_vgpr_workitem_id 0
		.amdhsa_next_free_vgpr 1
		.amdhsa_next_free_sgpr 1
		.amdhsa_reserve_vcc 0
		.amdhsa_float_round_mode_32 0
		.amdhsa_float_round_mode_16_64 0
		.amdhsa_float_denorm_mode_32 3
		.amdhsa_float_denorm_mode_16_64 3
		.amdhsa_dx10_clamp 1
		.amdhsa_ieee_mode 1
		.amdhsa_fp16_overflow 0
		.amdhsa_workgroup_processor_mode 1
		.amdhsa_memory_ordered 1
		.amdhsa_forward_progress 0
		.amdhsa_shared_vgpr_count 0
		.amdhsa_exception_fp_ieee_invalid_op 0
		.amdhsa_exception_fp_denorm_src 0
		.amdhsa_exception_fp_ieee_div_zero 0
		.amdhsa_exception_fp_ieee_overflow 0
		.amdhsa_exception_fp_ieee_underflow 0
		.amdhsa_exception_fp_ieee_inexact 0
		.amdhsa_exception_int_div_zero 0
	.end_amdhsa_kernel
	.section	.text._ZN7rocprim17ROCPRIM_400000_NS6detail17trampoline_kernelINS0_14default_configENS1_29reduce_by_key_config_selectorIjjN6thrust23THRUST_200600_302600_NS4plusIjEEEEZZNS1_33reduce_by_key_impl_wrapped_configILNS1_25lookback_scan_determinismE0ES3_S9_NS6_6detail15normal_iteratorINS6_10device_ptrIjEEEESG_SG_SG_PmS8_NS6_8equal_toIjEEEE10hipError_tPvRmT2_T3_mT4_T5_T6_T7_T8_P12ihipStream_tbENKUlT_T0_E_clISt17integral_constantIbLb0EES10_IbLb1EEEEDaSW_SX_EUlSW_E_NS1_11comp_targetILNS1_3genE2ELNS1_11target_archE906ELNS1_3gpuE6ELNS1_3repE0EEENS1_30default_config_static_selectorELNS0_4arch9wavefront6targetE0EEEvT1_,"axG",@progbits,_ZN7rocprim17ROCPRIM_400000_NS6detail17trampoline_kernelINS0_14default_configENS1_29reduce_by_key_config_selectorIjjN6thrust23THRUST_200600_302600_NS4plusIjEEEEZZNS1_33reduce_by_key_impl_wrapped_configILNS1_25lookback_scan_determinismE0ES3_S9_NS6_6detail15normal_iteratorINS6_10device_ptrIjEEEESG_SG_SG_PmS8_NS6_8equal_toIjEEEE10hipError_tPvRmT2_T3_mT4_T5_T6_T7_T8_P12ihipStream_tbENKUlT_T0_E_clISt17integral_constantIbLb0EES10_IbLb1EEEEDaSW_SX_EUlSW_E_NS1_11comp_targetILNS1_3genE2ELNS1_11target_archE906ELNS1_3gpuE6ELNS1_3repE0EEENS1_30default_config_static_selectorELNS0_4arch9wavefront6targetE0EEEvT1_,comdat
.Lfunc_end349:
	.size	_ZN7rocprim17ROCPRIM_400000_NS6detail17trampoline_kernelINS0_14default_configENS1_29reduce_by_key_config_selectorIjjN6thrust23THRUST_200600_302600_NS4plusIjEEEEZZNS1_33reduce_by_key_impl_wrapped_configILNS1_25lookback_scan_determinismE0ES3_S9_NS6_6detail15normal_iteratorINS6_10device_ptrIjEEEESG_SG_SG_PmS8_NS6_8equal_toIjEEEE10hipError_tPvRmT2_T3_mT4_T5_T6_T7_T8_P12ihipStream_tbENKUlT_T0_E_clISt17integral_constantIbLb0EES10_IbLb1EEEEDaSW_SX_EUlSW_E_NS1_11comp_targetILNS1_3genE2ELNS1_11target_archE906ELNS1_3gpuE6ELNS1_3repE0EEENS1_30default_config_static_selectorELNS0_4arch9wavefront6targetE0EEEvT1_, .Lfunc_end349-_ZN7rocprim17ROCPRIM_400000_NS6detail17trampoline_kernelINS0_14default_configENS1_29reduce_by_key_config_selectorIjjN6thrust23THRUST_200600_302600_NS4plusIjEEEEZZNS1_33reduce_by_key_impl_wrapped_configILNS1_25lookback_scan_determinismE0ES3_S9_NS6_6detail15normal_iteratorINS6_10device_ptrIjEEEESG_SG_SG_PmS8_NS6_8equal_toIjEEEE10hipError_tPvRmT2_T3_mT4_T5_T6_T7_T8_P12ihipStream_tbENKUlT_T0_E_clISt17integral_constantIbLb0EES10_IbLb1EEEEDaSW_SX_EUlSW_E_NS1_11comp_targetILNS1_3genE2ELNS1_11target_archE906ELNS1_3gpuE6ELNS1_3repE0EEENS1_30default_config_static_selectorELNS0_4arch9wavefront6targetE0EEEvT1_
                                        ; -- End function
	.section	.AMDGPU.csdata,"",@progbits
; Kernel info:
; codeLenInByte = 0
; NumSgprs: 0
; NumVgprs: 0
; ScratchSize: 0
; MemoryBound: 0
; FloatMode: 240
; IeeeMode: 1
; LDSByteSize: 0 bytes/workgroup (compile time only)
; SGPRBlocks: 0
; VGPRBlocks: 0
; NumSGPRsForWavesPerEU: 1
; NumVGPRsForWavesPerEU: 1
; Occupancy: 16
; WaveLimiterHint : 0
; COMPUTE_PGM_RSRC2:SCRATCH_EN: 0
; COMPUTE_PGM_RSRC2:USER_SGPR: 15
; COMPUTE_PGM_RSRC2:TRAP_HANDLER: 0
; COMPUTE_PGM_RSRC2:TGID_X_EN: 1
; COMPUTE_PGM_RSRC2:TGID_Y_EN: 0
; COMPUTE_PGM_RSRC2:TGID_Z_EN: 0
; COMPUTE_PGM_RSRC2:TIDIG_COMP_CNT: 0
	.section	.text._ZN7rocprim17ROCPRIM_400000_NS6detail17trampoline_kernelINS0_14default_configENS1_29reduce_by_key_config_selectorIjjN6thrust23THRUST_200600_302600_NS4plusIjEEEEZZNS1_33reduce_by_key_impl_wrapped_configILNS1_25lookback_scan_determinismE0ES3_S9_NS6_6detail15normal_iteratorINS6_10device_ptrIjEEEESG_SG_SG_PmS8_NS6_8equal_toIjEEEE10hipError_tPvRmT2_T3_mT4_T5_T6_T7_T8_P12ihipStream_tbENKUlT_T0_E_clISt17integral_constantIbLb0EES10_IbLb1EEEEDaSW_SX_EUlSW_E_NS1_11comp_targetILNS1_3genE10ELNS1_11target_archE1201ELNS1_3gpuE5ELNS1_3repE0EEENS1_30default_config_static_selectorELNS0_4arch9wavefront6targetE0EEEvT1_,"axG",@progbits,_ZN7rocprim17ROCPRIM_400000_NS6detail17trampoline_kernelINS0_14default_configENS1_29reduce_by_key_config_selectorIjjN6thrust23THRUST_200600_302600_NS4plusIjEEEEZZNS1_33reduce_by_key_impl_wrapped_configILNS1_25lookback_scan_determinismE0ES3_S9_NS6_6detail15normal_iteratorINS6_10device_ptrIjEEEESG_SG_SG_PmS8_NS6_8equal_toIjEEEE10hipError_tPvRmT2_T3_mT4_T5_T6_T7_T8_P12ihipStream_tbENKUlT_T0_E_clISt17integral_constantIbLb0EES10_IbLb1EEEEDaSW_SX_EUlSW_E_NS1_11comp_targetILNS1_3genE10ELNS1_11target_archE1201ELNS1_3gpuE5ELNS1_3repE0EEENS1_30default_config_static_selectorELNS0_4arch9wavefront6targetE0EEEvT1_,comdat
	.protected	_ZN7rocprim17ROCPRIM_400000_NS6detail17trampoline_kernelINS0_14default_configENS1_29reduce_by_key_config_selectorIjjN6thrust23THRUST_200600_302600_NS4plusIjEEEEZZNS1_33reduce_by_key_impl_wrapped_configILNS1_25lookback_scan_determinismE0ES3_S9_NS6_6detail15normal_iteratorINS6_10device_ptrIjEEEESG_SG_SG_PmS8_NS6_8equal_toIjEEEE10hipError_tPvRmT2_T3_mT4_T5_T6_T7_T8_P12ihipStream_tbENKUlT_T0_E_clISt17integral_constantIbLb0EES10_IbLb1EEEEDaSW_SX_EUlSW_E_NS1_11comp_targetILNS1_3genE10ELNS1_11target_archE1201ELNS1_3gpuE5ELNS1_3repE0EEENS1_30default_config_static_selectorELNS0_4arch9wavefront6targetE0EEEvT1_ ; -- Begin function _ZN7rocprim17ROCPRIM_400000_NS6detail17trampoline_kernelINS0_14default_configENS1_29reduce_by_key_config_selectorIjjN6thrust23THRUST_200600_302600_NS4plusIjEEEEZZNS1_33reduce_by_key_impl_wrapped_configILNS1_25lookback_scan_determinismE0ES3_S9_NS6_6detail15normal_iteratorINS6_10device_ptrIjEEEESG_SG_SG_PmS8_NS6_8equal_toIjEEEE10hipError_tPvRmT2_T3_mT4_T5_T6_T7_T8_P12ihipStream_tbENKUlT_T0_E_clISt17integral_constantIbLb0EES10_IbLb1EEEEDaSW_SX_EUlSW_E_NS1_11comp_targetILNS1_3genE10ELNS1_11target_archE1201ELNS1_3gpuE5ELNS1_3repE0EEENS1_30default_config_static_selectorELNS0_4arch9wavefront6targetE0EEEvT1_
	.globl	_ZN7rocprim17ROCPRIM_400000_NS6detail17trampoline_kernelINS0_14default_configENS1_29reduce_by_key_config_selectorIjjN6thrust23THRUST_200600_302600_NS4plusIjEEEEZZNS1_33reduce_by_key_impl_wrapped_configILNS1_25lookback_scan_determinismE0ES3_S9_NS6_6detail15normal_iteratorINS6_10device_ptrIjEEEESG_SG_SG_PmS8_NS6_8equal_toIjEEEE10hipError_tPvRmT2_T3_mT4_T5_T6_T7_T8_P12ihipStream_tbENKUlT_T0_E_clISt17integral_constantIbLb0EES10_IbLb1EEEEDaSW_SX_EUlSW_E_NS1_11comp_targetILNS1_3genE10ELNS1_11target_archE1201ELNS1_3gpuE5ELNS1_3repE0EEENS1_30default_config_static_selectorELNS0_4arch9wavefront6targetE0EEEvT1_
	.p2align	8
	.type	_ZN7rocprim17ROCPRIM_400000_NS6detail17trampoline_kernelINS0_14default_configENS1_29reduce_by_key_config_selectorIjjN6thrust23THRUST_200600_302600_NS4plusIjEEEEZZNS1_33reduce_by_key_impl_wrapped_configILNS1_25lookback_scan_determinismE0ES3_S9_NS6_6detail15normal_iteratorINS6_10device_ptrIjEEEESG_SG_SG_PmS8_NS6_8equal_toIjEEEE10hipError_tPvRmT2_T3_mT4_T5_T6_T7_T8_P12ihipStream_tbENKUlT_T0_E_clISt17integral_constantIbLb0EES10_IbLb1EEEEDaSW_SX_EUlSW_E_NS1_11comp_targetILNS1_3genE10ELNS1_11target_archE1201ELNS1_3gpuE5ELNS1_3repE0EEENS1_30default_config_static_selectorELNS0_4arch9wavefront6targetE0EEEvT1_,@function
_ZN7rocprim17ROCPRIM_400000_NS6detail17trampoline_kernelINS0_14default_configENS1_29reduce_by_key_config_selectorIjjN6thrust23THRUST_200600_302600_NS4plusIjEEEEZZNS1_33reduce_by_key_impl_wrapped_configILNS1_25lookback_scan_determinismE0ES3_S9_NS6_6detail15normal_iteratorINS6_10device_ptrIjEEEESG_SG_SG_PmS8_NS6_8equal_toIjEEEE10hipError_tPvRmT2_T3_mT4_T5_T6_T7_T8_P12ihipStream_tbENKUlT_T0_E_clISt17integral_constantIbLb0EES10_IbLb1EEEEDaSW_SX_EUlSW_E_NS1_11comp_targetILNS1_3genE10ELNS1_11target_archE1201ELNS1_3gpuE5ELNS1_3repE0EEENS1_30default_config_static_selectorELNS0_4arch9wavefront6targetE0EEEvT1_: ; @_ZN7rocprim17ROCPRIM_400000_NS6detail17trampoline_kernelINS0_14default_configENS1_29reduce_by_key_config_selectorIjjN6thrust23THRUST_200600_302600_NS4plusIjEEEEZZNS1_33reduce_by_key_impl_wrapped_configILNS1_25lookback_scan_determinismE0ES3_S9_NS6_6detail15normal_iteratorINS6_10device_ptrIjEEEESG_SG_SG_PmS8_NS6_8equal_toIjEEEE10hipError_tPvRmT2_T3_mT4_T5_T6_T7_T8_P12ihipStream_tbENKUlT_T0_E_clISt17integral_constantIbLb0EES10_IbLb1EEEEDaSW_SX_EUlSW_E_NS1_11comp_targetILNS1_3genE10ELNS1_11target_archE1201ELNS1_3gpuE5ELNS1_3repE0EEENS1_30default_config_static_selectorELNS0_4arch9wavefront6targetE0EEEvT1_
; %bb.0:
	.section	.rodata,"a",@progbits
	.p2align	6, 0x0
	.amdhsa_kernel _ZN7rocprim17ROCPRIM_400000_NS6detail17trampoline_kernelINS0_14default_configENS1_29reduce_by_key_config_selectorIjjN6thrust23THRUST_200600_302600_NS4plusIjEEEEZZNS1_33reduce_by_key_impl_wrapped_configILNS1_25lookback_scan_determinismE0ES3_S9_NS6_6detail15normal_iteratorINS6_10device_ptrIjEEEESG_SG_SG_PmS8_NS6_8equal_toIjEEEE10hipError_tPvRmT2_T3_mT4_T5_T6_T7_T8_P12ihipStream_tbENKUlT_T0_E_clISt17integral_constantIbLb0EES10_IbLb1EEEEDaSW_SX_EUlSW_E_NS1_11comp_targetILNS1_3genE10ELNS1_11target_archE1201ELNS1_3gpuE5ELNS1_3repE0EEENS1_30default_config_static_selectorELNS0_4arch9wavefront6targetE0EEEvT1_
		.amdhsa_group_segment_fixed_size 0
		.amdhsa_private_segment_fixed_size 0
		.amdhsa_kernarg_size 120
		.amdhsa_user_sgpr_count 15
		.amdhsa_user_sgpr_dispatch_ptr 0
		.amdhsa_user_sgpr_queue_ptr 0
		.amdhsa_user_sgpr_kernarg_segment_ptr 1
		.amdhsa_user_sgpr_dispatch_id 0
		.amdhsa_user_sgpr_private_segment_size 0
		.amdhsa_wavefront_size32 1
		.amdhsa_uses_dynamic_stack 0
		.amdhsa_enable_private_segment 0
		.amdhsa_system_sgpr_workgroup_id_x 1
		.amdhsa_system_sgpr_workgroup_id_y 0
		.amdhsa_system_sgpr_workgroup_id_z 0
		.amdhsa_system_sgpr_workgroup_info 0
		.amdhsa_system_vgpr_workitem_id 0
		.amdhsa_next_free_vgpr 1
		.amdhsa_next_free_sgpr 1
		.amdhsa_reserve_vcc 0
		.amdhsa_float_round_mode_32 0
		.amdhsa_float_round_mode_16_64 0
		.amdhsa_float_denorm_mode_32 3
		.amdhsa_float_denorm_mode_16_64 3
		.amdhsa_dx10_clamp 1
		.amdhsa_ieee_mode 1
		.amdhsa_fp16_overflow 0
		.amdhsa_workgroup_processor_mode 1
		.amdhsa_memory_ordered 1
		.amdhsa_forward_progress 0
		.amdhsa_shared_vgpr_count 0
		.amdhsa_exception_fp_ieee_invalid_op 0
		.amdhsa_exception_fp_denorm_src 0
		.amdhsa_exception_fp_ieee_div_zero 0
		.amdhsa_exception_fp_ieee_overflow 0
		.amdhsa_exception_fp_ieee_underflow 0
		.amdhsa_exception_fp_ieee_inexact 0
		.amdhsa_exception_int_div_zero 0
	.end_amdhsa_kernel
	.section	.text._ZN7rocprim17ROCPRIM_400000_NS6detail17trampoline_kernelINS0_14default_configENS1_29reduce_by_key_config_selectorIjjN6thrust23THRUST_200600_302600_NS4plusIjEEEEZZNS1_33reduce_by_key_impl_wrapped_configILNS1_25lookback_scan_determinismE0ES3_S9_NS6_6detail15normal_iteratorINS6_10device_ptrIjEEEESG_SG_SG_PmS8_NS6_8equal_toIjEEEE10hipError_tPvRmT2_T3_mT4_T5_T6_T7_T8_P12ihipStream_tbENKUlT_T0_E_clISt17integral_constantIbLb0EES10_IbLb1EEEEDaSW_SX_EUlSW_E_NS1_11comp_targetILNS1_3genE10ELNS1_11target_archE1201ELNS1_3gpuE5ELNS1_3repE0EEENS1_30default_config_static_selectorELNS0_4arch9wavefront6targetE0EEEvT1_,"axG",@progbits,_ZN7rocprim17ROCPRIM_400000_NS6detail17trampoline_kernelINS0_14default_configENS1_29reduce_by_key_config_selectorIjjN6thrust23THRUST_200600_302600_NS4plusIjEEEEZZNS1_33reduce_by_key_impl_wrapped_configILNS1_25lookback_scan_determinismE0ES3_S9_NS6_6detail15normal_iteratorINS6_10device_ptrIjEEEESG_SG_SG_PmS8_NS6_8equal_toIjEEEE10hipError_tPvRmT2_T3_mT4_T5_T6_T7_T8_P12ihipStream_tbENKUlT_T0_E_clISt17integral_constantIbLb0EES10_IbLb1EEEEDaSW_SX_EUlSW_E_NS1_11comp_targetILNS1_3genE10ELNS1_11target_archE1201ELNS1_3gpuE5ELNS1_3repE0EEENS1_30default_config_static_selectorELNS0_4arch9wavefront6targetE0EEEvT1_,comdat
.Lfunc_end350:
	.size	_ZN7rocprim17ROCPRIM_400000_NS6detail17trampoline_kernelINS0_14default_configENS1_29reduce_by_key_config_selectorIjjN6thrust23THRUST_200600_302600_NS4plusIjEEEEZZNS1_33reduce_by_key_impl_wrapped_configILNS1_25lookback_scan_determinismE0ES3_S9_NS6_6detail15normal_iteratorINS6_10device_ptrIjEEEESG_SG_SG_PmS8_NS6_8equal_toIjEEEE10hipError_tPvRmT2_T3_mT4_T5_T6_T7_T8_P12ihipStream_tbENKUlT_T0_E_clISt17integral_constantIbLb0EES10_IbLb1EEEEDaSW_SX_EUlSW_E_NS1_11comp_targetILNS1_3genE10ELNS1_11target_archE1201ELNS1_3gpuE5ELNS1_3repE0EEENS1_30default_config_static_selectorELNS0_4arch9wavefront6targetE0EEEvT1_, .Lfunc_end350-_ZN7rocprim17ROCPRIM_400000_NS6detail17trampoline_kernelINS0_14default_configENS1_29reduce_by_key_config_selectorIjjN6thrust23THRUST_200600_302600_NS4plusIjEEEEZZNS1_33reduce_by_key_impl_wrapped_configILNS1_25lookback_scan_determinismE0ES3_S9_NS6_6detail15normal_iteratorINS6_10device_ptrIjEEEESG_SG_SG_PmS8_NS6_8equal_toIjEEEE10hipError_tPvRmT2_T3_mT4_T5_T6_T7_T8_P12ihipStream_tbENKUlT_T0_E_clISt17integral_constantIbLb0EES10_IbLb1EEEEDaSW_SX_EUlSW_E_NS1_11comp_targetILNS1_3genE10ELNS1_11target_archE1201ELNS1_3gpuE5ELNS1_3repE0EEENS1_30default_config_static_selectorELNS0_4arch9wavefront6targetE0EEEvT1_
                                        ; -- End function
	.section	.AMDGPU.csdata,"",@progbits
; Kernel info:
; codeLenInByte = 0
; NumSgprs: 0
; NumVgprs: 0
; ScratchSize: 0
; MemoryBound: 0
; FloatMode: 240
; IeeeMode: 1
; LDSByteSize: 0 bytes/workgroup (compile time only)
; SGPRBlocks: 0
; VGPRBlocks: 0
; NumSGPRsForWavesPerEU: 1
; NumVGPRsForWavesPerEU: 1
; Occupancy: 16
; WaveLimiterHint : 0
; COMPUTE_PGM_RSRC2:SCRATCH_EN: 0
; COMPUTE_PGM_RSRC2:USER_SGPR: 15
; COMPUTE_PGM_RSRC2:TRAP_HANDLER: 0
; COMPUTE_PGM_RSRC2:TGID_X_EN: 1
; COMPUTE_PGM_RSRC2:TGID_Y_EN: 0
; COMPUTE_PGM_RSRC2:TGID_Z_EN: 0
; COMPUTE_PGM_RSRC2:TIDIG_COMP_CNT: 0
	.section	.text._ZN7rocprim17ROCPRIM_400000_NS6detail17trampoline_kernelINS0_14default_configENS1_29reduce_by_key_config_selectorIjjN6thrust23THRUST_200600_302600_NS4plusIjEEEEZZNS1_33reduce_by_key_impl_wrapped_configILNS1_25lookback_scan_determinismE0ES3_S9_NS6_6detail15normal_iteratorINS6_10device_ptrIjEEEESG_SG_SG_PmS8_NS6_8equal_toIjEEEE10hipError_tPvRmT2_T3_mT4_T5_T6_T7_T8_P12ihipStream_tbENKUlT_T0_E_clISt17integral_constantIbLb0EES10_IbLb1EEEEDaSW_SX_EUlSW_E_NS1_11comp_targetILNS1_3genE10ELNS1_11target_archE1200ELNS1_3gpuE4ELNS1_3repE0EEENS1_30default_config_static_selectorELNS0_4arch9wavefront6targetE0EEEvT1_,"axG",@progbits,_ZN7rocprim17ROCPRIM_400000_NS6detail17trampoline_kernelINS0_14default_configENS1_29reduce_by_key_config_selectorIjjN6thrust23THRUST_200600_302600_NS4plusIjEEEEZZNS1_33reduce_by_key_impl_wrapped_configILNS1_25lookback_scan_determinismE0ES3_S9_NS6_6detail15normal_iteratorINS6_10device_ptrIjEEEESG_SG_SG_PmS8_NS6_8equal_toIjEEEE10hipError_tPvRmT2_T3_mT4_T5_T6_T7_T8_P12ihipStream_tbENKUlT_T0_E_clISt17integral_constantIbLb0EES10_IbLb1EEEEDaSW_SX_EUlSW_E_NS1_11comp_targetILNS1_3genE10ELNS1_11target_archE1200ELNS1_3gpuE4ELNS1_3repE0EEENS1_30default_config_static_selectorELNS0_4arch9wavefront6targetE0EEEvT1_,comdat
	.protected	_ZN7rocprim17ROCPRIM_400000_NS6detail17trampoline_kernelINS0_14default_configENS1_29reduce_by_key_config_selectorIjjN6thrust23THRUST_200600_302600_NS4plusIjEEEEZZNS1_33reduce_by_key_impl_wrapped_configILNS1_25lookback_scan_determinismE0ES3_S9_NS6_6detail15normal_iteratorINS6_10device_ptrIjEEEESG_SG_SG_PmS8_NS6_8equal_toIjEEEE10hipError_tPvRmT2_T3_mT4_T5_T6_T7_T8_P12ihipStream_tbENKUlT_T0_E_clISt17integral_constantIbLb0EES10_IbLb1EEEEDaSW_SX_EUlSW_E_NS1_11comp_targetILNS1_3genE10ELNS1_11target_archE1200ELNS1_3gpuE4ELNS1_3repE0EEENS1_30default_config_static_selectorELNS0_4arch9wavefront6targetE0EEEvT1_ ; -- Begin function _ZN7rocprim17ROCPRIM_400000_NS6detail17trampoline_kernelINS0_14default_configENS1_29reduce_by_key_config_selectorIjjN6thrust23THRUST_200600_302600_NS4plusIjEEEEZZNS1_33reduce_by_key_impl_wrapped_configILNS1_25lookback_scan_determinismE0ES3_S9_NS6_6detail15normal_iteratorINS6_10device_ptrIjEEEESG_SG_SG_PmS8_NS6_8equal_toIjEEEE10hipError_tPvRmT2_T3_mT4_T5_T6_T7_T8_P12ihipStream_tbENKUlT_T0_E_clISt17integral_constantIbLb0EES10_IbLb1EEEEDaSW_SX_EUlSW_E_NS1_11comp_targetILNS1_3genE10ELNS1_11target_archE1200ELNS1_3gpuE4ELNS1_3repE0EEENS1_30default_config_static_selectorELNS0_4arch9wavefront6targetE0EEEvT1_
	.globl	_ZN7rocprim17ROCPRIM_400000_NS6detail17trampoline_kernelINS0_14default_configENS1_29reduce_by_key_config_selectorIjjN6thrust23THRUST_200600_302600_NS4plusIjEEEEZZNS1_33reduce_by_key_impl_wrapped_configILNS1_25lookback_scan_determinismE0ES3_S9_NS6_6detail15normal_iteratorINS6_10device_ptrIjEEEESG_SG_SG_PmS8_NS6_8equal_toIjEEEE10hipError_tPvRmT2_T3_mT4_T5_T6_T7_T8_P12ihipStream_tbENKUlT_T0_E_clISt17integral_constantIbLb0EES10_IbLb1EEEEDaSW_SX_EUlSW_E_NS1_11comp_targetILNS1_3genE10ELNS1_11target_archE1200ELNS1_3gpuE4ELNS1_3repE0EEENS1_30default_config_static_selectorELNS0_4arch9wavefront6targetE0EEEvT1_
	.p2align	8
	.type	_ZN7rocprim17ROCPRIM_400000_NS6detail17trampoline_kernelINS0_14default_configENS1_29reduce_by_key_config_selectorIjjN6thrust23THRUST_200600_302600_NS4plusIjEEEEZZNS1_33reduce_by_key_impl_wrapped_configILNS1_25lookback_scan_determinismE0ES3_S9_NS6_6detail15normal_iteratorINS6_10device_ptrIjEEEESG_SG_SG_PmS8_NS6_8equal_toIjEEEE10hipError_tPvRmT2_T3_mT4_T5_T6_T7_T8_P12ihipStream_tbENKUlT_T0_E_clISt17integral_constantIbLb0EES10_IbLb1EEEEDaSW_SX_EUlSW_E_NS1_11comp_targetILNS1_3genE10ELNS1_11target_archE1200ELNS1_3gpuE4ELNS1_3repE0EEENS1_30default_config_static_selectorELNS0_4arch9wavefront6targetE0EEEvT1_,@function
_ZN7rocprim17ROCPRIM_400000_NS6detail17trampoline_kernelINS0_14default_configENS1_29reduce_by_key_config_selectorIjjN6thrust23THRUST_200600_302600_NS4plusIjEEEEZZNS1_33reduce_by_key_impl_wrapped_configILNS1_25lookback_scan_determinismE0ES3_S9_NS6_6detail15normal_iteratorINS6_10device_ptrIjEEEESG_SG_SG_PmS8_NS6_8equal_toIjEEEE10hipError_tPvRmT2_T3_mT4_T5_T6_T7_T8_P12ihipStream_tbENKUlT_T0_E_clISt17integral_constantIbLb0EES10_IbLb1EEEEDaSW_SX_EUlSW_E_NS1_11comp_targetILNS1_3genE10ELNS1_11target_archE1200ELNS1_3gpuE4ELNS1_3repE0EEENS1_30default_config_static_selectorELNS0_4arch9wavefront6targetE0EEEvT1_: ; @_ZN7rocprim17ROCPRIM_400000_NS6detail17trampoline_kernelINS0_14default_configENS1_29reduce_by_key_config_selectorIjjN6thrust23THRUST_200600_302600_NS4plusIjEEEEZZNS1_33reduce_by_key_impl_wrapped_configILNS1_25lookback_scan_determinismE0ES3_S9_NS6_6detail15normal_iteratorINS6_10device_ptrIjEEEESG_SG_SG_PmS8_NS6_8equal_toIjEEEE10hipError_tPvRmT2_T3_mT4_T5_T6_T7_T8_P12ihipStream_tbENKUlT_T0_E_clISt17integral_constantIbLb0EES10_IbLb1EEEEDaSW_SX_EUlSW_E_NS1_11comp_targetILNS1_3genE10ELNS1_11target_archE1200ELNS1_3gpuE4ELNS1_3repE0EEENS1_30default_config_static_selectorELNS0_4arch9wavefront6targetE0EEEvT1_
; %bb.0:
	.section	.rodata,"a",@progbits
	.p2align	6, 0x0
	.amdhsa_kernel _ZN7rocprim17ROCPRIM_400000_NS6detail17trampoline_kernelINS0_14default_configENS1_29reduce_by_key_config_selectorIjjN6thrust23THRUST_200600_302600_NS4plusIjEEEEZZNS1_33reduce_by_key_impl_wrapped_configILNS1_25lookback_scan_determinismE0ES3_S9_NS6_6detail15normal_iteratorINS6_10device_ptrIjEEEESG_SG_SG_PmS8_NS6_8equal_toIjEEEE10hipError_tPvRmT2_T3_mT4_T5_T6_T7_T8_P12ihipStream_tbENKUlT_T0_E_clISt17integral_constantIbLb0EES10_IbLb1EEEEDaSW_SX_EUlSW_E_NS1_11comp_targetILNS1_3genE10ELNS1_11target_archE1200ELNS1_3gpuE4ELNS1_3repE0EEENS1_30default_config_static_selectorELNS0_4arch9wavefront6targetE0EEEvT1_
		.amdhsa_group_segment_fixed_size 0
		.amdhsa_private_segment_fixed_size 0
		.amdhsa_kernarg_size 120
		.amdhsa_user_sgpr_count 15
		.amdhsa_user_sgpr_dispatch_ptr 0
		.amdhsa_user_sgpr_queue_ptr 0
		.amdhsa_user_sgpr_kernarg_segment_ptr 1
		.amdhsa_user_sgpr_dispatch_id 0
		.amdhsa_user_sgpr_private_segment_size 0
		.amdhsa_wavefront_size32 1
		.amdhsa_uses_dynamic_stack 0
		.amdhsa_enable_private_segment 0
		.amdhsa_system_sgpr_workgroup_id_x 1
		.amdhsa_system_sgpr_workgroup_id_y 0
		.amdhsa_system_sgpr_workgroup_id_z 0
		.amdhsa_system_sgpr_workgroup_info 0
		.amdhsa_system_vgpr_workitem_id 0
		.amdhsa_next_free_vgpr 1
		.amdhsa_next_free_sgpr 1
		.amdhsa_reserve_vcc 0
		.amdhsa_float_round_mode_32 0
		.amdhsa_float_round_mode_16_64 0
		.amdhsa_float_denorm_mode_32 3
		.amdhsa_float_denorm_mode_16_64 3
		.amdhsa_dx10_clamp 1
		.amdhsa_ieee_mode 1
		.amdhsa_fp16_overflow 0
		.amdhsa_workgroup_processor_mode 1
		.amdhsa_memory_ordered 1
		.amdhsa_forward_progress 0
		.amdhsa_shared_vgpr_count 0
		.amdhsa_exception_fp_ieee_invalid_op 0
		.amdhsa_exception_fp_denorm_src 0
		.amdhsa_exception_fp_ieee_div_zero 0
		.amdhsa_exception_fp_ieee_overflow 0
		.amdhsa_exception_fp_ieee_underflow 0
		.amdhsa_exception_fp_ieee_inexact 0
		.amdhsa_exception_int_div_zero 0
	.end_amdhsa_kernel
	.section	.text._ZN7rocprim17ROCPRIM_400000_NS6detail17trampoline_kernelINS0_14default_configENS1_29reduce_by_key_config_selectorIjjN6thrust23THRUST_200600_302600_NS4plusIjEEEEZZNS1_33reduce_by_key_impl_wrapped_configILNS1_25lookback_scan_determinismE0ES3_S9_NS6_6detail15normal_iteratorINS6_10device_ptrIjEEEESG_SG_SG_PmS8_NS6_8equal_toIjEEEE10hipError_tPvRmT2_T3_mT4_T5_T6_T7_T8_P12ihipStream_tbENKUlT_T0_E_clISt17integral_constantIbLb0EES10_IbLb1EEEEDaSW_SX_EUlSW_E_NS1_11comp_targetILNS1_3genE10ELNS1_11target_archE1200ELNS1_3gpuE4ELNS1_3repE0EEENS1_30default_config_static_selectorELNS0_4arch9wavefront6targetE0EEEvT1_,"axG",@progbits,_ZN7rocprim17ROCPRIM_400000_NS6detail17trampoline_kernelINS0_14default_configENS1_29reduce_by_key_config_selectorIjjN6thrust23THRUST_200600_302600_NS4plusIjEEEEZZNS1_33reduce_by_key_impl_wrapped_configILNS1_25lookback_scan_determinismE0ES3_S9_NS6_6detail15normal_iteratorINS6_10device_ptrIjEEEESG_SG_SG_PmS8_NS6_8equal_toIjEEEE10hipError_tPvRmT2_T3_mT4_T5_T6_T7_T8_P12ihipStream_tbENKUlT_T0_E_clISt17integral_constantIbLb0EES10_IbLb1EEEEDaSW_SX_EUlSW_E_NS1_11comp_targetILNS1_3genE10ELNS1_11target_archE1200ELNS1_3gpuE4ELNS1_3repE0EEENS1_30default_config_static_selectorELNS0_4arch9wavefront6targetE0EEEvT1_,comdat
.Lfunc_end351:
	.size	_ZN7rocprim17ROCPRIM_400000_NS6detail17trampoline_kernelINS0_14default_configENS1_29reduce_by_key_config_selectorIjjN6thrust23THRUST_200600_302600_NS4plusIjEEEEZZNS1_33reduce_by_key_impl_wrapped_configILNS1_25lookback_scan_determinismE0ES3_S9_NS6_6detail15normal_iteratorINS6_10device_ptrIjEEEESG_SG_SG_PmS8_NS6_8equal_toIjEEEE10hipError_tPvRmT2_T3_mT4_T5_T6_T7_T8_P12ihipStream_tbENKUlT_T0_E_clISt17integral_constantIbLb0EES10_IbLb1EEEEDaSW_SX_EUlSW_E_NS1_11comp_targetILNS1_3genE10ELNS1_11target_archE1200ELNS1_3gpuE4ELNS1_3repE0EEENS1_30default_config_static_selectorELNS0_4arch9wavefront6targetE0EEEvT1_, .Lfunc_end351-_ZN7rocprim17ROCPRIM_400000_NS6detail17trampoline_kernelINS0_14default_configENS1_29reduce_by_key_config_selectorIjjN6thrust23THRUST_200600_302600_NS4plusIjEEEEZZNS1_33reduce_by_key_impl_wrapped_configILNS1_25lookback_scan_determinismE0ES3_S9_NS6_6detail15normal_iteratorINS6_10device_ptrIjEEEESG_SG_SG_PmS8_NS6_8equal_toIjEEEE10hipError_tPvRmT2_T3_mT4_T5_T6_T7_T8_P12ihipStream_tbENKUlT_T0_E_clISt17integral_constantIbLb0EES10_IbLb1EEEEDaSW_SX_EUlSW_E_NS1_11comp_targetILNS1_3genE10ELNS1_11target_archE1200ELNS1_3gpuE4ELNS1_3repE0EEENS1_30default_config_static_selectorELNS0_4arch9wavefront6targetE0EEEvT1_
                                        ; -- End function
	.section	.AMDGPU.csdata,"",@progbits
; Kernel info:
; codeLenInByte = 0
; NumSgprs: 0
; NumVgprs: 0
; ScratchSize: 0
; MemoryBound: 0
; FloatMode: 240
; IeeeMode: 1
; LDSByteSize: 0 bytes/workgroup (compile time only)
; SGPRBlocks: 0
; VGPRBlocks: 0
; NumSGPRsForWavesPerEU: 1
; NumVGPRsForWavesPerEU: 1
; Occupancy: 16
; WaveLimiterHint : 0
; COMPUTE_PGM_RSRC2:SCRATCH_EN: 0
; COMPUTE_PGM_RSRC2:USER_SGPR: 15
; COMPUTE_PGM_RSRC2:TRAP_HANDLER: 0
; COMPUTE_PGM_RSRC2:TGID_X_EN: 1
; COMPUTE_PGM_RSRC2:TGID_Y_EN: 0
; COMPUTE_PGM_RSRC2:TGID_Z_EN: 0
; COMPUTE_PGM_RSRC2:TIDIG_COMP_CNT: 0
	.section	.text._ZN7rocprim17ROCPRIM_400000_NS6detail17trampoline_kernelINS0_14default_configENS1_29reduce_by_key_config_selectorIjjN6thrust23THRUST_200600_302600_NS4plusIjEEEEZZNS1_33reduce_by_key_impl_wrapped_configILNS1_25lookback_scan_determinismE0ES3_S9_NS6_6detail15normal_iteratorINS6_10device_ptrIjEEEESG_SG_SG_PmS8_NS6_8equal_toIjEEEE10hipError_tPvRmT2_T3_mT4_T5_T6_T7_T8_P12ihipStream_tbENKUlT_T0_E_clISt17integral_constantIbLb0EES10_IbLb1EEEEDaSW_SX_EUlSW_E_NS1_11comp_targetILNS1_3genE9ELNS1_11target_archE1100ELNS1_3gpuE3ELNS1_3repE0EEENS1_30default_config_static_selectorELNS0_4arch9wavefront6targetE0EEEvT1_,"axG",@progbits,_ZN7rocprim17ROCPRIM_400000_NS6detail17trampoline_kernelINS0_14default_configENS1_29reduce_by_key_config_selectorIjjN6thrust23THRUST_200600_302600_NS4plusIjEEEEZZNS1_33reduce_by_key_impl_wrapped_configILNS1_25lookback_scan_determinismE0ES3_S9_NS6_6detail15normal_iteratorINS6_10device_ptrIjEEEESG_SG_SG_PmS8_NS6_8equal_toIjEEEE10hipError_tPvRmT2_T3_mT4_T5_T6_T7_T8_P12ihipStream_tbENKUlT_T0_E_clISt17integral_constantIbLb0EES10_IbLb1EEEEDaSW_SX_EUlSW_E_NS1_11comp_targetILNS1_3genE9ELNS1_11target_archE1100ELNS1_3gpuE3ELNS1_3repE0EEENS1_30default_config_static_selectorELNS0_4arch9wavefront6targetE0EEEvT1_,comdat
	.protected	_ZN7rocprim17ROCPRIM_400000_NS6detail17trampoline_kernelINS0_14default_configENS1_29reduce_by_key_config_selectorIjjN6thrust23THRUST_200600_302600_NS4plusIjEEEEZZNS1_33reduce_by_key_impl_wrapped_configILNS1_25lookback_scan_determinismE0ES3_S9_NS6_6detail15normal_iteratorINS6_10device_ptrIjEEEESG_SG_SG_PmS8_NS6_8equal_toIjEEEE10hipError_tPvRmT2_T3_mT4_T5_T6_T7_T8_P12ihipStream_tbENKUlT_T0_E_clISt17integral_constantIbLb0EES10_IbLb1EEEEDaSW_SX_EUlSW_E_NS1_11comp_targetILNS1_3genE9ELNS1_11target_archE1100ELNS1_3gpuE3ELNS1_3repE0EEENS1_30default_config_static_selectorELNS0_4arch9wavefront6targetE0EEEvT1_ ; -- Begin function _ZN7rocprim17ROCPRIM_400000_NS6detail17trampoline_kernelINS0_14default_configENS1_29reduce_by_key_config_selectorIjjN6thrust23THRUST_200600_302600_NS4plusIjEEEEZZNS1_33reduce_by_key_impl_wrapped_configILNS1_25lookback_scan_determinismE0ES3_S9_NS6_6detail15normal_iteratorINS6_10device_ptrIjEEEESG_SG_SG_PmS8_NS6_8equal_toIjEEEE10hipError_tPvRmT2_T3_mT4_T5_T6_T7_T8_P12ihipStream_tbENKUlT_T0_E_clISt17integral_constantIbLb0EES10_IbLb1EEEEDaSW_SX_EUlSW_E_NS1_11comp_targetILNS1_3genE9ELNS1_11target_archE1100ELNS1_3gpuE3ELNS1_3repE0EEENS1_30default_config_static_selectorELNS0_4arch9wavefront6targetE0EEEvT1_
	.globl	_ZN7rocprim17ROCPRIM_400000_NS6detail17trampoline_kernelINS0_14default_configENS1_29reduce_by_key_config_selectorIjjN6thrust23THRUST_200600_302600_NS4plusIjEEEEZZNS1_33reduce_by_key_impl_wrapped_configILNS1_25lookback_scan_determinismE0ES3_S9_NS6_6detail15normal_iteratorINS6_10device_ptrIjEEEESG_SG_SG_PmS8_NS6_8equal_toIjEEEE10hipError_tPvRmT2_T3_mT4_T5_T6_T7_T8_P12ihipStream_tbENKUlT_T0_E_clISt17integral_constantIbLb0EES10_IbLb1EEEEDaSW_SX_EUlSW_E_NS1_11comp_targetILNS1_3genE9ELNS1_11target_archE1100ELNS1_3gpuE3ELNS1_3repE0EEENS1_30default_config_static_selectorELNS0_4arch9wavefront6targetE0EEEvT1_
	.p2align	8
	.type	_ZN7rocprim17ROCPRIM_400000_NS6detail17trampoline_kernelINS0_14default_configENS1_29reduce_by_key_config_selectorIjjN6thrust23THRUST_200600_302600_NS4plusIjEEEEZZNS1_33reduce_by_key_impl_wrapped_configILNS1_25lookback_scan_determinismE0ES3_S9_NS6_6detail15normal_iteratorINS6_10device_ptrIjEEEESG_SG_SG_PmS8_NS6_8equal_toIjEEEE10hipError_tPvRmT2_T3_mT4_T5_T6_T7_T8_P12ihipStream_tbENKUlT_T0_E_clISt17integral_constantIbLb0EES10_IbLb1EEEEDaSW_SX_EUlSW_E_NS1_11comp_targetILNS1_3genE9ELNS1_11target_archE1100ELNS1_3gpuE3ELNS1_3repE0EEENS1_30default_config_static_selectorELNS0_4arch9wavefront6targetE0EEEvT1_,@function
_ZN7rocprim17ROCPRIM_400000_NS6detail17trampoline_kernelINS0_14default_configENS1_29reduce_by_key_config_selectorIjjN6thrust23THRUST_200600_302600_NS4plusIjEEEEZZNS1_33reduce_by_key_impl_wrapped_configILNS1_25lookback_scan_determinismE0ES3_S9_NS6_6detail15normal_iteratorINS6_10device_ptrIjEEEESG_SG_SG_PmS8_NS6_8equal_toIjEEEE10hipError_tPvRmT2_T3_mT4_T5_T6_T7_T8_P12ihipStream_tbENKUlT_T0_E_clISt17integral_constantIbLb0EES10_IbLb1EEEEDaSW_SX_EUlSW_E_NS1_11comp_targetILNS1_3genE9ELNS1_11target_archE1100ELNS1_3gpuE3ELNS1_3repE0EEENS1_30default_config_static_selectorELNS0_4arch9wavefront6targetE0EEEvT1_: ; @_ZN7rocprim17ROCPRIM_400000_NS6detail17trampoline_kernelINS0_14default_configENS1_29reduce_by_key_config_selectorIjjN6thrust23THRUST_200600_302600_NS4plusIjEEEEZZNS1_33reduce_by_key_impl_wrapped_configILNS1_25lookback_scan_determinismE0ES3_S9_NS6_6detail15normal_iteratorINS6_10device_ptrIjEEEESG_SG_SG_PmS8_NS6_8equal_toIjEEEE10hipError_tPvRmT2_T3_mT4_T5_T6_T7_T8_P12ihipStream_tbENKUlT_T0_E_clISt17integral_constantIbLb0EES10_IbLb1EEEEDaSW_SX_EUlSW_E_NS1_11comp_targetILNS1_3genE9ELNS1_11target_archE1100ELNS1_3gpuE3ELNS1_3repE0EEENS1_30default_config_static_selectorELNS0_4arch9wavefront6targetE0EEEvT1_
; %bb.0:
	s_clause 0x4
	s_load_b256 s[12:19], s[0:1], 0x0
	s_load_b128 s[28:31], s[0:1], 0x20
	s_load_b256 s[20:27], s[0:1], 0x38
	s_load_b64 s[34:35], s[0:1], 0x68
	s_load_b128 s[36:39], s[0:1], 0x58
	v_cmp_ne_u32_e64 s3, 0, v0
	v_cmp_eq_u32_e64 s2, 0, v0
	s_delay_alu instid0(VALU_DEP_1)
	s_and_saveexec_b32 s4, s2
	s_cbranch_execz .LBB352_4
; %bb.1:
	s_mov_b32 s6, exec_lo
	s_mov_b32 s5, exec_lo
	v_mbcnt_lo_u32_b32 v1, s6, 0
                                        ; implicit-def: $vgpr2
	s_delay_alu instid0(VALU_DEP_1)
	v_cmpx_eq_u32_e32 0, v1
	s_cbranch_execz .LBB352_3
; %bb.2:
	s_load_b64 s[0:1], s[0:1], 0x70
	s_bcnt1_i32_b32 s6, s6
	s_delay_alu instid0(SALU_CYCLE_1)
	v_dual_mov_b32 v2, 0 :: v_dual_mov_b32 v3, s6
	s_waitcnt lgkmcnt(0)
	global_atomic_add_u32 v2, v2, v3, s[0:1] glc
.LBB352_3:
	s_or_b32 exec_lo, exec_lo, s5
	s_waitcnt vmcnt(0)
	v_readfirstlane_b32 s0, v2
	s_delay_alu instid0(VALU_DEP_1)
	v_dual_mov_b32 v2, 0 :: v_dual_add_nc_u32 v1, s0, v1
	ds_store_b32 v2, v1
.LBB352_4:
	s_or_b32 exec_lo, exec_lo, s4
	v_mov_b32_e32 v2, 0
	s_waitcnt lgkmcnt(0)
	s_barrier
	buffer_gl0_inv
	s_lshl_b64 s[4:5], s[14:15], 2
	ds_load_b32 v1, v2
	s_add_u32 s9, s12, s4
	s_mul_i32 s1, s24, s23
	s_mul_hi_u32 s6, s24, s22
	s_addc_u32 s10, s13, s5
	s_add_u32 s11, s16, s4
	s_mul_i32 s7, s25, s22
	s_addc_u32 s12, s17, s5
	s_add_i32 s1, s6, s1
	s_mul_i32 s8, s24, s22
	s_add_i32 s1, s1, s7
	s_mov_b32 s0, 0
	s_waitcnt lgkmcnt(0)
	s_barrier
	buffer_gl0_inv
	v_readfirstlane_b32 s33, v1
	v_mul_lo_u32 v1, 0xf00, v1
	s_delay_alu instid0(VALU_DEP_2) | instskip(SKIP_3) | instid1(VALU_DEP_1)
	s_add_u32 s24, s8, s33
	s_addc_u32 s25, s1, 0
	s_add_u32 s4, s26, -1
	s_addc_u32 s5, s27, -1
	v_lshlrev_b64 v[5:6], 2, v[1:2]
	s_cmp_eq_u64 s[24:25], s[4:5]
	s_mul_i32 s26, s4, 0xfffff100
	s_cselect_b32 s17, -1, 0
	s_cmp_lg_u64 s[24:25], s[4:5]
	s_delay_alu instid0(VALU_DEP_1)
	v_add_co_u32 v4, vcc_lo, s9, v5
	v_add_co_ci_u32_e32 v2, vcc_lo, s10, v6, vcc_lo
	v_add_co_u32 v1, vcc_lo, s11, v5
	v_add_co_ci_u32_e32 v3, vcc_lo, s12, v6, vcc_lo
	s_cselect_b32 s40, -1, 0
	s_and_b32 vcc_lo, exec_lo, s17
	s_cbranch_vccnz .LBB352_6
; %bb.5:
	v_lshlrev_b32_e32 v29, 2, v0
	s_delay_alu instid0(VALU_DEP_1) | instskip(SKIP_1) | instid1(VALU_DEP_2)
	v_add_co_u32 v5, vcc_lo, v4, v29
	v_add_co_ci_u32_e32 v6, vcc_lo, 0, v2, vcc_lo
	v_add_co_u32 v7, vcc_lo, 0x1000, v5
	s_delay_alu instid0(VALU_DEP_2)
	v_add_co_ci_u32_e32 v8, vcc_lo, 0, v6, vcc_lo
	s_clause 0x7
	flat_load_b32 v9, v[5:6]
	flat_load_b32 v10, v[5:6] offset:1024
	flat_load_b32 v11, v[5:6] offset:2048
	;; [unrolled: 1-line block ×3, first 2 shown]
	flat_load_b32 v13, v[7:8]
	flat_load_b32 v14, v[7:8] offset:1024
	flat_load_b32 v15, v[7:8] offset:2048
	;; [unrolled: 1-line block ×3, first 2 shown]
	v_add_co_u32 v7, vcc_lo, 0x2000, v5
	v_add_co_ci_u32_e32 v8, vcc_lo, 0, v6, vcc_lo
	v_add_co_u32 v5, vcc_lo, 0x3000, v5
	v_add_co_ci_u32_e32 v6, vcc_lo, 0, v6, vcc_lo
	s_clause 0x6
	flat_load_b32 v17, v[7:8]
	flat_load_b32 v18, v[7:8] offset:1024
	flat_load_b32 v19, v[7:8] offset:2048
	;; [unrolled: 1-line block ×3, first 2 shown]
	flat_load_b32 v20, v[5:6]
	flat_load_b32 v21, v[5:6] offset:1024
	flat_load_b32 v22, v[5:6] offset:2048
	v_add_co_u32 v6, vcc_lo, v1, v29
	v_add_co_ci_u32_e32 v7, vcc_lo, 0, v3, vcc_lo
	v_mad_u32_u24 v5, v0, 56, v29
	s_delay_alu instid0(VALU_DEP_3) | instskip(NEXT) | instid1(VALU_DEP_3)
	v_add_co_u32 v23, vcc_lo, 0x1000, v6
	v_add_co_ci_u32_e32 v24, vcc_lo, 0, v7, vcc_lo
	v_add_co_u32 v25, vcc_lo, 0x2000, v6
	v_add_co_ci_u32_e32 v26, vcc_lo, 0, v7, vcc_lo
	;; [unrolled: 2-line block ×3, first 2 shown]
	s_waitcnt vmcnt(13) lgkmcnt(13)
	ds_store_2addr_stride64_b32 v29, v9, v10 offset1:4
	s_waitcnt vmcnt(11) lgkmcnt(12)
	ds_store_2addr_stride64_b32 v29, v11, v12 offset0:8 offset1:12
	s_waitcnt vmcnt(9) lgkmcnt(11)
	ds_store_2addr_stride64_b32 v29, v13, v14 offset0:16 offset1:20
	s_waitcnt vmcnt(7) lgkmcnt(10)
	ds_store_2addr_stride64_b32 v29, v15, v16 offset0:24 offset1:28
	s_waitcnt vmcnt(5) lgkmcnt(9)
	ds_store_2addr_stride64_b32 v29, v17, v18 offset0:32 offset1:36
	s_waitcnt vmcnt(3) lgkmcnt(8)
	ds_store_2addr_stride64_b32 v29, v19, v8 offset0:40 offset1:44
	s_waitcnt vmcnt(1) lgkmcnt(7)
	ds_store_2addr_stride64_b32 v29, v20, v21 offset0:48 offset1:52
	s_waitcnt vmcnt(0) lgkmcnt(7)
	ds_store_b32 v29, v22 offset:14336
	s_waitcnt lgkmcnt(0)
	s_barrier
	buffer_gl0_inv
	ds_load_2addr_b32 v[21:22], v5 offset1:1
	ds_load_2addr_b32 v[19:20], v5 offset0:2 offset1:3
	ds_load_2addr_b32 v[17:18], v5 offset0:4 offset1:5
	;; [unrolled: 1-line block ×6, first 2 shown]
	ds_load_b32 v63, v5 offset:56
	s_waitcnt lgkmcnt(0)
	s_barrier
	buffer_gl0_inv
	s_clause 0xe
	flat_load_b32 v8, v[6:7]
	flat_load_b32 v30, v[6:7] offset:1024
	flat_load_b32 v31, v[6:7] offset:2048
	flat_load_b32 v6, v[6:7] offset:3072
	flat_load_b32 v7, v[23:24]
	flat_load_b32 v32, v[23:24] offset:1024
	flat_load_b32 v33, v[23:24] offset:2048
	flat_load_b32 v23, v[23:24] offset:3072
	;; [unrolled: 4-line block ×3, first 2 shown]
	flat_load_b32 v26, v[27:28]
	flat_load_b32 v36, v[27:28] offset:1024
	flat_load_b32 v27, v[27:28] offset:2048
	s_waitcnt vmcnt(13) lgkmcnt(13)
	ds_store_2addr_stride64_b32 v29, v8, v30 offset1:4
	s_waitcnt vmcnt(11) lgkmcnt(12)
	ds_store_2addr_stride64_b32 v29, v31, v6 offset0:8 offset1:12
	s_waitcnt vmcnt(9) lgkmcnt(11)
	ds_store_2addr_stride64_b32 v29, v7, v32 offset0:16 offset1:20
	;; [unrolled: 2-line block ×6, first 2 shown]
	s_waitcnt vmcnt(0) lgkmcnt(7)
	ds_store_b32 v29, v27 offset:14336
	s_waitcnt lgkmcnt(0)
	s_barrier
	s_and_not1_b32 vcc_lo, exec_lo, s0
	s_add_i32 s26, s26, s36
	s_cbranch_vccz .LBB352_7
	s_branch .LBB352_54
.LBB352_6:
                                        ; implicit-def: $vgpr5
                                        ; implicit-def: $vgpr21
                                        ; implicit-def: $vgpr19
                                        ; implicit-def: $vgpr17
                                        ; implicit-def: $vgpr15
                                        ; implicit-def: $vgpr13
                                        ; implicit-def: $vgpr11
                                        ; implicit-def: $vgpr9
                                        ; implicit-def: $vgpr63
	s_add_i32 s26, s26, s36
.LBB352_7:
	s_delay_alu instid0(SALU_CYCLE_1)
	v_cmp_gt_u32_e32 vcc_lo, s26, v0
                                        ; implicit-def: $vgpr5
	s_and_saveexec_b32 s1, vcc_lo
	s_cbranch_execz .LBB352_9
; %bb.8:
	v_lshlrev_b32_e32 v5, 2, v0
	s_delay_alu instid0(VALU_DEP_1) | instskip(NEXT) | instid1(VALU_DEP_1)
	v_add_co_u32 v5, s0, v4, v5
	v_add_co_ci_u32_e64 v6, s0, 0, v2, s0
	flat_load_b32 v5, v[5:6]
.LBB352_9:
	s_or_b32 exec_lo, exec_lo, s1
	v_or_b32_e32 v6, 0x100, v0
                                        ; implicit-def: $vgpr9
	s_delay_alu instid0(VALU_DEP_1) | instskip(NEXT) | instid1(VALU_DEP_1)
	v_cmp_gt_u32_e64 s0, s26, v6
	s_and_saveexec_b32 s4, s0
	s_cbranch_execz .LBB352_11
; %bb.10:
	v_lshlrev_b32_e32 v6, 2, v0
	s_delay_alu instid0(VALU_DEP_1) | instskip(NEXT) | instid1(VALU_DEP_1)
	v_add_co_u32 v6, s1, v4, v6
	v_add_co_ci_u32_e64 v7, s1, 0, v2, s1
	flat_load_b32 v9, v[6:7] offset:1024
.LBB352_11:
	s_or_b32 exec_lo, exec_lo, s4
	v_or_b32_e32 v6, 0x200, v0
                                        ; implicit-def: $vgpr10
	s_delay_alu instid0(VALU_DEP_1) | instskip(NEXT) | instid1(VALU_DEP_1)
	v_cmp_gt_u32_e64 s1, s26, v6
	s_and_saveexec_b32 s5, s1
	s_cbranch_execz .LBB352_13
; %bb.12:
	v_lshlrev_b32_e32 v6, 2, v0
	s_delay_alu instid0(VALU_DEP_1) | instskip(NEXT) | instid1(VALU_DEP_1)
	v_add_co_u32 v6, s4, v4, v6
	v_add_co_ci_u32_e64 v7, s4, 0, v2, s4
	flat_load_b32 v10, v[6:7] offset:2048
.LBB352_13:
	s_or_b32 exec_lo, exec_lo, s5
	v_or_b32_e32 v6, 0x300, v0
                                        ; implicit-def: $vgpr11
	s_delay_alu instid0(VALU_DEP_1) | instskip(NEXT) | instid1(VALU_DEP_1)
	v_cmp_gt_u32_e64 s4, s26, v6
	s_and_saveexec_b32 s6, s4
	s_cbranch_execz .LBB352_15
; %bb.14:
	v_lshlrev_b32_e32 v6, 2, v0
	s_delay_alu instid0(VALU_DEP_1) | instskip(NEXT) | instid1(VALU_DEP_1)
	v_add_co_u32 v6, s5, v4, v6
	v_add_co_ci_u32_e64 v7, s5, 0, v2, s5
	flat_load_b32 v11, v[6:7] offset:3072
.LBB352_15:
	s_or_b32 exec_lo, exec_lo, s6
	v_or_b32_e32 v6, 0x400, v0
                                        ; implicit-def: $vgpr12
	s_delay_alu instid0(VALU_DEP_1) | instskip(SKIP_1) | instid1(VALU_DEP_2)
	v_cmp_gt_u32_e64 s5, s26, v6
	v_lshlrev_b32_e32 v6, 2, v6
	s_and_saveexec_b32 s7, s5
	s_cbranch_execz .LBB352_17
; %bb.16:
	s_delay_alu instid0(VALU_DEP_1) | instskip(NEXT) | instid1(VALU_DEP_1)
	v_add_co_u32 v7, s6, v4, v6
	v_add_co_ci_u32_e64 v8, s6, 0, v2, s6
	flat_load_b32 v12, v[7:8]
.LBB352_17:
	s_or_b32 exec_lo, exec_lo, s7
	v_or_b32_e32 v7, 0x500, v0
                                        ; implicit-def: $vgpr13
	s_delay_alu instid0(VALU_DEP_1) | instskip(SKIP_1) | instid1(VALU_DEP_2)
	v_cmp_gt_u32_e64 s6, s26, v7
	v_lshlrev_b32_e32 v7, 2, v7
	s_and_saveexec_b32 s8, s6
	s_cbranch_execz .LBB352_19
; %bb.18:
	s_delay_alu instid0(VALU_DEP_1) | instskip(NEXT) | instid1(VALU_DEP_1)
	v_add_co_u32 v13, s7, v4, v7
	v_add_co_ci_u32_e64 v14, s7, 0, v2, s7
	flat_load_b32 v13, v[13:14]
.LBB352_19:
	s_or_b32 exec_lo, exec_lo, s8
	v_or_b32_e32 v8, 0x600, v0
                                        ; implicit-def: $vgpr14
	s_delay_alu instid0(VALU_DEP_1) | instskip(SKIP_1) | instid1(VALU_DEP_2)
	v_cmp_gt_u32_e64 s7, s26, v8
	v_lshlrev_b32_e32 v8, 2, v8
	s_and_saveexec_b32 s9, s7
	s_cbranch_execz .LBB352_21
; %bb.20:
	s_delay_alu instid0(VALU_DEP_1) | instskip(NEXT) | instid1(VALU_DEP_1)
	v_add_co_u32 v14, s8, v4, v8
	v_add_co_ci_u32_e64 v15, s8, 0, v2, s8
	flat_load_b32 v14, v[14:15]
.LBB352_21:
	s_or_b32 exec_lo, exec_lo, s9
	v_or_b32_e32 v15, 0x700, v0
	s_delay_alu instid0(VALU_DEP_1) | instskip(SKIP_1) | instid1(VALU_DEP_2)
	v_cmp_gt_u32_e64 s8, s26, v15
	v_lshlrev_b32_e32 v23, 2, v15
                                        ; implicit-def: $vgpr15
	s_and_saveexec_b32 s10, s8
	s_cbranch_execz .LBB352_23
; %bb.22:
	s_delay_alu instid0(VALU_DEP_1) | instskip(NEXT) | instid1(VALU_DEP_1)
	v_add_co_u32 v15, s9, v4, v23
	v_add_co_ci_u32_e64 v16, s9, 0, v2, s9
	flat_load_b32 v15, v[15:16]
.LBB352_23:
	s_or_b32 exec_lo, exec_lo, s10
	v_or_b32_e32 v16, 0x800, v0
	s_delay_alu instid0(VALU_DEP_1) | instskip(SKIP_1) | instid1(VALU_DEP_2)
	v_cmp_gt_u32_e64 s9, s26, v16
	v_lshlrev_b32_e32 v24, 2, v16
                                        ; implicit-def: $vgpr16
	s_and_saveexec_b32 s11, s9
	s_cbranch_execz .LBB352_25
; %bb.24:
	s_delay_alu instid0(VALU_DEP_1) | instskip(NEXT) | instid1(VALU_DEP_1)
	v_add_co_u32 v16, s10, v4, v24
	v_add_co_ci_u32_e64 v17, s10, 0, v2, s10
	flat_load_b32 v16, v[16:17]
.LBB352_25:
	s_or_b32 exec_lo, exec_lo, s11
	v_or_b32_e32 v17, 0x900, v0
	s_delay_alu instid0(VALU_DEP_1) | instskip(SKIP_1) | instid1(VALU_DEP_2)
	v_cmp_gt_u32_e64 s10, s26, v17
	v_lshlrev_b32_e32 v25, 2, v17
                                        ; implicit-def: $vgpr17
	s_and_saveexec_b32 s12, s10
	s_cbranch_execz .LBB352_27
; %bb.26:
	s_delay_alu instid0(VALU_DEP_1) | instskip(NEXT) | instid1(VALU_DEP_1)
	v_add_co_u32 v17, s11, v4, v25
	v_add_co_ci_u32_e64 v18, s11, 0, v2, s11
	flat_load_b32 v17, v[17:18]
.LBB352_27:
	s_or_b32 exec_lo, exec_lo, s12
	v_or_b32_e32 v18, 0xa00, v0
	s_delay_alu instid0(VALU_DEP_1) | instskip(SKIP_1) | instid1(VALU_DEP_2)
	v_cmp_gt_u32_e64 s11, s26, v18
	v_lshlrev_b32_e32 v27, 2, v18
                                        ; implicit-def: $vgpr18
	s_and_saveexec_b32 s13, s11
	s_cbranch_execz .LBB352_29
; %bb.28:
	s_delay_alu instid0(VALU_DEP_1) | instskip(NEXT) | instid1(VALU_DEP_1)
	v_add_co_u32 v18, s12, v4, v27
	v_add_co_ci_u32_e64 v19, s12, 0, v2, s12
	flat_load_b32 v18, v[18:19]
.LBB352_29:
	s_or_b32 exec_lo, exec_lo, s13
	v_or_b32_e32 v19, 0xb00, v0
	s_delay_alu instid0(VALU_DEP_1) | instskip(SKIP_1) | instid1(VALU_DEP_2)
	v_cmp_gt_u32_e64 s12, s26, v19
	v_lshlrev_b32_e32 v28, 2, v19
                                        ; implicit-def: $vgpr19
	s_and_saveexec_b32 s14, s12
	s_cbranch_execz .LBB352_31
; %bb.30:
	s_delay_alu instid0(VALU_DEP_1) | instskip(NEXT) | instid1(VALU_DEP_1)
	v_add_co_u32 v19, s13, v4, v28
	v_add_co_ci_u32_e64 v20, s13, 0, v2, s13
	flat_load_b32 v19, v[19:20]
.LBB352_31:
	s_or_b32 exec_lo, exec_lo, s14
	v_or_b32_e32 v20, 0xc00, v0
	s_delay_alu instid0(VALU_DEP_1) | instskip(SKIP_1) | instid1(VALU_DEP_2)
	v_cmp_gt_u32_e64 s13, s26, v20
	v_lshlrev_b32_e32 v29, 2, v20
                                        ; implicit-def: $vgpr20
	s_and_saveexec_b32 s15, s13
	s_cbranch_execz .LBB352_33
; %bb.32:
	s_delay_alu instid0(VALU_DEP_1) | instskip(NEXT) | instid1(VALU_DEP_1)
	v_add_co_u32 v20, s14, v4, v29
	v_add_co_ci_u32_e64 v21, s14, 0, v2, s14
	flat_load_b32 v20, v[20:21]
.LBB352_33:
	s_or_b32 exec_lo, exec_lo, s15
	v_or_b32_e32 v21, 0xd00, v0
	s_delay_alu instid0(VALU_DEP_1) | instskip(SKIP_1) | instid1(VALU_DEP_2)
	v_cmp_gt_u32_e64 s14, s26, v21
	v_lshlrev_b32_e32 v30, 2, v21
                                        ; implicit-def: $vgpr21
	s_and_saveexec_b32 s16, s14
	s_cbranch_execz .LBB352_35
; %bb.34:
	s_delay_alu instid0(VALU_DEP_1) | instskip(NEXT) | instid1(VALU_DEP_1)
	v_add_co_u32 v21, s15, v4, v30
	v_add_co_ci_u32_e64 v22, s15, 0, v2, s15
	flat_load_b32 v21, v[21:22]
.LBB352_35:
	s_or_b32 exec_lo, exec_lo, s16
	v_or_b32_e32 v22, 0xe00, v0
	s_delay_alu instid0(VALU_DEP_1) | instskip(SKIP_1) | instid1(VALU_DEP_2)
	v_cmp_gt_u32_e64 s15, s26, v22
	v_lshlrev_b32_e32 v31, 2, v22
                                        ; implicit-def: $vgpr22
	s_and_saveexec_b32 s27, s15
	s_cbranch_execz .LBB352_37
; %bb.36:
	s_delay_alu instid0(VALU_DEP_1) | instskip(NEXT) | instid1(VALU_DEP_1)
	v_add_co_u32 v32, s16, v4, v31
	v_add_co_ci_u32_e64 v33, s16, 0, v2, s16
	flat_load_b32 v22, v[32:33]
.LBB352_37:
	s_or_b32 exec_lo, exec_lo, s27
	v_lshlrev_b32_e32 v26, 2, v0
                                        ; implicit-def: $vgpr32
	s_waitcnt vmcnt(0) lgkmcnt(0)
	ds_store_2addr_stride64_b32 v26, v5, v9 offset1:4
	ds_store_2addr_stride64_b32 v26, v10, v11 offset0:8 offset1:12
	ds_store_2addr_stride64_b32 v26, v12, v13 offset0:16 offset1:20
	;; [unrolled: 1-line block ×6, first 2 shown]
	v_mad_u32_u24 v5, v0, 56, v26
	ds_store_b32 v26, v22 offset:14336
	s_waitcnt lgkmcnt(0)
	s_barrier
	buffer_gl0_inv
	ds_load_2addr_b32 v[21:22], v5 offset1:1
	ds_load_2addr_b32 v[19:20], v5 offset0:2 offset1:3
	ds_load_2addr_b32 v[17:18], v5 offset0:4 offset1:5
	;; [unrolled: 1-line block ×6, first 2 shown]
	ds_load_b32 v63, v5 offset:56
	s_waitcnt lgkmcnt(0)
	s_barrier
	buffer_gl0_inv
	s_and_saveexec_b32 s16, vcc_lo
	s_cbranch_execnz .LBB352_61
; %bb.38:
	s_or_b32 exec_lo, exec_lo, s16
                                        ; implicit-def: $vgpr33
	s_and_saveexec_b32 s16, s0
	s_cbranch_execnz .LBB352_62
.LBB352_39:
	s_or_b32 exec_lo, exec_lo, s16
                                        ; implicit-def: $vgpr34
	s_and_saveexec_b32 s0, s1
	s_cbranch_execnz .LBB352_63
.LBB352_40:
	s_or_b32 exec_lo, exec_lo, s0
                                        ; implicit-def: $vgpr35
	s_and_saveexec_b32 s0, s4
	s_cbranch_execnz .LBB352_64
.LBB352_41:
	s_or_b32 exec_lo, exec_lo, s0
                                        ; implicit-def: $vgpr36
	s_and_saveexec_b32 s0, s5
	s_cbranch_execnz .LBB352_65
.LBB352_42:
	s_or_b32 exec_lo, exec_lo, s0
                                        ; implicit-def: $vgpr6
	s_and_saveexec_b32 s0, s6
	s_cbranch_execnz .LBB352_66
.LBB352_43:
	s_or_b32 exec_lo, exec_lo, s0
                                        ; implicit-def: $vgpr7
	s_and_saveexec_b32 s0, s7
	s_cbranch_execnz .LBB352_67
.LBB352_44:
	s_or_b32 exec_lo, exec_lo, s0
                                        ; implicit-def: $vgpr8
	s_and_saveexec_b32 s0, s8
	s_cbranch_execnz .LBB352_68
.LBB352_45:
	s_or_b32 exec_lo, exec_lo, s0
                                        ; implicit-def: $vgpr23
	s_and_saveexec_b32 s0, s9
	s_cbranch_execnz .LBB352_69
.LBB352_46:
	s_or_b32 exec_lo, exec_lo, s0
                                        ; implicit-def: $vgpr24
	s_and_saveexec_b32 s0, s10
	s_cbranch_execnz .LBB352_70
.LBB352_47:
	s_or_b32 exec_lo, exec_lo, s0
                                        ; implicit-def: $vgpr25
	s_and_saveexec_b32 s0, s11
	s_cbranch_execnz .LBB352_71
.LBB352_48:
	s_or_b32 exec_lo, exec_lo, s0
                                        ; implicit-def: $vgpr27
	s_and_saveexec_b32 s0, s12
	s_cbranch_execnz .LBB352_72
.LBB352_49:
	s_or_b32 exec_lo, exec_lo, s0
                                        ; implicit-def: $vgpr28
	s_and_saveexec_b32 s0, s13
	s_cbranch_execnz .LBB352_73
.LBB352_50:
	s_or_b32 exec_lo, exec_lo, s0
                                        ; implicit-def: $vgpr29
	s_and_saveexec_b32 s0, s14
	s_cbranch_execnz .LBB352_74
.LBB352_51:
	s_or_b32 exec_lo, exec_lo, s0
                                        ; implicit-def: $vgpr30
	s_and_saveexec_b32 s0, s15
	s_cbranch_execz .LBB352_53
.LBB352_52:
	v_add_co_u32 v30, vcc_lo, v1, v31
	v_add_co_ci_u32_e32 v31, vcc_lo, 0, v3, vcc_lo
	flat_load_b32 v30, v[30:31]
.LBB352_53:
	s_or_b32 exec_lo, exec_lo, s0
	s_waitcnt vmcnt(0) lgkmcnt(0)
	ds_store_2addr_stride64_b32 v26, v32, v33 offset1:4
	ds_store_2addr_stride64_b32 v26, v34, v35 offset0:8 offset1:12
	ds_store_2addr_stride64_b32 v26, v36, v6 offset0:16 offset1:20
	ds_store_2addr_stride64_b32 v26, v7, v8 offset0:24 offset1:28
	ds_store_2addr_stride64_b32 v26, v23, v24 offset0:32 offset1:36
	ds_store_2addr_stride64_b32 v26, v25, v27 offset0:40 offset1:44
	ds_store_2addr_stride64_b32 v26, v28, v29 offset0:48 offset1:52
	ds_store_b32 v26, v30 offset:14336
	s_waitcnt lgkmcnt(0)
	s_barrier
.LBB352_54:
	buffer_gl0_inv
	ds_load_2addr_b32 v[35:36], v5 offset1:1
	ds_load_2addr_b32 v[33:34], v5 offset0:2 offset1:3
	ds_load_2addr_b32 v[31:32], v5 offset0:4 offset1:5
	;; [unrolled: 1-line block ×6, first 2 shown]
	ds_load_b32 v80, v5 offset:56
	s_cmp_eq_u64 s[24:25], 0
	s_waitcnt lgkmcnt(0)
	s_cselect_b32 s27, -1, 0
	s_cmp_lg_u64 s[24:25], 0
	s_barrier
	s_cselect_b32 s15, -1, 0
	s_and_b32 vcc_lo, exec_lo, s40
	buffer_gl0_inv
	s_cbranch_vccz .LBB352_60
; %bb.55:
	s_and_b32 vcc_lo, exec_lo, s15
	s_cbranch_vccz .LBB352_75
; %bb.56:
	v_add_co_u32 v5, vcc_lo, -4, v4
	v_add_co_ci_u32_e32 v6, vcc_lo, -1, v2, vcc_lo
	v_lshlrev_b32_e32 v3, 2, v0
	v_cmp_ne_u32_e32 vcc_lo, v10, v63
	v_cmp_ne_u32_e64 s0, v9, v10
	flat_load_b32 v1, v[5:6]
	v_cmp_ne_u32_e64 s1, v12, v9
	v_cmp_ne_u32_e64 s4, v11, v12
	;; [unrolled: 1-line block ×12, first 2 shown]
	s_mov_b32 s40, -1
	ds_store_b32 v3, v63
	s_waitcnt vmcnt(0) lgkmcnt(0)
	s_barrier
	buffer_gl0_inv
	s_and_saveexec_b32 s16, s3
	s_cbranch_execz .LBB352_58
; %bb.57:
	v_add_nc_u32_e32 v1, -4, v3
	ds_load_b32 v1, v1
.LBB352_58:
	s_or_b32 exec_lo, exec_lo, s16
	v_cndmask_b32_e64 v69, 0, 1, vcc_lo
	v_cndmask_b32_e64 v64, 0, 1, s0
	v_cndmask_b32_e64 v65, 0, 1, s1
	v_cndmask_b32_e64 v66, 0, 1, s4
	v_cndmask_b32_e64 v67, 0, 1, s5
	v_cndmask_b32_e64 v68, 0, 1, s6
	v_cndmask_b32_e64 v70, 0, 1, s7
	v_cndmask_b32_e64 v71, 0, 1, s8
	v_cndmask_b32_e64 v72, 0, 1, s9
	v_cndmask_b32_e64 v73, 0, 1, s10
	v_cndmask_b32_e64 v74, 0, 1, s11
	v_cndmask_b32_e64 v75, 0, 1, s12
	v_cndmask_b32_e64 v76, 0, 1, s13
	v_cndmask_b32_e64 v77, 0, 1, s14
	s_waitcnt lgkmcnt(0)
	v_cmp_ne_u32_e64 s0, v1, v21
.LBB352_59:
                                        ; implicit-def: $sgpr1
	s_branch .LBB352_87
.LBB352_60:
	s_mov_b32 s40, 0
                                        ; implicit-def: $sgpr0
                                        ; implicit-def: $vgpr69
                                        ; implicit-def: $vgpr64
                                        ; implicit-def: $vgpr65
                                        ; implicit-def: $vgpr66
                                        ; implicit-def: $vgpr67
                                        ; implicit-def: $vgpr68
                                        ; implicit-def: $vgpr70
                                        ; implicit-def: $vgpr71
                                        ; implicit-def: $vgpr72
                                        ; implicit-def: $vgpr73
                                        ; implicit-def: $vgpr74
                                        ; implicit-def: $vgpr75
                                        ; implicit-def: $vgpr76
                                        ; implicit-def: $vgpr77
                                        ; implicit-def: $sgpr1
	s_cbranch_execnz .LBB352_79
	s_branch .LBB352_87
.LBB352_61:
	v_add_co_u32 v32, vcc_lo, v1, v26
	v_add_co_ci_u32_e32 v33, vcc_lo, 0, v3, vcc_lo
	flat_load_b32 v32, v[32:33]
	s_or_b32 exec_lo, exec_lo, s16
                                        ; implicit-def: $vgpr33
	s_and_saveexec_b32 s16, s0
	s_cbranch_execz .LBB352_39
.LBB352_62:
	v_add_co_u32 v33, vcc_lo, v1, v26
	v_add_co_ci_u32_e32 v34, vcc_lo, 0, v3, vcc_lo
	flat_load_b32 v33, v[33:34] offset:1024
	s_or_b32 exec_lo, exec_lo, s16
                                        ; implicit-def: $vgpr34
	s_and_saveexec_b32 s0, s1
	s_cbranch_execz .LBB352_40
.LBB352_63:
	v_add_co_u32 v34, vcc_lo, v1, v26
	v_add_co_ci_u32_e32 v35, vcc_lo, 0, v3, vcc_lo
	flat_load_b32 v34, v[34:35] offset:2048
	s_or_b32 exec_lo, exec_lo, s0
                                        ; implicit-def: $vgpr35
	s_and_saveexec_b32 s0, s4
	s_cbranch_execz .LBB352_41
.LBB352_64:
	v_add_co_u32 v35, vcc_lo, v1, v26
	v_add_co_ci_u32_e32 v36, vcc_lo, 0, v3, vcc_lo
	flat_load_b32 v35, v[35:36] offset:3072
	s_or_b32 exec_lo, exec_lo, s0
                                        ; implicit-def: $vgpr36
	s_and_saveexec_b32 s0, s5
	s_cbranch_execz .LBB352_42
.LBB352_65:
	v_add_co_u32 v36, vcc_lo, v1, v6
	v_add_co_ci_u32_e32 v37, vcc_lo, 0, v3, vcc_lo
	flat_load_b32 v36, v[36:37]
	s_or_b32 exec_lo, exec_lo, s0
                                        ; implicit-def: $vgpr6
	s_and_saveexec_b32 s0, s6
	s_cbranch_execz .LBB352_43
.LBB352_66:
	v_add_co_u32 v6, vcc_lo, v1, v7
	v_add_co_ci_u32_e32 v7, vcc_lo, 0, v3, vcc_lo
	flat_load_b32 v6, v[6:7]
	s_or_b32 exec_lo, exec_lo, s0
                                        ; implicit-def: $vgpr7
	s_and_saveexec_b32 s0, s7
	s_cbranch_execz .LBB352_44
.LBB352_67:
	v_add_co_u32 v7, vcc_lo, v1, v8
	v_add_co_ci_u32_e32 v8, vcc_lo, 0, v3, vcc_lo
	flat_load_b32 v7, v[7:8]
	s_or_b32 exec_lo, exec_lo, s0
                                        ; implicit-def: $vgpr8
	s_and_saveexec_b32 s0, s8
	s_cbranch_execz .LBB352_45
.LBB352_68:
	v_add_co_u32 v37, vcc_lo, v1, v23
	v_add_co_ci_u32_e32 v38, vcc_lo, 0, v3, vcc_lo
	flat_load_b32 v8, v[37:38]
	s_or_b32 exec_lo, exec_lo, s0
                                        ; implicit-def: $vgpr23
	s_and_saveexec_b32 s0, s9
	s_cbranch_execz .LBB352_46
.LBB352_69:
	v_add_co_u32 v23, vcc_lo, v1, v24
	v_add_co_ci_u32_e32 v24, vcc_lo, 0, v3, vcc_lo
	flat_load_b32 v23, v[23:24]
	s_or_b32 exec_lo, exec_lo, s0
                                        ; implicit-def: $vgpr24
	s_and_saveexec_b32 s0, s10
	s_cbranch_execz .LBB352_47
.LBB352_70:
	v_add_co_u32 v24, vcc_lo, v1, v25
	v_add_co_ci_u32_e32 v25, vcc_lo, 0, v3, vcc_lo
	flat_load_b32 v24, v[24:25]
	s_or_b32 exec_lo, exec_lo, s0
                                        ; implicit-def: $vgpr25
	s_and_saveexec_b32 s0, s11
	s_cbranch_execz .LBB352_48
.LBB352_71:
	v_add_co_u32 v37, vcc_lo, v1, v27
	v_add_co_ci_u32_e32 v38, vcc_lo, 0, v3, vcc_lo
	flat_load_b32 v25, v[37:38]
	s_or_b32 exec_lo, exec_lo, s0
                                        ; implicit-def: $vgpr27
	s_and_saveexec_b32 s0, s12
	s_cbranch_execz .LBB352_49
.LBB352_72:
	v_add_co_u32 v27, vcc_lo, v1, v28
	v_add_co_ci_u32_e32 v28, vcc_lo, 0, v3, vcc_lo
	flat_load_b32 v27, v[27:28]
	s_or_b32 exec_lo, exec_lo, s0
                                        ; implicit-def: $vgpr28
	s_and_saveexec_b32 s0, s13
	s_cbranch_execz .LBB352_50
.LBB352_73:
	v_add_co_u32 v28, vcc_lo, v1, v29
	v_add_co_ci_u32_e32 v29, vcc_lo, 0, v3, vcc_lo
	flat_load_b32 v28, v[28:29]
	s_or_b32 exec_lo, exec_lo, s0
                                        ; implicit-def: $vgpr29
	s_and_saveexec_b32 s0, s14
	s_cbranch_execz .LBB352_51
.LBB352_74:
	v_add_co_u32 v29, vcc_lo, v1, v30
	v_add_co_ci_u32_e32 v30, vcc_lo, 0, v3, vcc_lo
	flat_load_b32 v29, v[29:30]
	s_or_b32 exec_lo, exec_lo, s0
                                        ; implicit-def: $vgpr30
	s_and_saveexec_b32 s0, s15
	s_cbranch_execnz .LBB352_52
	s_branch .LBB352_53
.LBB352_75:
	s_mov_b32 s40, 0
                                        ; implicit-def: $sgpr0
                                        ; implicit-def: $vgpr69
                                        ; implicit-def: $vgpr64
                                        ; implicit-def: $vgpr65
                                        ; implicit-def: $vgpr66
                                        ; implicit-def: $vgpr67
                                        ; implicit-def: $vgpr68
                                        ; implicit-def: $vgpr70
                                        ; implicit-def: $vgpr71
                                        ; implicit-def: $vgpr72
                                        ; implicit-def: $vgpr73
                                        ; implicit-def: $vgpr74
                                        ; implicit-def: $vgpr75
                                        ; implicit-def: $vgpr76
                                        ; implicit-def: $vgpr77
	s_cbranch_execz .LBB352_59
; %bb.76:
	v_cmp_ne_u32_e32 vcc_lo, v10, v63
	v_lshlrev_b32_e32 v1, 2, v0
                                        ; implicit-def: $sgpr0
	v_cndmask_b32_e64 v69, 0, 1, vcc_lo
	v_cmp_ne_u32_e32 vcc_lo, v9, v10
	ds_store_b32 v1, v63
	s_waitcnt lgkmcnt(0)
	s_barrier
	buffer_gl0_inv
	v_cndmask_b32_e64 v64, 0, 1, vcc_lo
	v_cmp_ne_u32_e32 vcc_lo, v12, v9
	v_cndmask_b32_e64 v65, 0, 1, vcc_lo
	v_cmp_ne_u32_e32 vcc_lo, v11, v12
	;; [unrolled: 2-line block ×12, first 2 shown]
	v_cndmask_b32_e64 v77, 0, 1, vcc_lo
	s_and_saveexec_b32 s1, s3
	s_delay_alu instid0(SALU_CYCLE_1)
	s_xor_b32 s1, exec_lo, s1
	s_cbranch_execz .LBB352_78
; %bb.77:
	v_add_nc_u32_e32 v1, -4, v1
	s_or_b32 s40, s40, exec_lo
	ds_load_b32 v1, v1
	s_waitcnt lgkmcnt(0)
	v_cmp_ne_u32_e32 vcc_lo, v1, v21
	s_and_b32 s0, vcc_lo, exec_lo
.LBB352_78:
	s_or_b32 exec_lo, exec_lo, s1
	s_mov_b32 s1, 1
	s_branch .LBB352_87
.LBB352_79:
	s_mul_hi_u32 s0, s24, 0xfffff100
	s_mul_i32 s1, s25, 0xfffff100
	s_sub_i32 s0, s0, s24
	s_mul_i32 s4, s24, 0xfffff100
	s_add_i32 s0, s0, s1
	s_add_u32 s24, s4, s36
	s_addc_u32 s25, s0, s37
	s_and_b32 vcc_lo, exec_lo, s15
	v_cmp_ne_u32_e64 s14, v10, v63
	v_cmp_ne_u32_e64 s15, v9, v10
	;; [unrolled: 1-line block ×14, first 2 shown]
	v_mad_u32_u24 v1, v0, 15, 14
	v_mad_u32_u24 v55, v0, 15, 13
	;; [unrolled: 1-line block ×14, first 2 shown]
	s_cbranch_vccz .LBB352_84
; %bb.80:
	v_add_co_u32 v56, vcc_lo, -4, v4
	v_add_co_ci_u32_e32 v57, vcc_lo, -1, v2, vcc_lo
	v_mov_b32_e32 v2, 0
	s_mov_b32 s40, -1
	s_mov_b32 s36, 0
	flat_load_b32 v58, v[56:57]
	v_lshlrev_b32_e32 v57, 2, v0
	v_cmp_gt_u64_e32 vcc_lo, s[24:25], v[1:2]
	v_mov_b32_e32 v56, v2
	v_mov_b32_e32 v54, v2
	;; [unrolled: 1-line block ×5, first 2 shown]
	v_cmp_gt_u64_e64 s16, s[24:25], v[55:56]
	s_and_b32 s37, vcc_lo, s14
	v_cmp_gt_u64_e32 vcc_lo, s[24:25], v[53:54]
	v_mov_b32_e32 v46, v2
	v_mov_b32_e32 v44, v2
	v_cmp_gt_u64_e64 s14, s[24:25], v[51:52]
	s_and_b32 s41, s16, s15
	v_mov_b32_e32 v42, v2
	s_and_b32 s42, vcc_lo, s13
	v_cmp_gt_u64_e32 vcc_lo, s[24:25], v[49:50]
	v_cmp_gt_u64_e64 s13, s[24:25], v[47:48]
	v_cmp_gt_u64_e64 s15, s[24:25], v[45:46]
	;; [unrolled: 1-line block ×3, first 2 shown]
	v_mov_b32_e32 v40, v2
	v_mov_b32_e32 v38, v2
	;; [unrolled: 1-line block ×5, first 2 shown]
	s_and_b32 s14, s14, s12
	s_and_b32 s43, vcc_lo, s8
	s_and_b32 s13, s13, s9
	s_and_b32 s15, s15, s10
	s_and_b32 s16, s16, s11
	v_cmp_gt_u64_e32 vcc_lo, s[24:25], v[41:42]
	v_cmp_gt_u64_e64 s8, s[24:25], v[39:40]
	v_cmp_gt_u64_e64 s9, s[24:25], v[37:38]
	v_cmp_gt_u64_e64 s10, s[24:25], v[7:8]
	v_cmp_gt_u64_e64 s11, s[24:25], v[5:6]
	v_cmp_gt_u64_e64 s12, s[24:25], v[3:4]
	v_mul_u32_u24_e32 v56, 15, v0
	s_and_b32 s0, vcc_lo, s0
	s_and_b32 s8, s8, s1
	s_and_b32 s9, s9, s4
	;; [unrolled: 1-line block ×5, first 2 shown]
	ds_store_b32 v57, v63
	s_waitcnt vmcnt(0) lgkmcnt(0)
	s_barrier
	buffer_gl0_inv
	s_and_saveexec_b32 s6, s3
	s_cbranch_execz .LBB352_82
; %bb.81:
	v_add_nc_u32_e32 v4, -4, v57
	ds_load_b32 v58, v4
.LBB352_82:
	s_or_b32 exec_lo, exec_lo, s6
	v_mov_b32_e32 v57, v2
	v_cndmask_b32_e64 v72, 0, 1, s0
	s_waitcnt lgkmcnt(0)
	v_cmp_ne_u32_e64 s0, v58, v21
	v_cndmask_b32_e64 v69, 0, 1, s37
	v_cndmask_b32_e64 v64, 0, 1, s41
	v_cmp_gt_u64_e32 vcc_lo, s[24:25], v[56:57]
	v_cndmask_b32_e64 v65, 0, 1, s42
	v_cndmask_b32_e64 v66, 0, 1, s14
	;; [unrolled: 1-line block ×11, first 2 shown]
	s_and_b32 s0, vcc_lo, s0
	s_and_b32 vcc_lo, exec_lo, s36
	s_cbranch_vccnz .LBB352_85
.LBB352_83:
                                        ; implicit-def: $sgpr1
	v_mov_b32_e32 v78, s1
	s_and_saveexec_b32 s1, s40
	s_cbranch_execnz .LBB352_88
	s_branch .LBB352_89
.LBB352_84:
                                        ; implicit-def: $sgpr0
                                        ; implicit-def: $vgpr69
                                        ; implicit-def: $vgpr64
                                        ; implicit-def: $vgpr65
                                        ; implicit-def: $vgpr66
                                        ; implicit-def: $vgpr67
                                        ; implicit-def: $vgpr68
                                        ; implicit-def: $vgpr70
                                        ; implicit-def: $vgpr71
                                        ; implicit-def: $vgpr72
                                        ; implicit-def: $vgpr73
                                        ; implicit-def: $vgpr74
                                        ; implicit-def: $vgpr75
                                        ; implicit-def: $vgpr76
                                        ; implicit-def: $vgpr77
	s_cbranch_execz .LBB352_83
.LBB352_85:
	v_dual_mov_b32 v2, 0 :: v_dual_lshlrev_b32 v57, 2, v0
	v_cmp_ne_u32_e64 s1, v12, v9
	v_cmp_ne_u32_e32 vcc_lo, v10, v63
	v_cmp_ne_u32_e64 s0, v9, v10
	s_delay_alu instid0(VALU_DEP_4)
	v_mov_b32_e32 v54, v2
	v_mov_b32_e32 v56, v2
	v_cmp_gt_u64_e64 s4, s[24:25], v[1:2]
	v_mov_b32_e32 v50, v2
	v_mov_b32_e32 v52, v2
	v_cmp_gt_u64_e64 s6, s[24:25], v[53:54]
	v_cmp_gt_u64_e64 s5, s[24:25], v[55:56]
	v_mov_b32_e32 v48, v2
	s_and_b32 s4, s4, vcc_lo
	v_cmp_gt_u64_e32 vcc_lo, s[24:25], v[51:52]
	v_cndmask_b32_e64 v69, 0, 1, s4
	s_and_b32 s1, s6, s1
	s_and_b32 s0, s5, s0
	v_cndmask_b32_e64 v65, 0, 1, s1
	v_cmp_gt_u64_e64 s1, s[24:25], v[49:50]
	v_cmp_ne_u32_e64 s4, v14, v11
	v_cndmask_b32_e64 v64, 0, 1, s0
	v_cmp_ne_u32_e64 s0, v11, v12
	v_mov_b32_e32 v46, v2
	v_mov_b32_e32 v44, v2
	s_and_b32 s1, s1, s4
	v_cmp_ne_u32_e64 s4, v16, v13
	s_and_b32 s0, vcc_lo, s0
	v_cmp_gt_u64_e32 vcc_lo, s[24:25], v[47:48]
	v_cndmask_b32_e64 v67, 0, 1, s1
	v_cmp_gt_u64_e64 s1, s[24:25], v[45:46]
	v_cndmask_b32_e64 v66, 0, 1, s0
	v_cmp_ne_u32_e64 s0, v13, v14
	v_mov_b32_e32 v42, v2
	v_mov_b32_e32 v40, v2
	;; [unrolled: 1-line block ×3, first 2 shown]
	s_and_b32 s1, s1, s4
	s_and_b32 s0, vcc_lo, s0
	v_cmp_gt_u64_e32 vcc_lo, s[24:25], v[43:44]
	v_cndmask_b32_e64 v68, 0, 1, s0
	v_cmp_ne_u32_e64 s0, v15, v16
	v_cndmask_b32_e64 v70, 0, 1, s1
	v_cmp_gt_u64_e64 s1, s[24:25], v[41:42]
	v_cmp_ne_u32_e64 s4, v18, v15
	v_mov_b32_e32 v8, v2
	s_and_b32 s0, vcc_lo, s0
	v_cmp_gt_u64_e32 vcc_lo, s[24:25], v[39:40]
	v_cndmask_b32_e64 v71, 0, 1, s0
	s_and_b32 s1, s1, s4
	v_cmp_ne_u32_e64 s0, v17, v18
	v_cndmask_b32_e64 v72, 0, 1, s1
	v_cmp_gt_u64_e64 s1, s[24:25], v[37:38]
	v_cmp_ne_u32_e64 s4, v20, v17
	v_mov_b32_e32 v6, v2
	s_and_b32 s0, vcc_lo, s0
	v_mov_b32_e32 v4, v2
	v_cndmask_b32_e64 v73, 0, 1, s0
	s_and_b32 s0, s1, s4
	v_cmp_gt_u64_e32 vcc_lo, s[24:25], v[7:8]
	v_cndmask_b32_e64 v74, 0, 1, s0
	v_cmp_ne_u32_e64 s0, v19, v20
	v_cmp_gt_u64_e64 s1, s[24:25], v[5:6]
	v_cmp_ne_u32_e64 s4, v22, v19
	v_cmp_gt_u64_e64 s5, s[24:25], v[3:4]
	v_cmp_ne_u32_e64 s6, v21, v22
	s_and_b32 s0, vcc_lo, s0
	ds_store_b32 v57, v63
	v_cndmask_b32_e64 v75, 0, 1, s0
	s_and_b32 s0, s1, s4
	s_mov_b32 s1, 1
	v_cndmask_b32_e64 v76, 0, 1, s0
	s_and_b32 s0, s5, s6
	s_waitcnt lgkmcnt(0)
	v_cndmask_b32_e64 v77, 0, 1, s0
	s_barrier
	buffer_gl0_inv
                                        ; implicit-def: $sgpr0
	s_and_saveexec_b32 s4, s3
	s_cbranch_execz .LBB352_167
; %bb.86:
	v_add_nc_u32_e32 v1, -4, v57
	s_or_b32 s40, s40, exec_lo
	ds_load_b32 v3, v1
	v_mul_u32_u24_e32 v1, 15, v0
	s_delay_alu instid0(VALU_DEP_1) | instskip(SKIP_2) | instid1(VALU_DEP_1)
	v_cmp_gt_u64_e32 vcc_lo, s[24:25], v[1:2]
	s_waitcnt lgkmcnt(0)
	v_cmp_ne_u32_e64 s0, v3, v21
	s_and_b32 s0, vcc_lo, s0
	s_delay_alu instid0(SALU_CYCLE_1)
	s_and_b32 s0, s0, exec_lo
	s_or_b32 exec_lo, exec_lo, s4
.LBB352_87:
	v_mov_b32_e32 v78, s1
	s_and_saveexec_b32 s1, s40
.LBB352_88:
	s_delay_alu instid0(VALU_DEP_2)
	v_cndmask_b32_e64 v78, 0, 1, s0
.LBB352_89:
	s_or_b32 exec_lo, exec_lo, s1
	s_delay_alu instid0(VALU_DEP_1)
	v_add3_u32 v1, v77, v78, v76
	v_cmp_eq_u32_e64 s13, 0, v77
	v_cmp_eq_u32_e64 s12, 0, v76
	;; [unrolled: 1-line block ×4, first 2 shown]
	v_add3_u32 v84, v1, v75, v74
	v_cmp_eq_u32_e64 s9, 0, v73
	v_cmp_eq_u32_e64 s8, 0, v72
	;; [unrolled: 1-line block ×9, first 2 shown]
	v_cmp_eq_u32_e32 vcc_lo, 0, v69
	v_mbcnt_lo_u32_b32 v81, -1, 0
	v_lshrrev_b32_e32 v82, 5, v0
	v_or_b32_e32 v83, 31, v0
	s_cmp_eq_u64 s[22:23], 0
	s_cselect_b32 s16, -1, 0
	s_cmp_lg_u32 s33, 0
	s_cbranch_scc0 .LBB352_115
; %bb.90:
	v_cndmask_b32_e64 v1, 0, v35, s13
	v_add3_u32 v2, v84, v73, v72
	s_delay_alu instid0(VALU_DEP_2) | instskip(NEXT) | instid1(VALU_DEP_2)
	v_add_nc_u32_e32 v1, v1, v36
	v_add3_u32 v2, v2, v71, v70
	s_delay_alu instid0(VALU_DEP_2) | instskip(NEXT) | instid1(VALU_DEP_2)
	v_cndmask_b32_e64 v1, 0, v1, s12
	v_add3_u32 v2, v2, v68, v67
	s_delay_alu instid0(VALU_DEP_2) | instskip(NEXT) | instid1(VALU_DEP_2)
	v_add_nc_u32_e32 v1, v1, v33
	v_add3_u32 v2, v2, v66, v65
	s_delay_alu instid0(VALU_DEP_2) | instskip(NEXT) | instid1(VALU_DEP_2)
	v_cndmask_b32_e64 v1, 0, v1, s11
	v_add3_u32 v2, v2, v64, v69
	s_delay_alu instid0(VALU_DEP_2) | instskip(NEXT) | instid1(VALU_DEP_2)
	v_add_nc_u32_e32 v1, v1, v34
	v_mov_b32_dpp v5, v2 row_shr:1 row_mask:0xf bank_mask:0xf
	s_delay_alu instid0(VALU_DEP_2) | instskip(NEXT) | instid1(VALU_DEP_1)
	v_cndmask_b32_e64 v1, 0, v1, s10
	v_add_nc_u32_e32 v1, v1, v31
	s_delay_alu instid0(VALU_DEP_1) | instskip(NEXT) | instid1(VALU_DEP_1)
	v_cndmask_b32_e64 v1, 0, v1, s9
	v_add_nc_u32_e32 v1, v1, v32
	s_delay_alu instid0(VALU_DEP_1) | instskip(NEXT) | instid1(VALU_DEP_1)
	;; [unrolled: 3-line block ×9, first 2 shown]
	v_cndmask_b32_e64 v1, 0, v1, s0
	v_add_nc_u32_e32 v1, v1, v24
	s_delay_alu instid0(VALU_DEP_1) | instskip(SKIP_1) | instid1(VALU_DEP_2)
	v_cndmask_b32_e32 v1, 0, v1, vcc_lo
	v_cmp_eq_u32_e32 vcc_lo, 0, v2
	v_add_nc_u32_e32 v1, v1, v80
	s_delay_alu instid0(VALU_DEP_1) | instskip(NEXT) | instid1(VALU_DEP_1)
	v_mov_b32_dpp v3, v1 row_shr:1 row_mask:0xf bank_mask:0xf
	v_dual_cndmask_b32 v3, 0, v3 :: v_dual_and_b32 v4, 15, v81
	s_delay_alu instid0(VALU_DEP_1) | instskip(SKIP_2) | instid1(VALU_DEP_4)
	v_cmp_eq_u32_e32 vcc_lo, 0, v4
	v_cmp_lt_u32_e64 s14, 1, v4
	v_cndmask_b32_e64 v5, v5, 0, vcc_lo
	v_cndmask_b32_e64 v3, v3, 0, vcc_lo
	s_delay_alu instid0(VALU_DEP_2) | instskip(NEXT) | instid1(VALU_DEP_2)
	v_add_nc_u32_e32 v2, v5, v2
	v_add_nc_u32_e32 v1, v3, v1
	s_delay_alu instid0(VALU_DEP_2) | instskip(SKIP_1) | instid1(VALU_DEP_3)
	v_mov_b32_dpp v3, v2 row_shr:2 row_mask:0xf bank_mask:0xf
	v_cmp_eq_u32_e32 vcc_lo, 0, v2
	v_mov_b32_dpp v5, v1 row_shr:2 row_mask:0xf bank_mask:0xf
	s_delay_alu instid0(VALU_DEP_3) | instskip(SKIP_2) | instid1(VALU_DEP_2)
	v_cndmask_b32_e64 v3, 0, v3, s14
	s_and_b32 vcc_lo, s14, vcc_lo
	v_cmp_lt_u32_e64 s14, 3, v4
	v_dual_cndmask_b32 v5, 0, v5 :: v_dual_add_nc_u32 v2, v2, v3
	s_delay_alu instid0(VALU_DEP_1) | instskip(NEXT) | instid1(VALU_DEP_2)
	v_add_nc_u32_e32 v1, v5, v1
	v_mov_b32_dpp v3, v2 row_shr:4 row_mask:0xf bank_mask:0xf
	v_cmp_eq_u32_e32 vcc_lo, 0, v2
	s_delay_alu instid0(VALU_DEP_3) | instskip(NEXT) | instid1(VALU_DEP_3)
	v_mov_b32_dpp v5, v1 row_shr:4 row_mask:0xf bank_mask:0xf
	v_cndmask_b32_e64 v3, 0, v3, s14
	s_and_b32 vcc_lo, s14, vcc_lo
	v_cmp_lt_u32_e64 s14, 7, v4
	s_delay_alu instid0(VALU_DEP_2) | instskip(NEXT) | instid1(VALU_DEP_1)
	v_dual_cndmask_b32 v5, 0, v5 :: v_dual_add_nc_u32 v2, v3, v2
	v_add_nc_u32_e32 v1, v1, v5
	v_bfe_i32 v5, v81, 4, 1
	s_delay_alu instid0(VALU_DEP_3) | instskip(SKIP_1) | instid1(VALU_DEP_4)
	v_cmp_eq_u32_e32 vcc_lo, 0, v2
	v_mov_b32_dpp v3, v2 row_shr:8 row_mask:0xf bank_mask:0xf
	v_mov_b32_dpp v4, v1 row_shr:8 row_mask:0xf bank_mask:0xf
	s_and_b32 vcc_lo, s14, vcc_lo
	s_delay_alu instid0(VALU_DEP_2) | instskip(SKIP_1) | instid1(VALU_DEP_2)
	v_cndmask_b32_e64 v3, 0, v3, s14
	s_mov_b32 s14, exec_lo
	v_cndmask_b32_e32 v4, 0, v4, vcc_lo
	s_delay_alu instid0(VALU_DEP_1) | instskip(NEXT) | instid1(VALU_DEP_3)
	v_add_nc_u32_e32 v4, v4, v1
	v_add_nc_u32_e32 v1, v3, v2
	ds_swizzle_b32 v2, v4 offset:swizzle(BROADCAST,32,15)
	ds_swizzle_b32 v3, v1 offset:swizzle(BROADCAST,32,15)
	v_cmp_eq_u32_e32 vcc_lo, 0, v1
	s_waitcnt lgkmcnt(0)
	v_dual_cndmask_b32 v2, 0, v2 :: v_dual_and_b32 v3, v5, v3
	s_delay_alu instid0(VALU_DEP_1) | instskip(NEXT) | instid1(VALU_DEP_2)
	v_and_b32_e32 v2, v5, v2
	v_add_nc_u32_e32 v1, v3, v1
	v_lshlrev_b32_e32 v3, 3, v82
	s_delay_alu instid0(VALU_DEP_3)
	v_add_nc_u32_e32 v2, v2, v4
	v_cmpx_eq_u32_e64 v83, v0
	s_cbranch_execz .LBB352_92
; %bb.91:
	ds_store_b64 v3, v[1:2] offset:2064
.LBB352_92:
	s_or_b32 exec_lo, exec_lo, s14
	s_delay_alu instid0(SALU_CYCLE_1)
	s_mov_b32 s15, exec_lo
	s_waitcnt lgkmcnt(0)
	s_barrier
	buffer_gl0_inv
	v_cmpx_gt_u32_e32 8, v0
	s_cbranch_execz .LBB352_94
; %bb.93:
	v_lshlrev_b32_e32 v6, 3, v0
	v_and_b32_e32 v8, 7, v81
	ds_load_b64 v[4:5], v6 offset:2064
	v_cmp_lt_u32_e64 s14, 1, v8
	s_waitcnt lgkmcnt(0)
	v_mov_b32_dpp v7, v5 row_shr:1 row_mask:0xf bank_mask:0xf
	v_cmp_eq_u32_e32 vcc_lo, 0, v4
	v_mov_b32_dpp v37, v4 row_shr:1 row_mask:0xf bank_mask:0xf
	s_delay_alu instid0(VALU_DEP_3) | instskip(SKIP_1) | instid1(VALU_DEP_3)
	v_cndmask_b32_e32 v7, 0, v7, vcc_lo
	v_cmp_eq_u32_e32 vcc_lo, 0, v8
	v_cndmask_b32_e64 v37, v37, 0, vcc_lo
	s_delay_alu instid0(VALU_DEP_3) | instskip(NEXT) | instid1(VALU_DEP_2)
	v_cndmask_b32_e64 v7, v7, 0, vcc_lo
	v_add_nc_u32_e32 v4, v37, v4
	s_delay_alu instid0(VALU_DEP_2) | instskip(NEXT) | instid1(VALU_DEP_2)
	v_add_nc_u32_e32 v5, v7, v5
	v_cmp_eq_u32_e32 vcc_lo, 0, v4
	s_delay_alu instid0(VALU_DEP_2) | instskip(SKIP_1) | instid1(VALU_DEP_1)
	v_mov_b32_dpp v37, v5 row_shr:2 row_mask:0xf bank_mask:0xf
	s_and_b32 vcc_lo, s14, vcc_lo
	v_cndmask_b32_e32 v37, 0, v37, vcc_lo
	v_mov_b32_dpp v7, v4 row_shr:2 row_mask:0xf bank_mask:0xf
	s_delay_alu instid0(VALU_DEP_2) | instskip(NEXT) | instid1(VALU_DEP_2)
	v_add_nc_u32_e32 v5, v37, v5
	v_cndmask_b32_e64 v7, 0, v7, s14
	v_cmp_lt_u32_e64 s14, 3, v8
	s_delay_alu instid0(VALU_DEP_3) | instskip(NEXT) | instid1(VALU_DEP_3)
	v_mov_b32_dpp v8, v5 row_shr:4 row_mask:0xf bank_mask:0xf
	v_add_nc_u32_e32 v4, v7, v4
	s_delay_alu instid0(VALU_DEP_1) | instskip(SKIP_2) | instid1(VALU_DEP_1)
	v_cmp_eq_u32_e32 vcc_lo, 0, v4
	v_mov_b32_dpp v7, v4 row_shr:4 row_mask:0xf bank_mask:0xf
	s_and_b32 vcc_lo, s14, vcc_lo
	v_cndmask_b32_e64 v7, 0, v7, s14
	v_cndmask_b32_e32 v8, 0, v8, vcc_lo
	s_delay_alu instid0(VALU_DEP_2) | instskip(NEXT) | instid1(VALU_DEP_2)
	v_add_nc_u32_e32 v4, v7, v4
	v_add_nc_u32_e32 v5, v8, v5
	ds_store_b64 v6, v[4:5] offset:2064
.LBB352_94:
	s_or_b32 exec_lo, exec_lo, s15
	v_cmp_gt_u32_e32 vcc_lo, 32, v0
	v_dual_mov_b32 v37, 0 :: v_dual_mov_b32 v38, 0
	s_mov_b32 s15, exec_lo
	s_waitcnt lgkmcnt(0)
	s_barrier
	buffer_gl0_inv
	v_cmpx_lt_u32_e32 31, v0
	s_cbranch_execz .LBB352_96
; %bb.95:
	ds_load_b64 v[37:38], v3 offset:2056
	v_cmp_eq_u32_e64 s14, 0, v1
	s_waitcnt lgkmcnt(0)
	s_delay_alu instid0(VALU_DEP_1) | instskip(SKIP_1) | instid1(VALU_DEP_2)
	v_cndmask_b32_e64 v3, 0, v38, s14
	v_add_nc_u32_e32 v1, v37, v1
	v_add_nc_u32_e32 v2, v3, v2
.LBB352_96:
	s_or_b32 exec_lo, exec_lo, s15
	v_add_nc_u32_e32 v3, -1, v81
	s_delay_alu instid0(VALU_DEP_1) | instskip(NEXT) | instid1(VALU_DEP_1)
	v_cmp_gt_i32_e64 s14, 0, v3
	v_cndmask_b32_e64 v3, v3, v81, s14
	v_cmp_eq_u32_e64 s14, 0, v81
	s_delay_alu instid0(VALU_DEP_2)
	v_lshlrev_b32_e32 v3, 2, v3
	ds_bpermute_b32 v43, v3, v1
	ds_bpermute_b32 v44, v3, v2
	s_and_saveexec_b32 s22, vcc_lo
	s_cbranch_execz .LBB352_114
; %bb.97:
	v_mov_b32_e32 v4, 0
	ds_load_b64 v[1:2], v4 offset:2120
	s_waitcnt lgkmcnt(0)
	v_readfirstlane_b32 s23, v2
	s_and_saveexec_b32 s15, s14
	s_cbranch_execz .LBB352_99
; %bb.98:
	s_add_i32 s24, s33, 32
	s_mov_b32 s25, 0
	v_mov_b32_e32 v3, 1
	s_lshl_b64 s[36:37], s[24:25], 4
	s_mov_b32 s40, s25
	s_add_u32 s36, s20, s36
	s_addc_u32 s37, s21, s37
	s_and_b32 s41, s23, 0xff000000
	s_and_b32 s43, s23, 0xff0000
	s_mov_b32 s42, s25
	v_dual_mov_b32 v5, s36 :: v_dual_mov_b32 v6, s37
	s_or_b64 s[40:41], s[42:43], s[40:41]
	s_and_b32 s43, s23, 0xff00
	s_delay_alu instid0(SALU_CYCLE_1) | instskip(SKIP_1) | instid1(SALU_CYCLE_1)
	s_or_b64 s[40:41], s[40:41], s[42:43]
	s_and_b32 s43, s23, 0xff
	s_or_b64 s[24:25], s[40:41], s[42:43]
	s_delay_alu instid0(SALU_CYCLE_1)
	v_mov_b32_e32 v2, s25
	;;#ASMSTART
	global_store_dwordx4 v[5:6], v[1:4] off	
s_waitcnt vmcnt(0)
	;;#ASMEND
.LBB352_99:
	s_or_b32 exec_lo, exec_lo, s15
	v_xad_u32 v39, v81, -1, s33
	s_mov_b32 s24, 0
	s_mov_b32 s15, exec_lo
	s_delay_alu instid0(VALU_DEP_1) | instskip(NEXT) | instid1(VALU_DEP_1)
	v_add_nc_u32_e32 v3, 32, v39
	v_lshlrev_b64 v[2:3], 4, v[3:4]
	s_delay_alu instid0(VALU_DEP_1) | instskip(NEXT) | instid1(VALU_DEP_2)
	v_add_co_u32 v2, vcc_lo, s20, v2
	v_add_co_ci_u32_e32 v3, vcc_lo, s21, v3, vcc_lo
	;;#ASMSTART
	global_load_dwordx4 v[5:8], v[2:3] off glc	
s_waitcnt vmcnt(0)
	;;#ASMEND
	v_and_b32_e32 v4, 0xff, v6
	v_and_b32_e32 v8, 0xff00, v6
	;; [unrolled: 1-line block ×3, first 2 shown]
	v_or3_b32 v5, v5, 0, 0
	v_and_b32_e32 v6, 0xff000000, v6
	s_delay_alu instid0(VALU_DEP_4) | instskip(SKIP_1) | instid1(VALU_DEP_4)
	v_or3_b32 v4, 0, v4, v8
	v_and_b32_e32 v8, 0xff, v7
	v_or3_b32 v5, v5, 0, 0
	s_delay_alu instid0(VALU_DEP_3) | instskip(NEXT) | instid1(VALU_DEP_3)
	v_or3_b32 v6, v4, v40, v6
	v_cmpx_eq_u16_e32 0, v8
	s_cbranch_execz .LBB352_102
.LBB352_100:                            ; =>This Inner Loop Header: Depth=1
	;;#ASMSTART
	global_load_dwordx4 v[5:8], v[2:3] off glc	
s_waitcnt vmcnt(0)
	;;#ASMEND
	v_and_b32_e32 v4, 0xff, v7
	s_delay_alu instid0(VALU_DEP_1) | instskip(SKIP_1) | instid1(SALU_CYCLE_1)
	v_cmp_ne_u16_e32 vcc_lo, 0, v4
	s_or_b32 s24, vcc_lo, s24
	s_and_not1_b32 exec_lo, exec_lo, s24
	s_cbranch_execnz .LBB352_100
; %bb.101:
	s_or_b32 exec_lo, exec_lo, s24
.LBB352_102:
	s_delay_alu instid0(SALU_CYCLE_1)
	s_or_b32 exec_lo, exec_lo, s15
	v_cmp_ne_u32_e32 vcc_lo, 31, v81
	v_and_b32_e32 v3, 0xff, v7
	v_lshlrev_b32_e64 v45, v81, -1
	v_add_nc_u32_e32 v47, 2, v81
	v_add_nc_u32_e32 v49, 4, v81
	v_add_co_ci_u32_e32 v2, vcc_lo, 0, v81, vcc_lo
	v_cmp_eq_u16_e32 vcc_lo, 2, v3
	v_add_nc_u32_e32 v51, 8, v81
	v_add_nc_u32_e32 v53, 16, v81
	v_and_or_b32 v8, vcc_lo, v45, 0x80000000
	v_cmp_gt_u32_e32 vcc_lo, 30, v81
	s_delay_alu instid0(VALU_DEP_2) | instskip(SKIP_2) | instid1(VALU_DEP_3)
	v_ctz_i32_b32_e32 v8, v8
	v_cndmask_b32_e64 v40, 0, 1, vcc_lo
	v_cmp_eq_u32_e32 vcc_lo, 0, v5
	v_cmp_lt_u32_e64 s15, v81, v8
	s_delay_alu instid0(VALU_DEP_3) | instskip(NEXT) | instid1(VALU_DEP_2)
	v_lshlrev_b32_e32 v40, 1, v40
	s_and_b32 vcc_lo, s15, vcc_lo
	v_lshlrev_b32_e32 v2, 2, v2
	s_delay_alu instid0(VALU_DEP_2)
	v_add_lshl_u32 v46, v40, v81, 2
	ds_bpermute_b32 v3, v2, v6
	s_waitcnt lgkmcnt(0)
	v_cndmask_b32_e32 v3, 0, v3, vcc_lo
	ds_bpermute_b32 v4, v2, v5
	v_cmp_gt_u32_e32 vcc_lo, 28, v81
	v_add_nc_u32_e32 v3, v3, v6
	ds_bpermute_b32 v6, v46, v3
	s_waitcnt lgkmcnt(1)
	v_cndmask_b32_e64 v4, 0, v4, s15
	s_delay_alu instid0(VALU_DEP_1) | instskip(SKIP_1) | instid1(VALU_DEP_2)
	v_add_nc_u32_e32 v4, v4, v5
	v_cndmask_b32_e64 v5, 0, 1, vcc_lo
	v_cmp_eq_u32_e32 vcc_lo, 0, v4
	ds_bpermute_b32 v40, v46, v4
	s_waitcnt lgkmcnt(1)
	v_dual_cndmask_b32 v6, 0, v6 :: v_dual_lshlrev_b32 v5, 2, v5
	v_cmp_gt_u32_e32 vcc_lo, v47, v8
	s_delay_alu instid0(VALU_DEP_2) | instskip(NEXT) | instid1(VALU_DEP_3)
	v_add_lshl_u32 v48, v5, v81, 2
	v_cndmask_b32_e64 v6, v6, 0, vcc_lo
	s_delay_alu instid0(VALU_DEP_1) | instskip(SKIP_4) | instid1(VALU_DEP_2)
	v_add_nc_u32_e32 v3, v6, v3
	ds_bpermute_b32 v5, v48, v3
	s_waitcnt lgkmcnt(1)
	v_cndmask_b32_e64 v6, v40, 0, vcc_lo
	v_cmp_gt_u32_e32 vcc_lo, 24, v81
	v_add_nc_u32_e32 v4, v4, v6
	v_cndmask_b32_e64 v40, 0, 1, vcc_lo
	ds_bpermute_b32 v6, v48, v4
	v_cmp_eq_u32_e32 vcc_lo, 0, v4
	v_lshlrev_b32_e32 v40, 3, v40
	s_delay_alu instid0(VALU_DEP_1) | instskip(SKIP_3) | instid1(VALU_DEP_2)
	v_add_lshl_u32 v50, v40, v81, 2
	s_waitcnt lgkmcnt(1)
	v_cndmask_b32_e32 v5, 0, v5, vcc_lo
	v_cmp_gt_u32_e32 vcc_lo, v49, v8
	v_cndmask_b32_e64 v5, v5, 0, vcc_lo
	s_delay_alu instid0(VALU_DEP_1)
	v_add_nc_u32_e32 v3, v3, v5
	s_waitcnt lgkmcnt(0)
	v_cndmask_b32_e64 v6, v6, 0, vcc_lo
	v_cmp_gt_u32_e32 vcc_lo, 16, v81
	ds_bpermute_b32 v5, v50, v3
	v_add_nc_u32_e32 v4, v4, v6
	v_cndmask_b32_e64 v40, 0, 1, vcc_lo
	ds_bpermute_b32 v6, v50, v4
	v_cmp_eq_u32_e32 vcc_lo, 0, v4
	v_lshlrev_b32_e32 v40, 4, v40
	s_delay_alu instid0(VALU_DEP_1) | instskip(SKIP_3) | instid1(VALU_DEP_2)
	v_add_lshl_u32 v52, v40, v81, 2
	s_waitcnt lgkmcnt(1)
	v_dual_mov_b32 v40, 0 :: v_dual_cndmask_b32 v5, 0, v5
	v_cmp_gt_u32_e32 vcc_lo, v51, v8
	v_cndmask_b32_e64 v5, v5, 0, vcc_lo
	s_delay_alu instid0(VALU_DEP_1)
	v_add_nc_u32_e32 v3, v3, v5
	s_waitcnt lgkmcnt(0)
	v_cndmask_b32_e64 v5, v6, 0, vcc_lo
	ds_bpermute_b32 v6, v52, v3
	v_add_nc_u32_e32 v4, v4, v5
	ds_bpermute_b32 v5, v52, v4
	v_cmp_eq_u32_e32 vcc_lo, 0, v4
	s_waitcnt lgkmcnt(1)
	v_cndmask_b32_e32 v6, 0, v6, vcc_lo
	v_cmp_gt_u32_e32 vcc_lo, v53, v8
	s_delay_alu instid0(VALU_DEP_2) | instskip(SKIP_2) | instid1(VALU_DEP_2)
	v_cndmask_b32_e64 v6, v6, 0, vcc_lo
	s_waitcnt lgkmcnt(0)
	v_cndmask_b32_e64 v5, v5, 0, vcc_lo
	v_add_nc_u32_e32 v6, v6, v3
	s_delay_alu instid0(VALU_DEP_2)
	v_add_nc_u32_e32 v5, v5, v4
	s_branch .LBB352_104
.LBB352_103:                            ;   in Loop: Header=BB352_104 Depth=1
	s_or_b32 exec_lo, exec_lo, s15
	v_and_b32_e32 v8, 0xff, v7
	ds_bpermute_b32 v41, v2, v5
	v_subrev_nc_u32_e32 v39, 32, v39
	v_cmp_eq_u16_e32 vcc_lo, 2, v8
	ds_bpermute_b32 v8, v2, v6
	v_and_or_b32 v42, vcc_lo, v45, 0x80000000
	v_cmp_eq_u32_e32 vcc_lo, 0, v5
	s_delay_alu instid0(VALU_DEP_2) | instskip(NEXT) | instid1(VALU_DEP_1)
	v_ctz_i32_b32_e32 v42, v42
	v_cmp_lt_u32_e64 s15, v81, v42
	s_delay_alu instid0(VALU_DEP_1) | instskip(SKIP_4) | instid1(VALU_DEP_2)
	s_and_b32 vcc_lo, s15, vcc_lo
	s_waitcnt lgkmcnt(1)
	v_cndmask_b32_e64 v41, 0, v41, s15
	s_waitcnt lgkmcnt(0)
	v_cndmask_b32_e32 v8, 0, v8, vcc_lo
	v_add_nc_u32_e32 v5, v41, v5
	s_delay_alu instid0(VALU_DEP_2)
	v_add_nc_u32_e32 v6, v8, v6
	ds_bpermute_b32 v41, v46, v5
	ds_bpermute_b32 v8, v46, v6
	v_cmp_eq_u32_e32 vcc_lo, 0, v5
	s_waitcnt lgkmcnt(0)
	v_cndmask_b32_e32 v8, 0, v8, vcc_lo
	v_cmp_gt_u32_e32 vcc_lo, v47, v42
	v_cndmask_b32_e64 v41, v41, 0, vcc_lo
	s_delay_alu instid0(VALU_DEP_1) | instskip(NEXT) | instid1(VALU_DEP_4)
	v_add_nc_u32_e32 v5, v5, v41
	v_cndmask_b32_e64 v8, v8, 0, vcc_lo
	ds_bpermute_b32 v41, v48, v5
	v_add_nc_u32_e32 v6, v8, v6
	v_cmp_eq_u32_e32 vcc_lo, 0, v5
	ds_bpermute_b32 v8, v48, v6
	s_waitcnt lgkmcnt(0)
	v_cndmask_b32_e32 v8, 0, v8, vcc_lo
	v_cmp_gt_u32_e32 vcc_lo, v49, v42
	v_cndmask_b32_e64 v41, v41, 0, vcc_lo
	s_delay_alu instid0(VALU_DEP_1) | instskip(NEXT) | instid1(VALU_DEP_4)
	v_add_nc_u32_e32 v5, v5, v41
	v_cndmask_b32_e64 v8, v8, 0, vcc_lo
	ds_bpermute_b32 v41, v50, v5
	v_add_nc_u32_e32 v6, v6, v8
	v_cmp_eq_u32_e32 vcc_lo, 0, v5
	ds_bpermute_b32 v8, v50, v6
	;; [unrolled: 11-line block ×3, first 2 shown]
	s_waitcnt lgkmcnt(0)
	v_cndmask_b32_e32 v8, 0, v8, vcc_lo
	v_cmp_gt_u32_e32 vcc_lo, v53, v42
	s_delay_alu instid0(VALU_DEP_2) | instskip(NEXT) | instid1(VALU_DEP_1)
	v_cndmask_b32_e64 v8, v8, 0, vcc_lo
	v_add_nc_u32_e32 v6, v8, v6
	v_cndmask_b32_e64 v8, v41, 0, vcc_lo
	v_cmp_eq_u32_e32 vcc_lo, 0, v3
	s_delay_alu instid0(VALU_DEP_2) | instskip(NEXT) | instid1(VALU_DEP_4)
	v_add3_u32 v5, v5, v3, v8
	v_cndmask_b32_e32 v6, 0, v6, vcc_lo
	s_delay_alu instid0(VALU_DEP_1)
	v_add_nc_u32_e32 v6, v6, v4
.LBB352_104:                            ; =>This Loop Header: Depth=1
                                        ;     Child Loop BB352_107 Depth 2
	s_delay_alu instid0(VALU_DEP_1) | instskip(NEXT) | instid1(VALU_DEP_1)
	v_dual_mov_b32 v4, v6 :: v_dual_and_b32 v3, 0xff, v7
	v_cmp_ne_u16_e32 vcc_lo, 2, v3
	v_cndmask_b32_e64 v3, 0, 1, vcc_lo
	;;#ASMSTART
	;;#ASMEND
	s_delay_alu instid0(VALU_DEP_1)
	v_cmp_ne_u32_e32 vcc_lo, 0, v3
	v_mov_b32_e32 v3, v5
	s_cmp_lg_u32 vcc_lo, exec_lo
	s_cbranch_scc1 .LBB352_109
; %bb.105:                              ;   in Loop: Header=BB352_104 Depth=1
	v_lshlrev_b64 v[5:6], 4, v[39:40]
	s_mov_b32 s15, exec_lo
	s_delay_alu instid0(VALU_DEP_1) | instskip(NEXT) | instid1(VALU_DEP_2)
	v_add_co_u32 v41, vcc_lo, s20, v5
	v_add_co_ci_u32_e32 v42, vcc_lo, s21, v6, vcc_lo
	;;#ASMSTART
	global_load_dwordx4 v[5:8], v[41:42] off glc	
s_waitcnt vmcnt(0)
	;;#ASMEND
	v_and_b32_e32 v8, 0xff, v6
	v_and_b32_e32 v54, 0xff00, v6
	;; [unrolled: 1-line block ×3, first 2 shown]
	v_or3_b32 v5, v5, 0, 0
	v_and_b32_e32 v6, 0xff000000, v6
	s_delay_alu instid0(VALU_DEP_4) | instskip(SKIP_1) | instid1(VALU_DEP_4)
	v_or3_b32 v8, 0, v8, v54
	v_and_b32_e32 v54, 0xff, v7
	v_or3_b32 v5, v5, 0, 0
	s_delay_alu instid0(VALU_DEP_3) | instskip(NEXT) | instid1(VALU_DEP_3)
	v_or3_b32 v6, v8, v55, v6
	v_cmpx_eq_u16_e32 0, v54
	s_cbranch_execz .LBB352_103
; %bb.106:                              ;   in Loop: Header=BB352_104 Depth=1
	s_mov_b32 s24, 0
.LBB352_107:                            ;   Parent Loop BB352_104 Depth=1
                                        ; =>  This Inner Loop Header: Depth=2
	;;#ASMSTART
	global_load_dwordx4 v[5:8], v[41:42] off glc	
s_waitcnt vmcnt(0)
	;;#ASMEND
	v_and_b32_e32 v8, 0xff, v7
	s_delay_alu instid0(VALU_DEP_1) | instskip(SKIP_1) | instid1(SALU_CYCLE_1)
	v_cmp_ne_u16_e32 vcc_lo, 0, v8
	s_or_b32 s24, vcc_lo, s24
	s_and_not1_b32 exec_lo, exec_lo, s24
	s_cbranch_execnz .LBB352_107
; %bb.108:                              ;   in Loop: Header=BB352_104 Depth=1
	s_or_b32 exec_lo, exec_lo, s24
	s_branch .LBB352_103
.LBB352_109:                            ;   in Loop: Header=BB352_104 Depth=1
                                        ; implicit-def: $vgpr6
                                        ; implicit-def: $vgpr5
                                        ; implicit-def: $vgpr7
	s_cbranch_execz .LBB352_104
; %bb.110:
	s_and_saveexec_b32 s15, s14
	s_cbranch_execz .LBB352_112
; %bb.111:
	v_cmp_eq_u32_e32 vcc_lo, 0, v1
	s_mov_b32 s25, 0
	s_add_i32 s24, s33, 32
	v_add_nc_u32_e32 v5, v3, v1
	s_lshl_b64 s[24:25], s[24:25], 4
	v_cndmask_b32_e32 v2, 0, v4, vcc_lo
	s_add_u32 s24, s20, s24
	s_addc_u32 s25, s21, s25
	v_mov_b32_e32 v8, 0
	s_delay_alu instid0(VALU_DEP_2) | instskip(NEXT) | instid1(VALU_DEP_1)
	v_add_nc_u32_e32 v2, s23, v2
	v_and_b32_e32 v6, 0xff000000, v2
	v_and_b32_e32 v7, 0xff0000, v2
	s_delay_alu instid0(VALU_DEP_1) | instskip(SKIP_3) | instid1(VALU_DEP_1)
	v_or_b32_e32 v6, v7, v6
	v_mov_b32_e32 v7, 2
	v_and_b32_e32 v39, 0xff00, v2
	v_and_b32_e32 v2, 0xff, v2
	v_or3_b32 v6, v6, v39, v2
	v_mov_b32_e32 v2, s23
	v_dual_mov_b32 v40, s25 :: v_dual_mov_b32 v39, s24
	;;#ASMSTART
	global_store_dwordx4 v[39:40], v[5:8] off	
s_waitcnt vmcnt(0)
	;;#ASMEND
	ds_store_b128 v8, v[1:4] offset:2048
.LBB352_112:
	s_or_b32 exec_lo, exec_lo, s15
	s_delay_alu instid0(SALU_CYCLE_1)
	s_and_b32 exec_lo, exec_lo, s2
	s_cbranch_execz .LBB352_114
; %bb.113:
	v_mov_b32_e32 v1, 0
	ds_store_b64 v1, v[3:4] offset:2120
.LBB352_114:
	s_or_b32 exec_lo, exec_lo, s22
	s_waitcnt lgkmcnt(1)
	v_cndmask_b32_e64 v4, v43, v37, s14
	s_waitcnt lgkmcnt(0)
	s_barrier
	buffer_gl0_inv
	v_cndmask_b32_e64 v5, v44, v38, s14
	v_cmp_eq_u32_e32 vcc_lo, 0, v4
	v_mov_b32_e32 v3, 0
	ds_load_b64 v[1:2], v3 offset:2120
	s_waitcnt lgkmcnt(0)
	s_barrier
	buffer_gl0_inv
	v_cndmask_b32_e32 v6, 0, v2, vcc_lo
	v_cmp_eq_u32_e32 vcc_lo, 0, v78
	s_delay_alu instid0(VALU_DEP_2) | instskip(NEXT) | instid1(VALU_DEP_1)
	v_add_nc_u32_e32 v5, v6, v5
	v_cndmask_b32_e64 v54, v5, v2, s2
	s_delay_alu instid0(VALU_DEP_1) | instskip(NEXT) | instid1(VALU_DEP_1)
	v_cndmask_b32_e32 v2, 0, v54, vcc_lo
	v_add_nc_u32_e32 v60, v2, v35
	s_delay_alu instid0(VALU_DEP_1) | instskip(NEXT) | instid1(VALU_DEP_1)
	v_cndmask_b32_e64 v2, 0, v60, s13
	v_add_nc_u32_e32 v56, v2, v36
	s_delay_alu instid0(VALU_DEP_1) | instskip(NEXT) | instid1(VALU_DEP_1)
	v_cndmask_b32_e64 v2, 0, v56, s12
	;; [unrolled: 3-line block ×5, first 2 shown]
	v_add_nc_u32_e32 v40, v2, v32
	v_cndmask_b32_e64 v2, v4, 0, s2
	s_delay_alu instid0(VALU_DEP_2) | instskip(NEXT) | instid1(VALU_DEP_2)
	v_cndmask_b32_e64 v4, 0, v40, s8
	v_add_nc_u32_e32 v53, v1, v2
	s_delay_alu instid0(VALU_DEP_2) | instskip(NEXT) | instid1(VALU_DEP_1)
	v_add_nc_u32_e32 v44, v4, v29
	v_cndmask_b32_e64 v1, 0, v44, s7
	s_delay_alu instid0(VALU_DEP_1) | instskip(NEXT) | instid1(VALU_DEP_1)
	v_add_nc_u32_e32 v48, v1, v30
	v_cndmask_b32_e64 v1, 0, v48, s6
	s_delay_alu instid0(VALU_DEP_1) | instskip(NEXT) | instid1(VALU_DEP_1)
	v_add_nc_u32_e32 v6, v1, v27
	v_cndmask_b32_e64 v1, 0, v6, s5
	s_delay_alu instid0(VALU_DEP_1) | instskip(NEXT) | instid1(VALU_DEP_1)
	v_add_nc_u32_e32 v8, v1, v28
	v_cndmask_b32_e64 v1, 0, v8, s4
	s_delay_alu instid0(VALU_DEP_1) | instskip(SKIP_2) | instid1(VALU_DEP_1)
	v_add_nc_u32_e32 v38, v1, v25
	ds_load_b128 v[1:4], v3 offset:2048
	v_cndmask_b32_e64 v37, 0, v38, s3
	v_add_nc_u32_e32 v62, v37, v26
	s_delay_alu instid0(VALU_DEP_1) | instskip(NEXT) | instid1(VALU_DEP_1)
	v_cndmask_b32_e64 v49, 0, v62, s1
	v_add_nc_u32_e32 v58, v49, v23
	s_waitcnt lgkmcnt(0)
	v_cmp_eq_u32_e32 vcc_lo, 0, v1
	s_delay_alu instid0(VALU_DEP_2) | instskip(SKIP_1) | instid1(VALU_DEP_2)
	v_cndmask_b32_e64 v50, 0, v58, s0
	v_dual_cndmask_b32 v4, 0, v4 :: v_dual_add_nc_u32 v59, v53, v78
	v_add_nc_u32_e32 v50, v50, v24
	s_delay_alu instid0(VALU_DEP_2) | instskip(NEXT) | instid1(VALU_DEP_3)
	v_add_nc_u32_e32 v79, v4, v2
	v_add_nc_u32_e32 v55, v59, v77
	s_delay_alu instid0(VALU_DEP_1) | instskip(NEXT) | instid1(VALU_DEP_1)
	v_add_nc_u32_e32 v51, v55, v76
	v_add_nc_u32_e32 v45, v51, v75
	s_delay_alu instid0(VALU_DEP_1) | instskip(NEXT) | instid1(VALU_DEP_1)
	;; [unrolled: 3-line block ×6, first 2 shown]
	v_add_nc_u32_e32 v57, v61, v65
	v_add_nc_u32_e32 v49, v57, v64
	s_branch .LBB352_127
.LBB352_115:
                                        ; implicit-def: $vgpr1
                                        ; implicit-def: $vgpr79
                                        ; implicit-def: $vgpr53_vgpr54
                                        ; implicit-def: $vgpr59_vgpr60
                                        ; implicit-def: $vgpr55_vgpr56
                                        ; implicit-def: $vgpr51_vgpr52
                                        ; implicit-def: $vgpr45_vgpr46
                                        ; implicit-def: $vgpr41_vgpr42
                                        ; implicit-def: $vgpr39_vgpr40
                                        ; implicit-def: $vgpr43_vgpr44
                                        ; implicit-def: $vgpr47_vgpr48
                                        ; implicit-def: $vgpr5_vgpr6
                                        ; implicit-def: $vgpr7_vgpr8
                                        ; implicit-def: $vgpr37_vgpr38
                                        ; implicit-def: $vgpr61_vgpr62
                                        ; implicit-def: $vgpr57_vgpr58
                                        ; implicit-def: $vgpr49_vgpr50
	s_cbranch_execz .LBB352_127
; %bb.116:
	s_and_b32 s0, s16, exec_lo
	v_mov_b32_e32 v49, v35
	s_cselect_b32 s1, 0, s35
	s_cselect_b32 s0, 0, s34
	s_delay_alu instid0(SALU_CYCLE_1)
	s_cmp_eq_u64 s[0:1], 0
	s_cbranch_scc1 .LBB352_118
; %bb.117:
	v_mov_b32_e32 v1, 0
	global_load_b32 v49, v1, s[0:1]
.LBB352_118:
	v_cmp_eq_u32_e64 s7, 0, v77
	v_cmp_eq_u32_e64 s8, 0, v76
	;; [unrolled: 1-line block ×5, first 2 shown]
	v_cndmask_b32_e64 v1, 0, v35, s7
	v_cmp_eq_u32_e64 s12, 0, v72
	v_cmp_eq_u32_e64 s6, 0, v71
	;; [unrolled: 1-line block ×4, first 2 shown]
	v_add_nc_u32_e32 v1, v1, v36
	v_cmp_eq_u32_e64 s3, 0, v67
	v_add3_u32 v2, v84, v73, v72
	v_cmp_eq_u32_e64 s1, 0, v66
	v_cmp_eq_u32_e32 vcc_lo, 0, v65
	v_cndmask_b32_e64 v1, 0, v1, s8
	v_cmp_eq_u32_e64 s0, 0, v64
	v_add3_u32 v2, v2, v71, v70
	v_cmp_eq_u32_e64 s13, 0, v69
	v_and_b32_e32 v4, 15, v81
	v_add_nc_u32_e32 v1, v1, v33
	s_delay_alu instid0(VALU_DEP_4) | instskip(NEXT) | instid1(VALU_DEP_3)
	v_add3_u32 v2, v2, v68, v67
	v_cmp_lt_u32_e64 s14, 1, v4
	s_delay_alu instid0(VALU_DEP_3) | instskip(NEXT) | instid1(VALU_DEP_3)
	v_cndmask_b32_e64 v1, 0, v1, s9
	v_add3_u32 v2, v2, v66, v65
	s_delay_alu instid0(VALU_DEP_2) | instskip(NEXT) | instid1(VALU_DEP_2)
	v_add_nc_u32_e32 v1, v1, v34
	v_add3_u32 v2, v2, v64, v69
	s_delay_alu instid0(VALU_DEP_2) | instskip(NEXT) | instid1(VALU_DEP_2)
	v_cndmask_b32_e64 v1, 0, v1, s10
	v_mov_b32_dpp v5, v2 row_shr:1 row_mask:0xf bank_mask:0xf
	s_delay_alu instid0(VALU_DEP_2) | instskip(NEXT) | instid1(VALU_DEP_1)
	v_add_nc_u32_e32 v1, v1, v31
	v_cndmask_b32_e64 v1, 0, v1, s11
	s_delay_alu instid0(VALU_DEP_1) | instskip(NEXT) | instid1(VALU_DEP_1)
	v_add_nc_u32_e32 v1, v1, v32
	v_cndmask_b32_e64 v1, 0, v1, s12
	s_delay_alu instid0(VALU_DEP_1) | instskip(NEXT) | instid1(VALU_DEP_1)
	;; [unrolled: 3-line block ×7, first 2 shown]
	v_add_nc_u32_e32 v1, v1, v26
	v_cndmask_b32_e32 v1, 0, v1, vcc_lo
	s_delay_alu instid0(VALU_DEP_1) | instskip(NEXT) | instid1(VALU_DEP_1)
	v_add_nc_u32_e32 v1, v1, v23
	v_cndmask_b32_e64 v1, 0, v1, s0
	s_delay_alu instid0(VALU_DEP_1) | instskip(NEXT) | instid1(VALU_DEP_1)
	v_add_nc_u32_e32 v1, v1, v24
	v_cndmask_b32_e64 v1, 0, v1, s13
	v_cmp_eq_u32_e64 s13, 0, v2
	s_delay_alu instid0(VALU_DEP_2) | instskip(NEXT) | instid1(VALU_DEP_1)
	v_add_nc_u32_e32 v1, v1, v80
	v_mov_b32_dpp v3, v1 row_shr:1 row_mask:0xf bank_mask:0xf
	s_delay_alu instid0(VALU_DEP_1) | instskip(SKIP_1) | instid1(VALU_DEP_1)
	v_cndmask_b32_e64 v3, 0, v3, s13
	v_cmp_eq_u32_e64 s13, 0, v4
	v_cndmask_b32_e64 v5, v5, 0, s13
	s_delay_alu instid0(VALU_DEP_3) | instskip(NEXT) | instid1(VALU_DEP_2)
	v_cndmask_b32_e64 v3, v3, 0, s13
	v_add_nc_u32_e32 v2, v5, v2
	s_delay_alu instid0(VALU_DEP_2) | instskip(NEXT) | instid1(VALU_DEP_2)
	v_add_nc_u32_e32 v1, v3, v1
	v_mov_b32_dpp v3, v2 row_shr:2 row_mask:0xf bank_mask:0xf
	v_cmp_eq_u32_e64 s13, 0, v2
	s_delay_alu instid0(VALU_DEP_3) | instskip(NEXT) | instid1(VALU_DEP_3)
	v_mov_b32_dpp v5, v1 row_shr:2 row_mask:0xf bank_mask:0xf
	v_cndmask_b32_e64 v3, 0, v3, s14
	s_delay_alu instid0(VALU_DEP_3) | instskip(SKIP_1) | instid1(VALU_DEP_3)
	s_and_b32 s13, s14, s13
	v_cmp_lt_u32_e64 s14, 3, v4
	v_cndmask_b32_e64 v5, 0, v5, s13
	s_delay_alu instid0(VALU_DEP_3) | instskip(NEXT) | instid1(VALU_DEP_2)
	v_add_nc_u32_e32 v2, v2, v3
	v_add_nc_u32_e32 v1, v5, v1
	s_delay_alu instid0(VALU_DEP_2) | instskip(SKIP_1) | instid1(VALU_DEP_3)
	v_mov_b32_dpp v3, v2 row_shr:4 row_mask:0xf bank_mask:0xf
	v_cmp_eq_u32_e64 s13, 0, v2
	v_mov_b32_dpp v5, v1 row_shr:4 row_mask:0xf bank_mask:0xf
	s_delay_alu instid0(VALU_DEP_3) | instskip(NEXT) | instid1(VALU_DEP_3)
	v_cndmask_b32_e64 v3, 0, v3, s14
	s_and_b32 s13, s14, s13
	v_cmp_lt_u32_e64 s14, 7, v4
	s_delay_alu instid0(VALU_DEP_3) | instskip(NEXT) | instid1(VALU_DEP_3)
	v_cndmask_b32_e64 v5, 0, v5, s13
	v_add_nc_u32_e32 v2, v3, v2
	s_delay_alu instid0(VALU_DEP_2) | instskip(SKIP_1) | instid1(VALU_DEP_3)
	v_add_nc_u32_e32 v1, v1, v5
	v_bfe_i32 v5, v81, 4, 1
	v_cmp_eq_u32_e64 s13, 0, v2
	v_mov_b32_dpp v3, v2 row_shr:8 row_mask:0xf bank_mask:0xf
	s_delay_alu instid0(VALU_DEP_4) | instskip(NEXT) | instid1(VALU_DEP_3)
	v_mov_b32_dpp v4, v1 row_shr:8 row_mask:0xf bank_mask:0xf
	s_and_b32 s13, s14, s13
	s_delay_alu instid0(VALU_DEP_2) | instskip(SKIP_1) | instid1(VALU_DEP_2)
	v_cndmask_b32_e64 v3, 0, v3, s14
	s_mov_b32 s14, exec_lo
	v_cndmask_b32_e64 v4, 0, v4, s13
	s_delay_alu instid0(VALU_DEP_1) | instskip(NEXT) | instid1(VALU_DEP_3)
	v_add_nc_u32_e32 v4, v4, v1
	v_add_nc_u32_e32 v1, v3, v2
	ds_swizzle_b32 v2, v4 offset:swizzle(BROADCAST,32,15)
	ds_swizzle_b32 v3, v1 offset:swizzle(BROADCAST,32,15)
	v_cmp_eq_u32_e64 s13, 0, v1
	s_waitcnt lgkmcnt(1)
	s_delay_alu instid0(VALU_DEP_1) | instskip(SKIP_2) | instid1(VALU_DEP_2)
	v_cndmask_b32_e64 v2, 0, v2, s13
	s_waitcnt lgkmcnt(0)
	v_and_b32_e32 v3, v5, v3
	v_and_b32_e32 v2, v5, v2
	s_delay_alu instid0(VALU_DEP_2) | instskip(NEXT) | instid1(VALU_DEP_2)
	v_add_nc_u32_e32 v1, v3, v1
	v_add_nc_u32_e32 v2, v2, v4
	v_lshlrev_b32_e32 v4, 3, v82
	v_cmpx_eq_u32_e64 v83, v0
	s_cbranch_execz .LBB352_120
; %bb.119:
	ds_store_b64 v4, v[1:2] offset:2064
.LBB352_120:
	s_or_b32 exec_lo, exec_lo, s14
	s_delay_alu instid0(SALU_CYCLE_1)
	s_mov_b32 s15, exec_lo
	s_waitcnt vmcnt(0) lgkmcnt(0)
	s_barrier
	buffer_gl0_inv
	v_cmpx_gt_u32_e32 8, v0
	s_cbranch_execz .LBB352_122
; %bb.121:
	v_lshlrev_b32_e32 v3, 3, v0
	v_and_b32_e32 v8, 7, v81
	ds_load_b64 v[5:6], v3 offset:2064
	v_cmp_lt_u32_e64 s14, 1, v8
	s_waitcnt lgkmcnt(0)
	v_mov_b32_dpp v7, v6 row_shr:1 row_mask:0xf bank_mask:0xf
	v_cmp_eq_u32_e64 s13, 0, v5
	v_mov_b32_dpp v37, v5 row_shr:1 row_mask:0xf bank_mask:0xf
	s_delay_alu instid0(VALU_DEP_2) | instskip(SKIP_1) | instid1(VALU_DEP_1)
	v_cndmask_b32_e64 v7, 0, v7, s13
	v_cmp_eq_u32_e64 s13, 0, v8
	v_cndmask_b32_e64 v37, v37, 0, s13
	s_delay_alu instid0(VALU_DEP_3) | instskip(NEXT) | instid1(VALU_DEP_2)
	v_cndmask_b32_e64 v7, v7, 0, s13
	v_add_nc_u32_e32 v5, v37, v5
	s_delay_alu instid0(VALU_DEP_2) | instskip(NEXT) | instid1(VALU_DEP_2)
	v_add_nc_u32_e32 v6, v7, v6
	v_mov_b32_dpp v7, v5 row_shr:2 row_mask:0xf bank_mask:0xf
	v_cmp_eq_u32_e64 s13, 0, v5
	s_delay_alu instid0(VALU_DEP_3) | instskip(NEXT) | instid1(VALU_DEP_3)
	v_mov_b32_dpp v37, v6 row_shr:2 row_mask:0xf bank_mask:0xf
	v_cndmask_b32_e64 v7, 0, v7, s14
	s_delay_alu instid0(VALU_DEP_3) | instskip(SKIP_1) | instid1(VALU_DEP_3)
	s_and_b32 s13, s14, s13
	v_cmp_lt_u32_e64 s14, 3, v8
	v_cndmask_b32_e64 v37, 0, v37, s13
	s_delay_alu instid0(VALU_DEP_3) | instskip(NEXT) | instid1(VALU_DEP_2)
	v_add_nc_u32_e32 v5, v7, v5
	v_add_nc_u32_e32 v6, v37, v6
	s_delay_alu instid0(VALU_DEP_2) | instskip(SKIP_1) | instid1(VALU_DEP_3)
	v_cmp_eq_u32_e64 s13, 0, v5
	v_mov_b32_dpp v7, v5 row_shr:4 row_mask:0xf bank_mask:0xf
	v_mov_b32_dpp v8, v6 row_shr:4 row_mask:0xf bank_mask:0xf
	s_delay_alu instid0(VALU_DEP_3) | instskip(NEXT) | instid1(VALU_DEP_2)
	s_and_b32 s13, s14, s13
	v_cndmask_b32_e64 v7, 0, v7, s14
	s_delay_alu instid0(VALU_DEP_2) | instskip(NEXT) | instid1(VALU_DEP_2)
	v_cndmask_b32_e64 v8, 0, v8, s13
	v_add_nc_u32_e32 v5, v7, v5
	s_delay_alu instid0(VALU_DEP_2)
	v_add_nc_u32_e32 v6, v8, v6
	ds_store_b64 v3, v[5:6] offset:2064
.LBB352_122:
	s_or_b32 exec_lo, exec_lo, s15
	v_mov_b32_e32 v7, 0
	v_mov_b32_e32 v3, 0
	;; [unrolled: 1-line block ×3, first 2 shown]
	s_mov_b32 s14, exec_lo
	s_waitcnt lgkmcnt(0)
	s_barrier
	buffer_gl0_inv
	v_cmpx_lt_u32_e32 31, v0
	s_cbranch_execz .LBB352_124
; %bb.123:
	ds_load_b64 v[3:4], v4 offset:2056
	s_waitcnt lgkmcnt(0)
	v_cmp_eq_u32_e64 s13, 0, v3
	s_delay_alu instid0(VALU_DEP_1) | instskip(NEXT) | instid1(VALU_DEP_1)
	v_cndmask_b32_e64 v5, 0, v49, s13
	v_add_nc_u32_e32 v5, v5, v4
.LBB352_124:
	s_or_b32 exec_lo, exec_lo, s14
	v_add_nc_u32_e32 v4, -1, v81
	s_delay_alu instid0(VALU_DEP_1) | instskip(NEXT) | instid1(VALU_DEP_1)
	v_cmp_gt_i32_e64 s13, 0, v4
	v_cndmask_b32_e64 v4, v4, v81, s13
	v_cmp_eq_u32_e64 s13, 0, v1
	v_add_nc_u32_e32 v1, v3, v1
	s_delay_alu instid0(VALU_DEP_3) | instskip(NEXT) | instid1(VALU_DEP_3)
	v_lshlrev_b32_e32 v4, 2, v4
	v_cndmask_b32_e64 v6, 0, v5, s13
	v_cmp_eq_u32_e64 s13, 0, v81
	ds_bpermute_b32 v1, v4, v1
	v_add_nc_u32_e32 v2, v6, v2
	ds_bpermute_b32 v2, v4, v2
	s_waitcnt lgkmcnt(1)
	v_cndmask_b32_e64 v1, v1, v3, s13
	s_delay_alu instid0(VALU_DEP_1) | instskip(SKIP_3) | instid1(VALU_DEP_2)
	v_cndmask_b32_e64 v53, v1, 0, s2
	s_waitcnt lgkmcnt(0)
	v_cndmask_b32_e64 v2, v2, v5, s13
	v_cmp_eq_u32_e64 s13, 0, v78
	v_cndmask_b32_e64 v54, v2, v49, s2
	s_delay_alu instid0(VALU_DEP_1) | instskip(NEXT) | instid1(VALU_DEP_1)
	v_cndmask_b32_e64 v2, 0, v54, s13
	v_add_nc_u32_e32 v60, v2, v35
	s_delay_alu instid0(VALU_DEP_1) | instskip(NEXT) | instid1(VALU_DEP_1)
	v_cndmask_b32_e64 v2, 0, v60, s7
	v_add_nc_u32_e32 v56, v2, v36
	;; [unrolled: 3-line block ×11, first 2 shown]
	ds_load_b64 v[1:2], v7 offset:2120
	v_cndmask_b32_e64 v3, 0, v38, s1
	s_delay_alu instid0(VALU_DEP_1) | instskip(NEXT) | instid1(VALU_DEP_1)
	v_add_nc_u32_e32 v62, v3, v26
	v_cndmask_b32_e32 v3, 0, v62, vcc_lo
	s_delay_alu instid0(VALU_DEP_1) | instskip(SKIP_3) | instid1(VALU_DEP_3)
	v_add_nc_u32_e32 v58, v3, v23
	s_waitcnt lgkmcnt(0)
	v_cmp_eq_u32_e32 vcc_lo, 0, v1
	v_add_nc_u32_e32 v59, v53, v78
	v_cndmask_b32_e64 v3, 0, v58, s0
	v_cndmask_b32_e32 v4, 0, v49, vcc_lo
	s_delay_alu instid0(VALU_DEP_3) | instskip(NEXT) | instid1(VALU_DEP_3)
	v_add_nc_u32_e32 v55, v59, v77
	v_add_nc_u32_e32 v50, v3, v24
	s_delay_alu instid0(VALU_DEP_3) | instskip(NEXT) | instid1(VALU_DEP_3)
	v_add_nc_u32_e32 v79, v4, v2
	v_add_nc_u32_e32 v51, v55, v76
	s_delay_alu instid0(VALU_DEP_1) | instskip(NEXT) | instid1(VALU_DEP_1)
	v_add_nc_u32_e32 v45, v51, v75
	v_add_nc_u32_e32 v41, v45, v74
	s_delay_alu instid0(VALU_DEP_1) | instskip(NEXT) | instid1(VALU_DEP_1)
	;; [unrolled: 3-line block ×5, first 2 shown]
	v_add_nc_u32_e32 v61, v37, v66
	v_add_nc_u32_e32 v57, v61, v65
	s_delay_alu instid0(VALU_DEP_1)
	v_add_nc_u32_e32 v49, v57, v64
	s_and_saveexec_b32 s0, s2
	s_cbranch_execz .LBB352_126
; %bb.125:
	v_and_b32_e32 v2, 0xff000000, v79
	v_dual_mov_b32 v4, 0 :: v_dual_and_b32 v3, 0xff0000, v79
	s_add_u32 s4, s20, 0x200
	v_and_b32_e32 v23, 0xff00, v79
	s_addc_u32 s5, s21, 0
	v_and_b32_e32 v24, 0xff, v79
	v_or_b32_e32 v2, v3, v2
	v_mov_b32_e32 v3, 2
	s_delay_alu instid0(VALU_DEP_2)
	v_or3_b32 v2, v2, v23, v24
	v_dual_mov_b32 v24, s5 :: v_dual_mov_b32 v23, s4
	;;#ASMSTART
	global_store_dwordx4 v[23:24], v[1:4] off	
s_waitcnt vmcnt(0)
	;;#ASMEND
.LBB352_126:
	s_or_b32 exec_lo, exec_lo, s0
	v_mov_b32_e32 v3, 0
.LBB352_127:
	v_mov_b32_e32 v23, 0
	s_and_b32 s0, s16, exec_lo
	v_mov_b32_e32 v24, 0
	s_cselect_b32 s1, 0, s39
	s_cselect_b32 s0, 0, s38
	s_delay_alu instid0(SALU_CYCLE_1)
	s_cmp_eq_u64 s[0:1], 0
	s_barrier
	buffer_gl0_inv
	s_cbranch_scc1 .LBB352_129
; %bb.128:
	v_mov_b32_e32 v2, 0
	global_load_b64 v[23:24], v2, s[0:1]
.LBB352_129:
	v_cmp_eq_u32_e32 vcc_lo, 0, v78
	v_cmp_ne_u32_e64 s15, 0, v78
	v_cmp_ne_u32_e64 s14, 0, v77
	;; [unrolled: 1-line block ×4, first 2 shown]
	v_cndmask_b32_e64 v2, 1, 2, vcc_lo
	v_cmp_eq_u32_e32 vcc_lo, 0, v77
	v_cmp_ne_u32_e64 s11, 0, v74
	v_cmp_ne_u32_e64 s10, 0, v73
	;; [unrolled: 1-line block ×4, first 2 shown]
	v_cndmask_b32_e64 v4, 1, 2, vcc_lo
	v_cmp_eq_u32_e32 vcc_lo, 0, v76
	v_cmp_ne_u32_e64 s9, 0, v70
	v_cmp_ne_u32_e64 s7, 0, v68
	;; [unrolled: 1-line block ×3, first 2 shown]
	v_and_b32_e32 v2, v4, v2
	v_cndmask_b32_e64 v25, 1, 2, vcc_lo
	v_cmp_eq_u32_e32 vcc_lo, 0, v75
	v_cmp_ne_u32_e64 s4, 0, v66
	v_cmp_ne_u32_e64 s3, 0, v65
	;; [unrolled: 1-line block ×3, first 2 shown]
	v_and_b32_e32 v2, v2, v25
	v_cndmask_b32_e64 v4, 1, 2, vcc_lo
	v_cmp_eq_u32_e32 vcc_lo, 0, v74
	v_cmp_ne_u32_e64 s0, 0, v69
	s_delay_alu instid0(VALU_DEP_3) | instskip(SKIP_2) | instid1(VALU_DEP_2)
	v_and_b32_e32 v2, v2, v4
	v_cndmask_b32_e64 v25, 1, 2, vcc_lo
	v_cmp_eq_u32_e32 vcc_lo, 0, v73
	v_and_b32_e32 v2, v2, v25
	v_cndmask_b32_e64 v4, 1, 2, vcc_lo
	v_cmp_eq_u32_e32 vcc_lo, 0, v72
	s_waitcnt vmcnt(0)
	v_lshlrev_b64 v[25:26], 2, v[23:24]
	s_delay_alu instid0(VALU_DEP_3) | instskip(SKIP_2) | instid1(VALU_DEP_2)
	v_and_b32_e32 v2, v2, v4
	v_cndmask_b32_e64 v27, 1, 2, vcc_lo
	v_cmp_eq_u32_e32 vcc_lo, 0, v71
	v_and_b32_e32 v2, v2, v27
	v_cndmask_b32_e64 v28, 1, 2, vcc_lo
	v_cmp_eq_u32_e32 vcc_lo, 0, v70
	s_delay_alu instid0(VALU_DEP_2) | instskip(SKIP_2) | instid1(VALU_DEP_2)
	v_and_b32_e32 v2, v2, v28
	v_cndmask_b32_e64 v27, 1, 2, vcc_lo
	v_cmp_eq_u32_e32 vcc_lo, 0, v68
	v_and_b32_e32 v2, v2, v27
	v_cndmask_b32_e64 v28, 1, 2, vcc_lo
	v_cmp_eq_u32_e32 vcc_lo, 0, v67
	s_delay_alu instid0(VALU_DEP_2) | instskip(SKIP_2) | instid1(VALU_DEP_2)
	;; [unrolled: 7-line block ×3, first 2 shown]
	v_and_b32_e32 v2, v2, v29
	v_cndmask_b32_e64 v30, 1, 2, vcc_lo
	v_cmp_eq_u32_e32 vcc_lo, 0, v64
	v_and_b32_e32 v30, v2, v30
	v_cndmask_b32_e64 v31, 1, 2, vcc_lo
	v_mov_b32_e32 v4, 0
	s_delay_alu instid0(VALU_DEP_1) | instskip(SKIP_3) | instid1(VALU_DEP_2)
	v_lshlrev_b64 v[27:28], 2, v[3:4]
	v_add_co_u32 v4, vcc_lo, s18, v25
	v_add_co_ci_u32_e32 v29, vcc_lo, s19, v26, vcc_lo
	s_mov_b32 s18, -1
	v_add_co_u32 v2, vcc_lo, v4, v27
	s_delay_alu instid0(VALU_DEP_2) | instskip(SKIP_4) | instid1(VALU_DEP_2)
	v_add_co_ci_u32_e32 v4, vcc_lo, v29, v28, vcc_lo
	v_and_b32_e32 v29, v30, v31
	v_cmp_eq_u32_e32 vcc_lo, 0, v69
	v_cndmask_b32_e64 v30, 1, 2, vcc_lo
	v_cmp_gt_u32_e32 vcc_lo, 0x100, v1
	v_and_b32_e32 v29, v29, v30
	s_delay_alu instid0(VALU_DEP_1)
	v_cmp_gt_i16_e64 s16, 2, v29
	s_cbranch_vccz .LBB352_136
; %bb.130:
	s_delay_alu instid0(VALU_DEP_1)
	s_and_saveexec_b32 s18, s16
	s_cbranch_execz .LBB352_135
; %bb.131:
	s_mov_b32 s19, 0
	s_mov_b32 s16, exec_lo
	v_cmpx_ne_u16_e32 1, v29
	s_xor_b32 s16, exec_lo, s16
	s_cbranch_execnz .LBB352_168
; %bb.132:
	s_and_not1_saveexec_b32 s16, s16
	s_cbranch_execnz .LBB352_184
.LBB352_133:
	s_or_b32 exec_lo, exec_lo, s16
	s_delay_alu instid0(SALU_CYCLE_1)
	s_and_b32 exec_lo, exec_lo, s19
	s_cbranch_execz .LBB352_135
.LBB352_134:
	v_sub_nc_u32_e32 v30, v49, v3
	v_mov_b32_e32 v31, 0
	s_delay_alu instid0(VALU_DEP_1) | instskip(NEXT) | instid1(VALU_DEP_1)
	v_lshlrev_b64 v[30:31], 2, v[30:31]
	v_add_co_u32 v30, vcc_lo, v2, v30
	s_delay_alu instid0(VALU_DEP_2)
	v_add_co_ci_u32_e32 v31, vcc_lo, v4, v31, vcc_lo
	global_store_b32 v[30:31], v63, off
.LBB352_135:
	s_or_b32 exec_lo, exec_lo, s18
	s_mov_b32 s18, 0
.LBB352_136:
	s_delay_alu instid0(SALU_CYCLE_1)
	s_and_b32 vcc_lo, exec_lo, s18
	s_cbranch_vccz .LBB352_146
; %bb.137:
	s_mov_b32 s16, exec_lo
	v_cmpx_gt_i16_e32 2, v29
	s_cbranch_execz .LBB352_142
; %bb.138:
	s_mov_b32 s19, 0
	s_mov_b32 s18, exec_lo
	v_cmpx_ne_u16_e32 1, v29
	s_xor_b32 s18, exec_lo, s18
	s_cbranch_execnz .LBB352_185
; %bb.139:
	s_and_not1_saveexec_b32 s0, s18
	s_cbranch_execnz .LBB352_201
.LBB352_140:
	s_or_b32 exec_lo, exec_lo, s0
	s_delay_alu instid0(SALU_CYCLE_1)
	s_and_b32 exec_lo, exec_lo, s19
	s_cbranch_execz .LBB352_142
.LBB352_141:
	v_sub_nc_u32_e32 v9, v49, v3
	s_delay_alu instid0(VALU_DEP_1)
	v_lshlrev_b32_e32 v9, 2, v9
	ds_store_b32 v9, v63
.LBB352_142:
	s_or_b32 exec_lo, exec_lo, s16
	s_delay_alu instid0(SALU_CYCLE_1)
	s_mov_b32 s1, exec_lo
	s_waitcnt lgkmcnt(0)
	s_waitcnt_vscnt null, 0x0
	s_barrier
	buffer_gl0_inv
	v_cmpx_lt_u32_e64 v0, v1
	s_cbranch_execz .LBB352_145
; %bb.143:
	v_dual_mov_b32 v10, 0 :: v_dual_lshlrev_b32 v11, 2, v0
	v_mov_b32_e32 v9, v0
	s_mov_b32 s3, 0
	.p2align	6
.LBB352_144:                            ; =>This Inner Loop Header: Depth=1
	ds_load_b32 v14, v11
	v_lshlrev_b64 v[12:13], 2, v[9:10]
	v_add_nc_u32_e32 v9, 0x100, v9
	v_add_nc_u32_e32 v11, 0x400, v11
	s_delay_alu instid0(VALU_DEP_2) | instskip(NEXT) | instid1(VALU_DEP_4)
	v_cmp_ge_u32_e32 vcc_lo, v9, v1
	v_add_co_u32 v12, s0, v2, v12
	s_delay_alu instid0(VALU_DEP_1)
	v_add_co_ci_u32_e64 v13, s0, v4, v13, s0
	s_or_b32 s3, vcc_lo, s3
	s_waitcnt lgkmcnt(0)
	global_store_b32 v[12:13], v14, off
	s_and_not1_b32 exec_lo, exec_lo, s3
	s_cbranch_execnz .LBB352_144
.LBB352_145:
	s_or_b32 exec_lo, exec_lo, s1
.LBB352_146:
	s_cmpk_lg_i32 s26, 0xf00
	v_cndmask_b32_e64 v4, 0, 1, s27
	s_cselect_b32 s0, -1, 0
	v_mad_i32_i24 v10, v0, -15, s26
	s_and_b32 s0, s0, s17
	s_and_b32 s1, s2, s27
	v_cndmask_b32_e64 v9, 0, 1, s0
	s_mul_hi_u32 s0, s26, 0x88888889
	v_sub_nc_u32_e32 v2, v1, v4
	s_lshr_b32 s0, s0, 3
	v_cndmask_b32_e64 v11, v78, 0, s1
	v_cmp_eq_u32_e32 vcc_lo, s0, v0
	v_cmp_ne_u32_e64 s0, 0, v10
	s_mov_b32 s16, -1
	s_waitcnt_vscnt null, 0x0
	s_barrier
	s_and_b32 vcc_lo, vcc_lo, s17
	v_add_nc_u32_e32 v2, v2, v9
	v_cndmask_b32_e64 v9, 1, v11, s0
	v_cmp_ne_u32_e64 s0, 1, v10
	buffer_gl0_inv
	v_cndmask_b32_e64 v12, 1, v77, s0
	v_cmp_ne_u32_e64 s0, 14, v10
	s_delay_alu instid0(VALU_DEP_2) | instskip(NEXT) | instid1(VALU_DEP_2)
	v_cndmask_b32_e32 v17, v77, v12, vcc_lo
	v_cndmask_b32_e64 v13, 1, v69, s0
	v_cmp_ne_u32_e64 s0, 2, v10
	s_delay_alu instid0(VALU_DEP_3) | instskip(NEXT) | instid1(VALU_DEP_2)
	v_cmp_ne_u32_e64 s13, 0, v17
	v_cndmask_b32_e64 v14, 1, v76, s0
	v_cmp_ne_u32_e64 s0, 3, v10
	s_delay_alu instid0(VALU_DEP_2) | instskip(NEXT) | instid1(VALU_DEP_2)
	v_cndmask_b32_e32 v14, v76, v14, vcc_lo
	v_cndmask_b32_e64 v15, 1, v75, s0
	v_cmp_ne_u32_e64 s0, 4, v10
	v_cndmask_b32_e32 v16, v69, v13, vcc_lo
	v_cndmask_b32_e32 v13, v11, v9, vcc_lo
	v_cmp_ne_u32_e64 s12, 0, v14
	v_cndmask_b32_e32 v15, v75, v15, vcc_lo
	v_cndmask_b32_e64 v9, 1, v74, s0
	v_cmp_ne_u32_e64 s0, 5, v10
	v_cmp_ne_u32_e64 s14, 0, v13
	s_delay_alu instid0(VALU_DEP_4) | instskip(NEXT) | instid1(VALU_DEP_3)
	v_cmp_ne_u32_e64 s11, 0, v15
	v_cndmask_b32_e64 v11, 1, v73, s0
	v_cmp_eq_u32_e64 s0, 0, v13
	s_delay_alu instid0(VALU_DEP_2) | instskip(NEXT) | instid1(VALU_DEP_2)
	v_cndmask_b32_e32 v29, v73, v11, vcc_lo
	v_cndmask_b32_e64 v12, 1, 2, s0
	v_cmp_eq_u32_e64 s0, 0, v17
	s_delay_alu instid0(VALU_DEP_3) | instskip(NEXT) | instid1(VALU_DEP_2)
	v_cmp_ne_u32_e64 s9, 0, v29
	v_cndmask_b32_e64 v18, 1, 2, s0
	v_cmp_ne_u32_e64 s0, 6, v10
	s_delay_alu instid0(VALU_DEP_2) | instskip(NEXT) | instid1(VALU_DEP_2)
	v_and_b32_e32 v12, v18, v12
	v_cndmask_b32_e64 v19, 1, v72, s0
	v_cmp_eq_u32_e64 s0, 0, v14
	s_delay_alu instid0(VALU_DEP_1) | instskip(SKIP_1) | instid1(VALU_DEP_1)
	v_cndmask_b32_e64 v18, 1, 2, s0
	v_cmp_ne_u32_e64 s0, 7, v10
	v_cndmask_b32_e64 v20, 1, v71, s0
	v_cmp_ne_u32_e64 s0, 8, v10
	s_delay_alu instid0(VALU_DEP_2) | instskip(NEXT) | instid1(VALU_DEP_2)
	v_dual_cndmask_b32 v19, v72, v19 :: v_dual_cndmask_b32 v20, v71, v20
	v_cndmask_b32_e64 v21, 1, v70, s0
	v_cmp_eq_u32_e64 s0, 0, v15
	v_and_b32_e32 v12, v12, v18
	s_delay_alu instid0(VALU_DEP_4)
	v_cmp_ne_u32_e64 s8, 0, v19
	v_cmp_ne_u32_e64 s7, 0, v20
	v_cndmask_b32_e32 v21, v70, v21, vcc_lo
	v_cndmask_b32_e64 v18, 1, 2, s0
	v_cndmask_b32_e32 v22, v74, v9, vcc_lo
	v_cmp_ne_u32_e64 s0, 9, v10
	s_delay_alu instid0(VALU_DEP_4) | instskip(NEXT) | instid1(VALU_DEP_4)
	v_cmp_ne_u32_e64 s6, 0, v21
	v_and_b32_e32 v11, v12, v18
	s_delay_alu instid0(VALU_DEP_4) | instskip(NEXT) | instid1(VALU_DEP_4)
	v_cmp_ne_u32_e64 s10, 0, v22
	v_cndmask_b32_e64 v9, 1, v68, s0
	v_cmp_eq_u32_e64 s0, 0, v22
	s_delay_alu instid0(VALU_DEP_2) | instskip(NEXT) | instid1(VALU_DEP_2)
	v_cndmask_b32_e32 v33, v68, v9, vcc_lo
	v_cndmask_b32_e64 v12, 1, 2, s0
	v_cmp_ne_u32_e64 s0, 10, v10
	s_delay_alu instid0(VALU_DEP_1) | instskip(SKIP_1) | instid1(VALU_DEP_2)
	v_cndmask_b32_e64 v18, 1, v67, s0
	v_cmp_ne_u32_e64 s0, 12, v10
	v_cndmask_b32_e32 v18, v67, v18, vcc_lo
	s_delay_alu instid0(VALU_DEP_2) | instskip(SKIP_2) | instid1(VALU_DEP_4)
	v_cndmask_b32_e64 v30, 1, v65, s0
	v_cmp_eq_u32_e64 s0, 0, v29
	v_and_b32_e32 v11, v11, v12
	v_cmp_ne_u32_e64 s4, 0, v18
	s_delay_alu instid0(VALU_DEP_4) | instskip(NEXT) | instid1(VALU_DEP_4)
	v_cndmask_b32_e32 v30, v65, v30, vcc_lo
	v_cndmask_b32_e64 v12, 1, 2, s0
	v_cmp_ne_u32_e64 s0, 13, v10
	s_delay_alu instid0(VALU_DEP_3) | instskip(NEXT) | instid1(VALU_DEP_3)
	v_cmp_ne_u32_e64 s2, 0, v30
	v_and_b32_e32 v11, v11, v12
	s_delay_alu instid0(VALU_DEP_3) | instskip(SKIP_1) | instid1(VALU_DEP_2)
	v_cndmask_b32_e64 v31, 1, v64, s0
	v_cmp_eq_u32_e64 s0, 0, v19
	v_cndmask_b32_e32 v31, v64, v31, vcc_lo
	s_delay_alu instid0(VALU_DEP_2) | instskip(SKIP_1) | instid1(VALU_DEP_3)
	v_cndmask_b32_e64 v12, 1, 2, s0
	v_cmp_ne_u32_e64 s0, 11, v10
	v_cmp_ne_u32_e64 s1, 0, v31
	s_delay_alu instid0(VALU_DEP_2) | instskip(SKIP_1) | instid1(VALU_DEP_2)
	v_cndmask_b32_e64 v10, 1, v66, s0
	v_cmp_eq_u32_e64 s0, 0, v20
	v_dual_cndmask_b32 v32, v66, v10 :: v_dual_and_b32 v11, v11, v12
	s_delay_alu instid0(VALU_DEP_2) | instskip(SKIP_2) | instid1(VALU_DEP_4)
	v_cndmask_b32_e64 v12, 1, 2, s0
	v_cmp_eq_u32_e32 vcc_lo, 0, v21
	v_cmp_ne_u32_e64 s0, 0, v16
	v_cmp_ne_u32_e64 s3, 0, v32
	s_delay_alu instid0(VALU_DEP_4) | instskip(SKIP_4) | instid1(VALU_DEP_4)
	v_and_b32_e32 v9, v11, v12
	v_cndmask_b32_e64 v10, 1, 2, vcc_lo
	v_add_co_u32 v11, vcc_lo, s28, v25
	v_add_co_ci_u32_e32 v12, vcc_lo, s29, v26, vcc_lo
	v_cmp_eq_u32_e32 vcc_lo, 0, v33
	v_and_b32_e32 v25, v9, v10
	v_cndmask_b32_e64 v26, 1, 2, vcc_lo
	v_add_co_u32 v9, vcc_lo, v11, v27
	v_add_co_ci_u32_e32 v10, vcc_lo, v12, v28, vcc_lo
	v_lshlrev_b32_e32 v11, 2, v4
	v_cmp_eq_u32_e32 vcc_lo, 0, v18
	v_and_b32_e32 v12, v25, v26
	v_add_nc_u32_e32 v4, v3, v4
	v_cmp_ne_u32_e64 s5, 0, v33
	v_cndmask_b32_e64 v25, 1, 2, vcc_lo
	v_add_co_u32 v11, vcc_lo, v11, v9
	v_add_co_ci_u32_e32 v26, vcc_lo, 0, v10, vcc_lo
	v_cmp_eq_u32_e32 vcc_lo, 0, v32
	s_delay_alu instid0(VALU_DEP_4) | instskip(SKIP_4) | instid1(VALU_DEP_4)
	v_and_b32_e32 v25, v12, v25
	v_cndmask_b32_e64 v27, 1, 2, vcc_lo
	v_add_co_u32 v11, vcc_lo, v11, -4
	v_add_co_ci_u32_e32 v12, vcc_lo, -1, v26, vcc_lo
	v_cmp_eq_u32_e32 vcc_lo, 0, v30
	v_and_b32_e32 v25, v25, v27
	v_cndmask_b32_e64 v26, 1, 2, vcc_lo
	v_cmp_eq_u32_e32 vcc_lo, 0, v31
	s_delay_alu instid0(VALU_DEP_2) | instskip(SKIP_2) | instid1(VALU_DEP_2)
	v_and_b32_e32 v13, v25, v26
	v_cndmask_b32_e64 v14, 1, 2, vcc_lo
	v_cmp_eq_u32_e32 vcc_lo, 0, v16
	v_and_b32_e32 v13, v13, v14
	v_cndmask_b32_e64 v14, 1, 2, vcc_lo
	v_cmp_gt_u32_e32 vcc_lo, 0x100, v2
	s_delay_alu instid0(VALU_DEP_2) | instskip(NEXT) | instid1(VALU_DEP_1)
	v_and_b32_e32 v13, v13, v14
	v_cmp_gt_i16_e64 s15, 2, v13
	s_cbranch_vccnz .LBB352_150
; %bb.147:
	s_and_b32 vcc_lo, exec_lo, s16
	s_cbranch_vccnz .LBB352_156
.LBB352_148:
	v_cmp_eq_u32_e32 vcc_lo, 0xff, v0
	s_and_b32 s0, vcc_lo, s17
	s_delay_alu instid0(SALU_CYCLE_1)
	s_and_saveexec_b32 s1, s0
	s_cbranch_execnz .LBB352_165
.LBB352_149:
	s_nop 0
	s_sendmsg sendmsg(MSG_DEALLOC_VGPRS)
	s_endpgm
.LBB352_150:
	s_delay_alu instid0(VALU_DEP_1)
	s_and_saveexec_b32 s16, s15
	s_cbranch_execz .LBB352_155
; %bb.151:
	s_mov_b32 s18, 0
	s_mov_b32 s15, exec_lo
	v_cmpx_ne_u16_e32 1, v13
	s_xor_b32 s15, exec_lo, s15
	s_cbranch_execnz .LBB352_202
; %bb.152:
	s_and_not1_saveexec_b32 s15, s15
	s_cbranch_execnz .LBB352_218
.LBB352_153:
	s_or_b32 exec_lo, exec_lo, s15
	s_delay_alu instid0(SALU_CYCLE_1)
	s_and_b32 exec_lo, exec_lo, s18
	s_cbranch_execz .LBB352_155
.LBB352_154:
	v_sub_nc_u32_e32 v14, v49, v4
	v_mov_b32_e32 v15, 0
	s_delay_alu instid0(VALU_DEP_1) | instskip(NEXT) | instid1(VALU_DEP_1)
	v_lshlrev_b64 v[14:15], 2, v[14:15]
	v_add_co_u32 v14, vcc_lo, v11, v14
	s_delay_alu instid0(VALU_DEP_2)
	v_add_co_ci_u32_e32 v15, vcc_lo, v12, v15, vcc_lo
	global_store_b32 v[14:15], v50, off
.LBB352_155:
	s_or_b32 exec_lo, exec_lo, s16
	s_branch .LBB352_148
.LBB352_156:
	s_mov_b32 s15, exec_lo
	v_cmpx_gt_i16_e32 2, v13
	s_cbranch_execz .LBB352_161
; %bb.157:
	s_mov_b32 s18, 0
	s_mov_b32 s16, exec_lo
	v_cmpx_ne_u16_e32 1, v13
	s_xor_b32 s16, exec_lo, s16
	s_cbranch_execnz .LBB352_219
; %bb.158:
	s_and_not1_saveexec_b32 s0, s16
	s_cbranch_execnz .LBB352_235
.LBB352_159:
	s_or_b32 exec_lo, exec_lo, s0
	s_delay_alu instid0(SALU_CYCLE_1)
	s_and_b32 exec_lo, exec_lo, s18
	s_cbranch_execz .LBB352_161
.LBB352_160:
	v_sub_nc_u32_e32 v4, v49, v4
	s_delay_alu instid0(VALU_DEP_1)
	v_lshlrev_b32_e32 v4, 2, v4
	ds_store_b32 v4, v50
.LBB352_161:
	s_or_b32 exec_lo, exec_lo, s15
	s_delay_alu instid0(SALU_CYCLE_1)
	s_mov_b32 s1, exec_lo
	s_waitcnt lgkmcnt(0)
	s_waitcnt_vscnt null, 0x0
	s_barrier
	buffer_gl0_inv
	v_cmpx_lt_u32_e64 v0, v2
	s_cbranch_execz .LBB352_164
; %bb.162:
	v_dual_mov_b32 v5, 0 :: v_dual_lshlrev_b32 v6, 2, v0
	v_mov_b32_e32 v4, v0
	s_mov_b32 s2, 0
	.p2align	6
.LBB352_163:                            ; =>This Inner Loop Header: Depth=1
	ds_load_b32 v13, v6
	v_lshlrev_b64 v[7:8], 2, v[4:5]
	v_add_nc_u32_e32 v4, 0x100, v4
	v_add_nc_u32_e32 v6, 0x400, v6
	s_delay_alu instid0(VALU_DEP_2) | instskip(NEXT) | instid1(VALU_DEP_4)
	v_cmp_ge_u32_e32 vcc_lo, v4, v2
	v_add_co_u32 v7, s0, v11, v7
	s_delay_alu instid0(VALU_DEP_1)
	v_add_co_ci_u32_e64 v8, s0, v12, v8, s0
	s_or_b32 s2, vcc_lo, s2
	s_waitcnt lgkmcnt(0)
	global_store_b32 v[7:8], v13, off
	s_and_not1_b32 exec_lo, exec_lo, s2
	s_cbranch_execnz .LBB352_163
.LBB352_164:
	s_or_b32 exec_lo, exec_lo, s1
	v_cmp_eq_u32_e32 vcc_lo, 0xff, v0
	s_and_b32 s0, vcc_lo, s17
	s_delay_alu instid0(SALU_CYCLE_1)
	s_and_saveexec_b32 s1, s0
	s_cbranch_execz .LBB352_149
.LBB352_165:
	v_add_co_u32 v0, s0, v1, v3
	s_delay_alu instid0(VALU_DEP_1) | instskip(SKIP_1) | instid1(VALU_DEP_3)
	v_add_co_ci_u32_e64 v4, null, 0, 0, s0
	v_mov_b32_e32 v2, 0
	v_add_co_u32 v3, vcc_lo, v0, v23
	s_delay_alu instid0(VALU_DEP_3)
	v_add_co_ci_u32_e32 v4, vcc_lo, v4, v24, vcc_lo
	s_cmpk_lg_i32 s26, 0xf00
	global_store_b64 v2, v[3:4], s[30:31]
	s_cbranch_scc1 .LBB352_149
; %bb.166:
	v_lshlrev_b64 v[0:1], 2, v[1:2]
	s_delay_alu instid0(VALU_DEP_1) | instskip(NEXT) | instid1(VALU_DEP_2)
	v_add_co_u32 v0, vcc_lo, v9, v0
	v_add_co_ci_u32_e32 v1, vcc_lo, v10, v1, vcc_lo
	global_store_b32 v[0:1], v79, off offset:-4
	s_nop 0
	s_sendmsg sendmsg(MSG_DEALLOC_VGPRS)
	s_endpgm
.LBB352_167:
	s_or_b32 exec_lo, exec_lo, s4
	v_mov_b32_e32 v78, s1
	s_and_saveexec_b32 s1, s40
	s_cbranch_execnz .LBB352_88
	s_branch .LBB352_89
.LBB352_168:
	s_and_saveexec_b32 s19, s15
	s_cbranch_execnz .LBB352_236
; %bb.169:
	s_or_b32 exec_lo, exec_lo, s19
	s_and_saveexec_b32 s19, s14
	s_cbranch_execnz .LBB352_237
.LBB352_170:
	s_or_b32 exec_lo, exec_lo, s19
	s_and_saveexec_b32 s19, s13
	s_cbranch_execnz .LBB352_238
.LBB352_171:
	s_or_b32 exec_lo, exec_lo, s19
	s_and_saveexec_b32 s19, s12
	s_cbranch_execnz .LBB352_239
.LBB352_172:
	s_or_b32 exec_lo, exec_lo, s19
	s_and_saveexec_b32 s19, s11
	s_cbranch_execnz .LBB352_240
.LBB352_173:
	s_or_b32 exec_lo, exec_lo, s19
	s_and_saveexec_b32 s19, s10
	s_cbranch_execnz .LBB352_241
.LBB352_174:
	s_or_b32 exec_lo, exec_lo, s19
	s_and_saveexec_b32 s19, s8
	s_cbranch_execnz .LBB352_242
.LBB352_175:
	s_or_b32 exec_lo, exec_lo, s19
	s_and_saveexec_b32 s19, s6
	s_cbranch_execnz .LBB352_243
.LBB352_176:
	s_or_b32 exec_lo, exec_lo, s19
	s_and_saveexec_b32 s19, s9
	s_cbranch_execnz .LBB352_244
.LBB352_177:
	s_or_b32 exec_lo, exec_lo, s19
	s_and_saveexec_b32 s19, s7
	s_cbranch_execnz .LBB352_245
.LBB352_178:
	s_or_b32 exec_lo, exec_lo, s19
	s_and_saveexec_b32 s19, s5
	s_cbranch_execnz .LBB352_246
.LBB352_179:
	s_or_b32 exec_lo, exec_lo, s19
	s_and_saveexec_b32 s19, s4
	s_cbranch_execnz .LBB352_247
.LBB352_180:
	s_or_b32 exec_lo, exec_lo, s19
	s_and_saveexec_b32 s19, s3
	s_cbranch_execnz .LBB352_248
.LBB352_181:
	s_or_b32 exec_lo, exec_lo, s19
	s_and_saveexec_b32 s19, s1
	s_cbranch_execz .LBB352_183
.LBB352_182:
	v_sub_nc_u32_e32 v30, v57, v3
	v_mov_b32_e32 v31, 0
	s_delay_alu instid0(VALU_DEP_1) | instskip(NEXT) | instid1(VALU_DEP_1)
	v_lshlrev_b64 v[30:31], 2, v[30:31]
	v_add_co_u32 v30, vcc_lo, v2, v30
	s_delay_alu instid0(VALU_DEP_2)
	v_add_co_ci_u32_e32 v31, vcc_lo, v4, v31, vcc_lo
	global_store_b32 v[30:31], v10, off
.LBB352_183:
	s_or_b32 exec_lo, exec_lo, s19
	s_delay_alu instid0(SALU_CYCLE_1)
	s_and_b32 s19, s0, exec_lo
	s_and_not1_saveexec_b32 s16, s16
	s_cbranch_execz .LBB352_133
.LBB352_184:
	v_sub_nc_u32_e32 v30, v53, v3
	v_mov_b32_e32 v31, 0
	s_or_b32 s19, s19, exec_lo
	s_delay_alu instid0(VALU_DEP_1) | instskip(SKIP_1) | instid1(VALU_DEP_1)
	v_lshlrev_b64 v[32:33], 2, v[30:31]
	v_sub_nc_u32_e32 v30, v59, v3
	v_lshlrev_b64 v[34:35], 2, v[30:31]
	v_sub_nc_u32_e32 v30, v55, v3
	s_delay_alu instid0(VALU_DEP_4) | instskip(SKIP_1) | instid1(VALU_DEP_3)
	v_add_co_u32 v32, vcc_lo, v2, v32
	v_add_co_ci_u32_e32 v33, vcc_lo, v4, v33, vcc_lo
	v_lshlrev_b64 v[80:81], 2, v[30:31]
	v_sub_nc_u32_e32 v30, v51, v3
	v_add_co_u32 v34, vcc_lo, v2, v34
	v_add_co_ci_u32_e32 v35, vcc_lo, v4, v35, vcc_lo
	global_store_b32 v[32:33], v21, off
	v_lshlrev_b64 v[32:33], 2, v[30:31]
	v_sub_nc_u32_e32 v30, v45, v3
	global_store_b32 v[34:35], v22, off
	v_add_co_u32 v34, vcc_lo, v2, v80
	v_add_co_ci_u32_e32 v35, vcc_lo, v4, v81, vcc_lo
	v_lshlrev_b64 v[80:81], 2, v[30:31]
	v_sub_nc_u32_e32 v30, v41, v3
	v_add_co_u32 v32, vcc_lo, v2, v32
	v_add_co_ci_u32_e32 v33, vcc_lo, v4, v33, vcc_lo
	s_delay_alu instid0(VALU_DEP_3) | instskip(SKIP_3) | instid1(VALU_DEP_3)
	v_lshlrev_b64 v[82:83], 2, v[30:31]
	v_sub_nc_u32_e32 v30, v39, v3
	v_add_co_u32 v80, vcc_lo, v2, v80
	v_add_co_ci_u32_e32 v81, vcc_lo, v4, v81, vcc_lo
	v_lshlrev_b64 v[84:85], 2, v[30:31]
	v_sub_nc_u32_e32 v30, v43, v3
	v_add_co_u32 v82, vcc_lo, v2, v82
	v_add_co_ci_u32_e32 v83, vcc_lo, v4, v83, vcc_lo
	s_clause 0x3
	global_store_b32 v[34:35], v19, off
	global_store_b32 v[32:33], v20, off
	;; [unrolled: 1-line block ×4, first 2 shown]
	v_lshlrev_b64 v[32:33], 2, v[30:31]
	v_sub_nc_u32_e32 v30, v47, v3
	v_add_co_u32 v34, vcc_lo, v2, v84
	v_add_co_ci_u32_e32 v35, vcc_lo, v4, v85, vcc_lo
	s_delay_alu instid0(VALU_DEP_3) | instskip(SKIP_3) | instid1(VALU_DEP_3)
	v_lshlrev_b64 v[80:81], 2, v[30:31]
	v_sub_nc_u32_e32 v30, v5, v3
	v_add_co_u32 v32, vcc_lo, v2, v32
	v_add_co_ci_u32_e32 v33, vcc_lo, v4, v33, vcc_lo
	v_lshlrev_b64 v[82:83], 2, v[30:31]
	v_sub_nc_u32_e32 v30, v7, v3
	v_add_co_u32 v80, vcc_lo, v2, v80
	v_add_co_ci_u32_e32 v81, vcc_lo, v4, v81, vcc_lo
	s_delay_alu instid0(VALU_DEP_3)
	v_lshlrev_b64 v[84:85], 2, v[30:31]
	v_sub_nc_u32_e32 v30, v37, v3
	v_add_co_u32 v82, vcc_lo, v2, v82
	v_add_co_ci_u32_e32 v83, vcc_lo, v4, v83, vcc_lo
	s_clause 0x3
	global_store_b32 v[34:35], v15, off
	global_store_b32 v[32:33], v16, off
	;; [unrolled: 1-line block ×4, first 2 shown]
	v_lshlrev_b64 v[32:33], 2, v[30:31]
	v_sub_nc_u32_e32 v30, v61, v3
	v_add_co_u32 v34, vcc_lo, v2, v84
	v_add_co_ci_u32_e32 v35, vcc_lo, v4, v85, vcc_lo
	s_delay_alu instid0(VALU_DEP_3) | instskip(SKIP_3) | instid1(VALU_DEP_3)
	v_lshlrev_b64 v[80:81], 2, v[30:31]
	v_sub_nc_u32_e32 v30, v57, v3
	v_add_co_u32 v32, vcc_lo, v2, v32
	v_add_co_ci_u32_e32 v33, vcc_lo, v4, v33, vcc_lo
	v_lshlrev_b64 v[30:31], 2, v[30:31]
	v_add_co_u32 v80, vcc_lo, v2, v80
	v_add_co_ci_u32_e32 v81, vcc_lo, v4, v81, vcc_lo
	s_clause 0x2
	global_store_b32 v[34:35], v11, off
	global_store_b32 v[32:33], v12, off
	;; [unrolled: 1-line block ×3, first 2 shown]
	v_add_co_u32 v30, vcc_lo, v2, v30
	v_add_co_ci_u32_e32 v31, vcc_lo, v4, v31, vcc_lo
	global_store_b32 v[30:31], v10, off
	s_or_b32 exec_lo, exec_lo, s16
	s_delay_alu instid0(SALU_CYCLE_1)
	s_and_b32 exec_lo, exec_lo, s19
	s_cbranch_execnz .LBB352_134
	s_branch .LBB352_135
.LBB352_185:
	s_and_saveexec_b32 s19, s15
	s_cbranch_execnz .LBB352_249
; %bb.186:
	s_or_b32 exec_lo, exec_lo, s19
	s_and_saveexec_b32 s15, s14
	s_cbranch_execnz .LBB352_250
.LBB352_187:
	s_or_b32 exec_lo, exec_lo, s15
	s_and_saveexec_b32 s14, s13
	s_cbranch_execnz .LBB352_251
.LBB352_188:
	s_or_b32 exec_lo, exec_lo, s14
	s_and_saveexec_b32 s13, s12
	s_cbranch_execnz .LBB352_252
.LBB352_189:
	s_or_b32 exec_lo, exec_lo, s13
	s_and_saveexec_b32 s12, s11
	s_cbranch_execnz .LBB352_253
.LBB352_190:
	s_or_b32 exec_lo, exec_lo, s12
	s_and_saveexec_b32 s11, s10
	s_cbranch_execnz .LBB352_254
.LBB352_191:
	s_or_b32 exec_lo, exec_lo, s11
	s_and_saveexec_b32 s10, s8
	s_cbranch_execnz .LBB352_255
.LBB352_192:
	s_or_b32 exec_lo, exec_lo, s10
	s_and_saveexec_b32 s8, s6
	s_cbranch_execnz .LBB352_256
.LBB352_193:
	s_or_b32 exec_lo, exec_lo, s8
	s_and_saveexec_b32 s6, s9
	s_cbranch_execnz .LBB352_257
.LBB352_194:
	s_or_b32 exec_lo, exec_lo, s6
	s_and_saveexec_b32 s6, s7
	s_cbranch_execnz .LBB352_258
.LBB352_195:
	s_or_b32 exec_lo, exec_lo, s6
	s_and_saveexec_b32 s6, s5
	s_cbranch_execnz .LBB352_259
.LBB352_196:
	s_or_b32 exec_lo, exec_lo, s6
	s_and_saveexec_b32 s5, s4
	s_cbranch_execnz .LBB352_260
.LBB352_197:
	s_or_b32 exec_lo, exec_lo, s5
	s_and_saveexec_b32 s4, s3
	s_cbranch_execnz .LBB352_261
.LBB352_198:
	s_or_b32 exec_lo, exec_lo, s4
	s_and_saveexec_b32 s3, s1
	s_cbranch_execz .LBB352_200
.LBB352_199:
	v_sub_nc_u32_e32 v9, v57, v3
	s_delay_alu instid0(VALU_DEP_1)
	v_lshlrev_b32_e32 v9, 2, v9
	ds_store_b32 v9, v10
.LBB352_200:
	s_or_b32 exec_lo, exec_lo, s3
	s_delay_alu instid0(SALU_CYCLE_1)
	s_and_b32 s19, s0, exec_lo
                                        ; implicit-def: $vgpr21
                                        ; implicit-def: $vgpr19
                                        ; implicit-def: $vgpr17
                                        ; implicit-def: $vgpr15
                                        ; implicit-def: $vgpr13
                                        ; implicit-def: $vgpr11
                                        ; implicit-def: $vgpr9
	s_and_not1_saveexec_b32 s0, s18
	s_cbranch_execz .LBB352_140
.LBB352_201:
	v_sub_nc_u32_e32 v29, v53, v3
	v_sub_nc_u32_e32 v32, v51, v3
	;; [unrolled: 1-line block ×4, first 2 shown]
	s_or_b32 s19, s19, exec_lo
	v_lshlrev_b32_e32 v29, 2, v29
	v_lshlrev_b32_e32 v32, 2, v32
	;; [unrolled: 1-line block ×4, first 2 shown]
	ds_store_b32 v29, v21
	ds_store_b32 v30, v22
	;; [unrolled: 1-line block ×3, first 2 shown]
	v_sub_nc_u32_e32 v19, v45, v3
	ds_store_b32 v32, v20
	v_sub_nc_u32_e32 v20, v41, v3
	v_sub_nc_u32_e32 v21, v39, v3
	;; [unrolled: 1-line block ×3, first 2 shown]
	v_lshlrev_b32_e32 v19, 2, v19
	v_sub_nc_u32_e32 v29, v47, v3
	v_lshlrev_b32_e32 v20, 2, v20
	v_lshlrev_b32_e32 v21, 2, v21
	;; [unrolled: 1-line block ×3, first 2 shown]
	ds_store_b32 v19, v17
	v_lshlrev_b32_e32 v17, 2, v29
	ds_store_b32 v20, v18
	ds_store_b32 v21, v15
	;; [unrolled: 1-line block ×3, first 2 shown]
	v_sub_nc_u32_e32 v15, v5, v3
	v_sub_nc_u32_e32 v18, v57, v3
	v_sub_nc_u32_e32 v16, v37, v3
	ds_store_b32 v17, v13
	v_sub_nc_u32_e32 v13, v7, v3
	v_lshlrev_b32_e32 v15, 2, v15
	v_sub_nc_u32_e32 v17, v61, v3
	v_lshlrev_b32_e32 v16, 2, v16
	s_delay_alu instid0(VALU_DEP_4)
	v_lshlrev_b32_e32 v13, 2, v13
	ds_store_b32 v15, v14
	v_lshlrev_b32_e32 v14, 2, v18
	v_lshlrev_b32_e32 v17, 2, v17
	ds_store_b32 v13, v11
	ds_store_b32 v16, v12
	;; [unrolled: 1-line block ×4, first 2 shown]
	s_or_b32 exec_lo, exec_lo, s0
	s_delay_alu instid0(SALU_CYCLE_1)
	s_and_b32 exec_lo, exec_lo, s19
	s_cbranch_execnz .LBB352_141
	s_branch .LBB352_142
.LBB352_202:
	s_and_saveexec_b32 s18, s14
	s_cbranch_execnz .LBB352_262
; %bb.203:
	s_or_b32 exec_lo, exec_lo, s18
	s_and_saveexec_b32 s18, s13
	s_cbranch_execnz .LBB352_263
.LBB352_204:
	s_or_b32 exec_lo, exec_lo, s18
	s_and_saveexec_b32 s18, s12
	s_cbranch_execnz .LBB352_264
.LBB352_205:
	s_or_b32 exec_lo, exec_lo, s18
	s_and_saveexec_b32 s18, s11
	s_cbranch_execnz .LBB352_265
.LBB352_206:
	s_or_b32 exec_lo, exec_lo, s18
	s_and_saveexec_b32 s18, s10
	s_cbranch_execnz .LBB352_266
.LBB352_207:
	s_or_b32 exec_lo, exec_lo, s18
	s_and_saveexec_b32 s18, s9
	s_cbranch_execnz .LBB352_267
.LBB352_208:
	s_or_b32 exec_lo, exec_lo, s18
	s_and_saveexec_b32 s18, s8
	s_cbranch_execnz .LBB352_268
.LBB352_209:
	s_or_b32 exec_lo, exec_lo, s18
	s_and_saveexec_b32 s18, s7
	s_cbranch_execnz .LBB352_269
.LBB352_210:
	s_or_b32 exec_lo, exec_lo, s18
	s_and_saveexec_b32 s18, s6
	s_cbranch_execnz .LBB352_270
.LBB352_211:
	s_or_b32 exec_lo, exec_lo, s18
	s_and_saveexec_b32 s18, s5
	s_cbranch_execnz .LBB352_271
.LBB352_212:
	s_or_b32 exec_lo, exec_lo, s18
	s_and_saveexec_b32 s18, s4
	s_cbranch_execnz .LBB352_272
.LBB352_213:
	s_or_b32 exec_lo, exec_lo, s18
	s_and_saveexec_b32 s18, s3
	s_cbranch_execnz .LBB352_273
.LBB352_214:
	s_or_b32 exec_lo, exec_lo, s18
	s_and_saveexec_b32 s18, s2
	s_cbranch_execnz .LBB352_274
.LBB352_215:
	s_or_b32 exec_lo, exec_lo, s18
	s_and_saveexec_b32 s18, s1
	s_cbranch_execz .LBB352_217
.LBB352_216:
	v_sub_nc_u32_e32 v14, v57, v4
	v_mov_b32_e32 v15, 0
	s_delay_alu instid0(VALU_DEP_1) | instskip(NEXT) | instid1(VALU_DEP_1)
	v_lshlrev_b64 v[14:15], 2, v[14:15]
	v_add_co_u32 v14, vcc_lo, v11, v14
	s_delay_alu instid0(VALU_DEP_2)
	v_add_co_ci_u32_e32 v15, vcc_lo, v12, v15, vcc_lo
	global_store_b32 v[14:15], v58, off
.LBB352_217:
	s_or_b32 exec_lo, exec_lo, s18
	s_delay_alu instid0(SALU_CYCLE_1)
	s_and_b32 s18, s0, exec_lo
	s_and_not1_saveexec_b32 s15, s15
	s_cbranch_execz .LBB352_153
.LBB352_218:
	v_sub_nc_u32_e32 v14, v53, v4
	v_mov_b32_e32 v15, 0
	s_or_b32 s18, s18, exec_lo
	s_delay_alu instid0(VALU_DEP_1) | instskip(SKIP_1) | instid1(VALU_DEP_1)
	v_lshlrev_b64 v[16:17], 2, v[14:15]
	v_sub_nc_u32_e32 v14, v59, v4
	v_lshlrev_b64 v[18:19], 2, v[14:15]
	v_sub_nc_u32_e32 v14, v55, v4
	s_delay_alu instid0(VALU_DEP_4) | instskip(SKIP_1) | instid1(VALU_DEP_3)
	v_add_co_u32 v16, vcc_lo, v11, v16
	v_add_co_ci_u32_e32 v17, vcc_lo, v12, v17, vcc_lo
	v_lshlrev_b64 v[20:21], 2, v[14:15]
	v_sub_nc_u32_e32 v14, v51, v4
	v_add_co_u32 v18, vcc_lo, v11, v18
	v_add_co_ci_u32_e32 v19, vcc_lo, v12, v19, vcc_lo
	global_store_b32 v[16:17], v54, off
	v_lshlrev_b64 v[16:17], 2, v[14:15]
	v_sub_nc_u32_e32 v14, v45, v4
	global_store_b32 v[18:19], v60, off
	v_add_co_u32 v18, vcc_lo, v11, v20
	v_add_co_ci_u32_e32 v19, vcc_lo, v12, v21, vcc_lo
	v_lshlrev_b64 v[20:21], 2, v[14:15]
	v_sub_nc_u32_e32 v14, v41, v4
	v_add_co_u32 v16, vcc_lo, v11, v16
	v_add_co_ci_u32_e32 v17, vcc_lo, v12, v17, vcc_lo
	s_delay_alu instid0(VALU_DEP_3) | instskip(SKIP_3) | instid1(VALU_DEP_3)
	v_lshlrev_b64 v[25:26], 2, v[14:15]
	v_sub_nc_u32_e32 v14, v39, v4
	v_add_co_u32 v20, vcc_lo, v11, v20
	v_add_co_ci_u32_e32 v21, vcc_lo, v12, v21, vcc_lo
	v_lshlrev_b64 v[27:28], 2, v[14:15]
	v_sub_nc_u32_e32 v14, v43, v4
	v_add_co_u32 v25, vcc_lo, v11, v25
	v_add_co_ci_u32_e32 v26, vcc_lo, v12, v26, vcc_lo
	s_clause 0x3
	global_store_b32 v[18:19], v56, off
	global_store_b32 v[16:17], v52, off
	;; [unrolled: 1-line block ×4, first 2 shown]
	v_lshlrev_b64 v[16:17], 2, v[14:15]
	v_sub_nc_u32_e32 v14, v47, v4
	v_add_co_u32 v18, vcc_lo, v11, v27
	v_add_co_ci_u32_e32 v19, vcc_lo, v12, v28, vcc_lo
	s_delay_alu instid0(VALU_DEP_3) | instskip(SKIP_3) | instid1(VALU_DEP_3)
	v_lshlrev_b64 v[20:21], 2, v[14:15]
	v_sub_nc_u32_e32 v14, v5, v4
	v_add_co_u32 v16, vcc_lo, v11, v16
	v_add_co_ci_u32_e32 v17, vcc_lo, v12, v17, vcc_lo
	v_lshlrev_b64 v[25:26], 2, v[14:15]
	v_sub_nc_u32_e32 v14, v7, v4
	v_add_co_u32 v20, vcc_lo, v11, v20
	v_add_co_ci_u32_e32 v21, vcc_lo, v12, v21, vcc_lo
	s_delay_alu instid0(VALU_DEP_3)
	v_lshlrev_b64 v[27:28], 2, v[14:15]
	v_sub_nc_u32_e32 v14, v37, v4
	v_add_co_u32 v25, vcc_lo, v11, v25
	v_add_co_ci_u32_e32 v26, vcc_lo, v12, v26, vcc_lo
	s_clause 0x3
	global_store_b32 v[18:19], v40, off
	global_store_b32 v[16:17], v44, off
	;; [unrolled: 1-line block ×4, first 2 shown]
	v_lshlrev_b64 v[16:17], 2, v[14:15]
	v_sub_nc_u32_e32 v14, v61, v4
	v_add_co_u32 v18, vcc_lo, v11, v27
	v_add_co_ci_u32_e32 v19, vcc_lo, v12, v28, vcc_lo
	s_delay_alu instid0(VALU_DEP_3) | instskip(SKIP_3) | instid1(VALU_DEP_3)
	v_lshlrev_b64 v[20:21], 2, v[14:15]
	v_sub_nc_u32_e32 v14, v57, v4
	v_add_co_u32 v16, vcc_lo, v11, v16
	v_add_co_ci_u32_e32 v17, vcc_lo, v12, v17, vcc_lo
	v_lshlrev_b64 v[14:15], 2, v[14:15]
	v_add_co_u32 v20, vcc_lo, v11, v20
	v_add_co_ci_u32_e32 v21, vcc_lo, v12, v21, vcc_lo
	s_clause 0x2
	global_store_b32 v[18:19], v8, off
	global_store_b32 v[16:17], v38, off
	;; [unrolled: 1-line block ×3, first 2 shown]
	v_add_co_u32 v14, vcc_lo, v11, v14
	v_add_co_ci_u32_e32 v15, vcc_lo, v12, v15, vcc_lo
	global_store_b32 v[14:15], v58, off
	s_or_b32 exec_lo, exec_lo, s15
	s_delay_alu instid0(SALU_CYCLE_1)
	s_and_b32 exec_lo, exec_lo, s18
	s_cbranch_execnz .LBB352_154
	s_branch .LBB352_155
.LBB352_219:
	s_and_saveexec_b32 s18, s14
	s_cbranch_execnz .LBB352_275
; %bb.220:
	s_or_b32 exec_lo, exec_lo, s18
	s_and_saveexec_b32 s14, s13
	s_cbranch_execnz .LBB352_276
.LBB352_221:
	s_or_b32 exec_lo, exec_lo, s14
	s_and_saveexec_b32 s13, s12
	s_cbranch_execnz .LBB352_277
.LBB352_222:
	s_or_b32 exec_lo, exec_lo, s13
	s_and_saveexec_b32 s12, s11
	s_cbranch_execnz .LBB352_278
.LBB352_223:
	s_or_b32 exec_lo, exec_lo, s12
	s_and_saveexec_b32 s11, s10
	s_cbranch_execnz .LBB352_279
.LBB352_224:
	s_or_b32 exec_lo, exec_lo, s11
	s_and_saveexec_b32 s10, s9
	s_cbranch_execnz .LBB352_280
.LBB352_225:
	s_or_b32 exec_lo, exec_lo, s10
	s_and_saveexec_b32 s9, s8
	s_cbranch_execnz .LBB352_281
.LBB352_226:
	s_or_b32 exec_lo, exec_lo, s9
	s_and_saveexec_b32 s8, s7
	s_cbranch_execnz .LBB352_282
.LBB352_227:
	s_or_b32 exec_lo, exec_lo, s8
	s_and_saveexec_b32 s7, s6
	s_cbranch_execnz .LBB352_283
.LBB352_228:
	s_or_b32 exec_lo, exec_lo, s7
	s_and_saveexec_b32 s6, s5
	s_cbranch_execnz .LBB352_284
.LBB352_229:
	s_or_b32 exec_lo, exec_lo, s6
	s_and_saveexec_b32 s5, s4
	s_cbranch_execnz .LBB352_285
.LBB352_230:
	s_or_b32 exec_lo, exec_lo, s5
	s_and_saveexec_b32 s4, s3
	s_cbranch_execnz .LBB352_286
.LBB352_231:
	s_or_b32 exec_lo, exec_lo, s4
	s_and_saveexec_b32 s3, s2
	s_cbranch_execnz .LBB352_287
.LBB352_232:
	s_or_b32 exec_lo, exec_lo, s3
	s_and_saveexec_b32 s2, s1
	s_cbranch_execz .LBB352_234
.LBB352_233:
	v_sub_nc_u32_e32 v5, v57, v4
	s_delay_alu instid0(VALU_DEP_1)
	v_lshlrev_b32_e32 v5, 2, v5
	ds_store_b32 v5, v58
.LBB352_234:
	s_or_b32 exec_lo, exec_lo, s2
	s_delay_alu instid0(SALU_CYCLE_1)
	s_and_b32 s18, s0, exec_lo
                                        ; implicit-def: $vgpr53_vgpr54
                                        ; implicit-def: $vgpr59_vgpr60
                                        ; implicit-def: $vgpr55_vgpr56
                                        ; implicit-def: $vgpr51_vgpr52
                                        ; implicit-def: $vgpr45_vgpr46
                                        ; implicit-def: $vgpr41_vgpr42
                                        ; implicit-def: $vgpr39_vgpr40
                                        ; implicit-def: $vgpr43_vgpr44
                                        ; implicit-def: $vgpr47_vgpr48
                                        ; implicit-def: $vgpr5_vgpr6
                                        ; implicit-def: $vgpr7_vgpr8
                                        ; implicit-def: $vgpr37_vgpr38
                                        ; implicit-def: $vgpr61_vgpr62
                                        ; implicit-def: $vgpr57_vgpr58
	s_and_not1_saveexec_b32 s0, s16
	s_cbranch_execz .LBB352_159
.LBB352_235:
	v_sub_nc_u32_e32 v13, v53, v4
	v_sub_nc_u32_e32 v14, v59, v4
	;; [unrolled: 1-line block ×5, first 2 shown]
	v_lshlrev_b32_e32 v13, 2, v13
	v_lshlrev_b32_e32 v14, 2, v14
	;; [unrolled: 1-line block ×4, first 2 shown]
	v_sub_nc_u32_e32 v5, v5, v4
	ds_store_b32 v13, v54
	ds_store_b32 v14, v60
	;; [unrolled: 1-line block ×3, first 2 shown]
	v_sub_nc_u32_e32 v13, v45, v4
	v_sub_nc_u32_e32 v14, v41, v4
	;; [unrolled: 1-line block ×3, first 2 shown]
	ds_store_b32 v16, v52
	v_sub_nc_u32_e32 v16, v43, v4
	v_lshlrev_b32_e32 v13, 2, v13
	v_lshlrev_b32_e32 v14, 2, v14
	v_lshlrev_b32_e32 v15, 2, v15
	v_sub_nc_u32_e32 v7, v7, v4
	v_lshlrev_b32_e32 v16, 2, v16
	ds_store_b32 v13, v46
	v_lshlrev_b32_e32 v13, 2, v17
	ds_store_b32 v14, v42
	ds_store_b32 v15, v40
	;; [unrolled: 1-line block ×3, first 2 shown]
	v_lshlrev_b32_e32 v5, 2, v5
	v_sub_nc_u32_e32 v15, v57, v4
	v_sub_nc_u32_e32 v14, v61, v4
	ds_store_b32 v13, v48
	v_sub_nc_u32_e32 v13, v37, v4
	v_lshlrev_b32_e32 v7, 2, v7
	ds_store_b32 v5, v6
	v_lshlrev_b32_e32 v5, 2, v15
	v_lshlrev_b32_e32 v14, 2, v14
	;; [unrolled: 1-line block ×3, first 2 shown]
	s_or_b32 s18, s18, exec_lo
	ds_store_b32 v7, v8
	ds_store_b32 v13, v38
	;; [unrolled: 1-line block ×4, first 2 shown]
	s_or_b32 exec_lo, exec_lo, s0
	s_delay_alu instid0(SALU_CYCLE_1)
	s_and_b32 exec_lo, exec_lo, s18
	s_cbranch_execnz .LBB352_160
	s_branch .LBB352_161
.LBB352_236:
	v_sub_nc_u32_e32 v30, v53, v3
	v_mov_b32_e32 v31, 0
	s_delay_alu instid0(VALU_DEP_1) | instskip(NEXT) | instid1(VALU_DEP_1)
	v_lshlrev_b64 v[30:31], 2, v[30:31]
	v_add_co_u32 v30, vcc_lo, v2, v30
	s_delay_alu instid0(VALU_DEP_2)
	v_add_co_ci_u32_e32 v31, vcc_lo, v4, v31, vcc_lo
	global_store_b32 v[30:31], v21, off
	s_or_b32 exec_lo, exec_lo, s19
	s_and_saveexec_b32 s19, s14
	s_cbranch_execz .LBB352_170
.LBB352_237:
	v_sub_nc_u32_e32 v30, v59, v3
	v_mov_b32_e32 v31, 0
	s_delay_alu instid0(VALU_DEP_1) | instskip(NEXT) | instid1(VALU_DEP_1)
	v_lshlrev_b64 v[30:31], 2, v[30:31]
	v_add_co_u32 v30, vcc_lo, v2, v30
	s_delay_alu instid0(VALU_DEP_2)
	v_add_co_ci_u32_e32 v31, vcc_lo, v4, v31, vcc_lo
	global_store_b32 v[30:31], v22, off
	s_or_b32 exec_lo, exec_lo, s19
	s_and_saveexec_b32 s19, s13
	s_cbranch_execz .LBB352_171
.LBB352_238:
	v_sub_nc_u32_e32 v30, v55, v3
	v_mov_b32_e32 v31, 0
	s_delay_alu instid0(VALU_DEP_1) | instskip(NEXT) | instid1(VALU_DEP_1)
	v_lshlrev_b64 v[30:31], 2, v[30:31]
	v_add_co_u32 v30, vcc_lo, v2, v30
	s_delay_alu instid0(VALU_DEP_2)
	v_add_co_ci_u32_e32 v31, vcc_lo, v4, v31, vcc_lo
	global_store_b32 v[30:31], v19, off
	s_or_b32 exec_lo, exec_lo, s19
	s_and_saveexec_b32 s19, s12
	s_cbranch_execz .LBB352_172
.LBB352_239:
	v_sub_nc_u32_e32 v30, v51, v3
	v_mov_b32_e32 v31, 0
	s_delay_alu instid0(VALU_DEP_1) | instskip(NEXT) | instid1(VALU_DEP_1)
	v_lshlrev_b64 v[30:31], 2, v[30:31]
	v_add_co_u32 v30, vcc_lo, v2, v30
	s_delay_alu instid0(VALU_DEP_2)
	v_add_co_ci_u32_e32 v31, vcc_lo, v4, v31, vcc_lo
	global_store_b32 v[30:31], v20, off
	s_or_b32 exec_lo, exec_lo, s19
	s_and_saveexec_b32 s19, s11
	s_cbranch_execz .LBB352_173
.LBB352_240:
	v_sub_nc_u32_e32 v30, v45, v3
	v_mov_b32_e32 v31, 0
	s_delay_alu instid0(VALU_DEP_1) | instskip(NEXT) | instid1(VALU_DEP_1)
	v_lshlrev_b64 v[30:31], 2, v[30:31]
	v_add_co_u32 v30, vcc_lo, v2, v30
	s_delay_alu instid0(VALU_DEP_2)
	v_add_co_ci_u32_e32 v31, vcc_lo, v4, v31, vcc_lo
	global_store_b32 v[30:31], v17, off
	s_or_b32 exec_lo, exec_lo, s19
	s_and_saveexec_b32 s19, s10
	s_cbranch_execz .LBB352_174
.LBB352_241:
	v_sub_nc_u32_e32 v30, v41, v3
	v_mov_b32_e32 v31, 0
	s_delay_alu instid0(VALU_DEP_1) | instskip(NEXT) | instid1(VALU_DEP_1)
	v_lshlrev_b64 v[30:31], 2, v[30:31]
	v_add_co_u32 v30, vcc_lo, v2, v30
	s_delay_alu instid0(VALU_DEP_2)
	v_add_co_ci_u32_e32 v31, vcc_lo, v4, v31, vcc_lo
	global_store_b32 v[30:31], v18, off
	s_or_b32 exec_lo, exec_lo, s19
	s_and_saveexec_b32 s19, s8
	s_cbranch_execz .LBB352_175
.LBB352_242:
	v_sub_nc_u32_e32 v30, v39, v3
	v_mov_b32_e32 v31, 0
	s_delay_alu instid0(VALU_DEP_1) | instskip(NEXT) | instid1(VALU_DEP_1)
	v_lshlrev_b64 v[30:31], 2, v[30:31]
	v_add_co_u32 v30, vcc_lo, v2, v30
	s_delay_alu instid0(VALU_DEP_2)
	v_add_co_ci_u32_e32 v31, vcc_lo, v4, v31, vcc_lo
	global_store_b32 v[30:31], v15, off
	s_or_b32 exec_lo, exec_lo, s19
	s_and_saveexec_b32 s19, s6
	s_cbranch_execz .LBB352_176
.LBB352_243:
	v_sub_nc_u32_e32 v30, v43, v3
	v_mov_b32_e32 v31, 0
	s_delay_alu instid0(VALU_DEP_1) | instskip(NEXT) | instid1(VALU_DEP_1)
	v_lshlrev_b64 v[30:31], 2, v[30:31]
	v_add_co_u32 v30, vcc_lo, v2, v30
	s_delay_alu instid0(VALU_DEP_2)
	v_add_co_ci_u32_e32 v31, vcc_lo, v4, v31, vcc_lo
	global_store_b32 v[30:31], v16, off
	s_or_b32 exec_lo, exec_lo, s19
	s_and_saveexec_b32 s19, s9
	s_cbranch_execz .LBB352_177
.LBB352_244:
	v_sub_nc_u32_e32 v30, v47, v3
	v_mov_b32_e32 v31, 0
	s_delay_alu instid0(VALU_DEP_1) | instskip(NEXT) | instid1(VALU_DEP_1)
	v_lshlrev_b64 v[30:31], 2, v[30:31]
	v_add_co_u32 v30, vcc_lo, v2, v30
	s_delay_alu instid0(VALU_DEP_2)
	v_add_co_ci_u32_e32 v31, vcc_lo, v4, v31, vcc_lo
	global_store_b32 v[30:31], v13, off
	s_or_b32 exec_lo, exec_lo, s19
	s_and_saveexec_b32 s19, s7
	s_cbranch_execz .LBB352_178
.LBB352_245:
	v_sub_nc_u32_e32 v30, v5, v3
	v_mov_b32_e32 v31, 0
	s_delay_alu instid0(VALU_DEP_1) | instskip(NEXT) | instid1(VALU_DEP_1)
	v_lshlrev_b64 v[30:31], 2, v[30:31]
	v_add_co_u32 v30, vcc_lo, v2, v30
	s_delay_alu instid0(VALU_DEP_2)
	v_add_co_ci_u32_e32 v31, vcc_lo, v4, v31, vcc_lo
	global_store_b32 v[30:31], v14, off
	s_or_b32 exec_lo, exec_lo, s19
	s_and_saveexec_b32 s19, s5
	s_cbranch_execz .LBB352_179
.LBB352_246:
	v_sub_nc_u32_e32 v30, v7, v3
	v_mov_b32_e32 v31, 0
	s_delay_alu instid0(VALU_DEP_1) | instskip(NEXT) | instid1(VALU_DEP_1)
	v_lshlrev_b64 v[30:31], 2, v[30:31]
	v_add_co_u32 v30, vcc_lo, v2, v30
	s_delay_alu instid0(VALU_DEP_2)
	v_add_co_ci_u32_e32 v31, vcc_lo, v4, v31, vcc_lo
	global_store_b32 v[30:31], v11, off
	s_or_b32 exec_lo, exec_lo, s19
	s_and_saveexec_b32 s19, s4
	s_cbranch_execz .LBB352_180
.LBB352_247:
	v_sub_nc_u32_e32 v30, v37, v3
	v_mov_b32_e32 v31, 0
	s_delay_alu instid0(VALU_DEP_1) | instskip(NEXT) | instid1(VALU_DEP_1)
	v_lshlrev_b64 v[30:31], 2, v[30:31]
	v_add_co_u32 v30, vcc_lo, v2, v30
	s_delay_alu instid0(VALU_DEP_2)
	v_add_co_ci_u32_e32 v31, vcc_lo, v4, v31, vcc_lo
	global_store_b32 v[30:31], v12, off
	s_or_b32 exec_lo, exec_lo, s19
	s_and_saveexec_b32 s19, s3
	s_cbranch_execz .LBB352_181
.LBB352_248:
	v_sub_nc_u32_e32 v30, v61, v3
	v_mov_b32_e32 v31, 0
	s_delay_alu instid0(VALU_DEP_1) | instskip(NEXT) | instid1(VALU_DEP_1)
	v_lshlrev_b64 v[30:31], 2, v[30:31]
	v_add_co_u32 v30, vcc_lo, v2, v30
	s_delay_alu instid0(VALU_DEP_2)
	v_add_co_ci_u32_e32 v31, vcc_lo, v4, v31, vcc_lo
	global_store_b32 v[30:31], v9, off
	s_or_b32 exec_lo, exec_lo, s19
	s_and_saveexec_b32 s19, s1
	s_cbranch_execnz .LBB352_182
	s_branch .LBB352_183
.LBB352_249:
	v_sub_nc_u32_e32 v29, v53, v3
	s_delay_alu instid0(VALU_DEP_1)
	v_lshlrev_b32_e32 v29, 2, v29
	ds_store_b32 v29, v21
	s_or_b32 exec_lo, exec_lo, s19
	s_and_saveexec_b32 s15, s14
	s_cbranch_execz .LBB352_187
.LBB352_250:
	v_sub_nc_u32_e32 v21, v59, v3
	s_delay_alu instid0(VALU_DEP_1)
	v_lshlrev_b32_e32 v21, 2, v21
	ds_store_b32 v21, v22
	s_or_b32 exec_lo, exec_lo, s15
	s_and_saveexec_b32 s14, s13
	s_cbranch_execz .LBB352_188
.LBB352_251:
	v_sub_nc_u32_e32 v21, v55, v3
	s_delay_alu instid0(VALU_DEP_1)
	v_lshlrev_b32_e32 v21, 2, v21
	ds_store_b32 v21, v19
	s_or_b32 exec_lo, exec_lo, s14
	s_and_saveexec_b32 s13, s12
	s_cbranch_execz .LBB352_189
.LBB352_252:
	v_sub_nc_u32_e32 v19, v51, v3
	s_delay_alu instid0(VALU_DEP_1)
	v_lshlrev_b32_e32 v19, 2, v19
	ds_store_b32 v19, v20
	s_or_b32 exec_lo, exec_lo, s13
	s_and_saveexec_b32 s12, s11
	s_cbranch_execz .LBB352_190
.LBB352_253:
	v_sub_nc_u32_e32 v19, v45, v3
	s_delay_alu instid0(VALU_DEP_1)
	v_lshlrev_b32_e32 v19, 2, v19
	ds_store_b32 v19, v17
	s_or_b32 exec_lo, exec_lo, s12
	s_and_saveexec_b32 s11, s10
	s_cbranch_execz .LBB352_191
.LBB352_254:
	v_sub_nc_u32_e32 v17, v41, v3
	s_delay_alu instid0(VALU_DEP_1)
	v_lshlrev_b32_e32 v17, 2, v17
	ds_store_b32 v17, v18
	s_or_b32 exec_lo, exec_lo, s11
	s_and_saveexec_b32 s10, s8
	s_cbranch_execz .LBB352_192
.LBB352_255:
	v_sub_nc_u32_e32 v17, v39, v3
	s_delay_alu instid0(VALU_DEP_1)
	v_lshlrev_b32_e32 v17, 2, v17
	ds_store_b32 v17, v15
	s_or_b32 exec_lo, exec_lo, s10
	s_and_saveexec_b32 s8, s6
	s_cbranch_execz .LBB352_193
.LBB352_256:
	v_sub_nc_u32_e32 v15, v43, v3
	s_delay_alu instid0(VALU_DEP_1)
	v_lshlrev_b32_e32 v15, 2, v15
	ds_store_b32 v15, v16
	s_or_b32 exec_lo, exec_lo, s8
	s_and_saveexec_b32 s6, s9
	s_cbranch_execz .LBB352_194
.LBB352_257:
	v_sub_nc_u32_e32 v15, v47, v3
	s_delay_alu instid0(VALU_DEP_1)
	v_lshlrev_b32_e32 v15, 2, v15
	ds_store_b32 v15, v13
	s_or_b32 exec_lo, exec_lo, s6
	s_and_saveexec_b32 s6, s7
	s_cbranch_execz .LBB352_195
.LBB352_258:
	v_sub_nc_u32_e32 v13, v5, v3
	s_delay_alu instid0(VALU_DEP_1)
	v_lshlrev_b32_e32 v13, 2, v13
	ds_store_b32 v13, v14
	s_or_b32 exec_lo, exec_lo, s6
	s_and_saveexec_b32 s6, s5
	s_cbranch_execz .LBB352_196
.LBB352_259:
	v_sub_nc_u32_e32 v13, v7, v3
	s_delay_alu instid0(VALU_DEP_1)
	v_lshlrev_b32_e32 v13, 2, v13
	ds_store_b32 v13, v11
	s_or_b32 exec_lo, exec_lo, s6
	s_and_saveexec_b32 s5, s4
	s_cbranch_execz .LBB352_197
.LBB352_260:
	v_sub_nc_u32_e32 v11, v37, v3
	s_delay_alu instid0(VALU_DEP_1)
	v_lshlrev_b32_e32 v11, 2, v11
	ds_store_b32 v11, v12
	s_or_b32 exec_lo, exec_lo, s5
	s_and_saveexec_b32 s4, s3
	s_cbranch_execz .LBB352_198
.LBB352_261:
	v_sub_nc_u32_e32 v11, v61, v3
	s_delay_alu instid0(VALU_DEP_1)
	v_lshlrev_b32_e32 v11, 2, v11
	ds_store_b32 v11, v9
	s_or_b32 exec_lo, exec_lo, s4
	s_and_saveexec_b32 s3, s1
	s_cbranch_execnz .LBB352_199
	s_branch .LBB352_200
.LBB352_262:
	v_sub_nc_u32_e32 v14, v53, v4
	v_mov_b32_e32 v15, 0
	s_delay_alu instid0(VALU_DEP_1) | instskip(NEXT) | instid1(VALU_DEP_1)
	v_lshlrev_b64 v[14:15], 2, v[14:15]
	v_add_co_u32 v14, vcc_lo, v11, v14
	s_delay_alu instid0(VALU_DEP_2)
	v_add_co_ci_u32_e32 v15, vcc_lo, v12, v15, vcc_lo
	global_store_b32 v[14:15], v54, off
	s_or_b32 exec_lo, exec_lo, s18
	s_and_saveexec_b32 s18, s13
	s_cbranch_execz .LBB352_204
.LBB352_263:
	v_sub_nc_u32_e32 v14, v59, v4
	v_mov_b32_e32 v15, 0
	s_delay_alu instid0(VALU_DEP_1) | instskip(NEXT) | instid1(VALU_DEP_1)
	v_lshlrev_b64 v[14:15], 2, v[14:15]
	v_add_co_u32 v14, vcc_lo, v11, v14
	s_delay_alu instid0(VALU_DEP_2)
	v_add_co_ci_u32_e32 v15, vcc_lo, v12, v15, vcc_lo
	global_store_b32 v[14:15], v60, off
	s_or_b32 exec_lo, exec_lo, s18
	s_and_saveexec_b32 s18, s12
	s_cbranch_execz .LBB352_205
.LBB352_264:
	v_sub_nc_u32_e32 v14, v55, v4
	v_mov_b32_e32 v15, 0
	s_delay_alu instid0(VALU_DEP_1) | instskip(NEXT) | instid1(VALU_DEP_1)
	v_lshlrev_b64 v[14:15], 2, v[14:15]
	v_add_co_u32 v14, vcc_lo, v11, v14
	s_delay_alu instid0(VALU_DEP_2)
	v_add_co_ci_u32_e32 v15, vcc_lo, v12, v15, vcc_lo
	global_store_b32 v[14:15], v56, off
	s_or_b32 exec_lo, exec_lo, s18
	s_and_saveexec_b32 s18, s11
	s_cbranch_execz .LBB352_206
.LBB352_265:
	v_sub_nc_u32_e32 v14, v51, v4
	v_mov_b32_e32 v15, 0
	s_delay_alu instid0(VALU_DEP_1) | instskip(NEXT) | instid1(VALU_DEP_1)
	v_lshlrev_b64 v[14:15], 2, v[14:15]
	v_add_co_u32 v14, vcc_lo, v11, v14
	s_delay_alu instid0(VALU_DEP_2)
	v_add_co_ci_u32_e32 v15, vcc_lo, v12, v15, vcc_lo
	global_store_b32 v[14:15], v52, off
	s_or_b32 exec_lo, exec_lo, s18
	s_and_saveexec_b32 s18, s10
	s_cbranch_execz .LBB352_207
.LBB352_266:
	v_sub_nc_u32_e32 v14, v45, v4
	v_mov_b32_e32 v15, 0
	s_delay_alu instid0(VALU_DEP_1) | instskip(NEXT) | instid1(VALU_DEP_1)
	v_lshlrev_b64 v[14:15], 2, v[14:15]
	v_add_co_u32 v14, vcc_lo, v11, v14
	s_delay_alu instid0(VALU_DEP_2)
	v_add_co_ci_u32_e32 v15, vcc_lo, v12, v15, vcc_lo
	global_store_b32 v[14:15], v46, off
	s_or_b32 exec_lo, exec_lo, s18
	s_and_saveexec_b32 s18, s9
	s_cbranch_execz .LBB352_208
.LBB352_267:
	v_sub_nc_u32_e32 v14, v41, v4
	v_mov_b32_e32 v15, 0
	s_delay_alu instid0(VALU_DEP_1) | instskip(NEXT) | instid1(VALU_DEP_1)
	v_lshlrev_b64 v[14:15], 2, v[14:15]
	v_add_co_u32 v14, vcc_lo, v11, v14
	s_delay_alu instid0(VALU_DEP_2)
	v_add_co_ci_u32_e32 v15, vcc_lo, v12, v15, vcc_lo
	global_store_b32 v[14:15], v42, off
	s_or_b32 exec_lo, exec_lo, s18
	s_and_saveexec_b32 s18, s8
	s_cbranch_execz .LBB352_209
.LBB352_268:
	v_sub_nc_u32_e32 v14, v39, v4
	v_mov_b32_e32 v15, 0
	s_delay_alu instid0(VALU_DEP_1) | instskip(NEXT) | instid1(VALU_DEP_1)
	v_lshlrev_b64 v[14:15], 2, v[14:15]
	v_add_co_u32 v14, vcc_lo, v11, v14
	s_delay_alu instid0(VALU_DEP_2)
	v_add_co_ci_u32_e32 v15, vcc_lo, v12, v15, vcc_lo
	global_store_b32 v[14:15], v40, off
	s_or_b32 exec_lo, exec_lo, s18
	s_and_saveexec_b32 s18, s7
	s_cbranch_execz .LBB352_210
.LBB352_269:
	v_sub_nc_u32_e32 v14, v43, v4
	v_mov_b32_e32 v15, 0
	s_delay_alu instid0(VALU_DEP_1) | instskip(NEXT) | instid1(VALU_DEP_1)
	v_lshlrev_b64 v[14:15], 2, v[14:15]
	v_add_co_u32 v14, vcc_lo, v11, v14
	s_delay_alu instid0(VALU_DEP_2)
	v_add_co_ci_u32_e32 v15, vcc_lo, v12, v15, vcc_lo
	global_store_b32 v[14:15], v44, off
	s_or_b32 exec_lo, exec_lo, s18
	s_and_saveexec_b32 s18, s6
	s_cbranch_execz .LBB352_211
.LBB352_270:
	v_sub_nc_u32_e32 v14, v47, v4
	v_mov_b32_e32 v15, 0
	s_delay_alu instid0(VALU_DEP_1) | instskip(NEXT) | instid1(VALU_DEP_1)
	v_lshlrev_b64 v[14:15], 2, v[14:15]
	v_add_co_u32 v14, vcc_lo, v11, v14
	s_delay_alu instid0(VALU_DEP_2)
	v_add_co_ci_u32_e32 v15, vcc_lo, v12, v15, vcc_lo
	global_store_b32 v[14:15], v48, off
	s_or_b32 exec_lo, exec_lo, s18
	s_and_saveexec_b32 s18, s5
	s_cbranch_execz .LBB352_212
.LBB352_271:
	v_sub_nc_u32_e32 v14, v5, v4
	v_mov_b32_e32 v15, 0
	s_delay_alu instid0(VALU_DEP_1) | instskip(NEXT) | instid1(VALU_DEP_1)
	v_lshlrev_b64 v[14:15], 2, v[14:15]
	v_add_co_u32 v14, vcc_lo, v11, v14
	s_delay_alu instid0(VALU_DEP_2)
	v_add_co_ci_u32_e32 v15, vcc_lo, v12, v15, vcc_lo
	global_store_b32 v[14:15], v6, off
	s_or_b32 exec_lo, exec_lo, s18
	s_and_saveexec_b32 s18, s4
	s_cbranch_execz .LBB352_213
.LBB352_272:
	v_sub_nc_u32_e32 v14, v7, v4
	v_mov_b32_e32 v15, 0
	s_delay_alu instid0(VALU_DEP_1) | instskip(NEXT) | instid1(VALU_DEP_1)
	v_lshlrev_b64 v[14:15], 2, v[14:15]
	v_add_co_u32 v14, vcc_lo, v11, v14
	s_delay_alu instid0(VALU_DEP_2)
	v_add_co_ci_u32_e32 v15, vcc_lo, v12, v15, vcc_lo
	global_store_b32 v[14:15], v8, off
	s_or_b32 exec_lo, exec_lo, s18
	s_and_saveexec_b32 s18, s3
	s_cbranch_execz .LBB352_214
.LBB352_273:
	v_sub_nc_u32_e32 v14, v37, v4
	v_mov_b32_e32 v15, 0
	s_delay_alu instid0(VALU_DEP_1) | instskip(NEXT) | instid1(VALU_DEP_1)
	v_lshlrev_b64 v[14:15], 2, v[14:15]
	v_add_co_u32 v14, vcc_lo, v11, v14
	s_delay_alu instid0(VALU_DEP_2)
	v_add_co_ci_u32_e32 v15, vcc_lo, v12, v15, vcc_lo
	global_store_b32 v[14:15], v38, off
	s_or_b32 exec_lo, exec_lo, s18
	s_and_saveexec_b32 s18, s2
	s_cbranch_execz .LBB352_215
.LBB352_274:
	v_sub_nc_u32_e32 v14, v61, v4
	v_mov_b32_e32 v15, 0
	s_delay_alu instid0(VALU_DEP_1) | instskip(NEXT) | instid1(VALU_DEP_1)
	v_lshlrev_b64 v[14:15], 2, v[14:15]
	v_add_co_u32 v14, vcc_lo, v11, v14
	s_delay_alu instid0(VALU_DEP_2)
	v_add_co_ci_u32_e32 v15, vcc_lo, v12, v15, vcc_lo
	global_store_b32 v[14:15], v62, off
	s_or_b32 exec_lo, exec_lo, s18
	s_and_saveexec_b32 s18, s1
	s_cbranch_execnz .LBB352_216
	s_branch .LBB352_217
.LBB352_275:
	v_sub_nc_u32_e32 v13, v53, v4
	s_delay_alu instid0(VALU_DEP_1)
	v_lshlrev_b32_e32 v13, 2, v13
	ds_store_b32 v13, v54
	s_or_b32 exec_lo, exec_lo, s18
	s_and_saveexec_b32 s14, s13
	s_cbranch_execz .LBB352_221
.LBB352_276:
	v_sub_nc_u32_e32 v13, v59, v4
	s_delay_alu instid0(VALU_DEP_1)
	v_lshlrev_b32_e32 v13, 2, v13
	ds_store_b32 v13, v60
	s_or_b32 exec_lo, exec_lo, s14
	s_and_saveexec_b32 s13, s12
	s_cbranch_execz .LBB352_222
.LBB352_277:
	v_sub_nc_u32_e32 v13, v55, v4
	s_delay_alu instid0(VALU_DEP_1)
	v_lshlrev_b32_e32 v13, 2, v13
	ds_store_b32 v13, v56
	s_or_b32 exec_lo, exec_lo, s13
	s_and_saveexec_b32 s12, s11
	s_cbranch_execz .LBB352_223
.LBB352_278:
	v_sub_nc_u32_e32 v13, v51, v4
	s_delay_alu instid0(VALU_DEP_1)
	v_lshlrev_b32_e32 v13, 2, v13
	ds_store_b32 v13, v52
	s_or_b32 exec_lo, exec_lo, s12
	s_and_saveexec_b32 s11, s10
	s_cbranch_execz .LBB352_224
.LBB352_279:
	v_sub_nc_u32_e32 v13, v45, v4
	s_delay_alu instid0(VALU_DEP_1)
	v_lshlrev_b32_e32 v13, 2, v13
	ds_store_b32 v13, v46
	s_or_b32 exec_lo, exec_lo, s11
	s_and_saveexec_b32 s10, s9
	s_cbranch_execz .LBB352_225
.LBB352_280:
	v_sub_nc_u32_e32 v13, v41, v4
	s_delay_alu instid0(VALU_DEP_1)
	v_lshlrev_b32_e32 v13, 2, v13
	ds_store_b32 v13, v42
	s_or_b32 exec_lo, exec_lo, s10
	s_and_saveexec_b32 s9, s8
	s_cbranch_execz .LBB352_226
.LBB352_281:
	v_sub_nc_u32_e32 v13, v39, v4
	s_delay_alu instid0(VALU_DEP_1)
	v_lshlrev_b32_e32 v13, 2, v13
	ds_store_b32 v13, v40
	s_or_b32 exec_lo, exec_lo, s9
	s_and_saveexec_b32 s8, s7
	s_cbranch_execz .LBB352_227
.LBB352_282:
	v_sub_nc_u32_e32 v13, v43, v4
	s_delay_alu instid0(VALU_DEP_1)
	v_lshlrev_b32_e32 v13, 2, v13
	ds_store_b32 v13, v44
	s_or_b32 exec_lo, exec_lo, s8
	s_and_saveexec_b32 s7, s6
	s_cbranch_execz .LBB352_228
.LBB352_283:
	v_sub_nc_u32_e32 v13, v47, v4
	s_delay_alu instid0(VALU_DEP_1)
	v_lshlrev_b32_e32 v13, 2, v13
	ds_store_b32 v13, v48
	s_or_b32 exec_lo, exec_lo, s7
	s_and_saveexec_b32 s6, s5
	s_cbranch_execz .LBB352_229
.LBB352_284:
	v_sub_nc_u32_e32 v5, v5, v4
	s_delay_alu instid0(VALU_DEP_1)
	v_lshlrev_b32_e32 v5, 2, v5
	ds_store_b32 v5, v6
	s_or_b32 exec_lo, exec_lo, s6
	s_and_saveexec_b32 s5, s4
	s_cbranch_execz .LBB352_230
.LBB352_285:
	v_sub_nc_u32_e32 v5, v7, v4
	s_delay_alu instid0(VALU_DEP_1)
	v_lshlrev_b32_e32 v5, 2, v5
	ds_store_b32 v5, v8
	s_or_b32 exec_lo, exec_lo, s5
	s_and_saveexec_b32 s4, s3
	s_cbranch_execz .LBB352_231
.LBB352_286:
	v_sub_nc_u32_e32 v5, v37, v4
	s_delay_alu instid0(VALU_DEP_1)
	v_lshlrev_b32_e32 v5, 2, v5
	ds_store_b32 v5, v38
	s_or_b32 exec_lo, exec_lo, s4
	s_and_saveexec_b32 s3, s2
	s_cbranch_execz .LBB352_232
.LBB352_287:
	v_sub_nc_u32_e32 v5, v61, v4
	s_delay_alu instid0(VALU_DEP_1)
	v_lshlrev_b32_e32 v5, 2, v5
	ds_store_b32 v5, v62
	s_or_b32 exec_lo, exec_lo, s3
	s_and_saveexec_b32 s2, s1
	s_cbranch_execnz .LBB352_233
	s_branch .LBB352_234
	.section	.rodata,"a",@progbits
	.p2align	6, 0x0
	.amdhsa_kernel _ZN7rocprim17ROCPRIM_400000_NS6detail17trampoline_kernelINS0_14default_configENS1_29reduce_by_key_config_selectorIjjN6thrust23THRUST_200600_302600_NS4plusIjEEEEZZNS1_33reduce_by_key_impl_wrapped_configILNS1_25lookback_scan_determinismE0ES3_S9_NS6_6detail15normal_iteratorINS6_10device_ptrIjEEEESG_SG_SG_PmS8_NS6_8equal_toIjEEEE10hipError_tPvRmT2_T3_mT4_T5_T6_T7_T8_P12ihipStream_tbENKUlT_T0_E_clISt17integral_constantIbLb0EES10_IbLb1EEEEDaSW_SX_EUlSW_E_NS1_11comp_targetILNS1_3genE9ELNS1_11target_archE1100ELNS1_3gpuE3ELNS1_3repE0EEENS1_30default_config_static_selectorELNS0_4arch9wavefront6targetE0EEEvT1_
		.amdhsa_group_segment_fixed_size 15360
		.amdhsa_private_segment_fixed_size 0
		.amdhsa_kernarg_size 120
		.amdhsa_user_sgpr_count 15
		.amdhsa_user_sgpr_dispatch_ptr 0
		.amdhsa_user_sgpr_queue_ptr 0
		.amdhsa_user_sgpr_kernarg_segment_ptr 1
		.amdhsa_user_sgpr_dispatch_id 0
		.amdhsa_user_sgpr_private_segment_size 0
		.amdhsa_wavefront_size32 1
		.amdhsa_uses_dynamic_stack 0
		.amdhsa_enable_private_segment 0
		.amdhsa_system_sgpr_workgroup_id_x 1
		.amdhsa_system_sgpr_workgroup_id_y 0
		.amdhsa_system_sgpr_workgroup_id_z 0
		.amdhsa_system_sgpr_workgroup_info 0
		.amdhsa_system_vgpr_workitem_id 0
		.amdhsa_next_free_vgpr 86
		.amdhsa_next_free_sgpr 44
		.amdhsa_reserve_vcc 1
		.amdhsa_float_round_mode_32 0
		.amdhsa_float_round_mode_16_64 0
		.amdhsa_float_denorm_mode_32 3
		.amdhsa_float_denorm_mode_16_64 3
		.amdhsa_dx10_clamp 1
		.amdhsa_ieee_mode 1
		.amdhsa_fp16_overflow 0
		.amdhsa_workgroup_processor_mode 1
		.amdhsa_memory_ordered 1
		.amdhsa_forward_progress 0
		.amdhsa_shared_vgpr_count 0
		.amdhsa_exception_fp_ieee_invalid_op 0
		.amdhsa_exception_fp_denorm_src 0
		.amdhsa_exception_fp_ieee_div_zero 0
		.amdhsa_exception_fp_ieee_overflow 0
		.amdhsa_exception_fp_ieee_underflow 0
		.amdhsa_exception_fp_ieee_inexact 0
		.amdhsa_exception_int_div_zero 0
	.end_amdhsa_kernel
	.section	.text._ZN7rocprim17ROCPRIM_400000_NS6detail17trampoline_kernelINS0_14default_configENS1_29reduce_by_key_config_selectorIjjN6thrust23THRUST_200600_302600_NS4plusIjEEEEZZNS1_33reduce_by_key_impl_wrapped_configILNS1_25lookback_scan_determinismE0ES3_S9_NS6_6detail15normal_iteratorINS6_10device_ptrIjEEEESG_SG_SG_PmS8_NS6_8equal_toIjEEEE10hipError_tPvRmT2_T3_mT4_T5_T6_T7_T8_P12ihipStream_tbENKUlT_T0_E_clISt17integral_constantIbLb0EES10_IbLb1EEEEDaSW_SX_EUlSW_E_NS1_11comp_targetILNS1_3genE9ELNS1_11target_archE1100ELNS1_3gpuE3ELNS1_3repE0EEENS1_30default_config_static_selectorELNS0_4arch9wavefront6targetE0EEEvT1_,"axG",@progbits,_ZN7rocprim17ROCPRIM_400000_NS6detail17trampoline_kernelINS0_14default_configENS1_29reduce_by_key_config_selectorIjjN6thrust23THRUST_200600_302600_NS4plusIjEEEEZZNS1_33reduce_by_key_impl_wrapped_configILNS1_25lookback_scan_determinismE0ES3_S9_NS6_6detail15normal_iteratorINS6_10device_ptrIjEEEESG_SG_SG_PmS8_NS6_8equal_toIjEEEE10hipError_tPvRmT2_T3_mT4_T5_T6_T7_T8_P12ihipStream_tbENKUlT_T0_E_clISt17integral_constantIbLb0EES10_IbLb1EEEEDaSW_SX_EUlSW_E_NS1_11comp_targetILNS1_3genE9ELNS1_11target_archE1100ELNS1_3gpuE3ELNS1_3repE0EEENS1_30default_config_static_selectorELNS0_4arch9wavefront6targetE0EEEvT1_,comdat
.Lfunc_end352:
	.size	_ZN7rocprim17ROCPRIM_400000_NS6detail17trampoline_kernelINS0_14default_configENS1_29reduce_by_key_config_selectorIjjN6thrust23THRUST_200600_302600_NS4plusIjEEEEZZNS1_33reduce_by_key_impl_wrapped_configILNS1_25lookback_scan_determinismE0ES3_S9_NS6_6detail15normal_iteratorINS6_10device_ptrIjEEEESG_SG_SG_PmS8_NS6_8equal_toIjEEEE10hipError_tPvRmT2_T3_mT4_T5_T6_T7_T8_P12ihipStream_tbENKUlT_T0_E_clISt17integral_constantIbLb0EES10_IbLb1EEEEDaSW_SX_EUlSW_E_NS1_11comp_targetILNS1_3genE9ELNS1_11target_archE1100ELNS1_3gpuE3ELNS1_3repE0EEENS1_30default_config_static_selectorELNS0_4arch9wavefront6targetE0EEEvT1_, .Lfunc_end352-_ZN7rocprim17ROCPRIM_400000_NS6detail17trampoline_kernelINS0_14default_configENS1_29reduce_by_key_config_selectorIjjN6thrust23THRUST_200600_302600_NS4plusIjEEEEZZNS1_33reduce_by_key_impl_wrapped_configILNS1_25lookback_scan_determinismE0ES3_S9_NS6_6detail15normal_iteratorINS6_10device_ptrIjEEEESG_SG_SG_PmS8_NS6_8equal_toIjEEEE10hipError_tPvRmT2_T3_mT4_T5_T6_T7_T8_P12ihipStream_tbENKUlT_T0_E_clISt17integral_constantIbLb0EES10_IbLb1EEEEDaSW_SX_EUlSW_E_NS1_11comp_targetILNS1_3genE9ELNS1_11target_archE1100ELNS1_3gpuE3ELNS1_3repE0EEENS1_30default_config_static_selectorELNS0_4arch9wavefront6targetE0EEEvT1_
                                        ; -- End function
	.section	.AMDGPU.csdata,"",@progbits
; Kernel info:
; codeLenInByte = 17132
; NumSgprs: 46
; NumVgprs: 86
; ScratchSize: 0
; MemoryBound: 0
; FloatMode: 240
; IeeeMode: 1
; LDSByteSize: 15360 bytes/workgroup (compile time only)
; SGPRBlocks: 5
; VGPRBlocks: 10
; NumSGPRsForWavesPerEU: 46
; NumVGPRsForWavesPerEU: 86
; Occupancy: 16
; WaveLimiterHint : 1
; COMPUTE_PGM_RSRC2:SCRATCH_EN: 0
; COMPUTE_PGM_RSRC2:USER_SGPR: 15
; COMPUTE_PGM_RSRC2:TRAP_HANDLER: 0
; COMPUTE_PGM_RSRC2:TGID_X_EN: 1
; COMPUTE_PGM_RSRC2:TGID_Y_EN: 0
; COMPUTE_PGM_RSRC2:TGID_Z_EN: 0
; COMPUTE_PGM_RSRC2:TIDIG_COMP_CNT: 0
	.section	.text._ZN7rocprim17ROCPRIM_400000_NS6detail17trampoline_kernelINS0_14default_configENS1_29reduce_by_key_config_selectorIjjN6thrust23THRUST_200600_302600_NS4plusIjEEEEZZNS1_33reduce_by_key_impl_wrapped_configILNS1_25lookback_scan_determinismE0ES3_S9_NS6_6detail15normal_iteratorINS6_10device_ptrIjEEEESG_SG_SG_PmS8_NS6_8equal_toIjEEEE10hipError_tPvRmT2_T3_mT4_T5_T6_T7_T8_P12ihipStream_tbENKUlT_T0_E_clISt17integral_constantIbLb0EES10_IbLb1EEEEDaSW_SX_EUlSW_E_NS1_11comp_targetILNS1_3genE8ELNS1_11target_archE1030ELNS1_3gpuE2ELNS1_3repE0EEENS1_30default_config_static_selectorELNS0_4arch9wavefront6targetE0EEEvT1_,"axG",@progbits,_ZN7rocprim17ROCPRIM_400000_NS6detail17trampoline_kernelINS0_14default_configENS1_29reduce_by_key_config_selectorIjjN6thrust23THRUST_200600_302600_NS4plusIjEEEEZZNS1_33reduce_by_key_impl_wrapped_configILNS1_25lookback_scan_determinismE0ES3_S9_NS6_6detail15normal_iteratorINS6_10device_ptrIjEEEESG_SG_SG_PmS8_NS6_8equal_toIjEEEE10hipError_tPvRmT2_T3_mT4_T5_T6_T7_T8_P12ihipStream_tbENKUlT_T0_E_clISt17integral_constantIbLb0EES10_IbLb1EEEEDaSW_SX_EUlSW_E_NS1_11comp_targetILNS1_3genE8ELNS1_11target_archE1030ELNS1_3gpuE2ELNS1_3repE0EEENS1_30default_config_static_selectorELNS0_4arch9wavefront6targetE0EEEvT1_,comdat
	.protected	_ZN7rocprim17ROCPRIM_400000_NS6detail17trampoline_kernelINS0_14default_configENS1_29reduce_by_key_config_selectorIjjN6thrust23THRUST_200600_302600_NS4plusIjEEEEZZNS1_33reduce_by_key_impl_wrapped_configILNS1_25lookback_scan_determinismE0ES3_S9_NS6_6detail15normal_iteratorINS6_10device_ptrIjEEEESG_SG_SG_PmS8_NS6_8equal_toIjEEEE10hipError_tPvRmT2_T3_mT4_T5_T6_T7_T8_P12ihipStream_tbENKUlT_T0_E_clISt17integral_constantIbLb0EES10_IbLb1EEEEDaSW_SX_EUlSW_E_NS1_11comp_targetILNS1_3genE8ELNS1_11target_archE1030ELNS1_3gpuE2ELNS1_3repE0EEENS1_30default_config_static_selectorELNS0_4arch9wavefront6targetE0EEEvT1_ ; -- Begin function _ZN7rocprim17ROCPRIM_400000_NS6detail17trampoline_kernelINS0_14default_configENS1_29reduce_by_key_config_selectorIjjN6thrust23THRUST_200600_302600_NS4plusIjEEEEZZNS1_33reduce_by_key_impl_wrapped_configILNS1_25lookback_scan_determinismE0ES3_S9_NS6_6detail15normal_iteratorINS6_10device_ptrIjEEEESG_SG_SG_PmS8_NS6_8equal_toIjEEEE10hipError_tPvRmT2_T3_mT4_T5_T6_T7_T8_P12ihipStream_tbENKUlT_T0_E_clISt17integral_constantIbLb0EES10_IbLb1EEEEDaSW_SX_EUlSW_E_NS1_11comp_targetILNS1_3genE8ELNS1_11target_archE1030ELNS1_3gpuE2ELNS1_3repE0EEENS1_30default_config_static_selectorELNS0_4arch9wavefront6targetE0EEEvT1_
	.globl	_ZN7rocprim17ROCPRIM_400000_NS6detail17trampoline_kernelINS0_14default_configENS1_29reduce_by_key_config_selectorIjjN6thrust23THRUST_200600_302600_NS4plusIjEEEEZZNS1_33reduce_by_key_impl_wrapped_configILNS1_25lookback_scan_determinismE0ES3_S9_NS6_6detail15normal_iteratorINS6_10device_ptrIjEEEESG_SG_SG_PmS8_NS6_8equal_toIjEEEE10hipError_tPvRmT2_T3_mT4_T5_T6_T7_T8_P12ihipStream_tbENKUlT_T0_E_clISt17integral_constantIbLb0EES10_IbLb1EEEEDaSW_SX_EUlSW_E_NS1_11comp_targetILNS1_3genE8ELNS1_11target_archE1030ELNS1_3gpuE2ELNS1_3repE0EEENS1_30default_config_static_selectorELNS0_4arch9wavefront6targetE0EEEvT1_
	.p2align	8
	.type	_ZN7rocprim17ROCPRIM_400000_NS6detail17trampoline_kernelINS0_14default_configENS1_29reduce_by_key_config_selectorIjjN6thrust23THRUST_200600_302600_NS4plusIjEEEEZZNS1_33reduce_by_key_impl_wrapped_configILNS1_25lookback_scan_determinismE0ES3_S9_NS6_6detail15normal_iteratorINS6_10device_ptrIjEEEESG_SG_SG_PmS8_NS6_8equal_toIjEEEE10hipError_tPvRmT2_T3_mT4_T5_T6_T7_T8_P12ihipStream_tbENKUlT_T0_E_clISt17integral_constantIbLb0EES10_IbLb1EEEEDaSW_SX_EUlSW_E_NS1_11comp_targetILNS1_3genE8ELNS1_11target_archE1030ELNS1_3gpuE2ELNS1_3repE0EEENS1_30default_config_static_selectorELNS0_4arch9wavefront6targetE0EEEvT1_,@function
_ZN7rocprim17ROCPRIM_400000_NS6detail17trampoline_kernelINS0_14default_configENS1_29reduce_by_key_config_selectorIjjN6thrust23THRUST_200600_302600_NS4plusIjEEEEZZNS1_33reduce_by_key_impl_wrapped_configILNS1_25lookback_scan_determinismE0ES3_S9_NS6_6detail15normal_iteratorINS6_10device_ptrIjEEEESG_SG_SG_PmS8_NS6_8equal_toIjEEEE10hipError_tPvRmT2_T3_mT4_T5_T6_T7_T8_P12ihipStream_tbENKUlT_T0_E_clISt17integral_constantIbLb0EES10_IbLb1EEEEDaSW_SX_EUlSW_E_NS1_11comp_targetILNS1_3genE8ELNS1_11target_archE1030ELNS1_3gpuE2ELNS1_3repE0EEENS1_30default_config_static_selectorELNS0_4arch9wavefront6targetE0EEEvT1_: ; @_ZN7rocprim17ROCPRIM_400000_NS6detail17trampoline_kernelINS0_14default_configENS1_29reduce_by_key_config_selectorIjjN6thrust23THRUST_200600_302600_NS4plusIjEEEEZZNS1_33reduce_by_key_impl_wrapped_configILNS1_25lookback_scan_determinismE0ES3_S9_NS6_6detail15normal_iteratorINS6_10device_ptrIjEEEESG_SG_SG_PmS8_NS6_8equal_toIjEEEE10hipError_tPvRmT2_T3_mT4_T5_T6_T7_T8_P12ihipStream_tbENKUlT_T0_E_clISt17integral_constantIbLb0EES10_IbLb1EEEEDaSW_SX_EUlSW_E_NS1_11comp_targetILNS1_3genE8ELNS1_11target_archE1030ELNS1_3gpuE2ELNS1_3repE0EEENS1_30default_config_static_selectorELNS0_4arch9wavefront6targetE0EEEvT1_
; %bb.0:
	.section	.rodata,"a",@progbits
	.p2align	6, 0x0
	.amdhsa_kernel _ZN7rocprim17ROCPRIM_400000_NS6detail17trampoline_kernelINS0_14default_configENS1_29reduce_by_key_config_selectorIjjN6thrust23THRUST_200600_302600_NS4plusIjEEEEZZNS1_33reduce_by_key_impl_wrapped_configILNS1_25lookback_scan_determinismE0ES3_S9_NS6_6detail15normal_iteratorINS6_10device_ptrIjEEEESG_SG_SG_PmS8_NS6_8equal_toIjEEEE10hipError_tPvRmT2_T3_mT4_T5_T6_T7_T8_P12ihipStream_tbENKUlT_T0_E_clISt17integral_constantIbLb0EES10_IbLb1EEEEDaSW_SX_EUlSW_E_NS1_11comp_targetILNS1_3genE8ELNS1_11target_archE1030ELNS1_3gpuE2ELNS1_3repE0EEENS1_30default_config_static_selectorELNS0_4arch9wavefront6targetE0EEEvT1_
		.amdhsa_group_segment_fixed_size 0
		.amdhsa_private_segment_fixed_size 0
		.amdhsa_kernarg_size 120
		.amdhsa_user_sgpr_count 15
		.amdhsa_user_sgpr_dispatch_ptr 0
		.amdhsa_user_sgpr_queue_ptr 0
		.amdhsa_user_sgpr_kernarg_segment_ptr 1
		.amdhsa_user_sgpr_dispatch_id 0
		.amdhsa_user_sgpr_private_segment_size 0
		.amdhsa_wavefront_size32 1
		.amdhsa_uses_dynamic_stack 0
		.amdhsa_enable_private_segment 0
		.amdhsa_system_sgpr_workgroup_id_x 1
		.amdhsa_system_sgpr_workgroup_id_y 0
		.amdhsa_system_sgpr_workgroup_id_z 0
		.amdhsa_system_sgpr_workgroup_info 0
		.amdhsa_system_vgpr_workitem_id 0
		.amdhsa_next_free_vgpr 1
		.amdhsa_next_free_sgpr 1
		.amdhsa_reserve_vcc 0
		.amdhsa_float_round_mode_32 0
		.amdhsa_float_round_mode_16_64 0
		.amdhsa_float_denorm_mode_32 3
		.amdhsa_float_denorm_mode_16_64 3
		.amdhsa_dx10_clamp 1
		.amdhsa_ieee_mode 1
		.amdhsa_fp16_overflow 0
		.amdhsa_workgroup_processor_mode 1
		.amdhsa_memory_ordered 1
		.amdhsa_forward_progress 0
		.amdhsa_shared_vgpr_count 0
		.amdhsa_exception_fp_ieee_invalid_op 0
		.amdhsa_exception_fp_denorm_src 0
		.amdhsa_exception_fp_ieee_div_zero 0
		.amdhsa_exception_fp_ieee_overflow 0
		.amdhsa_exception_fp_ieee_underflow 0
		.amdhsa_exception_fp_ieee_inexact 0
		.amdhsa_exception_int_div_zero 0
	.end_amdhsa_kernel
	.section	.text._ZN7rocprim17ROCPRIM_400000_NS6detail17trampoline_kernelINS0_14default_configENS1_29reduce_by_key_config_selectorIjjN6thrust23THRUST_200600_302600_NS4plusIjEEEEZZNS1_33reduce_by_key_impl_wrapped_configILNS1_25lookback_scan_determinismE0ES3_S9_NS6_6detail15normal_iteratorINS6_10device_ptrIjEEEESG_SG_SG_PmS8_NS6_8equal_toIjEEEE10hipError_tPvRmT2_T3_mT4_T5_T6_T7_T8_P12ihipStream_tbENKUlT_T0_E_clISt17integral_constantIbLb0EES10_IbLb1EEEEDaSW_SX_EUlSW_E_NS1_11comp_targetILNS1_3genE8ELNS1_11target_archE1030ELNS1_3gpuE2ELNS1_3repE0EEENS1_30default_config_static_selectorELNS0_4arch9wavefront6targetE0EEEvT1_,"axG",@progbits,_ZN7rocprim17ROCPRIM_400000_NS6detail17trampoline_kernelINS0_14default_configENS1_29reduce_by_key_config_selectorIjjN6thrust23THRUST_200600_302600_NS4plusIjEEEEZZNS1_33reduce_by_key_impl_wrapped_configILNS1_25lookback_scan_determinismE0ES3_S9_NS6_6detail15normal_iteratorINS6_10device_ptrIjEEEESG_SG_SG_PmS8_NS6_8equal_toIjEEEE10hipError_tPvRmT2_T3_mT4_T5_T6_T7_T8_P12ihipStream_tbENKUlT_T0_E_clISt17integral_constantIbLb0EES10_IbLb1EEEEDaSW_SX_EUlSW_E_NS1_11comp_targetILNS1_3genE8ELNS1_11target_archE1030ELNS1_3gpuE2ELNS1_3repE0EEENS1_30default_config_static_selectorELNS0_4arch9wavefront6targetE0EEEvT1_,comdat
.Lfunc_end353:
	.size	_ZN7rocprim17ROCPRIM_400000_NS6detail17trampoline_kernelINS0_14default_configENS1_29reduce_by_key_config_selectorIjjN6thrust23THRUST_200600_302600_NS4plusIjEEEEZZNS1_33reduce_by_key_impl_wrapped_configILNS1_25lookback_scan_determinismE0ES3_S9_NS6_6detail15normal_iteratorINS6_10device_ptrIjEEEESG_SG_SG_PmS8_NS6_8equal_toIjEEEE10hipError_tPvRmT2_T3_mT4_T5_T6_T7_T8_P12ihipStream_tbENKUlT_T0_E_clISt17integral_constantIbLb0EES10_IbLb1EEEEDaSW_SX_EUlSW_E_NS1_11comp_targetILNS1_3genE8ELNS1_11target_archE1030ELNS1_3gpuE2ELNS1_3repE0EEENS1_30default_config_static_selectorELNS0_4arch9wavefront6targetE0EEEvT1_, .Lfunc_end353-_ZN7rocprim17ROCPRIM_400000_NS6detail17trampoline_kernelINS0_14default_configENS1_29reduce_by_key_config_selectorIjjN6thrust23THRUST_200600_302600_NS4plusIjEEEEZZNS1_33reduce_by_key_impl_wrapped_configILNS1_25lookback_scan_determinismE0ES3_S9_NS6_6detail15normal_iteratorINS6_10device_ptrIjEEEESG_SG_SG_PmS8_NS6_8equal_toIjEEEE10hipError_tPvRmT2_T3_mT4_T5_T6_T7_T8_P12ihipStream_tbENKUlT_T0_E_clISt17integral_constantIbLb0EES10_IbLb1EEEEDaSW_SX_EUlSW_E_NS1_11comp_targetILNS1_3genE8ELNS1_11target_archE1030ELNS1_3gpuE2ELNS1_3repE0EEENS1_30default_config_static_selectorELNS0_4arch9wavefront6targetE0EEEvT1_
                                        ; -- End function
	.section	.AMDGPU.csdata,"",@progbits
; Kernel info:
; codeLenInByte = 0
; NumSgprs: 0
; NumVgprs: 0
; ScratchSize: 0
; MemoryBound: 0
; FloatMode: 240
; IeeeMode: 1
; LDSByteSize: 0 bytes/workgroup (compile time only)
; SGPRBlocks: 0
; VGPRBlocks: 0
; NumSGPRsForWavesPerEU: 1
; NumVGPRsForWavesPerEU: 1
; Occupancy: 16
; WaveLimiterHint : 0
; COMPUTE_PGM_RSRC2:SCRATCH_EN: 0
; COMPUTE_PGM_RSRC2:USER_SGPR: 15
; COMPUTE_PGM_RSRC2:TRAP_HANDLER: 0
; COMPUTE_PGM_RSRC2:TGID_X_EN: 1
; COMPUTE_PGM_RSRC2:TGID_Y_EN: 0
; COMPUTE_PGM_RSRC2:TGID_Z_EN: 0
; COMPUTE_PGM_RSRC2:TIDIG_COMP_CNT: 0
	.section	.text._ZN7rocprim17ROCPRIM_400000_NS6detail17trampoline_kernelINS0_14default_configENS1_29reduce_by_key_config_selectorIjjN6thrust23THRUST_200600_302600_NS4plusIjEEEEZZNS1_33reduce_by_key_impl_wrapped_configILNS1_25lookback_scan_determinismE0ES3_S9_NS6_6detail15normal_iteratorINS6_10device_ptrIjEEEESG_SG_SG_PmS8_22is_equal_div_10_reduceIjEEE10hipError_tPvRmT2_T3_mT4_T5_T6_T7_T8_P12ihipStream_tbENKUlT_T0_E_clISt17integral_constantIbLb0EES11_EEDaSW_SX_EUlSW_E_NS1_11comp_targetILNS1_3genE0ELNS1_11target_archE4294967295ELNS1_3gpuE0ELNS1_3repE0EEENS1_30default_config_static_selectorELNS0_4arch9wavefront6targetE0EEEvT1_,"axG",@progbits,_ZN7rocprim17ROCPRIM_400000_NS6detail17trampoline_kernelINS0_14default_configENS1_29reduce_by_key_config_selectorIjjN6thrust23THRUST_200600_302600_NS4plusIjEEEEZZNS1_33reduce_by_key_impl_wrapped_configILNS1_25lookback_scan_determinismE0ES3_S9_NS6_6detail15normal_iteratorINS6_10device_ptrIjEEEESG_SG_SG_PmS8_22is_equal_div_10_reduceIjEEE10hipError_tPvRmT2_T3_mT4_T5_T6_T7_T8_P12ihipStream_tbENKUlT_T0_E_clISt17integral_constantIbLb0EES11_EEDaSW_SX_EUlSW_E_NS1_11comp_targetILNS1_3genE0ELNS1_11target_archE4294967295ELNS1_3gpuE0ELNS1_3repE0EEENS1_30default_config_static_selectorELNS0_4arch9wavefront6targetE0EEEvT1_,comdat
	.protected	_ZN7rocprim17ROCPRIM_400000_NS6detail17trampoline_kernelINS0_14default_configENS1_29reduce_by_key_config_selectorIjjN6thrust23THRUST_200600_302600_NS4plusIjEEEEZZNS1_33reduce_by_key_impl_wrapped_configILNS1_25lookback_scan_determinismE0ES3_S9_NS6_6detail15normal_iteratorINS6_10device_ptrIjEEEESG_SG_SG_PmS8_22is_equal_div_10_reduceIjEEE10hipError_tPvRmT2_T3_mT4_T5_T6_T7_T8_P12ihipStream_tbENKUlT_T0_E_clISt17integral_constantIbLb0EES11_EEDaSW_SX_EUlSW_E_NS1_11comp_targetILNS1_3genE0ELNS1_11target_archE4294967295ELNS1_3gpuE0ELNS1_3repE0EEENS1_30default_config_static_selectorELNS0_4arch9wavefront6targetE0EEEvT1_ ; -- Begin function _ZN7rocprim17ROCPRIM_400000_NS6detail17trampoline_kernelINS0_14default_configENS1_29reduce_by_key_config_selectorIjjN6thrust23THRUST_200600_302600_NS4plusIjEEEEZZNS1_33reduce_by_key_impl_wrapped_configILNS1_25lookback_scan_determinismE0ES3_S9_NS6_6detail15normal_iteratorINS6_10device_ptrIjEEEESG_SG_SG_PmS8_22is_equal_div_10_reduceIjEEE10hipError_tPvRmT2_T3_mT4_T5_T6_T7_T8_P12ihipStream_tbENKUlT_T0_E_clISt17integral_constantIbLb0EES11_EEDaSW_SX_EUlSW_E_NS1_11comp_targetILNS1_3genE0ELNS1_11target_archE4294967295ELNS1_3gpuE0ELNS1_3repE0EEENS1_30default_config_static_selectorELNS0_4arch9wavefront6targetE0EEEvT1_
	.globl	_ZN7rocprim17ROCPRIM_400000_NS6detail17trampoline_kernelINS0_14default_configENS1_29reduce_by_key_config_selectorIjjN6thrust23THRUST_200600_302600_NS4plusIjEEEEZZNS1_33reduce_by_key_impl_wrapped_configILNS1_25lookback_scan_determinismE0ES3_S9_NS6_6detail15normal_iteratorINS6_10device_ptrIjEEEESG_SG_SG_PmS8_22is_equal_div_10_reduceIjEEE10hipError_tPvRmT2_T3_mT4_T5_T6_T7_T8_P12ihipStream_tbENKUlT_T0_E_clISt17integral_constantIbLb0EES11_EEDaSW_SX_EUlSW_E_NS1_11comp_targetILNS1_3genE0ELNS1_11target_archE4294967295ELNS1_3gpuE0ELNS1_3repE0EEENS1_30default_config_static_selectorELNS0_4arch9wavefront6targetE0EEEvT1_
	.p2align	8
	.type	_ZN7rocprim17ROCPRIM_400000_NS6detail17trampoline_kernelINS0_14default_configENS1_29reduce_by_key_config_selectorIjjN6thrust23THRUST_200600_302600_NS4plusIjEEEEZZNS1_33reduce_by_key_impl_wrapped_configILNS1_25lookback_scan_determinismE0ES3_S9_NS6_6detail15normal_iteratorINS6_10device_ptrIjEEEESG_SG_SG_PmS8_22is_equal_div_10_reduceIjEEE10hipError_tPvRmT2_T3_mT4_T5_T6_T7_T8_P12ihipStream_tbENKUlT_T0_E_clISt17integral_constantIbLb0EES11_EEDaSW_SX_EUlSW_E_NS1_11comp_targetILNS1_3genE0ELNS1_11target_archE4294967295ELNS1_3gpuE0ELNS1_3repE0EEENS1_30default_config_static_selectorELNS0_4arch9wavefront6targetE0EEEvT1_,@function
_ZN7rocprim17ROCPRIM_400000_NS6detail17trampoline_kernelINS0_14default_configENS1_29reduce_by_key_config_selectorIjjN6thrust23THRUST_200600_302600_NS4plusIjEEEEZZNS1_33reduce_by_key_impl_wrapped_configILNS1_25lookback_scan_determinismE0ES3_S9_NS6_6detail15normal_iteratorINS6_10device_ptrIjEEEESG_SG_SG_PmS8_22is_equal_div_10_reduceIjEEE10hipError_tPvRmT2_T3_mT4_T5_T6_T7_T8_P12ihipStream_tbENKUlT_T0_E_clISt17integral_constantIbLb0EES11_EEDaSW_SX_EUlSW_E_NS1_11comp_targetILNS1_3genE0ELNS1_11target_archE4294967295ELNS1_3gpuE0ELNS1_3repE0EEENS1_30default_config_static_selectorELNS0_4arch9wavefront6targetE0EEEvT1_: ; @_ZN7rocprim17ROCPRIM_400000_NS6detail17trampoline_kernelINS0_14default_configENS1_29reduce_by_key_config_selectorIjjN6thrust23THRUST_200600_302600_NS4plusIjEEEEZZNS1_33reduce_by_key_impl_wrapped_configILNS1_25lookback_scan_determinismE0ES3_S9_NS6_6detail15normal_iteratorINS6_10device_ptrIjEEEESG_SG_SG_PmS8_22is_equal_div_10_reduceIjEEE10hipError_tPvRmT2_T3_mT4_T5_T6_T7_T8_P12ihipStream_tbENKUlT_T0_E_clISt17integral_constantIbLb0EES11_EEDaSW_SX_EUlSW_E_NS1_11comp_targetILNS1_3genE0ELNS1_11target_archE4294967295ELNS1_3gpuE0ELNS1_3repE0EEENS1_30default_config_static_selectorELNS0_4arch9wavefront6targetE0EEEvT1_
; %bb.0:
	.section	.rodata,"a",@progbits
	.p2align	6, 0x0
	.amdhsa_kernel _ZN7rocprim17ROCPRIM_400000_NS6detail17trampoline_kernelINS0_14default_configENS1_29reduce_by_key_config_selectorIjjN6thrust23THRUST_200600_302600_NS4plusIjEEEEZZNS1_33reduce_by_key_impl_wrapped_configILNS1_25lookback_scan_determinismE0ES3_S9_NS6_6detail15normal_iteratorINS6_10device_ptrIjEEEESG_SG_SG_PmS8_22is_equal_div_10_reduceIjEEE10hipError_tPvRmT2_T3_mT4_T5_T6_T7_T8_P12ihipStream_tbENKUlT_T0_E_clISt17integral_constantIbLb0EES11_EEDaSW_SX_EUlSW_E_NS1_11comp_targetILNS1_3genE0ELNS1_11target_archE4294967295ELNS1_3gpuE0ELNS1_3repE0EEENS1_30default_config_static_selectorELNS0_4arch9wavefront6targetE0EEEvT1_
		.amdhsa_group_segment_fixed_size 0
		.amdhsa_private_segment_fixed_size 0
		.amdhsa_kernarg_size 120
		.amdhsa_user_sgpr_count 15
		.amdhsa_user_sgpr_dispatch_ptr 0
		.amdhsa_user_sgpr_queue_ptr 0
		.amdhsa_user_sgpr_kernarg_segment_ptr 1
		.amdhsa_user_sgpr_dispatch_id 0
		.amdhsa_user_sgpr_private_segment_size 0
		.amdhsa_wavefront_size32 1
		.amdhsa_uses_dynamic_stack 0
		.amdhsa_enable_private_segment 0
		.amdhsa_system_sgpr_workgroup_id_x 1
		.amdhsa_system_sgpr_workgroup_id_y 0
		.amdhsa_system_sgpr_workgroup_id_z 0
		.amdhsa_system_sgpr_workgroup_info 0
		.amdhsa_system_vgpr_workitem_id 0
		.amdhsa_next_free_vgpr 1
		.amdhsa_next_free_sgpr 1
		.amdhsa_reserve_vcc 0
		.amdhsa_float_round_mode_32 0
		.amdhsa_float_round_mode_16_64 0
		.amdhsa_float_denorm_mode_32 3
		.amdhsa_float_denorm_mode_16_64 3
		.amdhsa_dx10_clamp 1
		.amdhsa_ieee_mode 1
		.amdhsa_fp16_overflow 0
		.amdhsa_workgroup_processor_mode 1
		.amdhsa_memory_ordered 1
		.amdhsa_forward_progress 0
		.amdhsa_shared_vgpr_count 0
		.amdhsa_exception_fp_ieee_invalid_op 0
		.amdhsa_exception_fp_denorm_src 0
		.amdhsa_exception_fp_ieee_div_zero 0
		.amdhsa_exception_fp_ieee_overflow 0
		.amdhsa_exception_fp_ieee_underflow 0
		.amdhsa_exception_fp_ieee_inexact 0
		.amdhsa_exception_int_div_zero 0
	.end_amdhsa_kernel
	.section	.text._ZN7rocprim17ROCPRIM_400000_NS6detail17trampoline_kernelINS0_14default_configENS1_29reduce_by_key_config_selectorIjjN6thrust23THRUST_200600_302600_NS4plusIjEEEEZZNS1_33reduce_by_key_impl_wrapped_configILNS1_25lookback_scan_determinismE0ES3_S9_NS6_6detail15normal_iteratorINS6_10device_ptrIjEEEESG_SG_SG_PmS8_22is_equal_div_10_reduceIjEEE10hipError_tPvRmT2_T3_mT4_T5_T6_T7_T8_P12ihipStream_tbENKUlT_T0_E_clISt17integral_constantIbLb0EES11_EEDaSW_SX_EUlSW_E_NS1_11comp_targetILNS1_3genE0ELNS1_11target_archE4294967295ELNS1_3gpuE0ELNS1_3repE0EEENS1_30default_config_static_selectorELNS0_4arch9wavefront6targetE0EEEvT1_,"axG",@progbits,_ZN7rocprim17ROCPRIM_400000_NS6detail17trampoline_kernelINS0_14default_configENS1_29reduce_by_key_config_selectorIjjN6thrust23THRUST_200600_302600_NS4plusIjEEEEZZNS1_33reduce_by_key_impl_wrapped_configILNS1_25lookback_scan_determinismE0ES3_S9_NS6_6detail15normal_iteratorINS6_10device_ptrIjEEEESG_SG_SG_PmS8_22is_equal_div_10_reduceIjEEE10hipError_tPvRmT2_T3_mT4_T5_T6_T7_T8_P12ihipStream_tbENKUlT_T0_E_clISt17integral_constantIbLb0EES11_EEDaSW_SX_EUlSW_E_NS1_11comp_targetILNS1_3genE0ELNS1_11target_archE4294967295ELNS1_3gpuE0ELNS1_3repE0EEENS1_30default_config_static_selectorELNS0_4arch9wavefront6targetE0EEEvT1_,comdat
.Lfunc_end354:
	.size	_ZN7rocprim17ROCPRIM_400000_NS6detail17trampoline_kernelINS0_14default_configENS1_29reduce_by_key_config_selectorIjjN6thrust23THRUST_200600_302600_NS4plusIjEEEEZZNS1_33reduce_by_key_impl_wrapped_configILNS1_25lookback_scan_determinismE0ES3_S9_NS6_6detail15normal_iteratorINS6_10device_ptrIjEEEESG_SG_SG_PmS8_22is_equal_div_10_reduceIjEEE10hipError_tPvRmT2_T3_mT4_T5_T6_T7_T8_P12ihipStream_tbENKUlT_T0_E_clISt17integral_constantIbLb0EES11_EEDaSW_SX_EUlSW_E_NS1_11comp_targetILNS1_3genE0ELNS1_11target_archE4294967295ELNS1_3gpuE0ELNS1_3repE0EEENS1_30default_config_static_selectorELNS0_4arch9wavefront6targetE0EEEvT1_, .Lfunc_end354-_ZN7rocprim17ROCPRIM_400000_NS6detail17trampoline_kernelINS0_14default_configENS1_29reduce_by_key_config_selectorIjjN6thrust23THRUST_200600_302600_NS4plusIjEEEEZZNS1_33reduce_by_key_impl_wrapped_configILNS1_25lookback_scan_determinismE0ES3_S9_NS6_6detail15normal_iteratorINS6_10device_ptrIjEEEESG_SG_SG_PmS8_22is_equal_div_10_reduceIjEEE10hipError_tPvRmT2_T3_mT4_T5_T6_T7_T8_P12ihipStream_tbENKUlT_T0_E_clISt17integral_constantIbLb0EES11_EEDaSW_SX_EUlSW_E_NS1_11comp_targetILNS1_3genE0ELNS1_11target_archE4294967295ELNS1_3gpuE0ELNS1_3repE0EEENS1_30default_config_static_selectorELNS0_4arch9wavefront6targetE0EEEvT1_
                                        ; -- End function
	.section	.AMDGPU.csdata,"",@progbits
; Kernel info:
; codeLenInByte = 0
; NumSgprs: 0
; NumVgprs: 0
; ScratchSize: 0
; MemoryBound: 0
; FloatMode: 240
; IeeeMode: 1
; LDSByteSize: 0 bytes/workgroup (compile time only)
; SGPRBlocks: 0
; VGPRBlocks: 0
; NumSGPRsForWavesPerEU: 1
; NumVGPRsForWavesPerEU: 1
; Occupancy: 16
; WaveLimiterHint : 0
; COMPUTE_PGM_RSRC2:SCRATCH_EN: 0
; COMPUTE_PGM_RSRC2:USER_SGPR: 15
; COMPUTE_PGM_RSRC2:TRAP_HANDLER: 0
; COMPUTE_PGM_RSRC2:TGID_X_EN: 1
; COMPUTE_PGM_RSRC2:TGID_Y_EN: 0
; COMPUTE_PGM_RSRC2:TGID_Z_EN: 0
; COMPUTE_PGM_RSRC2:TIDIG_COMP_CNT: 0
	.section	.text._ZN7rocprim17ROCPRIM_400000_NS6detail17trampoline_kernelINS0_14default_configENS1_29reduce_by_key_config_selectorIjjN6thrust23THRUST_200600_302600_NS4plusIjEEEEZZNS1_33reduce_by_key_impl_wrapped_configILNS1_25lookback_scan_determinismE0ES3_S9_NS6_6detail15normal_iteratorINS6_10device_ptrIjEEEESG_SG_SG_PmS8_22is_equal_div_10_reduceIjEEE10hipError_tPvRmT2_T3_mT4_T5_T6_T7_T8_P12ihipStream_tbENKUlT_T0_E_clISt17integral_constantIbLb0EES11_EEDaSW_SX_EUlSW_E_NS1_11comp_targetILNS1_3genE5ELNS1_11target_archE942ELNS1_3gpuE9ELNS1_3repE0EEENS1_30default_config_static_selectorELNS0_4arch9wavefront6targetE0EEEvT1_,"axG",@progbits,_ZN7rocprim17ROCPRIM_400000_NS6detail17trampoline_kernelINS0_14default_configENS1_29reduce_by_key_config_selectorIjjN6thrust23THRUST_200600_302600_NS4plusIjEEEEZZNS1_33reduce_by_key_impl_wrapped_configILNS1_25lookback_scan_determinismE0ES3_S9_NS6_6detail15normal_iteratorINS6_10device_ptrIjEEEESG_SG_SG_PmS8_22is_equal_div_10_reduceIjEEE10hipError_tPvRmT2_T3_mT4_T5_T6_T7_T8_P12ihipStream_tbENKUlT_T0_E_clISt17integral_constantIbLb0EES11_EEDaSW_SX_EUlSW_E_NS1_11comp_targetILNS1_3genE5ELNS1_11target_archE942ELNS1_3gpuE9ELNS1_3repE0EEENS1_30default_config_static_selectorELNS0_4arch9wavefront6targetE0EEEvT1_,comdat
	.protected	_ZN7rocprim17ROCPRIM_400000_NS6detail17trampoline_kernelINS0_14default_configENS1_29reduce_by_key_config_selectorIjjN6thrust23THRUST_200600_302600_NS4plusIjEEEEZZNS1_33reduce_by_key_impl_wrapped_configILNS1_25lookback_scan_determinismE0ES3_S9_NS6_6detail15normal_iteratorINS6_10device_ptrIjEEEESG_SG_SG_PmS8_22is_equal_div_10_reduceIjEEE10hipError_tPvRmT2_T3_mT4_T5_T6_T7_T8_P12ihipStream_tbENKUlT_T0_E_clISt17integral_constantIbLb0EES11_EEDaSW_SX_EUlSW_E_NS1_11comp_targetILNS1_3genE5ELNS1_11target_archE942ELNS1_3gpuE9ELNS1_3repE0EEENS1_30default_config_static_selectorELNS0_4arch9wavefront6targetE0EEEvT1_ ; -- Begin function _ZN7rocprim17ROCPRIM_400000_NS6detail17trampoline_kernelINS0_14default_configENS1_29reduce_by_key_config_selectorIjjN6thrust23THRUST_200600_302600_NS4plusIjEEEEZZNS1_33reduce_by_key_impl_wrapped_configILNS1_25lookback_scan_determinismE0ES3_S9_NS6_6detail15normal_iteratorINS6_10device_ptrIjEEEESG_SG_SG_PmS8_22is_equal_div_10_reduceIjEEE10hipError_tPvRmT2_T3_mT4_T5_T6_T7_T8_P12ihipStream_tbENKUlT_T0_E_clISt17integral_constantIbLb0EES11_EEDaSW_SX_EUlSW_E_NS1_11comp_targetILNS1_3genE5ELNS1_11target_archE942ELNS1_3gpuE9ELNS1_3repE0EEENS1_30default_config_static_selectorELNS0_4arch9wavefront6targetE0EEEvT1_
	.globl	_ZN7rocprim17ROCPRIM_400000_NS6detail17trampoline_kernelINS0_14default_configENS1_29reduce_by_key_config_selectorIjjN6thrust23THRUST_200600_302600_NS4plusIjEEEEZZNS1_33reduce_by_key_impl_wrapped_configILNS1_25lookback_scan_determinismE0ES3_S9_NS6_6detail15normal_iteratorINS6_10device_ptrIjEEEESG_SG_SG_PmS8_22is_equal_div_10_reduceIjEEE10hipError_tPvRmT2_T3_mT4_T5_T6_T7_T8_P12ihipStream_tbENKUlT_T0_E_clISt17integral_constantIbLb0EES11_EEDaSW_SX_EUlSW_E_NS1_11comp_targetILNS1_3genE5ELNS1_11target_archE942ELNS1_3gpuE9ELNS1_3repE0EEENS1_30default_config_static_selectorELNS0_4arch9wavefront6targetE0EEEvT1_
	.p2align	8
	.type	_ZN7rocprim17ROCPRIM_400000_NS6detail17trampoline_kernelINS0_14default_configENS1_29reduce_by_key_config_selectorIjjN6thrust23THRUST_200600_302600_NS4plusIjEEEEZZNS1_33reduce_by_key_impl_wrapped_configILNS1_25lookback_scan_determinismE0ES3_S9_NS6_6detail15normal_iteratorINS6_10device_ptrIjEEEESG_SG_SG_PmS8_22is_equal_div_10_reduceIjEEE10hipError_tPvRmT2_T3_mT4_T5_T6_T7_T8_P12ihipStream_tbENKUlT_T0_E_clISt17integral_constantIbLb0EES11_EEDaSW_SX_EUlSW_E_NS1_11comp_targetILNS1_3genE5ELNS1_11target_archE942ELNS1_3gpuE9ELNS1_3repE0EEENS1_30default_config_static_selectorELNS0_4arch9wavefront6targetE0EEEvT1_,@function
_ZN7rocprim17ROCPRIM_400000_NS6detail17trampoline_kernelINS0_14default_configENS1_29reduce_by_key_config_selectorIjjN6thrust23THRUST_200600_302600_NS4plusIjEEEEZZNS1_33reduce_by_key_impl_wrapped_configILNS1_25lookback_scan_determinismE0ES3_S9_NS6_6detail15normal_iteratorINS6_10device_ptrIjEEEESG_SG_SG_PmS8_22is_equal_div_10_reduceIjEEE10hipError_tPvRmT2_T3_mT4_T5_T6_T7_T8_P12ihipStream_tbENKUlT_T0_E_clISt17integral_constantIbLb0EES11_EEDaSW_SX_EUlSW_E_NS1_11comp_targetILNS1_3genE5ELNS1_11target_archE942ELNS1_3gpuE9ELNS1_3repE0EEENS1_30default_config_static_selectorELNS0_4arch9wavefront6targetE0EEEvT1_: ; @_ZN7rocprim17ROCPRIM_400000_NS6detail17trampoline_kernelINS0_14default_configENS1_29reduce_by_key_config_selectorIjjN6thrust23THRUST_200600_302600_NS4plusIjEEEEZZNS1_33reduce_by_key_impl_wrapped_configILNS1_25lookback_scan_determinismE0ES3_S9_NS6_6detail15normal_iteratorINS6_10device_ptrIjEEEESG_SG_SG_PmS8_22is_equal_div_10_reduceIjEEE10hipError_tPvRmT2_T3_mT4_T5_T6_T7_T8_P12ihipStream_tbENKUlT_T0_E_clISt17integral_constantIbLb0EES11_EEDaSW_SX_EUlSW_E_NS1_11comp_targetILNS1_3genE5ELNS1_11target_archE942ELNS1_3gpuE9ELNS1_3repE0EEENS1_30default_config_static_selectorELNS0_4arch9wavefront6targetE0EEEvT1_
; %bb.0:
	.section	.rodata,"a",@progbits
	.p2align	6, 0x0
	.amdhsa_kernel _ZN7rocprim17ROCPRIM_400000_NS6detail17trampoline_kernelINS0_14default_configENS1_29reduce_by_key_config_selectorIjjN6thrust23THRUST_200600_302600_NS4plusIjEEEEZZNS1_33reduce_by_key_impl_wrapped_configILNS1_25lookback_scan_determinismE0ES3_S9_NS6_6detail15normal_iteratorINS6_10device_ptrIjEEEESG_SG_SG_PmS8_22is_equal_div_10_reduceIjEEE10hipError_tPvRmT2_T3_mT4_T5_T6_T7_T8_P12ihipStream_tbENKUlT_T0_E_clISt17integral_constantIbLb0EES11_EEDaSW_SX_EUlSW_E_NS1_11comp_targetILNS1_3genE5ELNS1_11target_archE942ELNS1_3gpuE9ELNS1_3repE0EEENS1_30default_config_static_selectorELNS0_4arch9wavefront6targetE0EEEvT1_
		.amdhsa_group_segment_fixed_size 0
		.amdhsa_private_segment_fixed_size 0
		.amdhsa_kernarg_size 120
		.amdhsa_user_sgpr_count 15
		.amdhsa_user_sgpr_dispatch_ptr 0
		.amdhsa_user_sgpr_queue_ptr 0
		.amdhsa_user_sgpr_kernarg_segment_ptr 1
		.amdhsa_user_sgpr_dispatch_id 0
		.amdhsa_user_sgpr_private_segment_size 0
		.amdhsa_wavefront_size32 1
		.amdhsa_uses_dynamic_stack 0
		.amdhsa_enable_private_segment 0
		.amdhsa_system_sgpr_workgroup_id_x 1
		.amdhsa_system_sgpr_workgroup_id_y 0
		.amdhsa_system_sgpr_workgroup_id_z 0
		.amdhsa_system_sgpr_workgroup_info 0
		.amdhsa_system_vgpr_workitem_id 0
		.amdhsa_next_free_vgpr 1
		.amdhsa_next_free_sgpr 1
		.amdhsa_reserve_vcc 0
		.amdhsa_float_round_mode_32 0
		.amdhsa_float_round_mode_16_64 0
		.amdhsa_float_denorm_mode_32 3
		.amdhsa_float_denorm_mode_16_64 3
		.amdhsa_dx10_clamp 1
		.amdhsa_ieee_mode 1
		.amdhsa_fp16_overflow 0
		.amdhsa_workgroup_processor_mode 1
		.amdhsa_memory_ordered 1
		.amdhsa_forward_progress 0
		.amdhsa_shared_vgpr_count 0
		.amdhsa_exception_fp_ieee_invalid_op 0
		.amdhsa_exception_fp_denorm_src 0
		.amdhsa_exception_fp_ieee_div_zero 0
		.amdhsa_exception_fp_ieee_overflow 0
		.amdhsa_exception_fp_ieee_underflow 0
		.amdhsa_exception_fp_ieee_inexact 0
		.amdhsa_exception_int_div_zero 0
	.end_amdhsa_kernel
	.section	.text._ZN7rocprim17ROCPRIM_400000_NS6detail17trampoline_kernelINS0_14default_configENS1_29reduce_by_key_config_selectorIjjN6thrust23THRUST_200600_302600_NS4plusIjEEEEZZNS1_33reduce_by_key_impl_wrapped_configILNS1_25lookback_scan_determinismE0ES3_S9_NS6_6detail15normal_iteratorINS6_10device_ptrIjEEEESG_SG_SG_PmS8_22is_equal_div_10_reduceIjEEE10hipError_tPvRmT2_T3_mT4_T5_T6_T7_T8_P12ihipStream_tbENKUlT_T0_E_clISt17integral_constantIbLb0EES11_EEDaSW_SX_EUlSW_E_NS1_11comp_targetILNS1_3genE5ELNS1_11target_archE942ELNS1_3gpuE9ELNS1_3repE0EEENS1_30default_config_static_selectorELNS0_4arch9wavefront6targetE0EEEvT1_,"axG",@progbits,_ZN7rocprim17ROCPRIM_400000_NS6detail17trampoline_kernelINS0_14default_configENS1_29reduce_by_key_config_selectorIjjN6thrust23THRUST_200600_302600_NS4plusIjEEEEZZNS1_33reduce_by_key_impl_wrapped_configILNS1_25lookback_scan_determinismE0ES3_S9_NS6_6detail15normal_iteratorINS6_10device_ptrIjEEEESG_SG_SG_PmS8_22is_equal_div_10_reduceIjEEE10hipError_tPvRmT2_T3_mT4_T5_T6_T7_T8_P12ihipStream_tbENKUlT_T0_E_clISt17integral_constantIbLb0EES11_EEDaSW_SX_EUlSW_E_NS1_11comp_targetILNS1_3genE5ELNS1_11target_archE942ELNS1_3gpuE9ELNS1_3repE0EEENS1_30default_config_static_selectorELNS0_4arch9wavefront6targetE0EEEvT1_,comdat
.Lfunc_end355:
	.size	_ZN7rocprim17ROCPRIM_400000_NS6detail17trampoline_kernelINS0_14default_configENS1_29reduce_by_key_config_selectorIjjN6thrust23THRUST_200600_302600_NS4plusIjEEEEZZNS1_33reduce_by_key_impl_wrapped_configILNS1_25lookback_scan_determinismE0ES3_S9_NS6_6detail15normal_iteratorINS6_10device_ptrIjEEEESG_SG_SG_PmS8_22is_equal_div_10_reduceIjEEE10hipError_tPvRmT2_T3_mT4_T5_T6_T7_T8_P12ihipStream_tbENKUlT_T0_E_clISt17integral_constantIbLb0EES11_EEDaSW_SX_EUlSW_E_NS1_11comp_targetILNS1_3genE5ELNS1_11target_archE942ELNS1_3gpuE9ELNS1_3repE0EEENS1_30default_config_static_selectorELNS0_4arch9wavefront6targetE0EEEvT1_, .Lfunc_end355-_ZN7rocprim17ROCPRIM_400000_NS6detail17trampoline_kernelINS0_14default_configENS1_29reduce_by_key_config_selectorIjjN6thrust23THRUST_200600_302600_NS4plusIjEEEEZZNS1_33reduce_by_key_impl_wrapped_configILNS1_25lookback_scan_determinismE0ES3_S9_NS6_6detail15normal_iteratorINS6_10device_ptrIjEEEESG_SG_SG_PmS8_22is_equal_div_10_reduceIjEEE10hipError_tPvRmT2_T3_mT4_T5_T6_T7_T8_P12ihipStream_tbENKUlT_T0_E_clISt17integral_constantIbLb0EES11_EEDaSW_SX_EUlSW_E_NS1_11comp_targetILNS1_3genE5ELNS1_11target_archE942ELNS1_3gpuE9ELNS1_3repE0EEENS1_30default_config_static_selectorELNS0_4arch9wavefront6targetE0EEEvT1_
                                        ; -- End function
	.section	.AMDGPU.csdata,"",@progbits
; Kernel info:
; codeLenInByte = 0
; NumSgprs: 0
; NumVgprs: 0
; ScratchSize: 0
; MemoryBound: 0
; FloatMode: 240
; IeeeMode: 1
; LDSByteSize: 0 bytes/workgroup (compile time only)
; SGPRBlocks: 0
; VGPRBlocks: 0
; NumSGPRsForWavesPerEU: 1
; NumVGPRsForWavesPerEU: 1
; Occupancy: 16
; WaveLimiterHint : 0
; COMPUTE_PGM_RSRC2:SCRATCH_EN: 0
; COMPUTE_PGM_RSRC2:USER_SGPR: 15
; COMPUTE_PGM_RSRC2:TRAP_HANDLER: 0
; COMPUTE_PGM_RSRC2:TGID_X_EN: 1
; COMPUTE_PGM_RSRC2:TGID_Y_EN: 0
; COMPUTE_PGM_RSRC2:TGID_Z_EN: 0
; COMPUTE_PGM_RSRC2:TIDIG_COMP_CNT: 0
	.section	.text._ZN7rocprim17ROCPRIM_400000_NS6detail17trampoline_kernelINS0_14default_configENS1_29reduce_by_key_config_selectorIjjN6thrust23THRUST_200600_302600_NS4plusIjEEEEZZNS1_33reduce_by_key_impl_wrapped_configILNS1_25lookback_scan_determinismE0ES3_S9_NS6_6detail15normal_iteratorINS6_10device_ptrIjEEEESG_SG_SG_PmS8_22is_equal_div_10_reduceIjEEE10hipError_tPvRmT2_T3_mT4_T5_T6_T7_T8_P12ihipStream_tbENKUlT_T0_E_clISt17integral_constantIbLb0EES11_EEDaSW_SX_EUlSW_E_NS1_11comp_targetILNS1_3genE4ELNS1_11target_archE910ELNS1_3gpuE8ELNS1_3repE0EEENS1_30default_config_static_selectorELNS0_4arch9wavefront6targetE0EEEvT1_,"axG",@progbits,_ZN7rocprim17ROCPRIM_400000_NS6detail17trampoline_kernelINS0_14default_configENS1_29reduce_by_key_config_selectorIjjN6thrust23THRUST_200600_302600_NS4plusIjEEEEZZNS1_33reduce_by_key_impl_wrapped_configILNS1_25lookback_scan_determinismE0ES3_S9_NS6_6detail15normal_iteratorINS6_10device_ptrIjEEEESG_SG_SG_PmS8_22is_equal_div_10_reduceIjEEE10hipError_tPvRmT2_T3_mT4_T5_T6_T7_T8_P12ihipStream_tbENKUlT_T0_E_clISt17integral_constantIbLb0EES11_EEDaSW_SX_EUlSW_E_NS1_11comp_targetILNS1_3genE4ELNS1_11target_archE910ELNS1_3gpuE8ELNS1_3repE0EEENS1_30default_config_static_selectorELNS0_4arch9wavefront6targetE0EEEvT1_,comdat
	.protected	_ZN7rocprim17ROCPRIM_400000_NS6detail17trampoline_kernelINS0_14default_configENS1_29reduce_by_key_config_selectorIjjN6thrust23THRUST_200600_302600_NS4plusIjEEEEZZNS1_33reduce_by_key_impl_wrapped_configILNS1_25lookback_scan_determinismE0ES3_S9_NS6_6detail15normal_iteratorINS6_10device_ptrIjEEEESG_SG_SG_PmS8_22is_equal_div_10_reduceIjEEE10hipError_tPvRmT2_T3_mT4_T5_T6_T7_T8_P12ihipStream_tbENKUlT_T0_E_clISt17integral_constantIbLb0EES11_EEDaSW_SX_EUlSW_E_NS1_11comp_targetILNS1_3genE4ELNS1_11target_archE910ELNS1_3gpuE8ELNS1_3repE0EEENS1_30default_config_static_selectorELNS0_4arch9wavefront6targetE0EEEvT1_ ; -- Begin function _ZN7rocprim17ROCPRIM_400000_NS6detail17trampoline_kernelINS0_14default_configENS1_29reduce_by_key_config_selectorIjjN6thrust23THRUST_200600_302600_NS4plusIjEEEEZZNS1_33reduce_by_key_impl_wrapped_configILNS1_25lookback_scan_determinismE0ES3_S9_NS6_6detail15normal_iteratorINS6_10device_ptrIjEEEESG_SG_SG_PmS8_22is_equal_div_10_reduceIjEEE10hipError_tPvRmT2_T3_mT4_T5_T6_T7_T8_P12ihipStream_tbENKUlT_T0_E_clISt17integral_constantIbLb0EES11_EEDaSW_SX_EUlSW_E_NS1_11comp_targetILNS1_3genE4ELNS1_11target_archE910ELNS1_3gpuE8ELNS1_3repE0EEENS1_30default_config_static_selectorELNS0_4arch9wavefront6targetE0EEEvT1_
	.globl	_ZN7rocprim17ROCPRIM_400000_NS6detail17trampoline_kernelINS0_14default_configENS1_29reduce_by_key_config_selectorIjjN6thrust23THRUST_200600_302600_NS4plusIjEEEEZZNS1_33reduce_by_key_impl_wrapped_configILNS1_25lookback_scan_determinismE0ES3_S9_NS6_6detail15normal_iteratorINS6_10device_ptrIjEEEESG_SG_SG_PmS8_22is_equal_div_10_reduceIjEEE10hipError_tPvRmT2_T3_mT4_T5_T6_T7_T8_P12ihipStream_tbENKUlT_T0_E_clISt17integral_constantIbLb0EES11_EEDaSW_SX_EUlSW_E_NS1_11comp_targetILNS1_3genE4ELNS1_11target_archE910ELNS1_3gpuE8ELNS1_3repE0EEENS1_30default_config_static_selectorELNS0_4arch9wavefront6targetE0EEEvT1_
	.p2align	8
	.type	_ZN7rocprim17ROCPRIM_400000_NS6detail17trampoline_kernelINS0_14default_configENS1_29reduce_by_key_config_selectorIjjN6thrust23THRUST_200600_302600_NS4plusIjEEEEZZNS1_33reduce_by_key_impl_wrapped_configILNS1_25lookback_scan_determinismE0ES3_S9_NS6_6detail15normal_iteratorINS6_10device_ptrIjEEEESG_SG_SG_PmS8_22is_equal_div_10_reduceIjEEE10hipError_tPvRmT2_T3_mT4_T5_T6_T7_T8_P12ihipStream_tbENKUlT_T0_E_clISt17integral_constantIbLb0EES11_EEDaSW_SX_EUlSW_E_NS1_11comp_targetILNS1_3genE4ELNS1_11target_archE910ELNS1_3gpuE8ELNS1_3repE0EEENS1_30default_config_static_selectorELNS0_4arch9wavefront6targetE0EEEvT1_,@function
_ZN7rocprim17ROCPRIM_400000_NS6detail17trampoline_kernelINS0_14default_configENS1_29reduce_by_key_config_selectorIjjN6thrust23THRUST_200600_302600_NS4plusIjEEEEZZNS1_33reduce_by_key_impl_wrapped_configILNS1_25lookback_scan_determinismE0ES3_S9_NS6_6detail15normal_iteratorINS6_10device_ptrIjEEEESG_SG_SG_PmS8_22is_equal_div_10_reduceIjEEE10hipError_tPvRmT2_T3_mT4_T5_T6_T7_T8_P12ihipStream_tbENKUlT_T0_E_clISt17integral_constantIbLb0EES11_EEDaSW_SX_EUlSW_E_NS1_11comp_targetILNS1_3genE4ELNS1_11target_archE910ELNS1_3gpuE8ELNS1_3repE0EEENS1_30default_config_static_selectorELNS0_4arch9wavefront6targetE0EEEvT1_: ; @_ZN7rocprim17ROCPRIM_400000_NS6detail17trampoline_kernelINS0_14default_configENS1_29reduce_by_key_config_selectorIjjN6thrust23THRUST_200600_302600_NS4plusIjEEEEZZNS1_33reduce_by_key_impl_wrapped_configILNS1_25lookback_scan_determinismE0ES3_S9_NS6_6detail15normal_iteratorINS6_10device_ptrIjEEEESG_SG_SG_PmS8_22is_equal_div_10_reduceIjEEE10hipError_tPvRmT2_T3_mT4_T5_T6_T7_T8_P12ihipStream_tbENKUlT_T0_E_clISt17integral_constantIbLb0EES11_EEDaSW_SX_EUlSW_E_NS1_11comp_targetILNS1_3genE4ELNS1_11target_archE910ELNS1_3gpuE8ELNS1_3repE0EEENS1_30default_config_static_selectorELNS0_4arch9wavefront6targetE0EEEvT1_
; %bb.0:
	.section	.rodata,"a",@progbits
	.p2align	6, 0x0
	.amdhsa_kernel _ZN7rocprim17ROCPRIM_400000_NS6detail17trampoline_kernelINS0_14default_configENS1_29reduce_by_key_config_selectorIjjN6thrust23THRUST_200600_302600_NS4plusIjEEEEZZNS1_33reduce_by_key_impl_wrapped_configILNS1_25lookback_scan_determinismE0ES3_S9_NS6_6detail15normal_iteratorINS6_10device_ptrIjEEEESG_SG_SG_PmS8_22is_equal_div_10_reduceIjEEE10hipError_tPvRmT2_T3_mT4_T5_T6_T7_T8_P12ihipStream_tbENKUlT_T0_E_clISt17integral_constantIbLb0EES11_EEDaSW_SX_EUlSW_E_NS1_11comp_targetILNS1_3genE4ELNS1_11target_archE910ELNS1_3gpuE8ELNS1_3repE0EEENS1_30default_config_static_selectorELNS0_4arch9wavefront6targetE0EEEvT1_
		.amdhsa_group_segment_fixed_size 0
		.amdhsa_private_segment_fixed_size 0
		.amdhsa_kernarg_size 120
		.amdhsa_user_sgpr_count 15
		.amdhsa_user_sgpr_dispatch_ptr 0
		.amdhsa_user_sgpr_queue_ptr 0
		.amdhsa_user_sgpr_kernarg_segment_ptr 1
		.amdhsa_user_sgpr_dispatch_id 0
		.amdhsa_user_sgpr_private_segment_size 0
		.amdhsa_wavefront_size32 1
		.amdhsa_uses_dynamic_stack 0
		.amdhsa_enable_private_segment 0
		.amdhsa_system_sgpr_workgroup_id_x 1
		.amdhsa_system_sgpr_workgroup_id_y 0
		.amdhsa_system_sgpr_workgroup_id_z 0
		.amdhsa_system_sgpr_workgroup_info 0
		.amdhsa_system_vgpr_workitem_id 0
		.amdhsa_next_free_vgpr 1
		.amdhsa_next_free_sgpr 1
		.amdhsa_reserve_vcc 0
		.amdhsa_float_round_mode_32 0
		.amdhsa_float_round_mode_16_64 0
		.amdhsa_float_denorm_mode_32 3
		.amdhsa_float_denorm_mode_16_64 3
		.amdhsa_dx10_clamp 1
		.amdhsa_ieee_mode 1
		.amdhsa_fp16_overflow 0
		.amdhsa_workgroup_processor_mode 1
		.amdhsa_memory_ordered 1
		.amdhsa_forward_progress 0
		.amdhsa_shared_vgpr_count 0
		.amdhsa_exception_fp_ieee_invalid_op 0
		.amdhsa_exception_fp_denorm_src 0
		.amdhsa_exception_fp_ieee_div_zero 0
		.amdhsa_exception_fp_ieee_overflow 0
		.amdhsa_exception_fp_ieee_underflow 0
		.amdhsa_exception_fp_ieee_inexact 0
		.amdhsa_exception_int_div_zero 0
	.end_amdhsa_kernel
	.section	.text._ZN7rocprim17ROCPRIM_400000_NS6detail17trampoline_kernelINS0_14default_configENS1_29reduce_by_key_config_selectorIjjN6thrust23THRUST_200600_302600_NS4plusIjEEEEZZNS1_33reduce_by_key_impl_wrapped_configILNS1_25lookback_scan_determinismE0ES3_S9_NS6_6detail15normal_iteratorINS6_10device_ptrIjEEEESG_SG_SG_PmS8_22is_equal_div_10_reduceIjEEE10hipError_tPvRmT2_T3_mT4_T5_T6_T7_T8_P12ihipStream_tbENKUlT_T0_E_clISt17integral_constantIbLb0EES11_EEDaSW_SX_EUlSW_E_NS1_11comp_targetILNS1_3genE4ELNS1_11target_archE910ELNS1_3gpuE8ELNS1_3repE0EEENS1_30default_config_static_selectorELNS0_4arch9wavefront6targetE0EEEvT1_,"axG",@progbits,_ZN7rocprim17ROCPRIM_400000_NS6detail17trampoline_kernelINS0_14default_configENS1_29reduce_by_key_config_selectorIjjN6thrust23THRUST_200600_302600_NS4plusIjEEEEZZNS1_33reduce_by_key_impl_wrapped_configILNS1_25lookback_scan_determinismE0ES3_S9_NS6_6detail15normal_iteratorINS6_10device_ptrIjEEEESG_SG_SG_PmS8_22is_equal_div_10_reduceIjEEE10hipError_tPvRmT2_T3_mT4_T5_T6_T7_T8_P12ihipStream_tbENKUlT_T0_E_clISt17integral_constantIbLb0EES11_EEDaSW_SX_EUlSW_E_NS1_11comp_targetILNS1_3genE4ELNS1_11target_archE910ELNS1_3gpuE8ELNS1_3repE0EEENS1_30default_config_static_selectorELNS0_4arch9wavefront6targetE0EEEvT1_,comdat
.Lfunc_end356:
	.size	_ZN7rocprim17ROCPRIM_400000_NS6detail17trampoline_kernelINS0_14default_configENS1_29reduce_by_key_config_selectorIjjN6thrust23THRUST_200600_302600_NS4plusIjEEEEZZNS1_33reduce_by_key_impl_wrapped_configILNS1_25lookback_scan_determinismE0ES3_S9_NS6_6detail15normal_iteratorINS6_10device_ptrIjEEEESG_SG_SG_PmS8_22is_equal_div_10_reduceIjEEE10hipError_tPvRmT2_T3_mT4_T5_T6_T7_T8_P12ihipStream_tbENKUlT_T0_E_clISt17integral_constantIbLb0EES11_EEDaSW_SX_EUlSW_E_NS1_11comp_targetILNS1_3genE4ELNS1_11target_archE910ELNS1_3gpuE8ELNS1_3repE0EEENS1_30default_config_static_selectorELNS0_4arch9wavefront6targetE0EEEvT1_, .Lfunc_end356-_ZN7rocprim17ROCPRIM_400000_NS6detail17trampoline_kernelINS0_14default_configENS1_29reduce_by_key_config_selectorIjjN6thrust23THRUST_200600_302600_NS4plusIjEEEEZZNS1_33reduce_by_key_impl_wrapped_configILNS1_25lookback_scan_determinismE0ES3_S9_NS6_6detail15normal_iteratorINS6_10device_ptrIjEEEESG_SG_SG_PmS8_22is_equal_div_10_reduceIjEEE10hipError_tPvRmT2_T3_mT4_T5_T6_T7_T8_P12ihipStream_tbENKUlT_T0_E_clISt17integral_constantIbLb0EES11_EEDaSW_SX_EUlSW_E_NS1_11comp_targetILNS1_3genE4ELNS1_11target_archE910ELNS1_3gpuE8ELNS1_3repE0EEENS1_30default_config_static_selectorELNS0_4arch9wavefront6targetE0EEEvT1_
                                        ; -- End function
	.section	.AMDGPU.csdata,"",@progbits
; Kernel info:
; codeLenInByte = 0
; NumSgprs: 0
; NumVgprs: 0
; ScratchSize: 0
; MemoryBound: 0
; FloatMode: 240
; IeeeMode: 1
; LDSByteSize: 0 bytes/workgroup (compile time only)
; SGPRBlocks: 0
; VGPRBlocks: 0
; NumSGPRsForWavesPerEU: 1
; NumVGPRsForWavesPerEU: 1
; Occupancy: 16
; WaveLimiterHint : 0
; COMPUTE_PGM_RSRC2:SCRATCH_EN: 0
; COMPUTE_PGM_RSRC2:USER_SGPR: 15
; COMPUTE_PGM_RSRC2:TRAP_HANDLER: 0
; COMPUTE_PGM_RSRC2:TGID_X_EN: 1
; COMPUTE_PGM_RSRC2:TGID_Y_EN: 0
; COMPUTE_PGM_RSRC2:TGID_Z_EN: 0
; COMPUTE_PGM_RSRC2:TIDIG_COMP_CNT: 0
	.section	.text._ZN7rocprim17ROCPRIM_400000_NS6detail17trampoline_kernelINS0_14default_configENS1_29reduce_by_key_config_selectorIjjN6thrust23THRUST_200600_302600_NS4plusIjEEEEZZNS1_33reduce_by_key_impl_wrapped_configILNS1_25lookback_scan_determinismE0ES3_S9_NS6_6detail15normal_iteratorINS6_10device_ptrIjEEEESG_SG_SG_PmS8_22is_equal_div_10_reduceIjEEE10hipError_tPvRmT2_T3_mT4_T5_T6_T7_T8_P12ihipStream_tbENKUlT_T0_E_clISt17integral_constantIbLb0EES11_EEDaSW_SX_EUlSW_E_NS1_11comp_targetILNS1_3genE3ELNS1_11target_archE908ELNS1_3gpuE7ELNS1_3repE0EEENS1_30default_config_static_selectorELNS0_4arch9wavefront6targetE0EEEvT1_,"axG",@progbits,_ZN7rocprim17ROCPRIM_400000_NS6detail17trampoline_kernelINS0_14default_configENS1_29reduce_by_key_config_selectorIjjN6thrust23THRUST_200600_302600_NS4plusIjEEEEZZNS1_33reduce_by_key_impl_wrapped_configILNS1_25lookback_scan_determinismE0ES3_S9_NS6_6detail15normal_iteratorINS6_10device_ptrIjEEEESG_SG_SG_PmS8_22is_equal_div_10_reduceIjEEE10hipError_tPvRmT2_T3_mT4_T5_T6_T7_T8_P12ihipStream_tbENKUlT_T0_E_clISt17integral_constantIbLb0EES11_EEDaSW_SX_EUlSW_E_NS1_11comp_targetILNS1_3genE3ELNS1_11target_archE908ELNS1_3gpuE7ELNS1_3repE0EEENS1_30default_config_static_selectorELNS0_4arch9wavefront6targetE0EEEvT1_,comdat
	.protected	_ZN7rocprim17ROCPRIM_400000_NS6detail17trampoline_kernelINS0_14default_configENS1_29reduce_by_key_config_selectorIjjN6thrust23THRUST_200600_302600_NS4plusIjEEEEZZNS1_33reduce_by_key_impl_wrapped_configILNS1_25lookback_scan_determinismE0ES3_S9_NS6_6detail15normal_iteratorINS6_10device_ptrIjEEEESG_SG_SG_PmS8_22is_equal_div_10_reduceIjEEE10hipError_tPvRmT2_T3_mT4_T5_T6_T7_T8_P12ihipStream_tbENKUlT_T0_E_clISt17integral_constantIbLb0EES11_EEDaSW_SX_EUlSW_E_NS1_11comp_targetILNS1_3genE3ELNS1_11target_archE908ELNS1_3gpuE7ELNS1_3repE0EEENS1_30default_config_static_selectorELNS0_4arch9wavefront6targetE0EEEvT1_ ; -- Begin function _ZN7rocprim17ROCPRIM_400000_NS6detail17trampoline_kernelINS0_14default_configENS1_29reduce_by_key_config_selectorIjjN6thrust23THRUST_200600_302600_NS4plusIjEEEEZZNS1_33reduce_by_key_impl_wrapped_configILNS1_25lookback_scan_determinismE0ES3_S9_NS6_6detail15normal_iteratorINS6_10device_ptrIjEEEESG_SG_SG_PmS8_22is_equal_div_10_reduceIjEEE10hipError_tPvRmT2_T3_mT4_T5_T6_T7_T8_P12ihipStream_tbENKUlT_T0_E_clISt17integral_constantIbLb0EES11_EEDaSW_SX_EUlSW_E_NS1_11comp_targetILNS1_3genE3ELNS1_11target_archE908ELNS1_3gpuE7ELNS1_3repE0EEENS1_30default_config_static_selectorELNS0_4arch9wavefront6targetE0EEEvT1_
	.globl	_ZN7rocprim17ROCPRIM_400000_NS6detail17trampoline_kernelINS0_14default_configENS1_29reduce_by_key_config_selectorIjjN6thrust23THRUST_200600_302600_NS4plusIjEEEEZZNS1_33reduce_by_key_impl_wrapped_configILNS1_25lookback_scan_determinismE0ES3_S9_NS6_6detail15normal_iteratorINS6_10device_ptrIjEEEESG_SG_SG_PmS8_22is_equal_div_10_reduceIjEEE10hipError_tPvRmT2_T3_mT4_T5_T6_T7_T8_P12ihipStream_tbENKUlT_T0_E_clISt17integral_constantIbLb0EES11_EEDaSW_SX_EUlSW_E_NS1_11comp_targetILNS1_3genE3ELNS1_11target_archE908ELNS1_3gpuE7ELNS1_3repE0EEENS1_30default_config_static_selectorELNS0_4arch9wavefront6targetE0EEEvT1_
	.p2align	8
	.type	_ZN7rocprim17ROCPRIM_400000_NS6detail17trampoline_kernelINS0_14default_configENS1_29reduce_by_key_config_selectorIjjN6thrust23THRUST_200600_302600_NS4plusIjEEEEZZNS1_33reduce_by_key_impl_wrapped_configILNS1_25lookback_scan_determinismE0ES3_S9_NS6_6detail15normal_iteratorINS6_10device_ptrIjEEEESG_SG_SG_PmS8_22is_equal_div_10_reduceIjEEE10hipError_tPvRmT2_T3_mT4_T5_T6_T7_T8_P12ihipStream_tbENKUlT_T0_E_clISt17integral_constantIbLb0EES11_EEDaSW_SX_EUlSW_E_NS1_11comp_targetILNS1_3genE3ELNS1_11target_archE908ELNS1_3gpuE7ELNS1_3repE0EEENS1_30default_config_static_selectorELNS0_4arch9wavefront6targetE0EEEvT1_,@function
_ZN7rocprim17ROCPRIM_400000_NS6detail17trampoline_kernelINS0_14default_configENS1_29reduce_by_key_config_selectorIjjN6thrust23THRUST_200600_302600_NS4plusIjEEEEZZNS1_33reduce_by_key_impl_wrapped_configILNS1_25lookback_scan_determinismE0ES3_S9_NS6_6detail15normal_iteratorINS6_10device_ptrIjEEEESG_SG_SG_PmS8_22is_equal_div_10_reduceIjEEE10hipError_tPvRmT2_T3_mT4_T5_T6_T7_T8_P12ihipStream_tbENKUlT_T0_E_clISt17integral_constantIbLb0EES11_EEDaSW_SX_EUlSW_E_NS1_11comp_targetILNS1_3genE3ELNS1_11target_archE908ELNS1_3gpuE7ELNS1_3repE0EEENS1_30default_config_static_selectorELNS0_4arch9wavefront6targetE0EEEvT1_: ; @_ZN7rocprim17ROCPRIM_400000_NS6detail17trampoline_kernelINS0_14default_configENS1_29reduce_by_key_config_selectorIjjN6thrust23THRUST_200600_302600_NS4plusIjEEEEZZNS1_33reduce_by_key_impl_wrapped_configILNS1_25lookback_scan_determinismE0ES3_S9_NS6_6detail15normal_iteratorINS6_10device_ptrIjEEEESG_SG_SG_PmS8_22is_equal_div_10_reduceIjEEE10hipError_tPvRmT2_T3_mT4_T5_T6_T7_T8_P12ihipStream_tbENKUlT_T0_E_clISt17integral_constantIbLb0EES11_EEDaSW_SX_EUlSW_E_NS1_11comp_targetILNS1_3genE3ELNS1_11target_archE908ELNS1_3gpuE7ELNS1_3repE0EEENS1_30default_config_static_selectorELNS0_4arch9wavefront6targetE0EEEvT1_
; %bb.0:
	.section	.rodata,"a",@progbits
	.p2align	6, 0x0
	.amdhsa_kernel _ZN7rocprim17ROCPRIM_400000_NS6detail17trampoline_kernelINS0_14default_configENS1_29reduce_by_key_config_selectorIjjN6thrust23THRUST_200600_302600_NS4plusIjEEEEZZNS1_33reduce_by_key_impl_wrapped_configILNS1_25lookback_scan_determinismE0ES3_S9_NS6_6detail15normal_iteratorINS6_10device_ptrIjEEEESG_SG_SG_PmS8_22is_equal_div_10_reduceIjEEE10hipError_tPvRmT2_T3_mT4_T5_T6_T7_T8_P12ihipStream_tbENKUlT_T0_E_clISt17integral_constantIbLb0EES11_EEDaSW_SX_EUlSW_E_NS1_11comp_targetILNS1_3genE3ELNS1_11target_archE908ELNS1_3gpuE7ELNS1_3repE0EEENS1_30default_config_static_selectorELNS0_4arch9wavefront6targetE0EEEvT1_
		.amdhsa_group_segment_fixed_size 0
		.amdhsa_private_segment_fixed_size 0
		.amdhsa_kernarg_size 120
		.amdhsa_user_sgpr_count 15
		.amdhsa_user_sgpr_dispatch_ptr 0
		.amdhsa_user_sgpr_queue_ptr 0
		.amdhsa_user_sgpr_kernarg_segment_ptr 1
		.amdhsa_user_sgpr_dispatch_id 0
		.amdhsa_user_sgpr_private_segment_size 0
		.amdhsa_wavefront_size32 1
		.amdhsa_uses_dynamic_stack 0
		.amdhsa_enable_private_segment 0
		.amdhsa_system_sgpr_workgroup_id_x 1
		.amdhsa_system_sgpr_workgroup_id_y 0
		.amdhsa_system_sgpr_workgroup_id_z 0
		.amdhsa_system_sgpr_workgroup_info 0
		.amdhsa_system_vgpr_workitem_id 0
		.amdhsa_next_free_vgpr 1
		.amdhsa_next_free_sgpr 1
		.amdhsa_reserve_vcc 0
		.amdhsa_float_round_mode_32 0
		.amdhsa_float_round_mode_16_64 0
		.amdhsa_float_denorm_mode_32 3
		.amdhsa_float_denorm_mode_16_64 3
		.amdhsa_dx10_clamp 1
		.amdhsa_ieee_mode 1
		.amdhsa_fp16_overflow 0
		.amdhsa_workgroup_processor_mode 1
		.amdhsa_memory_ordered 1
		.amdhsa_forward_progress 0
		.amdhsa_shared_vgpr_count 0
		.amdhsa_exception_fp_ieee_invalid_op 0
		.amdhsa_exception_fp_denorm_src 0
		.amdhsa_exception_fp_ieee_div_zero 0
		.amdhsa_exception_fp_ieee_overflow 0
		.amdhsa_exception_fp_ieee_underflow 0
		.amdhsa_exception_fp_ieee_inexact 0
		.amdhsa_exception_int_div_zero 0
	.end_amdhsa_kernel
	.section	.text._ZN7rocprim17ROCPRIM_400000_NS6detail17trampoline_kernelINS0_14default_configENS1_29reduce_by_key_config_selectorIjjN6thrust23THRUST_200600_302600_NS4plusIjEEEEZZNS1_33reduce_by_key_impl_wrapped_configILNS1_25lookback_scan_determinismE0ES3_S9_NS6_6detail15normal_iteratorINS6_10device_ptrIjEEEESG_SG_SG_PmS8_22is_equal_div_10_reduceIjEEE10hipError_tPvRmT2_T3_mT4_T5_T6_T7_T8_P12ihipStream_tbENKUlT_T0_E_clISt17integral_constantIbLb0EES11_EEDaSW_SX_EUlSW_E_NS1_11comp_targetILNS1_3genE3ELNS1_11target_archE908ELNS1_3gpuE7ELNS1_3repE0EEENS1_30default_config_static_selectorELNS0_4arch9wavefront6targetE0EEEvT1_,"axG",@progbits,_ZN7rocprim17ROCPRIM_400000_NS6detail17trampoline_kernelINS0_14default_configENS1_29reduce_by_key_config_selectorIjjN6thrust23THRUST_200600_302600_NS4plusIjEEEEZZNS1_33reduce_by_key_impl_wrapped_configILNS1_25lookback_scan_determinismE0ES3_S9_NS6_6detail15normal_iteratorINS6_10device_ptrIjEEEESG_SG_SG_PmS8_22is_equal_div_10_reduceIjEEE10hipError_tPvRmT2_T3_mT4_T5_T6_T7_T8_P12ihipStream_tbENKUlT_T0_E_clISt17integral_constantIbLb0EES11_EEDaSW_SX_EUlSW_E_NS1_11comp_targetILNS1_3genE3ELNS1_11target_archE908ELNS1_3gpuE7ELNS1_3repE0EEENS1_30default_config_static_selectorELNS0_4arch9wavefront6targetE0EEEvT1_,comdat
.Lfunc_end357:
	.size	_ZN7rocprim17ROCPRIM_400000_NS6detail17trampoline_kernelINS0_14default_configENS1_29reduce_by_key_config_selectorIjjN6thrust23THRUST_200600_302600_NS4plusIjEEEEZZNS1_33reduce_by_key_impl_wrapped_configILNS1_25lookback_scan_determinismE0ES3_S9_NS6_6detail15normal_iteratorINS6_10device_ptrIjEEEESG_SG_SG_PmS8_22is_equal_div_10_reduceIjEEE10hipError_tPvRmT2_T3_mT4_T5_T6_T7_T8_P12ihipStream_tbENKUlT_T0_E_clISt17integral_constantIbLb0EES11_EEDaSW_SX_EUlSW_E_NS1_11comp_targetILNS1_3genE3ELNS1_11target_archE908ELNS1_3gpuE7ELNS1_3repE0EEENS1_30default_config_static_selectorELNS0_4arch9wavefront6targetE0EEEvT1_, .Lfunc_end357-_ZN7rocprim17ROCPRIM_400000_NS6detail17trampoline_kernelINS0_14default_configENS1_29reduce_by_key_config_selectorIjjN6thrust23THRUST_200600_302600_NS4plusIjEEEEZZNS1_33reduce_by_key_impl_wrapped_configILNS1_25lookback_scan_determinismE0ES3_S9_NS6_6detail15normal_iteratorINS6_10device_ptrIjEEEESG_SG_SG_PmS8_22is_equal_div_10_reduceIjEEE10hipError_tPvRmT2_T3_mT4_T5_T6_T7_T8_P12ihipStream_tbENKUlT_T0_E_clISt17integral_constantIbLb0EES11_EEDaSW_SX_EUlSW_E_NS1_11comp_targetILNS1_3genE3ELNS1_11target_archE908ELNS1_3gpuE7ELNS1_3repE0EEENS1_30default_config_static_selectorELNS0_4arch9wavefront6targetE0EEEvT1_
                                        ; -- End function
	.section	.AMDGPU.csdata,"",@progbits
; Kernel info:
; codeLenInByte = 0
; NumSgprs: 0
; NumVgprs: 0
; ScratchSize: 0
; MemoryBound: 0
; FloatMode: 240
; IeeeMode: 1
; LDSByteSize: 0 bytes/workgroup (compile time only)
; SGPRBlocks: 0
; VGPRBlocks: 0
; NumSGPRsForWavesPerEU: 1
; NumVGPRsForWavesPerEU: 1
; Occupancy: 16
; WaveLimiterHint : 0
; COMPUTE_PGM_RSRC2:SCRATCH_EN: 0
; COMPUTE_PGM_RSRC2:USER_SGPR: 15
; COMPUTE_PGM_RSRC2:TRAP_HANDLER: 0
; COMPUTE_PGM_RSRC2:TGID_X_EN: 1
; COMPUTE_PGM_RSRC2:TGID_Y_EN: 0
; COMPUTE_PGM_RSRC2:TGID_Z_EN: 0
; COMPUTE_PGM_RSRC2:TIDIG_COMP_CNT: 0
	.section	.text._ZN7rocprim17ROCPRIM_400000_NS6detail17trampoline_kernelINS0_14default_configENS1_29reduce_by_key_config_selectorIjjN6thrust23THRUST_200600_302600_NS4plusIjEEEEZZNS1_33reduce_by_key_impl_wrapped_configILNS1_25lookback_scan_determinismE0ES3_S9_NS6_6detail15normal_iteratorINS6_10device_ptrIjEEEESG_SG_SG_PmS8_22is_equal_div_10_reduceIjEEE10hipError_tPvRmT2_T3_mT4_T5_T6_T7_T8_P12ihipStream_tbENKUlT_T0_E_clISt17integral_constantIbLb0EES11_EEDaSW_SX_EUlSW_E_NS1_11comp_targetILNS1_3genE2ELNS1_11target_archE906ELNS1_3gpuE6ELNS1_3repE0EEENS1_30default_config_static_selectorELNS0_4arch9wavefront6targetE0EEEvT1_,"axG",@progbits,_ZN7rocprim17ROCPRIM_400000_NS6detail17trampoline_kernelINS0_14default_configENS1_29reduce_by_key_config_selectorIjjN6thrust23THRUST_200600_302600_NS4plusIjEEEEZZNS1_33reduce_by_key_impl_wrapped_configILNS1_25lookback_scan_determinismE0ES3_S9_NS6_6detail15normal_iteratorINS6_10device_ptrIjEEEESG_SG_SG_PmS8_22is_equal_div_10_reduceIjEEE10hipError_tPvRmT2_T3_mT4_T5_T6_T7_T8_P12ihipStream_tbENKUlT_T0_E_clISt17integral_constantIbLb0EES11_EEDaSW_SX_EUlSW_E_NS1_11comp_targetILNS1_3genE2ELNS1_11target_archE906ELNS1_3gpuE6ELNS1_3repE0EEENS1_30default_config_static_selectorELNS0_4arch9wavefront6targetE0EEEvT1_,comdat
	.protected	_ZN7rocprim17ROCPRIM_400000_NS6detail17trampoline_kernelINS0_14default_configENS1_29reduce_by_key_config_selectorIjjN6thrust23THRUST_200600_302600_NS4plusIjEEEEZZNS1_33reduce_by_key_impl_wrapped_configILNS1_25lookback_scan_determinismE0ES3_S9_NS6_6detail15normal_iteratorINS6_10device_ptrIjEEEESG_SG_SG_PmS8_22is_equal_div_10_reduceIjEEE10hipError_tPvRmT2_T3_mT4_T5_T6_T7_T8_P12ihipStream_tbENKUlT_T0_E_clISt17integral_constantIbLb0EES11_EEDaSW_SX_EUlSW_E_NS1_11comp_targetILNS1_3genE2ELNS1_11target_archE906ELNS1_3gpuE6ELNS1_3repE0EEENS1_30default_config_static_selectorELNS0_4arch9wavefront6targetE0EEEvT1_ ; -- Begin function _ZN7rocprim17ROCPRIM_400000_NS6detail17trampoline_kernelINS0_14default_configENS1_29reduce_by_key_config_selectorIjjN6thrust23THRUST_200600_302600_NS4plusIjEEEEZZNS1_33reduce_by_key_impl_wrapped_configILNS1_25lookback_scan_determinismE0ES3_S9_NS6_6detail15normal_iteratorINS6_10device_ptrIjEEEESG_SG_SG_PmS8_22is_equal_div_10_reduceIjEEE10hipError_tPvRmT2_T3_mT4_T5_T6_T7_T8_P12ihipStream_tbENKUlT_T0_E_clISt17integral_constantIbLb0EES11_EEDaSW_SX_EUlSW_E_NS1_11comp_targetILNS1_3genE2ELNS1_11target_archE906ELNS1_3gpuE6ELNS1_3repE0EEENS1_30default_config_static_selectorELNS0_4arch9wavefront6targetE0EEEvT1_
	.globl	_ZN7rocprim17ROCPRIM_400000_NS6detail17trampoline_kernelINS0_14default_configENS1_29reduce_by_key_config_selectorIjjN6thrust23THRUST_200600_302600_NS4plusIjEEEEZZNS1_33reduce_by_key_impl_wrapped_configILNS1_25lookback_scan_determinismE0ES3_S9_NS6_6detail15normal_iteratorINS6_10device_ptrIjEEEESG_SG_SG_PmS8_22is_equal_div_10_reduceIjEEE10hipError_tPvRmT2_T3_mT4_T5_T6_T7_T8_P12ihipStream_tbENKUlT_T0_E_clISt17integral_constantIbLb0EES11_EEDaSW_SX_EUlSW_E_NS1_11comp_targetILNS1_3genE2ELNS1_11target_archE906ELNS1_3gpuE6ELNS1_3repE0EEENS1_30default_config_static_selectorELNS0_4arch9wavefront6targetE0EEEvT1_
	.p2align	8
	.type	_ZN7rocprim17ROCPRIM_400000_NS6detail17trampoline_kernelINS0_14default_configENS1_29reduce_by_key_config_selectorIjjN6thrust23THRUST_200600_302600_NS4plusIjEEEEZZNS1_33reduce_by_key_impl_wrapped_configILNS1_25lookback_scan_determinismE0ES3_S9_NS6_6detail15normal_iteratorINS6_10device_ptrIjEEEESG_SG_SG_PmS8_22is_equal_div_10_reduceIjEEE10hipError_tPvRmT2_T3_mT4_T5_T6_T7_T8_P12ihipStream_tbENKUlT_T0_E_clISt17integral_constantIbLb0EES11_EEDaSW_SX_EUlSW_E_NS1_11comp_targetILNS1_3genE2ELNS1_11target_archE906ELNS1_3gpuE6ELNS1_3repE0EEENS1_30default_config_static_selectorELNS0_4arch9wavefront6targetE0EEEvT1_,@function
_ZN7rocprim17ROCPRIM_400000_NS6detail17trampoline_kernelINS0_14default_configENS1_29reduce_by_key_config_selectorIjjN6thrust23THRUST_200600_302600_NS4plusIjEEEEZZNS1_33reduce_by_key_impl_wrapped_configILNS1_25lookback_scan_determinismE0ES3_S9_NS6_6detail15normal_iteratorINS6_10device_ptrIjEEEESG_SG_SG_PmS8_22is_equal_div_10_reduceIjEEE10hipError_tPvRmT2_T3_mT4_T5_T6_T7_T8_P12ihipStream_tbENKUlT_T0_E_clISt17integral_constantIbLb0EES11_EEDaSW_SX_EUlSW_E_NS1_11comp_targetILNS1_3genE2ELNS1_11target_archE906ELNS1_3gpuE6ELNS1_3repE0EEENS1_30default_config_static_selectorELNS0_4arch9wavefront6targetE0EEEvT1_: ; @_ZN7rocprim17ROCPRIM_400000_NS6detail17trampoline_kernelINS0_14default_configENS1_29reduce_by_key_config_selectorIjjN6thrust23THRUST_200600_302600_NS4plusIjEEEEZZNS1_33reduce_by_key_impl_wrapped_configILNS1_25lookback_scan_determinismE0ES3_S9_NS6_6detail15normal_iteratorINS6_10device_ptrIjEEEESG_SG_SG_PmS8_22is_equal_div_10_reduceIjEEE10hipError_tPvRmT2_T3_mT4_T5_T6_T7_T8_P12ihipStream_tbENKUlT_T0_E_clISt17integral_constantIbLb0EES11_EEDaSW_SX_EUlSW_E_NS1_11comp_targetILNS1_3genE2ELNS1_11target_archE906ELNS1_3gpuE6ELNS1_3repE0EEENS1_30default_config_static_selectorELNS0_4arch9wavefront6targetE0EEEvT1_
; %bb.0:
	.section	.rodata,"a",@progbits
	.p2align	6, 0x0
	.amdhsa_kernel _ZN7rocprim17ROCPRIM_400000_NS6detail17trampoline_kernelINS0_14default_configENS1_29reduce_by_key_config_selectorIjjN6thrust23THRUST_200600_302600_NS4plusIjEEEEZZNS1_33reduce_by_key_impl_wrapped_configILNS1_25lookback_scan_determinismE0ES3_S9_NS6_6detail15normal_iteratorINS6_10device_ptrIjEEEESG_SG_SG_PmS8_22is_equal_div_10_reduceIjEEE10hipError_tPvRmT2_T3_mT4_T5_T6_T7_T8_P12ihipStream_tbENKUlT_T0_E_clISt17integral_constantIbLb0EES11_EEDaSW_SX_EUlSW_E_NS1_11comp_targetILNS1_3genE2ELNS1_11target_archE906ELNS1_3gpuE6ELNS1_3repE0EEENS1_30default_config_static_selectorELNS0_4arch9wavefront6targetE0EEEvT1_
		.amdhsa_group_segment_fixed_size 0
		.amdhsa_private_segment_fixed_size 0
		.amdhsa_kernarg_size 120
		.amdhsa_user_sgpr_count 15
		.amdhsa_user_sgpr_dispatch_ptr 0
		.amdhsa_user_sgpr_queue_ptr 0
		.amdhsa_user_sgpr_kernarg_segment_ptr 1
		.amdhsa_user_sgpr_dispatch_id 0
		.amdhsa_user_sgpr_private_segment_size 0
		.amdhsa_wavefront_size32 1
		.amdhsa_uses_dynamic_stack 0
		.amdhsa_enable_private_segment 0
		.amdhsa_system_sgpr_workgroup_id_x 1
		.amdhsa_system_sgpr_workgroup_id_y 0
		.amdhsa_system_sgpr_workgroup_id_z 0
		.amdhsa_system_sgpr_workgroup_info 0
		.amdhsa_system_vgpr_workitem_id 0
		.amdhsa_next_free_vgpr 1
		.amdhsa_next_free_sgpr 1
		.amdhsa_reserve_vcc 0
		.amdhsa_float_round_mode_32 0
		.amdhsa_float_round_mode_16_64 0
		.amdhsa_float_denorm_mode_32 3
		.amdhsa_float_denorm_mode_16_64 3
		.amdhsa_dx10_clamp 1
		.amdhsa_ieee_mode 1
		.amdhsa_fp16_overflow 0
		.amdhsa_workgroup_processor_mode 1
		.amdhsa_memory_ordered 1
		.amdhsa_forward_progress 0
		.amdhsa_shared_vgpr_count 0
		.amdhsa_exception_fp_ieee_invalid_op 0
		.amdhsa_exception_fp_denorm_src 0
		.amdhsa_exception_fp_ieee_div_zero 0
		.amdhsa_exception_fp_ieee_overflow 0
		.amdhsa_exception_fp_ieee_underflow 0
		.amdhsa_exception_fp_ieee_inexact 0
		.amdhsa_exception_int_div_zero 0
	.end_amdhsa_kernel
	.section	.text._ZN7rocprim17ROCPRIM_400000_NS6detail17trampoline_kernelINS0_14default_configENS1_29reduce_by_key_config_selectorIjjN6thrust23THRUST_200600_302600_NS4plusIjEEEEZZNS1_33reduce_by_key_impl_wrapped_configILNS1_25lookback_scan_determinismE0ES3_S9_NS6_6detail15normal_iteratorINS6_10device_ptrIjEEEESG_SG_SG_PmS8_22is_equal_div_10_reduceIjEEE10hipError_tPvRmT2_T3_mT4_T5_T6_T7_T8_P12ihipStream_tbENKUlT_T0_E_clISt17integral_constantIbLb0EES11_EEDaSW_SX_EUlSW_E_NS1_11comp_targetILNS1_3genE2ELNS1_11target_archE906ELNS1_3gpuE6ELNS1_3repE0EEENS1_30default_config_static_selectorELNS0_4arch9wavefront6targetE0EEEvT1_,"axG",@progbits,_ZN7rocprim17ROCPRIM_400000_NS6detail17trampoline_kernelINS0_14default_configENS1_29reduce_by_key_config_selectorIjjN6thrust23THRUST_200600_302600_NS4plusIjEEEEZZNS1_33reduce_by_key_impl_wrapped_configILNS1_25lookback_scan_determinismE0ES3_S9_NS6_6detail15normal_iteratorINS6_10device_ptrIjEEEESG_SG_SG_PmS8_22is_equal_div_10_reduceIjEEE10hipError_tPvRmT2_T3_mT4_T5_T6_T7_T8_P12ihipStream_tbENKUlT_T0_E_clISt17integral_constantIbLb0EES11_EEDaSW_SX_EUlSW_E_NS1_11comp_targetILNS1_3genE2ELNS1_11target_archE906ELNS1_3gpuE6ELNS1_3repE0EEENS1_30default_config_static_selectorELNS0_4arch9wavefront6targetE0EEEvT1_,comdat
.Lfunc_end358:
	.size	_ZN7rocprim17ROCPRIM_400000_NS6detail17trampoline_kernelINS0_14default_configENS1_29reduce_by_key_config_selectorIjjN6thrust23THRUST_200600_302600_NS4plusIjEEEEZZNS1_33reduce_by_key_impl_wrapped_configILNS1_25lookback_scan_determinismE0ES3_S9_NS6_6detail15normal_iteratorINS6_10device_ptrIjEEEESG_SG_SG_PmS8_22is_equal_div_10_reduceIjEEE10hipError_tPvRmT2_T3_mT4_T5_T6_T7_T8_P12ihipStream_tbENKUlT_T0_E_clISt17integral_constantIbLb0EES11_EEDaSW_SX_EUlSW_E_NS1_11comp_targetILNS1_3genE2ELNS1_11target_archE906ELNS1_3gpuE6ELNS1_3repE0EEENS1_30default_config_static_selectorELNS0_4arch9wavefront6targetE0EEEvT1_, .Lfunc_end358-_ZN7rocprim17ROCPRIM_400000_NS6detail17trampoline_kernelINS0_14default_configENS1_29reduce_by_key_config_selectorIjjN6thrust23THRUST_200600_302600_NS4plusIjEEEEZZNS1_33reduce_by_key_impl_wrapped_configILNS1_25lookback_scan_determinismE0ES3_S9_NS6_6detail15normal_iteratorINS6_10device_ptrIjEEEESG_SG_SG_PmS8_22is_equal_div_10_reduceIjEEE10hipError_tPvRmT2_T3_mT4_T5_T6_T7_T8_P12ihipStream_tbENKUlT_T0_E_clISt17integral_constantIbLb0EES11_EEDaSW_SX_EUlSW_E_NS1_11comp_targetILNS1_3genE2ELNS1_11target_archE906ELNS1_3gpuE6ELNS1_3repE0EEENS1_30default_config_static_selectorELNS0_4arch9wavefront6targetE0EEEvT1_
                                        ; -- End function
	.section	.AMDGPU.csdata,"",@progbits
; Kernel info:
; codeLenInByte = 0
; NumSgprs: 0
; NumVgprs: 0
; ScratchSize: 0
; MemoryBound: 0
; FloatMode: 240
; IeeeMode: 1
; LDSByteSize: 0 bytes/workgroup (compile time only)
; SGPRBlocks: 0
; VGPRBlocks: 0
; NumSGPRsForWavesPerEU: 1
; NumVGPRsForWavesPerEU: 1
; Occupancy: 16
; WaveLimiterHint : 0
; COMPUTE_PGM_RSRC2:SCRATCH_EN: 0
; COMPUTE_PGM_RSRC2:USER_SGPR: 15
; COMPUTE_PGM_RSRC2:TRAP_HANDLER: 0
; COMPUTE_PGM_RSRC2:TGID_X_EN: 1
; COMPUTE_PGM_RSRC2:TGID_Y_EN: 0
; COMPUTE_PGM_RSRC2:TGID_Z_EN: 0
; COMPUTE_PGM_RSRC2:TIDIG_COMP_CNT: 0
	.section	.text._ZN7rocprim17ROCPRIM_400000_NS6detail17trampoline_kernelINS0_14default_configENS1_29reduce_by_key_config_selectorIjjN6thrust23THRUST_200600_302600_NS4plusIjEEEEZZNS1_33reduce_by_key_impl_wrapped_configILNS1_25lookback_scan_determinismE0ES3_S9_NS6_6detail15normal_iteratorINS6_10device_ptrIjEEEESG_SG_SG_PmS8_22is_equal_div_10_reduceIjEEE10hipError_tPvRmT2_T3_mT4_T5_T6_T7_T8_P12ihipStream_tbENKUlT_T0_E_clISt17integral_constantIbLb0EES11_EEDaSW_SX_EUlSW_E_NS1_11comp_targetILNS1_3genE10ELNS1_11target_archE1201ELNS1_3gpuE5ELNS1_3repE0EEENS1_30default_config_static_selectorELNS0_4arch9wavefront6targetE0EEEvT1_,"axG",@progbits,_ZN7rocprim17ROCPRIM_400000_NS6detail17trampoline_kernelINS0_14default_configENS1_29reduce_by_key_config_selectorIjjN6thrust23THRUST_200600_302600_NS4plusIjEEEEZZNS1_33reduce_by_key_impl_wrapped_configILNS1_25lookback_scan_determinismE0ES3_S9_NS6_6detail15normal_iteratorINS6_10device_ptrIjEEEESG_SG_SG_PmS8_22is_equal_div_10_reduceIjEEE10hipError_tPvRmT2_T3_mT4_T5_T6_T7_T8_P12ihipStream_tbENKUlT_T0_E_clISt17integral_constantIbLb0EES11_EEDaSW_SX_EUlSW_E_NS1_11comp_targetILNS1_3genE10ELNS1_11target_archE1201ELNS1_3gpuE5ELNS1_3repE0EEENS1_30default_config_static_selectorELNS0_4arch9wavefront6targetE0EEEvT1_,comdat
	.protected	_ZN7rocprim17ROCPRIM_400000_NS6detail17trampoline_kernelINS0_14default_configENS1_29reduce_by_key_config_selectorIjjN6thrust23THRUST_200600_302600_NS4plusIjEEEEZZNS1_33reduce_by_key_impl_wrapped_configILNS1_25lookback_scan_determinismE0ES3_S9_NS6_6detail15normal_iteratorINS6_10device_ptrIjEEEESG_SG_SG_PmS8_22is_equal_div_10_reduceIjEEE10hipError_tPvRmT2_T3_mT4_T5_T6_T7_T8_P12ihipStream_tbENKUlT_T0_E_clISt17integral_constantIbLb0EES11_EEDaSW_SX_EUlSW_E_NS1_11comp_targetILNS1_3genE10ELNS1_11target_archE1201ELNS1_3gpuE5ELNS1_3repE0EEENS1_30default_config_static_selectorELNS0_4arch9wavefront6targetE0EEEvT1_ ; -- Begin function _ZN7rocprim17ROCPRIM_400000_NS6detail17trampoline_kernelINS0_14default_configENS1_29reduce_by_key_config_selectorIjjN6thrust23THRUST_200600_302600_NS4plusIjEEEEZZNS1_33reduce_by_key_impl_wrapped_configILNS1_25lookback_scan_determinismE0ES3_S9_NS6_6detail15normal_iteratorINS6_10device_ptrIjEEEESG_SG_SG_PmS8_22is_equal_div_10_reduceIjEEE10hipError_tPvRmT2_T3_mT4_T5_T6_T7_T8_P12ihipStream_tbENKUlT_T0_E_clISt17integral_constantIbLb0EES11_EEDaSW_SX_EUlSW_E_NS1_11comp_targetILNS1_3genE10ELNS1_11target_archE1201ELNS1_3gpuE5ELNS1_3repE0EEENS1_30default_config_static_selectorELNS0_4arch9wavefront6targetE0EEEvT1_
	.globl	_ZN7rocprim17ROCPRIM_400000_NS6detail17trampoline_kernelINS0_14default_configENS1_29reduce_by_key_config_selectorIjjN6thrust23THRUST_200600_302600_NS4plusIjEEEEZZNS1_33reduce_by_key_impl_wrapped_configILNS1_25lookback_scan_determinismE0ES3_S9_NS6_6detail15normal_iteratorINS6_10device_ptrIjEEEESG_SG_SG_PmS8_22is_equal_div_10_reduceIjEEE10hipError_tPvRmT2_T3_mT4_T5_T6_T7_T8_P12ihipStream_tbENKUlT_T0_E_clISt17integral_constantIbLb0EES11_EEDaSW_SX_EUlSW_E_NS1_11comp_targetILNS1_3genE10ELNS1_11target_archE1201ELNS1_3gpuE5ELNS1_3repE0EEENS1_30default_config_static_selectorELNS0_4arch9wavefront6targetE0EEEvT1_
	.p2align	8
	.type	_ZN7rocprim17ROCPRIM_400000_NS6detail17trampoline_kernelINS0_14default_configENS1_29reduce_by_key_config_selectorIjjN6thrust23THRUST_200600_302600_NS4plusIjEEEEZZNS1_33reduce_by_key_impl_wrapped_configILNS1_25lookback_scan_determinismE0ES3_S9_NS6_6detail15normal_iteratorINS6_10device_ptrIjEEEESG_SG_SG_PmS8_22is_equal_div_10_reduceIjEEE10hipError_tPvRmT2_T3_mT4_T5_T6_T7_T8_P12ihipStream_tbENKUlT_T0_E_clISt17integral_constantIbLb0EES11_EEDaSW_SX_EUlSW_E_NS1_11comp_targetILNS1_3genE10ELNS1_11target_archE1201ELNS1_3gpuE5ELNS1_3repE0EEENS1_30default_config_static_selectorELNS0_4arch9wavefront6targetE0EEEvT1_,@function
_ZN7rocprim17ROCPRIM_400000_NS6detail17trampoline_kernelINS0_14default_configENS1_29reduce_by_key_config_selectorIjjN6thrust23THRUST_200600_302600_NS4plusIjEEEEZZNS1_33reduce_by_key_impl_wrapped_configILNS1_25lookback_scan_determinismE0ES3_S9_NS6_6detail15normal_iteratorINS6_10device_ptrIjEEEESG_SG_SG_PmS8_22is_equal_div_10_reduceIjEEE10hipError_tPvRmT2_T3_mT4_T5_T6_T7_T8_P12ihipStream_tbENKUlT_T0_E_clISt17integral_constantIbLb0EES11_EEDaSW_SX_EUlSW_E_NS1_11comp_targetILNS1_3genE10ELNS1_11target_archE1201ELNS1_3gpuE5ELNS1_3repE0EEENS1_30default_config_static_selectorELNS0_4arch9wavefront6targetE0EEEvT1_: ; @_ZN7rocprim17ROCPRIM_400000_NS6detail17trampoline_kernelINS0_14default_configENS1_29reduce_by_key_config_selectorIjjN6thrust23THRUST_200600_302600_NS4plusIjEEEEZZNS1_33reduce_by_key_impl_wrapped_configILNS1_25lookback_scan_determinismE0ES3_S9_NS6_6detail15normal_iteratorINS6_10device_ptrIjEEEESG_SG_SG_PmS8_22is_equal_div_10_reduceIjEEE10hipError_tPvRmT2_T3_mT4_T5_T6_T7_T8_P12ihipStream_tbENKUlT_T0_E_clISt17integral_constantIbLb0EES11_EEDaSW_SX_EUlSW_E_NS1_11comp_targetILNS1_3genE10ELNS1_11target_archE1201ELNS1_3gpuE5ELNS1_3repE0EEENS1_30default_config_static_selectorELNS0_4arch9wavefront6targetE0EEEvT1_
; %bb.0:
	.section	.rodata,"a",@progbits
	.p2align	6, 0x0
	.amdhsa_kernel _ZN7rocprim17ROCPRIM_400000_NS6detail17trampoline_kernelINS0_14default_configENS1_29reduce_by_key_config_selectorIjjN6thrust23THRUST_200600_302600_NS4plusIjEEEEZZNS1_33reduce_by_key_impl_wrapped_configILNS1_25lookback_scan_determinismE0ES3_S9_NS6_6detail15normal_iteratorINS6_10device_ptrIjEEEESG_SG_SG_PmS8_22is_equal_div_10_reduceIjEEE10hipError_tPvRmT2_T3_mT4_T5_T6_T7_T8_P12ihipStream_tbENKUlT_T0_E_clISt17integral_constantIbLb0EES11_EEDaSW_SX_EUlSW_E_NS1_11comp_targetILNS1_3genE10ELNS1_11target_archE1201ELNS1_3gpuE5ELNS1_3repE0EEENS1_30default_config_static_selectorELNS0_4arch9wavefront6targetE0EEEvT1_
		.amdhsa_group_segment_fixed_size 0
		.amdhsa_private_segment_fixed_size 0
		.amdhsa_kernarg_size 120
		.amdhsa_user_sgpr_count 15
		.amdhsa_user_sgpr_dispatch_ptr 0
		.amdhsa_user_sgpr_queue_ptr 0
		.amdhsa_user_sgpr_kernarg_segment_ptr 1
		.amdhsa_user_sgpr_dispatch_id 0
		.amdhsa_user_sgpr_private_segment_size 0
		.amdhsa_wavefront_size32 1
		.amdhsa_uses_dynamic_stack 0
		.amdhsa_enable_private_segment 0
		.amdhsa_system_sgpr_workgroup_id_x 1
		.amdhsa_system_sgpr_workgroup_id_y 0
		.amdhsa_system_sgpr_workgroup_id_z 0
		.amdhsa_system_sgpr_workgroup_info 0
		.amdhsa_system_vgpr_workitem_id 0
		.amdhsa_next_free_vgpr 1
		.amdhsa_next_free_sgpr 1
		.amdhsa_reserve_vcc 0
		.amdhsa_float_round_mode_32 0
		.amdhsa_float_round_mode_16_64 0
		.amdhsa_float_denorm_mode_32 3
		.amdhsa_float_denorm_mode_16_64 3
		.amdhsa_dx10_clamp 1
		.amdhsa_ieee_mode 1
		.amdhsa_fp16_overflow 0
		.amdhsa_workgroup_processor_mode 1
		.amdhsa_memory_ordered 1
		.amdhsa_forward_progress 0
		.amdhsa_shared_vgpr_count 0
		.amdhsa_exception_fp_ieee_invalid_op 0
		.amdhsa_exception_fp_denorm_src 0
		.amdhsa_exception_fp_ieee_div_zero 0
		.amdhsa_exception_fp_ieee_overflow 0
		.amdhsa_exception_fp_ieee_underflow 0
		.amdhsa_exception_fp_ieee_inexact 0
		.amdhsa_exception_int_div_zero 0
	.end_amdhsa_kernel
	.section	.text._ZN7rocprim17ROCPRIM_400000_NS6detail17trampoline_kernelINS0_14default_configENS1_29reduce_by_key_config_selectorIjjN6thrust23THRUST_200600_302600_NS4plusIjEEEEZZNS1_33reduce_by_key_impl_wrapped_configILNS1_25lookback_scan_determinismE0ES3_S9_NS6_6detail15normal_iteratorINS6_10device_ptrIjEEEESG_SG_SG_PmS8_22is_equal_div_10_reduceIjEEE10hipError_tPvRmT2_T3_mT4_T5_T6_T7_T8_P12ihipStream_tbENKUlT_T0_E_clISt17integral_constantIbLb0EES11_EEDaSW_SX_EUlSW_E_NS1_11comp_targetILNS1_3genE10ELNS1_11target_archE1201ELNS1_3gpuE5ELNS1_3repE0EEENS1_30default_config_static_selectorELNS0_4arch9wavefront6targetE0EEEvT1_,"axG",@progbits,_ZN7rocprim17ROCPRIM_400000_NS6detail17trampoline_kernelINS0_14default_configENS1_29reduce_by_key_config_selectorIjjN6thrust23THRUST_200600_302600_NS4plusIjEEEEZZNS1_33reduce_by_key_impl_wrapped_configILNS1_25lookback_scan_determinismE0ES3_S9_NS6_6detail15normal_iteratorINS6_10device_ptrIjEEEESG_SG_SG_PmS8_22is_equal_div_10_reduceIjEEE10hipError_tPvRmT2_T3_mT4_T5_T6_T7_T8_P12ihipStream_tbENKUlT_T0_E_clISt17integral_constantIbLb0EES11_EEDaSW_SX_EUlSW_E_NS1_11comp_targetILNS1_3genE10ELNS1_11target_archE1201ELNS1_3gpuE5ELNS1_3repE0EEENS1_30default_config_static_selectorELNS0_4arch9wavefront6targetE0EEEvT1_,comdat
.Lfunc_end359:
	.size	_ZN7rocprim17ROCPRIM_400000_NS6detail17trampoline_kernelINS0_14default_configENS1_29reduce_by_key_config_selectorIjjN6thrust23THRUST_200600_302600_NS4plusIjEEEEZZNS1_33reduce_by_key_impl_wrapped_configILNS1_25lookback_scan_determinismE0ES3_S9_NS6_6detail15normal_iteratorINS6_10device_ptrIjEEEESG_SG_SG_PmS8_22is_equal_div_10_reduceIjEEE10hipError_tPvRmT2_T3_mT4_T5_T6_T7_T8_P12ihipStream_tbENKUlT_T0_E_clISt17integral_constantIbLb0EES11_EEDaSW_SX_EUlSW_E_NS1_11comp_targetILNS1_3genE10ELNS1_11target_archE1201ELNS1_3gpuE5ELNS1_3repE0EEENS1_30default_config_static_selectorELNS0_4arch9wavefront6targetE0EEEvT1_, .Lfunc_end359-_ZN7rocprim17ROCPRIM_400000_NS6detail17trampoline_kernelINS0_14default_configENS1_29reduce_by_key_config_selectorIjjN6thrust23THRUST_200600_302600_NS4plusIjEEEEZZNS1_33reduce_by_key_impl_wrapped_configILNS1_25lookback_scan_determinismE0ES3_S9_NS6_6detail15normal_iteratorINS6_10device_ptrIjEEEESG_SG_SG_PmS8_22is_equal_div_10_reduceIjEEE10hipError_tPvRmT2_T3_mT4_T5_T6_T7_T8_P12ihipStream_tbENKUlT_T0_E_clISt17integral_constantIbLb0EES11_EEDaSW_SX_EUlSW_E_NS1_11comp_targetILNS1_3genE10ELNS1_11target_archE1201ELNS1_3gpuE5ELNS1_3repE0EEENS1_30default_config_static_selectorELNS0_4arch9wavefront6targetE0EEEvT1_
                                        ; -- End function
	.section	.AMDGPU.csdata,"",@progbits
; Kernel info:
; codeLenInByte = 0
; NumSgprs: 0
; NumVgprs: 0
; ScratchSize: 0
; MemoryBound: 0
; FloatMode: 240
; IeeeMode: 1
; LDSByteSize: 0 bytes/workgroup (compile time only)
; SGPRBlocks: 0
; VGPRBlocks: 0
; NumSGPRsForWavesPerEU: 1
; NumVGPRsForWavesPerEU: 1
; Occupancy: 16
; WaveLimiterHint : 0
; COMPUTE_PGM_RSRC2:SCRATCH_EN: 0
; COMPUTE_PGM_RSRC2:USER_SGPR: 15
; COMPUTE_PGM_RSRC2:TRAP_HANDLER: 0
; COMPUTE_PGM_RSRC2:TGID_X_EN: 1
; COMPUTE_PGM_RSRC2:TGID_Y_EN: 0
; COMPUTE_PGM_RSRC2:TGID_Z_EN: 0
; COMPUTE_PGM_RSRC2:TIDIG_COMP_CNT: 0
	.section	.text._ZN7rocprim17ROCPRIM_400000_NS6detail17trampoline_kernelINS0_14default_configENS1_29reduce_by_key_config_selectorIjjN6thrust23THRUST_200600_302600_NS4plusIjEEEEZZNS1_33reduce_by_key_impl_wrapped_configILNS1_25lookback_scan_determinismE0ES3_S9_NS6_6detail15normal_iteratorINS6_10device_ptrIjEEEESG_SG_SG_PmS8_22is_equal_div_10_reduceIjEEE10hipError_tPvRmT2_T3_mT4_T5_T6_T7_T8_P12ihipStream_tbENKUlT_T0_E_clISt17integral_constantIbLb0EES11_EEDaSW_SX_EUlSW_E_NS1_11comp_targetILNS1_3genE10ELNS1_11target_archE1200ELNS1_3gpuE4ELNS1_3repE0EEENS1_30default_config_static_selectorELNS0_4arch9wavefront6targetE0EEEvT1_,"axG",@progbits,_ZN7rocprim17ROCPRIM_400000_NS6detail17trampoline_kernelINS0_14default_configENS1_29reduce_by_key_config_selectorIjjN6thrust23THRUST_200600_302600_NS4plusIjEEEEZZNS1_33reduce_by_key_impl_wrapped_configILNS1_25lookback_scan_determinismE0ES3_S9_NS6_6detail15normal_iteratorINS6_10device_ptrIjEEEESG_SG_SG_PmS8_22is_equal_div_10_reduceIjEEE10hipError_tPvRmT2_T3_mT4_T5_T6_T7_T8_P12ihipStream_tbENKUlT_T0_E_clISt17integral_constantIbLb0EES11_EEDaSW_SX_EUlSW_E_NS1_11comp_targetILNS1_3genE10ELNS1_11target_archE1200ELNS1_3gpuE4ELNS1_3repE0EEENS1_30default_config_static_selectorELNS0_4arch9wavefront6targetE0EEEvT1_,comdat
	.protected	_ZN7rocprim17ROCPRIM_400000_NS6detail17trampoline_kernelINS0_14default_configENS1_29reduce_by_key_config_selectorIjjN6thrust23THRUST_200600_302600_NS4plusIjEEEEZZNS1_33reduce_by_key_impl_wrapped_configILNS1_25lookback_scan_determinismE0ES3_S9_NS6_6detail15normal_iteratorINS6_10device_ptrIjEEEESG_SG_SG_PmS8_22is_equal_div_10_reduceIjEEE10hipError_tPvRmT2_T3_mT4_T5_T6_T7_T8_P12ihipStream_tbENKUlT_T0_E_clISt17integral_constantIbLb0EES11_EEDaSW_SX_EUlSW_E_NS1_11comp_targetILNS1_3genE10ELNS1_11target_archE1200ELNS1_3gpuE4ELNS1_3repE0EEENS1_30default_config_static_selectorELNS0_4arch9wavefront6targetE0EEEvT1_ ; -- Begin function _ZN7rocprim17ROCPRIM_400000_NS6detail17trampoline_kernelINS0_14default_configENS1_29reduce_by_key_config_selectorIjjN6thrust23THRUST_200600_302600_NS4plusIjEEEEZZNS1_33reduce_by_key_impl_wrapped_configILNS1_25lookback_scan_determinismE0ES3_S9_NS6_6detail15normal_iteratorINS6_10device_ptrIjEEEESG_SG_SG_PmS8_22is_equal_div_10_reduceIjEEE10hipError_tPvRmT2_T3_mT4_T5_T6_T7_T8_P12ihipStream_tbENKUlT_T0_E_clISt17integral_constantIbLb0EES11_EEDaSW_SX_EUlSW_E_NS1_11comp_targetILNS1_3genE10ELNS1_11target_archE1200ELNS1_3gpuE4ELNS1_3repE0EEENS1_30default_config_static_selectorELNS0_4arch9wavefront6targetE0EEEvT1_
	.globl	_ZN7rocprim17ROCPRIM_400000_NS6detail17trampoline_kernelINS0_14default_configENS1_29reduce_by_key_config_selectorIjjN6thrust23THRUST_200600_302600_NS4plusIjEEEEZZNS1_33reduce_by_key_impl_wrapped_configILNS1_25lookback_scan_determinismE0ES3_S9_NS6_6detail15normal_iteratorINS6_10device_ptrIjEEEESG_SG_SG_PmS8_22is_equal_div_10_reduceIjEEE10hipError_tPvRmT2_T3_mT4_T5_T6_T7_T8_P12ihipStream_tbENKUlT_T0_E_clISt17integral_constantIbLb0EES11_EEDaSW_SX_EUlSW_E_NS1_11comp_targetILNS1_3genE10ELNS1_11target_archE1200ELNS1_3gpuE4ELNS1_3repE0EEENS1_30default_config_static_selectorELNS0_4arch9wavefront6targetE0EEEvT1_
	.p2align	8
	.type	_ZN7rocprim17ROCPRIM_400000_NS6detail17trampoline_kernelINS0_14default_configENS1_29reduce_by_key_config_selectorIjjN6thrust23THRUST_200600_302600_NS4plusIjEEEEZZNS1_33reduce_by_key_impl_wrapped_configILNS1_25lookback_scan_determinismE0ES3_S9_NS6_6detail15normal_iteratorINS6_10device_ptrIjEEEESG_SG_SG_PmS8_22is_equal_div_10_reduceIjEEE10hipError_tPvRmT2_T3_mT4_T5_T6_T7_T8_P12ihipStream_tbENKUlT_T0_E_clISt17integral_constantIbLb0EES11_EEDaSW_SX_EUlSW_E_NS1_11comp_targetILNS1_3genE10ELNS1_11target_archE1200ELNS1_3gpuE4ELNS1_3repE0EEENS1_30default_config_static_selectorELNS0_4arch9wavefront6targetE0EEEvT1_,@function
_ZN7rocprim17ROCPRIM_400000_NS6detail17trampoline_kernelINS0_14default_configENS1_29reduce_by_key_config_selectorIjjN6thrust23THRUST_200600_302600_NS4plusIjEEEEZZNS1_33reduce_by_key_impl_wrapped_configILNS1_25lookback_scan_determinismE0ES3_S9_NS6_6detail15normal_iteratorINS6_10device_ptrIjEEEESG_SG_SG_PmS8_22is_equal_div_10_reduceIjEEE10hipError_tPvRmT2_T3_mT4_T5_T6_T7_T8_P12ihipStream_tbENKUlT_T0_E_clISt17integral_constantIbLb0EES11_EEDaSW_SX_EUlSW_E_NS1_11comp_targetILNS1_3genE10ELNS1_11target_archE1200ELNS1_3gpuE4ELNS1_3repE0EEENS1_30default_config_static_selectorELNS0_4arch9wavefront6targetE0EEEvT1_: ; @_ZN7rocprim17ROCPRIM_400000_NS6detail17trampoline_kernelINS0_14default_configENS1_29reduce_by_key_config_selectorIjjN6thrust23THRUST_200600_302600_NS4plusIjEEEEZZNS1_33reduce_by_key_impl_wrapped_configILNS1_25lookback_scan_determinismE0ES3_S9_NS6_6detail15normal_iteratorINS6_10device_ptrIjEEEESG_SG_SG_PmS8_22is_equal_div_10_reduceIjEEE10hipError_tPvRmT2_T3_mT4_T5_T6_T7_T8_P12ihipStream_tbENKUlT_T0_E_clISt17integral_constantIbLb0EES11_EEDaSW_SX_EUlSW_E_NS1_11comp_targetILNS1_3genE10ELNS1_11target_archE1200ELNS1_3gpuE4ELNS1_3repE0EEENS1_30default_config_static_selectorELNS0_4arch9wavefront6targetE0EEEvT1_
; %bb.0:
	.section	.rodata,"a",@progbits
	.p2align	6, 0x0
	.amdhsa_kernel _ZN7rocprim17ROCPRIM_400000_NS6detail17trampoline_kernelINS0_14default_configENS1_29reduce_by_key_config_selectorIjjN6thrust23THRUST_200600_302600_NS4plusIjEEEEZZNS1_33reduce_by_key_impl_wrapped_configILNS1_25lookback_scan_determinismE0ES3_S9_NS6_6detail15normal_iteratorINS6_10device_ptrIjEEEESG_SG_SG_PmS8_22is_equal_div_10_reduceIjEEE10hipError_tPvRmT2_T3_mT4_T5_T6_T7_T8_P12ihipStream_tbENKUlT_T0_E_clISt17integral_constantIbLb0EES11_EEDaSW_SX_EUlSW_E_NS1_11comp_targetILNS1_3genE10ELNS1_11target_archE1200ELNS1_3gpuE4ELNS1_3repE0EEENS1_30default_config_static_selectorELNS0_4arch9wavefront6targetE0EEEvT1_
		.amdhsa_group_segment_fixed_size 0
		.amdhsa_private_segment_fixed_size 0
		.amdhsa_kernarg_size 120
		.amdhsa_user_sgpr_count 15
		.amdhsa_user_sgpr_dispatch_ptr 0
		.amdhsa_user_sgpr_queue_ptr 0
		.amdhsa_user_sgpr_kernarg_segment_ptr 1
		.amdhsa_user_sgpr_dispatch_id 0
		.amdhsa_user_sgpr_private_segment_size 0
		.amdhsa_wavefront_size32 1
		.amdhsa_uses_dynamic_stack 0
		.amdhsa_enable_private_segment 0
		.amdhsa_system_sgpr_workgroup_id_x 1
		.amdhsa_system_sgpr_workgroup_id_y 0
		.amdhsa_system_sgpr_workgroup_id_z 0
		.amdhsa_system_sgpr_workgroup_info 0
		.amdhsa_system_vgpr_workitem_id 0
		.amdhsa_next_free_vgpr 1
		.amdhsa_next_free_sgpr 1
		.amdhsa_reserve_vcc 0
		.amdhsa_float_round_mode_32 0
		.amdhsa_float_round_mode_16_64 0
		.amdhsa_float_denorm_mode_32 3
		.amdhsa_float_denorm_mode_16_64 3
		.amdhsa_dx10_clamp 1
		.amdhsa_ieee_mode 1
		.amdhsa_fp16_overflow 0
		.amdhsa_workgroup_processor_mode 1
		.amdhsa_memory_ordered 1
		.amdhsa_forward_progress 0
		.amdhsa_shared_vgpr_count 0
		.amdhsa_exception_fp_ieee_invalid_op 0
		.amdhsa_exception_fp_denorm_src 0
		.amdhsa_exception_fp_ieee_div_zero 0
		.amdhsa_exception_fp_ieee_overflow 0
		.amdhsa_exception_fp_ieee_underflow 0
		.amdhsa_exception_fp_ieee_inexact 0
		.amdhsa_exception_int_div_zero 0
	.end_amdhsa_kernel
	.section	.text._ZN7rocprim17ROCPRIM_400000_NS6detail17trampoline_kernelINS0_14default_configENS1_29reduce_by_key_config_selectorIjjN6thrust23THRUST_200600_302600_NS4plusIjEEEEZZNS1_33reduce_by_key_impl_wrapped_configILNS1_25lookback_scan_determinismE0ES3_S9_NS6_6detail15normal_iteratorINS6_10device_ptrIjEEEESG_SG_SG_PmS8_22is_equal_div_10_reduceIjEEE10hipError_tPvRmT2_T3_mT4_T5_T6_T7_T8_P12ihipStream_tbENKUlT_T0_E_clISt17integral_constantIbLb0EES11_EEDaSW_SX_EUlSW_E_NS1_11comp_targetILNS1_3genE10ELNS1_11target_archE1200ELNS1_3gpuE4ELNS1_3repE0EEENS1_30default_config_static_selectorELNS0_4arch9wavefront6targetE0EEEvT1_,"axG",@progbits,_ZN7rocprim17ROCPRIM_400000_NS6detail17trampoline_kernelINS0_14default_configENS1_29reduce_by_key_config_selectorIjjN6thrust23THRUST_200600_302600_NS4plusIjEEEEZZNS1_33reduce_by_key_impl_wrapped_configILNS1_25lookback_scan_determinismE0ES3_S9_NS6_6detail15normal_iteratorINS6_10device_ptrIjEEEESG_SG_SG_PmS8_22is_equal_div_10_reduceIjEEE10hipError_tPvRmT2_T3_mT4_T5_T6_T7_T8_P12ihipStream_tbENKUlT_T0_E_clISt17integral_constantIbLb0EES11_EEDaSW_SX_EUlSW_E_NS1_11comp_targetILNS1_3genE10ELNS1_11target_archE1200ELNS1_3gpuE4ELNS1_3repE0EEENS1_30default_config_static_selectorELNS0_4arch9wavefront6targetE0EEEvT1_,comdat
.Lfunc_end360:
	.size	_ZN7rocprim17ROCPRIM_400000_NS6detail17trampoline_kernelINS0_14default_configENS1_29reduce_by_key_config_selectorIjjN6thrust23THRUST_200600_302600_NS4plusIjEEEEZZNS1_33reduce_by_key_impl_wrapped_configILNS1_25lookback_scan_determinismE0ES3_S9_NS6_6detail15normal_iteratorINS6_10device_ptrIjEEEESG_SG_SG_PmS8_22is_equal_div_10_reduceIjEEE10hipError_tPvRmT2_T3_mT4_T5_T6_T7_T8_P12ihipStream_tbENKUlT_T0_E_clISt17integral_constantIbLb0EES11_EEDaSW_SX_EUlSW_E_NS1_11comp_targetILNS1_3genE10ELNS1_11target_archE1200ELNS1_3gpuE4ELNS1_3repE0EEENS1_30default_config_static_selectorELNS0_4arch9wavefront6targetE0EEEvT1_, .Lfunc_end360-_ZN7rocprim17ROCPRIM_400000_NS6detail17trampoline_kernelINS0_14default_configENS1_29reduce_by_key_config_selectorIjjN6thrust23THRUST_200600_302600_NS4plusIjEEEEZZNS1_33reduce_by_key_impl_wrapped_configILNS1_25lookback_scan_determinismE0ES3_S9_NS6_6detail15normal_iteratorINS6_10device_ptrIjEEEESG_SG_SG_PmS8_22is_equal_div_10_reduceIjEEE10hipError_tPvRmT2_T3_mT4_T5_T6_T7_T8_P12ihipStream_tbENKUlT_T0_E_clISt17integral_constantIbLb0EES11_EEDaSW_SX_EUlSW_E_NS1_11comp_targetILNS1_3genE10ELNS1_11target_archE1200ELNS1_3gpuE4ELNS1_3repE0EEENS1_30default_config_static_selectorELNS0_4arch9wavefront6targetE0EEEvT1_
                                        ; -- End function
	.section	.AMDGPU.csdata,"",@progbits
; Kernel info:
; codeLenInByte = 0
; NumSgprs: 0
; NumVgprs: 0
; ScratchSize: 0
; MemoryBound: 0
; FloatMode: 240
; IeeeMode: 1
; LDSByteSize: 0 bytes/workgroup (compile time only)
; SGPRBlocks: 0
; VGPRBlocks: 0
; NumSGPRsForWavesPerEU: 1
; NumVGPRsForWavesPerEU: 1
; Occupancy: 16
; WaveLimiterHint : 0
; COMPUTE_PGM_RSRC2:SCRATCH_EN: 0
; COMPUTE_PGM_RSRC2:USER_SGPR: 15
; COMPUTE_PGM_RSRC2:TRAP_HANDLER: 0
; COMPUTE_PGM_RSRC2:TGID_X_EN: 1
; COMPUTE_PGM_RSRC2:TGID_Y_EN: 0
; COMPUTE_PGM_RSRC2:TGID_Z_EN: 0
; COMPUTE_PGM_RSRC2:TIDIG_COMP_CNT: 0
	.section	.text._ZN7rocprim17ROCPRIM_400000_NS6detail17trampoline_kernelINS0_14default_configENS1_29reduce_by_key_config_selectorIjjN6thrust23THRUST_200600_302600_NS4plusIjEEEEZZNS1_33reduce_by_key_impl_wrapped_configILNS1_25lookback_scan_determinismE0ES3_S9_NS6_6detail15normal_iteratorINS6_10device_ptrIjEEEESG_SG_SG_PmS8_22is_equal_div_10_reduceIjEEE10hipError_tPvRmT2_T3_mT4_T5_T6_T7_T8_P12ihipStream_tbENKUlT_T0_E_clISt17integral_constantIbLb0EES11_EEDaSW_SX_EUlSW_E_NS1_11comp_targetILNS1_3genE9ELNS1_11target_archE1100ELNS1_3gpuE3ELNS1_3repE0EEENS1_30default_config_static_selectorELNS0_4arch9wavefront6targetE0EEEvT1_,"axG",@progbits,_ZN7rocprim17ROCPRIM_400000_NS6detail17trampoline_kernelINS0_14default_configENS1_29reduce_by_key_config_selectorIjjN6thrust23THRUST_200600_302600_NS4plusIjEEEEZZNS1_33reduce_by_key_impl_wrapped_configILNS1_25lookback_scan_determinismE0ES3_S9_NS6_6detail15normal_iteratorINS6_10device_ptrIjEEEESG_SG_SG_PmS8_22is_equal_div_10_reduceIjEEE10hipError_tPvRmT2_T3_mT4_T5_T6_T7_T8_P12ihipStream_tbENKUlT_T0_E_clISt17integral_constantIbLb0EES11_EEDaSW_SX_EUlSW_E_NS1_11comp_targetILNS1_3genE9ELNS1_11target_archE1100ELNS1_3gpuE3ELNS1_3repE0EEENS1_30default_config_static_selectorELNS0_4arch9wavefront6targetE0EEEvT1_,comdat
	.protected	_ZN7rocprim17ROCPRIM_400000_NS6detail17trampoline_kernelINS0_14default_configENS1_29reduce_by_key_config_selectorIjjN6thrust23THRUST_200600_302600_NS4plusIjEEEEZZNS1_33reduce_by_key_impl_wrapped_configILNS1_25lookback_scan_determinismE0ES3_S9_NS6_6detail15normal_iteratorINS6_10device_ptrIjEEEESG_SG_SG_PmS8_22is_equal_div_10_reduceIjEEE10hipError_tPvRmT2_T3_mT4_T5_T6_T7_T8_P12ihipStream_tbENKUlT_T0_E_clISt17integral_constantIbLb0EES11_EEDaSW_SX_EUlSW_E_NS1_11comp_targetILNS1_3genE9ELNS1_11target_archE1100ELNS1_3gpuE3ELNS1_3repE0EEENS1_30default_config_static_selectorELNS0_4arch9wavefront6targetE0EEEvT1_ ; -- Begin function _ZN7rocprim17ROCPRIM_400000_NS6detail17trampoline_kernelINS0_14default_configENS1_29reduce_by_key_config_selectorIjjN6thrust23THRUST_200600_302600_NS4plusIjEEEEZZNS1_33reduce_by_key_impl_wrapped_configILNS1_25lookback_scan_determinismE0ES3_S9_NS6_6detail15normal_iteratorINS6_10device_ptrIjEEEESG_SG_SG_PmS8_22is_equal_div_10_reduceIjEEE10hipError_tPvRmT2_T3_mT4_T5_T6_T7_T8_P12ihipStream_tbENKUlT_T0_E_clISt17integral_constantIbLb0EES11_EEDaSW_SX_EUlSW_E_NS1_11comp_targetILNS1_3genE9ELNS1_11target_archE1100ELNS1_3gpuE3ELNS1_3repE0EEENS1_30default_config_static_selectorELNS0_4arch9wavefront6targetE0EEEvT1_
	.globl	_ZN7rocprim17ROCPRIM_400000_NS6detail17trampoline_kernelINS0_14default_configENS1_29reduce_by_key_config_selectorIjjN6thrust23THRUST_200600_302600_NS4plusIjEEEEZZNS1_33reduce_by_key_impl_wrapped_configILNS1_25lookback_scan_determinismE0ES3_S9_NS6_6detail15normal_iteratorINS6_10device_ptrIjEEEESG_SG_SG_PmS8_22is_equal_div_10_reduceIjEEE10hipError_tPvRmT2_T3_mT4_T5_T6_T7_T8_P12ihipStream_tbENKUlT_T0_E_clISt17integral_constantIbLb0EES11_EEDaSW_SX_EUlSW_E_NS1_11comp_targetILNS1_3genE9ELNS1_11target_archE1100ELNS1_3gpuE3ELNS1_3repE0EEENS1_30default_config_static_selectorELNS0_4arch9wavefront6targetE0EEEvT1_
	.p2align	8
	.type	_ZN7rocprim17ROCPRIM_400000_NS6detail17trampoline_kernelINS0_14default_configENS1_29reduce_by_key_config_selectorIjjN6thrust23THRUST_200600_302600_NS4plusIjEEEEZZNS1_33reduce_by_key_impl_wrapped_configILNS1_25lookback_scan_determinismE0ES3_S9_NS6_6detail15normal_iteratorINS6_10device_ptrIjEEEESG_SG_SG_PmS8_22is_equal_div_10_reduceIjEEE10hipError_tPvRmT2_T3_mT4_T5_T6_T7_T8_P12ihipStream_tbENKUlT_T0_E_clISt17integral_constantIbLb0EES11_EEDaSW_SX_EUlSW_E_NS1_11comp_targetILNS1_3genE9ELNS1_11target_archE1100ELNS1_3gpuE3ELNS1_3repE0EEENS1_30default_config_static_selectorELNS0_4arch9wavefront6targetE0EEEvT1_,@function
_ZN7rocprim17ROCPRIM_400000_NS6detail17trampoline_kernelINS0_14default_configENS1_29reduce_by_key_config_selectorIjjN6thrust23THRUST_200600_302600_NS4plusIjEEEEZZNS1_33reduce_by_key_impl_wrapped_configILNS1_25lookback_scan_determinismE0ES3_S9_NS6_6detail15normal_iteratorINS6_10device_ptrIjEEEESG_SG_SG_PmS8_22is_equal_div_10_reduceIjEEE10hipError_tPvRmT2_T3_mT4_T5_T6_T7_T8_P12ihipStream_tbENKUlT_T0_E_clISt17integral_constantIbLb0EES11_EEDaSW_SX_EUlSW_E_NS1_11comp_targetILNS1_3genE9ELNS1_11target_archE1100ELNS1_3gpuE3ELNS1_3repE0EEENS1_30default_config_static_selectorELNS0_4arch9wavefront6targetE0EEEvT1_: ; @_ZN7rocprim17ROCPRIM_400000_NS6detail17trampoline_kernelINS0_14default_configENS1_29reduce_by_key_config_selectorIjjN6thrust23THRUST_200600_302600_NS4plusIjEEEEZZNS1_33reduce_by_key_impl_wrapped_configILNS1_25lookback_scan_determinismE0ES3_S9_NS6_6detail15normal_iteratorINS6_10device_ptrIjEEEESG_SG_SG_PmS8_22is_equal_div_10_reduceIjEEE10hipError_tPvRmT2_T3_mT4_T5_T6_T7_T8_P12ihipStream_tbENKUlT_T0_E_clISt17integral_constantIbLb0EES11_EEDaSW_SX_EUlSW_E_NS1_11comp_targetILNS1_3genE9ELNS1_11target_archE1100ELNS1_3gpuE3ELNS1_3repE0EEENS1_30default_config_static_selectorELNS0_4arch9wavefront6targetE0EEEvT1_
; %bb.0:
	s_clause 0x4
	s_load_b256 s[16:23], s[0:1], 0x0
	s_load_b256 s[24:31], s[0:1], 0x38
	s_load_b128 s[36:39], s[0:1], 0x20
	s_load_b64 s[34:35], s[0:1], 0x68
	s_load_b128 s[40:43], s[0:1], 0x58
	s_mov_b32 s3, 0
	s_mul_i32 s2, s15, 0xf00
	s_waitcnt lgkmcnt(0)
	s_lshl_b64 s[0:1], s[18:19], 2
	s_mul_i32 s4, s28, s27
	s_add_u32 s8, s16, s0
	s_mul_hi_u32 s5, s28, s26
	s_addc_u32 s9, s17, s1
	s_add_u32 s10, s20, s0
	s_mul_i32 s6, s29, s26
	s_addc_u32 s11, s21, s1
	s_add_i32 s4, s5, s4
	s_lshl_b64 s[0:1], s[2:3], 2
	s_add_i32 s4, s4, s6
	s_add_u32 s14, s8, s0
	s_addc_u32 s21, s9, s1
	s_mul_i32 s7, s28, s26
	s_add_u32 s20, s10, s0
	s_addc_u32 s29, s11, s1
	s_add_u32 s16, s7, s15
	s_addc_u32 s17, s4, 0
	s_add_u32 s0, s30, -1
	s_addc_u32 s1, s31, -1
	s_mul_i32 s19, s0, 0xfffff100
	s_cmp_eq_u64 s[16:17], s[0:1]
	s_cselect_b32 s18, -1, 0
	s_cmp_lg_u64 s[16:17], s[0:1]
	s_cselect_b32 s28, -1, 0
	s_and_b32 vcc_lo, exec_lo, s18
	s_cbranch_vccnz .LBB361_2
; %bb.1:
	v_lshlrev_b32_e32 v8, 2, v0
	s_delay_alu instid0(VALU_DEP_1) | instskip(NEXT) | instid1(VALU_DEP_1)
	v_add_co_u32 v1, s0, s14, v8
	v_add_co_ci_u32_e64 v2, null, s21, 0, s0
	s_delay_alu instid0(VALU_DEP_2) | instskip(NEXT) | instid1(VALU_DEP_2)
	v_add_co_u32 v3, vcc_lo, 0x1000, v1
	v_add_co_ci_u32_e32 v4, vcc_lo, 0, v2, vcc_lo
	s_clause 0x7
	flat_load_b32 v9, v[1:2]
	flat_load_b32 v10, v[1:2] offset:1024
	flat_load_b32 v11, v[1:2] offset:2048
	;; [unrolled: 1-line block ×3, first 2 shown]
	flat_load_b32 v13, v[3:4]
	flat_load_b32 v14, v[3:4] offset:1024
	flat_load_b32 v15, v[3:4] offset:2048
	;; [unrolled: 1-line block ×3, first 2 shown]
	v_add_co_u32 v3, vcc_lo, 0x2000, v1
	v_add_co_ci_u32_e32 v4, vcc_lo, 0, v2, vcc_lo
	v_add_co_u32 v1, vcc_lo, 0x3000, v1
	v_add_co_ci_u32_e32 v2, vcc_lo, 0, v2, vcc_lo
	s_clause 0x6
	flat_load_b32 v17, v[3:4]
	flat_load_b32 v18, v[3:4] offset:1024
	flat_load_b32 v19, v[3:4] offset:2048
	;; [unrolled: 1-line block ×3, first 2 shown]
	flat_load_b32 v21, v[1:2]
	flat_load_b32 v22, v[1:2] offset:1024
	flat_load_b32 v25, v[1:2] offset:2048
	v_add_co_u32 v2, s0, s20, v8
	s_delay_alu instid0(VALU_DEP_1) | instskip(SKIP_1) | instid1(VALU_DEP_3)
	v_add_co_ci_u32_e64 v3, null, s29, 0, s0
	v_mad_u32_u24 v1, v0, 56, v8
	v_add_co_u32 v4, vcc_lo, 0x1000, v2
	s_delay_alu instid0(VALU_DEP_3)
	v_add_co_ci_u32_e32 v5, vcc_lo, 0, v3, vcc_lo
	v_add_co_u32 v6, vcc_lo, 0x2000, v2
	v_add_co_ci_u32_e32 v7, vcc_lo, 0, v3, vcc_lo
	v_add_co_u32 v23, vcc_lo, 0x3000, v2
	v_add_co_ci_u32_e32 v24, vcc_lo, 0, v3, vcc_lo
	s_waitcnt vmcnt(13) lgkmcnt(13)
	ds_store_2addr_stride64_b32 v8, v9, v10 offset1:4
	s_waitcnt vmcnt(11) lgkmcnt(12)
	ds_store_2addr_stride64_b32 v8, v11, v12 offset0:8 offset1:12
	s_waitcnt vmcnt(9) lgkmcnt(11)
	ds_store_2addr_stride64_b32 v8, v13, v14 offset0:16 offset1:20
	;; [unrolled: 2-line block ×6, first 2 shown]
	s_waitcnt vmcnt(0) lgkmcnt(7)
	ds_store_b32 v8, v25 offset:14336
	s_waitcnt lgkmcnt(0)
	s_barrier
	buffer_gl0_inv
	ds_load_2addr_b32 v[21:22], v1 offset1:1
	ds_load_2addr_b32 v[19:20], v1 offset0:2 offset1:3
	ds_load_2addr_b32 v[17:18], v1 offset0:4 offset1:5
	;; [unrolled: 1-line block ×6, first 2 shown]
	ds_load_b32 v77, v1 offset:56
	s_waitcnt lgkmcnt(0)
	s_barrier
	buffer_gl0_inv
	s_clause 0xe
	flat_load_b32 v25, v[2:3]
	flat_load_b32 v26, v[2:3] offset:1024
	flat_load_b32 v27, v[2:3] offset:2048
	flat_load_b32 v2, v[2:3] offset:3072
	flat_load_b32 v3, v[4:5]
	flat_load_b32 v28, v[4:5] offset:1024
	flat_load_b32 v29, v[4:5] offset:2048
	flat_load_b32 v4, v[4:5] offset:3072
	;; [unrolled: 4-line block ×3, first 2 shown]
	flat_load_b32 v7, v[23:24]
	flat_load_b32 v32, v[23:24] offset:1024
	flat_load_b32 v23, v[23:24] offset:2048
	s_waitcnt vmcnt(13) lgkmcnt(13)
	ds_store_2addr_stride64_b32 v8, v25, v26 offset1:4
	s_waitcnt vmcnt(11) lgkmcnt(12)
	ds_store_2addr_stride64_b32 v8, v27, v2 offset0:8 offset1:12
	s_waitcnt vmcnt(9) lgkmcnt(11)
	ds_store_2addr_stride64_b32 v8, v3, v28 offset0:16 offset1:20
	;; [unrolled: 2-line block ×6, first 2 shown]
	s_waitcnt vmcnt(0) lgkmcnt(7)
	ds_store_b32 v8, v23 offset:14336
	s_waitcnt lgkmcnt(0)
	s_barrier
	s_and_not1_b32 vcc_lo, exec_lo, s3
	s_add_i32 s19, s19, s40
	s_cbranch_vccz .LBB361_3
	s_branch .LBB361_50
.LBB361_2:
                                        ; implicit-def: $vgpr1
                                        ; implicit-def: $vgpr21
                                        ; implicit-def: $vgpr19
                                        ; implicit-def: $vgpr17
                                        ; implicit-def: $vgpr15
                                        ; implicit-def: $vgpr13
                                        ; implicit-def: $vgpr11
                                        ; implicit-def: $vgpr9
                                        ; implicit-def: $vgpr77
	s_add_i32 s19, s19, s40
.LBB361_3:
	s_delay_alu instid0(SALU_CYCLE_1)
	v_cmp_gt_u32_e32 vcc_lo, s19, v0
                                        ; implicit-def: $vgpr1
	s_and_saveexec_b32 s0, vcc_lo
	s_cbranch_execz .LBB361_5
; %bb.4:
	v_lshlrev_b32_e32 v1, 2, v0
	s_delay_alu instid0(VALU_DEP_1) | instskip(NEXT) | instid1(VALU_DEP_1)
	v_add_co_u32 v1, s1, s14, v1
	v_add_co_ci_u32_e64 v2, null, s21, 0, s1
	flat_load_b32 v1, v[1:2]
.LBB361_5:
	s_or_b32 exec_lo, exec_lo, s0
	v_or_b32_e32 v2, 0x100, v0
                                        ; implicit-def: $vgpr9
	s_delay_alu instid0(VALU_DEP_1) | instskip(NEXT) | instid1(VALU_DEP_1)
	v_cmp_gt_u32_e64 s0, s19, v2
	s_and_saveexec_b32 s1, s0
	s_cbranch_execz .LBB361_7
; %bb.6:
	v_lshlrev_b32_e32 v2, 2, v0
	s_delay_alu instid0(VALU_DEP_1) | instskip(NEXT) | instid1(VALU_DEP_1)
	v_add_co_u32 v2, s2, s14, v2
	v_add_co_ci_u32_e64 v3, null, s21, 0, s2
	flat_load_b32 v9, v[2:3] offset:1024
.LBB361_7:
	s_or_b32 exec_lo, exec_lo, s1
	v_or_b32_e32 v2, 0x200, v0
                                        ; implicit-def: $vgpr10
	s_delay_alu instid0(VALU_DEP_1) | instskip(NEXT) | instid1(VALU_DEP_1)
	v_cmp_gt_u32_e64 s1, s19, v2
	s_and_saveexec_b32 s2, s1
	s_cbranch_execz .LBB361_9
; %bb.8:
	v_lshlrev_b32_e32 v2, 2, v0
	s_delay_alu instid0(VALU_DEP_1) | instskip(NEXT) | instid1(VALU_DEP_1)
	v_add_co_u32 v2, s3, s14, v2
	v_add_co_ci_u32_e64 v3, null, s21, 0, s3
	flat_load_b32 v10, v[2:3] offset:2048
.LBB361_9:
	s_or_b32 exec_lo, exec_lo, s2
	v_or_b32_e32 v2, 0x300, v0
                                        ; implicit-def: $vgpr11
	s_delay_alu instid0(VALU_DEP_1) | instskip(NEXT) | instid1(VALU_DEP_1)
	v_cmp_gt_u32_e64 s2, s19, v2
	s_and_saveexec_b32 s3, s2
	s_cbranch_execz .LBB361_11
; %bb.10:
	v_lshlrev_b32_e32 v2, 2, v0
	s_delay_alu instid0(VALU_DEP_1) | instskip(NEXT) | instid1(VALU_DEP_1)
	v_add_co_u32 v2, s4, s14, v2
	v_add_co_ci_u32_e64 v3, null, s21, 0, s4
	flat_load_b32 v11, v[2:3] offset:3072
.LBB361_11:
	s_or_b32 exec_lo, exec_lo, s3
	v_or_b32_e32 v2, 0x400, v0
                                        ; implicit-def: $vgpr12
	s_delay_alu instid0(VALU_DEP_1) | instskip(SKIP_1) | instid1(VALU_DEP_2)
	v_cmp_gt_u32_e64 s3, s19, v2
	v_lshlrev_b32_e32 v2, 2, v2
	s_and_saveexec_b32 s4, s3
	s_cbranch_execz .LBB361_13
; %bb.12:
	s_delay_alu instid0(VALU_DEP_1) | instskip(NEXT) | instid1(VALU_DEP_1)
	v_add_co_u32 v3, s5, s14, v2
	v_add_co_ci_u32_e64 v4, null, s21, 0, s5
	flat_load_b32 v12, v[3:4]
.LBB361_13:
	s_or_b32 exec_lo, exec_lo, s4
	v_or_b32_e32 v3, 0x500, v0
                                        ; implicit-def: $vgpr13
	s_delay_alu instid0(VALU_DEP_1) | instskip(SKIP_1) | instid1(VALU_DEP_2)
	v_cmp_gt_u32_e64 s4, s19, v3
	v_lshlrev_b32_e32 v3, 2, v3
	s_and_saveexec_b32 s5, s4
	s_cbranch_execz .LBB361_15
; %bb.14:
	s_delay_alu instid0(VALU_DEP_1) | instskip(NEXT) | instid1(VALU_DEP_1)
	v_add_co_u32 v4, s6, s14, v3
	v_add_co_ci_u32_e64 v5, null, s21, 0, s6
	flat_load_b32 v13, v[4:5]
.LBB361_15:
	s_or_b32 exec_lo, exec_lo, s5
	v_or_b32_e32 v4, 0x600, v0
                                        ; implicit-def: $vgpr14
	s_delay_alu instid0(VALU_DEP_1) | instskip(SKIP_1) | instid1(VALU_DEP_2)
	v_cmp_gt_u32_e64 s5, s19, v4
	v_lshlrev_b32_e32 v4, 2, v4
	s_and_saveexec_b32 s6, s5
	s_cbranch_execz .LBB361_17
; %bb.16:
	s_delay_alu instid0(VALU_DEP_1) | instskip(NEXT) | instid1(VALU_DEP_1)
	v_add_co_u32 v5, s7, s14, v4
	v_add_co_ci_u32_e64 v6, null, s21, 0, s7
	flat_load_b32 v14, v[5:6]
.LBB361_17:
	s_or_b32 exec_lo, exec_lo, s6
	v_or_b32_e32 v5, 0x700, v0
                                        ; implicit-def: $vgpr15
	s_delay_alu instid0(VALU_DEP_1) | instskip(SKIP_1) | instid1(VALU_DEP_2)
	v_cmp_gt_u32_e64 s6, s19, v5
	v_lshlrev_b32_e32 v5, 2, v5
	s_and_saveexec_b32 s7, s6
	s_cbranch_execz .LBB361_19
; %bb.18:
	s_delay_alu instid0(VALU_DEP_1) | instskip(NEXT) | instid1(VALU_DEP_1)
	v_add_co_u32 v6, s8, s14, v5
	v_add_co_ci_u32_e64 v7, null, s21, 0, s8
	flat_load_b32 v15, v[6:7]
.LBB361_19:
	s_or_b32 exec_lo, exec_lo, s7
	v_or_b32_e32 v6, 0x800, v0
                                        ; implicit-def: $vgpr16
	s_delay_alu instid0(VALU_DEP_1) | instskip(SKIP_1) | instid1(VALU_DEP_2)
	v_cmp_gt_u32_e64 s7, s19, v6
	v_lshlrev_b32_e32 v6, 2, v6
	s_and_saveexec_b32 s8, s7
	s_cbranch_execz .LBB361_21
; %bb.20:
	s_delay_alu instid0(VALU_DEP_1) | instskip(NEXT) | instid1(VALU_DEP_1)
	v_add_co_u32 v7, s9, s14, v6
	v_add_co_ci_u32_e64 v8, null, s21, 0, s9
	flat_load_b32 v16, v[7:8]
.LBB361_21:
	s_or_b32 exec_lo, exec_lo, s8
	v_or_b32_e32 v7, 0x900, v0
                                        ; implicit-def: $vgpr17
	s_delay_alu instid0(VALU_DEP_1) | instskip(SKIP_1) | instid1(VALU_DEP_2)
	v_cmp_gt_u32_e64 s8, s19, v7
	v_lshlrev_b32_e32 v7, 2, v7
	s_and_saveexec_b32 s9, s8
	s_cbranch_execz .LBB361_23
; %bb.22:
	s_delay_alu instid0(VALU_DEP_1) | instskip(NEXT) | instid1(VALU_DEP_1)
	v_add_co_u32 v17, s10, s14, v7
	v_add_co_ci_u32_e64 v18, null, s21, 0, s10
	flat_load_b32 v17, v[17:18]
.LBB361_23:
	s_or_b32 exec_lo, exec_lo, s9
	v_or_b32_e32 v8, 0xa00, v0
                                        ; implicit-def: $vgpr18
	s_delay_alu instid0(VALU_DEP_1) | instskip(SKIP_1) | instid1(VALU_DEP_2)
	v_cmp_gt_u32_e64 s9, s19, v8
	v_lshlrev_b32_e32 v23, 2, v8
	s_and_saveexec_b32 s10, s9
	s_cbranch_execz .LBB361_25
; %bb.24:
	s_delay_alu instid0(VALU_DEP_1) | instskip(NEXT) | instid1(VALU_DEP_1)
	v_add_co_u32 v18, s11, s14, v23
	v_add_co_ci_u32_e64 v19, null, s21, 0, s11
	flat_load_b32 v18, v[18:19]
.LBB361_25:
	s_or_b32 exec_lo, exec_lo, s10
	v_or_b32_e32 v8, 0xb00, v0
                                        ; implicit-def: $vgpr19
	s_delay_alu instid0(VALU_DEP_1) | instskip(SKIP_1) | instid1(VALU_DEP_2)
	v_cmp_gt_u32_e64 s10, s19, v8
	v_lshlrev_b32_e32 v24, 2, v8
	s_and_saveexec_b32 s11, s10
	s_cbranch_execz .LBB361_27
; %bb.26:
	s_delay_alu instid0(VALU_DEP_1) | instskip(NEXT) | instid1(VALU_DEP_1)
	v_add_co_u32 v19, s12, s14, v24
	v_add_co_ci_u32_e64 v20, null, s21, 0, s12
	flat_load_b32 v19, v[19:20]
.LBB361_27:
	s_or_b32 exec_lo, exec_lo, s11
	v_or_b32_e32 v8, 0xc00, v0
                                        ; implicit-def: $vgpr20
	s_delay_alu instid0(VALU_DEP_1) | instskip(SKIP_1) | instid1(VALU_DEP_2)
	v_cmp_gt_u32_e64 s11, s19, v8
	v_lshlrev_b32_e32 v25, 2, v8
	s_and_saveexec_b32 s12, s11
	s_cbranch_execz .LBB361_29
; %bb.28:
	s_delay_alu instid0(VALU_DEP_1) | instskip(NEXT) | instid1(VALU_DEP_1)
	v_add_co_u32 v20, s13, s14, v25
	v_add_co_ci_u32_e64 v21, null, s21, 0, s13
	flat_load_b32 v20, v[20:21]
.LBB361_29:
	s_or_b32 exec_lo, exec_lo, s12
	v_or_b32_e32 v8, 0xd00, v0
                                        ; implicit-def: $vgpr21
	s_delay_alu instid0(VALU_DEP_1) | instskip(SKIP_1) | instid1(VALU_DEP_2)
	v_cmp_gt_u32_e64 s12, s19, v8
	v_lshlrev_b32_e32 v26, 2, v8
	s_and_saveexec_b32 s13, s12
	s_cbranch_execz .LBB361_31
; %bb.30:
	s_delay_alu instid0(VALU_DEP_1) | instskip(NEXT) | instid1(VALU_DEP_1)
	v_add_co_u32 v21, s30, s14, v26
	v_add_co_ci_u32_e64 v22, null, s21, 0, s30
	flat_load_b32 v21, v[21:22]
.LBB361_31:
	s_or_b32 exec_lo, exec_lo, s13
	v_or_b32_e32 v8, 0xe00, v0
                                        ; implicit-def: $vgpr22
	s_delay_alu instid0(VALU_DEP_1) | instskip(SKIP_1) | instid1(VALU_DEP_2)
	v_cmp_gt_u32_e64 s13, s19, v8
	v_lshlrev_b32_e32 v27, 2, v8
	s_and_saveexec_b32 s30, s13
	s_cbranch_execz .LBB361_33
; %bb.32:
	s_delay_alu instid0(VALU_DEP_1) | instskip(NEXT) | instid1(VALU_DEP_1)
	v_add_co_u32 v28, s31, s14, v27
	v_add_co_ci_u32_e64 v29, null, s21, 0, s31
	flat_load_b32 v22, v[28:29]
.LBB361_33:
	s_or_b32 exec_lo, exec_lo, s30
	v_lshlrev_b32_e32 v8, 2, v0
                                        ; implicit-def: $vgpr28
	s_waitcnt vmcnt(0) lgkmcnt(0)
	ds_store_2addr_stride64_b32 v8, v1, v9 offset1:4
	ds_store_2addr_stride64_b32 v8, v10, v11 offset0:8 offset1:12
	ds_store_2addr_stride64_b32 v8, v12, v13 offset0:16 offset1:20
	;; [unrolled: 1-line block ×6, first 2 shown]
	v_mad_u32_u24 v1, v0, 56, v8
	ds_store_b32 v8, v22 offset:14336
	s_waitcnt lgkmcnt(0)
	s_barrier
	buffer_gl0_inv
	ds_load_2addr_b32 v[21:22], v1 offset1:1
	ds_load_2addr_b32 v[19:20], v1 offset0:2 offset1:3
	ds_load_2addr_b32 v[17:18], v1 offset0:4 offset1:5
	;; [unrolled: 1-line block ×6, first 2 shown]
	ds_load_b32 v77, v1 offset:56
	s_waitcnt lgkmcnt(0)
	s_barrier
	buffer_gl0_inv
	s_and_saveexec_b32 s30, vcc_lo
	s_cbranch_execnz .LBB361_57
; %bb.34:
	s_or_b32 exec_lo, exec_lo, s30
                                        ; implicit-def: $vgpr29
	s_and_saveexec_b32 s30, s0
	s_cbranch_execnz .LBB361_58
.LBB361_35:
	s_or_b32 exec_lo, exec_lo, s30
                                        ; implicit-def: $vgpr30
	s_and_saveexec_b32 s0, s1
	s_cbranch_execnz .LBB361_59
.LBB361_36:
	s_or_b32 exec_lo, exec_lo, s0
                                        ; implicit-def: $vgpr31
	s_and_saveexec_b32 s0, s2
	s_cbranch_execnz .LBB361_60
.LBB361_37:
	s_or_b32 exec_lo, exec_lo, s0
                                        ; implicit-def: $vgpr32
	s_and_saveexec_b32 s0, s3
	s_cbranch_execnz .LBB361_61
.LBB361_38:
	s_or_b32 exec_lo, exec_lo, s0
                                        ; implicit-def: $vgpr2
	s_and_saveexec_b32 s0, s4
	s_cbranch_execnz .LBB361_62
.LBB361_39:
	s_or_b32 exec_lo, exec_lo, s0
                                        ; implicit-def: $vgpr3
	s_and_saveexec_b32 s0, s5
	s_cbranch_execnz .LBB361_63
.LBB361_40:
	s_or_b32 exec_lo, exec_lo, s0
                                        ; implicit-def: $vgpr4
	s_and_saveexec_b32 s0, s6
	s_cbranch_execnz .LBB361_64
.LBB361_41:
	s_or_b32 exec_lo, exec_lo, s0
                                        ; implicit-def: $vgpr5
	s_and_saveexec_b32 s0, s7
	s_cbranch_execnz .LBB361_65
.LBB361_42:
	s_or_b32 exec_lo, exec_lo, s0
                                        ; implicit-def: $vgpr6
	s_and_saveexec_b32 s0, s8
	s_cbranch_execnz .LBB361_66
.LBB361_43:
	s_or_b32 exec_lo, exec_lo, s0
                                        ; implicit-def: $vgpr7
	s_and_saveexec_b32 s0, s9
	s_cbranch_execnz .LBB361_67
.LBB361_44:
	s_or_b32 exec_lo, exec_lo, s0
                                        ; implicit-def: $vgpr23
	s_and_saveexec_b32 s0, s10
	s_cbranch_execnz .LBB361_68
.LBB361_45:
	s_or_b32 exec_lo, exec_lo, s0
                                        ; implicit-def: $vgpr24
	s_and_saveexec_b32 s0, s11
	s_cbranch_execnz .LBB361_69
.LBB361_46:
	s_or_b32 exec_lo, exec_lo, s0
                                        ; implicit-def: $vgpr25
	s_and_saveexec_b32 s0, s12
	s_cbranch_execnz .LBB361_70
.LBB361_47:
	s_or_b32 exec_lo, exec_lo, s0
                                        ; implicit-def: $vgpr26
	s_and_saveexec_b32 s0, s13
	s_cbranch_execz .LBB361_49
.LBB361_48:
	v_add_co_u32 v26, s1, s20, v27
	s_delay_alu instid0(VALU_DEP_1)
	v_add_co_ci_u32_e64 v27, null, s29, 0, s1
	flat_load_b32 v26, v[26:27]
.LBB361_49:
	s_or_b32 exec_lo, exec_lo, s0
	s_waitcnt vmcnt(0) lgkmcnt(0)
	ds_store_2addr_stride64_b32 v8, v28, v29 offset1:4
	ds_store_2addr_stride64_b32 v8, v30, v31 offset0:8 offset1:12
	ds_store_2addr_stride64_b32 v8, v32, v2 offset0:16 offset1:20
	;; [unrolled: 1-line block ×6, first 2 shown]
	ds_store_b32 v8, v26 offset:14336
	s_waitcnt lgkmcnt(0)
	s_barrier
.LBB361_50:
	buffer_gl0_inv
	ds_load_2addr_b32 v[49:50], v1 offset1:1
	ds_load_2addr_b32 v[47:48], v1 offset0:2 offset1:3
	ds_load_2addr_b32 v[45:46], v1 offset0:4 offset1:5
	ds_load_2addr_b32 v[43:44], v1 offset0:6 offset1:7
	ds_load_2addr_b32 v[41:42], v1 offset0:8 offset1:9
	ds_load_2addr_b32 v[39:40], v1 offset0:10 offset1:11
	ds_load_2addr_b32 v[37:38], v1 offset0:12 offset1:13
	ds_load_b32 v80, v1 offset:56
	s_cmp_eq_u64 s[16:17], 0
	s_waitcnt lgkmcnt(0)
	s_cselect_b32 s20, -1, 0
	s_cmp_lg_u64 s[16:17], 0
	s_barrier
	s_cselect_b32 s29, -1, 0
	s_and_b32 vcc_lo, exec_lo, s28
	buffer_gl0_inv
	s_cbranch_vccz .LBB361_56
; %bb.51:
	s_and_b32 vcc_lo, exec_lo, s29
	s_cbranch_vccz .LBB361_71
; %bb.52:
	v_add_co_u32 v1, s0, -4, s14
	s_delay_alu instid0(VALU_DEP_1)
	v_add_co_ci_u32_e64 v2, null, -1, s21, s0
	v_mul_hi_i32 v3, 0x66666667, v10
	v_mul_hi_i32 v4, 0x66666667, v77
	;; [unrolled: 1-line block ×3, first 2 shown]
	flat_load_b32 v1, v[1:2]
	v_mul_hi_i32 v23, 0x66666667, v12
	v_mul_hi_i32 v24, 0x66666667, v11
	;; [unrolled: 1-line block ×3, first 2 shown]
	v_lshlrev_b32_e32 v2, 2, v0
	v_lshrrev_b32_e32 v6, 31, v3
	v_ashrrev_i32_e32 v3, 2, v3
	v_lshrrev_b32_e32 v7, 31, v4
	v_ashrrev_i32_e32 v4, 2, v4
	;; [unrolled: 2-line block ×3, first 2 shown]
	v_add_nc_u32_e32 v3, v3, v6
	v_mul_hi_i32 v6, 0x66666667, v14
	v_add_nc_u32_e32 v4, v4, v7
	v_lshrrev_b32_e32 v7, 31, v23
	v_add_nc_u32_e32 v5, v5, v8
	v_ashrrev_i32_e32 v8, 2, v23
	v_lshrrev_b32_e32 v23, 31, v24
	v_ashrrev_i32_e32 v24, 2, v24
	v_cmp_ne_u32_e32 vcc_lo, v3, v4
	v_cmp_ne_u32_e64 s0, v5, v3
	v_add_nc_u32_e32 v3, v8, v7
	v_lshrrev_b32_e32 v26, 31, v6
	v_ashrrev_i32_e32 v6, 2, v6
	v_add_nc_u32_e32 v4, v24, v23
	v_mul_hi_i32 v8, 0x66666667, v16
	v_mul_hi_i32 v24, 0x66666667, v15
	v_cmp_ne_u32_e64 s1, v3, v5
	v_mul_hi_i32 v5, 0x66666667, v18
	v_add_nc_u32_e32 v6, v6, v26
	v_lshrrev_b32_e32 v7, 31, v25
	v_ashrrev_i32_e32 v23, 2, v25
	v_cmp_ne_u32_e64 s2, v4, v3
	s_mov_b32 s28, -1
	v_cmp_ne_u32_e64 s3, v6, v4
	v_lshrrev_b32_e32 v4, 31, v8
	v_add_nc_u32_e32 v3, v23, v7
	v_ashrrev_i32_e32 v7, 2, v8
	v_lshrrev_b32_e32 v8, 31, v24
	v_ashrrev_i32_e32 v23, 2, v24
	v_lshrrev_b32_e32 v24, 31, v5
	v_ashrrev_i32_e32 v5, 2, v5
	v_add_nc_u32_e32 v4, v7, v4
	v_cmp_ne_u32_e64 s4, v3, v6
	v_add_nc_u32_e32 v6, v23, v8
	v_mul_hi_i32 v7, 0x66666667, v17
	v_add_nc_u32_e32 v5, v5, v24
	v_cmp_ne_u32_e64 s5, v4, v3
	v_mul_hi_i32 v3, 0x66666667, v20
	v_cmp_ne_u32_e64 s6, v6, v4
	v_mul_hi_i32 v4, 0x66666667, v19
	;; [unrolled: 2-line block ×3, first 2 shown]
	v_mul_hi_i32 v23, 0x66666667, v21
	v_lshrrev_b32_e32 v8, 31, v7
	v_ashrrev_i32_e32 v7, 2, v7
	v_lshrrev_b32_e32 v24, 31, v3
	v_ashrrev_i32_e32 v3, 2, v3
	;; [unrolled: 2-line block ×5, first 2 shown]
	v_add_nc_u32_e32 v7, v7, v8
	v_add_nc_u32_e32 v8, v3, v24
	;; [unrolled: 1-line block ×5, first 2 shown]
	v_cmp_ne_u32_e64 s12, v7, v5
	v_cmp_ne_u32_e64 s8, v8, v7
	;; [unrolled: 1-line block ×5, first 2 shown]
	s_mov_b32 s30, 0
	s_mov_b32 s31, exec_lo
	ds_store_b32 v2, v77
	s_waitcnt vmcnt(0) lgkmcnt(0)
	s_barrier
	buffer_gl0_inv
	v_cmpx_ne_u32_e32 0, v0
	s_cbranch_execz .LBB361_54
; %bb.53:
	v_add_nc_u32_e32 v1, -4, v2
	ds_load_b32 v1, v1
.LBB361_54:
	s_or_b32 exec_lo, exec_lo, s31
	s_waitcnt lgkmcnt(0)
	v_mul_hi_i32 v1, 0x66666667, v1
	v_cndmask_b32_e64 v78, 0, 1, vcc_lo
	v_cndmask_b32_e64 v2, 0, 1, s0
	v_cndmask_b32_e64 v79, 0, 1, s1
	;; [unrolled: 1-line block ×6, first 2 shown]
	v_lshrrev_b32_e32 v4, 31, v1
	v_ashrrev_i32_e32 v1, 2, v1
	v_cndmask_b32_e64 v30, 0, 1, s6
	v_cndmask_b32_e64 v29, 0, 1, s7
	;; [unrolled: 1-line block ×4, first 2 shown]
	v_add_nc_u32_e32 v1, v1, v4
	v_cndmask_b32_e64 v34, 0, 1, s9
	v_cndmask_b32_e64 v33, 0, 1, s10
	;; [unrolled: 1-line block ×3, first 2 shown]
	s_delay_alu instid0(VALU_DEP_4)
	v_cmp_ne_u32_e64 s2, v1, v3
	s_and_b32 vcc_lo, exec_lo, s30
	s_cbranch_vccnz .LBB361_72
.LBB361_55:
                                        ; implicit-def: $sgpr0
	s_branch .LBB361_75
.LBB361_56:
	s_mov_b32 s28, 0
                                        ; implicit-def: $sgpr2
                                        ; implicit-def: $vgpr78
                                        ; implicit-def: $vgpr2
                                        ; implicit-def: $vgpr79
                                        ; implicit-def: $vgpr24
                                        ; implicit-def: $vgpr23
                                        ; implicit-def: $vgpr26
                                        ; implicit-def: $vgpr25
                                        ; implicit-def: $vgpr30
                                        ; implicit-def: $vgpr29
                                        ; implicit-def: $vgpr32
                                        ; implicit-def: $vgpr31
                                        ; implicit-def: $vgpr34
                                        ; implicit-def: $vgpr33
                                        ; implicit-def: $vgpr36
                                        ; implicit-def: $vgpr28
                                        ; implicit-def: $sgpr0
	s_cbranch_execnz .LBB361_76
	s_branch .LBB361_111
.LBB361_57:
	v_add_co_u32 v28, s31, s20, v8
	s_delay_alu instid0(VALU_DEP_1)
	v_add_co_ci_u32_e64 v29, null, s29, 0, s31
	flat_load_b32 v28, v[28:29]
	s_or_b32 exec_lo, exec_lo, s30
                                        ; implicit-def: $vgpr29
	s_and_saveexec_b32 s30, s0
	s_cbranch_execz .LBB361_35
.LBB361_58:
	v_add_co_u32 v29, s0, s20, v8
	s_delay_alu instid0(VALU_DEP_1)
	v_add_co_ci_u32_e64 v30, null, s29, 0, s0
	flat_load_b32 v29, v[29:30] offset:1024
	s_or_b32 exec_lo, exec_lo, s30
                                        ; implicit-def: $vgpr30
	s_and_saveexec_b32 s0, s1
	s_cbranch_execz .LBB361_36
.LBB361_59:
	v_add_co_u32 v30, s1, s20, v8
	s_delay_alu instid0(VALU_DEP_1)
	v_add_co_ci_u32_e64 v31, null, s29, 0, s1
	flat_load_b32 v30, v[30:31] offset:2048
	s_or_b32 exec_lo, exec_lo, s0
                                        ; implicit-def: $vgpr31
	s_and_saveexec_b32 s0, s2
	s_cbranch_execz .LBB361_37
.LBB361_60:
	v_add_co_u32 v31, s1, s20, v8
	s_delay_alu instid0(VALU_DEP_1)
	v_add_co_ci_u32_e64 v32, null, s29, 0, s1
	flat_load_b32 v31, v[31:32] offset:3072
	s_or_b32 exec_lo, exec_lo, s0
                                        ; implicit-def: $vgpr32
	s_and_saveexec_b32 s0, s3
	s_cbranch_execz .LBB361_38
.LBB361_61:
	v_add_co_u32 v32, s1, s20, v2
	s_delay_alu instid0(VALU_DEP_1)
	v_add_co_ci_u32_e64 v33, null, s29, 0, s1
	flat_load_b32 v32, v[32:33]
	s_or_b32 exec_lo, exec_lo, s0
                                        ; implicit-def: $vgpr2
	s_and_saveexec_b32 s0, s4
	s_cbranch_execz .LBB361_39
.LBB361_62:
	v_add_co_u32 v2, s1, s20, v3
	s_delay_alu instid0(VALU_DEP_1)
	v_add_co_ci_u32_e64 v3, null, s29, 0, s1
	flat_load_b32 v2, v[2:3]
	s_or_b32 exec_lo, exec_lo, s0
                                        ; implicit-def: $vgpr3
	s_and_saveexec_b32 s0, s5
	s_cbranch_execz .LBB361_40
.LBB361_63:
	v_add_co_u32 v3, s1, s20, v4
	s_delay_alu instid0(VALU_DEP_1)
	v_add_co_ci_u32_e64 v4, null, s29, 0, s1
	flat_load_b32 v3, v[3:4]
	s_or_b32 exec_lo, exec_lo, s0
                                        ; implicit-def: $vgpr4
	s_and_saveexec_b32 s0, s6
	s_cbranch_execz .LBB361_41
.LBB361_64:
	v_add_co_u32 v4, s1, s20, v5
	s_delay_alu instid0(VALU_DEP_1)
	v_add_co_ci_u32_e64 v5, null, s29, 0, s1
	flat_load_b32 v4, v[4:5]
	s_or_b32 exec_lo, exec_lo, s0
                                        ; implicit-def: $vgpr5
	s_and_saveexec_b32 s0, s7
	s_cbranch_execz .LBB361_42
.LBB361_65:
	v_add_co_u32 v5, s1, s20, v6
	s_delay_alu instid0(VALU_DEP_1)
	v_add_co_ci_u32_e64 v6, null, s29, 0, s1
	flat_load_b32 v5, v[5:6]
	s_or_b32 exec_lo, exec_lo, s0
                                        ; implicit-def: $vgpr6
	s_and_saveexec_b32 s0, s8
	s_cbranch_execz .LBB361_43
.LBB361_66:
	v_add_co_u32 v6, s1, s20, v7
	s_delay_alu instid0(VALU_DEP_1)
	v_add_co_ci_u32_e64 v7, null, s29, 0, s1
	flat_load_b32 v6, v[6:7]
	s_or_b32 exec_lo, exec_lo, s0
                                        ; implicit-def: $vgpr7
	s_and_saveexec_b32 s0, s9
	s_cbranch_execz .LBB361_44
.LBB361_67:
	v_add_co_u32 v33, s1, s20, v23
	s_delay_alu instid0(VALU_DEP_1)
	v_add_co_ci_u32_e64 v34, null, s29, 0, s1
	flat_load_b32 v7, v[33:34]
	s_or_b32 exec_lo, exec_lo, s0
                                        ; implicit-def: $vgpr23
	s_and_saveexec_b32 s0, s10
	s_cbranch_execz .LBB361_45
.LBB361_68:
	v_add_co_u32 v23, s1, s20, v24
	s_delay_alu instid0(VALU_DEP_1)
	v_add_co_ci_u32_e64 v24, null, s29, 0, s1
	flat_load_b32 v23, v[23:24]
	s_or_b32 exec_lo, exec_lo, s0
                                        ; implicit-def: $vgpr24
	s_and_saveexec_b32 s0, s11
	s_cbranch_execz .LBB361_46
.LBB361_69:
	v_add_co_u32 v24, s1, s20, v25
	s_delay_alu instid0(VALU_DEP_1)
	v_add_co_ci_u32_e64 v25, null, s29, 0, s1
	flat_load_b32 v24, v[24:25]
	s_or_b32 exec_lo, exec_lo, s0
                                        ; implicit-def: $vgpr25
	s_and_saveexec_b32 s0, s12
	s_cbranch_execz .LBB361_47
.LBB361_70:
	v_add_co_u32 v25, s1, s20, v26
	s_delay_alu instid0(VALU_DEP_1)
	v_add_co_ci_u32_e64 v26, null, s29, 0, s1
	flat_load_b32 v25, v[25:26]
	s_or_b32 exec_lo, exec_lo, s0
                                        ; implicit-def: $vgpr26
	s_and_saveexec_b32 s0, s13
	s_cbranch_execnz .LBB361_48
	s_branch .LBB361_49
.LBB361_71:
	s_mov_b32 s28, 0
                                        ; implicit-def: $sgpr2
                                        ; implicit-def: $vgpr78
                                        ; implicit-def: $vgpr2
                                        ; implicit-def: $vgpr79
                                        ; implicit-def: $vgpr24
                                        ; implicit-def: $vgpr23
                                        ; implicit-def: $vgpr26
                                        ; implicit-def: $vgpr25
                                        ; implicit-def: $vgpr30
                                        ; implicit-def: $vgpr29
                                        ; implicit-def: $vgpr32
                                        ; implicit-def: $vgpr31
                                        ; implicit-def: $vgpr34
                                        ; implicit-def: $vgpr33
                                        ; implicit-def: $vgpr36
	s_cbranch_execz .LBB361_55
.LBB361_72:
	v_mul_hi_i32 v1, 0x66666667, v10
	v_mul_hi_i32 v2, 0x66666667, v77
	;; [unrolled: 1-line block ×8, first 2 shown]
	v_lshrrev_b32_e32 v6, 31, v1
	v_ashrrev_i32_e32 v7, 2, v1
	v_lshrrev_b32_e32 v8, 31, v2
	v_ashrrev_i32_e32 v2, 2, v2
	;; [unrolled: 2-line block ×3, first 2 shown]
	v_add_nc_u32_e32 v6, v7, v6
	v_lshrrev_b32_e32 v7, 31, v4
	v_add_nc_u32_e32 v2, v2, v8
	v_ashrrev_i32_e32 v4, 2, v4
	v_add_nc_u32_e32 v3, v3, v23
	v_mul_hi_i32 v23, 0x66666667, v14
	v_lshrrev_b32_e32 v8, 31, v5
	v_cmp_ne_u32_e32 vcc_lo, v6, v2
	v_ashrrev_i32_e32 v5, 2, v5
	v_add_nc_u32_e32 v4, v4, v7
	v_mul_hi_i32 v27, 0x66666667, v18
	v_mul_hi_i32 v28, 0x66666667, v17
	v_cndmask_b32_e64 v78, 0, 1, vcc_lo
	v_cmp_ne_u32_e32 vcc_lo, v3, v6
	v_add_nc_u32_e32 v5, v5, v8
	v_lshrrev_b32_e32 v6, 31, v23
	v_ashrrev_i32_e32 v7, 2, v23
	v_lshrrev_b32_e32 v8, 31, v24
	v_cndmask_b32_e64 v2, 0, 1, vcc_lo
	v_cmp_ne_u32_e32 vcc_lo, v4, v3
	v_ashrrev_i32_e32 v23, 2, v24
	v_add_nc_u32_e32 v3, v7, v6
	v_lshrrev_b32_e32 v6, 31, v25
	v_ashrrev_i32_e32 v7, 2, v25
	v_cndmask_b32_e64 v79, 0, 1, vcc_lo
	v_cmp_ne_u32_e32 vcc_lo, v5, v4
	v_add_nc_u32_e32 v4, v23, v8
	v_lshrrev_b32_e32 v8, 31, v26
	v_ashrrev_i32_e32 v25, 2, v26
	v_lshlrev_b32_e32 v1, 2, v0
	v_cndmask_b32_e64 v24, 0, 1, vcc_lo
	v_cmp_ne_u32_e32 vcc_lo, v3, v5
	s_mov_b32 s0, exec_lo
	v_add_nc_u32_e32 v5, v25, v8
	v_lshrrev_b32_e32 v8, 31, v28
	ds_store_b32 v1, v77
	v_cndmask_b32_e64 v23, 0, 1, vcc_lo
	v_cmp_ne_u32_e32 vcc_lo, v4, v3
	v_add_nc_u32_e32 v3, v7, v6
	v_lshrrev_b32_e32 v6, 31, v27
	v_ashrrev_i32_e32 v7, 2, v27
	v_ashrrev_i32_e32 v27, 2, v28
	v_cndmask_b32_e64 v26, 0, 1, vcc_lo
	v_cmp_ne_u32_e32 vcc_lo, v3, v4
	s_waitcnt lgkmcnt(0)
	v_add_nc_u32_e32 v4, v7, v6
	v_mul_hi_i32 v6, 0x66666667, v20
	v_mul_hi_i32 v7, 0x66666667, v19
	v_cndmask_b32_e64 v25, 0, 1, vcc_lo
	v_cmp_ne_u32_e32 vcc_lo, v5, v3
	v_add_nc_u32_e32 v3, v27, v8
	s_barrier
	buffer_gl0_inv
                                        ; implicit-def: $sgpr2
	v_cndmask_b32_e64 v30, 0, 1, vcc_lo
	v_cmp_ne_u32_e32 vcc_lo, v4, v5
	v_lshrrev_b32_e32 v8, 31, v6
	v_ashrrev_i32_e32 v6, 2, v6
	v_mul_hi_i32 v5, 0x66666667, v22
	v_lshrrev_b32_e32 v27, 31, v7
	v_cndmask_b32_e64 v29, 0, 1, vcc_lo
	v_cmp_ne_u32_e32 vcc_lo, v3, v4
	v_ashrrev_i32_e32 v7, 2, v7
	v_add_nc_u32_e32 v6, v6, v8
	v_mul_hi_i32 v4, 0x66666667, v21
	v_cndmask_b32_e64 v32, 0, 1, vcc_lo
	v_lshrrev_b32_e32 v28, 31, v5
	v_ashrrev_i32_e32 v5, 2, v5
	v_add_nc_u32_e32 v7, v7, v27
	v_cmp_ne_u32_e32 vcc_lo, v6, v3
	v_lshrrev_b32_e32 v8, 31, v4
	v_ashrrev_i32_e32 v4, 2, v4
	v_add_nc_u32_e32 v5, v5, v28
	v_cndmask_b32_e64 v31, 0, 1, vcc_lo
	v_cmp_ne_u32_e32 vcc_lo, v7, v6
	s_delay_alu instid0(VALU_DEP_4) | instskip(SKIP_3) | instid1(VALU_DEP_4)
	v_add_nc_u32_e32 v3, v4, v8
	v_cndmask_b32_e64 v34, 0, 1, vcc_lo
	v_cmp_ne_u32_e32 vcc_lo, v5, v7
	v_cndmask_b32_e64 v33, 0, 1, vcc_lo
	v_cmp_ne_u32_e32 vcc_lo, v3, v5
	v_cndmask_b32_e64 v36, 0, 1, vcc_lo
	v_cmpx_ne_u32_e32 0, v0
	s_xor_b32 s0, exec_lo, s0
	s_cbranch_execz .LBB361_74
; %bb.73:
	v_add_nc_u32_e32 v1, -4, v1
	s_or_b32 s28, s28, exec_lo
	ds_load_b32 v1, v1
	s_waitcnt lgkmcnt(0)
	v_mul_hi_i32 v1, 0x66666667, v1
	s_delay_alu instid0(VALU_DEP_1) | instskip(SKIP_1) | instid1(VALU_DEP_1)
	v_lshrrev_b32_e32 v4, 31, v1
	v_ashrrev_i32_e32 v1, 2, v1
	v_add_nc_u32_e32 v1, v1, v4
	s_delay_alu instid0(VALU_DEP_1)
	v_cmp_ne_u32_e32 vcc_lo, v1, v3
	s_and_b32 s2, vcc_lo, exec_lo
.LBB361_74:
	s_or_b32 exec_lo, exec_lo, s0
	s_mov_b32 s0, 1
.LBB361_75:
	v_mov_b32_e32 v28, v2
	s_branch .LBB361_111
.LBB361_76:
	s_mul_hi_u32 s0, s16, 0xfffff100
	s_mul_i32 s1, s17, 0xfffff100
	s_sub_i32 s0, s0, s16
	s_mul_i32 s2, s16, 0xfffff100
	v_mul_u32_u24_e32 v3, 15, v0
	v_mad_u32_u24 v27, v0, 15, 14
	s_add_i32 s1, s0, s1
	s_add_u32 s0, s2, s40
	s_addc_u32 s1, s1, s41
	s_and_b32 vcc_lo, exec_lo, s29
	s_cbranch_vccz .LBB361_191
; %bb.77:
	v_add_co_u32 v1, s2, -4, s14
	s_delay_alu instid0(VALU_DEP_1)
	v_add_co_ci_u32_e64 v2, null, -1, s21, s2
	v_lshlrev_b32_e32 v4, 2, v0
	v_mov_b32_e32 v78, 0
	s_mov_b32 s2, exec_lo
	flat_load_b32 v5, v[1:2]
	v_mov_b32_e32 v2, 0
	ds_store_b32 v4, v77
	v_mov_b32_e32 v28, v2
	s_delay_alu instid0(VALU_DEP_1)
	v_cmpx_gt_u64_e64 s[0:1], v[27:28]
; %bb.78:
	v_mul_hi_i32 v1, 0x66666667, v10
	v_mul_hi_i32 v6, 0x66666667, v77
	s_delay_alu instid0(VALU_DEP_2) | instskip(SKIP_1) | instid1(VALU_DEP_3)
	v_lshrrev_b32_e32 v7, 31, v1
	v_ashrrev_i32_e32 v1, 2, v1
	v_lshrrev_b32_e32 v8, 31, v6
	v_ashrrev_i32_e32 v6, 2, v6
	s_delay_alu instid0(VALU_DEP_3) | instskip(NEXT) | instid1(VALU_DEP_2)
	v_add_nc_u32_e32 v1, v1, v7
	v_add_nc_u32_e32 v6, v6, v8
	s_delay_alu instid0(VALU_DEP_1)
	v_cmp_ne_u32_e32 vcc_lo, v1, v6
	v_cndmask_b32_e64 v78, 0, 1, vcc_lo
; %bb.79:
	s_or_b32 exec_lo, exec_lo, s2
	v_add_nc_u32_e32 v1, 13, v3
	s_mov_b32 s2, exec_lo
	s_delay_alu instid0(VALU_DEP_1)
	v_cmpx_gt_u64_e64 s[0:1], v[1:2]
; %bb.80:
	v_mul_hi_i32 v1, 0x66666667, v9
	v_mul_hi_i32 v2, 0x66666667, v10
	s_delay_alu instid0(VALU_DEP_2) | instskip(SKIP_1) | instid1(VALU_DEP_3)
	v_lshrrev_b32_e32 v6, 31, v1
	v_ashrrev_i32_e32 v1, 2, v1
	v_lshrrev_b32_e32 v7, 31, v2
	v_ashrrev_i32_e32 v2, 2, v2
	s_delay_alu instid0(VALU_DEP_3) | instskip(NEXT) | instid1(VALU_DEP_2)
	v_add_nc_u32_e32 v1, v1, v6
	v_add_nc_u32_e32 v2, v2, v7
	s_delay_alu instid0(VALU_DEP_1)
	v_cmp_ne_u32_e32 vcc_lo, v1, v2
	v_cndmask_b32_e64 v2, 0, 1, vcc_lo
; %bb.81:
	s_or_b32 exec_lo, exec_lo, s2
	v_dual_mov_b32 v24, 0 :: v_dual_add_nc_u32 v23, 12, v3
	v_mov_b32_e32 v79, 0
	s_mov_b32 s2, exec_lo
	s_delay_alu instid0(VALU_DEP_2)
	v_cmpx_gt_u64_e64 s[0:1], v[23:24]
; %bb.82:
	v_mul_hi_i32 v1, 0x66666667, v12
	v_mul_hi_i32 v6, 0x66666667, v9
	s_delay_alu instid0(VALU_DEP_2) | instskip(SKIP_1) | instid1(VALU_DEP_3)
	v_lshrrev_b32_e32 v7, 31, v1
	v_ashrrev_i32_e32 v1, 2, v1
	v_lshrrev_b32_e32 v8, 31, v6
	v_ashrrev_i32_e32 v6, 2, v6
	s_delay_alu instid0(VALU_DEP_3) | instskip(NEXT) | instid1(VALU_DEP_2)
	v_add_nc_u32_e32 v1, v1, v7
	v_add_nc_u32_e32 v6, v6, v8
	s_delay_alu instid0(VALU_DEP_1)
	v_cmp_ne_u32_e32 vcc_lo, v1, v6
	v_cndmask_b32_e64 v79, 0, 1, vcc_lo
; %bb.83:
	s_or_b32 exec_lo, exec_lo, s2
	v_add_nc_u32_e32 v23, 11, v3
	s_mov_b32 s2, exec_lo
	s_delay_alu instid0(VALU_DEP_1)
	v_cmpx_gt_u64_e64 s[0:1], v[23:24]
; %bb.84:
	v_mul_hi_i32 v1, 0x66666667, v11
	v_mul_hi_i32 v6, 0x66666667, v12
	s_delay_alu instid0(VALU_DEP_2) | instskip(SKIP_1) | instid1(VALU_DEP_3)
	v_lshrrev_b32_e32 v7, 31, v1
	v_ashrrev_i32_e32 v1, 2, v1
	v_lshrrev_b32_e32 v8, 31, v6
	v_ashrrev_i32_e32 v6, 2, v6
	s_delay_alu instid0(VALU_DEP_3) | instskip(NEXT) | instid1(VALU_DEP_2)
	v_add_nc_u32_e32 v1, v1, v7
	v_add_nc_u32_e32 v6, v6, v8
	s_delay_alu instid0(VALU_DEP_1)
	v_cmp_ne_u32_e32 vcc_lo, v1, v6
	v_cndmask_b32_e64 v24, 0, 1, vcc_lo
; %bb.85:
	s_or_b32 exec_lo, exec_lo, s2
	v_dual_mov_b32 v26, 0 :: v_dual_add_nc_u32 v25, 10, v3
	v_mov_b32_e32 v23, 0
	s_mov_b32 s2, exec_lo
	s_delay_alu instid0(VALU_DEP_2)
	;; [unrolled: 41-line block ×6, first 2 shown]
	v_cmpx_gt_u64_e64 s[0:1], v[35:36]
; %bb.102:
	v_mul_hi_i32 v1, 0x66666667, v22
	v_mul_hi_i32 v6, 0x66666667, v19
	s_delay_alu instid0(VALU_DEP_2) | instskip(SKIP_1) | instid1(VALU_DEP_3)
	v_lshrrev_b32_e32 v7, 31, v1
	v_ashrrev_i32_e32 v1, 2, v1
	v_lshrrev_b32_e32 v8, 31, v6
	v_ashrrev_i32_e32 v6, 2, v6
	s_delay_alu instid0(VALU_DEP_3) | instskip(NEXT) | instid1(VALU_DEP_2)
	v_add_nc_u32_e32 v1, v1, v7
	v_add_nc_u32_e32 v6, v6, v8
	s_delay_alu instid0(VALU_DEP_1)
	v_cmp_ne_u32_e32 vcc_lo, v1, v6
	v_cndmask_b32_e64 v33, 0, 1, vcc_lo
; %bb.103:
	s_or_b32 exec_lo, exec_lo, s2
	v_add_nc_u32_e32 v35, 1, v3
	s_mov_b32 s2, exec_lo
	s_delay_alu instid0(VALU_DEP_1)
	v_cmpx_gt_u64_e64 s[0:1], v[35:36]
; %bb.104:
	v_mul_hi_i32 v1, 0x66666667, v21
	v_mul_hi_i32 v6, 0x66666667, v22
	s_delay_alu instid0(VALU_DEP_2) | instskip(SKIP_1) | instid1(VALU_DEP_3)
	v_lshrrev_b32_e32 v7, 31, v1
	v_ashrrev_i32_e32 v1, 2, v1
	v_lshrrev_b32_e32 v8, 31, v6
	v_ashrrev_i32_e32 v6, 2, v6
	s_delay_alu instid0(VALU_DEP_3) | instskip(NEXT) | instid1(VALU_DEP_2)
	v_add_nc_u32_e32 v1, v1, v7
	v_add_nc_u32_e32 v6, v6, v8
	s_delay_alu instid0(VALU_DEP_1)
	v_cmp_ne_u32_e32 vcc_lo, v1, v6
	v_cndmask_b32_e64 v36, 0, 1, vcc_lo
; %bb.105:
	s_or_b32 exec_lo, exec_lo, s2
	s_mov_b32 s2, 0
	s_mov_b32 s3, exec_lo
	s_waitcnt vmcnt(0) lgkmcnt(0)
	s_barrier
	buffer_gl0_inv
	v_cmpx_ne_u32_e32 0, v0
	s_cbranch_execz .LBB361_107
; %bb.106:
	v_add_nc_u32_e32 v1, -4, v4
	ds_load_b32 v5, v1
.LBB361_107:
	s_or_b32 exec_lo, exec_lo, s3
	v_mov_b32_e32 v4, 0
	s_mov_b32 s3, exec_lo
	s_delay_alu instid0(VALU_DEP_1)
	v_cmpx_gt_u64_e64 s[0:1], v[3:4]
	s_cbranch_execz .LBB361_109
; %bb.108:
	s_waitcnt lgkmcnt(0)
	v_mul_hi_i32 v1, 0x66666667, v5
	v_mul_hi_i32 v4, 0x66666667, v21
	s_delay_alu instid0(VALU_DEP_2) | instskip(SKIP_1) | instid1(VALU_DEP_3)
	v_lshrrev_b32_e32 v5, 31, v1
	v_ashrrev_i32_e32 v1, 2, v1
	v_lshrrev_b32_e32 v6, 31, v4
	v_ashrrev_i32_e32 v4, 2, v4
	s_delay_alu instid0(VALU_DEP_3) | instskip(NEXT) | instid1(VALU_DEP_2)
	v_add_nc_u32_e32 v1, v1, v5
	v_add_nc_u32_e32 v4, v4, v6
	s_delay_alu instid0(VALU_DEP_1)
	v_cmp_ne_u32_e32 vcc_lo, v1, v4
	s_and_b32 s2, vcc_lo, exec_lo
.LBB361_109:
	s_or_b32 exec_lo, exec_lo, s3
	s_mov_b32 s28, -1
.LBB361_110:
                                        ; implicit-def: $vgpr28
                                        ; implicit-def: $sgpr0
.LBB361_111:
	v_mov_b32_e32 v27, s0
	s_and_saveexec_b32 s0, s28
.LBB361_112:
	v_cndmask_b32_e64 v27, 0, 1, s2
	v_mov_b32_e32 v28, v2
.LBB361_113:
	s_or_b32 exec_lo, exec_lo, s0
	s_delay_alu instid0(VALU_DEP_1)
	v_add3_u32 v1, v36, v27, v33
	v_cmp_eq_u32_e64 s12, 0, v36
	v_cmp_eq_u32_e64 s11, 0, v33
	;; [unrolled: 1-line block ×4, first 2 shown]
	v_add3_u32 v84, v1, v34, v31
	v_cmp_eq_u32_e64 s8, 0, v32
	v_cmp_eq_u32_e64 s7, 0, v29
	;; [unrolled: 1-line block ×9, first 2 shown]
	v_cmp_eq_u32_e32 vcc_lo, 0, v78
	v_mbcnt_lo_u32_b32 v81, -1, 0
	v_lshrrev_b32_e32 v82, 5, v0
	v_or_b32_e32 v83, 31, v0
	s_cmp_eq_u64 s[26:27], 0
	s_cselect_b32 s16, -1, 0
	s_cmp_lg_u32 s15, 0
	s_cbranch_scc0 .LBB361_139
; %bb.114:
	v_cndmask_b32_e64 v1, 0, v49, s12
	v_add3_u32 v2, v84, v32, v29
	s_delay_alu instid0(VALU_DEP_2) | instskip(NEXT) | instid1(VALU_DEP_2)
	v_add_nc_u32_e32 v1, v1, v50
	v_add3_u32 v2, v2, v30, v25
	s_delay_alu instid0(VALU_DEP_2) | instskip(NEXT) | instid1(VALU_DEP_2)
	v_cndmask_b32_e64 v1, 0, v1, s11
	v_add3_u32 v2, v2, v26, v23
	s_delay_alu instid0(VALU_DEP_2) | instskip(NEXT) | instid1(VALU_DEP_2)
	v_add_nc_u32_e32 v1, v1, v47
	v_add3_u32 v2, v2, v24, v79
	s_delay_alu instid0(VALU_DEP_2) | instskip(NEXT) | instid1(VALU_DEP_2)
	v_cndmask_b32_e64 v1, 0, v1, s10
	v_add3_u32 v2, v2, v28, v78
	s_delay_alu instid0(VALU_DEP_2) | instskip(SKIP_1) | instid1(VALU_DEP_2)
	v_add_nc_u32_e32 v1, v1, v48
	s_waitcnt lgkmcnt(0)
	v_mov_b32_dpp v5, v2 row_shr:1 row_mask:0xf bank_mask:0xf
	s_delay_alu instid0(VALU_DEP_2) | instskip(NEXT) | instid1(VALU_DEP_1)
	v_cndmask_b32_e64 v1, 0, v1, s9
	v_add_nc_u32_e32 v1, v1, v45
	s_delay_alu instid0(VALU_DEP_1) | instskip(NEXT) | instid1(VALU_DEP_1)
	v_cndmask_b32_e64 v1, 0, v1, s8
	v_add_nc_u32_e32 v1, v1, v46
	s_delay_alu instid0(VALU_DEP_1) | instskip(NEXT) | instid1(VALU_DEP_1)
	;; [unrolled: 3-line block ×9, first 2 shown]
	v_cndmask_b32_e64 v1, 0, v1, s0
	v_add_nc_u32_e32 v1, v1, v38
	s_delay_alu instid0(VALU_DEP_1) | instskip(SKIP_1) | instid1(VALU_DEP_2)
	v_cndmask_b32_e32 v1, 0, v1, vcc_lo
	v_cmp_eq_u32_e32 vcc_lo, 0, v2
	v_add_nc_u32_e32 v1, v1, v80
	s_delay_alu instid0(VALU_DEP_1) | instskip(NEXT) | instid1(VALU_DEP_1)
	v_mov_b32_dpp v3, v1 row_shr:1 row_mask:0xf bank_mask:0xf
	v_dual_cndmask_b32 v3, 0, v3 :: v_dual_and_b32 v4, 15, v81
	s_delay_alu instid0(VALU_DEP_1) | instskip(SKIP_2) | instid1(VALU_DEP_4)
	v_cmp_eq_u32_e32 vcc_lo, 0, v4
	v_cmp_lt_u32_e64 s13, 1, v4
	v_cndmask_b32_e64 v5, v5, 0, vcc_lo
	v_cndmask_b32_e64 v3, v3, 0, vcc_lo
	s_delay_alu instid0(VALU_DEP_2) | instskip(NEXT) | instid1(VALU_DEP_2)
	v_add_nc_u32_e32 v2, v5, v2
	v_add_nc_u32_e32 v1, v3, v1
	s_delay_alu instid0(VALU_DEP_2) | instskip(SKIP_1) | instid1(VALU_DEP_3)
	v_mov_b32_dpp v3, v2 row_shr:2 row_mask:0xf bank_mask:0xf
	v_cmp_eq_u32_e32 vcc_lo, 0, v2
	v_mov_b32_dpp v5, v1 row_shr:2 row_mask:0xf bank_mask:0xf
	s_delay_alu instid0(VALU_DEP_3) | instskip(SKIP_2) | instid1(VALU_DEP_2)
	v_cndmask_b32_e64 v3, 0, v3, s13
	s_and_b32 vcc_lo, s13, vcc_lo
	v_cmp_lt_u32_e64 s13, 3, v4
	v_dual_cndmask_b32 v5, 0, v5 :: v_dual_add_nc_u32 v2, v2, v3
	s_delay_alu instid0(VALU_DEP_1) | instskip(NEXT) | instid1(VALU_DEP_2)
	v_add_nc_u32_e32 v1, v5, v1
	v_mov_b32_dpp v3, v2 row_shr:4 row_mask:0xf bank_mask:0xf
	v_cmp_eq_u32_e32 vcc_lo, 0, v2
	s_delay_alu instid0(VALU_DEP_3) | instskip(NEXT) | instid1(VALU_DEP_3)
	v_mov_b32_dpp v5, v1 row_shr:4 row_mask:0xf bank_mask:0xf
	v_cndmask_b32_e64 v3, 0, v3, s13
	s_and_b32 vcc_lo, s13, vcc_lo
	v_cmp_lt_u32_e64 s13, 7, v4
	s_delay_alu instid0(VALU_DEP_2) | instskip(NEXT) | instid1(VALU_DEP_1)
	v_dual_cndmask_b32 v5, 0, v5 :: v_dual_add_nc_u32 v2, v3, v2
	v_add_nc_u32_e32 v1, v1, v5
	v_bfe_i32 v5, v81, 4, 1
	s_delay_alu instid0(VALU_DEP_3) | instskip(SKIP_1) | instid1(VALU_DEP_4)
	v_cmp_eq_u32_e32 vcc_lo, 0, v2
	v_mov_b32_dpp v3, v2 row_shr:8 row_mask:0xf bank_mask:0xf
	v_mov_b32_dpp v4, v1 row_shr:8 row_mask:0xf bank_mask:0xf
	s_and_b32 vcc_lo, s13, vcc_lo
	s_delay_alu instid0(VALU_DEP_2) | instskip(SKIP_1) | instid1(VALU_DEP_2)
	v_cndmask_b32_e64 v3, 0, v3, s13
	s_mov_b32 s13, exec_lo
	v_cndmask_b32_e32 v4, 0, v4, vcc_lo
	s_delay_alu instid0(VALU_DEP_1) | instskip(NEXT) | instid1(VALU_DEP_3)
	v_add_nc_u32_e32 v4, v4, v1
	v_add_nc_u32_e32 v1, v3, v2
	ds_swizzle_b32 v2, v4 offset:swizzle(BROADCAST,32,15)
	ds_swizzle_b32 v3, v1 offset:swizzle(BROADCAST,32,15)
	v_cmp_eq_u32_e32 vcc_lo, 0, v1
	s_waitcnt lgkmcnt(0)
	v_dual_cndmask_b32 v2, 0, v2 :: v_dual_and_b32 v3, v5, v3
	s_delay_alu instid0(VALU_DEP_1) | instskip(NEXT) | instid1(VALU_DEP_2)
	v_and_b32_e32 v2, v5, v2
	v_add_nc_u32_e32 v1, v3, v1
	v_lshlrev_b32_e32 v3, 3, v82
	s_delay_alu instid0(VALU_DEP_3)
	v_add_nc_u32_e32 v2, v2, v4
	v_cmpx_eq_u32_e64 v83, v0
	s_cbranch_execz .LBB361_116
; %bb.115:
	ds_store_b64 v3, v[1:2] offset:2064
.LBB361_116:
	s_or_b32 exec_lo, exec_lo, s13
	s_delay_alu instid0(SALU_CYCLE_1)
	s_mov_b32 s14, exec_lo
	s_waitcnt lgkmcnt(0)
	s_barrier
	buffer_gl0_inv
	v_cmpx_gt_u32_e32 8, v0
	s_cbranch_execz .LBB361_118
; %bb.117:
	v_lshlrev_b32_e32 v6, 3, v0
	v_and_b32_e32 v8, 7, v81
	ds_load_b64 v[4:5], v6 offset:2064
	v_cmp_lt_u32_e64 s13, 1, v8
	s_waitcnt lgkmcnt(0)
	v_mov_b32_dpp v7, v5 row_shr:1 row_mask:0xf bank_mask:0xf
	v_cmp_eq_u32_e32 vcc_lo, 0, v4
	v_mov_b32_dpp v35, v4 row_shr:1 row_mask:0xf bank_mask:0xf
	s_delay_alu instid0(VALU_DEP_3) | instskip(SKIP_1) | instid1(VALU_DEP_3)
	v_cndmask_b32_e32 v7, 0, v7, vcc_lo
	v_cmp_eq_u32_e32 vcc_lo, 0, v8
	v_cndmask_b32_e64 v35, v35, 0, vcc_lo
	s_delay_alu instid0(VALU_DEP_3) | instskip(NEXT) | instid1(VALU_DEP_2)
	v_cndmask_b32_e64 v7, v7, 0, vcc_lo
	v_add_nc_u32_e32 v4, v35, v4
	s_delay_alu instid0(VALU_DEP_2) | instskip(NEXT) | instid1(VALU_DEP_2)
	v_add_nc_u32_e32 v5, v7, v5
	v_mov_b32_dpp v7, v4 row_shr:2 row_mask:0xf bank_mask:0xf
	v_cmp_eq_u32_e32 vcc_lo, 0, v4
	s_delay_alu instid0(VALU_DEP_3) | instskip(NEXT) | instid1(VALU_DEP_3)
	v_mov_b32_dpp v35, v5 row_shr:2 row_mask:0xf bank_mask:0xf
	v_cndmask_b32_e64 v7, 0, v7, s13
	s_and_b32 vcc_lo, s13, vcc_lo
	s_delay_alu instid0(VALU_DEP_2) | instskip(SKIP_1) | instid1(VALU_DEP_3)
	v_cndmask_b32_e32 v35, 0, v35, vcc_lo
	v_cmp_lt_u32_e64 s13, 3, v8
	v_add_nc_u32_e32 v4, v7, v4
	s_delay_alu instid0(VALU_DEP_3) | instskip(NEXT) | instid1(VALU_DEP_2)
	v_add_nc_u32_e32 v5, v35, v5
	v_cmp_eq_u32_e32 vcc_lo, 0, v4
	v_mov_b32_dpp v7, v4 row_shr:4 row_mask:0xf bank_mask:0xf
	s_delay_alu instid0(VALU_DEP_3) | instskip(SKIP_1) | instid1(VALU_DEP_2)
	v_mov_b32_dpp v8, v5 row_shr:4 row_mask:0xf bank_mask:0xf
	s_and_b32 vcc_lo, s13, vcc_lo
	v_cndmask_b32_e64 v7, 0, v7, s13
	s_delay_alu instid0(VALU_DEP_2) | instskip(NEXT) | instid1(VALU_DEP_2)
	v_cndmask_b32_e32 v8, 0, v8, vcc_lo
	v_add_nc_u32_e32 v4, v7, v4
	s_delay_alu instid0(VALU_DEP_2)
	v_add_nc_u32_e32 v5, v8, v5
	ds_store_b64 v6, v[4:5] offset:2064
.LBB361_118:
	s_or_b32 exec_lo, exec_lo, s14
	v_cmp_gt_u32_e32 vcc_lo, 32, v0
	v_dual_mov_b32 v51, 0 :: v_dual_mov_b32 v52, 0
	s_mov_b32 s14, exec_lo
	s_waitcnt lgkmcnt(0)
	s_barrier
	buffer_gl0_inv
	v_cmpx_lt_u32_e32 31, v0
	s_cbranch_execz .LBB361_120
; %bb.119:
	ds_load_b64 v[51:52], v3 offset:2056
	v_cmp_eq_u32_e64 s13, 0, v1
	s_waitcnt lgkmcnt(0)
	s_delay_alu instid0(VALU_DEP_1) | instskip(SKIP_1) | instid1(VALU_DEP_2)
	v_cndmask_b32_e64 v3, 0, v52, s13
	v_add_nc_u32_e32 v1, v51, v1
	v_add_nc_u32_e32 v2, v3, v2
.LBB361_120:
	s_or_b32 exec_lo, exec_lo, s14
	v_add_nc_u32_e32 v3, -1, v81
	s_delay_alu instid0(VALU_DEP_1) | instskip(NEXT) | instid1(VALU_DEP_1)
	v_cmp_gt_i32_e64 s13, 0, v3
	v_cndmask_b32_e64 v3, v3, v81, s13
	v_cmp_eq_u32_e64 s13, 0, v81
	s_delay_alu instid0(VALU_DEP_2)
	v_lshlrev_b32_e32 v3, 2, v3
	ds_bpermute_b32 v35, v3, v1
	ds_bpermute_b32 v57, v3, v2
	s_and_saveexec_b32 s17, vcc_lo
	s_cbranch_execz .LBB361_138
; %bb.121:
	v_mov_b32_e32 v4, 0
	ds_load_b64 v[1:2], v4 offset:2120
	s_waitcnt lgkmcnt(0)
	v_readfirstlane_b32 s21, v2
	s_and_saveexec_b32 s14, s13
	s_cbranch_execz .LBB361_123
; %bb.122:
	s_add_i32 s26, s15, 32
	s_mov_b32 s27, 0
	v_mov_b32_e32 v3, 1
	s_lshl_b64 s[28:29], s[26:27], 4
	s_mov_b32 s30, s27
	s_add_u32 s28, s24, s28
	s_addc_u32 s29, s25, s29
	s_and_b32 s31, s21, 0xff000000
	s_and_b32 s41, s21, 0xff0000
	s_mov_b32 s40, s27
	v_dual_mov_b32 v5, s28 :: v_dual_mov_b32 v6, s29
	s_or_b64 s[30:31], s[40:41], s[30:31]
	s_and_b32 s41, s21, 0xff00
	s_delay_alu instid0(SALU_CYCLE_1) | instskip(SKIP_1) | instid1(SALU_CYCLE_1)
	s_or_b64 s[30:31], s[30:31], s[40:41]
	s_and_b32 s41, s21, 0xff
	s_or_b64 s[26:27], s[30:31], s[40:41]
	s_delay_alu instid0(SALU_CYCLE_1)
	v_mov_b32_e32 v2, s27
	;;#ASMSTART
	global_store_dwordx4 v[5:6], v[1:4] off	
s_waitcnt vmcnt(0)
	;;#ASMEND
.LBB361_123:
	s_or_b32 exec_lo, exec_lo, s14
	v_xad_u32 v53, v81, -1, s15
	s_mov_b32 s26, 0
	s_mov_b32 s14, exec_lo
	s_delay_alu instid0(VALU_DEP_1) | instskip(NEXT) | instid1(VALU_DEP_1)
	v_add_nc_u32_e32 v3, 32, v53
	v_lshlrev_b64 v[2:3], 4, v[3:4]
	s_delay_alu instid0(VALU_DEP_1) | instskip(NEXT) | instid1(VALU_DEP_2)
	v_add_co_u32 v2, vcc_lo, s24, v2
	v_add_co_ci_u32_e32 v3, vcc_lo, s25, v3, vcc_lo
	;;#ASMSTART
	global_load_dwordx4 v[5:8], v[2:3] off glc	
s_waitcnt vmcnt(0)
	;;#ASMEND
	v_and_b32_e32 v4, 0xff, v6
	v_and_b32_e32 v8, 0xff00, v6
	;; [unrolled: 1-line block ×3, first 2 shown]
	v_or3_b32 v5, v5, 0, 0
	v_and_b32_e32 v6, 0xff000000, v6
	s_delay_alu instid0(VALU_DEP_4) | instskip(SKIP_1) | instid1(VALU_DEP_4)
	v_or3_b32 v4, 0, v4, v8
	v_and_b32_e32 v8, 0xff, v7
	v_or3_b32 v5, v5, 0, 0
	s_delay_alu instid0(VALU_DEP_3) | instskip(NEXT) | instid1(VALU_DEP_3)
	v_or3_b32 v6, v4, v54, v6
	v_cmpx_eq_u16_e32 0, v8
	s_cbranch_execz .LBB361_126
.LBB361_124:                            ; =>This Inner Loop Header: Depth=1
	;;#ASMSTART
	global_load_dwordx4 v[5:8], v[2:3] off glc	
s_waitcnt vmcnt(0)
	;;#ASMEND
	v_and_b32_e32 v4, 0xff, v7
	s_delay_alu instid0(VALU_DEP_1) | instskip(SKIP_1) | instid1(SALU_CYCLE_1)
	v_cmp_ne_u16_e32 vcc_lo, 0, v4
	s_or_b32 s26, vcc_lo, s26
	s_and_not1_b32 exec_lo, exec_lo, s26
	s_cbranch_execnz .LBB361_124
; %bb.125:
	s_or_b32 exec_lo, exec_lo, s26
.LBB361_126:
	s_delay_alu instid0(SALU_CYCLE_1)
	s_or_b32 exec_lo, exec_lo, s14
	v_cmp_ne_u32_e32 vcc_lo, 31, v81
	v_and_b32_e32 v3, 0xff, v7
	v_lshlrev_b32_e64 v58, v81, -1
	v_add_nc_u32_e32 v60, 2, v81
	v_add_nc_u32_e32 v62, 4, v81
	v_add_co_ci_u32_e32 v2, vcc_lo, 0, v81, vcc_lo
	v_cmp_eq_u16_e32 vcc_lo, 2, v3
	v_add_nc_u32_e32 v64, 8, v81
	v_add_nc_u32_e32 v66, 16, v81
	v_and_or_b32 v8, vcc_lo, v58, 0x80000000
	v_cmp_gt_u32_e32 vcc_lo, 30, v81
	s_delay_alu instid0(VALU_DEP_2) | instskip(SKIP_2) | instid1(VALU_DEP_3)
	v_ctz_i32_b32_e32 v8, v8
	v_cndmask_b32_e64 v54, 0, 1, vcc_lo
	v_cmp_eq_u32_e32 vcc_lo, 0, v5
	v_cmp_lt_u32_e64 s14, v81, v8
	s_delay_alu instid0(VALU_DEP_3) | instskip(NEXT) | instid1(VALU_DEP_2)
	v_lshlrev_b32_e32 v54, 1, v54
	s_and_b32 vcc_lo, s14, vcc_lo
	v_lshlrev_b32_e32 v2, 2, v2
	s_delay_alu instid0(VALU_DEP_2)
	v_add_lshl_u32 v59, v54, v81, 2
	ds_bpermute_b32 v3, v2, v6
	s_waitcnt lgkmcnt(0)
	v_cndmask_b32_e32 v3, 0, v3, vcc_lo
	ds_bpermute_b32 v4, v2, v5
	v_cmp_gt_u32_e32 vcc_lo, 28, v81
	v_add_nc_u32_e32 v3, v3, v6
	ds_bpermute_b32 v6, v59, v3
	s_waitcnt lgkmcnt(1)
	v_cndmask_b32_e64 v4, 0, v4, s14
	s_delay_alu instid0(VALU_DEP_1) | instskip(SKIP_1) | instid1(VALU_DEP_2)
	v_add_nc_u32_e32 v4, v4, v5
	v_cndmask_b32_e64 v5, 0, 1, vcc_lo
	v_cmp_eq_u32_e32 vcc_lo, 0, v4
	ds_bpermute_b32 v54, v59, v4
	s_waitcnt lgkmcnt(1)
	v_dual_cndmask_b32 v6, 0, v6 :: v_dual_lshlrev_b32 v5, 2, v5
	v_cmp_gt_u32_e32 vcc_lo, v60, v8
	s_delay_alu instid0(VALU_DEP_2) | instskip(NEXT) | instid1(VALU_DEP_3)
	v_add_lshl_u32 v61, v5, v81, 2
	v_cndmask_b32_e64 v6, v6, 0, vcc_lo
	s_delay_alu instid0(VALU_DEP_1) | instskip(SKIP_4) | instid1(VALU_DEP_2)
	v_add_nc_u32_e32 v3, v6, v3
	ds_bpermute_b32 v5, v61, v3
	s_waitcnt lgkmcnt(1)
	v_cndmask_b32_e64 v6, v54, 0, vcc_lo
	v_cmp_gt_u32_e32 vcc_lo, 24, v81
	v_add_nc_u32_e32 v4, v4, v6
	v_cndmask_b32_e64 v54, 0, 1, vcc_lo
	ds_bpermute_b32 v6, v61, v4
	v_cmp_eq_u32_e32 vcc_lo, 0, v4
	v_lshlrev_b32_e32 v54, 3, v54
	s_delay_alu instid0(VALU_DEP_1) | instskip(SKIP_3) | instid1(VALU_DEP_2)
	v_add_lshl_u32 v63, v54, v81, 2
	s_waitcnt lgkmcnt(1)
	v_cndmask_b32_e32 v5, 0, v5, vcc_lo
	v_cmp_gt_u32_e32 vcc_lo, v62, v8
	v_cndmask_b32_e64 v5, v5, 0, vcc_lo
	s_delay_alu instid0(VALU_DEP_1)
	v_add_nc_u32_e32 v3, v3, v5
	s_waitcnt lgkmcnt(0)
	v_cndmask_b32_e64 v6, v6, 0, vcc_lo
	v_cmp_gt_u32_e32 vcc_lo, 16, v81
	ds_bpermute_b32 v5, v63, v3
	v_add_nc_u32_e32 v4, v4, v6
	v_cndmask_b32_e64 v54, 0, 1, vcc_lo
	ds_bpermute_b32 v6, v63, v4
	v_cmp_eq_u32_e32 vcc_lo, 0, v4
	v_lshlrev_b32_e32 v54, 4, v54
	s_delay_alu instid0(VALU_DEP_1) | instskip(SKIP_3) | instid1(VALU_DEP_2)
	v_add_lshl_u32 v65, v54, v81, 2
	s_waitcnt lgkmcnt(1)
	v_dual_mov_b32 v54, 0 :: v_dual_cndmask_b32 v5, 0, v5
	v_cmp_gt_u32_e32 vcc_lo, v64, v8
	v_cndmask_b32_e64 v5, v5, 0, vcc_lo
	s_delay_alu instid0(VALU_DEP_1)
	v_add_nc_u32_e32 v3, v3, v5
	s_waitcnt lgkmcnt(0)
	v_cndmask_b32_e64 v5, v6, 0, vcc_lo
	ds_bpermute_b32 v6, v65, v3
	v_add_nc_u32_e32 v4, v4, v5
	ds_bpermute_b32 v5, v65, v4
	v_cmp_eq_u32_e32 vcc_lo, 0, v4
	s_waitcnt lgkmcnt(1)
	v_cndmask_b32_e32 v6, 0, v6, vcc_lo
	v_cmp_gt_u32_e32 vcc_lo, v66, v8
	s_delay_alu instid0(VALU_DEP_2) | instskip(SKIP_2) | instid1(VALU_DEP_2)
	v_cndmask_b32_e64 v6, v6, 0, vcc_lo
	s_waitcnt lgkmcnt(0)
	v_cndmask_b32_e64 v5, v5, 0, vcc_lo
	v_add_nc_u32_e32 v6, v6, v3
	s_delay_alu instid0(VALU_DEP_2)
	v_add_nc_u32_e32 v5, v5, v4
	s_branch .LBB361_128
.LBB361_127:                            ;   in Loop: Header=BB361_128 Depth=1
	s_or_b32 exec_lo, exec_lo, s14
	v_and_b32_e32 v8, 0xff, v7
	ds_bpermute_b32 v55, v2, v5
	v_subrev_nc_u32_e32 v53, 32, v53
	v_cmp_eq_u16_e32 vcc_lo, 2, v8
	ds_bpermute_b32 v8, v2, v6
	v_and_or_b32 v56, vcc_lo, v58, 0x80000000
	v_cmp_eq_u32_e32 vcc_lo, 0, v5
	s_delay_alu instid0(VALU_DEP_2) | instskip(NEXT) | instid1(VALU_DEP_1)
	v_ctz_i32_b32_e32 v56, v56
	v_cmp_lt_u32_e64 s14, v81, v56
	s_delay_alu instid0(VALU_DEP_1) | instskip(SKIP_4) | instid1(VALU_DEP_2)
	s_and_b32 vcc_lo, s14, vcc_lo
	s_waitcnt lgkmcnt(1)
	v_cndmask_b32_e64 v55, 0, v55, s14
	s_waitcnt lgkmcnt(0)
	v_cndmask_b32_e32 v8, 0, v8, vcc_lo
	v_add_nc_u32_e32 v5, v55, v5
	s_delay_alu instid0(VALU_DEP_2)
	v_add_nc_u32_e32 v6, v8, v6
	ds_bpermute_b32 v55, v59, v5
	ds_bpermute_b32 v8, v59, v6
	v_cmp_eq_u32_e32 vcc_lo, 0, v5
	s_waitcnt lgkmcnt(0)
	v_cndmask_b32_e32 v8, 0, v8, vcc_lo
	v_cmp_gt_u32_e32 vcc_lo, v60, v56
	v_cndmask_b32_e64 v55, v55, 0, vcc_lo
	s_delay_alu instid0(VALU_DEP_1) | instskip(NEXT) | instid1(VALU_DEP_4)
	v_add_nc_u32_e32 v5, v5, v55
	v_cndmask_b32_e64 v8, v8, 0, vcc_lo
	ds_bpermute_b32 v55, v61, v5
	v_add_nc_u32_e32 v6, v8, v6
	v_cmp_eq_u32_e32 vcc_lo, 0, v5
	ds_bpermute_b32 v8, v61, v6
	s_waitcnt lgkmcnt(0)
	v_cndmask_b32_e32 v8, 0, v8, vcc_lo
	v_cmp_gt_u32_e32 vcc_lo, v62, v56
	v_cndmask_b32_e64 v55, v55, 0, vcc_lo
	s_delay_alu instid0(VALU_DEP_1) | instskip(NEXT) | instid1(VALU_DEP_4)
	v_add_nc_u32_e32 v5, v5, v55
	v_cndmask_b32_e64 v8, v8, 0, vcc_lo
	ds_bpermute_b32 v55, v63, v5
	v_add_nc_u32_e32 v6, v6, v8
	v_cmp_eq_u32_e32 vcc_lo, 0, v5
	ds_bpermute_b32 v8, v63, v6
	;; [unrolled: 11-line block ×3, first 2 shown]
	s_waitcnt lgkmcnt(0)
	v_cndmask_b32_e32 v8, 0, v8, vcc_lo
	v_cmp_gt_u32_e32 vcc_lo, v66, v56
	s_delay_alu instid0(VALU_DEP_2) | instskip(NEXT) | instid1(VALU_DEP_1)
	v_cndmask_b32_e64 v8, v8, 0, vcc_lo
	v_add_nc_u32_e32 v6, v8, v6
	v_cndmask_b32_e64 v8, v55, 0, vcc_lo
	v_cmp_eq_u32_e32 vcc_lo, 0, v3
	s_delay_alu instid0(VALU_DEP_2) | instskip(NEXT) | instid1(VALU_DEP_4)
	v_add3_u32 v5, v5, v3, v8
	v_cndmask_b32_e32 v6, 0, v6, vcc_lo
	s_delay_alu instid0(VALU_DEP_1)
	v_add_nc_u32_e32 v6, v6, v4
.LBB361_128:                            ; =>This Loop Header: Depth=1
                                        ;     Child Loop BB361_131 Depth 2
	s_delay_alu instid0(VALU_DEP_1) | instskip(NEXT) | instid1(VALU_DEP_1)
	v_dual_mov_b32 v4, v6 :: v_dual_and_b32 v3, 0xff, v7
	v_cmp_ne_u16_e32 vcc_lo, 2, v3
	v_cndmask_b32_e64 v3, 0, 1, vcc_lo
	;;#ASMSTART
	;;#ASMEND
	s_delay_alu instid0(VALU_DEP_1)
	v_cmp_ne_u32_e32 vcc_lo, 0, v3
	v_mov_b32_e32 v3, v5
	s_cmp_lg_u32 vcc_lo, exec_lo
	s_cbranch_scc1 .LBB361_133
; %bb.129:                              ;   in Loop: Header=BB361_128 Depth=1
	v_lshlrev_b64 v[5:6], 4, v[53:54]
	s_mov_b32 s14, exec_lo
	s_delay_alu instid0(VALU_DEP_1) | instskip(NEXT) | instid1(VALU_DEP_2)
	v_add_co_u32 v55, vcc_lo, s24, v5
	v_add_co_ci_u32_e32 v56, vcc_lo, s25, v6, vcc_lo
	;;#ASMSTART
	global_load_dwordx4 v[5:8], v[55:56] off glc	
s_waitcnt vmcnt(0)
	;;#ASMEND
	v_and_b32_e32 v8, 0xff, v6
	v_and_b32_e32 v67, 0xff00, v6
	;; [unrolled: 1-line block ×3, first 2 shown]
	v_or3_b32 v5, v5, 0, 0
	v_and_b32_e32 v6, 0xff000000, v6
	s_delay_alu instid0(VALU_DEP_4) | instskip(SKIP_1) | instid1(VALU_DEP_4)
	v_or3_b32 v8, 0, v8, v67
	v_and_b32_e32 v67, 0xff, v7
	v_or3_b32 v5, v5, 0, 0
	s_delay_alu instid0(VALU_DEP_3) | instskip(NEXT) | instid1(VALU_DEP_3)
	v_or3_b32 v6, v8, v68, v6
	v_cmpx_eq_u16_e32 0, v67
	s_cbranch_execz .LBB361_127
; %bb.130:                              ;   in Loop: Header=BB361_128 Depth=1
	s_mov_b32 s26, 0
.LBB361_131:                            ;   Parent Loop BB361_128 Depth=1
                                        ; =>  This Inner Loop Header: Depth=2
	;;#ASMSTART
	global_load_dwordx4 v[5:8], v[55:56] off glc	
s_waitcnt vmcnt(0)
	;;#ASMEND
	v_and_b32_e32 v8, 0xff, v7
	s_delay_alu instid0(VALU_DEP_1) | instskip(SKIP_1) | instid1(SALU_CYCLE_1)
	v_cmp_ne_u16_e32 vcc_lo, 0, v8
	s_or_b32 s26, vcc_lo, s26
	s_and_not1_b32 exec_lo, exec_lo, s26
	s_cbranch_execnz .LBB361_131
; %bb.132:                              ;   in Loop: Header=BB361_128 Depth=1
	s_or_b32 exec_lo, exec_lo, s26
	s_branch .LBB361_127
.LBB361_133:                            ;   in Loop: Header=BB361_128 Depth=1
                                        ; implicit-def: $vgpr6
                                        ; implicit-def: $vgpr5
                                        ; implicit-def: $vgpr7
	s_cbranch_execz .LBB361_128
; %bb.134:
	s_and_saveexec_b32 s14, s13
	s_cbranch_execz .LBB361_136
; %bb.135:
	v_cmp_eq_u32_e32 vcc_lo, 0, v1
	s_mov_b32 s27, 0
	s_add_i32 s26, s15, 32
	v_add_nc_u32_e32 v5, v3, v1
	s_lshl_b64 s[26:27], s[26:27], 4
	v_cndmask_b32_e32 v2, 0, v4, vcc_lo
	s_add_u32 s26, s24, s26
	s_addc_u32 s27, s25, s27
	v_mov_b32_e32 v8, 0
	s_delay_alu instid0(VALU_DEP_2) | instskip(NEXT) | instid1(VALU_DEP_1)
	v_add_nc_u32_e32 v2, s21, v2
	v_and_b32_e32 v6, 0xff000000, v2
	v_and_b32_e32 v7, 0xff0000, v2
	s_delay_alu instid0(VALU_DEP_1) | instskip(SKIP_3) | instid1(VALU_DEP_1)
	v_or_b32_e32 v6, v7, v6
	v_mov_b32_e32 v7, 2
	v_and_b32_e32 v53, 0xff00, v2
	v_and_b32_e32 v2, 0xff, v2
	v_or3_b32 v6, v6, v53, v2
	v_mov_b32_e32 v2, s21
	v_dual_mov_b32 v54, s27 :: v_dual_mov_b32 v53, s26
	;;#ASMSTART
	global_store_dwordx4 v[53:54], v[5:8] off	
s_waitcnt vmcnt(0)
	;;#ASMEND
	ds_store_b128 v8, v[1:4] offset:2048
.LBB361_136:
	s_or_b32 exec_lo, exec_lo, s14
	v_cmp_eq_u32_e32 vcc_lo, 0, v0
	s_and_b32 exec_lo, exec_lo, vcc_lo
	s_cbranch_execz .LBB361_138
; %bb.137:
	v_mov_b32_e32 v1, 0
	ds_store_b64 v1, v[3:4] offset:2120
.LBB361_138:
	s_or_b32 exec_lo, exec_lo, s17
	s_waitcnt lgkmcnt(1)
	v_cndmask_b32_e64 v4, v35, v51, s13
	s_waitcnt lgkmcnt(0)
	s_barrier
	buffer_gl0_inv
	v_cndmask_b32_e64 v5, v57, v52, s13
	v_cmp_eq_u32_e32 vcc_lo, 0, v4
	v_mov_b32_e32 v3, 0
	v_cmp_eq_u32_e64 s13, 0, v27
	ds_load_b64 v[1:2], v3 offset:2120
	s_waitcnt lgkmcnt(0)
	s_barrier
	buffer_gl0_inv
	v_cndmask_b32_e32 v6, 0, v2, vcc_lo
	v_cmp_eq_u32_e32 vcc_lo, 0, v0
	s_delay_alu instid0(VALU_DEP_2) | instskip(NEXT) | instid1(VALU_DEP_1)
	v_add_nc_u32_e32 v5, v6, v5
	v_cndmask_b32_e32 v68, v5, v2, vcc_lo
	s_delay_alu instid0(VALU_DEP_1) | instskip(NEXT) | instid1(VALU_DEP_1)
	v_cndmask_b32_e64 v2, 0, v68, s13
	v_add_nc_u32_e32 v74, v2, v49
	s_delay_alu instid0(VALU_DEP_1) | instskip(NEXT) | instid1(VALU_DEP_1)
	v_cndmask_b32_e64 v2, 0, v74, s12
	v_add_nc_u32_e32 v70, v2, v50
	;; [unrolled: 3-line block ×6, first 2 shown]
	v_cndmask_b32_e64 v2, v4, 0, vcc_lo
	s_delay_alu instid0(VALU_DEP_2) | instskip(NEXT) | instid1(VALU_DEP_2)
	v_cndmask_b32_e64 v4, 0, v54, s7
	v_add_nc_u32_e32 v67, v1, v2
	s_delay_alu instid0(VALU_DEP_2) | instskip(NEXT) | instid1(VALU_DEP_2)
	v_add_nc_u32_e32 v58, v4, v43
	v_add_nc_u32_e32 v73, v67, v27
	s_delay_alu instid0(VALU_DEP_2) | instskip(NEXT) | instid1(VALU_DEP_2)
	v_cndmask_b32_e64 v1, 0, v58, s6
	v_add_nc_u32_e32 v69, v73, v36
	s_delay_alu instid0(VALU_DEP_2) | instskip(NEXT) | instid1(VALU_DEP_2)
	v_add_nc_u32_e32 v62, v1, v44
	v_add_nc_u32_e32 v65, v69, v33
	;; [unrolled: 6-line block ×4, first 2 shown]
	s_delay_alu instid0(VALU_DEP_2) | instskip(NEXT) | instid1(VALU_DEP_2)
	v_cndmask_b32_e64 v1, 0, v8, s3
	v_add_nc_u32_e32 v61, v57, v30
	s_delay_alu instid0(VALU_DEP_2) | instskip(SKIP_3) | instid1(VALU_DEP_2)
	v_add_nc_u32_e32 v52, v1, v39
	ds_load_b128 v[1:4], v3 offset:2048
	v_add_nc_u32_e32 v5, v61, v25
	v_cndmask_b32_e64 v35, 0, v52, s2
	v_add_nc_u32_e32 v7, v5, v26
	s_delay_alu instid0(VALU_DEP_2) | instskip(NEXT) | instid1(VALU_DEP_2)
	v_add_nc_u32_e32 v76, v35, v40
	v_add_nc_u32_e32 v51, v7, v23
	s_delay_alu instid0(VALU_DEP_2) | instskip(NEXT) | instid1(VALU_DEP_2)
	v_cndmask_b32_e64 v35, 0, v76, s1
	v_add_nc_u32_e32 v75, v51, v24
	s_delay_alu instid0(VALU_DEP_2) | instskip(SKIP_2) | instid1(VALU_DEP_3)
	v_add_nc_u32_e32 v72, v35, v37
	s_waitcnt lgkmcnt(0)
	v_cmp_eq_u32_e32 vcc_lo, 0, v1
	v_add_nc_u32_e32 v71, v75, v79
	s_delay_alu instid0(VALU_DEP_3) | instskip(SKIP_1) | instid1(VALU_DEP_3)
	v_cndmask_b32_e64 v35, 0, v72, s0
	v_cndmask_b32_e32 v4, 0, v4, vcc_lo
	v_add_nc_u32_e32 v63, v71, v28
	s_delay_alu instid0(VALU_DEP_3) | instskip(NEXT) | instid1(VALU_DEP_3)
	v_add_nc_u32_e32 v64, v35, v38
	v_add_nc_u32_e32 v35, v4, v2
	s_branch .LBB361_151
.LBB361_139:
                                        ; implicit-def: $vgpr1
                                        ; implicit-def: $vgpr35
                                        ; implicit-def: $vgpr67_vgpr68
                                        ; implicit-def: $vgpr73_vgpr74
                                        ; implicit-def: $vgpr69_vgpr70
                                        ; implicit-def: $vgpr65_vgpr66
                                        ; implicit-def: $vgpr59_vgpr60
                                        ; implicit-def: $vgpr55_vgpr56
                                        ; implicit-def: $vgpr53_vgpr54
                                        ; implicit-def: $vgpr57_vgpr58
                                        ; implicit-def: $vgpr61_vgpr62
                                        ; implicit-def: $vgpr5_vgpr6
                                        ; implicit-def: $vgpr7_vgpr8
                                        ; implicit-def: $vgpr51_vgpr52
                                        ; implicit-def: $vgpr75_vgpr76
                                        ; implicit-def: $vgpr71_vgpr72
                                        ; implicit-def: $vgpr63_vgpr64
	s_cbranch_execz .LBB361_151
; %bb.140:
	s_and_b32 s0, s16, exec_lo
	v_mov_b32_e32 v35, v49
	s_cselect_b32 s1, 0, s35
	s_cselect_b32 s0, 0, s34
	s_delay_alu instid0(SALU_CYCLE_1)
	s_cmp_eq_u64 s[0:1], 0
	s_cbranch_scc1 .LBB361_142
; %bb.141:
	v_mov_b32_e32 v1, 0
	global_load_b32 v35, v1, s[0:1]
.LBB361_142:
	v_cmp_eq_u32_e64 s6, 0, v36
	v_cmp_eq_u32_e64 s7, 0, v33
	;; [unrolled: 1-line block ×5, first 2 shown]
	v_cndmask_b32_e64 v1, 0, v49, s6
	v_cmp_eq_u32_e64 s11, 0, v29
	v_cmp_eq_u32_e64 s5, 0, v30
	;; [unrolled: 1-line block ×4, first 2 shown]
	v_add_nc_u32_e32 v1, v1, v50
	v_cmp_eq_u32_e64 s2, 0, v23
	v_add3_u32 v2, v84, v32, v29
	v_cmp_eq_u32_e64 s1, 0, v24
	v_cmp_eq_u32_e32 vcc_lo, 0, v79
	v_cndmask_b32_e64 v1, 0, v1, s7
	v_cmp_eq_u32_e64 s0, 0, v28
	v_add3_u32 v2, v2, v30, v25
	v_cmp_eq_u32_e64 s12, 0, v78
	v_and_b32_e32 v4, 15, v81
	v_add_nc_u32_e32 v1, v1, v47
	s_delay_alu instid0(VALU_DEP_4) | instskip(NEXT) | instid1(VALU_DEP_3)
	v_add3_u32 v2, v2, v26, v23
	v_cmp_lt_u32_e64 s13, 1, v4
	s_delay_alu instid0(VALU_DEP_3) | instskip(NEXT) | instid1(VALU_DEP_3)
	v_cndmask_b32_e64 v1, 0, v1, s8
	v_add3_u32 v2, v2, v24, v79
	s_delay_alu instid0(VALU_DEP_2) | instskip(NEXT) | instid1(VALU_DEP_2)
	v_add_nc_u32_e32 v1, v1, v48
	v_add3_u32 v2, v2, v28, v78
	s_delay_alu instid0(VALU_DEP_2) | instskip(SKIP_1) | instid1(VALU_DEP_2)
	v_cndmask_b32_e64 v1, 0, v1, s9
	s_waitcnt lgkmcnt(0)
	v_mov_b32_dpp v5, v2 row_shr:1 row_mask:0xf bank_mask:0xf
	s_delay_alu instid0(VALU_DEP_2) | instskip(NEXT) | instid1(VALU_DEP_1)
	v_add_nc_u32_e32 v1, v1, v45
	v_cndmask_b32_e64 v1, 0, v1, s10
	s_delay_alu instid0(VALU_DEP_1) | instskip(NEXT) | instid1(VALU_DEP_1)
	v_add_nc_u32_e32 v1, v1, v46
	v_cndmask_b32_e64 v1, 0, v1, s11
	s_delay_alu instid0(VALU_DEP_1) | instskip(NEXT) | instid1(VALU_DEP_1)
	;; [unrolled: 3-line block ×7, first 2 shown]
	v_add_nc_u32_e32 v1, v1, v40
	v_cndmask_b32_e32 v1, 0, v1, vcc_lo
	s_delay_alu instid0(VALU_DEP_1) | instskip(NEXT) | instid1(VALU_DEP_1)
	v_add_nc_u32_e32 v1, v1, v37
	v_cndmask_b32_e64 v1, 0, v1, s0
	s_delay_alu instid0(VALU_DEP_1) | instskip(NEXT) | instid1(VALU_DEP_1)
	v_add_nc_u32_e32 v1, v1, v38
	v_cndmask_b32_e64 v1, 0, v1, s12
	v_cmp_eq_u32_e64 s12, 0, v2
	s_delay_alu instid0(VALU_DEP_2) | instskip(NEXT) | instid1(VALU_DEP_1)
	v_add_nc_u32_e32 v1, v1, v80
	v_mov_b32_dpp v3, v1 row_shr:1 row_mask:0xf bank_mask:0xf
	s_delay_alu instid0(VALU_DEP_1) | instskip(SKIP_1) | instid1(VALU_DEP_1)
	v_cndmask_b32_e64 v3, 0, v3, s12
	v_cmp_eq_u32_e64 s12, 0, v4
	v_cndmask_b32_e64 v5, v5, 0, s12
	s_delay_alu instid0(VALU_DEP_3) | instskip(NEXT) | instid1(VALU_DEP_2)
	v_cndmask_b32_e64 v3, v3, 0, s12
	v_add_nc_u32_e32 v2, v5, v2
	s_delay_alu instid0(VALU_DEP_2) | instskip(NEXT) | instid1(VALU_DEP_2)
	v_add_nc_u32_e32 v1, v3, v1
	v_mov_b32_dpp v3, v2 row_shr:2 row_mask:0xf bank_mask:0xf
	v_cmp_eq_u32_e64 s12, 0, v2
	s_delay_alu instid0(VALU_DEP_3) | instskip(NEXT) | instid1(VALU_DEP_3)
	v_mov_b32_dpp v5, v1 row_shr:2 row_mask:0xf bank_mask:0xf
	v_cndmask_b32_e64 v3, 0, v3, s13
	s_delay_alu instid0(VALU_DEP_3) | instskip(SKIP_1) | instid1(VALU_DEP_3)
	s_and_b32 s12, s13, s12
	v_cmp_lt_u32_e64 s13, 3, v4
	v_cndmask_b32_e64 v5, 0, v5, s12
	s_delay_alu instid0(VALU_DEP_3) | instskip(NEXT) | instid1(VALU_DEP_2)
	v_add_nc_u32_e32 v2, v2, v3
	v_add_nc_u32_e32 v1, v5, v1
	s_delay_alu instid0(VALU_DEP_2) | instskip(SKIP_1) | instid1(VALU_DEP_3)
	v_mov_b32_dpp v3, v2 row_shr:4 row_mask:0xf bank_mask:0xf
	v_cmp_eq_u32_e64 s12, 0, v2
	v_mov_b32_dpp v5, v1 row_shr:4 row_mask:0xf bank_mask:0xf
	s_delay_alu instid0(VALU_DEP_3) | instskip(NEXT) | instid1(VALU_DEP_3)
	v_cndmask_b32_e64 v3, 0, v3, s13
	s_and_b32 s12, s13, s12
	v_cmp_lt_u32_e64 s13, 7, v4
	s_delay_alu instid0(VALU_DEP_3) | instskip(NEXT) | instid1(VALU_DEP_3)
	v_cndmask_b32_e64 v5, 0, v5, s12
	v_add_nc_u32_e32 v2, v3, v2
	s_delay_alu instid0(VALU_DEP_2) | instskip(SKIP_1) | instid1(VALU_DEP_3)
	v_add_nc_u32_e32 v1, v1, v5
	v_bfe_i32 v5, v81, 4, 1
	v_cmp_eq_u32_e64 s12, 0, v2
	v_mov_b32_dpp v3, v2 row_shr:8 row_mask:0xf bank_mask:0xf
	s_delay_alu instid0(VALU_DEP_4) | instskip(NEXT) | instid1(VALU_DEP_3)
	v_mov_b32_dpp v4, v1 row_shr:8 row_mask:0xf bank_mask:0xf
	s_and_b32 s12, s13, s12
	s_delay_alu instid0(VALU_DEP_2) | instskip(SKIP_1) | instid1(VALU_DEP_2)
	v_cndmask_b32_e64 v3, 0, v3, s13
	s_mov_b32 s13, exec_lo
	v_cndmask_b32_e64 v4, 0, v4, s12
	s_delay_alu instid0(VALU_DEP_1) | instskip(NEXT) | instid1(VALU_DEP_3)
	v_add_nc_u32_e32 v4, v4, v1
	v_add_nc_u32_e32 v1, v3, v2
	ds_swizzle_b32 v2, v4 offset:swizzle(BROADCAST,32,15)
	ds_swizzle_b32 v3, v1 offset:swizzle(BROADCAST,32,15)
	v_cmp_eq_u32_e64 s12, 0, v1
	s_waitcnt lgkmcnt(1)
	s_delay_alu instid0(VALU_DEP_1) | instskip(SKIP_2) | instid1(VALU_DEP_2)
	v_cndmask_b32_e64 v2, 0, v2, s12
	s_waitcnt lgkmcnt(0)
	v_and_b32_e32 v3, v5, v3
	v_and_b32_e32 v2, v5, v2
	s_delay_alu instid0(VALU_DEP_2) | instskip(NEXT) | instid1(VALU_DEP_2)
	v_add_nc_u32_e32 v1, v3, v1
	v_add_nc_u32_e32 v2, v2, v4
	v_lshlrev_b32_e32 v4, 3, v82
	v_cmpx_eq_u32_e64 v83, v0
	s_cbranch_execz .LBB361_144
; %bb.143:
	ds_store_b64 v4, v[1:2] offset:2064
.LBB361_144:
	s_or_b32 exec_lo, exec_lo, s13
	s_delay_alu instid0(SALU_CYCLE_1)
	s_mov_b32 s14, exec_lo
	s_waitcnt vmcnt(0) lgkmcnt(0)
	s_barrier
	buffer_gl0_inv
	v_cmpx_gt_u32_e32 8, v0
	s_cbranch_execz .LBB361_146
; %bb.145:
	v_lshlrev_b32_e32 v3, 3, v0
	v_and_b32_e32 v8, 7, v81
	ds_load_b64 v[5:6], v3 offset:2064
	v_cmp_lt_u32_e64 s13, 1, v8
	s_waitcnt lgkmcnt(0)
	v_mov_b32_dpp v7, v6 row_shr:1 row_mask:0xf bank_mask:0xf
	v_cmp_eq_u32_e64 s12, 0, v5
	v_mov_b32_dpp v51, v5 row_shr:1 row_mask:0xf bank_mask:0xf
	s_delay_alu instid0(VALU_DEP_2) | instskip(SKIP_1) | instid1(VALU_DEP_1)
	v_cndmask_b32_e64 v7, 0, v7, s12
	v_cmp_eq_u32_e64 s12, 0, v8
	v_cndmask_b32_e64 v51, v51, 0, s12
	s_delay_alu instid0(VALU_DEP_3) | instskip(NEXT) | instid1(VALU_DEP_2)
	v_cndmask_b32_e64 v7, v7, 0, s12
	v_add_nc_u32_e32 v5, v51, v5
	s_delay_alu instid0(VALU_DEP_2) | instskip(NEXT) | instid1(VALU_DEP_2)
	v_add_nc_u32_e32 v6, v7, v6
	v_mov_b32_dpp v7, v5 row_shr:2 row_mask:0xf bank_mask:0xf
	v_cmp_eq_u32_e64 s12, 0, v5
	s_delay_alu instid0(VALU_DEP_3) | instskip(NEXT) | instid1(VALU_DEP_3)
	v_mov_b32_dpp v51, v6 row_shr:2 row_mask:0xf bank_mask:0xf
	v_cndmask_b32_e64 v7, 0, v7, s13
	s_delay_alu instid0(VALU_DEP_3) | instskip(SKIP_1) | instid1(VALU_DEP_3)
	s_and_b32 s12, s13, s12
	v_cmp_lt_u32_e64 s13, 3, v8
	v_cndmask_b32_e64 v51, 0, v51, s12
	s_delay_alu instid0(VALU_DEP_3) | instskip(NEXT) | instid1(VALU_DEP_2)
	v_add_nc_u32_e32 v5, v7, v5
	v_add_nc_u32_e32 v6, v51, v6
	s_delay_alu instid0(VALU_DEP_2) | instskip(SKIP_1) | instid1(VALU_DEP_3)
	v_cmp_eq_u32_e64 s12, 0, v5
	v_mov_b32_dpp v7, v5 row_shr:4 row_mask:0xf bank_mask:0xf
	v_mov_b32_dpp v8, v6 row_shr:4 row_mask:0xf bank_mask:0xf
	s_delay_alu instid0(VALU_DEP_3) | instskip(NEXT) | instid1(VALU_DEP_2)
	s_and_b32 s12, s13, s12
	v_cndmask_b32_e64 v7, 0, v7, s13
	s_delay_alu instid0(VALU_DEP_2) | instskip(NEXT) | instid1(VALU_DEP_2)
	v_cndmask_b32_e64 v8, 0, v8, s12
	v_add_nc_u32_e32 v5, v7, v5
	s_delay_alu instid0(VALU_DEP_2)
	v_add_nc_u32_e32 v6, v8, v6
	ds_store_b64 v3, v[5:6] offset:2064
.LBB361_146:
	s_or_b32 exec_lo, exec_lo, s14
	v_mov_b32_e32 v7, 0
	v_mov_b32_e32 v3, 0
	;; [unrolled: 1-line block ×3, first 2 shown]
	s_mov_b32 s13, exec_lo
	s_waitcnt lgkmcnt(0)
	s_barrier
	buffer_gl0_inv
	v_cmpx_lt_u32_e32 31, v0
	s_cbranch_execz .LBB361_148
; %bb.147:
	ds_load_b64 v[3:4], v4 offset:2056
	s_waitcnt lgkmcnt(0)
	v_cmp_eq_u32_e64 s12, 0, v3
	s_delay_alu instid0(VALU_DEP_1) | instskip(NEXT) | instid1(VALU_DEP_1)
	v_cndmask_b32_e64 v5, 0, v35, s12
	v_add_nc_u32_e32 v5, v5, v4
.LBB361_148:
	s_or_b32 exec_lo, exec_lo, s13
	v_add_nc_u32_e32 v4, -1, v81
	v_cmp_eq_u32_e64 s13, 0, v27
	s_delay_alu instid0(VALU_DEP_2) | instskip(NEXT) | instid1(VALU_DEP_1)
	v_cmp_gt_i32_e64 s12, 0, v4
	v_cndmask_b32_e64 v4, v4, v81, s12
	v_cmp_eq_u32_e64 s12, 0, v1
	v_add_nc_u32_e32 v1, v3, v1
	s_delay_alu instid0(VALU_DEP_3) | instskip(NEXT) | instid1(VALU_DEP_3)
	v_lshlrev_b32_e32 v4, 2, v4
	v_cndmask_b32_e64 v6, 0, v5, s12
	v_cmp_eq_u32_e64 s12, 0, v81
	ds_bpermute_b32 v1, v4, v1
	v_add_nc_u32_e32 v2, v6, v2
	ds_bpermute_b32 v2, v4, v2
	s_waitcnt lgkmcnt(1)
	v_cndmask_b32_e64 v1, v1, v3, s12
	s_waitcnt lgkmcnt(0)
	v_cndmask_b32_e64 v2, v2, v5, s12
	v_cmp_eq_u32_e64 s12, 0, v0
	s_delay_alu instid0(VALU_DEP_1) | instskip(SKIP_1) | instid1(VALU_DEP_2)
	v_cndmask_b32_e64 v68, v2, v35, s12
	v_cndmask_b32_e64 v67, v1, 0, s12
	;; [unrolled: 1-line block ×3, first 2 shown]
	s_delay_alu instid0(VALU_DEP_2) | instskip(NEXT) | instid1(VALU_DEP_2)
	v_add_nc_u32_e32 v73, v67, v27
	v_add_nc_u32_e32 v74, v2, v49
	s_delay_alu instid0(VALU_DEP_2) | instskip(NEXT) | instid1(VALU_DEP_2)
	v_add_nc_u32_e32 v69, v73, v36
	v_cndmask_b32_e64 v2, 0, v74, s6
	s_delay_alu instid0(VALU_DEP_2) | instskip(NEXT) | instid1(VALU_DEP_2)
	v_add_nc_u32_e32 v65, v69, v33
	v_add_nc_u32_e32 v70, v2, v50
	s_delay_alu instid0(VALU_DEP_2) | instskip(NEXT) | instid1(VALU_DEP_2)
	v_add_nc_u32_e32 v59, v65, v34
	v_cndmask_b32_e64 v2, 0, v70, s7
	;; [unrolled: 6-line block ×4, first 2 shown]
	s_delay_alu instid0(VALU_DEP_2) | instskip(NEXT) | instid1(VALU_DEP_2)
	v_add_nc_u32_e32 v5, v61, v25
	v_add_nc_u32_e32 v56, v2, v45
	s_delay_alu instid0(VALU_DEP_1) | instskip(NEXT) | instid1(VALU_DEP_1)
	v_cndmask_b32_e64 v2, 0, v56, s10
	v_add_nc_u32_e32 v54, v2, v46
	s_delay_alu instid0(VALU_DEP_1) | instskip(NEXT) | instid1(VALU_DEP_1)
	v_cndmask_b32_e64 v2, 0, v54, s11
	;; [unrolled: 3-line block ×6, first 2 shown]
	v_add_nc_u32_e32 v52, v1, v39
	ds_load_b64 v[1:2], v7 offset:2120
	v_add_nc_u32_e32 v7, v5, v26
	v_cndmask_b32_e64 v3, 0, v52, s1
	s_delay_alu instid0(VALU_DEP_2) | instskip(NEXT) | instid1(VALU_DEP_2)
	v_add_nc_u32_e32 v51, v7, v23
	v_add_nc_u32_e32 v76, v3, v40
	s_delay_alu instid0(VALU_DEP_2) | instskip(NEXT) | instid1(VALU_DEP_2)
	v_add_nc_u32_e32 v75, v51, v24
	v_cndmask_b32_e32 v3, 0, v76, vcc_lo
	s_delay_alu instid0(VALU_DEP_2) | instskip(NEXT) | instid1(VALU_DEP_2)
	v_add_nc_u32_e32 v71, v75, v79
	v_add_nc_u32_e32 v72, v3, v37
	s_waitcnt lgkmcnt(0)
	v_cmp_eq_u32_e32 vcc_lo, 0, v1
	s_delay_alu instid0(VALU_DEP_3) | instskip(NEXT) | instid1(VALU_DEP_3)
	v_add_nc_u32_e32 v63, v71, v28
	v_cndmask_b32_e64 v3, 0, v72, s0
	v_cndmask_b32_e32 v4, 0, v35, vcc_lo
	s_delay_alu instid0(VALU_DEP_2) | instskip(NEXT) | instid1(VALU_DEP_2)
	v_add_nc_u32_e32 v64, v3, v38
	v_add_nc_u32_e32 v35, v4, v2
	s_and_saveexec_b32 s0, s12
	s_cbranch_execz .LBB361_150
; %bb.149:
	s_delay_alu instid0(VALU_DEP_1)
	v_and_b32_e32 v2, 0xff000000, v35
	v_dual_mov_b32 v4, 0 :: v_dual_and_b32 v3, 0xff0000, v35
	s_add_u32 s2, s24, 0x200
	v_and_b32_e32 v37, 0xff00, v35
	s_addc_u32 s3, s25, 0
	v_and_b32_e32 v38, 0xff, v35
	v_or_b32_e32 v2, v3, v2
	v_mov_b32_e32 v3, 2
	s_delay_alu instid0(VALU_DEP_2)
	v_or3_b32 v2, v2, v37, v38
	v_dual_mov_b32 v38, s3 :: v_dual_mov_b32 v37, s2
	;;#ASMSTART
	global_store_dwordx4 v[37:38], v[1:4] off	
s_waitcnt vmcnt(0)
	;;#ASMEND
.LBB361_150:
	s_or_b32 exec_lo, exec_lo, s0
	v_mov_b32_e32 v3, 0
.LBB361_151:
	v_mov_b32_e32 v37, 0
	s_and_b32 s0, s16, exec_lo
	v_mov_b32_e32 v38, 0
	s_cselect_b32 s1, 0, s43
	s_cselect_b32 s0, 0, s42
	s_waitcnt lgkmcnt(0)
	s_cmp_eq_u64 s[0:1], 0
	s_barrier
	buffer_gl0_inv
	s_cbranch_scc1 .LBB361_153
; %bb.152:
	v_mov_b32_e32 v2, 0
	global_load_b64 v[37:38], v2, s[0:1]
.LBB361_153:
	v_cmp_eq_u32_e32 vcc_lo, 0, v27
	v_cmp_ne_u32_e64 s14, 0, v27
	v_cmp_ne_u32_e64 s13, 0, v36
	v_cmp_ne_u32_e64 s12, 0, v33
	v_cmp_ne_u32_e64 s11, 0, v34
	v_cndmask_b32_e64 v2, 1, 2, vcc_lo
	v_cmp_eq_u32_e32 vcc_lo, 0, v36
	v_cmp_ne_u32_e64 s10, 0, v31
	v_cmp_ne_u32_e64 s9, 0, v32
	;; [unrolled: 1-line block ×4, first 2 shown]
	v_cndmask_b32_e64 v4, 1, 2, vcc_lo
	v_cmp_eq_u32_e32 vcc_lo, 0, v33
	v_cmp_ne_u32_e64 s8, 0, v25
	v_cmp_ne_u32_e64 s6, 0, v26
	;; [unrolled: 1-line block ×3, first 2 shown]
	v_and_b32_e32 v2, v4, v2
	v_cndmask_b32_e64 v39, 1, 2, vcc_lo
	v_cmp_eq_u32_e32 vcc_lo, 0, v34
	v_cmp_ne_u32_e64 s3, 0, v24
	v_cmp_ne_u32_e64 s2, 0, v79
	;; [unrolled: 1-line block ×3, first 2 shown]
	v_and_b32_e32 v2, v2, v39
	v_cndmask_b32_e64 v4, 1, 2, vcc_lo
	v_cmp_eq_u32_e32 vcc_lo, 0, v31
	v_cmp_ne_u32_e64 s0, 0, v78
	s_mov_b32 s16, -1
	s_delay_alu instid0(VALU_DEP_3) | instskip(SKIP_2) | instid1(VALU_DEP_2)
	v_and_b32_e32 v2, v2, v4
	v_cndmask_b32_e64 v39, 1, 2, vcc_lo
	v_cmp_eq_u32_e32 vcc_lo, 0, v32
	v_and_b32_e32 v2, v2, v39
	v_cndmask_b32_e64 v4, 1, 2, vcc_lo
	v_cmp_eq_u32_e32 vcc_lo, 0, v29
	s_waitcnt vmcnt(0)
	v_lshlrev_b64 v[39:40], 2, v[37:38]
	s_delay_alu instid0(VALU_DEP_3) | instskip(SKIP_2) | instid1(VALU_DEP_2)
	v_and_b32_e32 v2, v2, v4
	v_cndmask_b32_e64 v41, 1, 2, vcc_lo
	v_cmp_eq_u32_e32 vcc_lo, 0, v30
	v_and_b32_e32 v2, v2, v41
	v_cndmask_b32_e64 v42, 1, 2, vcc_lo
	v_cmp_eq_u32_e32 vcc_lo, 0, v25
	s_delay_alu instid0(VALU_DEP_2) | instskip(SKIP_2) | instid1(VALU_DEP_2)
	v_and_b32_e32 v2, v2, v42
	v_cndmask_b32_e64 v41, 1, 2, vcc_lo
	v_cmp_eq_u32_e32 vcc_lo, 0, v26
	v_and_b32_e32 v2, v2, v41
	v_cndmask_b32_e64 v42, 1, 2, vcc_lo
	v_cmp_eq_u32_e32 vcc_lo, 0, v23
	s_delay_alu instid0(VALU_DEP_2) | instskip(SKIP_2) | instid1(VALU_DEP_2)
	;; [unrolled: 7-line block ×3, first 2 shown]
	v_and_b32_e32 v2, v2, v43
	v_cndmask_b32_e64 v44, 1, 2, vcc_lo
	v_cmp_eq_u32_e32 vcc_lo, 0, v28
	v_and_b32_e32 v44, v2, v44
	v_cndmask_b32_e64 v45, 1, 2, vcc_lo
	v_mov_b32_e32 v4, 0
	s_delay_alu instid0(VALU_DEP_1) | instskip(SKIP_2) | instid1(VALU_DEP_2)
	v_lshlrev_b64 v[41:42], 2, v[3:4]
	v_add_co_u32 v4, vcc_lo, s22, v39
	v_add_co_ci_u32_e32 v43, vcc_lo, s23, v40, vcc_lo
	v_add_co_u32 v2, vcc_lo, v4, v41
	s_delay_alu instid0(VALU_DEP_2) | instskip(SKIP_4) | instid1(VALU_DEP_2)
	v_add_co_ci_u32_e32 v4, vcc_lo, v43, v42, vcc_lo
	v_and_b32_e32 v43, v44, v45
	v_cmp_eq_u32_e32 vcc_lo, 0, v78
	v_cndmask_b32_e64 v44, 1, 2, vcc_lo
	v_cmp_gt_u32_e32 vcc_lo, 0x100, v1
	v_and_b32_e32 v43, v43, v44
	s_delay_alu instid0(VALU_DEP_1)
	v_cmp_gt_i16_e64 s15, 2, v43
	s_cbranch_vccz .LBB361_160
; %bb.154:
	s_delay_alu instid0(VALU_DEP_1)
	s_and_saveexec_b32 s16, s15
	s_cbranch_execz .LBB361_159
; %bb.155:
	s_mov_b32 s17, 0
	s_mov_b32 s15, exec_lo
	v_cmpx_ne_u16_e32 1, v43
	s_xor_b32 s15, exec_lo, s15
	s_cbranch_execnz .LBB361_225
; %bb.156:
	s_and_not1_saveexec_b32 s15, s15
	s_cbranch_execnz .LBB361_241
.LBB361_157:
	s_or_b32 exec_lo, exec_lo, s15
	s_delay_alu instid0(SALU_CYCLE_1)
	s_and_b32 exec_lo, exec_lo, s17
	s_cbranch_execz .LBB361_159
.LBB361_158:
	v_sub_nc_u32_e32 v44, v63, v3
	v_mov_b32_e32 v45, 0
	s_delay_alu instid0(VALU_DEP_1) | instskip(NEXT) | instid1(VALU_DEP_1)
	v_lshlrev_b64 v[44:45], 2, v[44:45]
	v_add_co_u32 v44, vcc_lo, v2, v44
	s_delay_alu instid0(VALU_DEP_2)
	v_add_co_ci_u32_e32 v45, vcc_lo, v4, v45, vcc_lo
	global_store_b32 v[44:45], v77, off
.LBB361_159:
	s_or_b32 exec_lo, exec_lo, s16
	s_mov_b32 s16, 0
.LBB361_160:
	s_delay_alu instid0(SALU_CYCLE_1)
	s_and_b32 vcc_lo, exec_lo, s16
	s_cbranch_vccz .LBB361_170
; %bb.161:
	s_mov_b32 s15, exec_lo
	v_cmpx_gt_i16_e32 2, v43
	s_cbranch_execz .LBB361_166
; %bb.162:
	s_mov_b32 s17, 0
	s_mov_b32 s16, exec_lo
	v_cmpx_ne_u16_e32 1, v43
	s_xor_b32 s16, exec_lo, s16
	s_cbranch_execnz .LBB361_242
; %bb.163:
	s_and_not1_saveexec_b32 s0, s16
	s_cbranch_execnz .LBB361_258
.LBB361_164:
	s_or_b32 exec_lo, exec_lo, s0
	s_delay_alu instid0(SALU_CYCLE_1)
	s_and_b32 exec_lo, exec_lo, s17
	s_cbranch_execz .LBB361_166
.LBB361_165:
	v_sub_nc_u32_e32 v9, v63, v3
	s_delay_alu instid0(VALU_DEP_1)
	v_lshlrev_b32_e32 v9, 2, v9
	ds_store_b32 v9, v77
.LBB361_166:
	s_or_b32 exec_lo, exec_lo, s15
	s_delay_alu instid0(SALU_CYCLE_1)
	s_mov_b32 s1, exec_lo
	s_waitcnt lgkmcnt(0)
	s_waitcnt_vscnt null, 0x0
	s_barrier
	buffer_gl0_inv
	v_cmpx_lt_u32_e64 v0, v1
	s_cbranch_execz .LBB361_169
; %bb.167:
	v_dual_mov_b32 v10, 0 :: v_dual_lshlrev_b32 v11, 2, v0
	v_mov_b32_e32 v9, v0
	s_mov_b32 s2, 0
	.p2align	6
.LBB361_168:                            ; =>This Inner Loop Header: Depth=1
	ds_load_b32 v14, v11
	v_lshlrev_b64 v[12:13], 2, v[9:10]
	v_add_nc_u32_e32 v9, 0x100, v9
	v_add_nc_u32_e32 v11, 0x400, v11
	s_delay_alu instid0(VALU_DEP_2) | instskip(NEXT) | instid1(VALU_DEP_4)
	v_cmp_ge_u32_e32 vcc_lo, v9, v1
	v_add_co_u32 v12, s0, v2, v12
	s_delay_alu instid0(VALU_DEP_1)
	v_add_co_ci_u32_e64 v13, s0, v4, v13, s0
	s_or_b32 s2, vcc_lo, s2
	s_waitcnt lgkmcnt(0)
	global_store_b32 v[12:13], v14, off
	s_and_not1_b32 exec_lo, exec_lo, s2
	s_cbranch_execnz .LBB361_168
.LBB361_169:
	s_or_b32 exec_lo, exec_lo, s1
.LBB361_170:
	s_cmpk_lg_i32 s19, 0xf00
	v_cmp_eq_u32_e32 vcc_lo, 0, v0
	s_cselect_b32 s0, -1, 0
	v_cndmask_b32_e64 v4, 0, 1, s20
	s_and_b32 s0, s18, s0
	v_mad_i32_i24 v10, v0, -15, s19
	v_cndmask_b32_e64 v9, 0, 1, s0
	s_mul_hi_u32 s0, s19, 0x88888889
	s_and_b32 s1, vcc_lo, s20
	s_lshr_b32 s0, s0, 3
	v_sub_nc_u32_e32 v2, v1, v4
	v_cndmask_b32_e64 v11, v27, 0, s1
	v_cmp_eq_u32_e32 vcc_lo, s0, v0
	v_cmp_ne_u32_e64 s0, 0, v10
	s_mov_b32 s16, -1
	s_waitcnt_vscnt null, 0x0
	s_barrier
	s_and_b32 vcc_lo, s18, vcc_lo
	v_add_nc_u32_e32 v2, v2, v9
	v_cndmask_b32_e64 v9, 1, v11, s0
	v_cmp_ne_u32_e64 s0, 1, v10
	buffer_gl0_inv
	v_cndmask_b32_e64 v12, 1, v36, s0
	v_cmp_ne_u32_e64 s0, 14, v10
	s_delay_alu instid0(VALU_DEP_2) | instskip(NEXT) | instid1(VALU_DEP_2)
	v_cndmask_b32_e32 v17, v36, v12, vcc_lo
	v_cndmask_b32_e64 v13, 1, v78, s0
	v_cmp_ne_u32_e64 s0, 2, v10
	s_delay_alu instid0(VALU_DEP_3) | instskip(NEXT) | instid1(VALU_DEP_3)
	v_cmp_ne_u32_e64 s13, 0, v17
	v_cndmask_b32_e32 v16, v78, v13, vcc_lo
	s_delay_alu instid0(VALU_DEP_3) | instskip(SKIP_1) | instid1(VALU_DEP_2)
	v_cndmask_b32_e64 v14, 1, v33, s0
	v_cmp_ne_u32_e64 s0, 3, v10
	v_dual_cndmask_b32 v13, v11, v9 :: v_dual_cndmask_b32 v14, v33, v14
	s_delay_alu instid0(VALU_DEP_2) | instskip(SKIP_1) | instid1(VALU_DEP_3)
	v_cndmask_b32_e64 v15, 1, v34, s0
	v_cmp_ne_u32_e64 s0, 4, v10
	v_cmp_ne_u32_e64 s14, 0, v13
	s_delay_alu instid0(VALU_DEP_4) | instskip(NEXT) | instid1(VALU_DEP_3)
	v_cmp_ne_u32_e64 s12, 0, v14
	v_cndmask_b32_e64 v9, 1, v31, s0
	v_cmp_ne_u32_e64 s0, 5, v10
	s_delay_alu instid0(VALU_DEP_1) | instskip(SKIP_1) | instid1(VALU_DEP_2)
	v_cndmask_b32_e64 v11, 1, v32, s0
	v_cmp_eq_u32_e64 s0, 0, v13
	v_cndmask_b32_e32 v27, v32, v11, vcc_lo
	s_delay_alu instid0(VALU_DEP_2) | instskip(SKIP_1) | instid1(VALU_DEP_3)
	v_cndmask_b32_e64 v12, 1, 2, s0
	v_cmp_eq_u32_e64 s0, 0, v17
	v_cmp_ne_u32_e64 s9, 0, v27
	s_delay_alu instid0(VALU_DEP_2) | instskip(SKIP_1) | instid1(VALU_DEP_1)
	v_cndmask_b32_e64 v18, 1, 2, s0
	v_cmp_ne_u32_e64 s0, 6, v10
	v_cndmask_b32_e64 v19, 1, v29, s0
	v_cmp_eq_u32_e64 s0, 0, v14
	s_delay_alu instid0(VALU_DEP_2) | instskip(NEXT) | instid1(VALU_DEP_2)
	v_dual_cndmask_b32 v19, v29, v19 :: v_dual_and_b32 v12, v18, v12
	v_cndmask_b32_e64 v18, 1, 2, s0
	v_cmp_ne_u32_e64 s0, 7, v10
	v_cndmask_b32_e32 v15, v34, v15, vcc_lo
	s_delay_alu instid0(VALU_DEP_4) | instskip(NEXT) | instid1(VALU_DEP_4)
	v_cmp_ne_u32_e64 s8, 0, v19
	v_and_b32_e32 v12, v12, v18
	s_delay_alu instid0(VALU_DEP_4) | instskip(SKIP_2) | instid1(VALU_DEP_2)
	v_cndmask_b32_e64 v20, 1, v30, s0
	v_cmp_ne_u32_e64 s0, 8, v10
	v_cmp_ne_u32_e64 s11, 0, v15
	v_cndmask_b32_e64 v21, 1, v25, s0
	v_cmp_eq_u32_e64 s0, 0, v15
	s_delay_alu instid0(VALU_DEP_1) | instskip(SKIP_2) | instid1(VALU_DEP_3)
	v_cndmask_b32_e64 v18, 1, 2, s0
	v_cndmask_b32_e32 v22, v31, v9, vcc_lo
	v_cmp_ne_u32_e64 s0, 9, v10
	v_and_b32_e32 v11, v12, v18
	s_delay_alu instid0(VALU_DEP_3) | instskip(NEXT) | instid1(VALU_DEP_3)
	v_cmp_ne_u32_e64 s10, 0, v22
	v_cndmask_b32_e64 v9, 1, v26, s0
	v_cmp_eq_u32_e64 s0, 0, v22
	s_delay_alu instid0(VALU_DEP_1) | instskip(SKIP_1) | instid1(VALU_DEP_2)
	v_cndmask_b32_e64 v12, 1, 2, s0
	v_cmp_ne_u32_e64 s0, 10, v10
	v_and_b32_e32 v11, v11, v12
	s_delay_alu instid0(VALU_DEP_2) | instskip(SKIP_1) | instid1(VALU_DEP_2)
	v_cndmask_b32_e64 v18, 1, v23, s0
	v_cmp_ne_u32_e64 s0, 12, v10
	v_dual_cndmask_b32 v21, v25, v21 :: v_dual_cndmask_b32 v18, v23, v18
	s_delay_alu instid0(VALU_DEP_2)
	v_cndmask_b32_e64 v31, 1, v79, s0
	v_cmp_eq_u32_e64 s0, 0, v27
	v_cndmask_b32_e32 v20, v30, v20, vcc_lo
	v_cndmask_b32_e32 v23, v26, v9, vcc_lo
	v_cmp_ne_u32_e64 s6, 0, v21
	v_cmp_ne_u32_e64 s4, 0, v18
	v_cndmask_b32_e64 v12, 1, 2, s0
	v_cmp_ne_u32_e64 s0, 13, v10
	s_delay_alu instid0(VALU_DEP_1) | instskip(SKIP_1) | instid1(VALU_DEP_2)
	v_cndmask_b32_e64 v29, 1, v28, s0
	v_cmp_eq_u32_e64 s0, 0, v19
	v_dual_cndmask_b32 v28, v28, v29 :: v_dual_and_b32 v11, v11, v12
	s_delay_alu instid0(VALU_DEP_2) | instskip(SKIP_4) | instid1(VALU_DEP_4)
	v_cndmask_b32_e64 v12, 1, 2, s0
	v_cmp_ne_u32_e64 s0, 11, v10
	v_cndmask_b32_e32 v29, v79, v31, vcc_lo
	v_cmp_ne_u32_e64 s7, 0, v20
	v_cmp_ne_u32_e64 s1, 0, v28
	v_cndmask_b32_e64 v10, 1, v24, s0
	v_cmp_eq_u32_e64 s0, 0, v20
	v_cmp_ne_u32_e64 s2, 0, v29
	s_delay_alu instid0(VALU_DEP_3) | instskip(NEXT) | instid1(VALU_DEP_3)
	v_dual_cndmask_b32 v24, v24, v10 :: v_dual_and_b32 v11, v11, v12
	v_cndmask_b32_e64 v12, 1, 2, s0
	v_cmp_eq_u32_e32 vcc_lo, 0, v21
	v_cmp_ne_u32_e64 s0, 0, v16
	s_delay_alu instid0(VALU_DEP_4) | instskip(NEXT) | instid1(VALU_DEP_4)
	v_cmp_ne_u32_e64 s3, 0, v24
	v_and_b32_e32 v9, v11, v12
	v_cndmask_b32_e64 v10, 1, 2, vcc_lo
	v_add_co_u32 v11, vcc_lo, s36, v39
	v_add_co_ci_u32_e32 v12, vcc_lo, s37, v40, vcc_lo
	v_cmp_eq_u32_e32 vcc_lo, 0, v23
	s_delay_alu instid0(VALU_DEP_4)
	v_and_b32_e32 v25, v9, v10
	v_cndmask_b32_e64 v26, 1, 2, vcc_lo
	v_add_co_u32 v9, vcc_lo, v11, v41
	v_add_co_ci_u32_e32 v10, vcc_lo, v12, v42, vcc_lo
	v_lshlrev_b32_e32 v11, 2, v4
	v_cmp_eq_u32_e32 vcc_lo, 0, v18
	v_and_b32_e32 v12, v25, v26
	v_add_nc_u32_e32 v4, v3, v4
	v_cmp_ne_u32_e64 s5, 0, v23
	v_cndmask_b32_e64 v25, 1, 2, vcc_lo
	v_add_co_u32 v11, vcc_lo, v11, v9
	v_add_co_ci_u32_e32 v26, vcc_lo, 0, v10, vcc_lo
	v_cmp_eq_u32_e32 vcc_lo, 0, v24
	s_delay_alu instid0(VALU_DEP_4) | instskip(SKIP_4) | instid1(VALU_DEP_4)
	v_and_b32_e32 v25, v12, v25
	v_cndmask_b32_e64 v30, 1, 2, vcc_lo
	v_add_co_u32 v11, vcc_lo, v11, -4
	v_add_co_ci_u32_e32 v12, vcc_lo, -1, v26, vcc_lo
	v_cmp_eq_u32_e32 vcc_lo, 0, v29
	v_and_b32_e32 v25, v25, v30
	v_cndmask_b32_e64 v26, 1, 2, vcc_lo
	v_cmp_eq_u32_e32 vcc_lo, 0, v28
	s_delay_alu instid0(VALU_DEP_2) | instskip(SKIP_2) | instid1(VALU_DEP_2)
	v_and_b32_e32 v13, v25, v26
	v_cndmask_b32_e64 v14, 1, 2, vcc_lo
	v_cmp_eq_u32_e32 vcc_lo, 0, v16
	v_and_b32_e32 v13, v13, v14
	v_cndmask_b32_e64 v14, 1, 2, vcc_lo
	v_cmp_gt_u32_e32 vcc_lo, 0x100, v2
	s_delay_alu instid0(VALU_DEP_2) | instskip(NEXT) | instid1(VALU_DEP_1)
	v_and_b32_e32 v13, v13, v14
	v_cmp_gt_i16_e64 s15, 2, v13
	s_cbranch_vccnz .LBB361_174
; %bb.171:
	s_and_b32 vcc_lo, exec_lo, s16
	s_cbranch_vccnz .LBB361_180
.LBB361_172:
	v_cmp_eq_u32_e32 vcc_lo, 0xff, v0
	s_and_b32 s0, vcc_lo, s18
	s_delay_alu instid0(SALU_CYCLE_1)
	s_and_saveexec_b32 s1, s0
	s_cbranch_execnz .LBB361_189
.LBB361_173:
	s_nop 0
	s_sendmsg sendmsg(MSG_DEALLOC_VGPRS)
	s_endpgm
.LBB361_174:
	s_delay_alu instid0(VALU_DEP_1)
	s_and_saveexec_b32 s16, s15
	s_cbranch_execz .LBB361_179
; %bb.175:
	s_mov_b32 s17, 0
	s_mov_b32 s15, exec_lo
	v_cmpx_ne_u16_e32 1, v13
	s_xor_b32 s15, exec_lo, s15
	s_cbranch_execnz .LBB361_259
; %bb.176:
	s_and_not1_saveexec_b32 s15, s15
	s_cbranch_execnz .LBB361_275
.LBB361_177:
	s_or_b32 exec_lo, exec_lo, s15
	s_delay_alu instid0(SALU_CYCLE_1)
	s_and_b32 exec_lo, exec_lo, s17
	s_cbranch_execz .LBB361_179
.LBB361_178:
	v_sub_nc_u32_e32 v14, v63, v4
	v_mov_b32_e32 v15, 0
	s_delay_alu instid0(VALU_DEP_1) | instskip(NEXT) | instid1(VALU_DEP_1)
	v_lshlrev_b64 v[14:15], 2, v[14:15]
	v_add_co_u32 v14, vcc_lo, v11, v14
	s_delay_alu instid0(VALU_DEP_2)
	v_add_co_ci_u32_e32 v15, vcc_lo, v12, v15, vcc_lo
	global_store_b32 v[14:15], v64, off
.LBB361_179:
	s_or_b32 exec_lo, exec_lo, s16
	s_branch .LBB361_172
.LBB361_180:
	s_mov_b32 s15, exec_lo
	v_cmpx_gt_i16_e32 2, v13
	s_cbranch_execz .LBB361_185
; %bb.181:
	s_mov_b32 s17, 0
	s_mov_b32 s16, exec_lo
	v_cmpx_ne_u16_e32 1, v13
	s_xor_b32 s16, exec_lo, s16
	s_cbranch_execnz .LBB361_276
; %bb.182:
	s_and_not1_saveexec_b32 s0, s16
	s_cbranch_execnz .LBB361_292
.LBB361_183:
	s_or_b32 exec_lo, exec_lo, s0
	s_delay_alu instid0(SALU_CYCLE_1)
	s_and_b32 exec_lo, exec_lo, s17
	s_cbranch_execz .LBB361_185
.LBB361_184:
	v_sub_nc_u32_e32 v4, v63, v4
	s_delay_alu instid0(VALU_DEP_1)
	v_lshlrev_b32_e32 v4, 2, v4
	ds_store_b32 v4, v64
.LBB361_185:
	s_or_b32 exec_lo, exec_lo, s15
	s_delay_alu instid0(SALU_CYCLE_1)
	s_mov_b32 s1, exec_lo
	s_waitcnt lgkmcnt(0)
	s_waitcnt_vscnt null, 0x0
	s_barrier
	buffer_gl0_inv
	v_cmpx_lt_u32_e64 v0, v2
	s_cbranch_execz .LBB361_188
; %bb.186:
	v_dual_mov_b32 v5, 0 :: v_dual_lshlrev_b32 v6, 2, v0
	v_mov_b32_e32 v4, v0
	s_mov_b32 s2, 0
	.p2align	6
.LBB361_187:                            ; =>This Inner Loop Header: Depth=1
	ds_load_b32 v13, v6
	v_lshlrev_b64 v[7:8], 2, v[4:5]
	v_add_nc_u32_e32 v4, 0x100, v4
	v_add_nc_u32_e32 v6, 0x400, v6
	s_delay_alu instid0(VALU_DEP_2) | instskip(NEXT) | instid1(VALU_DEP_4)
	v_cmp_ge_u32_e32 vcc_lo, v4, v2
	v_add_co_u32 v7, s0, v11, v7
	s_delay_alu instid0(VALU_DEP_1)
	v_add_co_ci_u32_e64 v8, s0, v12, v8, s0
	s_or_b32 s2, vcc_lo, s2
	s_waitcnt lgkmcnt(0)
	global_store_b32 v[7:8], v13, off
	s_and_not1_b32 exec_lo, exec_lo, s2
	s_cbranch_execnz .LBB361_187
.LBB361_188:
	s_or_b32 exec_lo, exec_lo, s1
	v_cmp_eq_u32_e32 vcc_lo, 0xff, v0
	s_and_b32 s0, vcc_lo, s18
	s_delay_alu instid0(SALU_CYCLE_1)
	s_and_saveexec_b32 s1, s0
	s_cbranch_execz .LBB361_173
.LBB361_189:
	v_add_co_u32 v0, s0, v1, v3
	s_delay_alu instid0(VALU_DEP_1) | instskip(SKIP_1) | instid1(VALU_DEP_3)
	v_add_co_ci_u32_e64 v4, null, 0, 0, s0
	v_mov_b32_e32 v2, 0
	v_add_co_u32 v3, vcc_lo, v0, v37
	s_delay_alu instid0(VALU_DEP_3)
	v_add_co_ci_u32_e32 v4, vcc_lo, v4, v38, vcc_lo
	s_cmpk_lg_i32 s19, 0xf00
	global_store_b64 v2, v[3:4], s[38:39]
	s_cbranch_scc1 .LBB361_173
; %bb.190:
	v_lshlrev_b64 v[0:1], 2, v[1:2]
	s_delay_alu instid0(VALU_DEP_1) | instskip(NEXT) | instid1(VALU_DEP_2)
	v_add_co_u32 v0, vcc_lo, v9, v0
	v_add_co_ci_u32_e32 v1, vcc_lo, v10, v1, vcc_lo
	global_store_b32 v[0:1], v35, off offset:-4
	s_nop 0
	s_sendmsg sendmsg(MSG_DEALLOC_VGPRS)
	s_endpgm
.LBB361_191:
                                        ; implicit-def: $sgpr2
                                        ; implicit-def: $vgpr78
                                        ; implicit-def: $vgpr2
                                        ; implicit-def: $vgpr79
                                        ; implicit-def: $vgpr24
                                        ; implicit-def: $vgpr23
                                        ; implicit-def: $vgpr26
                                        ; implicit-def: $vgpr25
                                        ; implicit-def: $vgpr30
                                        ; implicit-def: $vgpr29
                                        ; implicit-def: $vgpr32
                                        ; implicit-def: $vgpr31
                                        ; implicit-def: $vgpr34
                                        ; implicit-def: $vgpr33
                                        ; implicit-def: $vgpr36
	s_cbranch_execz .LBB361_110
; %bb.192:
	v_dual_mov_b32 v28, 0 :: v_dual_lshlrev_b32 v1, 2, v0
	v_mov_b32_e32 v78, 0
	s_mov_b32 s2, exec_lo
	ds_store_b32 v1, v77
	v_cmpx_gt_u64_e64 s[0:1], v[27:28]
	s_cbranch_execz .LBB361_194
; %bb.193:
	v_mul_hi_i32 v2, 0x66666667, v10
	v_mul_hi_i32 v4, 0x66666667, v77
	s_waitcnt lgkmcnt(1)
	s_delay_alu instid0(VALU_DEP_2) | instskip(SKIP_1) | instid1(VALU_DEP_3)
	v_lshrrev_b32_e32 v5, 31, v2
	v_ashrrev_i32_e32 v2, 2, v2
	v_lshrrev_b32_e32 v6, 31, v4
	v_ashrrev_i32_e32 v4, 2, v4
	s_delay_alu instid0(VALU_DEP_3) | instskip(NEXT) | instid1(VALU_DEP_2)
	v_add_nc_u32_e32 v2, v2, v5
	v_add_nc_u32_e32 v4, v4, v6
	s_delay_alu instid0(VALU_DEP_1)
	v_cmp_ne_u32_e32 vcc_lo, v2, v4
	v_cndmask_b32_e64 v78, 0, 1, vcc_lo
.LBB361_194:
	s_or_b32 exec_lo, exec_lo, s2
	v_add_nc_u32_e32 v27, 13, v3
	s_mov_b32 s2, exec_lo
	s_delay_alu instid0(VALU_DEP_1)
	v_cmpx_gt_u64_e64 s[0:1], v[27:28]
	s_cbranch_execz .LBB361_196
; %bb.195:
	v_mul_hi_i32 v2, 0x66666667, v9
	v_mul_hi_i32 v4, 0x66666667, v10
	s_waitcnt lgkmcnt(1)
	s_delay_alu instid0(VALU_DEP_2) | instskip(SKIP_1) | instid1(VALU_DEP_3)
	v_lshrrev_b32_e32 v5, 31, v2
	v_ashrrev_i32_e32 v2, 2, v2
	v_lshrrev_b32_e32 v6, 31, v4
	v_ashrrev_i32_e32 v4, 2, v4
	s_delay_alu instid0(VALU_DEP_3) | instskip(NEXT) | instid1(VALU_DEP_2)
	v_add_nc_u32_e32 v2, v2, v5
	v_add_nc_u32_e32 v4, v4, v6
	s_delay_alu instid0(VALU_DEP_1)
	v_cmp_ne_u32_e32 vcc_lo, v2, v4
	v_cndmask_b32_e64 v28, 0, 1, vcc_lo
.LBB361_196:
	s_or_b32 exec_lo, exec_lo, s2
	v_dual_mov_b32 v24, 0 :: v_dual_add_nc_u32 v23, 12, v3
	v_mov_b32_e32 v79, 0
	s_mov_b32 s2, exec_lo
	s_delay_alu instid0(VALU_DEP_2)
	v_cmpx_gt_u64_e64 s[0:1], v[23:24]
	s_cbranch_execz .LBB361_198
; %bb.197:
	v_mul_hi_i32 v2, 0x66666667, v12
	v_mul_hi_i32 v4, 0x66666667, v9
	s_waitcnt lgkmcnt(1)
	s_delay_alu instid0(VALU_DEP_2) | instskip(SKIP_1) | instid1(VALU_DEP_3)
	v_lshrrev_b32_e32 v5, 31, v2
	v_ashrrev_i32_e32 v2, 2, v2
	v_lshrrev_b32_e32 v6, 31, v4
	v_ashrrev_i32_e32 v4, 2, v4
	s_delay_alu instid0(VALU_DEP_3) | instskip(NEXT) | instid1(VALU_DEP_2)
	v_add_nc_u32_e32 v2, v2, v5
	v_add_nc_u32_e32 v4, v4, v6
	s_delay_alu instid0(VALU_DEP_1)
	v_cmp_ne_u32_e32 vcc_lo, v2, v4
	v_cndmask_b32_e64 v79, 0, 1, vcc_lo
.LBB361_198:
	s_or_b32 exec_lo, exec_lo, s2
	v_add_nc_u32_e32 v23, 11, v3
	s_mov_b32 s2, exec_lo
	s_delay_alu instid0(VALU_DEP_1)
	v_cmpx_gt_u64_e64 s[0:1], v[23:24]
	s_cbranch_execz .LBB361_200
; %bb.199:
	v_mul_hi_i32 v2, 0x66666667, v11
	v_mul_hi_i32 v4, 0x66666667, v12
	s_waitcnt lgkmcnt(1)
	s_delay_alu instid0(VALU_DEP_2) | instskip(SKIP_1) | instid1(VALU_DEP_3)
	v_lshrrev_b32_e32 v5, 31, v2
	v_ashrrev_i32_e32 v2, 2, v2
	v_lshrrev_b32_e32 v6, 31, v4
	v_ashrrev_i32_e32 v4, 2, v4
	s_delay_alu instid0(VALU_DEP_3) | instskip(NEXT) | instid1(VALU_DEP_2)
	v_add_nc_u32_e32 v2, v2, v5
	v_add_nc_u32_e32 v4, v4, v6
	s_delay_alu instid0(VALU_DEP_1)
	v_cmp_ne_u32_e32 vcc_lo, v2, v4
	v_cndmask_b32_e64 v24, 0, 1, vcc_lo
.LBB361_200:
	s_or_b32 exec_lo, exec_lo, s2
	v_dual_mov_b32 v26, 0 :: v_dual_add_nc_u32 v25, 10, v3
	v_mov_b32_e32 v23, 0
	s_mov_b32 s2, exec_lo
	s_delay_alu instid0(VALU_DEP_2)
	;; [unrolled: 45-line block ×6, first 2 shown]
	v_cmpx_gt_u64_e64 s[0:1], v[35:36]
	s_cbranch_execz .LBB361_218
; %bb.217:
	v_mul_hi_i32 v2, 0x66666667, v22
	v_mul_hi_i32 v4, 0x66666667, v19
	s_waitcnt lgkmcnt(1)
	s_delay_alu instid0(VALU_DEP_2) | instskip(SKIP_1) | instid1(VALU_DEP_3)
	v_lshrrev_b32_e32 v5, 31, v2
	v_ashrrev_i32_e32 v2, 2, v2
	v_lshrrev_b32_e32 v6, 31, v4
	v_ashrrev_i32_e32 v4, 2, v4
	s_delay_alu instid0(VALU_DEP_3) | instskip(NEXT) | instid1(VALU_DEP_2)
	v_add_nc_u32_e32 v2, v2, v5
	v_add_nc_u32_e32 v4, v4, v6
	s_delay_alu instid0(VALU_DEP_1)
	v_cmp_ne_u32_e32 vcc_lo, v2, v4
	v_cndmask_b32_e64 v33, 0, 1, vcc_lo
.LBB361_218:
	s_or_b32 exec_lo, exec_lo, s2
	v_add_nc_u32_e32 v35, 1, v3
	s_mov_b32 s2, exec_lo
	s_delay_alu instid0(VALU_DEP_1)
	v_cmpx_gt_u64_e64 s[0:1], v[35:36]
	s_cbranch_execz .LBB361_220
; %bb.219:
	v_mul_hi_i32 v2, 0x66666667, v21
	v_mul_hi_i32 v4, 0x66666667, v22
	s_waitcnt lgkmcnt(1)
	s_delay_alu instid0(VALU_DEP_2) | instskip(SKIP_1) | instid1(VALU_DEP_3)
	v_lshrrev_b32_e32 v5, 31, v2
	v_ashrrev_i32_e32 v2, 2, v2
	v_lshrrev_b32_e32 v6, 31, v4
	v_ashrrev_i32_e32 v4, 2, v4
	s_delay_alu instid0(VALU_DEP_3) | instskip(NEXT) | instid1(VALU_DEP_2)
	v_add_nc_u32_e32 v2, v2, v5
	v_add_nc_u32_e32 v4, v4, v6
	s_delay_alu instid0(VALU_DEP_1)
	v_cmp_ne_u32_e32 vcc_lo, v2, v4
	v_cndmask_b32_e64 v36, 0, 1, vcc_lo
.LBB361_220:
	s_or_b32 exec_lo, exec_lo, s2
	s_mov_b32 s4, 0
	s_mov_b32 s3, exec_lo
	s_waitcnt lgkmcnt(0)
	s_barrier
	buffer_gl0_inv
                                        ; implicit-def: $sgpr2
	v_cmpx_ne_u32_e32 0, v0
	s_cbranch_execz .LBB361_224
; %bb.221:
	v_mov_b32_e32 v4, 0
	s_delay_alu instid0(VALU_DEP_1)
	v_cmp_gt_u64_e32 vcc_lo, s[0:1], v[3:4]
	s_and_saveexec_b32 s0, vcc_lo
	s_cbranch_execz .LBB361_223
; %bb.222:
	v_add_nc_u32_e32 v1, -4, v1
	v_mul_hi_i32 v2, 0x66666667, v21
	ds_load_b32 v1, v1
	v_lshrrev_b32_e32 v3, 31, v2
	v_ashrrev_i32_e32 v2, 2, v2
	s_delay_alu instid0(VALU_DEP_1) | instskip(SKIP_2) | instid1(VALU_DEP_1)
	v_add_nc_u32_e32 v2, v2, v3
	s_waitcnt lgkmcnt(0)
	v_mul_hi_i32 v1, 0x66666667, v1
	v_lshrrev_b32_e32 v4, 31, v1
	v_ashrrev_i32_e32 v1, 2, v1
	s_delay_alu instid0(VALU_DEP_1) | instskip(NEXT) | instid1(VALU_DEP_1)
	v_add_nc_u32_e32 v1, v1, v4
	v_cmp_ne_u32_e32 vcc_lo, v1, v2
	s_and_b32 s4, vcc_lo, exec_lo
.LBB361_223:
	s_or_b32 exec_lo, exec_lo, s0
	s_delay_alu instid0(SALU_CYCLE_1)
	s_and_b32 s2, s4, exec_lo
	s_or_b32 s28, s28, exec_lo
.LBB361_224:
	s_or_b32 exec_lo, exec_lo, s3
	v_mov_b32_e32 v2, v28
	s_mov_b32 s0, 1
	s_delay_alu instid0(SALU_CYCLE_1)
	v_mov_b32_e32 v27, s0
	s_and_saveexec_b32 s0, s28
	s_cbranch_execnz .LBB361_112
	s_branch .LBB361_113
.LBB361_225:
	s_and_saveexec_b32 s17, s14
	s_cbranch_execnz .LBB361_293
; %bb.226:
	s_or_b32 exec_lo, exec_lo, s17
	s_and_saveexec_b32 s17, s13
	s_cbranch_execnz .LBB361_294
.LBB361_227:
	s_or_b32 exec_lo, exec_lo, s17
	s_and_saveexec_b32 s17, s12
	s_cbranch_execnz .LBB361_295
.LBB361_228:
	s_or_b32 exec_lo, exec_lo, s17
	s_and_saveexec_b32 s17, s11
	s_cbranch_execnz .LBB361_296
.LBB361_229:
	s_or_b32 exec_lo, exec_lo, s17
	s_and_saveexec_b32 s17, s10
	s_cbranch_execnz .LBB361_297
.LBB361_230:
	s_or_b32 exec_lo, exec_lo, s17
	s_and_saveexec_b32 s17, s9
	s_cbranch_execnz .LBB361_298
.LBB361_231:
	s_or_b32 exec_lo, exec_lo, s17
	s_and_saveexec_b32 s17, s7
	s_cbranch_execnz .LBB361_299
.LBB361_232:
	s_or_b32 exec_lo, exec_lo, s17
	s_and_saveexec_b32 s17, s5
	s_cbranch_execnz .LBB361_300
.LBB361_233:
	s_or_b32 exec_lo, exec_lo, s17
	s_and_saveexec_b32 s17, s8
	s_cbranch_execnz .LBB361_301
.LBB361_234:
	s_or_b32 exec_lo, exec_lo, s17
	s_and_saveexec_b32 s17, s6
	s_cbranch_execnz .LBB361_302
.LBB361_235:
	s_or_b32 exec_lo, exec_lo, s17
	s_and_saveexec_b32 s17, s4
	s_cbranch_execnz .LBB361_303
.LBB361_236:
	s_or_b32 exec_lo, exec_lo, s17
	s_and_saveexec_b32 s17, s3
	s_cbranch_execnz .LBB361_304
.LBB361_237:
	s_or_b32 exec_lo, exec_lo, s17
	s_and_saveexec_b32 s17, s2
	s_cbranch_execnz .LBB361_305
.LBB361_238:
	s_or_b32 exec_lo, exec_lo, s17
	s_and_saveexec_b32 s17, s1
	s_cbranch_execz .LBB361_240
.LBB361_239:
	v_sub_nc_u32_e32 v44, v71, v3
	v_mov_b32_e32 v45, 0
	s_delay_alu instid0(VALU_DEP_1) | instskip(NEXT) | instid1(VALU_DEP_1)
	v_lshlrev_b64 v[44:45], 2, v[44:45]
	v_add_co_u32 v44, vcc_lo, v2, v44
	s_delay_alu instid0(VALU_DEP_2)
	v_add_co_ci_u32_e32 v45, vcc_lo, v4, v45, vcc_lo
	global_store_b32 v[44:45], v10, off
.LBB361_240:
	s_or_b32 exec_lo, exec_lo, s17
	s_delay_alu instid0(SALU_CYCLE_1)
	s_and_b32 s17, s0, exec_lo
	s_and_not1_saveexec_b32 s15, s15
	s_cbranch_execz .LBB361_157
.LBB361_241:
	v_sub_nc_u32_e32 v44, v67, v3
	v_mov_b32_e32 v45, 0
	s_or_b32 s17, s17, exec_lo
	s_delay_alu instid0(VALU_DEP_1) | instskip(SKIP_1) | instid1(VALU_DEP_1)
	v_lshlrev_b64 v[46:47], 2, v[44:45]
	v_sub_nc_u32_e32 v44, v73, v3
	v_lshlrev_b64 v[48:49], 2, v[44:45]
	v_sub_nc_u32_e32 v44, v69, v3
	s_delay_alu instid0(VALU_DEP_4) | instskip(SKIP_1) | instid1(VALU_DEP_3)
	v_add_co_u32 v46, vcc_lo, v2, v46
	v_add_co_ci_u32_e32 v47, vcc_lo, v4, v47, vcc_lo
	v_lshlrev_b64 v[80:81], 2, v[44:45]
	v_sub_nc_u32_e32 v44, v65, v3
	v_add_co_u32 v48, vcc_lo, v2, v48
	v_add_co_ci_u32_e32 v49, vcc_lo, v4, v49, vcc_lo
	global_store_b32 v[46:47], v21, off
	v_lshlrev_b64 v[46:47], 2, v[44:45]
	v_sub_nc_u32_e32 v44, v59, v3
	global_store_b32 v[48:49], v22, off
	v_add_co_u32 v48, vcc_lo, v2, v80
	v_add_co_ci_u32_e32 v49, vcc_lo, v4, v81, vcc_lo
	v_lshlrev_b64 v[80:81], 2, v[44:45]
	v_sub_nc_u32_e32 v44, v55, v3
	v_add_co_u32 v46, vcc_lo, v2, v46
	v_add_co_ci_u32_e32 v47, vcc_lo, v4, v47, vcc_lo
	s_delay_alu instid0(VALU_DEP_3) | instskip(SKIP_3) | instid1(VALU_DEP_3)
	v_lshlrev_b64 v[82:83], 2, v[44:45]
	v_sub_nc_u32_e32 v44, v53, v3
	v_add_co_u32 v80, vcc_lo, v2, v80
	v_add_co_ci_u32_e32 v81, vcc_lo, v4, v81, vcc_lo
	v_lshlrev_b64 v[84:85], 2, v[44:45]
	v_sub_nc_u32_e32 v44, v57, v3
	v_add_co_u32 v82, vcc_lo, v2, v82
	v_add_co_ci_u32_e32 v83, vcc_lo, v4, v83, vcc_lo
	s_clause 0x3
	global_store_b32 v[48:49], v19, off
	global_store_b32 v[46:47], v20, off
	;; [unrolled: 1-line block ×4, first 2 shown]
	v_lshlrev_b64 v[46:47], 2, v[44:45]
	v_sub_nc_u32_e32 v44, v61, v3
	v_add_co_u32 v48, vcc_lo, v2, v84
	v_add_co_ci_u32_e32 v49, vcc_lo, v4, v85, vcc_lo
	s_delay_alu instid0(VALU_DEP_3) | instskip(SKIP_3) | instid1(VALU_DEP_3)
	v_lshlrev_b64 v[80:81], 2, v[44:45]
	v_sub_nc_u32_e32 v44, v5, v3
	v_add_co_u32 v46, vcc_lo, v2, v46
	v_add_co_ci_u32_e32 v47, vcc_lo, v4, v47, vcc_lo
	v_lshlrev_b64 v[82:83], 2, v[44:45]
	v_sub_nc_u32_e32 v44, v7, v3
	v_add_co_u32 v80, vcc_lo, v2, v80
	v_add_co_ci_u32_e32 v81, vcc_lo, v4, v81, vcc_lo
	s_delay_alu instid0(VALU_DEP_3)
	v_lshlrev_b64 v[84:85], 2, v[44:45]
	v_sub_nc_u32_e32 v44, v51, v3
	v_add_co_u32 v82, vcc_lo, v2, v82
	v_add_co_ci_u32_e32 v83, vcc_lo, v4, v83, vcc_lo
	s_clause 0x3
	global_store_b32 v[48:49], v15, off
	global_store_b32 v[46:47], v16, off
	;; [unrolled: 1-line block ×4, first 2 shown]
	v_lshlrev_b64 v[46:47], 2, v[44:45]
	v_sub_nc_u32_e32 v44, v75, v3
	v_add_co_u32 v48, vcc_lo, v2, v84
	v_add_co_ci_u32_e32 v49, vcc_lo, v4, v85, vcc_lo
	s_delay_alu instid0(VALU_DEP_3) | instskip(SKIP_3) | instid1(VALU_DEP_3)
	v_lshlrev_b64 v[80:81], 2, v[44:45]
	v_sub_nc_u32_e32 v44, v71, v3
	v_add_co_u32 v46, vcc_lo, v2, v46
	v_add_co_ci_u32_e32 v47, vcc_lo, v4, v47, vcc_lo
	v_lshlrev_b64 v[44:45], 2, v[44:45]
	v_add_co_u32 v80, vcc_lo, v2, v80
	v_add_co_ci_u32_e32 v81, vcc_lo, v4, v81, vcc_lo
	s_clause 0x2
	global_store_b32 v[48:49], v11, off
	global_store_b32 v[46:47], v12, off
	;; [unrolled: 1-line block ×3, first 2 shown]
	v_add_co_u32 v44, vcc_lo, v2, v44
	v_add_co_ci_u32_e32 v45, vcc_lo, v4, v45, vcc_lo
	global_store_b32 v[44:45], v10, off
	s_or_b32 exec_lo, exec_lo, s15
	s_delay_alu instid0(SALU_CYCLE_1)
	s_and_b32 exec_lo, exec_lo, s17
	s_cbranch_execnz .LBB361_158
	s_branch .LBB361_159
.LBB361_242:
	s_and_saveexec_b32 s17, s14
	s_cbranch_execnz .LBB361_306
; %bb.243:
	s_or_b32 exec_lo, exec_lo, s17
	s_and_saveexec_b32 s14, s13
	s_cbranch_execnz .LBB361_307
.LBB361_244:
	s_or_b32 exec_lo, exec_lo, s14
	s_and_saveexec_b32 s13, s12
	s_cbranch_execnz .LBB361_308
.LBB361_245:
	s_or_b32 exec_lo, exec_lo, s13
	s_and_saveexec_b32 s12, s11
	s_cbranch_execnz .LBB361_309
.LBB361_246:
	s_or_b32 exec_lo, exec_lo, s12
	s_and_saveexec_b32 s11, s10
	s_cbranch_execnz .LBB361_310
.LBB361_247:
	s_or_b32 exec_lo, exec_lo, s11
	s_and_saveexec_b32 s10, s9
	s_cbranch_execnz .LBB361_311
.LBB361_248:
	s_or_b32 exec_lo, exec_lo, s10
	s_and_saveexec_b32 s9, s7
	s_cbranch_execnz .LBB361_312
.LBB361_249:
	s_or_b32 exec_lo, exec_lo, s9
	s_and_saveexec_b32 s7, s5
	s_cbranch_execnz .LBB361_313
.LBB361_250:
	s_or_b32 exec_lo, exec_lo, s7
	s_and_saveexec_b32 s5, s8
	s_cbranch_execnz .LBB361_314
.LBB361_251:
	s_or_b32 exec_lo, exec_lo, s5
	s_and_saveexec_b32 s5, s6
	s_cbranch_execnz .LBB361_315
.LBB361_252:
	s_or_b32 exec_lo, exec_lo, s5
	s_and_saveexec_b32 s5, s4
	s_cbranch_execnz .LBB361_316
.LBB361_253:
	s_or_b32 exec_lo, exec_lo, s5
	s_and_saveexec_b32 s4, s3
	s_cbranch_execnz .LBB361_317
.LBB361_254:
	s_or_b32 exec_lo, exec_lo, s4
	s_and_saveexec_b32 s3, s2
	s_cbranch_execnz .LBB361_318
.LBB361_255:
	s_or_b32 exec_lo, exec_lo, s3
	s_and_saveexec_b32 s2, s1
	s_cbranch_execz .LBB361_257
.LBB361_256:
	v_sub_nc_u32_e32 v9, v71, v3
	s_delay_alu instid0(VALU_DEP_1)
	v_lshlrev_b32_e32 v9, 2, v9
	ds_store_b32 v9, v10
.LBB361_257:
	s_or_b32 exec_lo, exec_lo, s2
	s_delay_alu instid0(SALU_CYCLE_1)
	s_and_b32 s17, s0, exec_lo
                                        ; implicit-def: $vgpr21
                                        ; implicit-def: $vgpr19
                                        ; implicit-def: $vgpr17
                                        ; implicit-def: $vgpr15
                                        ; implicit-def: $vgpr13
                                        ; implicit-def: $vgpr11
                                        ; implicit-def: $vgpr9
	s_and_not1_saveexec_b32 s0, s16
	s_cbranch_execz .LBB361_164
.LBB361_258:
	v_sub_nc_u32_e32 v43, v67, v3
	v_sub_nc_u32_e32 v46, v65, v3
	;; [unrolled: 1-line block ×4, first 2 shown]
	s_or_b32 s17, s17, exec_lo
	v_lshlrev_b32_e32 v43, 2, v43
	v_lshlrev_b32_e32 v46, 2, v46
	;; [unrolled: 1-line block ×4, first 2 shown]
	ds_store_b32 v43, v21
	ds_store_b32 v44, v22
	;; [unrolled: 1-line block ×3, first 2 shown]
	v_sub_nc_u32_e32 v19, v59, v3
	ds_store_b32 v46, v20
	v_sub_nc_u32_e32 v20, v55, v3
	v_sub_nc_u32_e32 v21, v53, v3
	;; [unrolled: 1-line block ×3, first 2 shown]
	v_lshlrev_b32_e32 v19, 2, v19
	v_sub_nc_u32_e32 v43, v61, v3
	v_lshlrev_b32_e32 v20, 2, v20
	v_lshlrev_b32_e32 v21, 2, v21
	;; [unrolled: 1-line block ×3, first 2 shown]
	ds_store_b32 v19, v17
	v_lshlrev_b32_e32 v17, 2, v43
	ds_store_b32 v20, v18
	ds_store_b32 v21, v15
	;; [unrolled: 1-line block ×3, first 2 shown]
	v_sub_nc_u32_e32 v15, v5, v3
	v_sub_nc_u32_e32 v18, v71, v3
	;; [unrolled: 1-line block ×3, first 2 shown]
	ds_store_b32 v17, v13
	v_sub_nc_u32_e32 v13, v7, v3
	v_lshlrev_b32_e32 v15, 2, v15
	v_sub_nc_u32_e32 v17, v75, v3
	v_lshlrev_b32_e32 v16, 2, v16
	s_delay_alu instid0(VALU_DEP_4)
	v_lshlrev_b32_e32 v13, 2, v13
	ds_store_b32 v15, v14
	v_lshlrev_b32_e32 v14, 2, v18
	v_lshlrev_b32_e32 v17, 2, v17
	ds_store_b32 v13, v11
	ds_store_b32 v16, v12
	;; [unrolled: 1-line block ×4, first 2 shown]
	s_or_b32 exec_lo, exec_lo, s0
	s_delay_alu instid0(SALU_CYCLE_1)
	s_and_b32 exec_lo, exec_lo, s17
	s_cbranch_execnz .LBB361_165
	s_branch .LBB361_166
.LBB361_259:
	s_and_saveexec_b32 s17, s14
	s_cbranch_execnz .LBB361_319
; %bb.260:
	s_or_b32 exec_lo, exec_lo, s17
	s_and_saveexec_b32 s17, s13
	s_cbranch_execnz .LBB361_320
.LBB361_261:
	s_or_b32 exec_lo, exec_lo, s17
	s_and_saveexec_b32 s17, s12
	s_cbranch_execnz .LBB361_321
.LBB361_262:
	s_or_b32 exec_lo, exec_lo, s17
	s_and_saveexec_b32 s17, s11
	s_cbranch_execnz .LBB361_322
.LBB361_263:
	s_or_b32 exec_lo, exec_lo, s17
	s_and_saveexec_b32 s17, s10
	s_cbranch_execnz .LBB361_323
.LBB361_264:
	s_or_b32 exec_lo, exec_lo, s17
	s_and_saveexec_b32 s17, s9
	s_cbranch_execnz .LBB361_324
.LBB361_265:
	s_or_b32 exec_lo, exec_lo, s17
	s_and_saveexec_b32 s17, s8
	s_cbranch_execnz .LBB361_325
.LBB361_266:
	s_or_b32 exec_lo, exec_lo, s17
	s_and_saveexec_b32 s17, s7
	s_cbranch_execnz .LBB361_326
.LBB361_267:
	s_or_b32 exec_lo, exec_lo, s17
	s_and_saveexec_b32 s17, s6
	s_cbranch_execnz .LBB361_327
.LBB361_268:
	s_or_b32 exec_lo, exec_lo, s17
	s_and_saveexec_b32 s17, s5
	s_cbranch_execnz .LBB361_328
.LBB361_269:
	s_or_b32 exec_lo, exec_lo, s17
	s_and_saveexec_b32 s17, s4
	s_cbranch_execnz .LBB361_329
.LBB361_270:
	s_or_b32 exec_lo, exec_lo, s17
	s_and_saveexec_b32 s17, s3
	s_cbranch_execnz .LBB361_330
.LBB361_271:
	s_or_b32 exec_lo, exec_lo, s17
	s_and_saveexec_b32 s17, s2
	s_cbranch_execnz .LBB361_331
.LBB361_272:
	s_or_b32 exec_lo, exec_lo, s17
	s_and_saveexec_b32 s17, s1
	s_cbranch_execz .LBB361_274
.LBB361_273:
	v_sub_nc_u32_e32 v14, v71, v4
	v_mov_b32_e32 v15, 0
	s_delay_alu instid0(VALU_DEP_1) | instskip(NEXT) | instid1(VALU_DEP_1)
	v_lshlrev_b64 v[14:15], 2, v[14:15]
	v_add_co_u32 v14, vcc_lo, v11, v14
	s_delay_alu instid0(VALU_DEP_2)
	v_add_co_ci_u32_e32 v15, vcc_lo, v12, v15, vcc_lo
	global_store_b32 v[14:15], v72, off
.LBB361_274:
	s_or_b32 exec_lo, exec_lo, s17
	s_delay_alu instid0(SALU_CYCLE_1)
	s_and_b32 s17, s0, exec_lo
	s_and_not1_saveexec_b32 s15, s15
	s_cbranch_execz .LBB361_177
.LBB361_275:
	v_sub_nc_u32_e32 v14, v67, v4
	v_mov_b32_e32 v15, 0
	s_or_b32 s17, s17, exec_lo
	s_delay_alu instid0(VALU_DEP_1) | instskip(SKIP_1) | instid1(VALU_DEP_1)
	v_lshlrev_b64 v[16:17], 2, v[14:15]
	v_sub_nc_u32_e32 v14, v73, v4
	v_lshlrev_b64 v[18:19], 2, v[14:15]
	v_sub_nc_u32_e32 v14, v69, v4
	s_delay_alu instid0(VALU_DEP_4) | instskip(SKIP_1) | instid1(VALU_DEP_3)
	v_add_co_u32 v16, vcc_lo, v11, v16
	v_add_co_ci_u32_e32 v17, vcc_lo, v12, v17, vcc_lo
	v_lshlrev_b64 v[20:21], 2, v[14:15]
	v_sub_nc_u32_e32 v14, v65, v4
	v_add_co_u32 v18, vcc_lo, v11, v18
	v_add_co_ci_u32_e32 v19, vcc_lo, v12, v19, vcc_lo
	global_store_b32 v[16:17], v68, off
	v_lshlrev_b64 v[16:17], 2, v[14:15]
	v_sub_nc_u32_e32 v14, v59, v4
	global_store_b32 v[18:19], v74, off
	v_add_co_u32 v18, vcc_lo, v11, v20
	v_add_co_ci_u32_e32 v19, vcc_lo, v12, v21, vcc_lo
	v_lshlrev_b64 v[20:21], 2, v[14:15]
	v_sub_nc_u32_e32 v14, v55, v4
	v_add_co_u32 v16, vcc_lo, v11, v16
	v_add_co_ci_u32_e32 v17, vcc_lo, v12, v17, vcc_lo
	s_delay_alu instid0(VALU_DEP_3) | instskip(SKIP_3) | instid1(VALU_DEP_3)
	v_lshlrev_b64 v[22:23], 2, v[14:15]
	v_sub_nc_u32_e32 v14, v53, v4
	v_add_co_u32 v20, vcc_lo, v11, v20
	v_add_co_ci_u32_e32 v21, vcc_lo, v12, v21, vcc_lo
	v_lshlrev_b64 v[24:25], 2, v[14:15]
	v_sub_nc_u32_e32 v14, v57, v4
	v_add_co_u32 v22, vcc_lo, v11, v22
	v_add_co_ci_u32_e32 v23, vcc_lo, v12, v23, vcc_lo
	s_clause 0x3
	global_store_b32 v[18:19], v70, off
	global_store_b32 v[16:17], v66, off
	;; [unrolled: 1-line block ×4, first 2 shown]
	v_lshlrev_b64 v[16:17], 2, v[14:15]
	v_sub_nc_u32_e32 v14, v61, v4
	v_add_co_u32 v18, vcc_lo, v11, v24
	v_add_co_ci_u32_e32 v19, vcc_lo, v12, v25, vcc_lo
	s_delay_alu instid0(VALU_DEP_3) | instskip(SKIP_3) | instid1(VALU_DEP_3)
	v_lshlrev_b64 v[20:21], 2, v[14:15]
	v_sub_nc_u32_e32 v14, v5, v4
	v_add_co_u32 v16, vcc_lo, v11, v16
	v_add_co_ci_u32_e32 v17, vcc_lo, v12, v17, vcc_lo
	v_lshlrev_b64 v[22:23], 2, v[14:15]
	v_sub_nc_u32_e32 v14, v7, v4
	v_add_co_u32 v20, vcc_lo, v11, v20
	v_add_co_ci_u32_e32 v21, vcc_lo, v12, v21, vcc_lo
	s_delay_alu instid0(VALU_DEP_3)
	v_lshlrev_b64 v[24:25], 2, v[14:15]
	v_sub_nc_u32_e32 v14, v51, v4
	v_add_co_u32 v22, vcc_lo, v11, v22
	v_add_co_ci_u32_e32 v23, vcc_lo, v12, v23, vcc_lo
	s_clause 0x3
	global_store_b32 v[18:19], v54, off
	global_store_b32 v[16:17], v58, off
	global_store_b32 v[20:21], v62, off
	global_store_b32 v[22:23], v6, off
	v_lshlrev_b64 v[16:17], 2, v[14:15]
	v_sub_nc_u32_e32 v14, v75, v4
	v_add_co_u32 v18, vcc_lo, v11, v24
	v_add_co_ci_u32_e32 v19, vcc_lo, v12, v25, vcc_lo
	s_delay_alu instid0(VALU_DEP_3) | instskip(SKIP_3) | instid1(VALU_DEP_3)
	v_lshlrev_b64 v[20:21], 2, v[14:15]
	v_sub_nc_u32_e32 v14, v71, v4
	v_add_co_u32 v16, vcc_lo, v11, v16
	v_add_co_ci_u32_e32 v17, vcc_lo, v12, v17, vcc_lo
	v_lshlrev_b64 v[14:15], 2, v[14:15]
	v_add_co_u32 v20, vcc_lo, v11, v20
	v_add_co_ci_u32_e32 v21, vcc_lo, v12, v21, vcc_lo
	s_clause 0x2
	global_store_b32 v[18:19], v8, off
	global_store_b32 v[16:17], v52, off
	;; [unrolled: 1-line block ×3, first 2 shown]
	v_add_co_u32 v14, vcc_lo, v11, v14
	v_add_co_ci_u32_e32 v15, vcc_lo, v12, v15, vcc_lo
	global_store_b32 v[14:15], v72, off
	s_or_b32 exec_lo, exec_lo, s15
	s_delay_alu instid0(SALU_CYCLE_1)
	s_and_b32 exec_lo, exec_lo, s17
	s_cbranch_execnz .LBB361_178
	s_branch .LBB361_179
.LBB361_276:
	s_and_saveexec_b32 s17, s14
	s_cbranch_execnz .LBB361_332
; %bb.277:
	s_or_b32 exec_lo, exec_lo, s17
	s_and_saveexec_b32 s14, s13
	s_cbranch_execnz .LBB361_333
.LBB361_278:
	s_or_b32 exec_lo, exec_lo, s14
	s_and_saveexec_b32 s13, s12
	s_cbranch_execnz .LBB361_334
.LBB361_279:
	s_or_b32 exec_lo, exec_lo, s13
	s_and_saveexec_b32 s12, s11
	s_cbranch_execnz .LBB361_335
.LBB361_280:
	s_or_b32 exec_lo, exec_lo, s12
	s_and_saveexec_b32 s11, s10
	s_cbranch_execnz .LBB361_336
.LBB361_281:
	s_or_b32 exec_lo, exec_lo, s11
	s_and_saveexec_b32 s10, s9
	s_cbranch_execnz .LBB361_337
.LBB361_282:
	s_or_b32 exec_lo, exec_lo, s10
	s_and_saveexec_b32 s9, s8
	s_cbranch_execnz .LBB361_338
.LBB361_283:
	s_or_b32 exec_lo, exec_lo, s9
	s_and_saveexec_b32 s8, s7
	s_cbranch_execnz .LBB361_339
.LBB361_284:
	s_or_b32 exec_lo, exec_lo, s8
	s_and_saveexec_b32 s7, s6
	s_cbranch_execnz .LBB361_340
.LBB361_285:
	s_or_b32 exec_lo, exec_lo, s7
	s_and_saveexec_b32 s6, s5
	s_cbranch_execnz .LBB361_341
.LBB361_286:
	s_or_b32 exec_lo, exec_lo, s6
	s_and_saveexec_b32 s5, s4
	s_cbranch_execnz .LBB361_342
.LBB361_287:
	s_or_b32 exec_lo, exec_lo, s5
	s_and_saveexec_b32 s4, s3
	s_cbranch_execnz .LBB361_343
.LBB361_288:
	s_or_b32 exec_lo, exec_lo, s4
	s_and_saveexec_b32 s3, s2
	s_cbranch_execnz .LBB361_344
.LBB361_289:
	s_or_b32 exec_lo, exec_lo, s3
	s_and_saveexec_b32 s2, s1
	s_cbranch_execz .LBB361_291
.LBB361_290:
	v_sub_nc_u32_e32 v5, v71, v4
	s_delay_alu instid0(VALU_DEP_1)
	v_lshlrev_b32_e32 v5, 2, v5
	ds_store_b32 v5, v72
.LBB361_291:
	s_or_b32 exec_lo, exec_lo, s2
	s_delay_alu instid0(SALU_CYCLE_1)
	s_and_b32 s17, s0, exec_lo
                                        ; implicit-def: $vgpr67_vgpr68
                                        ; implicit-def: $vgpr73_vgpr74
                                        ; implicit-def: $vgpr69_vgpr70
                                        ; implicit-def: $vgpr65_vgpr66
                                        ; implicit-def: $vgpr59_vgpr60
                                        ; implicit-def: $vgpr55_vgpr56
                                        ; implicit-def: $vgpr53_vgpr54
                                        ; implicit-def: $vgpr57_vgpr58
                                        ; implicit-def: $vgpr61_vgpr62
                                        ; implicit-def: $vgpr5_vgpr6
                                        ; implicit-def: $vgpr7_vgpr8
                                        ; implicit-def: $vgpr51_vgpr52
                                        ; implicit-def: $vgpr75_vgpr76
                                        ; implicit-def: $vgpr71_vgpr72
	s_and_not1_saveexec_b32 s0, s16
	s_cbranch_execz .LBB361_183
.LBB361_292:
	v_sub_nc_u32_e32 v13, v67, v4
	v_sub_nc_u32_e32 v14, v73, v4
	;; [unrolled: 1-line block ×5, first 2 shown]
	v_lshlrev_b32_e32 v13, 2, v13
	v_lshlrev_b32_e32 v14, 2, v14
	;; [unrolled: 1-line block ×4, first 2 shown]
	v_sub_nc_u32_e32 v5, v5, v4
	ds_store_b32 v13, v68
	ds_store_b32 v14, v74
	;; [unrolled: 1-line block ×3, first 2 shown]
	v_sub_nc_u32_e32 v13, v59, v4
	v_sub_nc_u32_e32 v14, v55, v4
	;; [unrolled: 1-line block ×3, first 2 shown]
	ds_store_b32 v16, v66
	v_sub_nc_u32_e32 v16, v57, v4
	v_lshlrev_b32_e32 v13, 2, v13
	v_lshlrev_b32_e32 v14, 2, v14
	;; [unrolled: 1-line block ×3, first 2 shown]
	v_sub_nc_u32_e32 v7, v7, v4
	v_lshlrev_b32_e32 v16, 2, v16
	ds_store_b32 v13, v60
	v_lshlrev_b32_e32 v13, 2, v17
	ds_store_b32 v14, v56
	ds_store_b32 v15, v54
	;; [unrolled: 1-line block ×3, first 2 shown]
	v_lshlrev_b32_e32 v5, 2, v5
	v_sub_nc_u32_e32 v15, v71, v4
	v_sub_nc_u32_e32 v14, v75, v4
	ds_store_b32 v13, v62
	v_sub_nc_u32_e32 v13, v51, v4
	v_lshlrev_b32_e32 v7, 2, v7
	ds_store_b32 v5, v6
	v_lshlrev_b32_e32 v5, 2, v15
	v_lshlrev_b32_e32 v14, 2, v14
	;; [unrolled: 1-line block ×3, first 2 shown]
	s_or_b32 s17, s17, exec_lo
	ds_store_b32 v7, v8
	ds_store_b32 v13, v52
	ds_store_b32 v14, v76
	ds_store_b32 v5, v72
	s_or_b32 exec_lo, exec_lo, s0
	s_delay_alu instid0(SALU_CYCLE_1)
	s_and_b32 exec_lo, exec_lo, s17
	s_cbranch_execnz .LBB361_184
	s_branch .LBB361_185
.LBB361_293:
	v_sub_nc_u32_e32 v44, v67, v3
	v_mov_b32_e32 v45, 0
	s_delay_alu instid0(VALU_DEP_1) | instskip(NEXT) | instid1(VALU_DEP_1)
	v_lshlrev_b64 v[44:45], 2, v[44:45]
	v_add_co_u32 v44, vcc_lo, v2, v44
	s_delay_alu instid0(VALU_DEP_2)
	v_add_co_ci_u32_e32 v45, vcc_lo, v4, v45, vcc_lo
	global_store_b32 v[44:45], v21, off
	s_or_b32 exec_lo, exec_lo, s17
	s_and_saveexec_b32 s17, s13
	s_cbranch_execz .LBB361_227
.LBB361_294:
	v_sub_nc_u32_e32 v44, v73, v3
	v_mov_b32_e32 v45, 0
	s_delay_alu instid0(VALU_DEP_1) | instskip(NEXT) | instid1(VALU_DEP_1)
	v_lshlrev_b64 v[44:45], 2, v[44:45]
	v_add_co_u32 v44, vcc_lo, v2, v44
	s_delay_alu instid0(VALU_DEP_2)
	v_add_co_ci_u32_e32 v45, vcc_lo, v4, v45, vcc_lo
	global_store_b32 v[44:45], v22, off
	s_or_b32 exec_lo, exec_lo, s17
	s_and_saveexec_b32 s17, s12
	s_cbranch_execz .LBB361_228
.LBB361_295:
	v_sub_nc_u32_e32 v44, v69, v3
	v_mov_b32_e32 v45, 0
	s_delay_alu instid0(VALU_DEP_1) | instskip(NEXT) | instid1(VALU_DEP_1)
	v_lshlrev_b64 v[44:45], 2, v[44:45]
	v_add_co_u32 v44, vcc_lo, v2, v44
	s_delay_alu instid0(VALU_DEP_2)
	v_add_co_ci_u32_e32 v45, vcc_lo, v4, v45, vcc_lo
	global_store_b32 v[44:45], v19, off
	s_or_b32 exec_lo, exec_lo, s17
	s_and_saveexec_b32 s17, s11
	s_cbranch_execz .LBB361_229
.LBB361_296:
	v_sub_nc_u32_e32 v44, v65, v3
	v_mov_b32_e32 v45, 0
	s_delay_alu instid0(VALU_DEP_1) | instskip(NEXT) | instid1(VALU_DEP_1)
	v_lshlrev_b64 v[44:45], 2, v[44:45]
	v_add_co_u32 v44, vcc_lo, v2, v44
	s_delay_alu instid0(VALU_DEP_2)
	v_add_co_ci_u32_e32 v45, vcc_lo, v4, v45, vcc_lo
	global_store_b32 v[44:45], v20, off
	s_or_b32 exec_lo, exec_lo, s17
	s_and_saveexec_b32 s17, s10
	s_cbranch_execz .LBB361_230
.LBB361_297:
	v_sub_nc_u32_e32 v44, v59, v3
	v_mov_b32_e32 v45, 0
	s_delay_alu instid0(VALU_DEP_1) | instskip(NEXT) | instid1(VALU_DEP_1)
	v_lshlrev_b64 v[44:45], 2, v[44:45]
	v_add_co_u32 v44, vcc_lo, v2, v44
	s_delay_alu instid0(VALU_DEP_2)
	v_add_co_ci_u32_e32 v45, vcc_lo, v4, v45, vcc_lo
	global_store_b32 v[44:45], v17, off
	s_or_b32 exec_lo, exec_lo, s17
	s_and_saveexec_b32 s17, s9
	s_cbranch_execz .LBB361_231
.LBB361_298:
	v_sub_nc_u32_e32 v44, v55, v3
	v_mov_b32_e32 v45, 0
	s_delay_alu instid0(VALU_DEP_1) | instskip(NEXT) | instid1(VALU_DEP_1)
	v_lshlrev_b64 v[44:45], 2, v[44:45]
	v_add_co_u32 v44, vcc_lo, v2, v44
	s_delay_alu instid0(VALU_DEP_2)
	v_add_co_ci_u32_e32 v45, vcc_lo, v4, v45, vcc_lo
	global_store_b32 v[44:45], v18, off
	s_or_b32 exec_lo, exec_lo, s17
	s_and_saveexec_b32 s17, s7
	s_cbranch_execz .LBB361_232
.LBB361_299:
	v_sub_nc_u32_e32 v44, v53, v3
	v_mov_b32_e32 v45, 0
	s_delay_alu instid0(VALU_DEP_1) | instskip(NEXT) | instid1(VALU_DEP_1)
	v_lshlrev_b64 v[44:45], 2, v[44:45]
	v_add_co_u32 v44, vcc_lo, v2, v44
	s_delay_alu instid0(VALU_DEP_2)
	v_add_co_ci_u32_e32 v45, vcc_lo, v4, v45, vcc_lo
	global_store_b32 v[44:45], v15, off
	s_or_b32 exec_lo, exec_lo, s17
	s_and_saveexec_b32 s17, s5
	s_cbranch_execz .LBB361_233
.LBB361_300:
	v_sub_nc_u32_e32 v44, v57, v3
	v_mov_b32_e32 v45, 0
	s_delay_alu instid0(VALU_DEP_1) | instskip(NEXT) | instid1(VALU_DEP_1)
	v_lshlrev_b64 v[44:45], 2, v[44:45]
	v_add_co_u32 v44, vcc_lo, v2, v44
	s_delay_alu instid0(VALU_DEP_2)
	v_add_co_ci_u32_e32 v45, vcc_lo, v4, v45, vcc_lo
	global_store_b32 v[44:45], v16, off
	s_or_b32 exec_lo, exec_lo, s17
	s_and_saveexec_b32 s17, s8
	s_cbranch_execz .LBB361_234
.LBB361_301:
	v_sub_nc_u32_e32 v44, v61, v3
	v_mov_b32_e32 v45, 0
	s_delay_alu instid0(VALU_DEP_1) | instskip(NEXT) | instid1(VALU_DEP_1)
	v_lshlrev_b64 v[44:45], 2, v[44:45]
	v_add_co_u32 v44, vcc_lo, v2, v44
	s_delay_alu instid0(VALU_DEP_2)
	v_add_co_ci_u32_e32 v45, vcc_lo, v4, v45, vcc_lo
	global_store_b32 v[44:45], v13, off
	s_or_b32 exec_lo, exec_lo, s17
	s_and_saveexec_b32 s17, s6
	s_cbranch_execz .LBB361_235
.LBB361_302:
	v_sub_nc_u32_e32 v44, v5, v3
	v_mov_b32_e32 v45, 0
	s_delay_alu instid0(VALU_DEP_1) | instskip(NEXT) | instid1(VALU_DEP_1)
	v_lshlrev_b64 v[44:45], 2, v[44:45]
	v_add_co_u32 v44, vcc_lo, v2, v44
	s_delay_alu instid0(VALU_DEP_2)
	v_add_co_ci_u32_e32 v45, vcc_lo, v4, v45, vcc_lo
	global_store_b32 v[44:45], v14, off
	s_or_b32 exec_lo, exec_lo, s17
	s_and_saveexec_b32 s17, s4
	s_cbranch_execz .LBB361_236
.LBB361_303:
	v_sub_nc_u32_e32 v44, v7, v3
	v_mov_b32_e32 v45, 0
	s_delay_alu instid0(VALU_DEP_1) | instskip(NEXT) | instid1(VALU_DEP_1)
	v_lshlrev_b64 v[44:45], 2, v[44:45]
	v_add_co_u32 v44, vcc_lo, v2, v44
	s_delay_alu instid0(VALU_DEP_2)
	v_add_co_ci_u32_e32 v45, vcc_lo, v4, v45, vcc_lo
	global_store_b32 v[44:45], v11, off
	s_or_b32 exec_lo, exec_lo, s17
	s_and_saveexec_b32 s17, s3
	s_cbranch_execz .LBB361_237
.LBB361_304:
	v_sub_nc_u32_e32 v44, v51, v3
	v_mov_b32_e32 v45, 0
	s_delay_alu instid0(VALU_DEP_1) | instskip(NEXT) | instid1(VALU_DEP_1)
	v_lshlrev_b64 v[44:45], 2, v[44:45]
	v_add_co_u32 v44, vcc_lo, v2, v44
	s_delay_alu instid0(VALU_DEP_2)
	v_add_co_ci_u32_e32 v45, vcc_lo, v4, v45, vcc_lo
	global_store_b32 v[44:45], v12, off
	s_or_b32 exec_lo, exec_lo, s17
	s_and_saveexec_b32 s17, s2
	s_cbranch_execz .LBB361_238
.LBB361_305:
	v_sub_nc_u32_e32 v44, v75, v3
	v_mov_b32_e32 v45, 0
	s_delay_alu instid0(VALU_DEP_1) | instskip(NEXT) | instid1(VALU_DEP_1)
	v_lshlrev_b64 v[44:45], 2, v[44:45]
	v_add_co_u32 v44, vcc_lo, v2, v44
	s_delay_alu instid0(VALU_DEP_2)
	v_add_co_ci_u32_e32 v45, vcc_lo, v4, v45, vcc_lo
	global_store_b32 v[44:45], v9, off
	s_or_b32 exec_lo, exec_lo, s17
	s_and_saveexec_b32 s17, s1
	s_cbranch_execnz .LBB361_239
	s_branch .LBB361_240
.LBB361_306:
	v_sub_nc_u32_e32 v43, v67, v3
	s_delay_alu instid0(VALU_DEP_1)
	v_lshlrev_b32_e32 v43, 2, v43
	ds_store_b32 v43, v21
	s_or_b32 exec_lo, exec_lo, s17
	s_and_saveexec_b32 s14, s13
	s_cbranch_execz .LBB361_244
.LBB361_307:
	v_sub_nc_u32_e32 v21, v73, v3
	s_delay_alu instid0(VALU_DEP_1)
	v_lshlrev_b32_e32 v21, 2, v21
	ds_store_b32 v21, v22
	s_or_b32 exec_lo, exec_lo, s14
	s_and_saveexec_b32 s13, s12
	s_cbranch_execz .LBB361_245
.LBB361_308:
	v_sub_nc_u32_e32 v21, v69, v3
	s_delay_alu instid0(VALU_DEP_1)
	v_lshlrev_b32_e32 v21, 2, v21
	ds_store_b32 v21, v19
	s_or_b32 exec_lo, exec_lo, s13
	s_and_saveexec_b32 s12, s11
	s_cbranch_execz .LBB361_246
.LBB361_309:
	v_sub_nc_u32_e32 v19, v65, v3
	s_delay_alu instid0(VALU_DEP_1)
	v_lshlrev_b32_e32 v19, 2, v19
	ds_store_b32 v19, v20
	s_or_b32 exec_lo, exec_lo, s12
	s_and_saveexec_b32 s11, s10
	s_cbranch_execz .LBB361_247
.LBB361_310:
	v_sub_nc_u32_e32 v19, v59, v3
	s_delay_alu instid0(VALU_DEP_1)
	v_lshlrev_b32_e32 v19, 2, v19
	ds_store_b32 v19, v17
	s_or_b32 exec_lo, exec_lo, s11
	s_and_saveexec_b32 s10, s9
	s_cbranch_execz .LBB361_248
.LBB361_311:
	v_sub_nc_u32_e32 v17, v55, v3
	s_delay_alu instid0(VALU_DEP_1)
	v_lshlrev_b32_e32 v17, 2, v17
	ds_store_b32 v17, v18
	s_or_b32 exec_lo, exec_lo, s10
	s_and_saveexec_b32 s9, s7
	s_cbranch_execz .LBB361_249
.LBB361_312:
	v_sub_nc_u32_e32 v17, v53, v3
	s_delay_alu instid0(VALU_DEP_1)
	v_lshlrev_b32_e32 v17, 2, v17
	ds_store_b32 v17, v15
	s_or_b32 exec_lo, exec_lo, s9
	s_and_saveexec_b32 s7, s5
	s_cbranch_execz .LBB361_250
.LBB361_313:
	v_sub_nc_u32_e32 v15, v57, v3
	s_delay_alu instid0(VALU_DEP_1)
	v_lshlrev_b32_e32 v15, 2, v15
	ds_store_b32 v15, v16
	s_or_b32 exec_lo, exec_lo, s7
	s_and_saveexec_b32 s5, s8
	s_cbranch_execz .LBB361_251
.LBB361_314:
	v_sub_nc_u32_e32 v15, v61, v3
	s_delay_alu instid0(VALU_DEP_1)
	v_lshlrev_b32_e32 v15, 2, v15
	ds_store_b32 v15, v13
	s_or_b32 exec_lo, exec_lo, s5
	s_and_saveexec_b32 s5, s6
	s_cbranch_execz .LBB361_252
.LBB361_315:
	v_sub_nc_u32_e32 v13, v5, v3
	s_delay_alu instid0(VALU_DEP_1)
	v_lshlrev_b32_e32 v13, 2, v13
	ds_store_b32 v13, v14
	s_or_b32 exec_lo, exec_lo, s5
	s_and_saveexec_b32 s5, s4
	s_cbranch_execz .LBB361_253
.LBB361_316:
	v_sub_nc_u32_e32 v13, v7, v3
	s_delay_alu instid0(VALU_DEP_1)
	v_lshlrev_b32_e32 v13, 2, v13
	ds_store_b32 v13, v11
	s_or_b32 exec_lo, exec_lo, s5
	s_and_saveexec_b32 s4, s3
	s_cbranch_execz .LBB361_254
.LBB361_317:
	v_sub_nc_u32_e32 v11, v51, v3
	s_delay_alu instid0(VALU_DEP_1)
	v_lshlrev_b32_e32 v11, 2, v11
	ds_store_b32 v11, v12
	s_or_b32 exec_lo, exec_lo, s4
	s_and_saveexec_b32 s3, s2
	s_cbranch_execz .LBB361_255
.LBB361_318:
	v_sub_nc_u32_e32 v11, v75, v3
	s_delay_alu instid0(VALU_DEP_1)
	v_lshlrev_b32_e32 v11, 2, v11
	ds_store_b32 v11, v9
	s_or_b32 exec_lo, exec_lo, s3
	s_and_saveexec_b32 s2, s1
	s_cbranch_execnz .LBB361_256
	s_branch .LBB361_257
.LBB361_319:
	v_sub_nc_u32_e32 v14, v67, v4
	v_mov_b32_e32 v15, 0
	s_delay_alu instid0(VALU_DEP_1) | instskip(NEXT) | instid1(VALU_DEP_1)
	v_lshlrev_b64 v[14:15], 2, v[14:15]
	v_add_co_u32 v14, vcc_lo, v11, v14
	s_delay_alu instid0(VALU_DEP_2)
	v_add_co_ci_u32_e32 v15, vcc_lo, v12, v15, vcc_lo
	global_store_b32 v[14:15], v68, off
	s_or_b32 exec_lo, exec_lo, s17
	s_and_saveexec_b32 s17, s13
	s_cbranch_execz .LBB361_261
.LBB361_320:
	v_sub_nc_u32_e32 v14, v73, v4
	v_mov_b32_e32 v15, 0
	s_delay_alu instid0(VALU_DEP_1) | instskip(NEXT) | instid1(VALU_DEP_1)
	v_lshlrev_b64 v[14:15], 2, v[14:15]
	v_add_co_u32 v14, vcc_lo, v11, v14
	s_delay_alu instid0(VALU_DEP_2)
	v_add_co_ci_u32_e32 v15, vcc_lo, v12, v15, vcc_lo
	global_store_b32 v[14:15], v74, off
	s_or_b32 exec_lo, exec_lo, s17
	s_and_saveexec_b32 s17, s12
	s_cbranch_execz .LBB361_262
.LBB361_321:
	v_sub_nc_u32_e32 v14, v69, v4
	v_mov_b32_e32 v15, 0
	s_delay_alu instid0(VALU_DEP_1) | instskip(NEXT) | instid1(VALU_DEP_1)
	v_lshlrev_b64 v[14:15], 2, v[14:15]
	v_add_co_u32 v14, vcc_lo, v11, v14
	s_delay_alu instid0(VALU_DEP_2)
	v_add_co_ci_u32_e32 v15, vcc_lo, v12, v15, vcc_lo
	global_store_b32 v[14:15], v70, off
	s_or_b32 exec_lo, exec_lo, s17
	s_and_saveexec_b32 s17, s11
	s_cbranch_execz .LBB361_263
.LBB361_322:
	v_sub_nc_u32_e32 v14, v65, v4
	v_mov_b32_e32 v15, 0
	s_delay_alu instid0(VALU_DEP_1) | instskip(NEXT) | instid1(VALU_DEP_1)
	v_lshlrev_b64 v[14:15], 2, v[14:15]
	v_add_co_u32 v14, vcc_lo, v11, v14
	s_delay_alu instid0(VALU_DEP_2)
	v_add_co_ci_u32_e32 v15, vcc_lo, v12, v15, vcc_lo
	global_store_b32 v[14:15], v66, off
	s_or_b32 exec_lo, exec_lo, s17
	s_and_saveexec_b32 s17, s10
	s_cbranch_execz .LBB361_264
.LBB361_323:
	v_sub_nc_u32_e32 v14, v59, v4
	v_mov_b32_e32 v15, 0
	s_delay_alu instid0(VALU_DEP_1) | instskip(NEXT) | instid1(VALU_DEP_1)
	v_lshlrev_b64 v[14:15], 2, v[14:15]
	v_add_co_u32 v14, vcc_lo, v11, v14
	s_delay_alu instid0(VALU_DEP_2)
	v_add_co_ci_u32_e32 v15, vcc_lo, v12, v15, vcc_lo
	global_store_b32 v[14:15], v60, off
	s_or_b32 exec_lo, exec_lo, s17
	s_and_saveexec_b32 s17, s9
	s_cbranch_execz .LBB361_265
.LBB361_324:
	v_sub_nc_u32_e32 v14, v55, v4
	v_mov_b32_e32 v15, 0
	s_delay_alu instid0(VALU_DEP_1) | instskip(NEXT) | instid1(VALU_DEP_1)
	v_lshlrev_b64 v[14:15], 2, v[14:15]
	v_add_co_u32 v14, vcc_lo, v11, v14
	s_delay_alu instid0(VALU_DEP_2)
	v_add_co_ci_u32_e32 v15, vcc_lo, v12, v15, vcc_lo
	global_store_b32 v[14:15], v56, off
	s_or_b32 exec_lo, exec_lo, s17
	s_and_saveexec_b32 s17, s8
	s_cbranch_execz .LBB361_266
.LBB361_325:
	v_sub_nc_u32_e32 v14, v53, v4
	v_mov_b32_e32 v15, 0
	s_delay_alu instid0(VALU_DEP_1) | instskip(NEXT) | instid1(VALU_DEP_1)
	v_lshlrev_b64 v[14:15], 2, v[14:15]
	v_add_co_u32 v14, vcc_lo, v11, v14
	s_delay_alu instid0(VALU_DEP_2)
	v_add_co_ci_u32_e32 v15, vcc_lo, v12, v15, vcc_lo
	global_store_b32 v[14:15], v54, off
	s_or_b32 exec_lo, exec_lo, s17
	s_and_saveexec_b32 s17, s7
	s_cbranch_execz .LBB361_267
.LBB361_326:
	v_sub_nc_u32_e32 v14, v57, v4
	v_mov_b32_e32 v15, 0
	s_delay_alu instid0(VALU_DEP_1) | instskip(NEXT) | instid1(VALU_DEP_1)
	v_lshlrev_b64 v[14:15], 2, v[14:15]
	v_add_co_u32 v14, vcc_lo, v11, v14
	s_delay_alu instid0(VALU_DEP_2)
	v_add_co_ci_u32_e32 v15, vcc_lo, v12, v15, vcc_lo
	global_store_b32 v[14:15], v58, off
	s_or_b32 exec_lo, exec_lo, s17
	s_and_saveexec_b32 s17, s6
	s_cbranch_execz .LBB361_268
.LBB361_327:
	v_sub_nc_u32_e32 v14, v61, v4
	v_mov_b32_e32 v15, 0
	s_delay_alu instid0(VALU_DEP_1) | instskip(NEXT) | instid1(VALU_DEP_1)
	v_lshlrev_b64 v[14:15], 2, v[14:15]
	v_add_co_u32 v14, vcc_lo, v11, v14
	s_delay_alu instid0(VALU_DEP_2)
	v_add_co_ci_u32_e32 v15, vcc_lo, v12, v15, vcc_lo
	global_store_b32 v[14:15], v62, off
	s_or_b32 exec_lo, exec_lo, s17
	s_and_saveexec_b32 s17, s5
	s_cbranch_execz .LBB361_269
.LBB361_328:
	v_sub_nc_u32_e32 v14, v5, v4
	v_mov_b32_e32 v15, 0
	s_delay_alu instid0(VALU_DEP_1) | instskip(NEXT) | instid1(VALU_DEP_1)
	v_lshlrev_b64 v[14:15], 2, v[14:15]
	v_add_co_u32 v14, vcc_lo, v11, v14
	s_delay_alu instid0(VALU_DEP_2)
	v_add_co_ci_u32_e32 v15, vcc_lo, v12, v15, vcc_lo
	global_store_b32 v[14:15], v6, off
	s_or_b32 exec_lo, exec_lo, s17
	s_and_saveexec_b32 s17, s4
	s_cbranch_execz .LBB361_270
.LBB361_329:
	v_sub_nc_u32_e32 v14, v7, v4
	v_mov_b32_e32 v15, 0
	s_delay_alu instid0(VALU_DEP_1) | instskip(NEXT) | instid1(VALU_DEP_1)
	v_lshlrev_b64 v[14:15], 2, v[14:15]
	v_add_co_u32 v14, vcc_lo, v11, v14
	s_delay_alu instid0(VALU_DEP_2)
	v_add_co_ci_u32_e32 v15, vcc_lo, v12, v15, vcc_lo
	global_store_b32 v[14:15], v8, off
	s_or_b32 exec_lo, exec_lo, s17
	s_and_saveexec_b32 s17, s3
	s_cbranch_execz .LBB361_271
.LBB361_330:
	v_sub_nc_u32_e32 v14, v51, v4
	v_mov_b32_e32 v15, 0
	s_delay_alu instid0(VALU_DEP_1) | instskip(NEXT) | instid1(VALU_DEP_1)
	v_lshlrev_b64 v[14:15], 2, v[14:15]
	v_add_co_u32 v14, vcc_lo, v11, v14
	s_delay_alu instid0(VALU_DEP_2)
	v_add_co_ci_u32_e32 v15, vcc_lo, v12, v15, vcc_lo
	global_store_b32 v[14:15], v52, off
	s_or_b32 exec_lo, exec_lo, s17
	s_and_saveexec_b32 s17, s2
	s_cbranch_execz .LBB361_272
.LBB361_331:
	v_sub_nc_u32_e32 v14, v75, v4
	v_mov_b32_e32 v15, 0
	s_delay_alu instid0(VALU_DEP_1) | instskip(NEXT) | instid1(VALU_DEP_1)
	v_lshlrev_b64 v[14:15], 2, v[14:15]
	v_add_co_u32 v14, vcc_lo, v11, v14
	s_delay_alu instid0(VALU_DEP_2)
	v_add_co_ci_u32_e32 v15, vcc_lo, v12, v15, vcc_lo
	global_store_b32 v[14:15], v76, off
	s_or_b32 exec_lo, exec_lo, s17
	s_and_saveexec_b32 s17, s1
	s_cbranch_execnz .LBB361_273
	s_branch .LBB361_274
.LBB361_332:
	v_sub_nc_u32_e32 v13, v67, v4
	s_delay_alu instid0(VALU_DEP_1)
	v_lshlrev_b32_e32 v13, 2, v13
	ds_store_b32 v13, v68
	s_or_b32 exec_lo, exec_lo, s17
	s_and_saveexec_b32 s14, s13
	s_cbranch_execz .LBB361_278
.LBB361_333:
	v_sub_nc_u32_e32 v13, v73, v4
	s_delay_alu instid0(VALU_DEP_1)
	v_lshlrev_b32_e32 v13, 2, v13
	ds_store_b32 v13, v74
	s_or_b32 exec_lo, exec_lo, s14
	s_and_saveexec_b32 s13, s12
	s_cbranch_execz .LBB361_279
.LBB361_334:
	v_sub_nc_u32_e32 v13, v69, v4
	s_delay_alu instid0(VALU_DEP_1)
	v_lshlrev_b32_e32 v13, 2, v13
	ds_store_b32 v13, v70
	s_or_b32 exec_lo, exec_lo, s13
	s_and_saveexec_b32 s12, s11
	s_cbranch_execz .LBB361_280
.LBB361_335:
	v_sub_nc_u32_e32 v13, v65, v4
	s_delay_alu instid0(VALU_DEP_1)
	v_lshlrev_b32_e32 v13, 2, v13
	ds_store_b32 v13, v66
	s_or_b32 exec_lo, exec_lo, s12
	s_and_saveexec_b32 s11, s10
	s_cbranch_execz .LBB361_281
.LBB361_336:
	v_sub_nc_u32_e32 v13, v59, v4
	s_delay_alu instid0(VALU_DEP_1)
	v_lshlrev_b32_e32 v13, 2, v13
	ds_store_b32 v13, v60
	s_or_b32 exec_lo, exec_lo, s11
	s_and_saveexec_b32 s10, s9
	s_cbranch_execz .LBB361_282
.LBB361_337:
	v_sub_nc_u32_e32 v13, v55, v4
	s_delay_alu instid0(VALU_DEP_1)
	v_lshlrev_b32_e32 v13, 2, v13
	ds_store_b32 v13, v56
	s_or_b32 exec_lo, exec_lo, s10
	s_and_saveexec_b32 s9, s8
	s_cbranch_execz .LBB361_283
.LBB361_338:
	v_sub_nc_u32_e32 v13, v53, v4
	s_delay_alu instid0(VALU_DEP_1)
	v_lshlrev_b32_e32 v13, 2, v13
	ds_store_b32 v13, v54
	s_or_b32 exec_lo, exec_lo, s9
	s_and_saveexec_b32 s8, s7
	s_cbranch_execz .LBB361_284
.LBB361_339:
	v_sub_nc_u32_e32 v13, v57, v4
	s_delay_alu instid0(VALU_DEP_1)
	v_lshlrev_b32_e32 v13, 2, v13
	ds_store_b32 v13, v58
	s_or_b32 exec_lo, exec_lo, s8
	s_and_saveexec_b32 s7, s6
	s_cbranch_execz .LBB361_285
.LBB361_340:
	v_sub_nc_u32_e32 v13, v61, v4
	s_delay_alu instid0(VALU_DEP_1)
	v_lshlrev_b32_e32 v13, 2, v13
	ds_store_b32 v13, v62
	s_or_b32 exec_lo, exec_lo, s7
	s_and_saveexec_b32 s6, s5
	s_cbranch_execz .LBB361_286
.LBB361_341:
	v_sub_nc_u32_e32 v5, v5, v4
	s_delay_alu instid0(VALU_DEP_1)
	v_lshlrev_b32_e32 v5, 2, v5
	ds_store_b32 v5, v6
	s_or_b32 exec_lo, exec_lo, s6
	s_and_saveexec_b32 s5, s4
	s_cbranch_execz .LBB361_287
.LBB361_342:
	v_sub_nc_u32_e32 v5, v7, v4
	s_delay_alu instid0(VALU_DEP_1)
	v_lshlrev_b32_e32 v5, 2, v5
	ds_store_b32 v5, v8
	s_or_b32 exec_lo, exec_lo, s5
	s_and_saveexec_b32 s4, s3
	s_cbranch_execz .LBB361_288
.LBB361_343:
	v_sub_nc_u32_e32 v5, v51, v4
	s_delay_alu instid0(VALU_DEP_1)
	v_lshlrev_b32_e32 v5, 2, v5
	ds_store_b32 v5, v52
	s_or_b32 exec_lo, exec_lo, s4
	s_and_saveexec_b32 s3, s2
	s_cbranch_execz .LBB361_289
.LBB361_344:
	v_sub_nc_u32_e32 v5, v75, v4
	s_delay_alu instid0(VALU_DEP_1)
	v_lshlrev_b32_e32 v5, 2, v5
	ds_store_b32 v5, v76
	s_or_b32 exec_lo, exec_lo, s3
	s_and_saveexec_b32 s2, s1
	s_cbranch_execnz .LBB361_290
	s_branch .LBB361_291
	.section	.rodata,"a",@progbits
	.p2align	6, 0x0
	.amdhsa_kernel _ZN7rocprim17ROCPRIM_400000_NS6detail17trampoline_kernelINS0_14default_configENS1_29reduce_by_key_config_selectorIjjN6thrust23THRUST_200600_302600_NS4plusIjEEEEZZNS1_33reduce_by_key_impl_wrapped_configILNS1_25lookback_scan_determinismE0ES3_S9_NS6_6detail15normal_iteratorINS6_10device_ptrIjEEEESG_SG_SG_PmS8_22is_equal_div_10_reduceIjEEE10hipError_tPvRmT2_T3_mT4_T5_T6_T7_T8_P12ihipStream_tbENKUlT_T0_E_clISt17integral_constantIbLb0EES11_EEDaSW_SX_EUlSW_E_NS1_11comp_targetILNS1_3genE9ELNS1_11target_archE1100ELNS1_3gpuE3ELNS1_3repE0EEENS1_30default_config_static_selectorELNS0_4arch9wavefront6targetE0EEEvT1_
		.amdhsa_group_segment_fixed_size 15360
		.amdhsa_private_segment_fixed_size 0
		.amdhsa_kernarg_size 120
		.amdhsa_user_sgpr_count 15
		.amdhsa_user_sgpr_dispatch_ptr 0
		.amdhsa_user_sgpr_queue_ptr 0
		.amdhsa_user_sgpr_kernarg_segment_ptr 1
		.amdhsa_user_sgpr_dispatch_id 0
		.amdhsa_user_sgpr_private_segment_size 0
		.amdhsa_wavefront_size32 1
		.amdhsa_uses_dynamic_stack 0
		.amdhsa_enable_private_segment 0
		.amdhsa_system_sgpr_workgroup_id_x 1
		.amdhsa_system_sgpr_workgroup_id_y 0
		.amdhsa_system_sgpr_workgroup_id_z 0
		.amdhsa_system_sgpr_workgroup_info 0
		.amdhsa_system_vgpr_workitem_id 0
		.amdhsa_next_free_vgpr 86
		.amdhsa_next_free_sgpr 44
		.amdhsa_reserve_vcc 1
		.amdhsa_float_round_mode_32 0
		.amdhsa_float_round_mode_16_64 0
		.amdhsa_float_denorm_mode_32 3
		.amdhsa_float_denorm_mode_16_64 3
		.amdhsa_dx10_clamp 1
		.amdhsa_ieee_mode 1
		.amdhsa_fp16_overflow 0
		.amdhsa_workgroup_processor_mode 1
		.amdhsa_memory_ordered 1
		.amdhsa_forward_progress 0
		.amdhsa_shared_vgpr_count 0
		.amdhsa_exception_fp_ieee_invalid_op 0
		.amdhsa_exception_fp_denorm_src 0
		.amdhsa_exception_fp_ieee_div_zero 0
		.amdhsa_exception_fp_ieee_overflow 0
		.amdhsa_exception_fp_ieee_underflow 0
		.amdhsa_exception_fp_ieee_inexact 0
		.amdhsa_exception_int_div_zero 0
	.end_amdhsa_kernel
	.section	.text._ZN7rocprim17ROCPRIM_400000_NS6detail17trampoline_kernelINS0_14default_configENS1_29reduce_by_key_config_selectorIjjN6thrust23THRUST_200600_302600_NS4plusIjEEEEZZNS1_33reduce_by_key_impl_wrapped_configILNS1_25lookback_scan_determinismE0ES3_S9_NS6_6detail15normal_iteratorINS6_10device_ptrIjEEEESG_SG_SG_PmS8_22is_equal_div_10_reduceIjEEE10hipError_tPvRmT2_T3_mT4_T5_T6_T7_T8_P12ihipStream_tbENKUlT_T0_E_clISt17integral_constantIbLb0EES11_EEDaSW_SX_EUlSW_E_NS1_11comp_targetILNS1_3genE9ELNS1_11target_archE1100ELNS1_3gpuE3ELNS1_3repE0EEENS1_30default_config_static_selectorELNS0_4arch9wavefront6targetE0EEEvT1_,"axG",@progbits,_ZN7rocprim17ROCPRIM_400000_NS6detail17trampoline_kernelINS0_14default_configENS1_29reduce_by_key_config_selectorIjjN6thrust23THRUST_200600_302600_NS4plusIjEEEEZZNS1_33reduce_by_key_impl_wrapped_configILNS1_25lookback_scan_determinismE0ES3_S9_NS6_6detail15normal_iteratorINS6_10device_ptrIjEEEESG_SG_SG_PmS8_22is_equal_div_10_reduceIjEEE10hipError_tPvRmT2_T3_mT4_T5_T6_T7_T8_P12ihipStream_tbENKUlT_T0_E_clISt17integral_constantIbLb0EES11_EEDaSW_SX_EUlSW_E_NS1_11comp_targetILNS1_3genE9ELNS1_11target_archE1100ELNS1_3gpuE3ELNS1_3repE0EEENS1_30default_config_static_selectorELNS0_4arch9wavefront6targetE0EEEvT1_,comdat
.Lfunc_end361:
	.size	_ZN7rocprim17ROCPRIM_400000_NS6detail17trampoline_kernelINS0_14default_configENS1_29reduce_by_key_config_selectorIjjN6thrust23THRUST_200600_302600_NS4plusIjEEEEZZNS1_33reduce_by_key_impl_wrapped_configILNS1_25lookback_scan_determinismE0ES3_S9_NS6_6detail15normal_iteratorINS6_10device_ptrIjEEEESG_SG_SG_PmS8_22is_equal_div_10_reduceIjEEE10hipError_tPvRmT2_T3_mT4_T5_T6_T7_T8_P12ihipStream_tbENKUlT_T0_E_clISt17integral_constantIbLb0EES11_EEDaSW_SX_EUlSW_E_NS1_11comp_targetILNS1_3genE9ELNS1_11target_archE1100ELNS1_3gpuE3ELNS1_3repE0EEENS1_30default_config_static_selectorELNS0_4arch9wavefront6targetE0EEEvT1_, .Lfunc_end361-_ZN7rocprim17ROCPRIM_400000_NS6detail17trampoline_kernelINS0_14default_configENS1_29reduce_by_key_config_selectorIjjN6thrust23THRUST_200600_302600_NS4plusIjEEEEZZNS1_33reduce_by_key_impl_wrapped_configILNS1_25lookback_scan_determinismE0ES3_S9_NS6_6detail15normal_iteratorINS6_10device_ptrIjEEEESG_SG_SG_PmS8_22is_equal_div_10_reduceIjEEE10hipError_tPvRmT2_T3_mT4_T5_T6_T7_T8_P12ihipStream_tbENKUlT_T0_E_clISt17integral_constantIbLb0EES11_EEDaSW_SX_EUlSW_E_NS1_11comp_targetILNS1_3genE9ELNS1_11target_archE1100ELNS1_3gpuE3ELNS1_3repE0EEENS1_30default_config_static_selectorELNS0_4arch9wavefront6targetE0EEEvT1_
                                        ; -- End function
	.section	.AMDGPU.csdata,"",@progbits
; Kernel info:
; codeLenInByte = 19988
; NumSgprs: 46
; NumVgprs: 86
; ScratchSize: 0
; MemoryBound: 0
; FloatMode: 240
; IeeeMode: 1
; LDSByteSize: 15360 bytes/workgroup (compile time only)
; SGPRBlocks: 5
; VGPRBlocks: 10
; NumSGPRsForWavesPerEU: 46
; NumVGPRsForWavesPerEU: 86
; Occupancy: 16
; WaveLimiterHint : 1
; COMPUTE_PGM_RSRC2:SCRATCH_EN: 0
; COMPUTE_PGM_RSRC2:USER_SGPR: 15
; COMPUTE_PGM_RSRC2:TRAP_HANDLER: 0
; COMPUTE_PGM_RSRC2:TGID_X_EN: 1
; COMPUTE_PGM_RSRC2:TGID_Y_EN: 0
; COMPUTE_PGM_RSRC2:TGID_Z_EN: 0
; COMPUTE_PGM_RSRC2:TIDIG_COMP_CNT: 0
	.section	.text._ZN7rocprim17ROCPRIM_400000_NS6detail17trampoline_kernelINS0_14default_configENS1_29reduce_by_key_config_selectorIjjN6thrust23THRUST_200600_302600_NS4plusIjEEEEZZNS1_33reduce_by_key_impl_wrapped_configILNS1_25lookback_scan_determinismE0ES3_S9_NS6_6detail15normal_iteratorINS6_10device_ptrIjEEEESG_SG_SG_PmS8_22is_equal_div_10_reduceIjEEE10hipError_tPvRmT2_T3_mT4_T5_T6_T7_T8_P12ihipStream_tbENKUlT_T0_E_clISt17integral_constantIbLb0EES11_EEDaSW_SX_EUlSW_E_NS1_11comp_targetILNS1_3genE8ELNS1_11target_archE1030ELNS1_3gpuE2ELNS1_3repE0EEENS1_30default_config_static_selectorELNS0_4arch9wavefront6targetE0EEEvT1_,"axG",@progbits,_ZN7rocprim17ROCPRIM_400000_NS6detail17trampoline_kernelINS0_14default_configENS1_29reduce_by_key_config_selectorIjjN6thrust23THRUST_200600_302600_NS4plusIjEEEEZZNS1_33reduce_by_key_impl_wrapped_configILNS1_25lookback_scan_determinismE0ES3_S9_NS6_6detail15normal_iteratorINS6_10device_ptrIjEEEESG_SG_SG_PmS8_22is_equal_div_10_reduceIjEEE10hipError_tPvRmT2_T3_mT4_T5_T6_T7_T8_P12ihipStream_tbENKUlT_T0_E_clISt17integral_constantIbLb0EES11_EEDaSW_SX_EUlSW_E_NS1_11comp_targetILNS1_3genE8ELNS1_11target_archE1030ELNS1_3gpuE2ELNS1_3repE0EEENS1_30default_config_static_selectorELNS0_4arch9wavefront6targetE0EEEvT1_,comdat
	.protected	_ZN7rocprim17ROCPRIM_400000_NS6detail17trampoline_kernelINS0_14default_configENS1_29reduce_by_key_config_selectorIjjN6thrust23THRUST_200600_302600_NS4plusIjEEEEZZNS1_33reduce_by_key_impl_wrapped_configILNS1_25lookback_scan_determinismE0ES3_S9_NS6_6detail15normal_iteratorINS6_10device_ptrIjEEEESG_SG_SG_PmS8_22is_equal_div_10_reduceIjEEE10hipError_tPvRmT2_T3_mT4_T5_T6_T7_T8_P12ihipStream_tbENKUlT_T0_E_clISt17integral_constantIbLb0EES11_EEDaSW_SX_EUlSW_E_NS1_11comp_targetILNS1_3genE8ELNS1_11target_archE1030ELNS1_3gpuE2ELNS1_3repE0EEENS1_30default_config_static_selectorELNS0_4arch9wavefront6targetE0EEEvT1_ ; -- Begin function _ZN7rocprim17ROCPRIM_400000_NS6detail17trampoline_kernelINS0_14default_configENS1_29reduce_by_key_config_selectorIjjN6thrust23THRUST_200600_302600_NS4plusIjEEEEZZNS1_33reduce_by_key_impl_wrapped_configILNS1_25lookback_scan_determinismE0ES3_S9_NS6_6detail15normal_iteratorINS6_10device_ptrIjEEEESG_SG_SG_PmS8_22is_equal_div_10_reduceIjEEE10hipError_tPvRmT2_T3_mT4_T5_T6_T7_T8_P12ihipStream_tbENKUlT_T0_E_clISt17integral_constantIbLb0EES11_EEDaSW_SX_EUlSW_E_NS1_11comp_targetILNS1_3genE8ELNS1_11target_archE1030ELNS1_3gpuE2ELNS1_3repE0EEENS1_30default_config_static_selectorELNS0_4arch9wavefront6targetE0EEEvT1_
	.globl	_ZN7rocprim17ROCPRIM_400000_NS6detail17trampoline_kernelINS0_14default_configENS1_29reduce_by_key_config_selectorIjjN6thrust23THRUST_200600_302600_NS4plusIjEEEEZZNS1_33reduce_by_key_impl_wrapped_configILNS1_25lookback_scan_determinismE0ES3_S9_NS6_6detail15normal_iteratorINS6_10device_ptrIjEEEESG_SG_SG_PmS8_22is_equal_div_10_reduceIjEEE10hipError_tPvRmT2_T3_mT4_T5_T6_T7_T8_P12ihipStream_tbENKUlT_T0_E_clISt17integral_constantIbLb0EES11_EEDaSW_SX_EUlSW_E_NS1_11comp_targetILNS1_3genE8ELNS1_11target_archE1030ELNS1_3gpuE2ELNS1_3repE0EEENS1_30default_config_static_selectorELNS0_4arch9wavefront6targetE0EEEvT1_
	.p2align	8
	.type	_ZN7rocprim17ROCPRIM_400000_NS6detail17trampoline_kernelINS0_14default_configENS1_29reduce_by_key_config_selectorIjjN6thrust23THRUST_200600_302600_NS4plusIjEEEEZZNS1_33reduce_by_key_impl_wrapped_configILNS1_25lookback_scan_determinismE0ES3_S9_NS6_6detail15normal_iteratorINS6_10device_ptrIjEEEESG_SG_SG_PmS8_22is_equal_div_10_reduceIjEEE10hipError_tPvRmT2_T3_mT4_T5_T6_T7_T8_P12ihipStream_tbENKUlT_T0_E_clISt17integral_constantIbLb0EES11_EEDaSW_SX_EUlSW_E_NS1_11comp_targetILNS1_3genE8ELNS1_11target_archE1030ELNS1_3gpuE2ELNS1_3repE0EEENS1_30default_config_static_selectorELNS0_4arch9wavefront6targetE0EEEvT1_,@function
_ZN7rocprim17ROCPRIM_400000_NS6detail17trampoline_kernelINS0_14default_configENS1_29reduce_by_key_config_selectorIjjN6thrust23THRUST_200600_302600_NS4plusIjEEEEZZNS1_33reduce_by_key_impl_wrapped_configILNS1_25lookback_scan_determinismE0ES3_S9_NS6_6detail15normal_iteratorINS6_10device_ptrIjEEEESG_SG_SG_PmS8_22is_equal_div_10_reduceIjEEE10hipError_tPvRmT2_T3_mT4_T5_T6_T7_T8_P12ihipStream_tbENKUlT_T0_E_clISt17integral_constantIbLb0EES11_EEDaSW_SX_EUlSW_E_NS1_11comp_targetILNS1_3genE8ELNS1_11target_archE1030ELNS1_3gpuE2ELNS1_3repE0EEENS1_30default_config_static_selectorELNS0_4arch9wavefront6targetE0EEEvT1_: ; @_ZN7rocprim17ROCPRIM_400000_NS6detail17trampoline_kernelINS0_14default_configENS1_29reduce_by_key_config_selectorIjjN6thrust23THRUST_200600_302600_NS4plusIjEEEEZZNS1_33reduce_by_key_impl_wrapped_configILNS1_25lookback_scan_determinismE0ES3_S9_NS6_6detail15normal_iteratorINS6_10device_ptrIjEEEESG_SG_SG_PmS8_22is_equal_div_10_reduceIjEEE10hipError_tPvRmT2_T3_mT4_T5_T6_T7_T8_P12ihipStream_tbENKUlT_T0_E_clISt17integral_constantIbLb0EES11_EEDaSW_SX_EUlSW_E_NS1_11comp_targetILNS1_3genE8ELNS1_11target_archE1030ELNS1_3gpuE2ELNS1_3repE0EEENS1_30default_config_static_selectorELNS0_4arch9wavefront6targetE0EEEvT1_
; %bb.0:
	.section	.rodata,"a",@progbits
	.p2align	6, 0x0
	.amdhsa_kernel _ZN7rocprim17ROCPRIM_400000_NS6detail17trampoline_kernelINS0_14default_configENS1_29reduce_by_key_config_selectorIjjN6thrust23THRUST_200600_302600_NS4plusIjEEEEZZNS1_33reduce_by_key_impl_wrapped_configILNS1_25lookback_scan_determinismE0ES3_S9_NS6_6detail15normal_iteratorINS6_10device_ptrIjEEEESG_SG_SG_PmS8_22is_equal_div_10_reduceIjEEE10hipError_tPvRmT2_T3_mT4_T5_T6_T7_T8_P12ihipStream_tbENKUlT_T0_E_clISt17integral_constantIbLb0EES11_EEDaSW_SX_EUlSW_E_NS1_11comp_targetILNS1_3genE8ELNS1_11target_archE1030ELNS1_3gpuE2ELNS1_3repE0EEENS1_30default_config_static_selectorELNS0_4arch9wavefront6targetE0EEEvT1_
		.amdhsa_group_segment_fixed_size 0
		.amdhsa_private_segment_fixed_size 0
		.amdhsa_kernarg_size 120
		.amdhsa_user_sgpr_count 15
		.amdhsa_user_sgpr_dispatch_ptr 0
		.amdhsa_user_sgpr_queue_ptr 0
		.amdhsa_user_sgpr_kernarg_segment_ptr 1
		.amdhsa_user_sgpr_dispatch_id 0
		.amdhsa_user_sgpr_private_segment_size 0
		.amdhsa_wavefront_size32 1
		.amdhsa_uses_dynamic_stack 0
		.amdhsa_enable_private_segment 0
		.amdhsa_system_sgpr_workgroup_id_x 1
		.amdhsa_system_sgpr_workgroup_id_y 0
		.amdhsa_system_sgpr_workgroup_id_z 0
		.amdhsa_system_sgpr_workgroup_info 0
		.amdhsa_system_vgpr_workitem_id 0
		.amdhsa_next_free_vgpr 1
		.amdhsa_next_free_sgpr 1
		.amdhsa_reserve_vcc 0
		.amdhsa_float_round_mode_32 0
		.amdhsa_float_round_mode_16_64 0
		.amdhsa_float_denorm_mode_32 3
		.amdhsa_float_denorm_mode_16_64 3
		.amdhsa_dx10_clamp 1
		.amdhsa_ieee_mode 1
		.amdhsa_fp16_overflow 0
		.amdhsa_workgroup_processor_mode 1
		.amdhsa_memory_ordered 1
		.amdhsa_forward_progress 0
		.amdhsa_shared_vgpr_count 0
		.amdhsa_exception_fp_ieee_invalid_op 0
		.amdhsa_exception_fp_denorm_src 0
		.amdhsa_exception_fp_ieee_div_zero 0
		.amdhsa_exception_fp_ieee_overflow 0
		.amdhsa_exception_fp_ieee_underflow 0
		.amdhsa_exception_fp_ieee_inexact 0
		.amdhsa_exception_int_div_zero 0
	.end_amdhsa_kernel
	.section	.text._ZN7rocprim17ROCPRIM_400000_NS6detail17trampoline_kernelINS0_14default_configENS1_29reduce_by_key_config_selectorIjjN6thrust23THRUST_200600_302600_NS4plusIjEEEEZZNS1_33reduce_by_key_impl_wrapped_configILNS1_25lookback_scan_determinismE0ES3_S9_NS6_6detail15normal_iteratorINS6_10device_ptrIjEEEESG_SG_SG_PmS8_22is_equal_div_10_reduceIjEEE10hipError_tPvRmT2_T3_mT4_T5_T6_T7_T8_P12ihipStream_tbENKUlT_T0_E_clISt17integral_constantIbLb0EES11_EEDaSW_SX_EUlSW_E_NS1_11comp_targetILNS1_3genE8ELNS1_11target_archE1030ELNS1_3gpuE2ELNS1_3repE0EEENS1_30default_config_static_selectorELNS0_4arch9wavefront6targetE0EEEvT1_,"axG",@progbits,_ZN7rocprim17ROCPRIM_400000_NS6detail17trampoline_kernelINS0_14default_configENS1_29reduce_by_key_config_selectorIjjN6thrust23THRUST_200600_302600_NS4plusIjEEEEZZNS1_33reduce_by_key_impl_wrapped_configILNS1_25lookback_scan_determinismE0ES3_S9_NS6_6detail15normal_iteratorINS6_10device_ptrIjEEEESG_SG_SG_PmS8_22is_equal_div_10_reduceIjEEE10hipError_tPvRmT2_T3_mT4_T5_T6_T7_T8_P12ihipStream_tbENKUlT_T0_E_clISt17integral_constantIbLb0EES11_EEDaSW_SX_EUlSW_E_NS1_11comp_targetILNS1_3genE8ELNS1_11target_archE1030ELNS1_3gpuE2ELNS1_3repE0EEENS1_30default_config_static_selectorELNS0_4arch9wavefront6targetE0EEEvT1_,comdat
.Lfunc_end362:
	.size	_ZN7rocprim17ROCPRIM_400000_NS6detail17trampoline_kernelINS0_14default_configENS1_29reduce_by_key_config_selectorIjjN6thrust23THRUST_200600_302600_NS4plusIjEEEEZZNS1_33reduce_by_key_impl_wrapped_configILNS1_25lookback_scan_determinismE0ES3_S9_NS6_6detail15normal_iteratorINS6_10device_ptrIjEEEESG_SG_SG_PmS8_22is_equal_div_10_reduceIjEEE10hipError_tPvRmT2_T3_mT4_T5_T6_T7_T8_P12ihipStream_tbENKUlT_T0_E_clISt17integral_constantIbLb0EES11_EEDaSW_SX_EUlSW_E_NS1_11comp_targetILNS1_3genE8ELNS1_11target_archE1030ELNS1_3gpuE2ELNS1_3repE0EEENS1_30default_config_static_selectorELNS0_4arch9wavefront6targetE0EEEvT1_, .Lfunc_end362-_ZN7rocprim17ROCPRIM_400000_NS6detail17trampoline_kernelINS0_14default_configENS1_29reduce_by_key_config_selectorIjjN6thrust23THRUST_200600_302600_NS4plusIjEEEEZZNS1_33reduce_by_key_impl_wrapped_configILNS1_25lookback_scan_determinismE0ES3_S9_NS6_6detail15normal_iteratorINS6_10device_ptrIjEEEESG_SG_SG_PmS8_22is_equal_div_10_reduceIjEEE10hipError_tPvRmT2_T3_mT4_T5_T6_T7_T8_P12ihipStream_tbENKUlT_T0_E_clISt17integral_constantIbLb0EES11_EEDaSW_SX_EUlSW_E_NS1_11comp_targetILNS1_3genE8ELNS1_11target_archE1030ELNS1_3gpuE2ELNS1_3repE0EEENS1_30default_config_static_selectorELNS0_4arch9wavefront6targetE0EEEvT1_
                                        ; -- End function
	.section	.AMDGPU.csdata,"",@progbits
; Kernel info:
; codeLenInByte = 0
; NumSgprs: 0
; NumVgprs: 0
; ScratchSize: 0
; MemoryBound: 0
; FloatMode: 240
; IeeeMode: 1
; LDSByteSize: 0 bytes/workgroup (compile time only)
; SGPRBlocks: 0
; VGPRBlocks: 0
; NumSGPRsForWavesPerEU: 1
; NumVGPRsForWavesPerEU: 1
; Occupancy: 16
; WaveLimiterHint : 0
; COMPUTE_PGM_RSRC2:SCRATCH_EN: 0
; COMPUTE_PGM_RSRC2:USER_SGPR: 15
; COMPUTE_PGM_RSRC2:TRAP_HANDLER: 0
; COMPUTE_PGM_RSRC2:TGID_X_EN: 1
; COMPUTE_PGM_RSRC2:TGID_Y_EN: 0
; COMPUTE_PGM_RSRC2:TGID_Z_EN: 0
; COMPUTE_PGM_RSRC2:TIDIG_COMP_CNT: 0
	.section	.text._ZN7rocprim17ROCPRIM_400000_NS6detail17trampoline_kernelINS0_14default_configENS1_29reduce_by_key_config_selectorIjjN6thrust23THRUST_200600_302600_NS4plusIjEEEEZZNS1_33reduce_by_key_impl_wrapped_configILNS1_25lookback_scan_determinismE0ES3_S9_NS6_6detail15normal_iteratorINS6_10device_ptrIjEEEESG_SG_SG_PmS8_22is_equal_div_10_reduceIjEEE10hipError_tPvRmT2_T3_mT4_T5_T6_T7_T8_P12ihipStream_tbENKUlT_T0_E_clISt17integral_constantIbLb1EES11_EEDaSW_SX_EUlSW_E_NS1_11comp_targetILNS1_3genE0ELNS1_11target_archE4294967295ELNS1_3gpuE0ELNS1_3repE0EEENS1_30default_config_static_selectorELNS0_4arch9wavefront6targetE0EEEvT1_,"axG",@progbits,_ZN7rocprim17ROCPRIM_400000_NS6detail17trampoline_kernelINS0_14default_configENS1_29reduce_by_key_config_selectorIjjN6thrust23THRUST_200600_302600_NS4plusIjEEEEZZNS1_33reduce_by_key_impl_wrapped_configILNS1_25lookback_scan_determinismE0ES3_S9_NS6_6detail15normal_iteratorINS6_10device_ptrIjEEEESG_SG_SG_PmS8_22is_equal_div_10_reduceIjEEE10hipError_tPvRmT2_T3_mT4_T5_T6_T7_T8_P12ihipStream_tbENKUlT_T0_E_clISt17integral_constantIbLb1EES11_EEDaSW_SX_EUlSW_E_NS1_11comp_targetILNS1_3genE0ELNS1_11target_archE4294967295ELNS1_3gpuE0ELNS1_3repE0EEENS1_30default_config_static_selectorELNS0_4arch9wavefront6targetE0EEEvT1_,comdat
	.protected	_ZN7rocprim17ROCPRIM_400000_NS6detail17trampoline_kernelINS0_14default_configENS1_29reduce_by_key_config_selectorIjjN6thrust23THRUST_200600_302600_NS4plusIjEEEEZZNS1_33reduce_by_key_impl_wrapped_configILNS1_25lookback_scan_determinismE0ES3_S9_NS6_6detail15normal_iteratorINS6_10device_ptrIjEEEESG_SG_SG_PmS8_22is_equal_div_10_reduceIjEEE10hipError_tPvRmT2_T3_mT4_T5_T6_T7_T8_P12ihipStream_tbENKUlT_T0_E_clISt17integral_constantIbLb1EES11_EEDaSW_SX_EUlSW_E_NS1_11comp_targetILNS1_3genE0ELNS1_11target_archE4294967295ELNS1_3gpuE0ELNS1_3repE0EEENS1_30default_config_static_selectorELNS0_4arch9wavefront6targetE0EEEvT1_ ; -- Begin function _ZN7rocprim17ROCPRIM_400000_NS6detail17trampoline_kernelINS0_14default_configENS1_29reduce_by_key_config_selectorIjjN6thrust23THRUST_200600_302600_NS4plusIjEEEEZZNS1_33reduce_by_key_impl_wrapped_configILNS1_25lookback_scan_determinismE0ES3_S9_NS6_6detail15normal_iteratorINS6_10device_ptrIjEEEESG_SG_SG_PmS8_22is_equal_div_10_reduceIjEEE10hipError_tPvRmT2_T3_mT4_T5_T6_T7_T8_P12ihipStream_tbENKUlT_T0_E_clISt17integral_constantIbLb1EES11_EEDaSW_SX_EUlSW_E_NS1_11comp_targetILNS1_3genE0ELNS1_11target_archE4294967295ELNS1_3gpuE0ELNS1_3repE0EEENS1_30default_config_static_selectorELNS0_4arch9wavefront6targetE0EEEvT1_
	.globl	_ZN7rocprim17ROCPRIM_400000_NS6detail17trampoline_kernelINS0_14default_configENS1_29reduce_by_key_config_selectorIjjN6thrust23THRUST_200600_302600_NS4plusIjEEEEZZNS1_33reduce_by_key_impl_wrapped_configILNS1_25lookback_scan_determinismE0ES3_S9_NS6_6detail15normal_iteratorINS6_10device_ptrIjEEEESG_SG_SG_PmS8_22is_equal_div_10_reduceIjEEE10hipError_tPvRmT2_T3_mT4_T5_T6_T7_T8_P12ihipStream_tbENKUlT_T0_E_clISt17integral_constantIbLb1EES11_EEDaSW_SX_EUlSW_E_NS1_11comp_targetILNS1_3genE0ELNS1_11target_archE4294967295ELNS1_3gpuE0ELNS1_3repE0EEENS1_30default_config_static_selectorELNS0_4arch9wavefront6targetE0EEEvT1_
	.p2align	8
	.type	_ZN7rocprim17ROCPRIM_400000_NS6detail17trampoline_kernelINS0_14default_configENS1_29reduce_by_key_config_selectorIjjN6thrust23THRUST_200600_302600_NS4plusIjEEEEZZNS1_33reduce_by_key_impl_wrapped_configILNS1_25lookback_scan_determinismE0ES3_S9_NS6_6detail15normal_iteratorINS6_10device_ptrIjEEEESG_SG_SG_PmS8_22is_equal_div_10_reduceIjEEE10hipError_tPvRmT2_T3_mT4_T5_T6_T7_T8_P12ihipStream_tbENKUlT_T0_E_clISt17integral_constantIbLb1EES11_EEDaSW_SX_EUlSW_E_NS1_11comp_targetILNS1_3genE0ELNS1_11target_archE4294967295ELNS1_3gpuE0ELNS1_3repE0EEENS1_30default_config_static_selectorELNS0_4arch9wavefront6targetE0EEEvT1_,@function
_ZN7rocprim17ROCPRIM_400000_NS6detail17trampoline_kernelINS0_14default_configENS1_29reduce_by_key_config_selectorIjjN6thrust23THRUST_200600_302600_NS4plusIjEEEEZZNS1_33reduce_by_key_impl_wrapped_configILNS1_25lookback_scan_determinismE0ES3_S9_NS6_6detail15normal_iteratorINS6_10device_ptrIjEEEESG_SG_SG_PmS8_22is_equal_div_10_reduceIjEEE10hipError_tPvRmT2_T3_mT4_T5_T6_T7_T8_P12ihipStream_tbENKUlT_T0_E_clISt17integral_constantIbLb1EES11_EEDaSW_SX_EUlSW_E_NS1_11comp_targetILNS1_3genE0ELNS1_11target_archE4294967295ELNS1_3gpuE0ELNS1_3repE0EEENS1_30default_config_static_selectorELNS0_4arch9wavefront6targetE0EEEvT1_: ; @_ZN7rocprim17ROCPRIM_400000_NS6detail17trampoline_kernelINS0_14default_configENS1_29reduce_by_key_config_selectorIjjN6thrust23THRUST_200600_302600_NS4plusIjEEEEZZNS1_33reduce_by_key_impl_wrapped_configILNS1_25lookback_scan_determinismE0ES3_S9_NS6_6detail15normal_iteratorINS6_10device_ptrIjEEEESG_SG_SG_PmS8_22is_equal_div_10_reduceIjEEE10hipError_tPvRmT2_T3_mT4_T5_T6_T7_T8_P12ihipStream_tbENKUlT_T0_E_clISt17integral_constantIbLb1EES11_EEDaSW_SX_EUlSW_E_NS1_11comp_targetILNS1_3genE0ELNS1_11target_archE4294967295ELNS1_3gpuE0ELNS1_3repE0EEENS1_30default_config_static_selectorELNS0_4arch9wavefront6targetE0EEEvT1_
; %bb.0:
	.section	.rodata,"a",@progbits
	.p2align	6, 0x0
	.amdhsa_kernel _ZN7rocprim17ROCPRIM_400000_NS6detail17trampoline_kernelINS0_14default_configENS1_29reduce_by_key_config_selectorIjjN6thrust23THRUST_200600_302600_NS4plusIjEEEEZZNS1_33reduce_by_key_impl_wrapped_configILNS1_25lookback_scan_determinismE0ES3_S9_NS6_6detail15normal_iteratorINS6_10device_ptrIjEEEESG_SG_SG_PmS8_22is_equal_div_10_reduceIjEEE10hipError_tPvRmT2_T3_mT4_T5_T6_T7_T8_P12ihipStream_tbENKUlT_T0_E_clISt17integral_constantIbLb1EES11_EEDaSW_SX_EUlSW_E_NS1_11comp_targetILNS1_3genE0ELNS1_11target_archE4294967295ELNS1_3gpuE0ELNS1_3repE0EEENS1_30default_config_static_selectorELNS0_4arch9wavefront6targetE0EEEvT1_
		.amdhsa_group_segment_fixed_size 0
		.amdhsa_private_segment_fixed_size 0
		.amdhsa_kernarg_size 120
		.amdhsa_user_sgpr_count 15
		.amdhsa_user_sgpr_dispatch_ptr 0
		.amdhsa_user_sgpr_queue_ptr 0
		.amdhsa_user_sgpr_kernarg_segment_ptr 1
		.amdhsa_user_sgpr_dispatch_id 0
		.amdhsa_user_sgpr_private_segment_size 0
		.amdhsa_wavefront_size32 1
		.amdhsa_uses_dynamic_stack 0
		.amdhsa_enable_private_segment 0
		.amdhsa_system_sgpr_workgroup_id_x 1
		.amdhsa_system_sgpr_workgroup_id_y 0
		.amdhsa_system_sgpr_workgroup_id_z 0
		.amdhsa_system_sgpr_workgroup_info 0
		.amdhsa_system_vgpr_workitem_id 0
		.amdhsa_next_free_vgpr 1
		.amdhsa_next_free_sgpr 1
		.amdhsa_reserve_vcc 0
		.amdhsa_float_round_mode_32 0
		.amdhsa_float_round_mode_16_64 0
		.amdhsa_float_denorm_mode_32 3
		.amdhsa_float_denorm_mode_16_64 3
		.amdhsa_dx10_clamp 1
		.amdhsa_ieee_mode 1
		.amdhsa_fp16_overflow 0
		.amdhsa_workgroup_processor_mode 1
		.amdhsa_memory_ordered 1
		.amdhsa_forward_progress 0
		.amdhsa_shared_vgpr_count 0
		.amdhsa_exception_fp_ieee_invalid_op 0
		.amdhsa_exception_fp_denorm_src 0
		.amdhsa_exception_fp_ieee_div_zero 0
		.amdhsa_exception_fp_ieee_overflow 0
		.amdhsa_exception_fp_ieee_underflow 0
		.amdhsa_exception_fp_ieee_inexact 0
		.amdhsa_exception_int_div_zero 0
	.end_amdhsa_kernel
	.section	.text._ZN7rocprim17ROCPRIM_400000_NS6detail17trampoline_kernelINS0_14default_configENS1_29reduce_by_key_config_selectorIjjN6thrust23THRUST_200600_302600_NS4plusIjEEEEZZNS1_33reduce_by_key_impl_wrapped_configILNS1_25lookback_scan_determinismE0ES3_S9_NS6_6detail15normal_iteratorINS6_10device_ptrIjEEEESG_SG_SG_PmS8_22is_equal_div_10_reduceIjEEE10hipError_tPvRmT2_T3_mT4_T5_T6_T7_T8_P12ihipStream_tbENKUlT_T0_E_clISt17integral_constantIbLb1EES11_EEDaSW_SX_EUlSW_E_NS1_11comp_targetILNS1_3genE0ELNS1_11target_archE4294967295ELNS1_3gpuE0ELNS1_3repE0EEENS1_30default_config_static_selectorELNS0_4arch9wavefront6targetE0EEEvT1_,"axG",@progbits,_ZN7rocprim17ROCPRIM_400000_NS6detail17trampoline_kernelINS0_14default_configENS1_29reduce_by_key_config_selectorIjjN6thrust23THRUST_200600_302600_NS4plusIjEEEEZZNS1_33reduce_by_key_impl_wrapped_configILNS1_25lookback_scan_determinismE0ES3_S9_NS6_6detail15normal_iteratorINS6_10device_ptrIjEEEESG_SG_SG_PmS8_22is_equal_div_10_reduceIjEEE10hipError_tPvRmT2_T3_mT4_T5_T6_T7_T8_P12ihipStream_tbENKUlT_T0_E_clISt17integral_constantIbLb1EES11_EEDaSW_SX_EUlSW_E_NS1_11comp_targetILNS1_3genE0ELNS1_11target_archE4294967295ELNS1_3gpuE0ELNS1_3repE0EEENS1_30default_config_static_selectorELNS0_4arch9wavefront6targetE0EEEvT1_,comdat
.Lfunc_end363:
	.size	_ZN7rocprim17ROCPRIM_400000_NS6detail17trampoline_kernelINS0_14default_configENS1_29reduce_by_key_config_selectorIjjN6thrust23THRUST_200600_302600_NS4plusIjEEEEZZNS1_33reduce_by_key_impl_wrapped_configILNS1_25lookback_scan_determinismE0ES3_S9_NS6_6detail15normal_iteratorINS6_10device_ptrIjEEEESG_SG_SG_PmS8_22is_equal_div_10_reduceIjEEE10hipError_tPvRmT2_T3_mT4_T5_T6_T7_T8_P12ihipStream_tbENKUlT_T0_E_clISt17integral_constantIbLb1EES11_EEDaSW_SX_EUlSW_E_NS1_11comp_targetILNS1_3genE0ELNS1_11target_archE4294967295ELNS1_3gpuE0ELNS1_3repE0EEENS1_30default_config_static_selectorELNS0_4arch9wavefront6targetE0EEEvT1_, .Lfunc_end363-_ZN7rocprim17ROCPRIM_400000_NS6detail17trampoline_kernelINS0_14default_configENS1_29reduce_by_key_config_selectorIjjN6thrust23THRUST_200600_302600_NS4plusIjEEEEZZNS1_33reduce_by_key_impl_wrapped_configILNS1_25lookback_scan_determinismE0ES3_S9_NS6_6detail15normal_iteratorINS6_10device_ptrIjEEEESG_SG_SG_PmS8_22is_equal_div_10_reduceIjEEE10hipError_tPvRmT2_T3_mT4_T5_T6_T7_T8_P12ihipStream_tbENKUlT_T0_E_clISt17integral_constantIbLb1EES11_EEDaSW_SX_EUlSW_E_NS1_11comp_targetILNS1_3genE0ELNS1_11target_archE4294967295ELNS1_3gpuE0ELNS1_3repE0EEENS1_30default_config_static_selectorELNS0_4arch9wavefront6targetE0EEEvT1_
                                        ; -- End function
	.section	.AMDGPU.csdata,"",@progbits
; Kernel info:
; codeLenInByte = 0
; NumSgprs: 0
; NumVgprs: 0
; ScratchSize: 0
; MemoryBound: 0
; FloatMode: 240
; IeeeMode: 1
; LDSByteSize: 0 bytes/workgroup (compile time only)
; SGPRBlocks: 0
; VGPRBlocks: 0
; NumSGPRsForWavesPerEU: 1
; NumVGPRsForWavesPerEU: 1
; Occupancy: 16
; WaveLimiterHint : 0
; COMPUTE_PGM_RSRC2:SCRATCH_EN: 0
; COMPUTE_PGM_RSRC2:USER_SGPR: 15
; COMPUTE_PGM_RSRC2:TRAP_HANDLER: 0
; COMPUTE_PGM_RSRC2:TGID_X_EN: 1
; COMPUTE_PGM_RSRC2:TGID_Y_EN: 0
; COMPUTE_PGM_RSRC2:TGID_Z_EN: 0
; COMPUTE_PGM_RSRC2:TIDIG_COMP_CNT: 0
	.section	.text._ZN7rocprim17ROCPRIM_400000_NS6detail17trampoline_kernelINS0_14default_configENS1_29reduce_by_key_config_selectorIjjN6thrust23THRUST_200600_302600_NS4plusIjEEEEZZNS1_33reduce_by_key_impl_wrapped_configILNS1_25lookback_scan_determinismE0ES3_S9_NS6_6detail15normal_iteratorINS6_10device_ptrIjEEEESG_SG_SG_PmS8_22is_equal_div_10_reduceIjEEE10hipError_tPvRmT2_T3_mT4_T5_T6_T7_T8_P12ihipStream_tbENKUlT_T0_E_clISt17integral_constantIbLb1EES11_EEDaSW_SX_EUlSW_E_NS1_11comp_targetILNS1_3genE5ELNS1_11target_archE942ELNS1_3gpuE9ELNS1_3repE0EEENS1_30default_config_static_selectorELNS0_4arch9wavefront6targetE0EEEvT1_,"axG",@progbits,_ZN7rocprim17ROCPRIM_400000_NS6detail17trampoline_kernelINS0_14default_configENS1_29reduce_by_key_config_selectorIjjN6thrust23THRUST_200600_302600_NS4plusIjEEEEZZNS1_33reduce_by_key_impl_wrapped_configILNS1_25lookback_scan_determinismE0ES3_S9_NS6_6detail15normal_iteratorINS6_10device_ptrIjEEEESG_SG_SG_PmS8_22is_equal_div_10_reduceIjEEE10hipError_tPvRmT2_T3_mT4_T5_T6_T7_T8_P12ihipStream_tbENKUlT_T0_E_clISt17integral_constantIbLb1EES11_EEDaSW_SX_EUlSW_E_NS1_11comp_targetILNS1_3genE5ELNS1_11target_archE942ELNS1_3gpuE9ELNS1_3repE0EEENS1_30default_config_static_selectorELNS0_4arch9wavefront6targetE0EEEvT1_,comdat
	.protected	_ZN7rocprim17ROCPRIM_400000_NS6detail17trampoline_kernelINS0_14default_configENS1_29reduce_by_key_config_selectorIjjN6thrust23THRUST_200600_302600_NS4plusIjEEEEZZNS1_33reduce_by_key_impl_wrapped_configILNS1_25lookback_scan_determinismE0ES3_S9_NS6_6detail15normal_iteratorINS6_10device_ptrIjEEEESG_SG_SG_PmS8_22is_equal_div_10_reduceIjEEE10hipError_tPvRmT2_T3_mT4_T5_T6_T7_T8_P12ihipStream_tbENKUlT_T0_E_clISt17integral_constantIbLb1EES11_EEDaSW_SX_EUlSW_E_NS1_11comp_targetILNS1_3genE5ELNS1_11target_archE942ELNS1_3gpuE9ELNS1_3repE0EEENS1_30default_config_static_selectorELNS0_4arch9wavefront6targetE0EEEvT1_ ; -- Begin function _ZN7rocprim17ROCPRIM_400000_NS6detail17trampoline_kernelINS0_14default_configENS1_29reduce_by_key_config_selectorIjjN6thrust23THRUST_200600_302600_NS4plusIjEEEEZZNS1_33reduce_by_key_impl_wrapped_configILNS1_25lookback_scan_determinismE0ES3_S9_NS6_6detail15normal_iteratorINS6_10device_ptrIjEEEESG_SG_SG_PmS8_22is_equal_div_10_reduceIjEEE10hipError_tPvRmT2_T3_mT4_T5_T6_T7_T8_P12ihipStream_tbENKUlT_T0_E_clISt17integral_constantIbLb1EES11_EEDaSW_SX_EUlSW_E_NS1_11comp_targetILNS1_3genE5ELNS1_11target_archE942ELNS1_3gpuE9ELNS1_3repE0EEENS1_30default_config_static_selectorELNS0_4arch9wavefront6targetE0EEEvT1_
	.globl	_ZN7rocprim17ROCPRIM_400000_NS6detail17trampoline_kernelINS0_14default_configENS1_29reduce_by_key_config_selectorIjjN6thrust23THRUST_200600_302600_NS4plusIjEEEEZZNS1_33reduce_by_key_impl_wrapped_configILNS1_25lookback_scan_determinismE0ES3_S9_NS6_6detail15normal_iteratorINS6_10device_ptrIjEEEESG_SG_SG_PmS8_22is_equal_div_10_reduceIjEEE10hipError_tPvRmT2_T3_mT4_T5_T6_T7_T8_P12ihipStream_tbENKUlT_T0_E_clISt17integral_constantIbLb1EES11_EEDaSW_SX_EUlSW_E_NS1_11comp_targetILNS1_3genE5ELNS1_11target_archE942ELNS1_3gpuE9ELNS1_3repE0EEENS1_30default_config_static_selectorELNS0_4arch9wavefront6targetE0EEEvT1_
	.p2align	8
	.type	_ZN7rocprim17ROCPRIM_400000_NS6detail17trampoline_kernelINS0_14default_configENS1_29reduce_by_key_config_selectorIjjN6thrust23THRUST_200600_302600_NS4plusIjEEEEZZNS1_33reduce_by_key_impl_wrapped_configILNS1_25lookback_scan_determinismE0ES3_S9_NS6_6detail15normal_iteratorINS6_10device_ptrIjEEEESG_SG_SG_PmS8_22is_equal_div_10_reduceIjEEE10hipError_tPvRmT2_T3_mT4_T5_T6_T7_T8_P12ihipStream_tbENKUlT_T0_E_clISt17integral_constantIbLb1EES11_EEDaSW_SX_EUlSW_E_NS1_11comp_targetILNS1_3genE5ELNS1_11target_archE942ELNS1_3gpuE9ELNS1_3repE0EEENS1_30default_config_static_selectorELNS0_4arch9wavefront6targetE0EEEvT1_,@function
_ZN7rocprim17ROCPRIM_400000_NS6detail17trampoline_kernelINS0_14default_configENS1_29reduce_by_key_config_selectorIjjN6thrust23THRUST_200600_302600_NS4plusIjEEEEZZNS1_33reduce_by_key_impl_wrapped_configILNS1_25lookback_scan_determinismE0ES3_S9_NS6_6detail15normal_iteratorINS6_10device_ptrIjEEEESG_SG_SG_PmS8_22is_equal_div_10_reduceIjEEE10hipError_tPvRmT2_T3_mT4_T5_T6_T7_T8_P12ihipStream_tbENKUlT_T0_E_clISt17integral_constantIbLb1EES11_EEDaSW_SX_EUlSW_E_NS1_11comp_targetILNS1_3genE5ELNS1_11target_archE942ELNS1_3gpuE9ELNS1_3repE0EEENS1_30default_config_static_selectorELNS0_4arch9wavefront6targetE0EEEvT1_: ; @_ZN7rocprim17ROCPRIM_400000_NS6detail17trampoline_kernelINS0_14default_configENS1_29reduce_by_key_config_selectorIjjN6thrust23THRUST_200600_302600_NS4plusIjEEEEZZNS1_33reduce_by_key_impl_wrapped_configILNS1_25lookback_scan_determinismE0ES3_S9_NS6_6detail15normal_iteratorINS6_10device_ptrIjEEEESG_SG_SG_PmS8_22is_equal_div_10_reduceIjEEE10hipError_tPvRmT2_T3_mT4_T5_T6_T7_T8_P12ihipStream_tbENKUlT_T0_E_clISt17integral_constantIbLb1EES11_EEDaSW_SX_EUlSW_E_NS1_11comp_targetILNS1_3genE5ELNS1_11target_archE942ELNS1_3gpuE9ELNS1_3repE0EEENS1_30default_config_static_selectorELNS0_4arch9wavefront6targetE0EEEvT1_
; %bb.0:
	.section	.rodata,"a",@progbits
	.p2align	6, 0x0
	.amdhsa_kernel _ZN7rocprim17ROCPRIM_400000_NS6detail17trampoline_kernelINS0_14default_configENS1_29reduce_by_key_config_selectorIjjN6thrust23THRUST_200600_302600_NS4plusIjEEEEZZNS1_33reduce_by_key_impl_wrapped_configILNS1_25lookback_scan_determinismE0ES3_S9_NS6_6detail15normal_iteratorINS6_10device_ptrIjEEEESG_SG_SG_PmS8_22is_equal_div_10_reduceIjEEE10hipError_tPvRmT2_T3_mT4_T5_T6_T7_T8_P12ihipStream_tbENKUlT_T0_E_clISt17integral_constantIbLb1EES11_EEDaSW_SX_EUlSW_E_NS1_11comp_targetILNS1_3genE5ELNS1_11target_archE942ELNS1_3gpuE9ELNS1_3repE0EEENS1_30default_config_static_selectorELNS0_4arch9wavefront6targetE0EEEvT1_
		.amdhsa_group_segment_fixed_size 0
		.amdhsa_private_segment_fixed_size 0
		.amdhsa_kernarg_size 120
		.amdhsa_user_sgpr_count 15
		.amdhsa_user_sgpr_dispatch_ptr 0
		.amdhsa_user_sgpr_queue_ptr 0
		.amdhsa_user_sgpr_kernarg_segment_ptr 1
		.amdhsa_user_sgpr_dispatch_id 0
		.amdhsa_user_sgpr_private_segment_size 0
		.amdhsa_wavefront_size32 1
		.amdhsa_uses_dynamic_stack 0
		.amdhsa_enable_private_segment 0
		.amdhsa_system_sgpr_workgroup_id_x 1
		.amdhsa_system_sgpr_workgroup_id_y 0
		.amdhsa_system_sgpr_workgroup_id_z 0
		.amdhsa_system_sgpr_workgroup_info 0
		.amdhsa_system_vgpr_workitem_id 0
		.amdhsa_next_free_vgpr 1
		.amdhsa_next_free_sgpr 1
		.amdhsa_reserve_vcc 0
		.amdhsa_float_round_mode_32 0
		.amdhsa_float_round_mode_16_64 0
		.amdhsa_float_denorm_mode_32 3
		.amdhsa_float_denorm_mode_16_64 3
		.amdhsa_dx10_clamp 1
		.amdhsa_ieee_mode 1
		.amdhsa_fp16_overflow 0
		.amdhsa_workgroup_processor_mode 1
		.amdhsa_memory_ordered 1
		.amdhsa_forward_progress 0
		.amdhsa_shared_vgpr_count 0
		.amdhsa_exception_fp_ieee_invalid_op 0
		.amdhsa_exception_fp_denorm_src 0
		.amdhsa_exception_fp_ieee_div_zero 0
		.amdhsa_exception_fp_ieee_overflow 0
		.amdhsa_exception_fp_ieee_underflow 0
		.amdhsa_exception_fp_ieee_inexact 0
		.amdhsa_exception_int_div_zero 0
	.end_amdhsa_kernel
	.section	.text._ZN7rocprim17ROCPRIM_400000_NS6detail17trampoline_kernelINS0_14default_configENS1_29reduce_by_key_config_selectorIjjN6thrust23THRUST_200600_302600_NS4plusIjEEEEZZNS1_33reduce_by_key_impl_wrapped_configILNS1_25lookback_scan_determinismE0ES3_S9_NS6_6detail15normal_iteratorINS6_10device_ptrIjEEEESG_SG_SG_PmS8_22is_equal_div_10_reduceIjEEE10hipError_tPvRmT2_T3_mT4_T5_T6_T7_T8_P12ihipStream_tbENKUlT_T0_E_clISt17integral_constantIbLb1EES11_EEDaSW_SX_EUlSW_E_NS1_11comp_targetILNS1_3genE5ELNS1_11target_archE942ELNS1_3gpuE9ELNS1_3repE0EEENS1_30default_config_static_selectorELNS0_4arch9wavefront6targetE0EEEvT1_,"axG",@progbits,_ZN7rocprim17ROCPRIM_400000_NS6detail17trampoline_kernelINS0_14default_configENS1_29reduce_by_key_config_selectorIjjN6thrust23THRUST_200600_302600_NS4plusIjEEEEZZNS1_33reduce_by_key_impl_wrapped_configILNS1_25lookback_scan_determinismE0ES3_S9_NS6_6detail15normal_iteratorINS6_10device_ptrIjEEEESG_SG_SG_PmS8_22is_equal_div_10_reduceIjEEE10hipError_tPvRmT2_T3_mT4_T5_T6_T7_T8_P12ihipStream_tbENKUlT_T0_E_clISt17integral_constantIbLb1EES11_EEDaSW_SX_EUlSW_E_NS1_11comp_targetILNS1_3genE5ELNS1_11target_archE942ELNS1_3gpuE9ELNS1_3repE0EEENS1_30default_config_static_selectorELNS0_4arch9wavefront6targetE0EEEvT1_,comdat
.Lfunc_end364:
	.size	_ZN7rocprim17ROCPRIM_400000_NS6detail17trampoline_kernelINS0_14default_configENS1_29reduce_by_key_config_selectorIjjN6thrust23THRUST_200600_302600_NS4plusIjEEEEZZNS1_33reduce_by_key_impl_wrapped_configILNS1_25lookback_scan_determinismE0ES3_S9_NS6_6detail15normal_iteratorINS6_10device_ptrIjEEEESG_SG_SG_PmS8_22is_equal_div_10_reduceIjEEE10hipError_tPvRmT2_T3_mT4_T5_T6_T7_T8_P12ihipStream_tbENKUlT_T0_E_clISt17integral_constantIbLb1EES11_EEDaSW_SX_EUlSW_E_NS1_11comp_targetILNS1_3genE5ELNS1_11target_archE942ELNS1_3gpuE9ELNS1_3repE0EEENS1_30default_config_static_selectorELNS0_4arch9wavefront6targetE0EEEvT1_, .Lfunc_end364-_ZN7rocprim17ROCPRIM_400000_NS6detail17trampoline_kernelINS0_14default_configENS1_29reduce_by_key_config_selectorIjjN6thrust23THRUST_200600_302600_NS4plusIjEEEEZZNS1_33reduce_by_key_impl_wrapped_configILNS1_25lookback_scan_determinismE0ES3_S9_NS6_6detail15normal_iteratorINS6_10device_ptrIjEEEESG_SG_SG_PmS8_22is_equal_div_10_reduceIjEEE10hipError_tPvRmT2_T3_mT4_T5_T6_T7_T8_P12ihipStream_tbENKUlT_T0_E_clISt17integral_constantIbLb1EES11_EEDaSW_SX_EUlSW_E_NS1_11comp_targetILNS1_3genE5ELNS1_11target_archE942ELNS1_3gpuE9ELNS1_3repE0EEENS1_30default_config_static_selectorELNS0_4arch9wavefront6targetE0EEEvT1_
                                        ; -- End function
	.section	.AMDGPU.csdata,"",@progbits
; Kernel info:
; codeLenInByte = 0
; NumSgprs: 0
; NumVgprs: 0
; ScratchSize: 0
; MemoryBound: 0
; FloatMode: 240
; IeeeMode: 1
; LDSByteSize: 0 bytes/workgroup (compile time only)
; SGPRBlocks: 0
; VGPRBlocks: 0
; NumSGPRsForWavesPerEU: 1
; NumVGPRsForWavesPerEU: 1
; Occupancy: 16
; WaveLimiterHint : 0
; COMPUTE_PGM_RSRC2:SCRATCH_EN: 0
; COMPUTE_PGM_RSRC2:USER_SGPR: 15
; COMPUTE_PGM_RSRC2:TRAP_HANDLER: 0
; COMPUTE_PGM_RSRC2:TGID_X_EN: 1
; COMPUTE_PGM_RSRC2:TGID_Y_EN: 0
; COMPUTE_PGM_RSRC2:TGID_Z_EN: 0
; COMPUTE_PGM_RSRC2:TIDIG_COMP_CNT: 0
	.section	.text._ZN7rocprim17ROCPRIM_400000_NS6detail17trampoline_kernelINS0_14default_configENS1_29reduce_by_key_config_selectorIjjN6thrust23THRUST_200600_302600_NS4plusIjEEEEZZNS1_33reduce_by_key_impl_wrapped_configILNS1_25lookback_scan_determinismE0ES3_S9_NS6_6detail15normal_iteratorINS6_10device_ptrIjEEEESG_SG_SG_PmS8_22is_equal_div_10_reduceIjEEE10hipError_tPvRmT2_T3_mT4_T5_T6_T7_T8_P12ihipStream_tbENKUlT_T0_E_clISt17integral_constantIbLb1EES11_EEDaSW_SX_EUlSW_E_NS1_11comp_targetILNS1_3genE4ELNS1_11target_archE910ELNS1_3gpuE8ELNS1_3repE0EEENS1_30default_config_static_selectorELNS0_4arch9wavefront6targetE0EEEvT1_,"axG",@progbits,_ZN7rocprim17ROCPRIM_400000_NS6detail17trampoline_kernelINS0_14default_configENS1_29reduce_by_key_config_selectorIjjN6thrust23THRUST_200600_302600_NS4plusIjEEEEZZNS1_33reduce_by_key_impl_wrapped_configILNS1_25lookback_scan_determinismE0ES3_S9_NS6_6detail15normal_iteratorINS6_10device_ptrIjEEEESG_SG_SG_PmS8_22is_equal_div_10_reduceIjEEE10hipError_tPvRmT2_T3_mT4_T5_T6_T7_T8_P12ihipStream_tbENKUlT_T0_E_clISt17integral_constantIbLb1EES11_EEDaSW_SX_EUlSW_E_NS1_11comp_targetILNS1_3genE4ELNS1_11target_archE910ELNS1_3gpuE8ELNS1_3repE0EEENS1_30default_config_static_selectorELNS0_4arch9wavefront6targetE0EEEvT1_,comdat
	.protected	_ZN7rocprim17ROCPRIM_400000_NS6detail17trampoline_kernelINS0_14default_configENS1_29reduce_by_key_config_selectorIjjN6thrust23THRUST_200600_302600_NS4plusIjEEEEZZNS1_33reduce_by_key_impl_wrapped_configILNS1_25lookback_scan_determinismE0ES3_S9_NS6_6detail15normal_iteratorINS6_10device_ptrIjEEEESG_SG_SG_PmS8_22is_equal_div_10_reduceIjEEE10hipError_tPvRmT2_T3_mT4_T5_T6_T7_T8_P12ihipStream_tbENKUlT_T0_E_clISt17integral_constantIbLb1EES11_EEDaSW_SX_EUlSW_E_NS1_11comp_targetILNS1_3genE4ELNS1_11target_archE910ELNS1_3gpuE8ELNS1_3repE0EEENS1_30default_config_static_selectorELNS0_4arch9wavefront6targetE0EEEvT1_ ; -- Begin function _ZN7rocprim17ROCPRIM_400000_NS6detail17trampoline_kernelINS0_14default_configENS1_29reduce_by_key_config_selectorIjjN6thrust23THRUST_200600_302600_NS4plusIjEEEEZZNS1_33reduce_by_key_impl_wrapped_configILNS1_25lookback_scan_determinismE0ES3_S9_NS6_6detail15normal_iteratorINS6_10device_ptrIjEEEESG_SG_SG_PmS8_22is_equal_div_10_reduceIjEEE10hipError_tPvRmT2_T3_mT4_T5_T6_T7_T8_P12ihipStream_tbENKUlT_T0_E_clISt17integral_constantIbLb1EES11_EEDaSW_SX_EUlSW_E_NS1_11comp_targetILNS1_3genE4ELNS1_11target_archE910ELNS1_3gpuE8ELNS1_3repE0EEENS1_30default_config_static_selectorELNS0_4arch9wavefront6targetE0EEEvT1_
	.globl	_ZN7rocprim17ROCPRIM_400000_NS6detail17trampoline_kernelINS0_14default_configENS1_29reduce_by_key_config_selectorIjjN6thrust23THRUST_200600_302600_NS4plusIjEEEEZZNS1_33reduce_by_key_impl_wrapped_configILNS1_25lookback_scan_determinismE0ES3_S9_NS6_6detail15normal_iteratorINS6_10device_ptrIjEEEESG_SG_SG_PmS8_22is_equal_div_10_reduceIjEEE10hipError_tPvRmT2_T3_mT4_T5_T6_T7_T8_P12ihipStream_tbENKUlT_T0_E_clISt17integral_constantIbLb1EES11_EEDaSW_SX_EUlSW_E_NS1_11comp_targetILNS1_3genE4ELNS1_11target_archE910ELNS1_3gpuE8ELNS1_3repE0EEENS1_30default_config_static_selectorELNS0_4arch9wavefront6targetE0EEEvT1_
	.p2align	8
	.type	_ZN7rocprim17ROCPRIM_400000_NS6detail17trampoline_kernelINS0_14default_configENS1_29reduce_by_key_config_selectorIjjN6thrust23THRUST_200600_302600_NS4plusIjEEEEZZNS1_33reduce_by_key_impl_wrapped_configILNS1_25lookback_scan_determinismE0ES3_S9_NS6_6detail15normal_iteratorINS6_10device_ptrIjEEEESG_SG_SG_PmS8_22is_equal_div_10_reduceIjEEE10hipError_tPvRmT2_T3_mT4_T5_T6_T7_T8_P12ihipStream_tbENKUlT_T0_E_clISt17integral_constantIbLb1EES11_EEDaSW_SX_EUlSW_E_NS1_11comp_targetILNS1_3genE4ELNS1_11target_archE910ELNS1_3gpuE8ELNS1_3repE0EEENS1_30default_config_static_selectorELNS0_4arch9wavefront6targetE0EEEvT1_,@function
_ZN7rocprim17ROCPRIM_400000_NS6detail17trampoline_kernelINS0_14default_configENS1_29reduce_by_key_config_selectorIjjN6thrust23THRUST_200600_302600_NS4plusIjEEEEZZNS1_33reduce_by_key_impl_wrapped_configILNS1_25lookback_scan_determinismE0ES3_S9_NS6_6detail15normal_iteratorINS6_10device_ptrIjEEEESG_SG_SG_PmS8_22is_equal_div_10_reduceIjEEE10hipError_tPvRmT2_T3_mT4_T5_T6_T7_T8_P12ihipStream_tbENKUlT_T0_E_clISt17integral_constantIbLb1EES11_EEDaSW_SX_EUlSW_E_NS1_11comp_targetILNS1_3genE4ELNS1_11target_archE910ELNS1_3gpuE8ELNS1_3repE0EEENS1_30default_config_static_selectorELNS0_4arch9wavefront6targetE0EEEvT1_: ; @_ZN7rocprim17ROCPRIM_400000_NS6detail17trampoline_kernelINS0_14default_configENS1_29reduce_by_key_config_selectorIjjN6thrust23THRUST_200600_302600_NS4plusIjEEEEZZNS1_33reduce_by_key_impl_wrapped_configILNS1_25lookback_scan_determinismE0ES3_S9_NS6_6detail15normal_iteratorINS6_10device_ptrIjEEEESG_SG_SG_PmS8_22is_equal_div_10_reduceIjEEE10hipError_tPvRmT2_T3_mT4_T5_T6_T7_T8_P12ihipStream_tbENKUlT_T0_E_clISt17integral_constantIbLb1EES11_EEDaSW_SX_EUlSW_E_NS1_11comp_targetILNS1_3genE4ELNS1_11target_archE910ELNS1_3gpuE8ELNS1_3repE0EEENS1_30default_config_static_selectorELNS0_4arch9wavefront6targetE0EEEvT1_
; %bb.0:
	.section	.rodata,"a",@progbits
	.p2align	6, 0x0
	.amdhsa_kernel _ZN7rocprim17ROCPRIM_400000_NS6detail17trampoline_kernelINS0_14default_configENS1_29reduce_by_key_config_selectorIjjN6thrust23THRUST_200600_302600_NS4plusIjEEEEZZNS1_33reduce_by_key_impl_wrapped_configILNS1_25lookback_scan_determinismE0ES3_S9_NS6_6detail15normal_iteratorINS6_10device_ptrIjEEEESG_SG_SG_PmS8_22is_equal_div_10_reduceIjEEE10hipError_tPvRmT2_T3_mT4_T5_T6_T7_T8_P12ihipStream_tbENKUlT_T0_E_clISt17integral_constantIbLb1EES11_EEDaSW_SX_EUlSW_E_NS1_11comp_targetILNS1_3genE4ELNS1_11target_archE910ELNS1_3gpuE8ELNS1_3repE0EEENS1_30default_config_static_selectorELNS0_4arch9wavefront6targetE0EEEvT1_
		.amdhsa_group_segment_fixed_size 0
		.amdhsa_private_segment_fixed_size 0
		.amdhsa_kernarg_size 120
		.amdhsa_user_sgpr_count 15
		.amdhsa_user_sgpr_dispatch_ptr 0
		.amdhsa_user_sgpr_queue_ptr 0
		.amdhsa_user_sgpr_kernarg_segment_ptr 1
		.amdhsa_user_sgpr_dispatch_id 0
		.amdhsa_user_sgpr_private_segment_size 0
		.amdhsa_wavefront_size32 1
		.amdhsa_uses_dynamic_stack 0
		.amdhsa_enable_private_segment 0
		.amdhsa_system_sgpr_workgroup_id_x 1
		.amdhsa_system_sgpr_workgroup_id_y 0
		.amdhsa_system_sgpr_workgroup_id_z 0
		.amdhsa_system_sgpr_workgroup_info 0
		.amdhsa_system_vgpr_workitem_id 0
		.amdhsa_next_free_vgpr 1
		.amdhsa_next_free_sgpr 1
		.amdhsa_reserve_vcc 0
		.amdhsa_float_round_mode_32 0
		.amdhsa_float_round_mode_16_64 0
		.amdhsa_float_denorm_mode_32 3
		.amdhsa_float_denorm_mode_16_64 3
		.amdhsa_dx10_clamp 1
		.amdhsa_ieee_mode 1
		.amdhsa_fp16_overflow 0
		.amdhsa_workgroup_processor_mode 1
		.amdhsa_memory_ordered 1
		.amdhsa_forward_progress 0
		.amdhsa_shared_vgpr_count 0
		.amdhsa_exception_fp_ieee_invalid_op 0
		.amdhsa_exception_fp_denorm_src 0
		.amdhsa_exception_fp_ieee_div_zero 0
		.amdhsa_exception_fp_ieee_overflow 0
		.amdhsa_exception_fp_ieee_underflow 0
		.amdhsa_exception_fp_ieee_inexact 0
		.amdhsa_exception_int_div_zero 0
	.end_amdhsa_kernel
	.section	.text._ZN7rocprim17ROCPRIM_400000_NS6detail17trampoline_kernelINS0_14default_configENS1_29reduce_by_key_config_selectorIjjN6thrust23THRUST_200600_302600_NS4plusIjEEEEZZNS1_33reduce_by_key_impl_wrapped_configILNS1_25lookback_scan_determinismE0ES3_S9_NS6_6detail15normal_iteratorINS6_10device_ptrIjEEEESG_SG_SG_PmS8_22is_equal_div_10_reduceIjEEE10hipError_tPvRmT2_T3_mT4_T5_T6_T7_T8_P12ihipStream_tbENKUlT_T0_E_clISt17integral_constantIbLb1EES11_EEDaSW_SX_EUlSW_E_NS1_11comp_targetILNS1_3genE4ELNS1_11target_archE910ELNS1_3gpuE8ELNS1_3repE0EEENS1_30default_config_static_selectorELNS0_4arch9wavefront6targetE0EEEvT1_,"axG",@progbits,_ZN7rocprim17ROCPRIM_400000_NS6detail17trampoline_kernelINS0_14default_configENS1_29reduce_by_key_config_selectorIjjN6thrust23THRUST_200600_302600_NS4plusIjEEEEZZNS1_33reduce_by_key_impl_wrapped_configILNS1_25lookback_scan_determinismE0ES3_S9_NS6_6detail15normal_iteratorINS6_10device_ptrIjEEEESG_SG_SG_PmS8_22is_equal_div_10_reduceIjEEE10hipError_tPvRmT2_T3_mT4_T5_T6_T7_T8_P12ihipStream_tbENKUlT_T0_E_clISt17integral_constantIbLb1EES11_EEDaSW_SX_EUlSW_E_NS1_11comp_targetILNS1_3genE4ELNS1_11target_archE910ELNS1_3gpuE8ELNS1_3repE0EEENS1_30default_config_static_selectorELNS0_4arch9wavefront6targetE0EEEvT1_,comdat
.Lfunc_end365:
	.size	_ZN7rocprim17ROCPRIM_400000_NS6detail17trampoline_kernelINS0_14default_configENS1_29reduce_by_key_config_selectorIjjN6thrust23THRUST_200600_302600_NS4plusIjEEEEZZNS1_33reduce_by_key_impl_wrapped_configILNS1_25lookback_scan_determinismE0ES3_S9_NS6_6detail15normal_iteratorINS6_10device_ptrIjEEEESG_SG_SG_PmS8_22is_equal_div_10_reduceIjEEE10hipError_tPvRmT2_T3_mT4_T5_T6_T7_T8_P12ihipStream_tbENKUlT_T0_E_clISt17integral_constantIbLb1EES11_EEDaSW_SX_EUlSW_E_NS1_11comp_targetILNS1_3genE4ELNS1_11target_archE910ELNS1_3gpuE8ELNS1_3repE0EEENS1_30default_config_static_selectorELNS0_4arch9wavefront6targetE0EEEvT1_, .Lfunc_end365-_ZN7rocprim17ROCPRIM_400000_NS6detail17trampoline_kernelINS0_14default_configENS1_29reduce_by_key_config_selectorIjjN6thrust23THRUST_200600_302600_NS4plusIjEEEEZZNS1_33reduce_by_key_impl_wrapped_configILNS1_25lookback_scan_determinismE0ES3_S9_NS6_6detail15normal_iteratorINS6_10device_ptrIjEEEESG_SG_SG_PmS8_22is_equal_div_10_reduceIjEEE10hipError_tPvRmT2_T3_mT4_T5_T6_T7_T8_P12ihipStream_tbENKUlT_T0_E_clISt17integral_constantIbLb1EES11_EEDaSW_SX_EUlSW_E_NS1_11comp_targetILNS1_3genE4ELNS1_11target_archE910ELNS1_3gpuE8ELNS1_3repE0EEENS1_30default_config_static_selectorELNS0_4arch9wavefront6targetE0EEEvT1_
                                        ; -- End function
	.section	.AMDGPU.csdata,"",@progbits
; Kernel info:
; codeLenInByte = 0
; NumSgprs: 0
; NumVgprs: 0
; ScratchSize: 0
; MemoryBound: 0
; FloatMode: 240
; IeeeMode: 1
; LDSByteSize: 0 bytes/workgroup (compile time only)
; SGPRBlocks: 0
; VGPRBlocks: 0
; NumSGPRsForWavesPerEU: 1
; NumVGPRsForWavesPerEU: 1
; Occupancy: 16
; WaveLimiterHint : 0
; COMPUTE_PGM_RSRC2:SCRATCH_EN: 0
; COMPUTE_PGM_RSRC2:USER_SGPR: 15
; COMPUTE_PGM_RSRC2:TRAP_HANDLER: 0
; COMPUTE_PGM_RSRC2:TGID_X_EN: 1
; COMPUTE_PGM_RSRC2:TGID_Y_EN: 0
; COMPUTE_PGM_RSRC2:TGID_Z_EN: 0
; COMPUTE_PGM_RSRC2:TIDIG_COMP_CNT: 0
	.section	.text._ZN7rocprim17ROCPRIM_400000_NS6detail17trampoline_kernelINS0_14default_configENS1_29reduce_by_key_config_selectorIjjN6thrust23THRUST_200600_302600_NS4plusIjEEEEZZNS1_33reduce_by_key_impl_wrapped_configILNS1_25lookback_scan_determinismE0ES3_S9_NS6_6detail15normal_iteratorINS6_10device_ptrIjEEEESG_SG_SG_PmS8_22is_equal_div_10_reduceIjEEE10hipError_tPvRmT2_T3_mT4_T5_T6_T7_T8_P12ihipStream_tbENKUlT_T0_E_clISt17integral_constantIbLb1EES11_EEDaSW_SX_EUlSW_E_NS1_11comp_targetILNS1_3genE3ELNS1_11target_archE908ELNS1_3gpuE7ELNS1_3repE0EEENS1_30default_config_static_selectorELNS0_4arch9wavefront6targetE0EEEvT1_,"axG",@progbits,_ZN7rocprim17ROCPRIM_400000_NS6detail17trampoline_kernelINS0_14default_configENS1_29reduce_by_key_config_selectorIjjN6thrust23THRUST_200600_302600_NS4plusIjEEEEZZNS1_33reduce_by_key_impl_wrapped_configILNS1_25lookback_scan_determinismE0ES3_S9_NS6_6detail15normal_iteratorINS6_10device_ptrIjEEEESG_SG_SG_PmS8_22is_equal_div_10_reduceIjEEE10hipError_tPvRmT2_T3_mT4_T5_T6_T7_T8_P12ihipStream_tbENKUlT_T0_E_clISt17integral_constantIbLb1EES11_EEDaSW_SX_EUlSW_E_NS1_11comp_targetILNS1_3genE3ELNS1_11target_archE908ELNS1_3gpuE7ELNS1_3repE0EEENS1_30default_config_static_selectorELNS0_4arch9wavefront6targetE0EEEvT1_,comdat
	.protected	_ZN7rocprim17ROCPRIM_400000_NS6detail17trampoline_kernelINS0_14default_configENS1_29reduce_by_key_config_selectorIjjN6thrust23THRUST_200600_302600_NS4plusIjEEEEZZNS1_33reduce_by_key_impl_wrapped_configILNS1_25lookback_scan_determinismE0ES3_S9_NS6_6detail15normal_iteratorINS6_10device_ptrIjEEEESG_SG_SG_PmS8_22is_equal_div_10_reduceIjEEE10hipError_tPvRmT2_T3_mT4_T5_T6_T7_T8_P12ihipStream_tbENKUlT_T0_E_clISt17integral_constantIbLb1EES11_EEDaSW_SX_EUlSW_E_NS1_11comp_targetILNS1_3genE3ELNS1_11target_archE908ELNS1_3gpuE7ELNS1_3repE0EEENS1_30default_config_static_selectorELNS0_4arch9wavefront6targetE0EEEvT1_ ; -- Begin function _ZN7rocprim17ROCPRIM_400000_NS6detail17trampoline_kernelINS0_14default_configENS1_29reduce_by_key_config_selectorIjjN6thrust23THRUST_200600_302600_NS4plusIjEEEEZZNS1_33reduce_by_key_impl_wrapped_configILNS1_25lookback_scan_determinismE0ES3_S9_NS6_6detail15normal_iteratorINS6_10device_ptrIjEEEESG_SG_SG_PmS8_22is_equal_div_10_reduceIjEEE10hipError_tPvRmT2_T3_mT4_T5_T6_T7_T8_P12ihipStream_tbENKUlT_T0_E_clISt17integral_constantIbLb1EES11_EEDaSW_SX_EUlSW_E_NS1_11comp_targetILNS1_3genE3ELNS1_11target_archE908ELNS1_3gpuE7ELNS1_3repE0EEENS1_30default_config_static_selectorELNS0_4arch9wavefront6targetE0EEEvT1_
	.globl	_ZN7rocprim17ROCPRIM_400000_NS6detail17trampoline_kernelINS0_14default_configENS1_29reduce_by_key_config_selectorIjjN6thrust23THRUST_200600_302600_NS4plusIjEEEEZZNS1_33reduce_by_key_impl_wrapped_configILNS1_25lookback_scan_determinismE0ES3_S9_NS6_6detail15normal_iteratorINS6_10device_ptrIjEEEESG_SG_SG_PmS8_22is_equal_div_10_reduceIjEEE10hipError_tPvRmT2_T3_mT4_T5_T6_T7_T8_P12ihipStream_tbENKUlT_T0_E_clISt17integral_constantIbLb1EES11_EEDaSW_SX_EUlSW_E_NS1_11comp_targetILNS1_3genE3ELNS1_11target_archE908ELNS1_3gpuE7ELNS1_3repE0EEENS1_30default_config_static_selectorELNS0_4arch9wavefront6targetE0EEEvT1_
	.p2align	8
	.type	_ZN7rocprim17ROCPRIM_400000_NS6detail17trampoline_kernelINS0_14default_configENS1_29reduce_by_key_config_selectorIjjN6thrust23THRUST_200600_302600_NS4plusIjEEEEZZNS1_33reduce_by_key_impl_wrapped_configILNS1_25lookback_scan_determinismE0ES3_S9_NS6_6detail15normal_iteratorINS6_10device_ptrIjEEEESG_SG_SG_PmS8_22is_equal_div_10_reduceIjEEE10hipError_tPvRmT2_T3_mT4_T5_T6_T7_T8_P12ihipStream_tbENKUlT_T0_E_clISt17integral_constantIbLb1EES11_EEDaSW_SX_EUlSW_E_NS1_11comp_targetILNS1_3genE3ELNS1_11target_archE908ELNS1_3gpuE7ELNS1_3repE0EEENS1_30default_config_static_selectorELNS0_4arch9wavefront6targetE0EEEvT1_,@function
_ZN7rocprim17ROCPRIM_400000_NS6detail17trampoline_kernelINS0_14default_configENS1_29reduce_by_key_config_selectorIjjN6thrust23THRUST_200600_302600_NS4plusIjEEEEZZNS1_33reduce_by_key_impl_wrapped_configILNS1_25lookback_scan_determinismE0ES3_S9_NS6_6detail15normal_iteratorINS6_10device_ptrIjEEEESG_SG_SG_PmS8_22is_equal_div_10_reduceIjEEE10hipError_tPvRmT2_T3_mT4_T5_T6_T7_T8_P12ihipStream_tbENKUlT_T0_E_clISt17integral_constantIbLb1EES11_EEDaSW_SX_EUlSW_E_NS1_11comp_targetILNS1_3genE3ELNS1_11target_archE908ELNS1_3gpuE7ELNS1_3repE0EEENS1_30default_config_static_selectorELNS0_4arch9wavefront6targetE0EEEvT1_: ; @_ZN7rocprim17ROCPRIM_400000_NS6detail17trampoline_kernelINS0_14default_configENS1_29reduce_by_key_config_selectorIjjN6thrust23THRUST_200600_302600_NS4plusIjEEEEZZNS1_33reduce_by_key_impl_wrapped_configILNS1_25lookback_scan_determinismE0ES3_S9_NS6_6detail15normal_iteratorINS6_10device_ptrIjEEEESG_SG_SG_PmS8_22is_equal_div_10_reduceIjEEE10hipError_tPvRmT2_T3_mT4_T5_T6_T7_T8_P12ihipStream_tbENKUlT_T0_E_clISt17integral_constantIbLb1EES11_EEDaSW_SX_EUlSW_E_NS1_11comp_targetILNS1_3genE3ELNS1_11target_archE908ELNS1_3gpuE7ELNS1_3repE0EEENS1_30default_config_static_selectorELNS0_4arch9wavefront6targetE0EEEvT1_
; %bb.0:
	.section	.rodata,"a",@progbits
	.p2align	6, 0x0
	.amdhsa_kernel _ZN7rocprim17ROCPRIM_400000_NS6detail17trampoline_kernelINS0_14default_configENS1_29reduce_by_key_config_selectorIjjN6thrust23THRUST_200600_302600_NS4plusIjEEEEZZNS1_33reduce_by_key_impl_wrapped_configILNS1_25lookback_scan_determinismE0ES3_S9_NS6_6detail15normal_iteratorINS6_10device_ptrIjEEEESG_SG_SG_PmS8_22is_equal_div_10_reduceIjEEE10hipError_tPvRmT2_T3_mT4_T5_T6_T7_T8_P12ihipStream_tbENKUlT_T0_E_clISt17integral_constantIbLb1EES11_EEDaSW_SX_EUlSW_E_NS1_11comp_targetILNS1_3genE3ELNS1_11target_archE908ELNS1_3gpuE7ELNS1_3repE0EEENS1_30default_config_static_selectorELNS0_4arch9wavefront6targetE0EEEvT1_
		.amdhsa_group_segment_fixed_size 0
		.amdhsa_private_segment_fixed_size 0
		.amdhsa_kernarg_size 120
		.amdhsa_user_sgpr_count 15
		.amdhsa_user_sgpr_dispatch_ptr 0
		.amdhsa_user_sgpr_queue_ptr 0
		.amdhsa_user_sgpr_kernarg_segment_ptr 1
		.amdhsa_user_sgpr_dispatch_id 0
		.amdhsa_user_sgpr_private_segment_size 0
		.amdhsa_wavefront_size32 1
		.amdhsa_uses_dynamic_stack 0
		.amdhsa_enable_private_segment 0
		.amdhsa_system_sgpr_workgroup_id_x 1
		.amdhsa_system_sgpr_workgroup_id_y 0
		.amdhsa_system_sgpr_workgroup_id_z 0
		.amdhsa_system_sgpr_workgroup_info 0
		.amdhsa_system_vgpr_workitem_id 0
		.amdhsa_next_free_vgpr 1
		.amdhsa_next_free_sgpr 1
		.amdhsa_reserve_vcc 0
		.amdhsa_float_round_mode_32 0
		.amdhsa_float_round_mode_16_64 0
		.amdhsa_float_denorm_mode_32 3
		.amdhsa_float_denorm_mode_16_64 3
		.amdhsa_dx10_clamp 1
		.amdhsa_ieee_mode 1
		.amdhsa_fp16_overflow 0
		.amdhsa_workgroup_processor_mode 1
		.amdhsa_memory_ordered 1
		.amdhsa_forward_progress 0
		.amdhsa_shared_vgpr_count 0
		.amdhsa_exception_fp_ieee_invalid_op 0
		.amdhsa_exception_fp_denorm_src 0
		.amdhsa_exception_fp_ieee_div_zero 0
		.amdhsa_exception_fp_ieee_overflow 0
		.amdhsa_exception_fp_ieee_underflow 0
		.amdhsa_exception_fp_ieee_inexact 0
		.amdhsa_exception_int_div_zero 0
	.end_amdhsa_kernel
	.section	.text._ZN7rocprim17ROCPRIM_400000_NS6detail17trampoline_kernelINS0_14default_configENS1_29reduce_by_key_config_selectorIjjN6thrust23THRUST_200600_302600_NS4plusIjEEEEZZNS1_33reduce_by_key_impl_wrapped_configILNS1_25lookback_scan_determinismE0ES3_S9_NS6_6detail15normal_iteratorINS6_10device_ptrIjEEEESG_SG_SG_PmS8_22is_equal_div_10_reduceIjEEE10hipError_tPvRmT2_T3_mT4_T5_T6_T7_T8_P12ihipStream_tbENKUlT_T0_E_clISt17integral_constantIbLb1EES11_EEDaSW_SX_EUlSW_E_NS1_11comp_targetILNS1_3genE3ELNS1_11target_archE908ELNS1_3gpuE7ELNS1_3repE0EEENS1_30default_config_static_selectorELNS0_4arch9wavefront6targetE0EEEvT1_,"axG",@progbits,_ZN7rocprim17ROCPRIM_400000_NS6detail17trampoline_kernelINS0_14default_configENS1_29reduce_by_key_config_selectorIjjN6thrust23THRUST_200600_302600_NS4plusIjEEEEZZNS1_33reduce_by_key_impl_wrapped_configILNS1_25lookback_scan_determinismE0ES3_S9_NS6_6detail15normal_iteratorINS6_10device_ptrIjEEEESG_SG_SG_PmS8_22is_equal_div_10_reduceIjEEE10hipError_tPvRmT2_T3_mT4_T5_T6_T7_T8_P12ihipStream_tbENKUlT_T0_E_clISt17integral_constantIbLb1EES11_EEDaSW_SX_EUlSW_E_NS1_11comp_targetILNS1_3genE3ELNS1_11target_archE908ELNS1_3gpuE7ELNS1_3repE0EEENS1_30default_config_static_selectorELNS0_4arch9wavefront6targetE0EEEvT1_,comdat
.Lfunc_end366:
	.size	_ZN7rocprim17ROCPRIM_400000_NS6detail17trampoline_kernelINS0_14default_configENS1_29reduce_by_key_config_selectorIjjN6thrust23THRUST_200600_302600_NS4plusIjEEEEZZNS1_33reduce_by_key_impl_wrapped_configILNS1_25lookback_scan_determinismE0ES3_S9_NS6_6detail15normal_iteratorINS6_10device_ptrIjEEEESG_SG_SG_PmS8_22is_equal_div_10_reduceIjEEE10hipError_tPvRmT2_T3_mT4_T5_T6_T7_T8_P12ihipStream_tbENKUlT_T0_E_clISt17integral_constantIbLb1EES11_EEDaSW_SX_EUlSW_E_NS1_11comp_targetILNS1_3genE3ELNS1_11target_archE908ELNS1_3gpuE7ELNS1_3repE0EEENS1_30default_config_static_selectorELNS0_4arch9wavefront6targetE0EEEvT1_, .Lfunc_end366-_ZN7rocprim17ROCPRIM_400000_NS6detail17trampoline_kernelINS0_14default_configENS1_29reduce_by_key_config_selectorIjjN6thrust23THRUST_200600_302600_NS4plusIjEEEEZZNS1_33reduce_by_key_impl_wrapped_configILNS1_25lookback_scan_determinismE0ES3_S9_NS6_6detail15normal_iteratorINS6_10device_ptrIjEEEESG_SG_SG_PmS8_22is_equal_div_10_reduceIjEEE10hipError_tPvRmT2_T3_mT4_T5_T6_T7_T8_P12ihipStream_tbENKUlT_T0_E_clISt17integral_constantIbLb1EES11_EEDaSW_SX_EUlSW_E_NS1_11comp_targetILNS1_3genE3ELNS1_11target_archE908ELNS1_3gpuE7ELNS1_3repE0EEENS1_30default_config_static_selectorELNS0_4arch9wavefront6targetE0EEEvT1_
                                        ; -- End function
	.section	.AMDGPU.csdata,"",@progbits
; Kernel info:
; codeLenInByte = 0
; NumSgprs: 0
; NumVgprs: 0
; ScratchSize: 0
; MemoryBound: 0
; FloatMode: 240
; IeeeMode: 1
; LDSByteSize: 0 bytes/workgroup (compile time only)
; SGPRBlocks: 0
; VGPRBlocks: 0
; NumSGPRsForWavesPerEU: 1
; NumVGPRsForWavesPerEU: 1
; Occupancy: 16
; WaveLimiterHint : 0
; COMPUTE_PGM_RSRC2:SCRATCH_EN: 0
; COMPUTE_PGM_RSRC2:USER_SGPR: 15
; COMPUTE_PGM_RSRC2:TRAP_HANDLER: 0
; COMPUTE_PGM_RSRC2:TGID_X_EN: 1
; COMPUTE_PGM_RSRC2:TGID_Y_EN: 0
; COMPUTE_PGM_RSRC2:TGID_Z_EN: 0
; COMPUTE_PGM_RSRC2:TIDIG_COMP_CNT: 0
	.section	.text._ZN7rocprim17ROCPRIM_400000_NS6detail17trampoline_kernelINS0_14default_configENS1_29reduce_by_key_config_selectorIjjN6thrust23THRUST_200600_302600_NS4plusIjEEEEZZNS1_33reduce_by_key_impl_wrapped_configILNS1_25lookback_scan_determinismE0ES3_S9_NS6_6detail15normal_iteratorINS6_10device_ptrIjEEEESG_SG_SG_PmS8_22is_equal_div_10_reduceIjEEE10hipError_tPvRmT2_T3_mT4_T5_T6_T7_T8_P12ihipStream_tbENKUlT_T0_E_clISt17integral_constantIbLb1EES11_EEDaSW_SX_EUlSW_E_NS1_11comp_targetILNS1_3genE2ELNS1_11target_archE906ELNS1_3gpuE6ELNS1_3repE0EEENS1_30default_config_static_selectorELNS0_4arch9wavefront6targetE0EEEvT1_,"axG",@progbits,_ZN7rocprim17ROCPRIM_400000_NS6detail17trampoline_kernelINS0_14default_configENS1_29reduce_by_key_config_selectorIjjN6thrust23THRUST_200600_302600_NS4plusIjEEEEZZNS1_33reduce_by_key_impl_wrapped_configILNS1_25lookback_scan_determinismE0ES3_S9_NS6_6detail15normal_iteratorINS6_10device_ptrIjEEEESG_SG_SG_PmS8_22is_equal_div_10_reduceIjEEE10hipError_tPvRmT2_T3_mT4_T5_T6_T7_T8_P12ihipStream_tbENKUlT_T0_E_clISt17integral_constantIbLb1EES11_EEDaSW_SX_EUlSW_E_NS1_11comp_targetILNS1_3genE2ELNS1_11target_archE906ELNS1_3gpuE6ELNS1_3repE0EEENS1_30default_config_static_selectorELNS0_4arch9wavefront6targetE0EEEvT1_,comdat
	.protected	_ZN7rocprim17ROCPRIM_400000_NS6detail17trampoline_kernelINS0_14default_configENS1_29reduce_by_key_config_selectorIjjN6thrust23THRUST_200600_302600_NS4plusIjEEEEZZNS1_33reduce_by_key_impl_wrapped_configILNS1_25lookback_scan_determinismE0ES3_S9_NS6_6detail15normal_iteratorINS6_10device_ptrIjEEEESG_SG_SG_PmS8_22is_equal_div_10_reduceIjEEE10hipError_tPvRmT2_T3_mT4_T5_T6_T7_T8_P12ihipStream_tbENKUlT_T0_E_clISt17integral_constantIbLb1EES11_EEDaSW_SX_EUlSW_E_NS1_11comp_targetILNS1_3genE2ELNS1_11target_archE906ELNS1_3gpuE6ELNS1_3repE0EEENS1_30default_config_static_selectorELNS0_4arch9wavefront6targetE0EEEvT1_ ; -- Begin function _ZN7rocprim17ROCPRIM_400000_NS6detail17trampoline_kernelINS0_14default_configENS1_29reduce_by_key_config_selectorIjjN6thrust23THRUST_200600_302600_NS4plusIjEEEEZZNS1_33reduce_by_key_impl_wrapped_configILNS1_25lookback_scan_determinismE0ES3_S9_NS6_6detail15normal_iteratorINS6_10device_ptrIjEEEESG_SG_SG_PmS8_22is_equal_div_10_reduceIjEEE10hipError_tPvRmT2_T3_mT4_T5_T6_T7_T8_P12ihipStream_tbENKUlT_T0_E_clISt17integral_constantIbLb1EES11_EEDaSW_SX_EUlSW_E_NS1_11comp_targetILNS1_3genE2ELNS1_11target_archE906ELNS1_3gpuE6ELNS1_3repE0EEENS1_30default_config_static_selectorELNS0_4arch9wavefront6targetE0EEEvT1_
	.globl	_ZN7rocprim17ROCPRIM_400000_NS6detail17trampoline_kernelINS0_14default_configENS1_29reduce_by_key_config_selectorIjjN6thrust23THRUST_200600_302600_NS4plusIjEEEEZZNS1_33reduce_by_key_impl_wrapped_configILNS1_25lookback_scan_determinismE0ES3_S9_NS6_6detail15normal_iteratorINS6_10device_ptrIjEEEESG_SG_SG_PmS8_22is_equal_div_10_reduceIjEEE10hipError_tPvRmT2_T3_mT4_T5_T6_T7_T8_P12ihipStream_tbENKUlT_T0_E_clISt17integral_constantIbLb1EES11_EEDaSW_SX_EUlSW_E_NS1_11comp_targetILNS1_3genE2ELNS1_11target_archE906ELNS1_3gpuE6ELNS1_3repE0EEENS1_30default_config_static_selectorELNS0_4arch9wavefront6targetE0EEEvT1_
	.p2align	8
	.type	_ZN7rocprim17ROCPRIM_400000_NS6detail17trampoline_kernelINS0_14default_configENS1_29reduce_by_key_config_selectorIjjN6thrust23THRUST_200600_302600_NS4plusIjEEEEZZNS1_33reduce_by_key_impl_wrapped_configILNS1_25lookback_scan_determinismE0ES3_S9_NS6_6detail15normal_iteratorINS6_10device_ptrIjEEEESG_SG_SG_PmS8_22is_equal_div_10_reduceIjEEE10hipError_tPvRmT2_T3_mT4_T5_T6_T7_T8_P12ihipStream_tbENKUlT_T0_E_clISt17integral_constantIbLb1EES11_EEDaSW_SX_EUlSW_E_NS1_11comp_targetILNS1_3genE2ELNS1_11target_archE906ELNS1_3gpuE6ELNS1_3repE0EEENS1_30default_config_static_selectorELNS0_4arch9wavefront6targetE0EEEvT1_,@function
_ZN7rocprim17ROCPRIM_400000_NS6detail17trampoline_kernelINS0_14default_configENS1_29reduce_by_key_config_selectorIjjN6thrust23THRUST_200600_302600_NS4plusIjEEEEZZNS1_33reduce_by_key_impl_wrapped_configILNS1_25lookback_scan_determinismE0ES3_S9_NS6_6detail15normal_iteratorINS6_10device_ptrIjEEEESG_SG_SG_PmS8_22is_equal_div_10_reduceIjEEE10hipError_tPvRmT2_T3_mT4_T5_T6_T7_T8_P12ihipStream_tbENKUlT_T0_E_clISt17integral_constantIbLb1EES11_EEDaSW_SX_EUlSW_E_NS1_11comp_targetILNS1_3genE2ELNS1_11target_archE906ELNS1_3gpuE6ELNS1_3repE0EEENS1_30default_config_static_selectorELNS0_4arch9wavefront6targetE0EEEvT1_: ; @_ZN7rocprim17ROCPRIM_400000_NS6detail17trampoline_kernelINS0_14default_configENS1_29reduce_by_key_config_selectorIjjN6thrust23THRUST_200600_302600_NS4plusIjEEEEZZNS1_33reduce_by_key_impl_wrapped_configILNS1_25lookback_scan_determinismE0ES3_S9_NS6_6detail15normal_iteratorINS6_10device_ptrIjEEEESG_SG_SG_PmS8_22is_equal_div_10_reduceIjEEE10hipError_tPvRmT2_T3_mT4_T5_T6_T7_T8_P12ihipStream_tbENKUlT_T0_E_clISt17integral_constantIbLb1EES11_EEDaSW_SX_EUlSW_E_NS1_11comp_targetILNS1_3genE2ELNS1_11target_archE906ELNS1_3gpuE6ELNS1_3repE0EEENS1_30default_config_static_selectorELNS0_4arch9wavefront6targetE0EEEvT1_
; %bb.0:
	.section	.rodata,"a",@progbits
	.p2align	6, 0x0
	.amdhsa_kernel _ZN7rocprim17ROCPRIM_400000_NS6detail17trampoline_kernelINS0_14default_configENS1_29reduce_by_key_config_selectorIjjN6thrust23THRUST_200600_302600_NS4plusIjEEEEZZNS1_33reduce_by_key_impl_wrapped_configILNS1_25lookback_scan_determinismE0ES3_S9_NS6_6detail15normal_iteratorINS6_10device_ptrIjEEEESG_SG_SG_PmS8_22is_equal_div_10_reduceIjEEE10hipError_tPvRmT2_T3_mT4_T5_T6_T7_T8_P12ihipStream_tbENKUlT_T0_E_clISt17integral_constantIbLb1EES11_EEDaSW_SX_EUlSW_E_NS1_11comp_targetILNS1_3genE2ELNS1_11target_archE906ELNS1_3gpuE6ELNS1_3repE0EEENS1_30default_config_static_selectorELNS0_4arch9wavefront6targetE0EEEvT1_
		.amdhsa_group_segment_fixed_size 0
		.amdhsa_private_segment_fixed_size 0
		.amdhsa_kernarg_size 120
		.amdhsa_user_sgpr_count 15
		.amdhsa_user_sgpr_dispatch_ptr 0
		.amdhsa_user_sgpr_queue_ptr 0
		.amdhsa_user_sgpr_kernarg_segment_ptr 1
		.amdhsa_user_sgpr_dispatch_id 0
		.amdhsa_user_sgpr_private_segment_size 0
		.amdhsa_wavefront_size32 1
		.amdhsa_uses_dynamic_stack 0
		.amdhsa_enable_private_segment 0
		.amdhsa_system_sgpr_workgroup_id_x 1
		.amdhsa_system_sgpr_workgroup_id_y 0
		.amdhsa_system_sgpr_workgroup_id_z 0
		.amdhsa_system_sgpr_workgroup_info 0
		.amdhsa_system_vgpr_workitem_id 0
		.amdhsa_next_free_vgpr 1
		.amdhsa_next_free_sgpr 1
		.amdhsa_reserve_vcc 0
		.amdhsa_float_round_mode_32 0
		.amdhsa_float_round_mode_16_64 0
		.amdhsa_float_denorm_mode_32 3
		.amdhsa_float_denorm_mode_16_64 3
		.amdhsa_dx10_clamp 1
		.amdhsa_ieee_mode 1
		.amdhsa_fp16_overflow 0
		.amdhsa_workgroup_processor_mode 1
		.amdhsa_memory_ordered 1
		.amdhsa_forward_progress 0
		.amdhsa_shared_vgpr_count 0
		.amdhsa_exception_fp_ieee_invalid_op 0
		.amdhsa_exception_fp_denorm_src 0
		.amdhsa_exception_fp_ieee_div_zero 0
		.amdhsa_exception_fp_ieee_overflow 0
		.amdhsa_exception_fp_ieee_underflow 0
		.amdhsa_exception_fp_ieee_inexact 0
		.amdhsa_exception_int_div_zero 0
	.end_amdhsa_kernel
	.section	.text._ZN7rocprim17ROCPRIM_400000_NS6detail17trampoline_kernelINS0_14default_configENS1_29reduce_by_key_config_selectorIjjN6thrust23THRUST_200600_302600_NS4plusIjEEEEZZNS1_33reduce_by_key_impl_wrapped_configILNS1_25lookback_scan_determinismE0ES3_S9_NS6_6detail15normal_iteratorINS6_10device_ptrIjEEEESG_SG_SG_PmS8_22is_equal_div_10_reduceIjEEE10hipError_tPvRmT2_T3_mT4_T5_T6_T7_T8_P12ihipStream_tbENKUlT_T0_E_clISt17integral_constantIbLb1EES11_EEDaSW_SX_EUlSW_E_NS1_11comp_targetILNS1_3genE2ELNS1_11target_archE906ELNS1_3gpuE6ELNS1_3repE0EEENS1_30default_config_static_selectorELNS0_4arch9wavefront6targetE0EEEvT1_,"axG",@progbits,_ZN7rocprim17ROCPRIM_400000_NS6detail17trampoline_kernelINS0_14default_configENS1_29reduce_by_key_config_selectorIjjN6thrust23THRUST_200600_302600_NS4plusIjEEEEZZNS1_33reduce_by_key_impl_wrapped_configILNS1_25lookback_scan_determinismE0ES3_S9_NS6_6detail15normal_iteratorINS6_10device_ptrIjEEEESG_SG_SG_PmS8_22is_equal_div_10_reduceIjEEE10hipError_tPvRmT2_T3_mT4_T5_T6_T7_T8_P12ihipStream_tbENKUlT_T0_E_clISt17integral_constantIbLb1EES11_EEDaSW_SX_EUlSW_E_NS1_11comp_targetILNS1_3genE2ELNS1_11target_archE906ELNS1_3gpuE6ELNS1_3repE0EEENS1_30default_config_static_selectorELNS0_4arch9wavefront6targetE0EEEvT1_,comdat
.Lfunc_end367:
	.size	_ZN7rocprim17ROCPRIM_400000_NS6detail17trampoline_kernelINS0_14default_configENS1_29reduce_by_key_config_selectorIjjN6thrust23THRUST_200600_302600_NS4plusIjEEEEZZNS1_33reduce_by_key_impl_wrapped_configILNS1_25lookback_scan_determinismE0ES3_S9_NS6_6detail15normal_iteratorINS6_10device_ptrIjEEEESG_SG_SG_PmS8_22is_equal_div_10_reduceIjEEE10hipError_tPvRmT2_T3_mT4_T5_T6_T7_T8_P12ihipStream_tbENKUlT_T0_E_clISt17integral_constantIbLb1EES11_EEDaSW_SX_EUlSW_E_NS1_11comp_targetILNS1_3genE2ELNS1_11target_archE906ELNS1_3gpuE6ELNS1_3repE0EEENS1_30default_config_static_selectorELNS0_4arch9wavefront6targetE0EEEvT1_, .Lfunc_end367-_ZN7rocprim17ROCPRIM_400000_NS6detail17trampoline_kernelINS0_14default_configENS1_29reduce_by_key_config_selectorIjjN6thrust23THRUST_200600_302600_NS4plusIjEEEEZZNS1_33reduce_by_key_impl_wrapped_configILNS1_25lookback_scan_determinismE0ES3_S9_NS6_6detail15normal_iteratorINS6_10device_ptrIjEEEESG_SG_SG_PmS8_22is_equal_div_10_reduceIjEEE10hipError_tPvRmT2_T3_mT4_T5_T6_T7_T8_P12ihipStream_tbENKUlT_T0_E_clISt17integral_constantIbLb1EES11_EEDaSW_SX_EUlSW_E_NS1_11comp_targetILNS1_3genE2ELNS1_11target_archE906ELNS1_3gpuE6ELNS1_3repE0EEENS1_30default_config_static_selectorELNS0_4arch9wavefront6targetE0EEEvT1_
                                        ; -- End function
	.section	.AMDGPU.csdata,"",@progbits
; Kernel info:
; codeLenInByte = 0
; NumSgprs: 0
; NumVgprs: 0
; ScratchSize: 0
; MemoryBound: 0
; FloatMode: 240
; IeeeMode: 1
; LDSByteSize: 0 bytes/workgroup (compile time only)
; SGPRBlocks: 0
; VGPRBlocks: 0
; NumSGPRsForWavesPerEU: 1
; NumVGPRsForWavesPerEU: 1
; Occupancy: 16
; WaveLimiterHint : 0
; COMPUTE_PGM_RSRC2:SCRATCH_EN: 0
; COMPUTE_PGM_RSRC2:USER_SGPR: 15
; COMPUTE_PGM_RSRC2:TRAP_HANDLER: 0
; COMPUTE_PGM_RSRC2:TGID_X_EN: 1
; COMPUTE_PGM_RSRC2:TGID_Y_EN: 0
; COMPUTE_PGM_RSRC2:TGID_Z_EN: 0
; COMPUTE_PGM_RSRC2:TIDIG_COMP_CNT: 0
	.section	.text._ZN7rocprim17ROCPRIM_400000_NS6detail17trampoline_kernelINS0_14default_configENS1_29reduce_by_key_config_selectorIjjN6thrust23THRUST_200600_302600_NS4plusIjEEEEZZNS1_33reduce_by_key_impl_wrapped_configILNS1_25lookback_scan_determinismE0ES3_S9_NS6_6detail15normal_iteratorINS6_10device_ptrIjEEEESG_SG_SG_PmS8_22is_equal_div_10_reduceIjEEE10hipError_tPvRmT2_T3_mT4_T5_T6_T7_T8_P12ihipStream_tbENKUlT_T0_E_clISt17integral_constantIbLb1EES11_EEDaSW_SX_EUlSW_E_NS1_11comp_targetILNS1_3genE10ELNS1_11target_archE1201ELNS1_3gpuE5ELNS1_3repE0EEENS1_30default_config_static_selectorELNS0_4arch9wavefront6targetE0EEEvT1_,"axG",@progbits,_ZN7rocprim17ROCPRIM_400000_NS6detail17trampoline_kernelINS0_14default_configENS1_29reduce_by_key_config_selectorIjjN6thrust23THRUST_200600_302600_NS4plusIjEEEEZZNS1_33reduce_by_key_impl_wrapped_configILNS1_25lookback_scan_determinismE0ES3_S9_NS6_6detail15normal_iteratorINS6_10device_ptrIjEEEESG_SG_SG_PmS8_22is_equal_div_10_reduceIjEEE10hipError_tPvRmT2_T3_mT4_T5_T6_T7_T8_P12ihipStream_tbENKUlT_T0_E_clISt17integral_constantIbLb1EES11_EEDaSW_SX_EUlSW_E_NS1_11comp_targetILNS1_3genE10ELNS1_11target_archE1201ELNS1_3gpuE5ELNS1_3repE0EEENS1_30default_config_static_selectorELNS0_4arch9wavefront6targetE0EEEvT1_,comdat
	.protected	_ZN7rocprim17ROCPRIM_400000_NS6detail17trampoline_kernelINS0_14default_configENS1_29reduce_by_key_config_selectorIjjN6thrust23THRUST_200600_302600_NS4plusIjEEEEZZNS1_33reduce_by_key_impl_wrapped_configILNS1_25lookback_scan_determinismE0ES3_S9_NS6_6detail15normal_iteratorINS6_10device_ptrIjEEEESG_SG_SG_PmS8_22is_equal_div_10_reduceIjEEE10hipError_tPvRmT2_T3_mT4_T5_T6_T7_T8_P12ihipStream_tbENKUlT_T0_E_clISt17integral_constantIbLb1EES11_EEDaSW_SX_EUlSW_E_NS1_11comp_targetILNS1_3genE10ELNS1_11target_archE1201ELNS1_3gpuE5ELNS1_3repE0EEENS1_30default_config_static_selectorELNS0_4arch9wavefront6targetE0EEEvT1_ ; -- Begin function _ZN7rocprim17ROCPRIM_400000_NS6detail17trampoline_kernelINS0_14default_configENS1_29reduce_by_key_config_selectorIjjN6thrust23THRUST_200600_302600_NS4plusIjEEEEZZNS1_33reduce_by_key_impl_wrapped_configILNS1_25lookback_scan_determinismE0ES3_S9_NS6_6detail15normal_iteratorINS6_10device_ptrIjEEEESG_SG_SG_PmS8_22is_equal_div_10_reduceIjEEE10hipError_tPvRmT2_T3_mT4_T5_T6_T7_T8_P12ihipStream_tbENKUlT_T0_E_clISt17integral_constantIbLb1EES11_EEDaSW_SX_EUlSW_E_NS1_11comp_targetILNS1_3genE10ELNS1_11target_archE1201ELNS1_3gpuE5ELNS1_3repE0EEENS1_30default_config_static_selectorELNS0_4arch9wavefront6targetE0EEEvT1_
	.globl	_ZN7rocprim17ROCPRIM_400000_NS6detail17trampoline_kernelINS0_14default_configENS1_29reduce_by_key_config_selectorIjjN6thrust23THRUST_200600_302600_NS4plusIjEEEEZZNS1_33reduce_by_key_impl_wrapped_configILNS1_25lookback_scan_determinismE0ES3_S9_NS6_6detail15normal_iteratorINS6_10device_ptrIjEEEESG_SG_SG_PmS8_22is_equal_div_10_reduceIjEEE10hipError_tPvRmT2_T3_mT4_T5_T6_T7_T8_P12ihipStream_tbENKUlT_T0_E_clISt17integral_constantIbLb1EES11_EEDaSW_SX_EUlSW_E_NS1_11comp_targetILNS1_3genE10ELNS1_11target_archE1201ELNS1_3gpuE5ELNS1_3repE0EEENS1_30default_config_static_selectorELNS0_4arch9wavefront6targetE0EEEvT1_
	.p2align	8
	.type	_ZN7rocprim17ROCPRIM_400000_NS6detail17trampoline_kernelINS0_14default_configENS1_29reduce_by_key_config_selectorIjjN6thrust23THRUST_200600_302600_NS4plusIjEEEEZZNS1_33reduce_by_key_impl_wrapped_configILNS1_25lookback_scan_determinismE0ES3_S9_NS6_6detail15normal_iteratorINS6_10device_ptrIjEEEESG_SG_SG_PmS8_22is_equal_div_10_reduceIjEEE10hipError_tPvRmT2_T3_mT4_T5_T6_T7_T8_P12ihipStream_tbENKUlT_T0_E_clISt17integral_constantIbLb1EES11_EEDaSW_SX_EUlSW_E_NS1_11comp_targetILNS1_3genE10ELNS1_11target_archE1201ELNS1_3gpuE5ELNS1_3repE0EEENS1_30default_config_static_selectorELNS0_4arch9wavefront6targetE0EEEvT1_,@function
_ZN7rocprim17ROCPRIM_400000_NS6detail17trampoline_kernelINS0_14default_configENS1_29reduce_by_key_config_selectorIjjN6thrust23THRUST_200600_302600_NS4plusIjEEEEZZNS1_33reduce_by_key_impl_wrapped_configILNS1_25lookback_scan_determinismE0ES3_S9_NS6_6detail15normal_iteratorINS6_10device_ptrIjEEEESG_SG_SG_PmS8_22is_equal_div_10_reduceIjEEE10hipError_tPvRmT2_T3_mT4_T5_T6_T7_T8_P12ihipStream_tbENKUlT_T0_E_clISt17integral_constantIbLb1EES11_EEDaSW_SX_EUlSW_E_NS1_11comp_targetILNS1_3genE10ELNS1_11target_archE1201ELNS1_3gpuE5ELNS1_3repE0EEENS1_30default_config_static_selectorELNS0_4arch9wavefront6targetE0EEEvT1_: ; @_ZN7rocprim17ROCPRIM_400000_NS6detail17trampoline_kernelINS0_14default_configENS1_29reduce_by_key_config_selectorIjjN6thrust23THRUST_200600_302600_NS4plusIjEEEEZZNS1_33reduce_by_key_impl_wrapped_configILNS1_25lookback_scan_determinismE0ES3_S9_NS6_6detail15normal_iteratorINS6_10device_ptrIjEEEESG_SG_SG_PmS8_22is_equal_div_10_reduceIjEEE10hipError_tPvRmT2_T3_mT4_T5_T6_T7_T8_P12ihipStream_tbENKUlT_T0_E_clISt17integral_constantIbLb1EES11_EEDaSW_SX_EUlSW_E_NS1_11comp_targetILNS1_3genE10ELNS1_11target_archE1201ELNS1_3gpuE5ELNS1_3repE0EEENS1_30default_config_static_selectorELNS0_4arch9wavefront6targetE0EEEvT1_
; %bb.0:
	.section	.rodata,"a",@progbits
	.p2align	6, 0x0
	.amdhsa_kernel _ZN7rocprim17ROCPRIM_400000_NS6detail17trampoline_kernelINS0_14default_configENS1_29reduce_by_key_config_selectorIjjN6thrust23THRUST_200600_302600_NS4plusIjEEEEZZNS1_33reduce_by_key_impl_wrapped_configILNS1_25lookback_scan_determinismE0ES3_S9_NS6_6detail15normal_iteratorINS6_10device_ptrIjEEEESG_SG_SG_PmS8_22is_equal_div_10_reduceIjEEE10hipError_tPvRmT2_T3_mT4_T5_T6_T7_T8_P12ihipStream_tbENKUlT_T0_E_clISt17integral_constantIbLb1EES11_EEDaSW_SX_EUlSW_E_NS1_11comp_targetILNS1_3genE10ELNS1_11target_archE1201ELNS1_3gpuE5ELNS1_3repE0EEENS1_30default_config_static_selectorELNS0_4arch9wavefront6targetE0EEEvT1_
		.amdhsa_group_segment_fixed_size 0
		.amdhsa_private_segment_fixed_size 0
		.amdhsa_kernarg_size 120
		.amdhsa_user_sgpr_count 15
		.amdhsa_user_sgpr_dispatch_ptr 0
		.amdhsa_user_sgpr_queue_ptr 0
		.amdhsa_user_sgpr_kernarg_segment_ptr 1
		.amdhsa_user_sgpr_dispatch_id 0
		.amdhsa_user_sgpr_private_segment_size 0
		.amdhsa_wavefront_size32 1
		.amdhsa_uses_dynamic_stack 0
		.amdhsa_enable_private_segment 0
		.amdhsa_system_sgpr_workgroup_id_x 1
		.amdhsa_system_sgpr_workgroup_id_y 0
		.amdhsa_system_sgpr_workgroup_id_z 0
		.amdhsa_system_sgpr_workgroup_info 0
		.amdhsa_system_vgpr_workitem_id 0
		.amdhsa_next_free_vgpr 1
		.amdhsa_next_free_sgpr 1
		.amdhsa_reserve_vcc 0
		.amdhsa_float_round_mode_32 0
		.amdhsa_float_round_mode_16_64 0
		.amdhsa_float_denorm_mode_32 3
		.amdhsa_float_denorm_mode_16_64 3
		.amdhsa_dx10_clamp 1
		.amdhsa_ieee_mode 1
		.amdhsa_fp16_overflow 0
		.amdhsa_workgroup_processor_mode 1
		.amdhsa_memory_ordered 1
		.amdhsa_forward_progress 0
		.amdhsa_shared_vgpr_count 0
		.amdhsa_exception_fp_ieee_invalid_op 0
		.amdhsa_exception_fp_denorm_src 0
		.amdhsa_exception_fp_ieee_div_zero 0
		.amdhsa_exception_fp_ieee_overflow 0
		.amdhsa_exception_fp_ieee_underflow 0
		.amdhsa_exception_fp_ieee_inexact 0
		.amdhsa_exception_int_div_zero 0
	.end_amdhsa_kernel
	.section	.text._ZN7rocprim17ROCPRIM_400000_NS6detail17trampoline_kernelINS0_14default_configENS1_29reduce_by_key_config_selectorIjjN6thrust23THRUST_200600_302600_NS4plusIjEEEEZZNS1_33reduce_by_key_impl_wrapped_configILNS1_25lookback_scan_determinismE0ES3_S9_NS6_6detail15normal_iteratorINS6_10device_ptrIjEEEESG_SG_SG_PmS8_22is_equal_div_10_reduceIjEEE10hipError_tPvRmT2_T3_mT4_T5_T6_T7_T8_P12ihipStream_tbENKUlT_T0_E_clISt17integral_constantIbLb1EES11_EEDaSW_SX_EUlSW_E_NS1_11comp_targetILNS1_3genE10ELNS1_11target_archE1201ELNS1_3gpuE5ELNS1_3repE0EEENS1_30default_config_static_selectorELNS0_4arch9wavefront6targetE0EEEvT1_,"axG",@progbits,_ZN7rocprim17ROCPRIM_400000_NS6detail17trampoline_kernelINS0_14default_configENS1_29reduce_by_key_config_selectorIjjN6thrust23THRUST_200600_302600_NS4plusIjEEEEZZNS1_33reduce_by_key_impl_wrapped_configILNS1_25lookback_scan_determinismE0ES3_S9_NS6_6detail15normal_iteratorINS6_10device_ptrIjEEEESG_SG_SG_PmS8_22is_equal_div_10_reduceIjEEE10hipError_tPvRmT2_T3_mT4_T5_T6_T7_T8_P12ihipStream_tbENKUlT_T0_E_clISt17integral_constantIbLb1EES11_EEDaSW_SX_EUlSW_E_NS1_11comp_targetILNS1_3genE10ELNS1_11target_archE1201ELNS1_3gpuE5ELNS1_3repE0EEENS1_30default_config_static_selectorELNS0_4arch9wavefront6targetE0EEEvT1_,comdat
.Lfunc_end368:
	.size	_ZN7rocprim17ROCPRIM_400000_NS6detail17trampoline_kernelINS0_14default_configENS1_29reduce_by_key_config_selectorIjjN6thrust23THRUST_200600_302600_NS4plusIjEEEEZZNS1_33reduce_by_key_impl_wrapped_configILNS1_25lookback_scan_determinismE0ES3_S9_NS6_6detail15normal_iteratorINS6_10device_ptrIjEEEESG_SG_SG_PmS8_22is_equal_div_10_reduceIjEEE10hipError_tPvRmT2_T3_mT4_T5_T6_T7_T8_P12ihipStream_tbENKUlT_T0_E_clISt17integral_constantIbLb1EES11_EEDaSW_SX_EUlSW_E_NS1_11comp_targetILNS1_3genE10ELNS1_11target_archE1201ELNS1_3gpuE5ELNS1_3repE0EEENS1_30default_config_static_selectorELNS0_4arch9wavefront6targetE0EEEvT1_, .Lfunc_end368-_ZN7rocprim17ROCPRIM_400000_NS6detail17trampoline_kernelINS0_14default_configENS1_29reduce_by_key_config_selectorIjjN6thrust23THRUST_200600_302600_NS4plusIjEEEEZZNS1_33reduce_by_key_impl_wrapped_configILNS1_25lookback_scan_determinismE0ES3_S9_NS6_6detail15normal_iteratorINS6_10device_ptrIjEEEESG_SG_SG_PmS8_22is_equal_div_10_reduceIjEEE10hipError_tPvRmT2_T3_mT4_T5_T6_T7_T8_P12ihipStream_tbENKUlT_T0_E_clISt17integral_constantIbLb1EES11_EEDaSW_SX_EUlSW_E_NS1_11comp_targetILNS1_3genE10ELNS1_11target_archE1201ELNS1_3gpuE5ELNS1_3repE0EEENS1_30default_config_static_selectorELNS0_4arch9wavefront6targetE0EEEvT1_
                                        ; -- End function
	.section	.AMDGPU.csdata,"",@progbits
; Kernel info:
; codeLenInByte = 0
; NumSgprs: 0
; NumVgprs: 0
; ScratchSize: 0
; MemoryBound: 0
; FloatMode: 240
; IeeeMode: 1
; LDSByteSize: 0 bytes/workgroup (compile time only)
; SGPRBlocks: 0
; VGPRBlocks: 0
; NumSGPRsForWavesPerEU: 1
; NumVGPRsForWavesPerEU: 1
; Occupancy: 16
; WaveLimiterHint : 0
; COMPUTE_PGM_RSRC2:SCRATCH_EN: 0
; COMPUTE_PGM_RSRC2:USER_SGPR: 15
; COMPUTE_PGM_RSRC2:TRAP_HANDLER: 0
; COMPUTE_PGM_RSRC2:TGID_X_EN: 1
; COMPUTE_PGM_RSRC2:TGID_Y_EN: 0
; COMPUTE_PGM_RSRC2:TGID_Z_EN: 0
; COMPUTE_PGM_RSRC2:TIDIG_COMP_CNT: 0
	.section	.text._ZN7rocprim17ROCPRIM_400000_NS6detail17trampoline_kernelINS0_14default_configENS1_29reduce_by_key_config_selectorIjjN6thrust23THRUST_200600_302600_NS4plusIjEEEEZZNS1_33reduce_by_key_impl_wrapped_configILNS1_25lookback_scan_determinismE0ES3_S9_NS6_6detail15normal_iteratorINS6_10device_ptrIjEEEESG_SG_SG_PmS8_22is_equal_div_10_reduceIjEEE10hipError_tPvRmT2_T3_mT4_T5_T6_T7_T8_P12ihipStream_tbENKUlT_T0_E_clISt17integral_constantIbLb1EES11_EEDaSW_SX_EUlSW_E_NS1_11comp_targetILNS1_3genE10ELNS1_11target_archE1200ELNS1_3gpuE4ELNS1_3repE0EEENS1_30default_config_static_selectorELNS0_4arch9wavefront6targetE0EEEvT1_,"axG",@progbits,_ZN7rocprim17ROCPRIM_400000_NS6detail17trampoline_kernelINS0_14default_configENS1_29reduce_by_key_config_selectorIjjN6thrust23THRUST_200600_302600_NS4plusIjEEEEZZNS1_33reduce_by_key_impl_wrapped_configILNS1_25lookback_scan_determinismE0ES3_S9_NS6_6detail15normal_iteratorINS6_10device_ptrIjEEEESG_SG_SG_PmS8_22is_equal_div_10_reduceIjEEE10hipError_tPvRmT2_T3_mT4_T5_T6_T7_T8_P12ihipStream_tbENKUlT_T0_E_clISt17integral_constantIbLb1EES11_EEDaSW_SX_EUlSW_E_NS1_11comp_targetILNS1_3genE10ELNS1_11target_archE1200ELNS1_3gpuE4ELNS1_3repE0EEENS1_30default_config_static_selectorELNS0_4arch9wavefront6targetE0EEEvT1_,comdat
	.protected	_ZN7rocprim17ROCPRIM_400000_NS6detail17trampoline_kernelINS0_14default_configENS1_29reduce_by_key_config_selectorIjjN6thrust23THRUST_200600_302600_NS4plusIjEEEEZZNS1_33reduce_by_key_impl_wrapped_configILNS1_25lookback_scan_determinismE0ES3_S9_NS6_6detail15normal_iteratorINS6_10device_ptrIjEEEESG_SG_SG_PmS8_22is_equal_div_10_reduceIjEEE10hipError_tPvRmT2_T3_mT4_T5_T6_T7_T8_P12ihipStream_tbENKUlT_T0_E_clISt17integral_constantIbLb1EES11_EEDaSW_SX_EUlSW_E_NS1_11comp_targetILNS1_3genE10ELNS1_11target_archE1200ELNS1_3gpuE4ELNS1_3repE0EEENS1_30default_config_static_selectorELNS0_4arch9wavefront6targetE0EEEvT1_ ; -- Begin function _ZN7rocprim17ROCPRIM_400000_NS6detail17trampoline_kernelINS0_14default_configENS1_29reduce_by_key_config_selectorIjjN6thrust23THRUST_200600_302600_NS4plusIjEEEEZZNS1_33reduce_by_key_impl_wrapped_configILNS1_25lookback_scan_determinismE0ES3_S9_NS6_6detail15normal_iteratorINS6_10device_ptrIjEEEESG_SG_SG_PmS8_22is_equal_div_10_reduceIjEEE10hipError_tPvRmT2_T3_mT4_T5_T6_T7_T8_P12ihipStream_tbENKUlT_T0_E_clISt17integral_constantIbLb1EES11_EEDaSW_SX_EUlSW_E_NS1_11comp_targetILNS1_3genE10ELNS1_11target_archE1200ELNS1_3gpuE4ELNS1_3repE0EEENS1_30default_config_static_selectorELNS0_4arch9wavefront6targetE0EEEvT1_
	.globl	_ZN7rocprim17ROCPRIM_400000_NS6detail17trampoline_kernelINS0_14default_configENS1_29reduce_by_key_config_selectorIjjN6thrust23THRUST_200600_302600_NS4plusIjEEEEZZNS1_33reduce_by_key_impl_wrapped_configILNS1_25lookback_scan_determinismE0ES3_S9_NS6_6detail15normal_iteratorINS6_10device_ptrIjEEEESG_SG_SG_PmS8_22is_equal_div_10_reduceIjEEE10hipError_tPvRmT2_T3_mT4_T5_T6_T7_T8_P12ihipStream_tbENKUlT_T0_E_clISt17integral_constantIbLb1EES11_EEDaSW_SX_EUlSW_E_NS1_11comp_targetILNS1_3genE10ELNS1_11target_archE1200ELNS1_3gpuE4ELNS1_3repE0EEENS1_30default_config_static_selectorELNS0_4arch9wavefront6targetE0EEEvT1_
	.p2align	8
	.type	_ZN7rocprim17ROCPRIM_400000_NS6detail17trampoline_kernelINS0_14default_configENS1_29reduce_by_key_config_selectorIjjN6thrust23THRUST_200600_302600_NS4plusIjEEEEZZNS1_33reduce_by_key_impl_wrapped_configILNS1_25lookback_scan_determinismE0ES3_S9_NS6_6detail15normal_iteratorINS6_10device_ptrIjEEEESG_SG_SG_PmS8_22is_equal_div_10_reduceIjEEE10hipError_tPvRmT2_T3_mT4_T5_T6_T7_T8_P12ihipStream_tbENKUlT_T0_E_clISt17integral_constantIbLb1EES11_EEDaSW_SX_EUlSW_E_NS1_11comp_targetILNS1_3genE10ELNS1_11target_archE1200ELNS1_3gpuE4ELNS1_3repE0EEENS1_30default_config_static_selectorELNS0_4arch9wavefront6targetE0EEEvT1_,@function
_ZN7rocprim17ROCPRIM_400000_NS6detail17trampoline_kernelINS0_14default_configENS1_29reduce_by_key_config_selectorIjjN6thrust23THRUST_200600_302600_NS4plusIjEEEEZZNS1_33reduce_by_key_impl_wrapped_configILNS1_25lookback_scan_determinismE0ES3_S9_NS6_6detail15normal_iteratorINS6_10device_ptrIjEEEESG_SG_SG_PmS8_22is_equal_div_10_reduceIjEEE10hipError_tPvRmT2_T3_mT4_T5_T6_T7_T8_P12ihipStream_tbENKUlT_T0_E_clISt17integral_constantIbLb1EES11_EEDaSW_SX_EUlSW_E_NS1_11comp_targetILNS1_3genE10ELNS1_11target_archE1200ELNS1_3gpuE4ELNS1_3repE0EEENS1_30default_config_static_selectorELNS0_4arch9wavefront6targetE0EEEvT1_: ; @_ZN7rocprim17ROCPRIM_400000_NS6detail17trampoline_kernelINS0_14default_configENS1_29reduce_by_key_config_selectorIjjN6thrust23THRUST_200600_302600_NS4plusIjEEEEZZNS1_33reduce_by_key_impl_wrapped_configILNS1_25lookback_scan_determinismE0ES3_S9_NS6_6detail15normal_iteratorINS6_10device_ptrIjEEEESG_SG_SG_PmS8_22is_equal_div_10_reduceIjEEE10hipError_tPvRmT2_T3_mT4_T5_T6_T7_T8_P12ihipStream_tbENKUlT_T0_E_clISt17integral_constantIbLb1EES11_EEDaSW_SX_EUlSW_E_NS1_11comp_targetILNS1_3genE10ELNS1_11target_archE1200ELNS1_3gpuE4ELNS1_3repE0EEENS1_30default_config_static_selectorELNS0_4arch9wavefront6targetE0EEEvT1_
; %bb.0:
	.section	.rodata,"a",@progbits
	.p2align	6, 0x0
	.amdhsa_kernel _ZN7rocprim17ROCPRIM_400000_NS6detail17trampoline_kernelINS0_14default_configENS1_29reduce_by_key_config_selectorIjjN6thrust23THRUST_200600_302600_NS4plusIjEEEEZZNS1_33reduce_by_key_impl_wrapped_configILNS1_25lookback_scan_determinismE0ES3_S9_NS6_6detail15normal_iteratorINS6_10device_ptrIjEEEESG_SG_SG_PmS8_22is_equal_div_10_reduceIjEEE10hipError_tPvRmT2_T3_mT4_T5_T6_T7_T8_P12ihipStream_tbENKUlT_T0_E_clISt17integral_constantIbLb1EES11_EEDaSW_SX_EUlSW_E_NS1_11comp_targetILNS1_3genE10ELNS1_11target_archE1200ELNS1_3gpuE4ELNS1_3repE0EEENS1_30default_config_static_selectorELNS0_4arch9wavefront6targetE0EEEvT1_
		.amdhsa_group_segment_fixed_size 0
		.amdhsa_private_segment_fixed_size 0
		.amdhsa_kernarg_size 120
		.amdhsa_user_sgpr_count 15
		.amdhsa_user_sgpr_dispatch_ptr 0
		.amdhsa_user_sgpr_queue_ptr 0
		.amdhsa_user_sgpr_kernarg_segment_ptr 1
		.amdhsa_user_sgpr_dispatch_id 0
		.amdhsa_user_sgpr_private_segment_size 0
		.amdhsa_wavefront_size32 1
		.amdhsa_uses_dynamic_stack 0
		.amdhsa_enable_private_segment 0
		.amdhsa_system_sgpr_workgroup_id_x 1
		.amdhsa_system_sgpr_workgroup_id_y 0
		.amdhsa_system_sgpr_workgroup_id_z 0
		.amdhsa_system_sgpr_workgroup_info 0
		.amdhsa_system_vgpr_workitem_id 0
		.amdhsa_next_free_vgpr 1
		.amdhsa_next_free_sgpr 1
		.amdhsa_reserve_vcc 0
		.amdhsa_float_round_mode_32 0
		.amdhsa_float_round_mode_16_64 0
		.amdhsa_float_denorm_mode_32 3
		.amdhsa_float_denorm_mode_16_64 3
		.amdhsa_dx10_clamp 1
		.amdhsa_ieee_mode 1
		.amdhsa_fp16_overflow 0
		.amdhsa_workgroup_processor_mode 1
		.amdhsa_memory_ordered 1
		.amdhsa_forward_progress 0
		.amdhsa_shared_vgpr_count 0
		.amdhsa_exception_fp_ieee_invalid_op 0
		.amdhsa_exception_fp_denorm_src 0
		.amdhsa_exception_fp_ieee_div_zero 0
		.amdhsa_exception_fp_ieee_overflow 0
		.amdhsa_exception_fp_ieee_underflow 0
		.amdhsa_exception_fp_ieee_inexact 0
		.amdhsa_exception_int_div_zero 0
	.end_amdhsa_kernel
	.section	.text._ZN7rocprim17ROCPRIM_400000_NS6detail17trampoline_kernelINS0_14default_configENS1_29reduce_by_key_config_selectorIjjN6thrust23THRUST_200600_302600_NS4plusIjEEEEZZNS1_33reduce_by_key_impl_wrapped_configILNS1_25lookback_scan_determinismE0ES3_S9_NS6_6detail15normal_iteratorINS6_10device_ptrIjEEEESG_SG_SG_PmS8_22is_equal_div_10_reduceIjEEE10hipError_tPvRmT2_T3_mT4_T5_T6_T7_T8_P12ihipStream_tbENKUlT_T0_E_clISt17integral_constantIbLb1EES11_EEDaSW_SX_EUlSW_E_NS1_11comp_targetILNS1_3genE10ELNS1_11target_archE1200ELNS1_3gpuE4ELNS1_3repE0EEENS1_30default_config_static_selectorELNS0_4arch9wavefront6targetE0EEEvT1_,"axG",@progbits,_ZN7rocprim17ROCPRIM_400000_NS6detail17trampoline_kernelINS0_14default_configENS1_29reduce_by_key_config_selectorIjjN6thrust23THRUST_200600_302600_NS4plusIjEEEEZZNS1_33reduce_by_key_impl_wrapped_configILNS1_25lookback_scan_determinismE0ES3_S9_NS6_6detail15normal_iteratorINS6_10device_ptrIjEEEESG_SG_SG_PmS8_22is_equal_div_10_reduceIjEEE10hipError_tPvRmT2_T3_mT4_T5_T6_T7_T8_P12ihipStream_tbENKUlT_T0_E_clISt17integral_constantIbLb1EES11_EEDaSW_SX_EUlSW_E_NS1_11comp_targetILNS1_3genE10ELNS1_11target_archE1200ELNS1_3gpuE4ELNS1_3repE0EEENS1_30default_config_static_selectorELNS0_4arch9wavefront6targetE0EEEvT1_,comdat
.Lfunc_end369:
	.size	_ZN7rocprim17ROCPRIM_400000_NS6detail17trampoline_kernelINS0_14default_configENS1_29reduce_by_key_config_selectorIjjN6thrust23THRUST_200600_302600_NS4plusIjEEEEZZNS1_33reduce_by_key_impl_wrapped_configILNS1_25lookback_scan_determinismE0ES3_S9_NS6_6detail15normal_iteratorINS6_10device_ptrIjEEEESG_SG_SG_PmS8_22is_equal_div_10_reduceIjEEE10hipError_tPvRmT2_T3_mT4_T5_T6_T7_T8_P12ihipStream_tbENKUlT_T0_E_clISt17integral_constantIbLb1EES11_EEDaSW_SX_EUlSW_E_NS1_11comp_targetILNS1_3genE10ELNS1_11target_archE1200ELNS1_3gpuE4ELNS1_3repE0EEENS1_30default_config_static_selectorELNS0_4arch9wavefront6targetE0EEEvT1_, .Lfunc_end369-_ZN7rocprim17ROCPRIM_400000_NS6detail17trampoline_kernelINS0_14default_configENS1_29reduce_by_key_config_selectorIjjN6thrust23THRUST_200600_302600_NS4plusIjEEEEZZNS1_33reduce_by_key_impl_wrapped_configILNS1_25lookback_scan_determinismE0ES3_S9_NS6_6detail15normal_iteratorINS6_10device_ptrIjEEEESG_SG_SG_PmS8_22is_equal_div_10_reduceIjEEE10hipError_tPvRmT2_T3_mT4_T5_T6_T7_T8_P12ihipStream_tbENKUlT_T0_E_clISt17integral_constantIbLb1EES11_EEDaSW_SX_EUlSW_E_NS1_11comp_targetILNS1_3genE10ELNS1_11target_archE1200ELNS1_3gpuE4ELNS1_3repE0EEENS1_30default_config_static_selectorELNS0_4arch9wavefront6targetE0EEEvT1_
                                        ; -- End function
	.section	.AMDGPU.csdata,"",@progbits
; Kernel info:
; codeLenInByte = 0
; NumSgprs: 0
; NumVgprs: 0
; ScratchSize: 0
; MemoryBound: 0
; FloatMode: 240
; IeeeMode: 1
; LDSByteSize: 0 bytes/workgroup (compile time only)
; SGPRBlocks: 0
; VGPRBlocks: 0
; NumSGPRsForWavesPerEU: 1
; NumVGPRsForWavesPerEU: 1
; Occupancy: 16
; WaveLimiterHint : 0
; COMPUTE_PGM_RSRC2:SCRATCH_EN: 0
; COMPUTE_PGM_RSRC2:USER_SGPR: 15
; COMPUTE_PGM_RSRC2:TRAP_HANDLER: 0
; COMPUTE_PGM_RSRC2:TGID_X_EN: 1
; COMPUTE_PGM_RSRC2:TGID_Y_EN: 0
; COMPUTE_PGM_RSRC2:TGID_Z_EN: 0
; COMPUTE_PGM_RSRC2:TIDIG_COMP_CNT: 0
	.section	.text._ZN7rocprim17ROCPRIM_400000_NS6detail17trampoline_kernelINS0_14default_configENS1_29reduce_by_key_config_selectorIjjN6thrust23THRUST_200600_302600_NS4plusIjEEEEZZNS1_33reduce_by_key_impl_wrapped_configILNS1_25lookback_scan_determinismE0ES3_S9_NS6_6detail15normal_iteratorINS6_10device_ptrIjEEEESG_SG_SG_PmS8_22is_equal_div_10_reduceIjEEE10hipError_tPvRmT2_T3_mT4_T5_T6_T7_T8_P12ihipStream_tbENKUlT_T0_E_clISt17integral_constantIbLb1EES11_EEDaSW_SX_EUlSW_E_NS1_11comp_targetILNS1_3genE9ELNS1_11target_archE1100ELNS1_3gpuE3ELNS1_3repE0EEENS1_30default_config_static_selectorELNS0_4arch9wavefront6targetE0EEEvT1_,"axG",@progbits,_ZN7rocprim17ROCPRIM_400000_NS6detail17trampoline_kernelINS0_14default_configENS1_29reduce_by_key_config_selectorIjjN6thrust23THRUST_200600_302600_NS4plusIjEEEEZZNS1_33reduce_by_key_impl_wrapped_configILNS1_25lookback_scan_determinismE0ES3_S9_NS6_6detail15normal_iteratorINS6_10device_ptrIjEEEESG_SG_SG_PmS8_22is_equal_div_10_reduceIjEEE10hipError_tPvRmT2_T3_mT4_T5_T6_T7_T8_P12ihipStream_tbENKUlT_T0_E_clISt17integral_constantIbLb1EES11_EEDaSW_SX_EUlSW_E_NS1_11comp_targetILNS1_3genE9ELNS1_11target_archE1100ELNS1_3gpuE3ELNS1_3repE0EEENS1_30default_config_static_selectorELNS0_4arch9wavefront6targetE0EEEvT1_,comdat
	.protected	_ZN7rocprim17ROCPRIM_400000_NS6detail17trampoline_kernelINS0_14default_configENS1_29reduce_by_key_config_selectorIjjN6thrust23THRUST_200600_302600_NS4plusIjEEEEZZNS1_33reduce_by_key_impl_wrapped_configILNS1_25lookback_scan_determinismE0ES3_S9_NS6_6detail15normal_iteratorINS6_10device_ptrIjEEEESG_SG_SG_PmS8_22is_equal_div_10_reduceIjEEE10hipError_tPvRmT2_T3_mT4_T5_T6_T7_T8_P12ihipStream_tbENKUlT_T0_E_clISt17integral_constantIbLb1EES11_EEDaSW_SX_EUlSW_E_NS1_11comp_targetILNS1_3genE9ELNS1_11target_archE1100ELNS1_3gpuE3ELNS1_3repE0EEENS1_30default_config_static_selectorELNS0_4arch9wavefront6targetE0EEEvT1_ ; -- Begin function _ZN7rocprim17ROCPRIM_400000_NS6detail17trampoline_kernelINS0_14default_configENS1_29reduce_by_key_config_selectorIjjN6thrust23THRUST_200600_302600_NS4plusIjEEEEZZNS1_33reduce_by_key_impl_wrapped_configILNS1_25lookback_scan_determinismE0ES3_S9_NS6_6detail15normal_iteratorINS6_10device_ptrIjEEEESG_SG_SG_PmS8_22is_equal_div_10_reduceIjEEE10hipError_tPvRmT2_T3_mT4_T5_T6_T7_T8_P12ihipStream_tbENKUlT_T0_E_clISt17integral_constantIbLb1EES11_EEDaSW_SX_EUlSW_E_NS1_11comp_targetILNS1_3genE9ELNS1_11target_archE1100ELNS1_3gpuE3ELNS1_3repE0EEENS1_30default_config_static_selectorELNS0_4arch9wavefront6targetE0EEEvT1_
	.globl	_ZN7rocprim17ROCPRIM_400000_NS6detail17trampoline_kernelINS0_14default_configENS1_29reduce_by_key_config_selectorIjjN6thrust23THRUST_200600_302600_NS4plusIjEEEEZZNS1_33reduce_by_key_impl_wrapped_configILNS1_25lookback_scan_determinismE0ES3_S9_NS6_6detail15normal_iteratorINS6_10device_ptrIjEEEESG_SG_SG_PmS8_22is_equal_div_10_reduceIjEEE10hipError_tPvRmT2_T3_mT4_T5_T6_T7_T8_P12ihipStream_tbENKUlT_T0_E_clISt17integral_constantIbLb1EES11_EEDaSW_SX_EUlSW_E_NS1_11comp_targetILNS1_3genE9ELNS1_11target_archE1100ELNS1_3gpuE3ELNS1_3repE0EEENS1_30default_config_static_selectorELNS0_4arch9wavefront6targetE0EEEvT1_
	.p2align	8
	.type	_ZN7rocprim17ROCPRIM_400000_NS6detail17trampoline_kernelINS0_14default_configENS1_29reduce_by_key_config_selectorIjjN6thrust23THRUST_200600_302600_NS4plusIjEEEEZZNS1_33reduce_by_key_impl_wrapped_configILNS1_25lookback_scan_determinismE0ES3_S9_NS6_6detail15normal_iteratorINS6_10device_ptrIjEEEESG_SG_SG_PmS8_22is_equal_div_10_reduceIjEEE10hipError_tPvRmT2_T3_mT4_T5_T6_T7_T8_P12ihipStream_tbENKUlT_T0_E_clISt17integral_constantIbLb1EES11_EEDaSW_SX_EUlSW_E_NS1_11comp_targetILNS1_3genE9ELNS1_11target_archE1100ELNS1_3gpuE3ELNS1_3repE0EEENS1_30default_config_static_selectorELNS0_4arch9wavefront6targetE0EEEvT1_,@function
_ZN7rocprim17ROCPRIM_400000_NS6detail17trampoline_kernelINS0_14default_configENS1_29reduce_by_key_config_selectorIjjN6thrust23THRUST_200600_302600_NS4plusIjEEEEZZNS1_33reduce_by_key_impl_wrapped_configILNS1_25lookback_scan_determinismE0ES3_S9_NS6_6detail15normal_iteratorINS6_10device_ptrIjEEEESG_SG_SG_PmS8_22is_equal_div_10_reduceIjEEE10hipError_tPvRmT2_T3_mT4_T5_T6_T7_T8_P12ihipStream_tbENKUlT_T0_E_clISt17integral_constantIbLb1EES11_EEDaSW_SX_EUlSW_E_NS1_11comp_targetILNS1_3genE9ELNS1_11target_archE1100ELNS1_3gpuE3ELNS1_3repE0EEENS1_30default_config_static_selectorELNS0_4arch9wavefront6targetE0EEEvT1_: ; @_ZN7rocprim17ROCPRIM_400000_NS6detail17trampoline_kernelINS0_14default_configENS1_29reduce_by_key_config_selectorIjjN6thrust23THRUST_200600_302600_NS4plusIjEEEEZZNS1_33reduce_by_key_impl_wrapped_configILNS1_25lookback_scan_determinismE0ES3_S9_NS6_6detail15normal_iteratorINS6_10device_ptrIjEEEESG_SG_SG_PmS8_22is_equal_div_10_reduceIjEEE10hipError_tPvRmT2_T3_mT4_T5_T6_T7_T8_P12ihipStream_tbENKUlT_T0_E_clISt17integral_constantIbLb1EES11_EEDaSW_SX_EUlSW_E_NS1_11comp_targetILNS1_3genE9ELNS1_11target_archE1100ELNS1_3gpuE3ELNS1_3repE0EEENS1_30default_config_static_selectorELNS0_4arch9wavefront6targetE0EEEvT1_
; %bb.0:
	s_clause 0x4
	s_load_b256 s[12:19], s[0:1], 0x0
	s_load_b128 s[28:31], s[0:1], 0x20
	s_load_b256 s[20:27], s[0:1], 0x38
	s_load_b64 s[34:35], s[0:1], 0x68
	s_load_b128 s[36:39], s[0:1], 0x58
	v_cmp_ne_u32_e64 s3, 0, v0
	v_cmp_eq_u32_e64 s2, 0, v0
	s_delay_alu instid0(VALU_DEP_1)
	s_and_saveexec_b32 s4, s2
	s_cbranch_execz .LBB370_4
; %bb.1:
	s_mov_b32 s6, exec_lo
	s_mov_b32 s5, exec_lo
	v_mbcnt_lo_u32_b32 v1, s6, 0
                                        ; implicit-def: $vgpr2
	s_delay_alu instid0(VALU_DEP_1)
	v_cmpx_eq_u32_e32 0, v1
	s_cbranch_execz .LBB370_3
; %bb.2:
	s_load_b64 s[0:1], s[0:1], 0x70
	s_bcnt1_i32_b32 s6, s6
	s_delay_alu instid0(SALU_CYCLE_1)
	v_dual_mov_b32 v2, 0 :: v_dual_mov_b32 v3, s6
	s_waitcnt lgkmcnt(0)
	global_atomic_add_u32 v2, v2, v3, s[0:1] glc
.LBB370_3:
	s_or_b32 exec_lo, exec_lo, s5
	s_waitcnt vmcnt(0)
	v_readfirstlane_b32 s0, v2
	s_delay_alu instid0(VALU_DEP_1)
	v_dual_mov_b32 v2, 0 :: v_dual_add_nc_u32 v1, s0, v1
	ds_store_b32 v2, v1
.LBB370_4:
	s_or_b32 exec_lo, exec_lo, s4
	v_mov_b32_e32 v2, 0
	s_waitcnt lgkmcnt(0)
	s_barrier
	buffer_gl0_inv
	s_lshl_b64 s[4:5], s[14:15], 2
	ds_load_b32 v1, v2
	s_add_u32 s9, s12, s4
	s_mul_i32 s1, s24, s23
	s_mul_hi_u32 s6, s24, s22
	s_addc_u32 s10, s13, s5
	s_add_u32 s11, s16, s4
	s_mul_i32 s7, s25, s22
	s_addc_u32 s12, s17, s5
	s_add_i32 s1, s6, s1
	s_mul_i32 s8, s24, s22
	s_add_i32 s1, s1, s7
	s_mov_b32 s0, 0
	s_waitcnt lgkmcnt(0)
	s_barrier
	buffer_gl0_inv
	v_readfirstlane_b32 s33, v1
	v_mul_lo_u32 v1, 0xf00, v1
	s_delay_alu instid0(VALU_DEP_2) | instskip(SKIP_3) | instid1(VALU_DEP_1)
	s_add_u32 s24, s8, s33
	s_addc_u32 s25, s1, 0
	s_add_u32 s4, s26, -1
	s_addc_u32 s5, s27, -1
	v_lshlrev_b64 v[3:4], 2, v[1:2]
	s_cmp_eq_u64 s[24:25], s[4:5]
	s_mul_i32 s26, s4, 0xfffff100
	s_cselect_b32 s17, -1, 0
	s_cmp_lg_u64 s[24:25], s[4:5]
	s_delay_alu instid0(VALU_DEP_1)
	v_add_co_u32 v1, vcc_lo, s9, v3
	v_add_co_ci_u32_e32 v2, vcc_lo, s10, v4, vcc_lo
	v_add_co_u32 v3, vcc_lo, s11, v3
	v_add_co_ci_u32_e32 v4, vcc_lo, s12, v4, vcc_lo
	s_cselect_b32 s40, -1, 0
	s_and_b32 vcc_lo, exec_lo, s17
	s_cbranch_vccnz .LBB370_6
; %bb.5:
	v_lshlrev_b32_e32 v29, 2, v0
	s_delay_alu instid0(VALU_DEP_1) | instskip(SKIP_1) | instid1(VALU_DEP_2)
	v_add_co_u32 v5, vcc_lo, v1, v29
	v_add_co_ci_u32_e32 v6, vcc_lo, 0, v2, vcc_lo
	v_add_co_u32 v7, vcc_lo, 0x1000, v5
	s_delay_alu instid0(VALU_DEP_2)
	v_add_co_ci_u32_e32 v8, vcc_lo, 0, v6, vcc_lo
	s_clause 0x7
	flat_load_b32 v9, v[5:6]
	flat_load_b32 v10, v[5:6] offset:1024
	flat_load_b32 v11, v[5:6] offset:2048
	;; [unrolled: 1-line block ×3, first 2 shown]
	flat_load_b32 v13, v[7:8]
	flat_load_b32 v14, v[7:8] offset:1024
	flat_load_b32 v15, v[7:8] offset:2048
	flat_load_b32 v16, v[7:8] offset:3072
	v_add_co_u32 v7, vcc_lo, 0x2000, v5
	v_add_co_ci_u32_e32 v8, vcc_lo, 0, v6, vcc_lo
	v_add_co_u32 v5, vcc_lo, 0x3000, v5
	v_add_co_ci_u32_e32 v6, vcc_lo, 0, v6, vcc_lo
	s_clause 0x6
	flat_load_b32 v17, v[7:8]
	flat_load_b32 v18, v[7:8] offset:1024
	flat_load_b32 v19, v[7:8] offset:2048
	;; [unrolled: 1-line block ×3, first 2 shown]
	flat_load_b32 v20, v[5:6]
	flat_load_b32 v21, v[5:6] offset:1024
	flat_load_b32 v22, v[5:6] offset:2048
	v_add_co_u32 v6, vcc_lo, v3, v29
	v_add_co_ci_u32_e32 v7, vcc_lo, 0, v4, vcc_lo
	v_mad_u32_u24 v5, v0, 56, v29
	s_delay_alu instid0(VALU_DEP_3) | instskip(NEXT) | instid1(VALU_DEP_3)
	v_add_co_u32 v23, vcc_lo, 0x1000, v6
	v_add_co_ci_u32_e32 v24, vcc_lo, 0, v7, vcc_lo
	v_add_co_u32 v25, vcc_lo, 0x2000, v6
	v_add_co_ci_u32_e32 v26, vcc_lo, 0, v7, vcc_lo
	;; [unrolled: 2-line block ×3, first 2 shown]
	s_waitcnt vmcnt(13) lgkmcnt(13)
	ds_store_2addr_stride64_b32 v29, v9, v10 offset1:4
	s_waitcnt vmcnt(11) lgkmcnt(12)
	ds_store_2addr_stride64_b32 v29, v11, v12 offset0:8 offset1:12
	s_waitcnt vmcnt(9) lgkmcnt(11)
	ds_store_2addr_stride64_b32 v29, v13, v14 offset0:16 offset1:20
	;; [unrolled: 2-line block ×6, first 2 shown]
	s_waitcnt vmcnt(0) lgkmcnt(7)
	ds_store_b32 v29, v22 offset:14336
	s_waitcnt lgkmcnt(0)
	s_barrier
	buffer_gl0_inv
	ds_load_2addr_b32 v[21:22], v5 offset1:1
	ds_load_2addr_b32 v[19:20], v5 offset0:2 offset1:3
	ds_load_2addr_b32 v[17:18], v5 offset0:4 offset1:5
	;; [unrolled: 1-line block ×6, first 2 shown]
	ds_load_b32 v77, v5 offset:56
	s_waitcnt lgkmcnt(0)
	s_barrier
	buffer_gl0_inv
	s_clause 0xe
	flat_load_b32 v8, v[6:7]
	flat_load_b32 v30, v[6:7] offset:1024
	flat_load_b32 v31, v[6:7] offset:2048
	flat_load_b32 v6, v[6:7] offset:3072
	flat_load_b32 v7, v[23:24]
	flat_load_b32 v32, v[23:24] offset:1024
	flat_load_b32 v33, v[23:24] offset:2048
	flat_load_b32 v23, v[23:24] offset:3072
	;; [unrolled: 4-line block ×3, first 2 shown]
	flat_load_b32 v26, v[27:28]
	flat_load_b32 v36, v[27:28] offset:1024
	flat_load_b32 v27, v[27:28] offset:2048
	s_waitcnt vmcnt(13) lgkmcnt(13)
	ds_store_2addr_stride64_b32 v29, v8, v30 offset1:4
	s_waitcnt vmcnt(11) lgkmcnt(12)
	ds_store_2addr_stride64_b32 v29, v31, v6 offset0:8 offset1:12
	s_waitcnt vmcnt(9) lgkmcnt(11)
	ds_store_2addr_stride64_b32 v29, v7, v32 offset0:16 offset1:20
	;; [unrolled: 2-line block ×6, first 2 shown]
	s_waitcnt vmcnt(0) lgkmcnt(7)
	ds_store_b32 v29, v27 offset:14336
	s_waitcnt lgkmcnt(0)
	s_barrier
	s_and_not1_b32 vcc_lo, exec_lo, s0
	s_add_i32 s26, s26, s36
	s_cbranch_vccz .LBB370_7
	s_branch .LBB370_54
.LBB370_6:
                                        ; implicit-def: $vgpr5
                                        ; implicit-def: $vgpr21
                                        ; implicit-def: $vgpr19
                                        ; implicit-def: $vgpr17
                                        ; implicit-def: $vgpr15
                                        ; implicit-def: $vgpr13
                                        ; implicit-def: $vgpr11
                                        ; implicit-def: $vgpr9
                                        ; implicit-def: $vgpr77
	s_add_i32 s26, s26, s36
.LBB370_7:
	s_delay_alu instid0(SALU_CYCLE_1)
	v_cmp_gt_u32_e32 vcc_lo, s26, v0
                                        ; implicit-def: $vgpr5
	s_and_saveexec_b32 s1, vcc_lo
	s_cbranch_execz .LBB370_9
; %bb.8:
	v_lshlrev_b32_e32 v5, 2, v0
	s_delay_alu instid0(VALU_DEP_1) | instskip(NEXT) | instid1(VALU_DEP_1)
	v_add_co_u32 v5, s0, v1, v5
	v_add_co_ci_u32_e64 v6, s0, 0, v2, s0
	flat_load_b32 v5, v[5:6]
.LBB370_9:
	s_or_b32 exec_lo, exec_lo, s1
	v_or_b32_e32 v6, 0x100, v0
                                        ; implicit-def: $vgpr9
	s_delay_alu instid0(VALU_DEP_1) | instskip(NEXT) | instid1(VALU_DEP_1)
	v_cmp_gt_u32_e64 s0, s26, v6
	s_and_saveexec_b32 s4, s0
	s_cbranch_execz .LBB370_11
; %bb.10:
	v_lshlrev_b32_e32 v6, 2, v0
	s_delay_alu instid0(VALU_DEP_1) | instskip(NEXT) | instid1(VALU_DEP_1)
	v_add_co_u32 v6, s1, v1, v6
	v_add_co_ci_u32_e64 v7, s1, 0, v2, s1
	flat_load_b32 v9, v[6:7] offset:1024
.LBB370_11:
	s_or_b32 exec_lo, exec_lo, s4
	v_or_b32_e32 v6, 0x200, v0
                                        ; implicit-def: $vgpr10
	s_delay_alu instid0(VALU_DEP_1) | instskip(NEXT) | instid1(VALU_DEP_1)
	v_cmp_gt_u32_e64 s1, s26, v6
	s_and_saveexec_b32 s5, s1
	s_cbranch_execz .LBB370_13
; %bb.12:
	v_lshlrev_b32_e32 v6, 2, v0
	s_delay_alu instid0(VALU_DEP_1) | instskip(NEXT) | instid1(VALU_DEP_1)
	v_add_co_u32 v6, s4, v1, v6
	v_add_co_ci_u32_e64 v7, s4, 0, v2, s4
	flat_load_b32 v10, v[6:7] offset:2048
.LBB370_13:
	s_or_b32 exec_lo, exec_lo, s5
	v_or_b32_e32 v6, 0x300, v0
                                        ; implicit-def: $vgpr11
	s_delay_alu instid0(VALU_DEP_1) | instskip(NEXT) | instid1(VALU_DEP_1)
	v_cmp_gt_u32_e64 s4, s26, v6
	s_and_saveexec_b32 s6, s4
	s_cbranch_execz .LBB370_15
; %bb.14:
	v_lshlrev_b32_e32 v6, 2, v0
	s_delay_alu instid0(VALU_DEP_1) | instskip(NEXT) | instid1(VALU_DEP_1)
	v_add_co_u32 v6, s5, v1, v6
	v_add_co_ci_u32_e64 v7, s5, 0, v2, s5
	flat_load_b32 v11, v[6:7] offset:3072
.LBB370_15:
	s_or_b32 exec_lo, exec_lo, s6
	v_or_b32_e32 v6, 0x400, v0
                                        ; implicit-def: $vgpr12
	s_delay_alu instid0(VALU_DEP_1) | instskip(NEXT) | instid1(VALU_DEP_1)
	v_cmp_gt_u32_e64 s5, s26, v6
	s_and_saveexec_b32 s7, s5
	s_cbranch_execz .LBB370_17
; %bb.16:
	v_lshlrev_b32_e32 v7, 2, v6
	s_delay_alu instid0(VALU_DEP_1) | instskip(NEXT) | instid1(VALU_DEP_1)
	v_add_co_u32 v7, s6, v1, v7
	v_add_co_ci_u32_e64 v8, s6, 0, v2, s6
	flat_load_b32 v12, v[7:8]
.LBB370_17:
	s_or_b32 exec_lo, exec_lo, s7
	v_or_b32_e32 v7, 0x500, v0
                                        ; implicit-def: $vgpr13
	s_delay_alu instid0(VALU_DEP_1) | instskip(NEXT) | instid1(VALU_DEP_1)
	v_cmp_gt_u32_e64 s6, s26, v7
	s_and_saveexec_b32 s8, s6
	s_cbranch_execz .LBB370_19
; %bb.18:
	v_lshlrev_b32_e32 v8, 2, v7
	s_delay_alu instid0(VALU_DEP_1) | instskip(NEXT) | instid1(VALU_DEP_1)
	v_add_co_u32 v13, s7, v1, v8
	v_add_co_ci_u32_e64 v14, s7, 0, v2, s7
	flat_load_b32 v13, v[13:14]
.LBB370_19:
	s_or_b32 exec_lo, exec_lo, s8
	v_or_b32_e32 v8, 0x600, v0
                                        ; implicit-def: $vgpr14
	s_delay_alu instid0(VALU_DEP_1) | instskip(NEXT) | instid1(VALU_DEP_1)
	v_cmp_gt_u32_e64 s7, s26, v8
	s_and_saveexec_b32 s9, s7
	s_cbranch_execz .LBB370_21
; %bb.20:
	v_lshlrev_b32_e32 v14, 2, v8
	s_delay_alu instid0(VALU_DEP_1) | instskip(NEXT) | instid1(VALU_DEP_1)
	v_add_co_u32 v14, s8, v1, v14
	v_add_co_ci_u32_e64 v15, s8, 0, v2, s8
	flat_load_b32 v14, v[14:15]
.LBB370_21:
	s_or_b32 exec_lo, exec_lo, s9
	v_or_b32_e32 v23, 0x700, v0
                                        ; implicit-def: $vgpr15
	s_delay_alu instid0(VALU_DEP_1) | instskip(NEXT) | instid1(VALU_DEP_1)
	v_cmp_gt_u32_e64 s8, s26, v23
	s_and_saveexec_b32 s10, s8
	s_cbranch_execz .LBB370_23
; %bb.22:
	v_lshlrev_b32_e32 v15, 2, v23
	s_delay_alu instid0(VALU_DEP_1) | instskip(NEXT) | instid1(VALU_DEP_1)
	v_add_co_u32 v15, s9, v1, v15
	v_add_co_ci_u32_e64 v16, s9, 0, v2, s9
	flat_load_b32 v15, v[15:16]
.LBB370_23:
	s_or_b32 exec_lo, exec_lo, s10
	v_or_b32_e32 v24, 0x800, v0
                                        ; implicit-def: $vgpr16
	s_delay_alu instid0(VALU_DEP_1) | instskip(NEXT) | instid1(VALU_DEP_1)
	v_cmp_gt_u32_e64 s9, s26, v24
	s_and_saveexec_b32 s11, s9
	s_cbranch_execz .LBB370_25
; %bb.24:
	v_lshlrev_b32_e32 v16, 2, v24
	s_delay_alu instid0(VALU_DEP_1) | instskip(NEXT) | instid1(VALU_DEP_1)
	v_add_co_u32 v16, s10, v1, v16
	v_add_co_ci_u32_e64 v17, s10, 0, v2, s10
	flat_load_b32 v16, v[16:17]
.LBB370_25:
	s_or_b32 exec_lo, exec_lo, s11
	v_or_b32_e32 v26, 0x900, v0
                                        ; implicit-def: $vgpr17
	s_delay_alu instid0(VALU_DEP_1) | instskip(NEXT) | instid1(VALU_DEP_1)
	v_cmp_gt_u32_e64 s10, s26, v26
	s_and_saveexec_b32 s12, s10
	s_cbranch_execz .LBB370_27
; %bb.26:
	v_lshlrev_b32_e32 v17, 2, v26
	s_delay_alu instid0(VALU_DEP_1) | instskip(NEXT) | instid1(VALU_DEP_1)
	v_add_co_u32 v17, s11, v1, v17
	v_add_co_ci_u32_e64 v18, s11, 0, v2, s11
	flat_load_b32 v17, v[17:18]
.LBB370_27:
	s_or_b32 exec_lo, exec_lo, s12
	v_or_b32_e32 v27, 0xa00, v0
                                        ; implicit-def: $vgpr18
	s_delay_alu instid0(VALU_DEP_1) | instskip(NEXT) | instid1(VALU_DEP_1)
	v_cmp_gt_u32_e64 s11, s26, v27
	s_and_saveexec_b32 s13, s11
	s_cbranch_execz .LBB370_29
; %bb.28:
	v_lshlrev_b32_e32 v18, 2, v27
	s_delay_alu instid0(VALU_DEP_1) | instskip(NEXT) | instid1(VALU_DEP_1)
	v_add_co_u32 v18, s12, v1, v18
	v_add_co_ci_u32_e64 v19, s12, 0, v2, s12
	flat_load_b32 v18, v[18:19]
.LBB370_29:
	s_or_b32 exec_lo, exec_lo, s13
	v_or_b32_e32 v28, 0xb00, v0
                                        ; implicit-def: $vgpr19
	s_delay_alu instid0(VALU_DEP_1) | instskip(NEXT) | instid1(VALU_DEP_1)
	v_cmp_gt_u32_e64 s12, s26, v28
	s_and_saveexec_b32 s14, s12
	s_cbranch_execz .LBB370_31
; %bb.30:
	v_lshlrev_b32_e32 v19, 2, v28
	s_delay_alu instid0(VALU_DEP_1) | instskip(NEXT) | instid1(VALU_DEP_1)
	v_add_co_u32 v19, s13, v1, v19
	v_add_co_ci_u32_e64 v20, s13, 0, v2, s13
	flat_load_b32 v19, v[19:20]
.LBB370_31:
	s_or_b32 exec_lo, exec_lo, s14
	v_or_b32_e32 v29, 0xc00, v0
                                        ; implicit-def: $vgpr20
	s_delay_alu instid0(VALU_DEP_1) | instskip(NEXT) | instid1(VALU_DEP_1)
	v_cmp_gt_u32_e64 s13, s26, v29
	s_and_saveexec_b32 s15, s13
	s_cbranch_execz .LBB370_33
; %bb.32:
	v_lshlrev_b32_e32 v20, 2, v29
	s_delay_alu instid0(VALU_DEP_1) | instskip(NEXT) | instid1(VALU_DEP_1)
	v_add_co_u32 v20, s14, v1, v20
	v_add_co_ci_u32_e64 v21, s14, 0, v2, s14
	flat_load_b32 v20, v[20:21]
.LBB370_33:
	s_or_b32 exec_lo, exec_lo, s15
	v_or_b32_e32 v30, 0xd00, v0
                                        ; implicit-def: $vgpr21
	s_delay_alu instid0(VALU_DEP_1) | instskip(NEXT) | instid1(VALU_DEP_1)
	v_cmp_gt_u32_e64 s14, s26, v30
	s_and_saveexec_b32 s16, s14
	s_cbranch_execz .LBB370_35
; %bb.34:
	v_lshlrev_b32_e32 v21, 2, v30
	s_delay_alu instid0(VALU_DEP_1) | instskip(NEXT) | instid1(VALU_DEP_1)
	v_add_co_u32 v21, s15, v1, v21
	v_add_co_ci_u32_e64 v22, s15, 0, v2, s15
	flat_load_b32 v21, v[21:22]
.LBB370_35:
	s_or_b32 exec_lo, exec_lo, s16
	v_or_b32_e32 v31, 0xe00, v0
                                        ; implicit-def: $vgpr22
	s_delay_alu instid0(VALU_DEP_1) | instskip(NEXT) | instid1(VALU_DEP_1)
	v_cmp_gt_u32_e64 s15, s26, v31
	s_and_saveexec_b32 s27, s15
	s_cbranch_execz .LBB370_37
; %bb.36:
	v_lshlrev_b32_e32 v22, 2, v31
	s_delay_alu instid0(VALU_DEP_1) | instskip(NEXT) | instid1(VALU_DEP_1)
	v_add_co_u32 v32, s16, v1, v22
	v_add_co_ci_u32_e64 v33, s16, 0, v2, s16
	flat_load_b32 v22, v[32:33]
.LBB370_37:
	s_or_b32 exec_lo, exec_lo, s27
	v_lshlrev_b32_e32 v25, 2, v0
                                        ; implicit-def: $vgpr32
	s_waitcnt vmcnt(0) lgkmcnt(0)
	ds_store_2addr_stride64_b32 v25, v5, v9 offset1:4
	ds_store_2addr_stride64_b32 v25, v10, v11 offset0:8 offset1:12
	ds_store_2addr_stride64_b32 v25, v12, v13 offset0:16 offset1:20
	;; [unrolled: 1-line block ×6, first 2 shown]
	v_mad_u32_u24 v5, v0, 56, v25
	ds_store_b32 v25, v22 offset:14336
	s_waitcnt lgkmcnt(0)
	s_barrier
	buffer_gl0_inv
	ds_load_2addr_b32 v[21:22], v5 offset1:1
	ds_load_2addr_b32 v[19:20], v5 offset0:2 offset1:3
	ds_load_2addr_b32 v[17:18], v5 offset0:4 offset1:5
	;; [unrolled: 1-line block ×6, first 2 shown]
	ds_load_b32 v77, v5 offset:56
	s_waitcnt lgkmcnt(0)
	s_barrier
	buffer_gl0_inv
	s_and_saveexec_b32 s16, vcc_lo
	s_cbranch_execnz .LBB370_61
; %bb.38:
	s_or_b32 exec_lo, exec_lo, s16
                                        ; implicit-def: $vgpr33
	s_and_saveexec_b32 s16, s0
	s_cbranch_execnz .LBB370_62
.LBB370_39:
	s_or_b32 exec_lo, exec_lo, s16
                                        ; implicit-def: $vgpr34
	s_and_saveexec_b32 s0, s1
	s_cbranch_execnz .LBB370_63
.LBB370_40:
	s_or_b32 exec_lo, exec_lo, s0
                                        ; implicit-def: $vgpr35
	s_and_saveexec_b32 s0, s4
	s_cbranch_execnz .LBB370_64
.LBB370_41:
	s_or_b32 exec_lo, exec_lo, s0
                                        ; implicit-def: $vgpr36
	s_and_saveexec_b32 s0, s5
	s_cbranch_execnz .LBB370_65
.LBB370_42:
	s_or_b32 exec_lo, exec_lo, s0
                                        ; implicit-def: $vgpr6
	s_and_saveexec_b32 s0, s6
	s_cbranch_execnz .LBB370_66
.LBB370_43:
	s_or_b32 exec_lo, exec_lo, s0
                                        ; implicit-def: $vgpr7
	s_and_saveexec_b32 s0, s7
	s_cbranch_execnz .LBB370_67
.LBB370_44:
	s_or_b32 exec_lo, exec_lo, s0
                                        ; implicit-def: $vgpr8
	s_and_saveexec_b32 s0, s8
	s_cbranch_execnz .LBB370_68
.LBB370_45:
	s_or_b32 exec_lo, exec_lo, s0
                                        ; implicit-def: $vgpr23
	s_and_saveexec_b32 s0, s9
	s_cbranch_execnz .LBB370_69
.LBB370_46:
	s_or_b32 exec_lo, exec_lo, s0
                                        ; implicit-def: $vgpr24
	s_and_saveexec_b32 s0, s10
	s_cbranch_execnz .LBB370_70
.LBB370_47:
	s_or_b32 exec_lo, exec_lo, s0
                                        ; implicit-def: $vgpr26
	s_and_saveexec_b32 s0, s11
	s_cbranch_execnz .LBB370_71
.LBB370_48:
	s_or_b32 exec_lo, exec_lo, s0
                                        ; implicit-def: $vgpr27
	s_and_saveexec_b32 s0, s12
	s_cbranch_execnz .LBB370_72
.LBB370_49:
	s_or_b32 exec_lo, exec_lo, s0
                                        ; implicit-def: $vgpr28
	s_and_saveexec_b32 s0, s13
	s_cbranch_execnz .LBB370_73
.LBB370_50:
	s_or_b32 exec_lo, exec_lo, s0
                                        ; implicit-def: $vgpr29
	s_and_saveexec_b32 s0, s14
	s_cbranch_execnz .LBB370_74
.LBB370_51:
	s_or_b32 exec_lo, exec_lo, s0
                                        ; implicit-def: $vgpr30
	s_and_saveexec_b32 s0, s15
	s_cbranch_execz .LBB370_53
.LBB370_52:
	v_lshlrev_b32_e32 v30, 2, v31
	s_delay_alu instid0(VALU_DEP_1)
	v_add_co_u32 v3, vcc_lo, v3, v30
	v_add_co_ci_u32_e32 v4, vcc_lo, 0, v4, vcc_lo
	flat_load_b32 v30, v[3:4]
.LBB370_53:
	s_or_b32 exec_lo, exec_lo, s0
	s_waitcnt vmcnt(0) lgkmcnt(0)
	ds_store_2addr_stride64_b32 v25, v32, v33 offset1:4
	ds_store_2addr_stride64_b32 v25, v34, v35 offset0:8 offset1:12
	ds_store_2addr_stride64_b32 v25, v36, v6 offset0:16 offset1:20
	;; [unrolled: 1-line block ×6, first 2 shown]
	ds_store_b32 v25, v30 offset:14336
	s_waitcnt lgkmcnt(0)
	s_barrier
.LBB370_54:
	buffer_gl0_inv
	ds_load_2addr_b32 v[49:50], v5 offset1:1
	ds_load_2addr_b32 v[47:48], v5 offset0:2 offset1:3
	ds_load_2addr_b32 v[45:46], v5 offset0:4 offset1:5
	;; [unrolled: 1-line block ×6, first 2 shown]
	ds_load_b32 v79, v5 offset:56
	s_cmp_eq_u64 s[24:25], 0
	s_waitcnt lgkmcnt(0)
	s_cselect_b32 s27, -1, 0
	s_cmp_lg_u64 s[24:25], 0
	s_barrier
	s_cselect_b32 s16, -1, 0
	s_and_b32 vcc_lo, exec_lo, s40
	buffer_gl0_inv
	s_cbranch_vccz .LBB370_60
; %bb.55:
	s_and_b32 vcc_lo, exec_lo, s16
	s_cbranch_vccz .LBB370_75
; %bb.56:
	v_add_co_u32 v3, vcc_lo, -4, v1
	v_add_co_ci_u32_e32 v4, vcc_lo, -1, v2, vcc_lo
	v_mul_hi_i32 v5, 0x66666667, v77
	v_mul_hi_i32 v6, 0x66666667, v9
	;; [unrolled: 1-line block ×3, first 2 shown]
	flat_load_b32 v3, v[3:4]
	v_mul_hi_i32 v4, 0x66666667, v10
	v_mul_hi_i32 v26, 0x66666667, v11
	;; [unrolled: 1-line block ×3, first 2 shown]
	s_mov_b32 s15, -1
	v_lshrrev_b32_e32 v23, 31, v5
	v_ashrrev_i32_e32 v5, 2, v5
	v_lshrrev_b32_e32 v24, 31, v6
	v_ashrrev_i32_e32 v6, 2, v6
	;; [unrolled: 2-line block ×3, first 2 shown]
	v_add_nc_u32_e32 v5, v5, v23
	v_lshrrev_b32_e32 v23, 31, v25
	v_add_nc_u32_e32 v6, v6, v24
	v_ashrrev_i32_e32 v24, 2, v25
	v_add_nc_u32_e32 v7, v8, v7
	v_mul_hi_i32 v8, 0x66666667, v14
	v_lshrrev_b32_e32 v25, 31, v26
	v_ashrrev_i32_e32 v26, 2, v26
	v_lshlrev_b32_e32 v4, 2, v0
	v_cmp_ne_u32_e32 vcc_lo, v7, v5
	v_add_nc_u32_e32 v5, v24, v23
	v_cmp_ne_u32_e64 s0, v6, v7
	v_add_nc_u32_e32 v7, v26, v25
	v_lshrrev_b32_e32 v28, 31, v8
	v_ashrrev_i32_e32 v8, 2, v8
	v_mul_hi_i32 v24, 0x66666667, v16
	v_mul_hi_i32 v26, 0x66666667, v15
	v_cmp_ne_u32_e64 s1, v5, v6
	v_mul_hi_i32 v6, 0x66666667, v18
	v_add_nc_u32_e32 v8, v8, v28
	v_lshrrev_b32_e32 v23, 31, v27
	v_ashrrev_i32_e32 v25, 2, v27
	v_cmp_ne_u32_e64 s4, v7, v5
	ds_store_b32 v4, v77
	v_cmp_ne_u32_e64 s5, v8, v7
	v_lshrrev_b32_e32 v7, 31, v24
	v_add_nc_u32_e32 v5, v25, v23
	v_ashrrev_i32_e32 v23, 2, v24
	v_lshrrev_b32_e32 v24, 31, v26
	v_ashrrev_i32_e32 v25, 2, v26
	v_lshrrev_b32_e32 v26, 31, v6
	v_ashrrev_i32_e32 v6, 2, v6
	v_add_nc_u32_e32 v7, v23, v7
	v_cmp_ne_u32_e64 s6, v5, v8
	v_add_nc_u32_e32 v8, v25, v24
	v_mul_hi_i32 v23, 0x66666667, v17
	v_add_nc_u32_e32 v6, v6, v26
	v_cmp_ne_u32_e64 s7, v7, v5
	v_mul_hi_i32 v5, 0x66666667, v20
	v_cmp_ne_u32_e64 s8, v8, v7
	v_mul_hi_i32 v7, 0x66666667, v19
	;; [unrolled: 2-line block ×3, first 2 shown]
	v_mul_hi_i32 v25, 0x66666667, v21
	v_lshrrev_b32_e32 v24, 31, v23
	v_ashrrev_i32_e32 v23, 2, v23
	v_lshrrev_b32_e32 v26, 31, v5
	v_ashrrev_i32_e32 v5, 2, v5
	;; [unrolled: 2-line block ×5, first 2 shown]
	v_add_nc_u32_e32 v23, v23, v24
	v_add_nc_u32_e32 v24, v5, v26
	;; [unrolled: 1-line block ×5, first 2 shown]
	v_cmp_ne_u32_e64 s14, v23, v6
	v_cmp_ne_u32_e64 s10, v24, v23
	;; [unrolled: 1-line block ×5, first 2 shown]
	s_waitcnt vmcnt(0) lgkmcnt(0)
	s_barrier
	buffer_gl0_inv
	s_and_saveexec_b32 s40, s3
	s_cbranch_execz .LBB370_58
; %bb.57:
	v_add_nc_u32_e32 v3, -4, v4
	ds_load_b32 v3, v3
.LBB370_58:
	s_or_b32 exec_lo, exec_lo, s40
	s_waitcnt lgkmcnt(0)
	v_mul_hi_i32 v3, 0x66666667, v3
	v_cndmask_b32_e64 v78, 0, 1, vcc_lo
	v_cndmask_b32_e64 v24, 0, 1, s0
	v_cndmask_b32_e64 v23, 0, 1, s1
	;; [unrolled: 1-line block ×6, first 2 shown]
	v_lshrrev_b32_e32 v4, 31, v3
	v_ashrrev_i32_e32 v3, 2, v3
	v_cndmask_b32_e64 v30, 0, 1, s8
	v_cndmask_b32_e64 v29, 0, 1, s9
	;; [unrolled: 1-line block ×4, first 2 shown]
	v_add_nc_u32_e32 v3, v3, v4
	v_cndmask_b32_e64 v34, 0, 1, s11
	v_cndmask_b32_e64 v33, 0, 1, s12
	;; [unrolled: 1-line block ×3, first 2 shown]
	s_delay_alu instid0(VALU_DEP_4)
	v_cmp_ne_u32_e64 s4, v3, v5
.LBB370_59:
                                        ; implicit-def: $sgpr0
	s_branch .LBB370_114
.LBB370_60:
	s_mov_b32 s15, 0
                                        ; implicit-def: $sgpr4
                                        ; implicit-def: $vgpr78
                                        ; implicit-def: $vgpr24
                                        ; implicit-def: $vgpr23
                                        ; implicit-def: $vgpr26
                                        ; implicit-def: $vgpr25
                                        ; implicit-def: $vgpr28
                                        ; implicit-def: $vgpr27
                                        ; implicit-def: $vgpr30
                                        ; implicit-def: $vgpr29
                                        ; implicit-def: $vgpr32
                                        ; implicit-def: $vgpr31
                                        ; implicit-def: $vgpr34
                                        ; implicit-def: $vgpr33
                                        ; implicit-def: $vgpr36
                                        ; implicit-def: $sgpr0
	s_cbranch_execnz .LBB370_79
	s_branch .LBB370_114
.LBB370_61:
	v_add_co_u32 v32, vcc_lo, v3, v25
	v_add_co_ci_u32_e32 v33, vcc_lo, 0, v4, vcc_lo
	flat_load_b32 v32, v[32:33]
	s_or_b32 exec_lo, exec_lo, s16
                                        ; implicit-def: $vgpr33
	s_and_saveexec_b32 s16, s0
	s_cbranch_execz .LBB370_39
.LBB370_62:
	v_add_co_u32 v33, vcc_lo, v3, v25
	v_add_co_ci_u32_e32 v34, vcc_lo, 0, v4, vcc_lo
	flat_load_b32 v33, v[33:34] offset:1024
	s_or_b32 exec_lo, exec_lo, s16
                                        ; implicit-def: $vgpr34
	s_and_saveexec_b32 s0, s1
	s_cbranch_execz .LBB370_40
.LBB370_63:
	v_add_co_u32 v34, vcc_lo, v3, v25
	v_add_co_ci_u32_e32 v35, vcc_lo, 0, v4, vcc_lo
	flat_load_b32 v34, v[34:35] offset:2048
	s_or_b32 exec_lo, exec_lo, s0
                                        ; implicit-def: $vgpr35
	s_and_saveexec_b32 s0, s4
	s_cbranch_execz .LBB370_41
.LBB370_64:
	v_add_co_u32 v35, vcc_lo, v3, v25
	v_add_co_ci_u32_e32 v36, vcc_lo, 0, v4, vcc_lo
	flat_load_b32 v35, v[35:36] offset:3072
	s_or_b32 exec_lo, exec_lo, s0
                                        ; implicit-def: $vgpr36
	s_and_saveexec_b32 s0, s5
	s_cbranch_execz .LBB370_42
.LBB370_65:
	v_lshlrev_b32_e32 v6, 2, v6
	s_delay_alu instid0(VALU_DEP_1)
	v_add_co_u32 v36, vcc_lo, v3, v6
	v_add_co_ci_u32_e32 v37, vcc_lo, 0, v4, vcc_lo
	flat_load_b32 v36, v[36:37]
	s_or_b32 exec_lo, exec_lo, s0
                                        ; implicit-def: $vgpr6
	s_and_saveexec_b32 s0, s6
	s_cbranch_execz .LBB370_43
.LBB370_66:
	v_lshlrev_b32_e32 v6, 2, v7
	s_delay_alu instid0(VALU_DEP_1)
	v_add_co_u32 v6, vcc_lo, v3, v6
	v_add_co_ci_u32_e32 v7, vcc_lo, 0, v4, vcc_lo
	flat_load_b32 v6, v[6:7]
	s_or_b32 exec_lo, exec_lo, s0
                                        ; implicit-def: $vgpr7
	s_and_saveexec_b32 s0, s7
	s_cbranch_execz .LBB370_44
.LBB370_67:
	v_lshlrev_b32_e32 v7, 2, v8
	s_delay_alu instid0(VALU_DEP_1)
	v_add_co_u32 v7, vcc_lo, v3, v7
	v_add_co_ci_u32_e32 v8, vcc_lo, 0, v4, vcc_lo
	flat_load_b32 v7, v[7:8]
	s_or_b32 exec_lo, exec_lo, s0
                                        ; implicit-def: $vgpr8
	s_and_saveexec_b32 s0, s8
	s_cbranch_execz .LBB370_45
.LBB370_68:
	v_lshlrev_b32_e32 v8, 2, v23
	s_delay_alu instid0(VALU_DEP_1)
	v_add_co_u32 v37, vcc_lo, v3, v8
	v_add_co_ci_u32_e32 v38, vcc_lo, 0, v4, vcc_lo
	flat_load_b32 v8, v[37:38]
	s_or_b32 exec_lo, exec_lo, s0
                                        ; implicit-def: $vgpr23
	s_and_saveexec_b32 s0, s9
	s_cbranch_execz .LBB370_46
.LBB370_69:
	v_lshlrev_b32_e32 v23, 2, v24
	s_delay_alu instid0(VALU_DEP_1)
	v_add_co_u32 v23, vcc_lo, v3, v23
	v_add_co_ci_u32_e32 v24, vcc_lo, 0, v4, vcc_lo
	flat_load_b32 v23, v[23:24]
	s_or_b32 exec_lo, exec_lo, s0
                                        ; implicit-def: $vgpr24
	s_and_saveexec_b32 s0, s10
	s_cbranch_execz .LBB370_47
.LBB370_70:
	v_lshlrev_b32_e32 v24, 2, v26
	s_delay_alu instid0(VALU_DEP_1)
	v_add_co_u32 v37, vcc_lo, v3, v24
	v_add_co_ci_u32_e32 v38, vcc_lo, 0, v4, vcc_lo
	flat_load_b32 v24, v[37:38]
	s_or_b32 exec_lo, exec_lo, s0
                                        ; implicit-def: $vgpr26
	s_and_saveexec_b32 s0, s11
	s_cbranch_execz .LBB370_48
.LBB370_71:
	v_lshlrev_b32_e32 v26, 2, v27
	s_delay_alu instid0(VALU_DEP_1)
	v_add_co_u32 v26, vcc_lo, v3, v26
	v_add_co_ci_u32_e32 v27, vcc_lo, 0, v4, vcc_lo
	flat_load_b32 v26, v[26:27]
	s_or_b32 exec_lo, exec_lo, s0
                                        ; implicit-def: $vgpr27
	s_and_saveexec_b32 s0, s12
	s_cbranch_execz .LBB370_49
.LBB370_72:
	v_lshlrev_b32_e32 v27, 2, v28
	s_delay_alu instid0(VALU_DEP_1)
	v_add_co_u32 v27, vcc_lo, v3, v27
	v_add_co_ci_u32_e32 v28, vcc_lo, 0, v4, vcc_lo
	flat_load_b32 v27, v[27:28]
	s_or_b32 exec_lo, exec_lo, s0
                                        ; implicit-def: $vgpr28
	s_and_saveexec_b32 s0, s13
	s_cbranch_execz .LBB370_50
.LBB370_73:
	v_lshlrev_b32_e32 v28, 2, v29
	s_delay_alu instid0(VALU_DEP_1)
	v_add_co_u32 v28, vcc_lo, v3, v28
	v_add_co_ci_u32_e32 v29, vcc_lo, 0, v4, vcc_lo
	flat_load_b32 v28, v[28:29]
	s_or_b32 exec_lo, exec_lo, s0
                                        ; implicit-def: $vgpr29
	s_and_saveexec_b32 s0, s14
	s_cbranch_execz .LBB370_51
.LBB370_74:
	v_lshlrev_b32_e32 v29, 2, v30
	s_delay_alu instid0(VALU_DEP_1)
	v_add_co_u32 v29, vcc_lo, v3, v29
	v_add_co_ci_u32_e32 v30, vcc_lo, 0, v4, vcc_lo
	flat_load_b32 v29, v[29:30]
	s_or_b32 exec_lo, exec_lo, s0
                                        ; implicit-def: $vgpr30
	s_and_saveexec_b32 s0, s15
	s_cbranch_execnz .LBB370_52
	s_branch .LBB370_53
.LBB370_75:
	s_mov_b32 s15, 0
                                        ; implicit-def: $sgpr4
                                        ; implicit-def: $vgpr78
                                        ; implicit-def: $vgpr24
                                        ; implicit-def: $vgpr23
                                        ; implicit-def: $vgpr26
                                        ; implicit-def: $vgpr25
                                        ; implicit-def: $vgpr28
                                        ; implicit-def: $vgpr27
                                        ; implicit-def: $vgpr30
                                        ; implicit-def: $vgpr29
                                        ; implicit-def: $vgpr32
                                        ; implicit-def: $vgpr31
                                        ; implicit-def: $vgpr34
                                        ; implicit-def: $vgpr33
                                        ; implicit-def: $vgpr36
	s_cbranch_execz .LBB370_59
; %bb.76:
	v_mul_hi_i32 v3, 0x66666667, v10
	v_mul_hi_i32 v4, 0x66666667, v77
	;; [unrolled: 1-line block ×8, first 2 shown]
	v_lshrrev_b32_e32 v8, 31, v3
	v_ashrrev_i32_e32 v23, 2, v3
	v_lshrrev_b32_e32 v24, 31, v4
	v_ashrrev_i32_e32 v4, 2, v4
	v_lshrrev_b32_e32 v25, 31, v5
	v_ashrrev_i32_e32 v5, 2, v5
	v_add_nc_u32_e32 v8, v23, v8
	v_lshrrev_b32_e32 v23, 31, v6
	v_add_nc_u32_e32 v4, v4, v24
	v_ashrrev_i32_e32 v6, 2, v6
	v_add_nc_u32_e32 v5, v5, v25
	v_lshrrev_b32_e32 v25, 31, v7
	v_ashrrev_i32_e32 v7, 2, v7
	v_cmp_ne_u32_e32 vcc_lo, v8, v4
	v_add_nc_u32_e32 v4, v6, v23
	v_mul_hi_i32 v29, 0x66666667, v15
	v_mul_hi_i32 v30, 0x66666667, v18
	v_add_nc_u32_e32 v6, v7, v25
	v_cndmask_b32_e64 v78, 0, 1, vcc_lo
	v_cmp_ne_u32_e32 vcc_lo, v5, v8
	v_lshrrev_b32_e32 v7, 31, v26
	v_ashrrev_i32_e32 v8, 2, v26
	v_lshrrev_b32_e32 v25, 31, v27
	v_ashrrev_i32_e32 v27, 2, v27
	v_cndmask_b32_e64 v24, 0, 1, vcc_lo
	v_cmp_ne_u32_e32 vcc_lo, v4, v5
	v_mul_hi_i32 v31, 0x66666667, v17
	v_lshlrev_b32_e32 v3, 2, v0
	v_add_nc_u32_e32 v5, v27, v25
	v_lshrrev_b32_e32 v27, 31, v29
	v_cndmask_b32_e64 v23, 0, 1, vcc_lo
	v_cmp_ne_u32_e32 vcc_lo, v6, v4
	v_add_nc_u32_e32 v4, v8, v7
	v_lshrrev_b32_e32 v7, 31, v28
	v_ashrrev_i32_e32 v8, 2, v28
	v_ashrrev_i32_e32 v29, 2, v29
	v_cndmask_b32_e64 v26, 0, 1, vcc_lo
	v_cmp_ne_u32_e32 vcc_lo, v4, v6
	ds_store_b32 v3, v77
	s_waitcnt lgkmcnt(0)
	v_add_nc_u32_e32 v6, v29, v27
	v_lshrrev_b32_e32 v29, 31, v31
	v_cndmask_b32_e64 v25, 0, 1, vcc_lo
	v_cmp_ne_u32_e32 vcc_lo, v5, v4
	v_add_nc_u32_e32 v4, v8, v7
	v_lshrrev_b32_e32 v7, 31, v30
	v_ashrrev_i32_e32 v8, 2, v30
	v_ashrrev_i32_e32 v31, 2, v31
	v_cndmask_b32_e64 v28, 0, 1, vcc_lo
	v_cmp_ne_u32_e32 vcc_lo, v4, v5
	s_barrier
	v_add_nc_u32_e32 v5, v8, v7
	v_mul_hi_i32 v7, 0x66666667, v20
	v_mul_hi_i32 v8, 0x66666667, v19
	v_cndmask_b32_e64 v27, 0, 1, vcc_lo
	v_cmp_ne_u32_e32 vcc_lo, v6, v4
	v_add_nc_u32_e32 v4, v31, v29
	buffer_gl0_inv
                                        ; implicit-def: $sgpr4
	v_cndmask_b32_e64 v30, 0, 1, vcc_lo
	v_cmp_ne_u32_e32 vcc_lo, v5, v6
	v_lshrrev_b32_e32 v31, 31, v7
	v_ashrrev_i32_e32 v7, 2, v7
	v_mul_hi_i32 v6, 0x66666667, v22
	v_lshrrev_b32_e32 v33, 31, v8
	v_cndmask_b32_e64 v29, 0, 1, vcc_lo
	v_cmp_ne_u32_e32 vcc_lo, v4, v5
	v_ashrrev_i32_e32 v8, 2, v8
	v_add_nc_u32_e32 v7, v7, v31
	v_mul_hi_i32 v5, 0x66666667, v21
	v_cndmask_b32_e64 v32, 0, 1, vcc_lo
	v_lshrrev_b32_e32 v34, 31, v6
	v_ashrrev_i32_e32 v6, 2, v6
	v_add_nc_u32_e32 v8, v8, v33
	v_cmp_ne_u32_e32 vcc_lo, v7, v4
	v_lshrrev_b32_e32 v35, 31, v5
	v_ashrrev_i32_e32 v5, 2, v5
	v_add_nc_u32_e32 v6, v6, v34
	v_cndmask_b32_e64 v31, 0, 1, vcc_lo
	v_cmp_ne_u32_e32 vcc_lo, v8, v7
	s_delay_alu instid0(VALU_DEP_4) | instskip(SKIP_3) | instid1(VALU_DEP_4)
	v_add_nc_u32_e32 v4, v5, v35
	v_cndmask_b32_e64 v34, 0, 1, vcc_lo
	v_cmp_ne_u32_e32 vcc_lo, v6, v8
	v_cndmask_b32_e64 v33, 0, 1, vcc_lo
	v_cmp_ne_u32_e32 vcc_lo, v4, v6
	v_cndmask_b32_e64 v36, 0, 1, vcc_lo
	s_and_saveexec_b32 s0, s3
	s_delay_alu instid0(SALU_CYCLE_1)
	s_xor_b32 s0, exec_lo, s0
	s_cbranch_execz .LBB370_78
; %bb.77:
	v_add_nc_u32_e32 v3, -4, v3
	s_or_b32 s15, s15, exec_lo
	ds_load_b32 v3, v3
	s_waitcnt lgkmcnt(0)
	v_mul_hi_i32 v3, 0x66666667, v3
	s_delay_alu instid0(VALU_DEP_1) | instskip(SKIP_1) | instid1(VALU_DEP_1)
	v_lshrrev_b32_e32 v5, 31, v3
	v_ashrrev_i32_e32 v3, 2, v3
	v_add_nc_u32_e32 v3, v3, v5
	s_delay_alu instid0(VALU_DEP_1)
	v_cmp_ne_u32_e32 vcc_lo, v3, v4
	s_and_b32 s4, vcc_lo, exec_lo
.LBB370_78:
	s_or_b32 exec_lo, exec_lo, s0
	s_mov_b32 s0, 1
	s_branch .LBB370_114
.LBB370_79:
	s_mul_hi_u32 s0, s24, 0xfffff100
	s_mul_i32 s1, s25, 0xfffff100
	s_sub_i32 s0, s0, s24
	s_mul_i32 s4, s24, 0xfffff100
	s_add_i32 s1, s0, s1
	s_add_u32 s0, s4, s36
	s_addc_u32 s1, s1, s37
	s_and_b32 vcc_lo, exec_lo, s16
	s_cbranch_vccz .LBB370_199
; %bb.80:
	v_add_co_u32 v1, vcc_lo, -4, v1
	v_add_co_ci_u32_e32 v2, vcc_lo, -1, v2, vcc_lo
	v_mad_u32_u24 v23, v0, 15, 14
	v_mov_b32_e32 v24, 0
	v_mov_b32_e32 v78, 0
	flat_load_b32 v3, v[1:2]
	v_lshlrev_b32_e32 v2, 2, v0
	v_mul_u32_u24_e32 v1, 15, v0
	s_mov_b32 s4, exec_lo
	ds_store_b32 v2, v77
	v_cmpx_gt_u64_e64 s[0:1], v[23:24]
; %bb.81:
	v_mul_hi_i32 v4, 0x66666667, v10
	v_mul_hi_i32 v5, 0x66666667, v77
	s_delay_alu instid0(VALU_DEP_2) | instskip(SKIP_1) | instid1(VALU_DEP_3)
	v_lshrrev_b32_e32 v6, 31, v4
	v_ashrrev_i32_e32 v4, 2, v4
	v_lshrrev_b32_e32 v7, 31, v5
	v_ashrrev_i32_e32 v5, 2, v5
	s_delay_alu instid0(VALU_DEP_3) | instskip(NEXT) | instid1(VALU_DEP_2)
	v_add_nc_u32_e32 v4, v4, v6
	v_add_nc_u32_e32 v5, v5, v7
	s_delay_alu instid0(VALU_DEP_1)
	v_cmp_ne_u32_e32 vcc_lo, v4, v5
	v_cndmask_b32_e64 v78, 0, 1, vcc_lo
; %bb.82:
	s_or_b32 exec_lo, exec_lo, s4
	v_add_nc_u32_e32 v23, 13, v1
	s_mov_b32 s4, exec_lo
	s_delay_alu instid0(VALU_DEP_1)
	v_cmpx_gt_u64_e64 s[0:1], v[23:24]
; %bb.83:
	v_mul_hi_i32 v4, 0x66666667, v9
	v_mul_hi_i32 v5, 0x66666667, v10
	s_delay_alu instid0(VALU_DEP_2) | instskip(SKIP_1) | instid1(VALU_DEP_3)
	v_lshrrev_b32_e32 v6, 31, v4
	v_ashrrev_i32_e32 v4, 2, v4
	v_lshrrev_b32_e32 v7, 31, v5
	v_ashrrev_i32_e32 v5, 2, v5
	s_delay_alu instid0(VALU_DEP_3) | instskip(NEXT) | instid1(VALU_DEP_2)
	v_add_nc_u32_e32 v4, v4, v6
	v_add_nc_u32_e32 v5, v5, v7
	s_delay_alu instid0(VALU_DEP_1)
	v_cmp_ne_u32_e32 vcc_lo, v4, v5
	v_cndmask_b32_e64 v24, 0, 1, vcc_lo
; %bb.84:
	s_or_b32 exec_lo, exec_lo, s4
	v_dual_mov_b32 v26, 0 :: v_dual_add_nc_u32 v25, 12, v1
	v_mov_b32_e32 v23, 0
	s_mov_b32 s4, exec_lo
	s_delay_alu instid0(VALU_DEP_2)
	v_cmpx_gt_u64_e64 s[0:1], v[25:26]
; %bb.85:
	v_mul_hi_i32 v4, 0x66666667, v12
	v_mul_hi_i32 v5, 0x66666667, v9
	s_delay_alu instid0(VALU_DEP_2) | instskip(SKIP_1) | instid1(VALU_DEP_3)
	v_lshrrev_b32_e32 v6, 31, v4
	v_ashrrev_i32_e32 v4, 2, v4
	v_lshrrev_b32_e32 v7, 31, v5
	v_ashrrev_i32_e32 v5, 2, v5
	s_delay_alu instid0(VALU_DEP_3) | instskip(NEXT) | instid1(VALU_DEP_2)
	v_add_nc_u32_e32 v4, v4, v6
	v_add_nc_u32_e32 v5, v5, v7
	s_delay_alu instid0(VALU_DEP_1)
	v_cmp_ne_u32_e32 vcc_lo, v4, v5
	v_cndmask_b32_e64 v23, 0, 1, vcc_lo
; %bb.86:
	s_or_b32 exec_lo, exec_lo, s4
	v_add_nc_u32_e32 v25, 11, v1
	s_mov_b32 s4, exec_lo
	s_delay_alu instid0(VALU_DEP_1)
	v_cmpx_gt_u64_e64 s[0:1], v[25:26]
; %bb.87:
	v_mul_hi_i32 v4, 0x66666667, v11
	v_mul_hi_i32 v5, 0x66666667, v12
	s_delay_alu instid0(VALU_DEP_2) | instskip(SKIP_1) | instid1(VALU_DEP_3)
	v_lshrrev_b32_e32 v6, 31, v4
	v_ashrrev_i32_e32 v4, 2, v4
	v_lshrrev_b32_e32 v7, 31, v5
	v_ashrrev_i32_e32 v5, 2, v5
	s_delay_alu instid0(VALU_DEP_3) | instskip(NEXT) | instid1(VALU_DEP_2)
	v_add_nc_u32_e32 v4, v4, v6
	v_add_nc_u32_e32 v5, v5, v7
	s_delay_alu instid0(VALU_DEP_1)
	v_cmp_ne_u32_e32 vcc_lo, v4, v5
	v_cndmask_b32_e64 v26, 0, 1, vcc_lo
; %bb.88:
	s_or_b32 exec_lo, exec_lo, s4
	v_dual_mov_b32 v28, 0 :: v_dual_add_nc_u32 v27, 10, v1
	v_mov_b32_e32 v25, 0
	s_mov_b32 s4, exec_lo
	s_delay_alu instid0(VALU_DEP_2)
	;; [unrolled: 41-line block ×6, first 2 shown]
	v_cmpx_gt_u64_e64 s[0:1], v[35:36]
; %bb.105:
	v_mul_hi_i32 v4, 0x66666667, v22
	v_mul_hi_i32 v5, 0x66666667, v19
	s_delay_alu instid0(VALU_DEP_2) | instskip(SKIP_1) | instid1(VALU_DEP_3)
	v_lshrrev_b32_e32 v6, 31, v4
	v_ashrrev_i32_e32 v4, 2, v4
	v_lshrrev_b32_e32 v7, 31, v5
	v_ashrrev_i32_e32 v5, 2, v5
	s_delay_alu instid0(VALU_DEP_3) | instskip(NEXT) | instid1(VALU_DEP_2)
	v_add_nc_u32_e32 v4, v4, v6
	v_add_nc_u32_e32 v5, v5, v7
	s_delay_alu instid0(VALU_DEP_1)
	v_cmp_ne_u32_e32 vcc_lo, v4, v5
	v_cndmask_b32_e64 v33, 0, 1, vcc_lo
; %bb.106:
	s_or_b32 exec_lo, exec_lo, s4
	v_add_nc_u32_e32 v35, 1, v1
	s_mov_b32 s4, exec_lo
	s_delay_alu instid0(VALU_DEP_1)
	v_cmpx_gt_u64_e64 s[0:1], v[35:36]
; %bb.107:
	v_mul_hi_i32 v4, 0x66666667, v21
	v_mul_hi_i32 v5, 0x66666667, v22
	s_delay_alu instid0(VALU_DEP_2) | instskip(SKIP_1) | instid1(VALU_DEP_3)
	v_lshrrev_b32_e32 v6, 31, v4
	v_ashrrev_i32_e32 v4, 2, v4
	v_lshrrev_b32_e32 v7, 31, v5
	v_ashrrev_i32_e32 v5, 2, v5
	s_delay_alu instid0(VALU_DEP_3) | instskip(NEXT) | instid1(VALU_DEP_2)
	v_add_nc_u32_e32 v4, v4, v6
	v_add_nc_u32_e32 v5, v5, v7
	s_delay_alu instid0(VALU_DEP_1)
	v_cmp_ne_u32_e32 vcc_lo, v4, v5
	v_cndmask_b32_e64 v36, 0, 1, vcc_lo
; %bb.108:
	s_or_b32 exec_lo, exec_lo, s4
	s_waitcnt vmcnt(0) lgkmcnt(0)
	s_barrier
	buffer_gl0_inv
	s_and_saveexec_b32 s4, s3
	s_cbranch_execz .LBB370_110
; %bb.109:
	v_add_nc_u32_e32 v2, -4, v2
	ds_load_b32 v3, v2
.LBB370_110:
	s_or_b32 exec_lo, exec_lo, s4
	v_mov_b32_e32 v2, 0
	s_mov_b32 s5, 0
	s_mov_b32 s4, 0
	s_mov_b32 s6, exec_lo
	s_delay_alu instid0(VALU_DEP_1)
	v_cmpx_gt_u64_e64 s[0:1], v[1:2]
	s_cbranch_execz .LBB370_112
; %bb.111:
	s_waitcnt lgkmcnt(0)
	v_mul_hi_i32 v1, 0x66666667, v3
	v_mul_hi_i32 v2, 0x66666667, v21
	s_delay_alu instid0(VALU_DEP_2) | instskip(SKIP_1) | instid1(VALU_DEP_3)
	v_lshrrev_b32_e32 v3, 31, v1
	v_ashrrev_i32_e32 v1, 2, v1
	v_lshrrev_b32_e32 v4, 31, v2
	v_ashrrev_i32_e32 v2, 2, v2
	s_delay_alu instid0(VALU_DEP_3) | instskip(NEXT) | instid1(VALU_DEP_2)
	v_add_nc_u32_e32 v1, v1, v3
	v_add_nc_u32_e32 v2, v2, v4
	s_delay_alu instid0(VALU_DEP_1)
	v_cmp_ne_u32_e32 vcc_lo, v1, v2
	s_and_b32 s4, vcc_lo, exec_lo
.LBB370_112:
	s_or_b32 exec_lo, exec_lo, s6
	s_mov_b32 s15, -1
	s_and_b32 vcc_lo, exec_lo, s5
	s_cbranch_vccnz .LBB370_200
.LBB370_113:
                                        ; implicit-def: $sgpr0
.LBB370_114:
	v_mov_b32_e32 v35, s0
	s_and_saveexec_b32 s0, s15
.LBB370_115:
	s_delay_alu instid0(VALU_DEP_2)
	v_cndmask_b32_e64 v35, 0, 1, s4
.LBB370_116:
	s_or_b32 exec_lo, exec_lo, s0
	s_delay_alu instid0(VALU_DEP_1)
	v_add3_u32 v1, v36, v35, v33
	v_cmp_eq_u32_e64 s13, 0, v36
	v_cmp_eq_u32_e64 s12, 0, v33
	;; [unrolled: 1-line block ×4, first 2 shown]
	v_add3_u32 v84, v1, v34, v31
	v_cmp_eq_u32_e64 s9, 0, v32
	v_cmp_eq_u32_e64 s8, 0, v29
	;; [unrolled: 1-line block ×9, first 2 shown]
	v_cmp_eq_u32_e32 vcc_lo, 0, v78
	v_mbcnt_lo_u32_b32 v81, -1, 0
	v_lshrrev_b32_e32 v82, 5, v0
	v_or_b32_e32 v83, 31, v0
	s_cmp_eq_u64 s[22:23], 0
	s_cselect_b32 s16, -1, 0
	s_cmp_lg_u32 s33, 0
	s_cbranch_scc0 .LBB370_147
; %bb.117:
	v_cndmask_b32_e64 v1, 0, v49, s13
	v_add3_u32 v2, v84, v32, v29
	s_delay_alu instid0(VALU_DEP_2) | instskip(NEXT) | instid1(VALU_DEP_2)
	v_add_nc_u32_e32 v1, v1, v50
	v_add3_u32 v2, v2, v30, v27
	s_delay_alu instid0(VALU_DEP_2) | instskip(NEXT) | instid1(VALU_DEP_2)
	v_cndmask_b32_e64 v1, 0, v1, s12
	v_add3_u32 v2, v2, v28, v25
	s_delay_alu instid0(VALU_DEP_2) | instskip(NEXT) | instid1(VALU_DEP_2)
	v_add_nc_u32_e32 v1, v1, v47
	v_add3_u32 v2, v2, v26, v23
	s_delay_alu instid0(VALU_DEP_2) | instskip(NEXT) | instid1(VALU_DEP_2)
	v_cndmask_b32_e64 v1, 0, v1, s11
	v_add3_u32 v2, v2, v24, v78
	s_delay_alu instid0(VALU_DEP_2) | instskip(NEXT) | instid1(VALU_DEP_2)
	v_add_nc_u32_e32 v1, v1, v48
	v_mov_b32_dpp v5, v2 row_shr:1 row_mask:0xf bank_mask:0xf
	s_delay_alu instid0(VALU_DEP_2) | instskip(NEXT) | instid1(VALU_DEP_1)
	v_cndmask_b32_e64 v1, 0, v1, s10
	v_add_nc_u32_e32 v1, v1, v45
	s_delay_alu instid0(VALU_DEP_1) | instskip(NEXT) | instid1(VALU_DEP_1)
	v_cndmask_b32_e64 v1, 0, v1, s9
	v_add_nc_u32_e32 v1, v1, v46
	s_delay_alu instid0(VALU_DEP_1) | instskip(NEXT) | instid1(VALU_DEP_1)
	;; [unrolled: 3-line block ×9, first 2 shown]
	v_cndmask_b32_e64 v1, 0, v1, s0
	v_add_nc_u32_e32 v1, v1, v38
	s_delay_alu instid0(VALU_DEP_1) | instskip(SKIP_1) | instid1(VALU_DEP_2)
	v_cndmask_b32_e32 v1, 0, v1, vcc_lo
	v_cmp_eq_u32_e32 vcc_lo, 0, v2
	v_add_nc_u32_e32 v1, v1, v79
	s_waitcnt lgkmcnt(0)
	s_delay_alu instid0(VALU_DEP_1) | instskip(NEXT) | instid1(VALU_DEP_1)
	v_mov_b32_dpp v3, v1 row_shr:1 row_mask:0xf bank_mask:0xf
	v_dual_cndmask_b32 v3, 0, v3 :: v_dual_and_b32 v4, 15, v81
	s_delay_alu instid0(VALU_DEP_1) | instskip(SKIP_2) | instid1(VALU_DEP_4)
	v_cmp_eq_u32_e32 vcc_lo, 0, v4
	v_cmp_lt_u32_e64 s14, 1, v4
	v_cndmask_b32_e64 v5, v5, 0, vcc_lo
	v_cndmask_b32_e64 v3, v3, 0, vcc_lo
	s_delay_alu instid0(VALU_DEP_2) | instskip(NEXT) | instid1(VALU_DEP_2)
	v_add_nc_u32_e32 v2, v5, v2
	v_add_nc_u32_e32 v1, v3, v1
	s_delay_alu instid0(VALU_DEP_2) | instskip(SKIP_1) | instid1(VALU_DEP_3)
	v_mov_b32_dpp v3, v2 row_shr:2 row_mask:0xf bank_mask:0xf
	v_cmp_eq_u32_e32 vcc_lo, 0, v2
	v_mov_b32_dpp v5, v1 row_shr:2 row_mask:0xf bank_mask:0xf
	s_delay_alu instid0(VALU_DEP_3) | instskip(SKIP_2) | instid1(VALU_DEP_2)
	v_cndmask_b32_e64 v3, 0, v3, s14
	s_and_b32 vcc_lo, s14, vcc_lo
	v_cmp_lt_u32_e64 s14, 3, v4
	v_dual_cndmask_b32 v5, 0, v5 :: v_dual_add_nc_u32 v2, v2, v3
	s_delay_alu instid0(VALU_DEP_1) | instskip(NEXT) | instid1(VALU_DEP_2)
	v_add_nc_u32_e32 v1, v5, v1
	v_mov_b32_dpp v3, v2 row_shr:4 row_mask:0xf bank_mask:0xf
	v_cmp_eq_u32_e32 vcc_lo, 0, v2
	s_delay_alu instid0(VALU_DEP_3) | instskip(NEXT) | instid1(VALU_DEP_3)
	v_mov_b32_dpp v5, v1 row_shr:4 row_mask:0xf bank_mask:0xf
	v_cndmask_b32_e64 v3, 0, v3, s14
	s_and_b32 vcc_lo, s14, vcc_lo
	v_cmp_lt_u32_e64 s14, 7, v4
	s_delay_alu instid0(VALU_DEP_2) | instskip(NEXT) | instid1(VALU_DEP_1)
	v_dual_cndmask_b32 v5, 0, v5 :: v_dual_add_nc_u32 v2, v3, v2
	v_add_nc_u32_e32 v1, v1, v5
	v_bfe_i32 v5, v81, 4, 1
	s_delay_alu instid0(VALU_DEP_3) | instskip(SKIP_1) | instid1(VALU_DEP_4)
	v_cmp_eq_u32_e32 vcc_lo, 0, v2
	v_mov_b32_dpp v3, v2 row_shr:8 row_mask:0xf bank_mask:0xf
	v_mov_b32_dpp v4, v1 row_shr:8 row_mask:0xf bank_mask:0xf
	s_and_b32 vcc_lo, s14, vcc_lo
	s_delay_alu instid0(VALU_DEP_2) | instskip(SKIP_1) | instid1(VALU_DEP_2)
	v_cndmask_b32_e64 v3, 0, v3, s14
	s_mov_b32 s14, exec_lo
	v_cndmask_b32_e32 v4, 0, v4, vcc_lo
	s_delay_alu instid0(VALU_DEP_1) | instskip(NEXT) | instid1(VALU_DEP_3)
	v_add_nc_u32_e32 v4, v4, v1
	v_add_nc_u32_e32 v1, v3, v2
	ds_swizzle_b32 v2, v4 offset:swizzle(BROADCAST,32,15)
	ds_swizzle_b32 v3, v1 offset:swizzle(BROADCAST,32,15)
	v_cmp_eq_u32_e32 vcc_lo, 0, v1
	s_waitcnt lgkmcnt(0)
	v_dual_cndmask_b32 v2, 0, v2 :: v_dual_and_b32 v3, v5, v3
	s_delay_alu instid0(VALU_DEP_1) | instskip(NEXT) | instid1(VALU_DEP_2)
	v_and_b32_e32 v2, v5, v2
	v_add_nc_u32_e32 v1, v3, v1
	v_lshlrev_b32_e32 v3, 3, v82
	s_delay_alu instid0(VALU_DEP_3)
	v_add_nc_u32_e32 v2, v2, v4
	v_cmpx_eq_u32_e64 v83, v0
	s_cbranch_execz .LBB370_119
; %bb.118:
	ds_store_b64 v3, v[1:2] offset:2064
.LBB370_119:
	s_or_b32 exec_lo, exec_lo, s14
	s_delay_alu instid0(SALU_CYCLE_1)
	s_mov_b32 s15, exec_lo
	s_waitcnt lgkmcnt(0)
	s_barrier
	buffer_gl0_inv
	v_cmpx_gt_u32_e32 8, v0
	s_cbranch_execz .LBB370_121
; %bb.120:
	v_lshlrev_b32_e32 v6, 3, v0
	v_and_b32_e32 v8, 7, v81
	ds_load_b64 v[4:5], v6 offset:2064
	v_cmp_lt_u32_e64 s14, 1, v8
	s_waitcnt lgkmcnt(0)
	v_mov_b32_dpp v7, v5 row_shr:1 row_mask:0xf bank_mask:0xf
	v_cmp_eq_u32_e32 vcc_lo, 0, v4
	v_mov_b32_dpp v51, v4 row_shr:1 row_mask:0xf bank_mask:0xf
	s_delay_alu instid0(VALU_DEP_3) | instskip(SKIP_1) | instid1(VALU_DEP_3)
	v_cndmask_b32_e32 v7, 0, v7, vcc_lo
	v_cmp_eq_u32_e32 vcc_lo, 0, v8
	v_cndmask_b32_e64 v51, v51, 0, vcc_lo
	s_delay_alu instid0(VALU_DEP_3) | instskip(NEXT) | instid1(VALU_DEP_2)
	v_cndmask_b32_e64 v7, v7, 0, vcc_lo
	v_add_nc_u32_e32 v4, v51, v4
	s_delay_alu instid0(VALU_DEP_2) | instskip(NEXT) | instid1(VALU_DEP_2)
	v_add_nc_u32_e32 v5, v7, v5
	v_mov_b32_dpp v7, v4 row_shr:2 row_mask:0xf bank_mask:0xf
	v_cmp_eq_u32_e32 vcc_lo, 0, v4
	s_delay_alu instid0(VALU_DEP_3) | instskip(NEXT) | instid1(VALU_DEP_3)
	v_mov_b32_dpp v51, v5 row_shr:2 row_mask:0xf bank_mask:0xf
	v_cndmask_b32_e64 v7, 0, v7, s14
	s_and_b32 vcc_lo, s14, vcc_lo
	s_delay_alu instid0(VALU_DEP_2) | instskip(SKIP_1) | instid1(VALU_DEP_3)
	v_cndmask_b32_e32 v51, 0, v51, vcc_lo
	v_cmp_lt_u32_e64 s14, 3, v8
	v_add_nc_u32_e32 v4, v7, v4
	s_delay_alu instid0(VALU_DEP_3) | instskip(NEXT) | instid1(VALU_DEP_2)
	v_add_nc_u32_e32 v5, v51, v5
	v_cmp_eq_u32_e32 vcc_lo, 0, v4
	v_mov_b32_dpp v7, v4 row_shr:4 row_mask:0xf bank_mask:0xf
	s_delay_alu instid0(VALU_DEP_3) | instskip(SKIP_1) | instid1(VALU_DEP_2)
	v_mov_b32_dpp v8, v5 row_shr:4 row_mask:0xf bank_mask:0xf
	s_and_b32 vcc_lo, s14, vcc_lo
	v_cndmask_b32_e64 v7, 0, v7, s14
	s_delay_alu instid0(VALU_DEP_2) | instskip(NEXT) | instid1(VALU_DEP_2)
	v_cndmask_b32_e32 v8, 0, v8, vcc_lo
	v_add_nc_u32_e32 v4, v7, v4
	s_delay_alu instid0(VALU_DEP_2)
	v_add_nc_u32_e32 v5, v8, v5
	ds_store_b64 v6, v[4:5] offset:2064
.LBB370_121:
	s_or_b32 exec_lo, exec_lo, s15
	v_cmp_gt_u32_e32 vcc_lo, 32, v0
	v_dual_mov_b32 v51, 0 :: v_dual_mov_b32 v52, 0
	s_mov_b32 s15, exec_lo
	s_waitcnt lgkmcnt(0)
	s_barrier
	buffer_gl0_inv
	v_cmpx_lt_u32_e32 31, v0
	s_cbranch_execz .LBB370_123
; %bb.122:
	ds_load_b64 v[51:52], v3 offset:2056
	v_cmp_eq_u32_e64 s14, 0, v1
	s_waitcnt lgkmcnt(0)
	s_delay_alu instid0(VALU_DEP_1) | instskip(SKIP_1) | instid1(VALU_DEP_2)
	v_cndmask_b32_e64 v3, 0, v52, s14
	v_add_nc_u32_e32 v1, v51, v1
	v_add_nc_u32_e32 v2, v3, v2
.LBB370_123:
	s_or_b32 exec_lo, exec_lo, s15
	v_add_nc_u32_e32 v3, -1, v81
	s_delay_alu instid0(VALU_DEP_1) | instskip(NEXT) | instid1(VALU_DEP_1)
	v_cmp_gt_i32_e64 s14, 0, v3
	v_cndmask_b32_e64 v3, v3, v81, s14
	v_cmp_eq_u32_e64 s14, 0, v81
	s_delay_alu instid0(VALU_DEP_2)
	v_lshlrev_b32_e32 v3, 2, v3
	ds_bpermute_b32 v57, v3, v1
	ds_bpermute_b32 v58, v3, v2
	s_and_saveexec_b32 s22, vcc_lo
	s_cbranch_execz .LBB370_146
; %bb.124:
	v_mov_b32_e32 v4, 0
	ds_load_b64 v[1:2], v4 offset:2120
	s_waitcnt lgkmcnt(0)
	v_readfirstlane_b32 s23, v2
	s_and_saveexec_b32 s15, s14
	s_cbranch_execz .LBB370_126
; %bb.125:
	s_add_i32 s24, s33, 32
	s_mov_b32 s25, 0
	v_mov_b32_e32 v3, 1
	s_lshl_b64 s[36:37], s[24:25], 4
	s_mov_b32 s40, s25
	s_add_u32 s36, s20, s36
	s_addc_u32 s37, s21, s37
	s_and_b32 s41, s23, 0xff000000
	s_and_b32 s43, s23, 0xff0000
	s_mov_b32 s42, s25
	v_dual_mov_b32 v5, s36 :: v_dual_mov_b32 v6, s37
	s_or_b64 s[40:41], s[42:43], s[40:41]
	s_and_b32 s43, s23, 0xff00
	s_delay_alu instid0(SALU_CYCLE_1) | instskip(SKIP_1) | instid1(SALU_CYCLE_1)
	s_or_b64 s[40:41], s[40:41], s[42:43]
	s_and_b32 s43, s23, 0xff
	s_or_b64 s[24:25], s[40:41], s[42:43]
	s_delay_alu instid0(SALU_CYCLE_1)
	v_mov_b32_e32 v2, s25
	;;#ASMSTART
	global_store_dwordx4 v[5:6], v[1:4] off	
s_waitcnt vmcnt(0)
	;;#ASMEND
.LBB370_126:
	s_or_b32 exec_lo, exec_lo, s15
	v_xad_u32 v53, v81, -1, s33
	s_mov_b32 s24, 0
	s_mov_b32 s15, exec_lo
	s_delay_alu instid0(VALU_DEP_1) | instskip(NEXT) | instid1(VALU_DEP_1)
	v_add_nc_u32_e32 v3, 32, v53
	v_lshlrev_b64 v[2:3], 4, v[3:4]
	s_delay_alu instid0(VALU_DEP_1) | instskip(NEXT) | instid1(VALU_DEP_2)
	v_add_co_u32 v2, vcc_lo, s20, v2
	v_add_co_ci_u32_e32 v3, vcc_lo, s21, v3, vcc_lo
	;;#ASMSTART
	global_load_dwordx4 v[5:8], v[2:3] off glc	
s_waitcnt vmcnt(0)
	;;#ASMEND
	v_and_b32_e32 v4, 0xff, v6
	v_and_b32_e32 v8, 0xff00, v6
	v_and_b32_e32 v54, 0xff0000, v6
	v_or3_b32 v5, v5, 0, 0
	v_and_b32_e32 v6, 0xff000000, v6
	s_delay_alu instid0(VALU_DEP_4) | instskip(SKIP_1) | instid1(VALU_DEP_4)
	v_or3_b32 v4, 0, v4, v8
	v_and_b32_e32 v8, 0xff, v7
	v_or3_b32 v5, v5, 0, 0
	s_delay_alu instid0(VALU_DEP_3) | instskip(NEXT) | instid1(VALU_DEP_3)
	v_or3_b32 v6, v4, v54, v6
	v_cmpx_eq_u16_e32 0, v8
	s_cbranch_execz .LBB370_132
; %bb.127:
	s_mov_b32 s25, 1
	.p2align	6
.LBB370_128:                            ; =>This Loop Header: Depth=1
                                        ;     Child Loop BB370_129 Depth 2
	s_delay_alu instid0(SALU_CYCLE_1)
	s_max_u32 s36, s25, 1
.LBB370_129:                            ;   Parent Loop BB370_128 Depth=1
                                        ; =>  This Inner Loop Header: Depth=2
	s_delay_alu instid0(SALU_CYCLE_1)
	s_add_i32 s36, s36, -1
	s_sleep 1
	s_cmp_eq_u32 s36, 0
	s_cbranch_scc0 .LBB370_129
; %bb.130:                              ;   in Loop: Header=BB370_128 Depth=1
	;;#ASMSTART
	global_load_dwordx4 v[5:8], v[2:3] off glc	
s_waitcnt vmcnt(0)
	;;#ASMEND
	v_and_b32_e32 v4, 0xff, v7
	s_cmp_lt_u32 s25, 32
	s_cselect_b32 s36, -1, 0
	s_delay_alu instid0(VALU_DEP_1) | instskip(SKIP_3) | instid1(SALU_CYCLE_1)
	v_cmp_ne_u16_e32 vcc_lo, 0, v4
	s_cmp_lg_u32 s36, 0
	s_addc_u32 s25, s25, 0
	s_or_b32 s24, vcc_lo, s24
	s_and_not1_b32 exec_lo, exec_lo, s24
	s_cbranch_execnz .LBB370_128
; %bb.131:
	s_or_b32 exec_lo, exec_lo, s24
.LBB370_132:
	s_delay_alu instid0(SALU_CYCLE_1)
	s_or_b32 exec_lo, exec_lo, s15
	v_cmp_ne_u32_e32 vcc_lo, 31, v81
	v_and_b32_e32 v3, 0xff, v7
	v_lshlrev_b32_e64 v59, v81, -1
	v_add_nc_u32_e32 v61, 2, v81
	v_add_nc_u32_e32 v63, 4, v81
	v_add_co_ci_u32_e32 v2, vcc_lo, 0, v81, vcc_lo
	v_cmp_eq_u16_e32 vcc_lo, 2, v3
	v_add_nc_u32_e32 v65, 8, v81
	v_add_nc_u32_e32 v67, 16, v81
	v_and_or_b32 v8, vcc_lo, v59, 0x80000000
	v_cmp_gt_u32_e32 vcc_lo, 30, v81
	s_delay_alu instid0(VALU_DEP_2) | instskip(SKIP_2) | instid1(VALU_DEP_3)
	v_ctz_i32_b32_e32 v8, v8
	v_cndmask_b32_e64 v54, 0, 1, vcc_lo
	v_cmp_eq_u32_e32 vcc_lo, 0, v5
	v_cmp_lt_u32_e64 s15, v81, v8
	s_delay_alu instid0(VALU_DEP_3) | instskip(NEXT) | instid1(VALU_DEP_2)
	v_lshlrev_b32_e32 v54, 1, v54
	s_and_b32 vcc_lo, s15, vcc_lo
	v_lshlrev_b32_e32 v2, 2, v2
	s_delay_alu instid0(VALU_DEP_2)
	v_add_lshl_u32 v60, v54, v81, 2
	ds_bpermute_b32 v3, v2, v6
	s_waitcnt lgkmcnt(0)
	v_cndmask_b32_e32 v3, 0, v3, vcc_lo
	ds_bpermute_b32 v4, v2, v5
	v_cmp_gt_u32_e32 vcc_lo, 28, v81
	v_add_nc_u32_e32 v3, v3, v6
	ds_bpermute_b32 v6, v60, v3
	s_waitcnt lgkmcnt(1)
	v_cndmask_b32_e64 v4, 0, v4, s15
	s_delay_alu instid0(VALU_DEP_1) | instskip(SKIP_1) | instid1(VALU_DEP_2)
	v_add_nc_u32_e32 v4, v4, v5
	v_cndmask_b32_e64 v5, 0, 1, vcc_lo
	v_cmp_eq_u32_e32 vcc_lo, 0, v4
	ds_bpermute_b32 v54, v60, v4
	s_waitcnt lgkmcnt(1)
	v_dual_cndmask_b32 v6, 0, v6 :: v_dual_lshlrev_b32 v5, 2, v5
	v_cmp_gt_u32_e32 vcc_lo, v61, v8
	s_delay_alu instid0(VALU_DEP_2) | instskip(NEXT) | instid1(VALU_DEP_3)
	v_add_lshl_u32 v62, v5, v81, 2
	v_cndmask_b32_e64 v6, v6, 0, vcc_lo
	s_delay_alu instid0(VALU_DEP_1) | instskip(SKIP_4) | instid1(VALU_DEP_2)
	v_add_nc_u32_e32 v3, v6, v3
	ds_bpermute_b32 v5, v62, v3
	s_waitcnt lgkmcnt(1)
	v_cndmask_b32_e64 v6, v54, 0, vcc_lo
	v_cmp_gt_u32_e32 vcc_lo, 24, v81
	v_add_nc_u32_e32 v4, v4, v6
	v_cndmask_b32_e64 v54, 0, 1, vcc_lo
	ds_bpermute_b32 v6, v62, v4
	v_cmp_eq_u32_e32 vcc_lo, 0, v4
	v_lshlrev_b32_e32 v54, 3, v54
	s_delay_alu instid0(VALU_DEP_1) | instskip(SKIP_3) | instid1(VALU_DEP_2)
	v_add_lshl_u32 v64, v54, v81, 2
	s_waitcnt lgkmcnt(1)
	v_cndmask_b32_e32 v5, 0, v5, vcc_lo
	v_cmp_gt_u32_e32 vcc_lo, v63, v8
	v_cndmask_b32_e64 v5, v5, 0, vcc_lo
	s_delay_alu instid0(VALU_DEP_1)
	v_add_nc_u32_e32 v3, v3, v5
	s_waitcnt lgkmcnt(0)
	v_cndmask_b32_e64 v6, v6, 0, vcc_lo
	v_cmp_gt_u32_e32 vcc_lo, 16, v81
	ds_bpermute_b32 v5, v64, v3
	v_add_nc_u32_e32 v4, v4, v6
	v_cndmask_b32_e64 v54, 0, 1, vcc_lo
	ds_bpermute_b32 v6, v64, v4
	v_cmp_eq_u32_e32 vcc_lo, 0, v4
	v_lshlrev_b32_e32 v54, 4, v54
	s_delay_alu instid0(VALU_DEP_1) | instskip(SKIP_3) | instid1(VALU_DEP_2)
	v_add_lshl_u32 v66, v54, v81, 2
	s_waitcnt lgkmcnt(1)
	v_dual_mov_b32 v54, 0 :: v_dual_cndmask_b32 v5, 0, v5
	v_cmp_gt_u32_e32 vcc_lo, v65, v8
	v_cndmask_b32_e64 v5, v5, 0, vcc_lo
	s_delay_alu instid0(VALU_DEP_1)
	v_add_nc_u32_e32 v3, v3, v5
	s_waitcnt lgkmcnt(0)
	v_cndmask_b32_e64 v5, v6, 0, vcc_lo
	ds_bpermute_b32 v6, v66, v3
	v_add_nc_u32_e32 v4, v4, v5
	ds_bpermute_b32 v5, v66, v4
	v_cmp_eq_u32_e32 vcc_lo, 0, v4
	s_waitcnt lgkmcnt(1)
	v_cndmask_b32_e32 v6, 0, v6, vcc_lo
	v_cmp_gt_u32_e32 vcc_lo, v67, v8
	s_delay_alu instid0(VALU_DEP_2) | instskip(SKIP_2) | instid1(VALU_DEP_2)
	v_cndmask_b32_e64 v6, v6, 0, vcc_lo
	s_waitcnt lgkmcnt(0)
	v_cndmask_b32_e64 v5, v5, 0, vcc_lo
	v_add_nc_u32_e32 v6, v6, v3
	s_delay_alu instid0(VALU_DEP_2)
	v_add_nc_u32_e32 v5, v5, v4
	s_branch .LBB370_134
.LBB370_133:                            ;   in Loop: Header=BB370_134 Depth=1
	s_or_b32 exec_lo, exec_lo, s15
	v_and_b32_e32 v8, 0xff, v7
	ds_bpermute_b32 v55, v2, v5
	v_subrev_nc_u32_e32 v53, 32, v53
	v_cmp_eq_u16_e32 vcc_lo, 2, v8
	ds_bpermute_b32 v8, v2, v6
	v_and_or_b32 v56, vcc_lo, v59, 0x80000000
	v_cmp_eq_u32_e32 vcc_lo, 0, v5
	s_delay_alu instid0(VALU_DEP_2) | instskip(NEXT) | instid1(VALU_DEP_1)
	v_ctz_i32_b32_e32 v56, v56
	v_cmp_lt_u32_e64 s15, v81, v56
	s_delay_alu instid0(VALU_DEP_1) | instskip(SKIP_4) | instid1(VALU_DEP_2)
	s_and_b32 vcc_lo, s15, vcc_lo
	s_waitcnt lgkmcnt(1)
	v_cndmask_b32_e64 v55, 0, v55, s15
	s_waitcnt lgkmcnt(0)
	v_cndmask_b32_e32 v8, 0, v8, vcc_lo
	v_add_nc_u32_e32 v5, v55, v5
	s_delay_alu instid0(VALU_DEP_2)
	v_add_nc_u32_e32 v6, v8, v6
	ds_bpermute_b32 v55, v60, v5
	ds_bpermute_b32 v8, v60, v6
	v_cmp_eq_u32_e32 vcc_lo, 0, v5
	s_waitcnt lgkmcnt(0)
	v_cndmask_b32_e32 v8, 0, v8, vcc_lo
	v_cmp_gt_u32_e32 vcc_lo, v61, v56
	v_cndmask_b32_e64 v55, v55, 0, vcc_lo
	s_delay_alu instid0(VALU_DEP_1) | instskip(NEXT) | instid1(VALU_DEP_4)
	v_add_nc_u32_e32 v5, v5, v55
	v_cndmask_b32_e64 v8, v8, 0, vcc_lo
	ds_bpermute_b32 v55, v62, v5
	v_add_nc_u32_e32 v6, v8, v6
	v_cmp_eq_u32_e32 vcc_lo, 0, v5
	ds_bpermute_b32 v8, v62, v6
	s_waitcnt lgkmcnt(0)
	v_cndmask_b32_e32 v8, 0, v8, vcc_lo
	v_cmp_gt_u32_e32 vcc_lo, v63, v56
	v_cndmask_b32_e64 v55, v55, 0, vcc_lo
	s_delay_alu instid0(VALU_DEP_1) | instskip(NEXT) | instid1(VALU_DEP_4)
	v_add_nc_u32_e32 v5, v5, v55
	v_cndmask_b32_e64 v8, v8, 0, vcc_lo
	ds_bpermute_b32 v55, v64, v5
	v_add_nc_u32_e32 v6, v6, v8
	v_cmp_eq_u32_e32 vcc_lo, 0, v5
	ds_bpermute_b32 v8, v64, v6
	;; [unrolled: 11-line block ×3, first 2 shown]
	s_waitcnt lgkmcnt(0)
	v_cndmask_b32_e32 v8, 0, v8, vcc_lo
	v_cmp_gt_u32_e32 vcc_lo, v67, v56
	s_delay_alu instid0(VALU_DEP_2) | instskip(NEXT) | instid1(VALU_DEP_1)
	v_cndmask_b32_e64 v8, v8, 0, vcc_lo
	v_add_nc_u32_e32 v6, v8, v6
	v_cndmask_b32_e64 v8, v55, 0, vcc_lo
	v_cmp_eq_u32_e32 vcc_lo, 0, v3
	s_delay_alu instid0(VALU_DEP_2) | instskip(NEXT) | instid1(VALU_DEP_4)
	v_add3_u32 v5, v5, v3, v8
	v_cndmask_b32_e32 v6, 0, v6, vcc_lo
	s_delay_alu instid0(VALU_DEP_1)
	v_add_nc_u32_e32 v6, v6, v4
.LBB370_134:                            ; =>This Loop Header: Depth=1
                                        ;     Child Loop BB370_137 Depth 2
                                        ;       Child Loop BB370_138 Depth 3
	s_delay_alu instid0(VALU_DEP_1) | instskip(NEXT) | instid1(VALU_DEP_1)
	v_dual_mov_b32 v4, v6 :: v_dual_and_b32 v3, 0xff, v7
	v_cmp_ne_u16_e32 vcc_lo, 2, v3
	v_cndmask_b32_e64 v3, 0, 1, vcc_lo
	;;#ASMSTART
	;;#ASMEND
	s_delay_alu instid0(VALU_DEP_1)
	v_cmp_ne_u32_e32 vcc_lo, 0, v3
	v_mov_b32_e32 v3, v5
	s_cmp_lg_u32 vcc_lo, exec_lo
	s_cbranch_scc1 .LBB370_141
; %bb.135:                              ;   in Loop: Header=BB370_134 Depth=1
	v_lshlrev_b64 v[5:6], 4, v[53:54]
	s_mov_b32 s15, exec_lo
	s_delay_alu instid0(VALU_DEP_1) | instskip(NEXT) | instid1(VALU_DEP_2)
	v_add_co_u32 v55, vcc_lo, s20, v5
	v_add_co_ci_u32_e32 v56, vcc_lo, s21, v6, vcc_lo
	;;#ASMSTART
	global_load_dwordx4 v[5:8], v[55:56] off glc	
s_waitcnt vmcnt(0)
	;;#ASMEND
	v_and_b32_e32 v8, 0xff, v6
	v_and_b32_e32 v68, 0xff00, v6
	;; [unrolled: 1-line block ×3, first 2 shown]
	v_or3_b32 v5, v5, 0, 0
	v_and_b32_e32 v6, 0xff000000, v6
	s_delay_alu instid0(VALU_DEP_4) | instskip(SKIP_1) | instid1(VALU_DEP_4)
	v_or3_b32 v8, 0, v8, v68
	v_and_b32_e32 v68, 0xff, v7
	v_or3_b32 v5, v5, 0, 0
	s_delay_alu instid0(VALU_DEP_3) | instskip(NEXT) | instid1(VALU_DEP_3)
	v_or3_b32 v6, v8, v69, v6
	v_cmpx_eq_u16_e32 0, v68
	s_cbranch_execz .LBB370_133
; %bb.136:                              ;   in Loop: Header=BB370_134 Depth=1
	s_mov_b32 s25, 1
	s_mov_b32 s24, 0
	.p2align	6
.LBB370_137:                            ;   Parent Loop BB370_134 Depth=1
                                        ; =>  This Loop Header: Depth=2
                                        ;       Child Loop BB370_138 Depth 3
	s_max_u32 s36, s25, 1
.LBB370_138:                            ;   Parent Loop BB370_134 Depth=1
                                        ;     Parent Loop BB370_137 Depth=2
                                        ; =>    This Inner Loop Header: Depth=3
	s_delay_alu instid0(SALU_CYCLE_1)
	s_add_i32 s36, s36, -1
	s_sleep 1
	s_cmp_eq_u32 s36, 0
	s_cbranch_scc0 .LBB370_138
; %bb.139:                              ;   in Loop: Header=BB370_137 Depth=2
	;;#ASMSTART
	global_load_dwordx4 v[5:8], v[55:56] off glc	
s_waitcnt vmcnt(0)
	;;#ASMEND
	v_and_b32_e32 v8, 0xff, v7
	s_cmp_lt_u32 s25, 32
	s_cselect_b32 s36, -1, 0
	s_delay_alu instid0(SALU_CYCLE_1) | instskip(NEXT) | instid1(VALU_DEP_1)
	s_cmp_lg_u32 s36, 0
	v_cmp_ne_u16_e32 vcc_lo, 0, v8
	s_addc_u32 s25, s25, 0
	s_or_b32 s24, vcc_lo, s24
	s_delay_alu instid0(SALU_CYCLE_1)
	s_and_not1_b32 exec_lo, exec_lo, s24
	s_cbranch_execnz .LBB370_137
; %bb.140:                              ;   in Loop: Header=BB370_134 Depth=1
	s_or_b32 exec_lo, exec_lo, s24
	s_branch .LBB370_133
.LBB370_141:                            ;   in Loop: Header=BB370_134 Depth=1
                                        ; implicit-def: $vgpr6
                                        ; implicit-def: $vgpr5
                                        ; implicit-def: $vgpr7
	s_cbranch_execz .LBB370_134
; %bb.142:
	s_and_saveexec_b32 s15, s14
	s_cbranch_execz .LBB370_144
; %bb.143:
	v_cmp_eq_u32_e32 vcc_lo, 0, v1
	s_mov_b32 s25, 0
	s_add_i32 s24, s33, 32
	v_add_nc_u32_e32 v5, v3, v1
	s_lshl_b64 s[24:25], s[24:25], 4
	v_cndmask_b32_e32 v2, 0, v4, vcc_lo
	s_add_u32 s24, s20, s24
	s_addc_u32 s25, s21, s25
	v_mov_b32_e32 v8, 0
	s_delay_alu instid0(VALU_DEP_2) | instskip(NEXT) | instid1(VALU_DEP_1)
	v_add_nc_u32_e32 v2, s23, v2
	v_and_b32_e32 v6, 0xff000000, v2
	v_and_b32_e32 v7, 0xff0000, v2
	s_delay_alu instid0(VALU_DEP_1) | instskip(SKIP_3) | instid1(VALU_DEP_1)
	v_or_b32_e32 v6, v7, v6
	v_mov_b32_e32 v7, 2
	v_and_b32_e32 v53, 0xff00, v2
	v_and_b32_e32 v2, 0xff, v2
	v_or3_b32 v6, v6, v53, v2
	v_mov_b32_e32 v2, s23
	v_dual_mov_b32 v54, s25 :: v_dual_mov_b32 v53, s24
	;;#ASMSTART
	global_store_dwordx4 v[53:54], v[5:8] off	
s_waitcnt vmcnt(0)
	;;#ASMEND
	ds_store_b128 v8, v[1:4] offset:2048
.LBB370_144:
	s_or_b32 exec_lo, exec_lo, s15
	s_delay_alu instid0(SALU_CYCLE_1)
	s_and_b32 exec_lo, exec_lo, s2
	s_cbranch_execz .LBB370_146
; %bb.145:
	v_mov_b32_e32 v1, 0
	ds_store_b64 v1, v[3:4] offset:2120
.LBB370_146:
	s_or_b32 exec_lo, exec_lo, s22
	s_waitcnt lgkmcnt(1)
	v_cndmask_b32_e64 v4, v57, v51, s14
	s_waitcnt lgkmcnt(0)
	s_barrier
	buffer_gl0_inv
	v_cndmask_b32_e64 v5, v58, v52, s14
	v_cmp_eq_u32_e32 vcc_lo, 0, v4
	v_mov_b32_e32 v3, 0
	ds_load_b64 v[1:2], v3 offset:2120
	s_waitcnt lgkmcnt(0)
	s_barrier
	buffer_gl0_inv
	v_cndmask_b32_e32 v6, 0, v2, vcc_lo
	v_cmp_eq_u32_e32 vcc_lo, 0, v35
	s_delay_alu instid0(VALU_DEP_2) | instskip(NEXT) | instid1(VALU_DEP_1)
	v_add_nc_u32_e32 v5, v6, v5
	v_cndmask_b32_e64 v68, v5, v2, s2
	s_delay_alu instid0(VALU_DEP_1) | instskip(NEXT) | instid1(VALU_DEP_1)
	v_cndmask_b32_e32 v2, 0, v68, vcc_lo
	v_add_nc_u32_e32 v74, v2, v49
	s_delay_alu instid0(VALU_DEP_1) | instskip(NEXT) | instid1(VALU_DEP_1)
	v_cndmask_b32_e64 v2, 0, v74, s13
	v_add_nc_u32_e32 v70, v2, v50
	s_delay_alu instid0(VALU_DEP_1) | instskip(NEXT) | instid1(VALU_DEP_1)
	v_cndmask_b32_e64 v2, 0, v70, s12
	;; [unrolled: 3-line block ×5, first 2 shown]
	v_add_nc_u32_e32 v54, v2, v46
	v_cndmask_b32_e64 v2, v4, 0, s2
	s_delay_alu instid0(VALU_DEP_2) | instskip(NEXT) | instid1(VALU_DEP_2)
	v_cndmask_b32_e64 v4, 0, v54, s8
	v_add_nc_u32_e32 v67, v1, v2
	s_delay_alu instid0(VALU_DEP_2) | instskip(NEXT) | instid1(VALU_DEP_1)
	v_add_nc_u32_e32 v58, v4, v43
	v_cndmask_b32_e64 v1, 0, v58, s7
	s_delay_alu instid0(VALU_DEP_1) | instskip(NEXT) | instid1(VALU_DEP_1)
	v_add_nc_u32_e32 v62, v1, v44
	v_cndmask_b32_e64 v1, 0, v62, s6
	s_delay_alu instid0(VALU_DEP_1) | instskip(NEXT) | instid1(VALU_DEP_1)
	;; [unrolled: 3-line block ×3, first 2 shown]
	v_add_nc_u32_e32 v8, v1, v42
	v_cndmask_b32_e64 v1, 0, v8, s4
	s_delay_alu instid0(VALU_DEP_1) | instskip(SKIP_2) | instid1(VALU_DEP_1)
	v_add_nc_u32_e32 v52, v1, v39
	ds_load_b128 v[1:4], v3 offset:2048
	v_cndmask_b32_e64 v51, 0, v52, s3
	v_add_nc_u32_e32 v76, v51, v40
	s_delay_alu instid0(VALU_DEP_1) | instskip(NEXT) | instid1(VALU_DEP_1)
	v_cndmask_b32_e64 v63, 0, v76, s1
	v_add_nc_u32_e32 v72, v63, v37
	s_waitcnt lgkmcnt(0)
	v_cmp_eq_u32_e32 vcc_lo, 0, v1
	s_delay_alu instid0(VALU_DEP_2) | instskip(SKIP_1) | instid1(VALU_DEP_2)
	v_cndmask_b32_e64 v64, 0, v72, s0
	v_dual_cndmask_b32 v4, 0, v4 :: v_dual_add_nc_u32 v73, v67, v35
	v_add_nc_u32_e32 v64, v64, v38
	s_delay_alu instid0(VALU_DEP_2) | instskip(NEXT) | instid1(VALU_DEP_3)
	v_add_nc_u32_e32 v80, v4, v2
	v_add_nc_u32_e32 v69, v73, v36
	s_delay_alu instid0(VALU_DEP_1) | instskip(NEXT) | instid1(VALU_DEP_1)
	v_add_nc_u32_e32 v65, v69, v33
	v_add_nc_u32_e32 v59, v65, v34
	s_delay_alu instid0(VALU_DEP_1) | instskip(NEXT) | instid1(VALU_DEP_1)
	v_add_nc_u32_e32 v55, v59, v31
	v_add_nc_u32_e32 v53, v55, v32
	s_delay_alu instid0(VALU_DEP_1) | instskip(NEXT) | instid1(VALU_DEP_1)
	v_add_nc_u32_e32 v57, v53, v29
	v_add_nc_u32_e32 v61, v57, v30
	s_delay_alu instid0(VALU_DEP_1) | instskip(NEXT) | instid1(VALU_DEP_1)
	v_add_nc_u32_e32 v5, v61, v27
	v_add_nc_u32_e32 v7, v5, v28
	s_delay_alu instid0(VALU_DEP_1) | instskip(NEXT) | instid1(VALU_DEP_1)
	v_add_nc_u32_e32 v51, v7, v25
	v_add_nc_u32_e32 v75, v51, v26
	s_delay_alu instid0(VALU_DEP_1) | instskip(NEXT) | instid1(VALU_DEP_1)
	v_add_nc_u32_e32 v71, v75, v23
	v_add_nc_u32_e32 v63, v71, v24
	s_branch .LBB370_159
.LBB370_147:
                                        ; implicit-def: $vgpr1
                                        ; implicit-def: $vgpr80
                                        ; implicit-def: $vgpr67_vgpr68
                                        ; implicit-def: $vgpr73_vgpr74
                                        ; implicit-def: $vgpr69_vgpr70
                                        ; implicit-def: $vgpr65_vgpr66
                                        ; implicit-def: $vgpr59_vgpr60
                                        ; implicit-def: $vgpr55_vgpr56
                                        ; implicit-def: $vgpr53_vgpr54
                                        ; implicit-def: $vgpr57_vgpr58
                                        ; implicit-def: $vgpr61_vgpr62
                                        ; implicit-def: $vgpr5_vgpr6
                                        ; implicit-def: $vgpr7_vgpr8
                                        ; implicit-def: $vgpr51_vgpr52
                                        ; implicit-def: $vgpr75_vgpr76
                                        ; implicit-def: $vgpr71_vgpr72
                                        ; implicit-def: $vgpr63_vgpr64
	s_cbranch_execz .LBB370_159
; %bb.148:
	s_and_b32 s0, s16, exec_lo
	v_mov_b32_e32 v63, v49
	s_cselect_b32 s1, 0, s35
	s_cselect_b32 s0, 0, s34
	s_delay_alu instid0(SALU_CYCLE_1)
	s_cmp_eq_u64 s[0:1], 0
	s_cbranch_scc1 .LBB370_150
; %bb.149:
	v_mov_b32_e32 v1, 0
	global_load_b32 v63, v1, s[0:1]
.LBB370_150:
	v_cmp_eq_u32_e64 s7, 0, v36
	v_cmp_eq_u32_e64 s8, 0, v33
	;; [unrolled: 1-line block ×5, first 2 shown]
	v_cndmask_b32_e64 v1, 0, v49, s7
	v_cmp_eq_u32_e64 s12, 0, v29
	v_cmp_eq_u32_e64 s6, 0, v30
	v_cmp_eq_u32_e64 s5, 0, v27
	v_cmp_eq_u32_e64 s4, 0, v28
	v_add_nc_u32_e32 v1, v1, v50
	v_cmp_eq_u32_e64 s3, 0, v25
	v_add3_u32 v2, v84, v32, v29
	v_cmp_eq_u32_e64 s1, 0, v26
	v_cmp_eq_u32_e32 vcc_lo, 0, v23
	v_cndmask_b32_e64 v1, 0, v1, s8
	v_cmp_eq_u32_e64 s0, 0, v24
	v_add3_u32 v2, v2, v30, v27
	v_cmp_eq_u32_e64 s13, 0, v78
	v_and_b32_e32 v4, 15, v81
	v_add_nc_u32_e32 v1, v1, v47
	s_delay_alu instid0(VALU_DEP_4) | instskip(NEXT) | instid1(VALU_DEP_3)
	v_add3_u32 v2, v2, v28, v25
	v_cmp_lt_u32_e64 s14, 1, v4
	s_delay_alu instid0(VALU_DEP_3) | instskip(NEXT) | instid1(VALU_DEP_3)
	v_cndmask_b32_e64 v1, 0, v1, s9
	v_add3_u32 v2, v2, v26, v23
	s_delay_alu instid0(VALU_DEP_2) | instskip(NEXT) | instid1(VALU_DEP_2)
	v_add_nc_u32_e32 v1, v1, v48
	v_add3_u32 v2, v2, v24, v78
	s_delay_alu instid0(VALU_DEP_2) | instskip(NEXT) | instid1(VALU_DEP_2)
	v_cndmask_b32_e64 v1, 0, v1, s10
	v_mov_b32_dpp v5, v2 row_shr:1 row_mask:0xf bank_mask:0xf
	s_delay_alu instid0(VALU_DEP_2) | instskip(NEXT) | instid1(VALU_DEP_1)
	v_add_nc_u32_e32 v1, v1, v45
	v_cndmask_b32_e64 v1, 0, v1, s11
	s_delay_alu instid0(VALU_DEP_1) | instskip(NEXT) | instid1(VALU_DEP_1)
	v_add_nc_u32_e32 v1, v1, v46
	v_cndmask_b32_e64 v1, 0, v1, s12
	s_delay_alu instid0(VALU_DEP_1) | instskip(NEXT) | instid1(VALU_DEP_1)
	;; [unrolled: 3-line block ×7, first 2 shown]
	v_add_nc_u32_e32 v1, v1, v40
	v_cndmask_b32_e32 v1, 0, v1, vcc_lo
	s_delay_alu instid0(VALU_DEP_1) | instskip(NEXT) | instid1(VALU_DEP_1)
	v_add_nc_u32_e32 v1, v1, v37
	v_cndmask_b32_e64 v1, 0, v1, s0
	s_delay_alu instid0(VALU_DEP_1) | instskip(NEXT) | instid1(VALU_DEP_1)
	v_add_nc_u32_e32 v1, v1, v38
	v_cndmask_b32_e64 v1, 0, v1, s13
	v_cmp_eq_u32_e64 s13, 0, v2
	s_delay_alu instid0(VALU_DEP_2) | instskip(SKIP_1) | instid1(VALU_DEP_1)
	v_add_nc_u32_e32 v1, v1, v79
	s_waitcnt lgkmcnt(0)
	v_mov_b32_dpp v3, v1 row_shr:1 row_mask:0xf bank_mask:0xf
	s_delay_alu instid0(VALU_DEP_1) | instskip(SKIP_1) | instid1(VALU_DEP_1)
	v_cndmask_b32_e64 v3, 0, v3, s13
	v_cmp_eq_u32_e64 s13, 0, v4
	v_cndmask_b32_e64 v5, v5, 0, s13
	s_delay_alu instid0(VALU_DEP_3) | instskip(NEXT) | instid1(VALU_DEP_2)
	v_cndmask_b32_e64 v3, v3, 0, s13
	v_add_nc_u32_e32 v2, v5, v2
	s_delay_alu instid0(VALU_DEP_2) | instskip(NEXT) | instid1(VALU_DEP_2)
	v_add_nc_u32_e32 v1, v3, v1
	v_mov_b32_dpp v3, v2 row_shr:2 row_mask:0xf bank_mask:0xf
	v_cmp_eq_u32_e64 s13, 0, v2
	s_delay_alu instid0(VALU_DEP_3) | instskip(NEXT) | instid1(VALU_DEP_3)
	v_mov_b32_dpp v5, v1 row_shr:2 row_mask:0xf bank_mask:0xf
	v_cndmask_b32_e64 v3, 0, v3, s14
	s_delay_alu instid0(VALU_DEP_3) | instskip(SKIP_1) | instid1(VALU_DEP_3)
	s_and_b32 s13, s14, s13
	v_cmp_lt_u32_e64 s14, 3, v4
	v_cndmask_b32_e64 v5, 0, v5, s13
	s_delay_alu instid0(VALU_DEP_3) | instskip(NEXT) | instid1(VALU_DEP_2)
	v_add_nc_u32_e32 v2, v2, v3
	v_add_nc_u32_e32 v1, v5, v1
	s_delay_alu instid0(VALU_DEP_2) | instskip(SKIP_1) | instid1(VALU_DEP_3)
	v_mov_b32_dpp v3, v2 row_shr:4 row_mask:0xf bank_mask:0xf
	v_cmp_eq_u32_e64 s13, 0, v2
	v_mov_b32_dpp v5, v1 row_shr:4 row_mask:0xf bank_mask:0xf
	s_delay_alu instid0(VALU_DEP_3) | instskip(NEXT) | instid1(VALU_DEP_3)
	v_cndmask_b32_e64 v3, 0, v3, s14
	s_and_b32 s13, s14, s13
	v_cmp_lt_u32_e64 s14, 7, v4
	s_delay_alu instid0(VALU_DEP_3) | instskip(NEXT) | instid1(VALU_DEP_3)
	v_cndmask_b32_e64 v5, 0, v5, s13
	v_add_nc_u32_e32 v2, v3, v2
	s_delay_alu instid0(VALU_DEP_2) | instskip(SKIP_1) | instid1(VALU_DEP_3)
	v_add_nc_u32_e32 v1, v1, v5
	v_bfe_i32 v5, v81, 4, 1
	v_cmp_eq_u32_e64 s13, 0, v2
	v_mov_b32_dpp v3, v2 row_shr:8 row_mask:0xf bank_mask:0xf
	s_delay_alu instid0(VALU_DEP_4) | instskip(NEXT) | instid1(VALU_DEP_3)
	v_mov_b32_dpp v4, v1 row_shr:8 row_mask:0xf bank_mask:0xf
	s_and_b32 s13, s14, s13
	s_delay_alu instid0(VALU_DEP_2) | instskip(SKIP_1) | instid1(VALU_DEP_2)
	v_cndmask_b32_e64 v3, 0, v3, s14
	s_mov_b32 s14, exec_lo
	v_cndmask_b32_e64 v4, 0, v4, s13
	s_delay_alu instid0(VALU_DEP_1) | instskip(NEXT) | instid1(VALU_DEP_3)
	v_add_nc_u32_e32 v4, v4, v1
	v_add_nc_u32_e32 v1, v3, v2
	ds_swizzle_b32 v2, v4 offset:swizzle(BROADCAST,32,15)
	ds_swizzle_b32 v3, v1 offset:swizzle(BROADCAST,32,15)
	v_cmp_eq_u32_e64 s13, 0, v1
	s_waitcnt lgkmcnt(1)
	s_delay_alu instid0(VALU_DEP_1) | instskip(SKIP_2) | instid1(VALU_DEP_2)
	v_cndmask_b32_e64 v2, 0, v2, s13
	s_waitcnt lgkmcnt(0)
	v_and_b32_e32 v3, v5, v3
	v_and_b32_e32 v2, v5, v2
	s_delay_alu instid0(VALU_DEP_2) | instskip(NEXT) | instid1(VALU_DEP_2)
	v_add_nc_u32_e32 v1, v3, v1
	v_add_nc_u32_e32 v2, v2, v4
	v_cmpx_eq_u32_e64 v83, v0
	s_cbranch_execz .LBB370_152
; %bb.151:
	v_lshlrev_b32_e32 v3, 3, v82
	ds_store_b64 v3, v[1:2] offset:2064
.LBB370_152:
	s_or_b32 exec_lo, exec_lo, s14
	s_delay_alu instid0(SALU_CYCLE_1)
	s_mov_b32 s15, exec_lo
	s_waitcnt vmcnt(0) lgkmcnt(0)
	s_barrier
	buffer_gl0_inv
	v_cmpx_gt_u32_e32 8, v0
	s_cbranch_execz .LBB370_154
; %bb.153:
	v_lshlrev_b32_e32 v5, 3, v0
	v_and_b32_e32 v7, 7, v81
	ds_load_b64 v[3:4], v5 offset:2064
	v_cmp_lt_u32_e64 s14, 1, v7
	s_waitcnt lgkmcnt(0)
	v_mov_b32_dpp v6, v4 row_shr:1 row_mask:0xf bank_mask:0xf
	v_cmp_eq_u32_e64 s13, 0, v3
	v_mov_b32_dpp v8, v3 row_shr:1 row_mask:0xf bank_mask:0xf
	s_delay_alu instid0(VALU_DEP_2) | instskip(SKIP_1) | instid1(VALU_DEP_1)
	v_cndmask_b32_e64 v6, 0, v6, s13
	v_cmp_eq_u32_e64 s13, 0, v7
	v_cndmask_b32_e64 v8, v8, 0, s13
	s_delay_alu instid0(VALU_DEP_3) | instskip(NEXT) | instid1(VALU_DEP_2)
	v_cndmask_b32_e64 v6, v6, 0, s13
	v_add_nc_u32_e32 v3, v8, v3
	s_delay_alu instid0(VALU_DEP_2) | instskip(NEXT) | instid1(VALU_DEP_2)
	v_add_nc_u32_e32 v4, v6, v4
	v_mov_b32_dpp v6, v3 row_shr:2 row_mask:0xf bank_mask:0xf
	v_cmp_eq_u32_e64 s13, 0, v3
	s_delay_alu instid0(VALU_DEP_3) | instskip(NEXT) | instid1(VALU_DEP_3)
	v_mov_b32_dpp v8, v4 row_shr:2 row_mask:0xf bank_mask:0xf
	v_cndmask_b32_e64 v6, 0, v6, s14
	s_delay_alu instid0(VALU_DEP_3) | instskip(SKIP_1) | instid1(VALU_DEP_3)
	s_and_b32 s13, s14, s13
	v_cmp_lt_u32_e64 s14, 3, v7
	v_cndmask_b32_e64 v8, 0, v8, s13
	s_delay_alu instid0(VALU_DEP_3) | instskip(NEXT) | instid1(VALU_DEP_2)
	v_add_nc_u32_e32 v3, v6, v3
	v_add_nc_u32_e32 v4, v8, v4
	s_delay_alu instid0(VALU_DEP_2) | instskip(SKIP_1) | instid1(VALU_DEP_3)
	v_cmp_eq_u32_e64 s13, 0, v3
	v_mov_b32_dpp v6, v3 row_shr:4 row_mask:0xf bank_mask:0xf
	v_mov_b32_dpp v7, v4 row_shr:4 row_mask:0xf bank_mask:0xf
	s_delay_alu instid0(VALU_DEP_3) | instskip(NEXT) | instid1(VALU_DEP_2)
	s_and_b32 s13, s14, s13
	v_cndmask_b32_e64 v6, 0, v6, s14
	s_delay_alu instid0(VALU_DEP_2) | instskip(NEXT) | instid1(VALU_DEP_2)
	v_cndmask_b32_e64 v7, 0, v7, s13
	v_add_nc_u32_e32 v3, v6, v3
	s_delay_alu instid0(VALU_DEP_2)
	v_add_nc_u32_e32 v4, v7, v4
	ds_store_b64 v5, v[3:4] offset:2064
.LBB370_154:
	s_or_b32 exec_lo, exec_lo, s15
	v_dual_mov_b32 v7, 0 :: v_dual_mov_b32 v4, v63
	v_mov_b32_e32 v3, 0
	s_mov_b32 s14, exec_lo
	s_waitcnt lgkmcnt(0)
	s_barrier
	buffer_gl0_inv
	v_cmpx_lt_u32_e32 31, v0
	s_cbranch_execz .LBB370_156
; %bb.155:
	v_lshlrev_b32_e32 v3, 3, v82
	ds_load_b64 v[3:4], v3 offset:2056
	s_waitcnt lgkmcnt(0)
	v_cmp_eq_u32_e64 s13, 0, v3
	s_delay_alu instid0(VALU_DEP_1) | instskip(NEXT) | instid1(VALU_DEP_1)
	v_cndmask_b32_e64 v5, 0, v63, s13
	v_add_nc_u32_e32 v4, v5, v4
.LBB370_156:
	s_or_b32 exec_lo, exec_lo, s14
	v_add_nc_u32_e32 v5, -1, v81
	s_delay_alu instid0(VALU_DEP_1) | instskip(NEXT) | instid1(VALU_DEP_1)
	v_cmp_gt_i32_e64 s13, 0, v5
	v_cndmask_b32_e64 v5, v5, v81, s13
	v_cmp_eq_u32_e64 s13, 0, v1
	v_add_nc_u32_e32 v1, v3, v1
	s_delay_alu instid0(VALU_DEP_3) | instskip(NEXT) | instid1(VALU_DEP_3)
	v_lshlrev_b32_e32 v5, 2, v5
	v_cndmask_b32_e64 v6, 0, v4, s13
	v_cmp_eq_u32_e64 s13, 0, v81
	ds_bpermute_b32 v1, v5, v1
	v_add_nc_u32_e32 v2, v6, v2
	ds_bpermute_b32 v2, v5, v2
	s_waitcnt lgkmcnt(1)
	v_cndmask_b32_e64 v1, v1, v3, s13
	s_delay_alu instid0(VALU_DEP_1) | instskip(SKIP_3) | instid1(VALU_DEP_3)
	v_cndmask_b32_e64 v67, v1, 0, s2
	s_waitcnt lgkmcnt(0)
	v_cndmask_b32_e64 v2, v2, v4, s13
	v_cmp_eq_u32_e64 s13, 0, v35
	v_add_nc_u32_e32 v73, v67, v35
	s_delay_alu instid0(VALU_DEP_3) | instskip(NEXT) | instid1(VALU_DEP_2)
	v_cndmask_b32_e64 v68, v2, v63, s2
	v_add_nc_u32_e32 v69, v73, v36
	s_delay_alu instid0(VALU_DEP_2) | instskip(NEXT) | instid1(VALU_DEP_2)
	v_cndmask_b32_e64 v2, 0, v68, s13
	v_add_nc_u32_e32 v65, v69, v33
	s_delay_alu instid0(VALU_DEP_2) | instskip(NEXT) | instid1(VALU_DEP_2)
	v_add_nc_u32_e32 v74, v2, v49
	v_add_nc_u32_e32 v59, v65, v34
	s_delay_alu instid0(VALU_DEP_2) | instskip(NEXT) | instid1(VALU_DEP_2)
	v_cndmask_b32_e64 v2, 0, v74, s7
	v_add_nc_u32_e32 v55, v59, v31
	s_delay_alu instid0(VALU_DEP_2) | instskip(NEXT) | instid1(VALU_DEP_2)
	v_add_nc_u32_e32 v70, v2, v50
	;; [unrolled: 6-line block ×3, first 2 shown]
	v_add_nc_u32_e32 v61, v57, v30
	s_delay_alu instid0(VALU_DEP_2) | instskip(NEXT) | instid1(VALU_DEP_2)
	v_cndmask_b32_e64 v2, 0, v66, s9
	v_add_nc_u32_e32 v5, v61, v27
	s_delay_alu instid0(VALU_DEP_2) | instskip(NEXT) | instid1(VALU_DEP_1)
	v_add_nc_u32_e32 v60, v2, v48
	v_cndmask_b32_e64 v2, 0, v60, s10
	s_delay_alu instid0(VALU_DEP_1) | instskip(NEXT) | instid1(VALU_DEP_1)
	v_add_nc_u32_e32 v56, v2, v45
	v_cndmask_b32_e64 v2, 0, v56, s11
	s_delay_alu instid0(VALU_DEP_1) | instskip(NEXT) | instid1(VALU_DEP_1)
	;; [unrolled: 3-line block ×6, first 2 shown]
	v_add_nc_u32_e32 v8, v1, v42
	v_cndmask_b32_e64 v1, 0, v8, s3
	s_delay_alu instid0(VALU_DEP_1) | instskip(SKIP_3) | instid1(VALU_DEP_2)
	v_add_nc_u32_e32 v52, v1, v39
	ds_load_b64 v[1:2], v7 offset:2120
	v_add_nc_u32_e32 v7, v5, v28
	v_cndmask_b32_e64 v3, 0, v52, s1
	v_add_nc_u32_e32 v51, v7, v25
	s_delay_alu instid0(VALU_DEP_2) | instskip(NEXT) | instid1(VALU_DEP_2)
	v_add_nc_u32_e32 v76, v3, v40
	v_add_nc_u32_e32 v75, v51, v26
	s_delay_alu instid0(VALU_DEP_2) | instskip(NEXT) | instid1(VALU_DEP_2)
	v_cndmask_b32_e32 v3, 0, v76, vcc_lo
	v_add_nc_u32_e32 v71, v75, v23
	s_delay_alu instid0(VALU_DEP_2) | instskip(SKIP_2) | instid1(VALU_DEP_2)
	v_add_nc_u32_e32 v72, v3, v37
	s_waitcnt lgkmcnt(0)
	v_cmp_eq_u32_e32 vcc_lo, 0, v1
	v_cndmask_b32_e64 v3, 0, v72, s0
	v_dual_cndmask_b32 v4, 0, v63 :: v_dual_add_nc_u32 v63, v71, v24
	s_delay_alu instid0(VALU_DEP_2) | instskip(NEXT) | instid1(VALU_DEP_2)
	v_add_nc_u32_e32 v64, v3, v38
	v_add_nc_u32_e32 v80, v4, v2
	s_and_saveexec_b32 s0, s2
	s_cbranch_execz .LBB370_158
; %bb.157:
	s_delay_alu instid0(VALU_DEP_1)
	v_and_b32_e32 v2, 0xff000000, v80
	v_dual_mov_b32 v4, 0 :: v_dual_and_b32 v3, 0xff0000, v80
	s_add_u32 s4, s20, 0x200
	v_and_b32_e32 v37, 0xff00, v80
	s_addc_u32 s5, s21, 0
	v_and_b32_e32 v38, 0xff, v80
	v_or_b32_e32 v2, v3, v2
	v_mov_b32_e32 v3, 2
	s_delay_alu instid0(VALU_DEP_2)
	v_or3_b32 v2, v2, v37, v38
	v_dual_mov_b32 v38, s5 :: v_dual_mov_b32 v37, s4
	;;#ASMSTART
	global_store_dwordx4 v[37:38], v[1:4] off	
s_waitcnt vmcnt(0)
	;;#ASMEND
.LBB370_158:
	s_or_b32 exec_lo, exec_lo, s0
	v_mov_b32_e32 v3, 0
.LBB370_159:
	v_mov_b32_e32 v37, 0
	s_and_b32 s0, s16, exec_lo
	v_mov_b32_e32 v38, 0
	s_cselect_b32 s1, 0, s39
	s_cselect_b32 s0, 0, s38
	s_waitcnt lgkmcnt(0)
	s_cmp_eq_u64 s[0:1], 0
	s_barrier
	buffer_gl0_inv
	s_cbranch_scc1 .LBB370_161
; %bb.160:
	v_mov_b32_e32 v2, 0
	global_load_b64 v[37:38], v2, s[0:1]
.LBB370_161:
	v_cmp_eq_u32_e32 vcc_lo, 0, v35
	v_cmp_ne_u32_e64 s15, 0, v35
	v_cmp_ne_u32_e64 s14, 0, v36
	;; [unrolled: 1-line block ×4, first 2 shown]
	v_cndmask_b32_e64 v2, 1, 2, vcc_lo
	v_cmp_eq_u32_e32 vcc_lo, 0, v36
	v_cmp_ne_u32_e64 s11, 0, v31
	v_cmp_ne_u32_e64 s10, 0, v32
	;; [unrolled: 1-line block ×4, first 2 shown]
	v_cndmask_b32_e64 v4, 1, 2, vcc_lo
	v_cmp_eq_u32_e32 vcc_lo, 0, v33
	v_cmp_ne_u32_e64 s9, 0, v27
	v_cmp_ne_u32_e64 s7, 0, v28
	;; [unrolled: 1-line block ×3, first 2 shown]
	v_and_b32_e32 v2, v4, v2
	v_cndmask_b32_e64 v39, 1, 2, vcc_lo
	v_cmp_eq_u32_e32 vcc_lo, 0, v34
	v_cmp_ne_u32_e64 s4, 0, v26
	v_cmp_ne_u32_e64 s3, 0, v23
	v_cmp_ne_u32_e64 s1, 0, v24
	v_and_b32_e32 v2, v2, v39
	v_cndmask_b32_e64 v4, 1, 2, vcc_lo
	v_cmp_eq_u32_e32 vcc_lo, 0, v31
	v_cmp_ne_u32_e64 s0, 0, v78
	s_delay_alu instid0(VALU_DEP_3) | instskip(SKIP_2) | instid1(VALU_DEP_2)
	v_and_b32_e32 v2, v2, v4
	v_cndmask_b32_e64 v39, 1, 2, vcc_lo
	v_cmp_eq_u32_e32 vcc_lo, 0, v32
	v_and_b32_e32 v2, v2, v39
	v_cndmask_b32_e64 v4, 1, 2, vcc_lo
	v_cmp_eq_u32_e32 vcc_lo, 0, v29
	s_waitcnt vmcnt(0)
	v_lshlrev_b64 v[39:40], 2, v[37:38]
	s_delay_alu instid0(VALU_DEP_3) | instskip(SKIP_2) | instid1(VALU_DEP_2)
	v_and_b32_e32 v2, v2, v4
	v_cndmask_b32_e64 v41, 1, 2, vcc_lo
	v_cmp_eq_u32_e32 vcc_lo, 0, v30
	v_and_b32_e32 v2, v2, v41
	v_cndmask_b32_e64 v42, 1, 2, vcc_lo
	v_cmp_eq_u32_e32 vcc_lo, 0, v27
	s_delay_alu instid0(VALU_DEP_2) | instskip(SKIP_2) | instid1(VALU_DEP_2)
	v_and_b32_e32 v2, v2, v42
	v_cndmask_b32_e64 v41, 1, 2, vcc_lo
	v_cmp_eq_u32_e32 vcc_lo, 0, v28
	v_and_b32_e32 v2, v2, v41
	v_cndmask_b32_e64 v42, 1, 2, vcc_lo
	v_cmp_eq_u32_e32 vcc_lo, 0, v25
	s_delay_alu instid0(VALU_DEP_2) | instskip(SKIP_2) | instid1(VALU_DEP_2)
	;; [unrolled: 7-line block ×3, first 2 shown]
	v_and_b32_e32 v2, v2, v43
	v_cndmask_b32_e64 v44, 1, 2, vcc_lo
	v_cmp_eq_u32_e32 vcc_lo, 0, v24
	v_and_b32_e32 v44, v2, v44
	v_cndmask_b32_e64 v45, 1, 2, vcc_lo
	v_mov_b32_e32 v4, 0
	s_delay_alu instid0(VALU_DEP_1) | instskip(SKIP_3) | instid1(VALU_DEP_2)
	v_lshlrev_b64 v[41:42], 2, v[3:4]
	v_add_co_u32 v4, vcc_lo, s18, v39
	v_add_co_ci_u32_e32 v43, vcc_lo, s19, v40, vcc_lo
	s_mov_b32 s18, -1
	v_add_co_u32 v2, vcc_lo, v4, v41
	s_delay_alu instid0(VALU_DEP_2) | instskip(SKIP_4) | instid1(VALU_DEP_2)
	v_add_co_ci_u32_e32 v4, vcc_lo, v43, v42, vcc_lo
	v_and_b32_e32 v43, v44, v45
	v_cmp_eq_u32_e32 vcc_lo, 0, v78
	v_cndmask_b32_e64 v44, 1, 2, vcc_lo
	v_cmp_gt_u32_e32 vcc_lo, 0x100, v1
	v_and_b32_e32 v43, v43, v44
	s_delay_alu instid0(VALU_DEP_1)
	v_cmp_gt_i16_e64 s16, 2, v43
	s_cbranch_vccz .LBB370_168
; %bb.162:
	s_delay_alu instid0(VALU_DEP_1)
	s_and_saveexec_b32 s18, s16
	s_cbranch_execz .LBB370_167
; %bb.163:
	s_mov_b32 s19, 0
	s_mov_b32 s16, exec_lo
	v_cmpx_ne_u16_e32 1, v43
	s_xor_b32 s16, exec_lo, s16
	s_cbranch_execnz .LBB370_233
; %bb.164:
	s_and_not1_saveexec_b32 s16, s16
	s_cbranch_execnz .LBB370_249
.LBB370_165:
	s_or_b32 exec_lo, exec_lo, s16
	s_delay_alu instid0(SALU_CYCLE_1)
	s_and_b32 exec_lo, exec_lo, s19
	s_cbranch_execz .LBB370_167
.LBB370_166:
	v_sub_nc_u32_e32 v44, v63, v3
	v_mov_b32_e32 v45, 0
	s_delay_alu instid0(VALU_DEP_1) | instskip(NEXT) | instid1(VALU_DEP_1)
	v_lshlrev_b64 v[44:45], 2, v[44:45]
	v_add_co_u32 v44, vcc_lo, v2, v44
	s_delay_alu instid0(VALU_DEP_2)
	v_add_co_ci_u32_e32 v45, vcc_lo, v4, v45, vcc_lo
	global_store_b32 v[44:45], v77, off
.LBB370_167:
	s_or_b32 exec_lo, exec_lo, s18
	s_mov_b32 s18, 0
.LBB370_168:
	s_delay_alu instid0(SALU_CYCLE_1)
	s_and_b32 vcc_lo, exec_lo, s18
	s_cbranch_vccz .LBB370_178
; %bb.169:
	s_mov_b32 s16, exec_lo
	v_cmpx_gt_i16_e32 2, v43
	s_cbranch_execz .LBB370_174
; %bb.170:
	s_mov_b32 s19, 0
	s_mov_b32 s18, exec_lo
	v_cmpx_ne_u16_e32 1, v43
	s_xor_b32 s18, exec_lo, s18
	s_cbranch_execnz .LBB370_250
; %bb.171:
	s_and_not1_saveexec_b32 s0, s18
	s_cbranch_execnz .LBB370_266
.LBB370_172:
	s_or_b32 exec_lo, exec_lo, s0
	s_delay_alu instid0(SALU_CYCLE_1)
	s_and_b32 exec_lo, exec_lo, s19
	s_cbranch_execz .LBB370_174
.LBB370_173:
	v_sub_nc_u32_e32 v9, v63, v3
	s_delay_alu instid0(VALU_DEP_1)
	v_lshlrev_b32_e32 v9, 2, v9
	ds_store_b32 v9, v77
.LBB370_174:
	s_or_b32 exec_lo, exec_lo, s16
	s_delay_alu instid0(SALU_CYCLE_1)
	s_mov_b32 s1, exec_lo
	s_waitcnt lgkmcnt(0)
	s_waitcnt_vscnt null, 0x0
	s_barrier
	buffer_gl0_inv
	v_cmpx_lt_u32_e64 v0, v1
	s_cbranch_execz .LBB370_177
; %bb.175:
	v_dual_mov_b32 v10, 0 :: v_dual_lshlrev_b32 v11, 2, v0
	v_mov_b32_e32 v9, v0
	s_mov_b32 s3, 0
	.p2align	6
.LBB370_176:                            ; =>This Inner Loop Header: Depth=1
	ds_load_b32 v14, v11
	v_lshlrev_b64 v[12:13], 2, v[9:10]
	v_add_nc_u32_e32 v9, 0x100, v9
	v_add_nc_u32_e32 v11, 0x400, v11
	s_delay_alu instid0(VALU_DEP_2) | instskip(NEXT) | instid1(VALU_DEP_4)
	v_cmp_ge_u32_e32 vcc_lo, v9, v1
	v_add_co_u32 v12, s0, v2, v12
	s_delay_alu instid0(VALU_DEP_1)
	v_add_co_ci_u32_e64 v13, s0, v4, v13, s0
	s_or_b32 s3, vcc_lo, s3
	s_waitcnt lgkmcnt(0)
	global_store_b32 v[12:13], v14, off
	s_and_not1_b32 exec_lo, exec_lo, s3
	s_cbranch_execnz .LBB370_176
.LBB370_177:
	s_or_b32 exec_lo, exec_lo, s1
.LBB370_178:
	s_cmpk_lg_i32 s26, 0xf00
	v_cndmask_b32_e64 v4, 0, 1, s27
	s_cselect_b32 s0, -1, 0
	v_mad_i32_i24 v10, v0, -15, s26
	s_and_b32 s0, s0, s17
	s_and_b32 s1, s2, s27
	v_cndmask_b32_e64 v9, 0, 1, s0
	s_mul_hi_u32 s0, s26, 0x88888889
	v_sub_nc_u32_e32 v2, v1, v4
	s_lshr_b32 s0, s0, 3
	v_cndmask_b32_e64 v11, v35, 0, s1
	v_cmp_eq_u32_e32 vcc_lo, s0, v0
	v_cmp_ne_u32_e64 s0, 0, v10
	s_mov_b32 s16, -1
	s_waitcnt_vscnt null, 0x0
	s_barrier
	s_and_b32 vcc_lo, vcc_lo, s17
	v_add_nc_u32_e32 v2, v2, v9
	v_cndmask_b32_e64 v9, 1, v11, s0
	v_cmp_ne_u32_e64 s0, 1, v10
	buffer_gl0_inv
	v_cndmask_b32_e64 v12, 1, v36, s0
	v_cmp_ne_u32_e64 s0, 14, v10
	s_delay_alu instid0(VALU_DEP_2) | instskip(NEXT) | instid1(VALU_DEP_2)
	v_cndmask_b32_e32 v17, v36, v12, vcc_lo
	v_cndmask_b32_e64 v13, 1, v78, s0
	v_cmp_ne_u32_e64 s0, 2, v10
	s_delay_alu instid0(VALU_DEP_3) | instskip(NEXT) | instid1(VALU_DEP_3)
	v_cmp_ne_u32_e64 s13, 0, v17
	v_cndmask_b32_e32 v16, v78, v13, vcc_lo
	s_delay_alu instid0(VALU_DEP_3) | instskip(SKIP_1) | instid1(VALU_DEP_2)
	v_cndmask_b32_e64 v14, 1, v33, s0
	v_cmp_ne_u32_e64 s0, 3, v10
	v_dual_cndmask_b32 v13, v11, v9 :: v_dual_cndmask_b32 v14, v33, v14
	s_delay_alu instid0(VALU_DEP_2) | instskip(SKIP_1) | instid1(VALU_DEP_3)
	v_cndmask_b32_e64 v15, 1, v34, s0
	v_cmp_ne_u32_e64 s0, 4, v10
	v_cmp_ne_u32_e64 s14, 0, v13
	s_delay_alu instid0(VALU_DEP_4) | instskip(NEXT) | instid1(VALU_DEP_3)
	v_cmp_ne_u32_e64 s12, 0, v14
	v_cndmask_b32_e64 v9, 1, v31, s0
	v_cmp_ne_u32_e64 s0, 5, v10
	s_delay_alu instid0(VALU_DEP_1) | instskip(SKIP_1) | instid1(VALU_DEP_1)
	v_cndmask_b32_e64 v11, 1, v32, s0
	v_cmp_eq_u32_e64 s0, 0, v13
	v_cndmask_b32_e64 v12, 1, 2, s0
	v_cmp_eq_u32_e64 s0, 0, v17
	s_delay_alu instid0(VALU_DEP_1) | instskip(SKIP_1) | instid1(VALU_DEP_1)
	v_cndmask_b32_e64 v18, 1, 2, s0
	v_cmp_ne_u32_e64 s0, 6, v10
	v_cndmask_b32_e64 v19, 1, v29, s0
	v_cmp_eq_u32_e64 s0, 0, v14
	s_delay_alu instid0(VALU_DEP_2) | instskip(NEXT) | instid1(VALU_DEP_2)
	v_dual_cndmask_b32 v19, v29, v19 :: v_dual_and_b32 v12, v18, v12
	v_cndmask_b32_e64 v18, 1, 2, s0
	v_cmp_ne_u32_e64 s0, 7, v10
	v_cndmask_b32_e32 v15, v34, v15, vcc_lo
	s_delay_alu instid0(VALU_DEP_4) | instskip(NEXT) | instid1(VALU_DEP_4)
	v_cmp_ne_u32_e64 s8, 0, v19
	v_and_b32_e32 v12, v12, v18
	s_delay_alu instid0(VALU_DEP_4) | instskip(SKIP_2) | instid1(VALU_DEP_2)
	v_cndmask_b32_e64 v20, 1, v30, s0
	v_cmp_ne_u32_e64 s0, 8, v10
	v_cmp_ne_u32_e64 s11, 0, v15
	v_cndmask_b32_e64 v21, 1, v27, s0
	v_cmp_eq_u32_e64 s0, 0, v15
	s_delay_alu instid0(VALU_DEP_2) | instskip(NEXT) | instid1(VALU_DEP_2)
	v_dual_cndmask_b32 v20, v30, v20 :: v_dual_cndmask_b32 v21, v27, v21
	v_cndmask_b32_e64 v18, 1, 2, s0
	v_cndmask_b32_e32 v22, v31, v9, vcc_lo
	v_cmp_ne_u32_e64 s0, 9, v10
	v_cndmask_b32_e32 v31, v32, v11, vcc_lo
	v_cmp_ne_u32_e64 s7, 0, v20
	v_and_b32_e32 v11, v12, v18
	v_cmp_ne_u32_e64 s10, 0, v22
	v_cndmask_b32_e64 v9, 1, v28, s0
	v_cmp_eq_u32_e64 s0, 0, v22
	v_cmp_ne_u32_e64 s9, 0, v31
	v_cmp_ne_u32_e64 s6, 0, v21
	s_delay_alu instid0(VALU_DEP_3) | instskip(SKIP_1) | instid1(VALU_DEP_2)
	v_cndmask_b32_e64 v12, 1, 2, s0
	v_cmp_ne_u32_e64 s0, 10, v10
	v_and_b32_e32 v11, v11, v12
	s_delay_alu instid0(VALU_DEP_2) | instskip(SKIP_1) | instid1(VALU_DEP_2)
	v_cndmask_b32_e64 v18, 1, v25, s0
	v_cmp_ne_u32_e64 s0, 12, v10
	v_cndmask_b32_e32 v18, v25, v18, vcc_lo
	s_delay_alu instid0(VALU_DEP_2) | instskip(SKIP_2) | instid1(VALU_DEP_4)
	v_cndmask_b32_e64 v32, 1, v23, s0
	v_cmp_eq_u32_e64 s0, 0, v31
	v_cndmask_b32_e32 v25, v28, v9, vcc_lo
	v_cmp_ne_u32_e64 s4, 0, v18
	s_delay_alu instid0(VALU_DEP_4) | instskip(NEXT) | instid1(VALU_DEP_4)
	v_cndmask_b32_e32 v23, v23, v32, vcc_lo
	v_cndmask_b32_e64 v12, 1, 2, s0
	v_cmp_ne_u32_e64 s0, 13, v10
	s_delay_alu instid0(VALU_DEP_3) | instskip(NEXT) | instid1(VALU_DEP_2)
	v_cmp_ne_u32_e64 s2, 0, v23
	v_cndmask_b32_e64 v29, 1, v24, s0
	v_cmp_eq_u32_e64 s0, 0, v19
	s_delay_alu instid0(VALU_DEP_2) | instskip(NEXT) | instid1(VALU_DEP_2)
	v_dual_cndmask_b32 v24, v24, v29 :: v_dual_and_b32 v11, v11, v12
	v_cndmask_b32_e64 v12, 1, 2, s0
	v_cmp_ne_u32_e64 s0, 11, v10
	s_delay_alu instid0(VALU_DEP_3) | instskip(NEXT) | instid1(VALU_DEP_2)
	v_cmp_ne_u32_e64 s1, 0, v24
	v_cndmask_b32_e64 v10, 1, v26, s0
	v_cmp_eq_u32_e64 s0, 0, v20
	s_delay_alu instid0(VALU_DEP_2) | instskip(NEXT) | instid1(VALU_DEP_2)
	v_dual_cndmask_b32 v26, v26, v10 :: v_dual_and_b32 v11, v11, v12
	v_cndmask_b32_e64 v12, 1, 2, s0
	v_cmp_eq_u32_e32 vcc_lo, 0, v21
	v_cmp_ne_u32_e64 s0, 0, v16
	s_delay_alu instid0(VALU_DEP_4) | instskip(NEXT) | instid1(VALU_DEP_4)
	v_cmp_ne_u32_e64 s3, 0, v26
	v_and_b32_e32 v9, v11, v12
	v_cndmask_b32_e64 v10, 1, 2, vcc_lo
	v_add_co_u32 v11, vcc_lo, s28, v39
	v_add_co_ci_u32_e32 v12, vcc_lo, s29, v40, vcc_lo
	v_cmp_eq_u32_e32 vcc_lo, 0, v25
	s_delay_alu instid0(VALU_DEP_4)
	v_and_b32_e32 v27, v9, v10
	v_cndmask_b32_e64 v28, 1, 2, vcc_lo
	v_add_co_u32 v9, vcc_lo, v11, v41
	v_add_co_ci_u32_e32 v10, vcc_lo, v12, v42, vcc_lo
	v_lshlrev_b32_e32 v11, 2, v4
	v_cmp_eq_u32_e32 vcc_lo, 0, v18
	v_and_b32_e32 v12, v27, v28
	v_add_nc_u32_e32 v4, v3, v4
	v_cmp_ne_u32_e64 s5, 0, v25
	v_cndmask_b32_e64 v27, 1, 2, vcc_lo
	v_add_co_u32 v11, vcc_lo, v11, v9
	v_add_co_ci_u32_e32 v28, vcc_lo, 0, v10, vcc_lo
	v_cmp_eq_u32_e32 vcc_lo, 0, v26
	s_delay_alu instid0(VALU_DEP_4) | instskip(SKIP_4) | instid1(VALU_DEP_4)
	v_and_b32_e32 v27, v12, v27
	v_cndmask_b32_e64 v29, 1, 2, vcc_lo
	v_add_co_u32 v11, vcc_lo, v11, -4
	v_add_co_ci_u32_e32 v12, vcc_lo, -1, v28, vcc_lo
	v_cmp_eq_u32_e32 vcc_lo, 0, v23
	v_and_b32_e32 v27, v27, v29
	v_cndmask_b32_e64 v28, 1, 2, vcc_lo
	v_cmp_eq_u32_e32 vcc_lo, 0, v24
	s_delay_alu instid0(VALU_DEP_2) | instskip(SKIP_2) | instid1(VALU_DEP_2)
	v_and_b32_e32 v13, v27, v28
	v_cndmask_b32_e64 v14, 1, 2, vcc_lo
	v_cmp_eq_u32_e32 vcc_lo, 0, v16
	v_and_b32_e32 v13, v13, v14
	v_cndmask_b32_e64 v14, 1, 2, vcc_lo
	v_cmp_gt_u32_e32 vcc_lo, 0x100, v2
	s_delay_alu instid0(VALU_DEP_2) | instskip(NEXT) | instid1(VALU_DEP_1)
	v_and_b32_e32 v13, v13, v14
	v_cmp_gt_i16_e64 s15, 2, v13
	s_cbranch_vccnz .LBB370_182
; %bb.179:
	s_and_b32 vcc_lo, exec_lo, s16
	s_cbranch_vccnz .LBB370_188
.LBB370_180:
	v_cmp_eq_u32_e32 vcc_lo, 0xff, v0
	s_and_b32 s0, vcc_lo, s17
	s_delay_alu instid0(SALU_CYCLE_1)
	s_and_saveexec_b32 s1, s0
	s_cbranch_execnz .LBB370_197
.LBB370_181:
	s_nop 0
	s_sendmsg sendmsg(MSG_DEALLOC_VGPRS)
	s_endpgm
.LBB370_182:
	s_delay_alu instid0(VALU_DEP_1)
	s_and_saveexec_b32 s16, s15
	s_cbranch_execz .LBB370_187
; %bb.183:
	s_mov_b32 s18, 0
	s_mov_b32 s15, exec_lo
	v_cmpx_ne_u16_e32 1, v13
	s_xor_b32 s15, exec_lo, s15
	s_cbranch_execnz .LBB370_267
; %bb.184:
	s_and_not1_saveexec_b32 s15, s15
	s_cbranch_execnz .LBB370_283
.LBB370_185:
	s_or_b32 exec_lo, exec_lo, s15
	s_delay_alu instid0(SALU_CYCLE_1)
	s_and_b32 exec_lo, exec_lo, s18
	s_cbranch_execz .LBB370_187
.LBB370_186:
	v_sub_nc_u32_e32 v14, v63, v4
	v_mov_b32_e32 v15, 0
	s_delay_alu instid0(VALU_DEP_1) | instskip(NEXT) | instid1(VALU_DEP_1)
	v_lshlrev_b64 v[14:15], 2, v[14:15]
	v_add_co_u32 v14, vcc_lo, v11, v14
	s_delay_alu instid0(VALU_DEP_2)
	v_add_co_ci_u32_e32 v15, vcc_lo, v12, v15, vcc_lo
	global_store_b32 v[14:15], v64, off
.LBB370_187:
	s_or_b32 exec_lo, exec_lo, s16
	s_branch .LBB370_180
.LBB370_188:
	s_mov_b32 s15, exec_lo
	v_cmpx_gt_i16_e32 2, v13
	s_cbranch_execz .LBB370_193
; %bb.189:
	s_mov_b32 s18, 0
	s_mov_b32 s16, exec_lo
	v_cmpx_ne_u16_e32 1, v13
	s_xor_b32 s16, exec_lo, s16
	s_cbranch_execnz .LBB370_284
; %bb.190:
	s_and_not1_saveexec_b32 s0, s16
	s_cbranch_execnz .LBB370_300
.LBB370_191:
	s_or_b32 exec_lo, exec_lo, s0
	s_delay_alu instid0(SALU_CYCLE_1)
	s_and_b32 exec_lo, exec_lo, s18
	s_cbranch_execz .LBB370_193
.LBB370_192:
	v_sub_nc_u32_e32 v4, v63, v4
	s_delay_alu instid0(VALU_DEP_1)
	v_lshlrev_b32_e32 v4, 2, v4
	ds_store_b32 v4, v64
.LBB370_193:
	s_or_b32 exec_lo, exec_lo, s15
	s_delay_alu instid0(SALU_CYCLE_1)
	s_mov_b32 s1, exec_lo
	s_waitcnt lgkmcnt(0)
	s_waitcnt_vscnt null, 0x0
	s_barrier
	buffer_gl0_inv
	v_cmpx_lt_u32_e64 v0, v2
	s_cbranch_execz .LBB370_196
; %bb.194:
	v_dual_mov_b32 v5, 0 :: v_dual_lshlrev_b32 v6, 2, v0
	v_mov_b32_e32 v4, v0
	s_mov_b32 s2, 0
	.p2align	6
.LBB370_195:                            ; =>This Inner Loop Header: Depth=1
	ds_load_b32 v13, v6
	v_lshlrev_b64 v[7:8], 2, v[4:5]
	v_add_nc_u32_e32 v4, 0x100, v4
	v_add_nc_u32_e32 v6, 0x400, v6
	s_delay_alu instid0(VALU_DEP_2) | instskip(NEXT) | instid1(VALU_DEP_4)
	v_cmp_ge_u32_e32 vcc_lo, v4, v2
	v_add_co_u32 v7, s0, v11, v7
	s_delay_alu instid0(VALU_DEP_1)
	v_add_co_ci_u32_e64 v8, s0, v12, v8, s0
	s_or_b32 s2, vcc_lo, s2
	s_waitcnt lgkmcnt(0)
	global_store_b32 v[7:8], v13, off
	s_and_not1_b32 exec_lo, exec_lo, s2
	s_cbranch_execnz .LBB370_195
.LBB370_196:
	s_or_b32 exec_lo, exec_lo, s1
	v_cmp_eq_u32_e32 vcc_lo, 0xff, v0
	s_and_b32 s0, vcc_lo, s17
	s_delay_alu instid0(SALU_CYCLE_1)
	s_and_saveexec_b32 s1, s0
	s_cbranch_execz .LBB370_181
.LBB370_197:
	v_add_co_u32 v0, s0, v1, v3
	s_delay_alu instid0(VALU_DEP_1) | instskip(SKIP_1) | instid1(VALU_DEP_3)
	v_add_co_ci_u32_e64 v4, null, 0, 0, s0
	v_mov_b32_e32 v2, 0
	v_add_co_u32 v3, vcc_lo, v0, v37
	s_delay_alu instid0(VALU_DEP_3)
	v_add_co_ci_u32_e32 v4, vcc_lo, v4, v38, vcc_lo
	s_cmpk_lg_i32 s26, 0xf00
	global_store_b64 v2, v[3:4], s[30:31]
	s_cbranch_scc1 .LBB370_181
; %bb.198:
	v_lshlrev_b64 v[0:1], 2, v[1:2]
	s_delay_alu instid0(VALU_DEP_1) | instskip(NEXT) | instid1(VALU_DEP_2)
	v_add_co_u32 v0, vcc_lo, v9, v0
	v_add_co_ci_u32_e32 v1, vcc_lo, v10, v1, vcc_lo
	global_store_b32 v[0:1], v80, off offset:-4
	s_nop 0
	s_sendmsg sendmsg(MSG_DEALLOC_VGPRS)
	s_endpgm
.LBB370_199:
                                        ; implicit-def: $sgpr4
                                        ; implicit-def: $vgpr78
                                        ; implicit-def: $vgpr24
                                        ; implicit-def: $vgpr23
                                        ; implicit-def: $vgpr26
                                        ; implicit-def: $vgpr25
                                        ; implicit-def: $vgpr28
                                        ; implicit-def: $vgpr27
                                        ; implicit-def: $vgpr30
                                        ; implicit-def: $vgpr29
                                        ; implicit-def: $vgpr32
                                        ; implicit-def: $vgpr31
                                        ; implicit-def: $vgpr34
                                        ; implicit-def: $vgpr33
                                        ; implicit-def: $vgpr36
	s_cbranch_execz .LBB370_113
.LBB370_200:
	v_mad_u32_u24 v23, v0, 15, 14
	s_waitcnt lgkmcnt(0)
	v_dual_mov_b32 v24, 0 :: v_dual_lshlrev_b32 v3, 2, v0
	v_mul_u32_u24_e32 v1, 15, v0
	v_mov_b32_e32 v78, 0
	s_mov_b32 s4, exec_lo
	ds_store_b32 v3, v77
	v_cmpx_gt_u64_e64 s[0:1], v[23:24]
; %bb.201:
	v_mul_hi_i32 v2, 0x66666667, v10
	v_mul_hi_i32 v4, 0x66666667, v77
	s_delay_alu instid0(VALU_DEP_2) | instskip(SKIP_1) | instid1(VALU_DEP_3)
	v_lshrrev_b32_e32 v5, 31, v2
	v_ashrrev_i32_e32 v2, 2, v2
	v_lshrrev_b32_e32 v6, 31, v4
	v_ashrrev_i32_e32 v4, 2, v4
	s_delay_alu instid0(VALU_DEP_3) | instskip(NEXT) | instid1(VALU_DEP_2)
	v_add_nc_u32_e32 v2, v2, v5
	v_add_nc_u32_e32 v4, v4, v6
	s_delay_alu instid0(VALU_DEP_1)
	v_cmp_ne_u32_e32 vcc_lo, v2, v4
	v_cndmask_b32_e64 v78, 0, 1, vcc_lo
; %bb.202:
	s_or_b32 exec_lo, exec_lo, s4
	v_add_nc_u32_e32 v23, 13, v1
	s_mov_b32 s4, exec_lo
	s_delay_alu instid0(VALU_DEP_1)
	v_cmpx_gt_u64_e64 s[0:1], v[23:24]
; %bb.203:
	v_mul_hi_i32 v2, 0x66666667, v9
	v_mul_hi_i32 v4, 0x66666667, v10
	s_delay_alu instid0(VALU_DEP_2) | instskip(SKIP_1) | instid1(VALU_DEP_3)
	v_lshrrev_b32_e32 v5, 31, v2
	v_ashrrev_i32_e32 v2, 2, v2
	v_lshrrev_b32_e32 v6, 31, v4
	v_ashrrev_i32_e32 v4, 2, v4
	s_delay_alu instid0(VALU_DEP_3) | instskip(NEXT) | instid1(VALU_DEP_2)
	v_add_nc_u32_e32 v2, v2, v5
	v_add_nc_u32_e32 v4, v4, v6
	s_delay_alu instid0(VALU_DEP_1)
	v_cmp_ne_u32_e32 vcc_lo, v2, v4
	v_cndmask_b32_e64 v24, 0, 1, vcc_lo
; %bb.204:
	s_or_b32 exec_lo, exec_lo, s4
	v_dual_mov_b32 v26, 0 :: v_dual_add_nc_u32 v25, 12, v1
	v_mov_b32_e32 v23, 0
	s_mov_b32 s4, exec_lo
	s_delay_alu instid0(VALU_DEP_2)
	v_cmpx_gt_u64_e64 s[0:1], v[25:26]
; %bb.205:
	v_mul_hi_i32 v2, 0x66666667, v12
	v_mul_hi_i32 v4, 0x66666667, v9
	s_delay_alu instid0(VALU_DEP_2) | instskip(SKIP_1) | instid1(VALU_DEP_3)
	v_lshrrev_b32_e32 v5, 31, v2
	v_ashrrev_i32_e32 v2, 2, v2
	v_lshrrev_b32_e32 v6, 31, v4
	v_ashrrev_i32_e32 v4, 2, v4
	s_delay_alu instid0(VALU_DEP_3) | instskip(NEXT) | instid1(VALU_DEP_2)
	v_add_nc_u32_e32 v2, v2, v5
	v_add_nc_u32_e32 v4, v4, v6
	s_delay_alu instid0(VALU_DEP_1)
	v_cmp_ne_u32_e32 vcc_lo, v2, v4
	v_cndmask_b32_e64 v23, 0, 1, vcc_lo
; %bb.206:
	s_or_b32 exec_lo, exec_lo, s4
	v_add_nc_u32_e32 v25, 11, v1
	s_mov_b32 s4, exec_lo
	s_delay_alu instid0(VALU_DEP_1)
	v_cmpx_gt_u64_e64 s[0:1], v[25:26]
; %bb.207:
	v_mul_hi_i32 v2, 0x66666667, v11
	v_mul_hi_i32 v4, 0x66666667, v12
	s_delay_alu instid0(VALU_DEP_2) | instskip(SKIP_1) | instid1(VALU_DEP_3)
	v_lshrrev_b32_e32 v5, 31, v2
	v_ashrrev_i32_e32 v2, 2, v2
	v_lshrrev_b32_e32 v6, 31, v4
	v_ashrrev_i32_e32 v4, 2, v4
	s_delay_alu instid0(VALU_DEP_3) | instskip(NEXT) | instid1(VALU_DEP_2)
	v_add_nc_u32_e32 v2, v2, v5
	v_add_nc_u32_e32 v4, v4, v6
	s_delay_alu instid0(VALU_DEP_1)
	v_cmp_ne_u32_e32 vcc_lo, v2, v4
	v_cndmask_b32_e64 v26, 0, 1, vcc_lo
; %bb.208:
	s_or_b32 exec_lo, exec_lo, s4
	v_dual_mov_b32 v28, 0 :: v_dual_add_nc_u32 v27, 10, v1
	v_mov_b32_e32 v25, 0
	s_mov_b32 s4, exec_lo
	s_delay_alu instid0(VALU_DEP_2)
	;; [unrolled: 41-line block ×6, first 2 shown]
	v_cmpx_gt_u64_e64 s[0:1], v[35:36]
; %bb.225:
	v_mul_hi_i32 v2, 0x66666667, v22
	v_mul_hi_i32 v4, 0x66666667, v19
	s_delay_alu instid0(VALU_DEP_2) | instskip(SKIP_1) | instid1(VALU_DEP_3)
	v_lshrrev_b32_e32 v5, 31, v2
	v_ashrrev_i32_e32 v2, 2, v2
	v_lshrrev_b32_e32 v6, 31, v4
	v_ashrrev_i32_e32 v4, 2, v4
	s_delay_alu instid0(VALU_DEP_3) | instskip(NEXT) | instid1(VALU_DEP_2)
	v_add_nc_u32_e32 v2, v2, v5
	v_add_nc_u32_e32 v4, v4, v6
	s_delay_alu instid0(VALU_DEP_1)
	v_cmp_ne_u32_e32 vcc_lo, v2, v4
	v_cndmask_b32_e64 v33, 0, 1, vcc_lo
; %bb.226:
	s_or_b32 exec_lo, exec_lo, s4
	v_add_nc_u32_e32 v35, 1, v1
	s_mov_b32 s4, exec_lo
	s_delay_alu instid0(VALU_DEP_1)
	v_cmpx_gt_u64_e64 s[0:1], v[35:36]
; %bb.227:
	v_mul_hi_i32 v2, 0x66666667, v21
	v_mul_hi_i32 v4, 0x66666667, v22
	s_delay_alu instid0(VALU_DEP_2) | instskip(SKIP_1) | instid1(VALU_DEP_3)
	v_lshrrev_b32_e32 v5, 31, v2
	v_ashrrev_i32_e32 v2, 2, v2
	v_lshrrev_b32_e32 v6, 31, v4
	v_ashrrev_i32_e32 v4, 2, v4
	s_delay_alu instid0(VALU_DEP_3) | instskip(NEXT) | instid1(VALU_DEP_2)
	v_add_nc_u32_e32 v2, v2, v5
	v_add_nc_u32_e32 v4, v4, v6
	s_delay_alu instid0(VALU_DEP_1)
	v_cmp_ne_u32_e32 vcc_lo, v2, v4
	v_cndmask_b32_e64 v36, 0, 1, vcc_lo
; %bb.228:
	s_or_b32 exec_lo, exec_lo, s4
	s_waitcnt lgkmcnt(0)
	s_barrier
	buffer_gl0_inv
                                        ; implicit-def: $sgpr4
	s_and_saveexec_b32 s5, s3
	s_cbranch_execz .LBB370_232
; %bb.229:
	v_mov_b32_e32 v2, 0
	s_delay_alu instid0(VALU_DEP_1)
	v_cmp_gt_u64_e32 vcc_lo, s[0:1], v[1:2]
	s_mov_b32 s1, 0
	s_and_saveexec_b32 s0, vcc_lo
	s_cbranch_execz .LBB370_231
; %bb.230:
	v_add_nc_u32_e32 v1, -4, v3
	v_mul_hi_i32 v2, 0x66666667, v21
	ds_load_b32 v1, v1
	v_lshrrev_b32_e32 v3, 31, v2
	v_ashrrev_i32_e32 v2, 2, v2
	s_delay_alu instid0(VALU_DEP_1) | instskip(SKIP_2) | instid1(VALU_DEP_1)
	v_add_nc_u32_e32 v2, v2, v3
	s_waitcnt lgkmcnt(0)
	v_mul_hi_i32 v1, 0x66666667, v1
	v_lshrrev_b32_e32 v4, 31, v1
	v_ashrrev_i32_e32 v1, 2, v1
	s_delay_alu instid0(VALU_DEP_1) | instskip(NEXT) | instid1(VALU_DEP_1)
	v_add_nc_u32_e32 v1, v1, v4
	v_cmp_ne_u32_e32 vcc_lo, v1, v2
	s_and_b32 s1, vcc_lo, exec_lo
.LBB370_231:
	s_or_b32 exec_lo, exec_lo, s0
	s_delay_alu instid0(SALU_CYCLE_1)
	s_and_b32 s4, s1, exec_lo
	s_or_b32 s15, s15, exec_lo
.LBB370_232:
	s_or_b32 exec_lo, exec_lo, s5
	s_mov_b32 s0, 1
	s_delay_alu instid0(SALU_CYCLE_1)
	v_mov_b32_e32 v35, s0
	s_and_saveexec_b32 s0, s15
	s_cbranch_execnz .LBB370_115
	s_branch .LBB370_116
.LBB370_233:
	s_and_saveexec_b32 s19, s15
	s_cbranch_execnz .LBB370_301
; %bb.234:
	s_or_b32 exec_lo, exec_lo, s19
	s_and_saveexec_b32 s19, s14
	s_cbranch_execnz .LBB370_302
.LBB370_235:
	s_or_b32 exec_lo, exec_lo, s19
	s_and_saveexec_b32 s19, s13
	s_cbranch_execnz .LBB370_303
.LBB370_236:
	s_or_b32 exec_lo, exec_lo, s19
	s_and_saveexec_b32 s19, s12
	s_cbranch_execnz .LBB370_304
.LBB370_237:
	s_or_b32 exec_lo, exec_lo, s19
	s_and_saveexec_b32 s19, s11
	s_cbranch_execnz .LBB370_305
.LBB370_238:
	s_or_b32 exec_lo, exec_lo, s19
	s_and_saveexec_b32 s19, s10
	s_cbranch_execnz .LBB370_306
.LBB370_239:
	s_or_b32 exec_lo, exec_lo, s19
	s_and_saveexec_b32 s19, s8
	s_cbranch_execnz .LBB370_307
.LBB370_240:
	s_or_b32 exec_lo, exec_lo, s19
	s_and_saveexec_b32 s19, s6
	s_cbranch_execnz .LBB370_308
.LBB370_241:
	s_or_b32 exec_lo, exec_lo, s19
	s_and_saveexec_b32 s19, s9
	s_cbranch_execnz .LBB370_309
.LBB370_242:
	s_or_b32 exec_lo, exec_lo, s19
	s_and_saveexec_b32 s19, s7
	s_cbranch_execnz .LBB370_310
.LBB370_243:
	s_or_b32 exec_lo, exec_lo, s19
	s_and_saveexec_b32 s19, s5
	s_cbranch_execnz .LBB370_311
.LBB370_244:
	s_or_b32 exec_lo, exec_lo, s19
	s_and_saveexec_b32 s19, s4
	s_cbranch_execnz .LBB370_312
.LBB370_245:
	s_or_b32 exec_lo, exec_lo, s19
	s_and_saveexec_b32 s19, s3
	s_cbranch_execnz .LBB370_313
.LBB370_246:
	s_or_b32 exec_lo, exec_lo, s19
	s_and_saveexec_b32 s19, s1
	s_cbranch_execz .LBB370_248
.LBB370_247:
	v_sub_nc_u32_e32 v44, v71, v3
	v_mov_b32_e32 v45, 0
	s_delay_alu instid0(VALU_DEP_1) | instskip(NEXT) | instid1(VALU_DEP_1)
	v_lshlrev_b64 v[44:45], 2, v[44:45]
	v_add_co_u32 v44, vcc_lo, v2, v44
	s_delay_alu instid0(VALU_DEP_2)
	v_add_co_ci_u32_e32 v45, vcc_lo, v4, v45, vcc_lo
	global_store_b32 v[44:45], v10, off
.LBB370_248:
	s_or_b32 exec_lo, exec_lo, s19
	s_delay_alu instid0(SALU_CYCLE_1)
	s_and_b32 s19, s0, exec_lo
	s_and_not1_saveexec_b32 s16, s16
	s_cbranch_execz .LBB370_165
.LBB370_249:
	v_sub_nc_u32_e32 v44, v67, v3
	v_mov_b32_e32 v45, 0
	s_or_b32 s19, s19, exec_lo
	s_delay_alu instid0(VALU_DEP_1) | instskip(SKIP_1) | instid1(VALU_DEP_1)
	v_lshlrev_b64 v[46:47], 2, v[44:45]
	v_sub_nc_u32_e32 v44, v73, v3
	v_lshlrev_b64 v[48:49], 2, v[44:45]
	v_sub_nc_u32_e32 v44, v69, v3
	s_delay_alu instid0(VALU_DEP_4) | instskip(SKIP_1) | instid1(VALU_DEP_3)
	v_add_co_u32 v46, vcc_lo, v2, v46
	v_add_co_ci_u32_e32 v47, vcc_lo, v4, v47, vcc_lo
	v_lshlrev_b64 v[81:82], 2, v[44:45]
	v_sub_nc_u32_e32 v44, v65, v3
	v_add_co_u32 v48, vcc_lo, v2, v48
	v_add_co_ci_u32_e32 v49, vcc_lo, v4, v49, vcc_lo
	global_store_b32 v[46:47], v21, off
	v_lshlrev_b64 v[46:47], 2, v[44:45]
	v_sub_nc_u32_e32 v44, v59, v3
	global_store_b32 v[48:49], v22, off
	v_add_co_u32 v48, vcc_lo, v2, v81
	v_add_co_ci_u32_e32 v49, vcc_lo, v4, v82, vcc_lo
	v_lshlrev_b64 v[81:82], 2, v[44:45]
	v_sub_nc_u32_e32 v44, v55, v3
	v_add_co_u32 v46, vcc_lo, v2, v46
	v_add_co_ci_u32_e32 v47, vcc_lo, v4, v47, vcc_lo
	s_delay_alu instid0(VALU_DEP_3) | instskip(SKIP_3) | instid1(VALU_DEP_3)
	v_lshlrev_b64 v[83:84], 2, v[44:45]
	v_sub_nc_u32_e32 v44, v53, v3
	v_add_co_u32 v81, vcc_lo, v2, v81
	v_add_co_ci_u32_e32 v82, vcc_lo, v4, v82, vcc_lo
	v_lshlrev_b64 v[85:86], 2, v[44:45]
	v_sub_nc_u32_e32 v44, v57, v3
	v_add_co_u32 v83, vcc_lo, v2, v83
	v_add_co_ci_u32_e32 v84, vcc_lo, v4, v84, vcc_lo
	s_clause 0x3
	global_store_b32 v[48:49], v19, off
	global_store_b32 v[46:47], v20, off
	;; [unrolled: 1-line block ×4, first 2 shown]
	v_lshlrev_b64 v[46:47], 2, v[44:45]
	v_sub_nc_u32_e32 v44, v61, v3
	v_add_co_u32 v48, vcc_lo, v2, v85
	v_add_co_ci_u32_e32 v49, vcc_lo, v4, v86, vcc_lo
	s_delay_alu instid0(VALU_DEP_3) | instskip(SKIP_3) | instid1(VALU_DEP_3)
	v_lshlrev_b64 v[81:82], 2, v[44:45]
	v_sub_nc_u32_e32 v44, v5, v3
	v_add_co_u32 v46, vcc_lo, v2, v46
	v_add_co_ci_u32_e32 v47, vcc_lo, v4, v47, vcc_lo
	v_lshlrev_b64 v[83:84], 2, v[44:45]
	v_sub_nc_u32_e32 v44, v7, v3
	v_add_co_u32 v81, vcc_lo, v2, v81
	v_add_co_ci_u32_e32 v82, vcc_lo, v4, v82, vcc_lo
	s_delay_alu instid0(VALU_DEP_3)
	v_lshlrev_b64 v[85:86], 2, v[44:45]
	v_sub_nc_u32_e32 v44, v51, v3
	v_add_co_u32 v83, vcc_lo, v2, v83
	v_add_co_ci_u32_e32 v84, vcc_lo, v4, v84, vcc_lo
	s_clause 0x3
	global_store_b32 v[48:49], v15, off
	global_store_b32 v[46:47], v16, off
	global_store_b32 v[81:82], v13, off
	global_store_b32 v[83:84], v14, off
	v_lshlrev_b64 v[46:47], 2, v[44:45]
	v_sub_nc_u32_e32 v44, v75, v3
	v_add_co_u32 v48, vcc_lo, v2, v85
	v_add_co_ci_u32_e32 v49, vcc_lo, v4, v86, vcc_lo
	s_delay_alu instid0(VALU_DEP_3) | instskip(SKIP_3) | instid1(VALU_DEP_3)
	v_lshlrev_b64 v[81:82], 2, v[44:45]
	v_sub_nc_u32_e32 v44, v71, v3
	v_add_co_u32 v46, vcc_lo, v2, v46
	v_add_co_ci_u32_e32 v47, vcc_lo, v4, v47, vcc_lo
	v_lshlrev_b64 v[44:45], 2, v[44:45]
	v_add_co_u32 v81, vcc_lo, v2, v81
	v_add_co_ci_u32_e32 v82, vcc_lo, v4, v82, vcc_lo
	s_clause 0x2
	global_store_b32 v[48:49], v11, off
	global_store_b32 v[46:47], v12, off
	;; [unrolled: 1-line block ×3, first 2 shown]
	v_add_co_u32 v44, vcc_lo, v2, v44
	v_add_co_ci_u32_e32 v45, vcc_lo, v4, v45, vcc_lo
	global_store_b32 v[44:45], v10, off
	s_or_b32 exec_lo, exec_lo, s16
	s_delay_alu instid0(SALU_CYCLE_1)
	s_and_b32 exec_lo, exec_lo, s19
	s_cbranch_execnz .LBB370_166
	s_branch .LBB370_167
.LBB370_250:
	s_and_saveexec_b32 s19, s15
	s_cbranch_execnz .LBB370_314
; %bb.251:
	s_or_b32 exec_lo, exec_lo, s19
	s_and_saveexec_b32 s15, s14
	s_cbranch_execnz .LBB370_315
.LBB370_252:
	s_or_b32 exec_lo, exec_lo, s15
	s_and_saveexec_b32 s14, s13
	s_cbranch_execnz .LBB370_316
.LBB370_253:
	s_or_b32 exec_lo, exec_lo, s14
	s_and_saveexec_b32 s13, s12
	s_cbranch_execnz .LBB370_317
.LBB370_254:
	s_or_b32 exec_lo, exec_lo, s13
	s_and_saveexec_b32 s12, s11
	s_cbranch_execnz .LBB370_318
.LBB370_255:
	s_or_b32 exec_lo, exec_lo, s12
	s_and_saveexec_b32 s11, s10
	s_cbranch_execnz .LBB370_319
.LBB370_256:
	s_or_b32 exec_lo, exec_lo, s11
	s_and_saveexec_b32 s10, s8
	s_cbranch_execnz .LBB370_320
.LBB370_257:
	s_or_b32 exec_lo, exec_lo, s10
	s_and_saveexec_b32 s8, s6
	s_cbranch_execnz .LBB370_321
.LBB370_258:
	s_or_b32 exec_lo, exec_lo, s8
	s_and_saveexec_b32 s6, s9
	s_cbranch_execnz .LBB370_322
.LBB370_259:
	s_or_b32 exec_lo, exec_lo, s6
	s_and_saveexec_b32 s6, s7
	s_cbranch_execnz .LBB370_323
.LBB370_260:
	s_or_b32 exec_lo, exec_lo, s6
	s_and_saveexec_b32 s6, s5
	s_cbranch_execnz .LBB370_324
.LBB370_261:
	s_or_b32 exec_lo, exec_lo, s6
	s_and_saveexec_b32 s5, s4
	s_cbranch_execnz .LBB370_325
.LBB370_262:
	s_or_b32 exec_lo, exec_lo, s5
	s_and_saveexec_b32 s4, s3
	s_cbranch_execnz .LBB370_326
.LBB370_263:
	s_or_b32 exec_lo, exec_lo, s4
	s_and_saveexec_b32 s3, s1
	s_cbranch_execz .LBB370_265
.LBB370_264:
	v_sub_nc_u32_e32 v9, v71, v3
	s_delay_alu instid0(VALU_DEP_1)
	v_lshlrev_b32_e32 v9, 2, v9
	ds_store_b32 v9, v10
.LBB370_265:
	s_or_b32 exec_lo, exec_lo, s3
	s_delay_alu instid0(SALU_CYCLE_1)
	s_and_b32 s19, s0, exec_lo
                                        ; implicit-def: $vgpr21
                                        ; implicit-def: $vgpr19
                                        ; implicit-def: $vgpr17
                                        ; implicit-def: $vgpr15
                                        ; implicit-def: $vgpr13
                                        ; implicit-def: $vgpr11
                                        ; implicit-def: $vgpr9
	s_and_not1_saveexec_b32 s0, s18
	s_cbranch_execz .LBB370_172
.LBB370_266:
	v_sub_nc_u32_e32 v43, v67, v3
	v_sub_nc_u32_e32 v46, v65, v3
	;; [unrolled: 1-line block ×4, first 2 shown]
	s_or_b32 s19, s19, exec_lo
	v_lshlrev_b32_e32 v43, 2, v43
	v_lshlrev_b32_e32 v46, 2, v46
	;; [unrolled: 1-line block ×4, first 2 shown]
	ds_store_b32 v43, v21
	ds_store_b32 v44, v22
	;; [unrolled: 1-line block ×3, first 2 shown]
	v_sub_nc_u32_e32 v19, v59, v3
	ds_store_b32 v46, v20
	v_sub_nc_u32_e32 v20, v55, v3
	v_sub_nc_u32_e32 v21, v53, v3
	;; [unrolled: 1-line block ×3, first 2 shown]
	v_lshlrev_b32_e32 v19, 2, v19
	v_sub_nc_u32_e32 v43, v61, v3
	v_lshlrev_b32_e32 v20, 2, v20
	v_lshlrev_b32_e32 v21, 2, v21
	;; [unrolled: 1-line block ×3, first 2 shown]
	ds_store_b32 v19, v17
	v_lshlrev_b32_e32 v17, 2, v43
	ds_store_b32 v20, v18
	ds_store_b32 v21, v15
	;; [unrolled: 1-line block ×3, first 2 shown]
	v_sub_nc_u32_e32 v15, v5, v3
	v_sub_nc_u32_e32 v18, v71, v3
	;; [unrolled: 1-line block ×3, first 2 shown]
	ds_store_b32 v17, v13
	v_sub_nc_u32_e32 v13, v7, v3
	v_lshlrev_b32_e32 v15, 2, v15
	v_sub_nc_u32_e32 v17, v75, v3
	v_lshlrev_b32_e32 v16, 2, v16
	s_delay_alu instid0(VALU_DEP_4)
	v_lshlrev_b32_e32 v13, 2, v13
	ds_store_b32 v15, v14
	v_lshlrev_b32_e32 v14, 2, v18
	v_lshlrev_b32_e32 v17, 2, v17
	ds_store_b32 v13, v11
	ds_store_b32 v16, v12
	;; [unrolled: 1-line block ×4, first 2 shown]
	s_or_b32 exec_lo, exec_lo, s0
	s_delay_alu instid0(SALU_CYCLE_1)
	s_and_b32 exec_lo, exec_lo, s19
	s_cbranch_execnz .LBB370_173
	s_branch .LBB370_174
.LBB370_267:
	s_and_saveexec_b32 s18, s14
	s_cbranch_execnz .LBB370_327
; %bb.268:
	s_or_b32 exec_lo, exec_lo, s18
	s_and_saveexec_b32 s18, s13
	s_cbranch_execnz .LBB370_328
.LBB370_269:
	s_or_b32 exec_lo, exec_lo, s18
	s_and_saveexec_b32 s18, s12
	s_cbranch_execnz .LBB370_329
.LBB370_270:
	s_or_b32 exec_lo, exec_lo, s18
	s_and_saveexec_b32 s18, s11
	s_cbranch_execnz .LBB370_330
.LBB370_271:
	s_or_b32 exec_lo, exec_lo, s18
	s_and_saveexec_b32 s18, s10
	s_cbranch_execnz .LBB370_331
.LBB370_272:
	s_or_b32 exec_lo, exec_lo, s18
	s_and_saveexec_b32 s18, s9
	s_cbranch_execnz .LBB370_332
.LBB370_273:
	s_or_b32 exec_lo, exec_lo, s18
	s_and_saveexec_b32 s18, s8
	s_cbranch_execnz .LBB370_333
.LBB370_274:
	s_or_b32 exec_lo, exec_lo, s18
	s_and_saveexec_b32 s18, s7
	s_cbranch_execnz .LBB370_334
.LBB370_275:
	s_or_b32 exec_lo, exec_lo, s18
	s_and_saveexec_b32 s18, s6
	s_cbranch_execnz .LBB370_335
.LBB370_276:
	s_or_b32 exec_lo, exec_lo, s18
	s_and_saveexec_b32 s18, s5
	s_cbranch_execnz .LBB370_336
.LBB370_277:
	s_or_b32 exec_lo, exec_lo, s18
	s_and_saveexec_b32 s18, s4
	s_cbranch_execnz .LBB370_337
.LBB370_278:
	s_or_b32 exec_lo, exec_lo, s18
	s_and_saveexec_b32 s18, s3
	s_cbranch_execnz .LBB370_338
.LBB370_279:
	s_or_b32 exec_lo, exec_lo, s18
	s_and_saveexec_b32 s18, s2
	s_cbranch_execnz .LBB370_339
.LBB370_280:
	s_or_b32 exec_lo, exec_lo, s18
	s_and_saveexec_b32 s18, s1
	s_cbranch_execz .LBB370_282
.LBB370_281:
	v_sub_nc_u32_e32 v14, v71, v4
	v_mov_b32_e32 v15, 0
	s_delay_alu instid0(VALU_DEP_1) | instskip(NEXT) | instid1(VALU_DEP_1)
	v_lshlrev_b64 v[14:15], 2, v[14:15]
	v_add_co_u32 v14, vcc_lo, v11, v14
	s_delay_alu instid0(VALU_DEP_2)
	v_add_co_ci_u32_e32 v15, vcc_lo, v12, v15, vcc_lo
	global_store_b32 v[14:15], v72, off
.LBB370_282:
	s_or_b32 exec_lo, exec_lo, s18
	s_delay_alu instid0(SALU_CYCLE_1)
	s_and_b32 s18, s0, exec_lo
	s_and_not1_saveexec_b32 s15, s15
	s_cbranch_execz .LBB370_185
.LBB370_283:
	v_sub_nc_u32_e32 v14, v67, v4
	v_mov_b32_e32 v15, 0
	s_or_b32 s18, s18, exec_lo
	s_delay_alu instid0(VALU_DEP_1) | instskip(SKIP_1) | instid1(VALU_DEP_1)
	v_lshlrev_b64 v[16:17], 2, v[14:15]
	v_sub_nc_u32_e32 v14, v73, v4
	v_lshlrev_b64 v[18:19], 2, v[14:15]
	v_sub_nc_u32_e32 v14, v69, v4
	s_delay_alu instid0(VALU_DEP_4) | instskip(SKIP_1) | instid1(VALU_DEP_3)
	v_add_co_u32 v16, vcc_lo, v11, v16
	v_add_co_ci_u32_e32 v17, vcc_lo, v12, v17, vcc_lo
	v_lshlrev_b64 v[20:21], 2, v[14:15]
	v_sub_nc_u32_e32 v14, v65, v4
	v_add_co_u32 v18, vcc_lo, v11, v18
	v_add_co_ci_u32_e32 v19, vcc_lo, v12, v19, vcc_lo
	global_store_b32 v[16:17], v68, off
	v_lshlrev_b64 v[16:17], 2, v[14:15]
	v_sub_nc_u32_e32 v14, v59, v4
	global_store_b32 v[18:19], v74, off
	v_add_co_u32 v18, vcc_lo, v11, v20
	v_add_co_ci_u32_e32 v19, vcc_lo, v12, v21, vcc_lo
	v_lshlrev_b64 v[20:21], 2, v[14:15]
	v_sub_nc_u32_e32 v14, v55, v4
	v_add_co_u32 v16, vcc_lo, v11, v16
	v_add_co_ci_u32_e32 v17, vcc_lo, v12, v17, vcc_lo
	s_delay_alu instid0(VALU_DEP_3) | instskip(SKIP_3) | instid1(VALU_DEP_3)
	v_lshlrev_b64 v[22:23], 2, v[14:15]
	v_sub_nc_u32_e32 v14, v53, v4
	v_add_co_u32 v20, vcc_lo, v11, v20
	v_add_co_ci_u32_e32 v21, vcc_lo, v12, v21, vcc_lo
	v_lshlrev_b64 v[24:25], 2, v[14:15]
	v_sub_nc_u32_e32 v14, v57, v4
	v_add_co_u32 v22, vcc_lo, v11, v22
	v_add_co_ci_u32_e32 v23, vcc_lo, v12, v23, vcc_lo
	s_clause 0x3
	global_store_b32 v[18:19], v70, off
	global_store_b32 v[16:17], v66, off
	;; [unrolled: 1-line block ×4, first 2 shown]
	v_lshlrev_b64 v[16:17], 2, v[14:15]
	v_sub_nc_u32_e32 v14, v61, v4
	v_add_co_u32 v18, vcc_lo, v11, v24
	v_add_co_ci_u32_e32 v19, vcc_lo, v12, v25, vcc_lo
	s_delay_alu instid0(VALU_DEP_3) | instskip(SKIP_3) | instid1(VALU_DEP_3)
	v_lshlrev_b64 v[20:21], 2, v[14:15]
	v_sub_nc_u32_e32 v14, v5, v4
	v_add_co_u32 v16, vcc_lo, v11, v16
	v_add_co_ci_u32_e32 v17, vcc_lo, v12, v17, vcc_lo
	v_lshlrev_b64 v[22:23], 2, v[14:15]
	v_sub_nc_u32_e32 v14, v7, v4
	v_add_co_u32 v20, vcc_lo, v11, v20
	v_add_co_ci_u32_e32 v21, vcc_lo, v12, v21, vcc_lo
	s_delay_alu instid0(VALU_DEP_3)
	v_lshlrev_b64 v[24:25], 2, v[14:15]
	v_sub_nc_u32_e32 v14, v51, v4
	v_add_co_u32 v22, vcc_lo, v11, v22
	v_add_co_ci_u32_e32 v23, vcc_lo, v12, v23, vcc_lo
	s_clause 0x3
	global_store_b32 v[18:19], v54, off
	global_store_b32 v[16:17], v58, off
	;; [unrolled: 1-line block ×4, first 2 shown]
	v_lshlrev_b64 v[16:17], 2, v[14:15]
	v_sub_nc_u32_e32 v14, v75, v4
	v_add_co_u32 v18, vcc_lo, v11, v24
	v_add_co_ci_u32_e32 v19, vcc_lo, v12, v25, vcc_lo
	s_delay_alu instid0(VALU_DEP_3) | instskip(SKIP_3) | instid1(VALU_DEP_3)
	v_lshlrev_b64 v[20:21], 2, v[14:15]
	v_sub_nc_u32_e32 v14, v71, v4
	v_add_co_u32 v16, vcc_lo, v11, v16
	v_add_co_ci_u32_e32 v17, vcc_lo, v12, v17, vcc_lo
	v_lshlrev_b64 v[14:15], 2, v[14:15]
	v_add_co_u32 v20, vcc_lo, v11, v20
	v_add_co_ci_u32_e32 v21, vcc_lo, v12, v21, vcc_lo
	s_clause 0x2
	global_store_b32 v[18:19], v8, off
	global_store_b32 v[16:17], v52, off
	;; [unrolled: 1-line block ×3, first 2 shown]
	v_add_co_u32 v14, vcc_lo, v11, v14
	v_add_co_ci_u32_e32 v15, vcc_lo, v12, v15, vcc_lo
	global_store_b32 v[14:15], v72, off
	s_or_b32 exec_lo, exec_lo, s15
	s_delay_alu instid0(SALU_CYCLE_1)
	s_and_b32 exec_lo, exec_lo, s18
	s_cbranch_execnz .LBB370_186
	s_branch .LBB370_187
.LBB370_284:
	s_and_saveexec_b32 s18, s14
	s_cbranch_execnz .LBB370_340
; %bb.285:
	s_or_b32 exec_lo, exec_lo, s18
	s_and_saveexec_b32 s14, s13
	s_cbranch_execnz .LBB370_341
.LBB370_286:
	s_or_b32 exec_lo, exec_lo, s14
	s_and_saveexec_b32 s13, s12
	s_cbranch_execnz .LBB370_342
.LBB370_287:
	s_or_b32 exec_lo, exec_lo, s13
	s_and_saveexec_b32 s12, s11
	s_cbranch_execnz .LBB370_343
.LBB370_288:
	s_or_b32 exec_lo, exec_lo, s12
	s_and_saveexec_b32 s11, s10
	s_cbranch_execnz .LBB370_344
.LBB370_289:
	s_or_b32 exec_lo, exec_lo, s11
	s_and_saveexec_b32 s10, s9
	s_cbranch_execnz .LBB370_345
.LBB370_290:
	s_or_b32 exec_lo, exec_lo, s10
	s_and_saveexec_b32 s9, s8
	s_cbranch_execnz .LBB370_346
.LBB370_291:
	s_or_b32 exec_lo, exec_lo, s9
	s_and_saveexec_b32 s8, s7
	s_cbranch_execnz .LBB370_347
.LBB370_292:
	s_or_b32 exec_lo, exec_lo, s8
	s_and_saveexec_b32 s7, s6
	s_cbranch_execnz .LBB370_348
.LBB370_293:
	s_or_b32 exec_lo, exec_lo, s7
	s_and_saveexec_b32 s6, s5
	s_cbranch_execnz .LBB370_349
.LBB370_294:
	s_or_b32 exec_lo, exec_lo, s6
	s_and_saveexec_b32 s5, s4
	s_cbranch_execnz .LBB370_350
.LBB370_295:
	s_or_b32 exec_lo, exec_lo, s5
	s_and_saveexec_b32 s4, s3
	s_cbranch_execnz .LBB370_351
.LBB370_296:
	s_or_b32 exec_lo, exec_lo, s4
	s_and_saveexec_b32 s3, s2
	s_cbranch_execnz .LBB370_352
.LBB370_297:
	s_or_b32 exec_lo, exec_lo, s3
	s_and_saveexec_b32 s2, s1
	s_cbranch_execz .LBB370_299
.LBB370_298:
	v_sub_nc_u32_e32 v5, v71, v4
	s_delay_alu instid0(VALU_DEP_1)
	v_lshlrev_b32_e32 v5, 2, v5
	ds_store_b32 v5, v72
.LBB370_299:
	s_or_b32 exec_lo, exec_lo, s2
	s_delay_alu instid0(SALU_CYCLE_1)
	s_and_b32 s18, s0, exec_lo
                                        ; implicit-def: $vgpr67_vgpr68
                                        ; implicit-def: $vgpr73_vgpr74
                                        ; implicit-def: $vgpr69_vgpr70
                                        ; implicit-def: $vgpr65_vgpr66
                                        ; implicit-def: $vgpr59_vgpr60
                                        ; implicit-def: $vgpr55_vgpr56
                                        ; implicit-def: $vgpr53_vgpr54
                                        ; implicit-def: $vgpr57_vgpr58
                                        ; implicit-def: $vgpr61_vgpr62
                                        ; implicit-def: $vgpr5_vgpr6
                                        ; implicit-def: $vgpr7_vgpr8
                                        ; implicit-def: $vgpr51_vgpr52
                                        ; implicit-def: $vgpr75_vgpr76
                                        ; implicit-def: $vgpr71_vgpr72
	s_and_not1_saveexec_b32 s0, s16
	s_cbranch_execz .LBB370_191
.LBB370_300:
	v_sub_nc_u32_e32 v13, v67, v4
	v_sub_nc_u32_e32 v14, v73, v4
	;; [unrolled: 1-line block ×5, first 2 shown]
	v_lshlrev_b32_e32 v13, 2, v13
	v_lshlrev_b32_e32 v14, 2, v14
	;; [unrolled: 1-line block ×4, first 2 shown]
	v_sub_nc_u32_e32 v5, v5, v4
	ds_store_b32 v13, v68
	ds_store_b32 v14, v74
	;; [unrolled: 1-line block ×3, first 2 shown]
	v_sub_nc_u32_e32 v13, v59, v4
	v_sub_nc_u32_e32 v14, v55, v4
	;; [unrolled: 1-line block ×3, first 2 shown]
	ds_store_b32 v16, v66
	v_sub_nc_u32_e32 v16, v57, v4
	v_lshlrev_b32_e32 v13, 2, v13
	v_lshlrev_b32_e32 v14, 2, v14
	;; [unrolled: 1-line block ×3, first 2 shown]
	v_sub_nc_u32_e32 v7, v7, v4
	v_lshlrev_b32_e32 v16, 2, v16
	ds_store_b32 v13, v60
	v_lshlrev_b32_e32 v13, 2, v17
	ds_store_b32 v14, v56
	ds_store_b32 v15, v54
	;; [unrolled: 1-line block ×3, first 2 shown]
	v_lshlrev_b32_e32 v5, 2, v5
	v_sub_nc_u32_e32 v15, v71, v4
	v_sub_nc_u32_e32 v14, v75, v4
	ds_store_b32 v13, v62
	v_sub_nc_u32_e32 v13, v51, v4
	v_lshlrev_b32_e32 v7, 2, v7
	ds_store_b32 v5, v6
	v_lshlrev_b32_e32 v5, 2, v15
	v_lshlrev_b32_e32 v14, 2, v14
	;; [unrolled: 1-line block ×3, first 2 shown]
	s_or_b32 s18, s18, exec_lo
	ds_store_b32 v7, v8
	ds_store_b32 v13, v52
	;; [unrolled: 1-line block ×4, first 2 shown]
	s_or_b32 exec_lo, exec_lo, s0
	s_delay_alu instid0(SALU_CYCLE_1)
	s_and_b32 exec_lo, exec_lo, s18
	s_cbranch_execnz .LBB370_192
	s_branch .LBB370_193
.LBB370_301:
	v_sub_nc_u32_e32 v44, v67, v3
	v_mov_b32_e32 v45, 0
	s_delay_alu instid0(VALU_DEP_1) | instskip(NEXT) | instid1(VALU_DEP_1)
	v_lshlrev_b64 v[44:45], 2, v[44:45]
	v_add_co_u32 v44, vcc_lo, v2, v44
	s_delay_alu instid0(VALU_DEP_2)
	v_add_co_ci_u32_e32 v45, vcc_lo, v4, v45, vcc_lo
	global_store_b32 v[44:45], v21, off
	s_or_b32 exec_lo, exec_lo, s19
	s_and_saveexec_b32 s19, s14
	s_cbranch_execz .LBB370_235
.LBB370_302:
	v_sub_nc_u32_e32 v44, v73, v3
	v_mov_b32_e32 v45, 0
	s_delay_alu instid0(VALU_DEP_1) | instskip(NEXT) | instid1(VALU_DEP_1)
	v_lshlrev_b64 v[44:45], 2, v[44:45]
	v_add_co_u32 v44, vcc_lo, v2, v44
	s_delay_alu instid0(VALU_DEP_2)
	v_add_co_ci_u32_e32 v45, vcc_lo, v4, v45, vcc_lo
	global_store_b32 v[44:45], v22, off
	s_or_b32 exec_lo, exec_lo, s19
	s_and_saveexec_b32 s19, s13
	s_cbranch_execz .LBB370_236
.LBB370_303:
	v_sub_nc_u32_e32 v44, v69, v3
	v_mov_b32_e32 v45, 0
	s_delay_alu instid0(VALU_DEP_1) | instskip(NEXT) | instid1(VALU_DEP_1)
	v_lshlrev_b64 v[44:45], 2, v[44:45]
	v_add_co_u32 v44, vcc_lo, v2, v44
	s_delay_alu instid0(VALU_DEP_2)
	v_add_co_ci_u32_e32 v45, vcc_lo, v4, v45, vcc_lo
	global_store_b32 v[44:45], v19, off
	s_or_b32 exec_lo, exec_lo, s19
	s_and_saveexec_b32 s19, s12
	s_cbranch_execz .LBB370_237
.LBB370_304:
	v_sub_nc_u32_e32 v44, v65, v3
	v_mov_b32_e32 v45, 0
	s_delay_alu instid0(VALU_DEP_1) | instskip(NEXT) | instid1(VALU_DEP_1)
	v_lshlrev_b64 v[44:45], 2, v[44:45]
	v_add_co_u32 v44, vcc_lo, v2, v44
	s_delay_alu instid0(VALU_DEP_2)
	v_add_co_ci_u32_e32 v45, vcc_lo, v4, v45, vcc_lo
	global_store_b32 v[44:45], v20, off
	s_or_b32 exec_lo, exec_lo, s19
	s_and_saveexec_b32 s19, s11
	s_cbranch_execz .LBB370_238
.LBB370_305:
	v_sub_nc_u32_e32 v44, v59, v3
	v_mov_b32_e32 v45, 0
	s_delay_alu instid0(VALU_DEP_1) | instskip(NEXT) | instid1(VALU_DEP_1)
	v_lshlrev_b64 v[44:45], 2, v[44:45]
	v_add_co_u32 v44, vcc_lo, v2, v44
	s_delay_alu instid0(VALU_DEP_2)
	v_add_co_ci_u32_e32 v45, vcc_lo, v4, v45, vcc_lo
	global_store_b32 v[44:45], v17, off
	s_or_b32 exec_lo, exec_lo, s19
	s_and_saveexec_b32 s19, s10
	s_cbranch_execz .LBB370_239
.LBB370_306:
	v_sub_nc_u32_e32 v44, v55, v3
	v_mov_b32_e32 v45, 0
	s_delay_alu instid0(VALU_DEP_1) | instskip(NEXT) | instid1(VALU_DEP_1)
	v_lshlrev_b64 v[44:45], 2, v[44:45]
	v_add_co_u32 v44, vcc_lo, v2, v44
	s_delay_alu instid0(VALU_DEP_2)
	v_add_co_ci_u32_e32 v45, vcc_lo, v4, v45, vcc_lo
	global_store_b32 v[44:45], v18, off
	s_or_b32 exec_lo, exec_lo, s19
	s_and_saveexec_b32 s19, s8
	s_cbranch_execz .LBB370_240
.LBB370_307:
	v_sub_nc_u32_e32 v44, v53, v3
	v_mov_b32_e32 v45, 0
	s_delay_alu instid0(VALU_DEP_1) | instskip(NEXT) | instid1(VALU_DEP_1)
	v_lshlrev_b64 v[44:45], 2, v[44:45]
	v_add_co_u32 v44, vcc_lo, v2, v44
	s_delay_alu instid0(VALU_DEP_2)
	v_add_co_ci_u32_e32 v45, vcc_lo, v4, v45, vcc_lo
	global_store_b32 v[44:45], v15, off
	s_or_b32 exec_lo, exec_lo, s19
	s_and_saveexec_b32 s19, s6
	s_cbranch_execz .LBB370_241
.LBB370_308:
	v_sub_nc_u32_e32 v44, v57, v3
	v_mov_b32_e32 v45, 0
	s_delay_alu instid0(VALU_DEP_1) | instskip(NEXT) | instid1(VALU_DEP_1)
	v_lshlrev_b64 v[44:45], 2, v[44:45]
	v_add_co_u32 v44, vcc_lo, v2, v44
	s_delay_alu instid0(VALU_DEP_2)
	v_add_co_ci_u32_e32 v45, vcc_lo, v4, v45, vcc_lo
	global_store_b32 v[44:45], v16, off
	s_or_b32 exec_lo, exec_lo, s19
	s_and_saveexec_b32 s19, s9
	s_cbranch_execz .LBB370_242
.LBB370_309:
	v_sub_nc_u32_e32 v44, v61, v3
	v_mov_b32_e32 v45, 0
	s_delay_alu instid0(VALU_DEP_1) | instskip(NEXT) | instid1(VALU_DEP_1)
	v_lshlrev_b64 v[44:45], 2, v[44:45]
	v_add_co_u32 v44, vcc_lo, v2, v44
	s_delay_alu instid0(VALU_DEP_2)
	v_add_co_ci_u32_e32 v45, vcc_lo, v4, v45, vcc_lo
	global_store_b32 v[44:45], v13, off
	s_or_b32 exec_lo, exec_lo, s19
	s_and_saveexec_b32 s19, s7
	s_cbranch_execz .LBB370_243
.LBB370_310:
	v_sub_nc_u32_e32 v44, v5, v3
	v_mov_b32_e32 v45, 0
	s_delay_alu instid0(VALU_DEP_1) | instskip(NEXT) | instid1(VALU_DEP_1)
	v_lshlrev_b64 v[44:45], 2, v[44:45]
	v_add_co_u32 v44, vcc_lo, v2, v44
	s_delay_alu instid0(VALU_DEP_2)
	v_add_co_ci_u32_e32 v45, vcc_lo, v4, v45, vcc_lo
	global_store_b32 v[44:45], v14, off
	s_or_b32 exec_lo, exec_lo, s19
	s_and_saveexec_b32 s19, s5
	s_cbranch_execz .LBB370_244
.LBB370_311:
	v_sub_nc_u32_e32 v44, v7, v3
	v_mov_b32_e32 v45, 0
	s_delay_alu instid0(VALU_DEP_1) | instskip(NEXT) | instid1(VALU_DEP_1)
	v_lshlrev_b64 v[44:45], 2, v[44:45]
	v_add_co_u32 v44, vcc_lo, v2, v44
	s_delay_alu instid0(VALU_DEP_2)
	v_add_co_ci_u32_e32 v45, vcc_lo, v4, v45, vcc_lo
	global_store_b32 v[44:45], v11, off
	s_or_b32 exec_lo, exec_lo, s19
	s_and_saveexec_b32 s19, s4
	s_cbranch_execz .LBB370_245
.LBB370_312:
	v_sub_nc_u32_e32 v44, v51, v3
	v_mov_b32_e32 v45, 0
	s_delay_alu instid0(VALU_DEP_1) | instskip(NEXT) | instid1(VALU_DEP_1)
	v_lshlrev_b64 v[44:45], 2, v[44:45]
	v_add_co_u32 v44, vcc_lo, v2, v44
	s_delay_alu instid0(VALU_DEP_2)
	v_add_co_ci_u32_e32 v45, vcc_lo, v4, v45, vcc_lo
	global_store_b32 v[44:45], v12, off
	s_or_b32 exec_lo, exec_lo, s19
	s_and_saveexec_b32 s19, s3
	s_cbranch_execz .LBB370_246
.LBB370_313:
	v_sub_nc_u32_e32 v44, v75, v3
	v_mov_b32_e32 v45, 0
	s_delay_alu instid0(VALU_DEP_1) | instskip(NEXT) | instid1(VALU_DEP_1)
	v_lshlrev_b64 v[44:45], 2, v[44:45]
	v_add_co_u32 v44, vcc_lo, v2, v44
	s_delay_alu instid0(VALU_DEP_2)
	v_add_co_ci_u32_e32 v45, vcc_lo, v4, v45, vcc_lo
	global_store_b32 v[44:45], v9, off
	s_or_b32 exec_lo, exec_lo, s19
	s_and_saveexec_b32 s19, s1
	s_cbranch_execnz .LBB370_247
	s_branch .LBB370_248
.LBB370_314:
	v_sub_nc_u32_e32 v43, v67, v3
	s_delay_alu instid0(VALU_DEP_1)
	v_lshlrev_b32_e32 v43, 2, v43
	ds_store_b32 v43, v21
	s_or_b32 exec_lo, exec_lo, s19
	s_and_saveexec_b32 s15, s14
	s_cbranch_execz .LBB370_252
.LBB370_315:
	v_sub_nc_u32_e32 v21, v73, v3
	s_delay_alu instid0(VALU_DEP_1)
	v_lshlrev_b32_e32 v21, 2, v21
	ds_store_b32 v21, v22
	s_or_b32 exec_lo, exec_lo, s15
	s_and_saveexec_b32 s14, s13
	s_cbranch_execz .LBB370_253
.LBB370_316:
	v_sub_nc_u32_e32 v21, v69, v3
	s_delay_alu instid0(VALU_DEP_1)
	v_lshlrev_b32_e32 v21, 2, v21
	ds_store_b32 v21, v19
	s_or_b32 exec_lo, exec_lo, s14
	s_and_saveexec_b32 s13, s12
	s_cbranch_execz .LBB370_254
.LBB370_317:
	v_sub_nc_u32_e32 v19, v65, v3
	s_delay_alu instid0(VALU_DEP_1)
	v_lshlrev_b32_e32 v19, 2, v19
	ds_store_b32 v19, v20
	s_or_b32 exec_lo, exec_lo, s13
	s_and_saveexec_b32 s12, s11
	s_cbranch_execz .LBB370_255
.LBB370_318:
	v_sub_nc_u32_e32 v19, v59, v3
	s_delay_alu instid0(VALU_DEP_1)
	v_lshlrev_b32_e32 v19, 2, v19
	ds_store_b32 v19, v17
	s_or_b32 exec_lo, exec_lo, s12
	s_and_saveexec_b32 s11, s10
	s_cbranch_execz .LBB370_256
.LBB370_319:
	v_sub_nc_u32_e32 v17, v55, v3
	s_delay_alu instid0(VALU_DEP_1)
	v_lshlrev_b32_e32 v17, 2, v17
	ds_store_b32 v17, v18
	s_or_b32 exec_lo, exec_lo, s11
	s_and_saveexec_b32 s10, s8
	s_cbranch_execz .LBB370_257
.LBB370_320:
	v_sub_nc_u32_e32 v17, v53, v3
	s_delay_alu instid0(VALU_DEP_1)
	v_lshlrev_b32_e32 v17, 2, v17
	ds_store_b32 v17, v15
	s_or_b32 exec_lo, exec_lo, s10
	s_and_saveexec_b32 s8, s6
	s_cbranch_execz .LBB370_258
.LBB370_321:
	v_sub_nc_u32_e32 v15, v57, v3
	s_delay_alu instid0(VALU_DEP_1)
	v_lshlrev_b32_e32 v15, 2, v15
	ds_store_b32 v15, v16
	s_or_b32 exec_lo, exec_lo, s8
	s_and_saveexec_b32 s6, s9
	s_cbranch_execz .LBB370_259
.LBB370_322:
	v_sub_nc_u32_e32 v15, v61, v3
	s_delay_alu instid0(VALU_DEP_1)
	v_lshlrev_b32_e32 v15, 2, v15
	ds_store_b32 v15, v13
	s_or_b32 exec_lo, exec_lo, s6
	s_and_saveexec_b32 s6, s7
	s_cbranch_execz .LBB370_260
.LBB370_323:
	v_sub_nc_u32_e32 v13, v5, v3
	s_delay_alu instid0(VALU_DEP_1)
	v_lshlrev_b32_e32 v13, 2, v13
	ds_store_b32 v13, v14
	s_or_b32 exec_lo, exec_lo, s6
	s_and_saveexec_b32 s6, s5
	s_cbranch_execz .LBB370_261
.LBB370_324:
	v_sub_nc_u32_e32 v13, v7, v3
	s_delay_alu instid0(VALU_DEP_1)
	v_lshlrev_b32_e32 v13, 2, v13
	ds_store_b32 v13, v11
	s_or_b32 exec_lo, exec_lo, s6
	s_and_saveexec_b32 s5, s4
	s_cbranch_execz .LBB370_262
.LBB370_325:
	v_sub_nc_u32_e32 v11, v51, v3
	s_delay_alu instid0(VALU_DEP_1)
	v_lshlrev_b32_e32 v11, 2, v11
	ds_store_b32 v11, v12
	s_or_b32 exec_lo, exec_lo, s5
	s_and_saveexec_b32 s4, s3
	s_cbranch_execz .LBB370_263
.LBB370_326:
	v_sub_nc_u32_e32 v11, v75, v3
	s_delay_alu instid0(VALU_DEP_1)
	v_lshlrev_b32_e32 v11, 2, v11
	ds_store_b32 v11, v9
	s_or_b32 exec_lo, exec_lo, s4
	s_and_saveexec_b32 s3, s1
	s_cbranch_execnz .LBB370_264
	s_branch .LBB370_265
.LBB370_327:
	v_sub_nc_u32_e32 v14, v67, v4
	v_mov_b32_e32 v15, 0
	s_delay_alu instid0(VALU_DEP_1) | instskip(NEXT) | instid1(VALU_DEP_1)
	v_lshlrev_b64 v[14:15], 2, v[14:15]
	v_add_co_u32 v14, vcc_lo, v11, v14
	s_delay_alu instid0(VALU_DEP_2)
	v_add_co_ci_u32_e32 v15, vcc_lo, v12, v15, vcc_lo
	global_store_b32 v[14:15], v68, off
	s_or_b32 exec_lo, exec_lo, s18
	s_and_saveexec_b32 s18, s13
	s_cbranch_execz .LBB370_269
.LBB370_328:
	v_sub_nc_u32_e32 v14, v73, v4
	v_mov_b32_e32 v15, 0
	s_delay_alu instid0(VALU_DEP_1) | instskip(NEXT) | instid1(VALU_DEP_1)
	v_lshlrev_b64 v[14:15], 2, v[14:15]
	v_add_co_u32 v14, vcc_lo, v11, v14
	s_delay_alu instid0(VALU_DEP_2)
	v_add_co_ci_u32_e32 v15, vcc_lo, v12, v15, vcc_lo
	global_store_b32 v[14:15], v74, off
	s_or_b32 exec_lo, exec_lo, s18
	s_and_saveexec_b32 s18, s12
	s_cbranch_execz .LBB370_270
.LBB370_329:
	v_sub_nc_u32_e32 v14, v69, v4
	v_mov_b32_e32 v15, 0
	s_delay_alu instid0(VALU_DEP_1) | instskip(NEXT) | instid1(VALU_DEP_1)
	v_lshlrev_b64 v[14:15], 2, v[14:15]
	v_add_co_u32 v14, vcc_lo, v11, v14
	s_delay_alu instid0(VALU_DEP_2)
	v_add_co_ci_u32_e32 v15, vcc_lo, v12, v15, vcc_lo
	global_store_b32 v[14:15], v70, off
	s_or_b32 exec_lo, exec_lo, s18
	s_and_saveexec_b32 s18, s11
	s_cbranch_execz .LBB370_271
.LBB370_330:
	v_sub_nc_u32_e32 v14, v65, v4
	v_mov_b32_e32 v15, 0
	s_delay_alu instid0(VALU_DEP_1) | instskip(NEXT) | instid1(VALU_DEP_1)
	v_lshlrev_b64 v[14:15], 2, v[14:15]
	v_add_co_u32 v14, vcc_lo, v11, v14
	s_delay_alu instid0(VALU_DEP_2)
	v_add_co_ci_u32_e32 v15, vcc_lo, v12, v15, vcc_lo
	global_store_b32 v[14:15], v66, off
	s_or_b32 exec_lo, exec_lo, s18
	s_and_saveexec_b32 s18, s10
	s_cbranch_execz .LBB370_272
.LBB370_331:
	v_sub_nc_u32_e32 v14, v59, v4
	v_mov_b32_e32 v15, 0
	s_delay_alu instid0(VALU_DEP_1) | instskip(NEXT) | instid1(VALU_DEP_1)
	v_lshlrev_b64 v[14:15], 2, v[14:15]
	v_add_co_u32 v14, vcc_lo, v11, v14
	s_delay_alu instid0(VALU_DEP_2)
	v_add_co_ci_u32_e32 v15, vcc_lo, v12, v15, vcc_lo
	global_store_b32 v[14:15], v60, off
	s_or_b32 exec_lo, exec_lo, s18
	s_and_saveexec_b32 s18, s9
	s_cbranch_execz .LBB370_273
.LBB370_332:
	v_sub_nc_u32_e32 v14, v55, v4
	v_mov_b32_e32 v15, 0
	s_delay_alu instid0(VALU_DEP_1) | instskip(NEXT) | instid1(VALU_DEP_1)
	v_lshlrev_b64 v[14:15], 2, v[14:15]
	v_add_co_u32 v14, vcc_lo, v11, v14
	s_delay_alu instid0(VALU_DEP_2)
	v_add_co_ci_u32_e32 v15, vcc_lo, v12, v15, vcc_lo
	global_store_b32 v[14:15], v56, off
	s_or_b32 exec_lo, exec_lo, s18
	s_and_saveexec_b32 s18, s8
	s_cbranch_execz .LBB370_274
.LBB370_333:
	v_sub_nc_u32_e32 v14, v53, v4
	v_mov_b32_e32 v15, 0
	s_delay_alu instid0(VALU_DEP_1) | instskip(NEXT) | instid1(VALU_DEP_1)
	v_lshlrev_b64 v[14:15], 2, v[14:15]
	v_add_co_u32 v14, vcc_lo, v11, v14
	s_delay_alu instid0(VALU_DEP_2)
	v_add_co_ci_u32_e32 v15, vcc_lo, v12, v15, vcc_lo
	global_store_b32 v[14:15], v54, off
	s_or_b32 exec_lo, exec_lo, s18
	s_and_saveexec_b32 s18, s7
	s_cbranch_execz .LBB370_275
.LBB370_334:
	v_sub_nc_u32_e32 v14, v57, v4
	v_mov_b32_e32 v15, 0
	s_delay_alu instid0(VALU_DEP_1) | instskip(NEXT) | instid1(VALU_DEP_1)
	v_lshlrev_b64 v[14:15], 2, v[14:15]
	v_add_co_u32 v14, vcc_lo, v11, v14
	s_delay_alu instid0(VALU_DEP_2)
	v_add_co_ci_u32_e32 v15, vcc_lo, v12, v15, vcc_lo
	global_store_b32 v[14:15], v58, off
	s_or_b32 exec_lo, exec_lo, s18
	s_and_saveexec_b32 s18, s6
	s_cbranch_execz .LBB370_276
.LBB370_335:
	v_sub_nc_u32_e32 v14, v61, v4
	v_mov_b32_e32 v15, 0
	s_delay_alu instid0(VALU_DEP_1) | instskip(NEXT) | instid1(VALU_DEP_1)
	v_lshlrev_b64 v[14:15], 2, v[14:15]
	v_add_co_u32 v14, vcc_lo, v11, v14
	s_delay_alu instid0(VALU_DEP_2)
	v_add_co_ci_u32_e32 v15, vcc_lo, v12, v15, vcc_lo
	global_store_b32 v[14:15], v62, off
	s_or_b32 exec_lo, exec_lo, s18
	s_and_saveexec_b32 s18, s5
	s_cbranch_execz .LBB370_277
.LBB370_336:
	v_sub_nc_u32_e32 v14, v5, v4
	v_mov_b32_e32 v15, 0
	s_delay_alu instid0(VALU_DEP_1) | instskip(NEXT) | instid1(VALU_DEP_1)
	v_lshlrev_b64 v[14:15], 2, v[14:15]
	v_add_co_u32 v14, vcc_lo, v11, v14
	s_delay_alu instid0(VALU_DEP_2)
	v_add_co_ci_u32_e32 v15, vcc_lo, v12, v15, vcc_lo
	global_store_b32 v[14:15], v6, off
	s_or_b32 exec_lo, exec_lo, s18
	s_and_saveexec_b32 s18, s4
	s_cbranch_execz .LBB370_278
.LBB370_337:
	v_sub_nc_u32_e32 v14, v7, v4
	v_mov_b32_e32 v15, 0
	s_delay_alu instid0(VALU_DEP_1) | instskip(NEXT) | instid1(VALU_DEP_1)
	v_lshlrev_b64 v[14:15], 2, v[14:15]
	v_add_co_u32 v14, vcc_lo, v11, v14
	s_delay_alu instid0(VALU_DEP_2)
	v_add_co_ci_u32_e32 v15, vcc_lo, v12, v15, vcc_lo
	global_store_b32 v[14:15], v8, off
	s_or_b32 exec_lo, exec_lo, s18
	s_and_saveexec_b32 s18, s3
	s_cbranch_execz .LBB370_279
.LBB370_338:
	v_sub_nc_u32_e32 v14, v51, v4
	v_mov_b32_e32 v15, 0
	s_delay_alu instid0(VALU_DEP_1) | instskip(NEXT) | instid1(VALU_DEP_1)
	v_lshlrev_b64 v[14:15], 2, v[14:15]
	v_add_co_u32 v14, vcc_lo, v11, v14
	s_delay_alu instid0(VALU_DEP_2)
	v_add_co_ci_u32_e32 v15, vcc_lo, v12, v15, vcc_lo
	global_store_b32 v[14:15], v52, off
	s_or_b32 exec_lo, exec_lo, s18
	s_and_saveexec_b32 s18, s2
	s_cbranch_execz .LBB370_280
.LBB370_339:
	v_sub_nc_u32_e32 v14, v75, v4
	v_mov_b32_e32 v15, 0
	s_delay_alu instid0(VALU_DEP_1) | instskip(NEXT) | instid1(VALU_DEP_1)
	v_lshlrev_b64 v[14:15], 2, v[14:15]
	v_add_co_u32 v14, vcc_lo, v11, v14
	s_delay_alu instid0(VALU_DEP_2)
	v_add_co_ci_u32_e32 v15, vcc_lo, v12, v15, vcc_lo
	global_store_b32 v[14:15], v76, off
	s_or_b32 exec_lo, exec_lo, s18
	s_and_saveexec_b32 s18, s1
	s_cbranch_execnz .LBB370_281
	s_branch .LBB370_282
.LBB370_340:
	v_sub_nc_u32_e32 v13, v67, v4
	s_delay_alu instid0(VALU_DEP_1)
	v_lshlrev_b32_e32 v13, 2, v13
	ds_store_b32 v13, v68
	s_or_b32 exec_lo, exec_lo, s18
	s_and_saveexec_b32 s14, s13
	s_cbranch_execz .LBB370_286
.LBB370_341:
	v_sub_nc_u32_e32 v13, v73, v4
	s_delay_alu instid0(VALU_DEP_1)
	v_lshlrev_b32_e32 v13, 2, v13
	ds_store_b32 v13, v74
	s_or_b32 exec_lo, exec_lo, s14
	s_and_saveexec_b32 s13, s12
	s_cbranch_execz .LBB370_287
.LBB370_342:
	v_sub_nc_u32_e32 v13, v69, v4
	s_delay_alu instid0(VALU_DEP_1)
	v_lshlrev_b32_e32 v13, 2, v13
	ds_store_b32 v13, v70
	s_or_b32 exec_lo, exec_lo, s13
	s_and_saveexec_b32 s12, s11
	s_cbranch_execz .LBB370_288
.LBB370_343:
	v_sub_nc_u32_e32 v13, v65, v4
	s_delay_alu instid0(VALU_DEP_1)
	v_lshlrev_b32_e32 v13, 2, v13
	ds_store_b32 v13, v66
	s_or_b32 exec_lo, exec_lo, s12
	s_and_saveexec_b32 s11, s10
	s_cbranch_execz .LBB370_289
.LBB370_344:
	v_sub_nc_u32_e32 v13, v59, v4
	s_delay_alu instid0(VALU_DEP_1)
	v_lshlrev_b32_e32 v13, 2, v13
	ds_store_b32 v13, v60
	s_or_b32 exec_lo, exec_lo, s11
	s_and_saveexec_b32 s10, s9
	s_cbranch_execz .LBB370_290
.LBB370_345:
	v_sub_nc_u32_e32 v13, v55, v4
	s_delay_alu instid0(VALU_DEP_1)
	v_lshlrev_b32_e32 v13, 2, v13
	ds_store_b32 v13, v56
	s_or_b32 exec_lo, exec_lo, s10
	s_and_saveexec_b32 s9, s8
	s_cbranch_execz .LBB370_291
.LBB370_346:
	v_sub_nc_u32_e32 v13, v53, v4
	s_delay_alu instid0(VALU_DEP_1)
	v_lshlrev_b32_e32 v13, 2, v13
	ds_store_b32 v13, v54
	s_or_b32 exec_lo, exec_lo, s9
	s_and_saveexec_b32 s8, s7
	s_cbranch_execz .LBB370_292
.LBB370_347:
	v_sub_nc_u32_e32 v13, v57, v4
	s_delay_alu instid0(VALU_DEP_1)
	v_lshlrev_b32_e32 v13, 2, v13
	ds_store_b32 v13, v58
	s_or_b32 exec_lo, exec_lo, s8
	s_and_saveexec_b32 s7, s6
	s_cbranch_execz .LBB370_293
.LBB370_348:
	v_sub_nc_u32_e32 v13, v61, v4
	s_delay_alu instid0(VALU_DEP_1)
	v_lshlrev_b32_e32 v13, 2, v13
	ds_store_b32 v13, v62
	s_or_b32 exec_lo, exec_lo, s7
	s_and_saveexec_b32 s6, s5
	s_cbranch_execz .LBB370_294
.LBB370_349:
	v_sub_nc_u32_e32 v5, v5, v4
	s_delay_alu instid0(VALU_DEP_1)
	v_lshlrev_b32_e32 v5, 2, v5
	ds_store_b32 v5, v6
	s_or_b32 exec_lo, exec_lo, s6
	s_and_saveexec_b32 s5, s4
	s_cbranch_execz .LBB370_295
.LBB370_350:
	v_sub_nc_u32_e32 v5, v7, v4
	s_delay_alu instid0(VALU_DEP_1)
	v_lshlrev_b32_e32 v5, 2, v5
	ds_store_b32 v5, v8
	s_or_b32 exec_lo, exec_lo, s5
	s_and_saveexec_b32 s4, s3
	s_cbranch_execz .LBB370_296
.LBB370_351:
	v_sub_nc_u32_e32 v5, v51, v4
	s_delay_alu instid0(VALU_DEP_1)
	v_lshlrev_b32_e32 v5, 2, v5
	ds_store_b32 v5, v52
	s_or_b32 exec_lo, exec_lo, s4
	s_and_saveexec_b32 s3, s2
	s_cbranch_execz .LBB370_297
.LBB370_352:
	v_sub_nc_u32_e32 v5, v75, v4
	s_delay_alu instid0(VALU_DEP_1)
	v_lshlrev_b32_e32 v5, 2, v5
	ds_store_b32 v5, v76
	s_or_b32 exec_lo, exec_lo, s3
	s_and_saveexec_b32 s2, s1
	s_cbranch_execnz .LBB370_298
	s_branch .LBB370_299
	.section	.rodata,"a",@progbits
	.p2align	6, 0x0
	.amdhsa_kernel _ZN7rocprim17ROCPRIM_400000_NS6detail17trampoline_kernelINS0_14default_configENS1_29reduce_by_key_config_selectorIjjN6thrust23THRUST_200600_302600_NS4plusIjEEEEZZNS1_33reduce_by_key_impl_wrapped_configILNS1_25lookback_scan_determinismE0ES3_S9_NS6_6detail15normal_iteratorINS6_10device_ptrIjEEEESG_SG_SG_PmS8_22is_equal_div_10_reduceIjEEE10hipError_tPvRmT2_T3_mT4_T5_T6_T7_T8_P12ihipStream_tbENKUlT_T0_E_clISt17integral_constantIbLb1EES11_EEDaSW_SX_EUlSW_E_NS1_11comp_targetILNS1_3genE9ELNS1_11target_archE1100ELNS1_3gpuE3ELNS1_3repE0EEENS1_30default_config_static_selectorELNS0_4arch9wavefront6targetE0EEEvT1_
		.amdhsa_group_segment_fixed_size 15360
		.amdhsa_private_segment_fixed_size 0
		.amdhsa_kernarg_size 120
		.amdhsa_user_sgpr_count 15
		.amdhsa_user_sgpr_dispatch_ptr 0
		.amdhsa_user_sgpr_queue_ptr 0
		.amdhsa_user_sgpr_kernarg_segment_ptr 1
		.amdhsa_user_sgpr_dispatch_id 0
		.amdhsa_user_sgpr_private_segment_size 0
		.amdhsa_wavefront_size32 1
		.amdhsa_uses_dynamic_stack 0
		.amdhsa_enable_private_segment 0
		.amdhsa_system_sgpr_workgroup_id_x 1
		.amdhsa_system_sgpr_workgroup_id_y 0
		.amdhsa_system_sgpr_workgroup_id_z 0
		.amdhsa_system_sgpr_workgroup_info 0
		.amdhsa_system_vgpr_workitem_id 0
		.amdhsa_next_free_vgpr 87
		.amdhsa_next_free_sgpr 44
		.amdhsa_reserve_vcc 1
		.amdhsa_float_round_mode_32 0
		.amdhsa_float_round_mode_16_64 0
		.amdhsa_float_denorm_mode_32 3
		.amdhsa_float_denorm_mode_16_64 3
		.amdhsa_dx10_clamp 1
		.amdhsa_ieee_mode 1
		.amdhsa_fp16_overflow 0
		.amdhsa_workgroup_processor_mode 1
		.amdhsa_memory_ordered 1
		.amdhsa_forward_progress 0
		.amdhsa_shared_vgpr_count 0
		.amdhsa_exception_fp_ieee_invalid_op 0
		.amdhsa_exception_fp_denorm_src 0
		.amdhsa_exception_fp_ieee_div_zero 0
		.amdhsa_exception_fp_ieee_overflow 0
		.amdhsa_exception_fp_ieee_underflow 0
		.amdhsa_exception_fp_ieee_inexact 0
		.amdhsa_exception_int_div_zero 0
	.end_amdhsa_kernel
	.section	.text._ZN7rocprim17ROCPRIM_400000_NS6detail17trampoline_kernelINS0_14default_configENS1_29reduce_by_key_config_selectorIjjN6thrust23THRUST_200600_302600_NS4plusIjEEEEZZNS1_33reduce_by_key_impl_wrapped_configILNS1_25lookback_scan_determinismE0ES3_S9_NS6_6detail15normal_iteratorINS6_10device_ptrIjEEEESG_SG_SG_PmS8_22is_equal_div_10_reduceIjEEE10hipError_tPvRmT2_T3_mT4_T5_T6_T7_T8_P12ihipStream_tbENKUlT_T0_E_clISt17integral_constantIbLb1EES11_EEDaSW_SX_EUlSW_E_NS1_11comp_targetILNS1_3genE9ELNS1_11target_archE1100ELNS1_3gpuE3ELNS1_3repE0EEENS1_30default_config_static_selectorELNS0_4arch9wavefront6targetE0EEEvT1_,"axG",@progbits,_ZN7rocprim17ROCPRIM_400000_NS6detail17trampoline_kernelINS0_14default_configENS1_29reduce_by_key_config_selectorIjjN6thrust23THRUST_200600_302600_NS4plusIjEEEEZZNS1_33reduce_by_key_impl_wrapped_configILNS1_25lookback_scan_determinismE0ES3_S9_NS6_6detail15normal_iteratorINS6_10device_ptrIjEEEESG_SG_SG_PmS8_22is_equal_div_10_reduceIjEEE10hipError_tPvRmT2_T3_mT4_T5_T6_T7_T8_P12ihipStream_tbENKUlT_T0_E_clISt17integral_constantIbLb1EES11_EEDaSW_SX_EUlSW_E_NS1_11comp_targetILNS1_3genE9ELNS1_11target_archE1100ELNS1_3gpuE3ELNS1_3repE0EEENS1_30default_config_static_selectorELNS0_4arch9wavefront6targetE0EEEvT1_,comdat
.Lfunc_end370:
	.size	_ZN7rocprim17ROCPRIM_400000_NS6detail17trampoline_kernelINS0_14default_configENS1_29reduce_by_key_config_selectorIjjN6thrust23THRUST_200600_302600_NS4plusIjEEEEZZNS1_33reduce_by_key_impl_wrapped_configILNS1_25lookback_scan_determinismE0ES3_S9_NS6_6detail15normal_iteratorINS6_10device_ptrIjEEEESG_SG_SG_PmS8_22is_equal_div_10_reduceIjEEE10hipError_tPvRmT2_T3_mT4_T5_T6_T7_T8_P12ihipStream_tbENKUlT_T0_E_clISt17integral_constantIbLb1EES11_EEDaSW_SX_EUlSW_E_NS1_11comp_targetILNS1_3genE9ELNS1_11target_archE1100ELNS1_3gpuE3ELNS1_3repE0EEENS1_30default_config_static_selectorELNS0_4arch9wavefront6targetE0EEEvT1_, .Lfunc_end370-_ZN7rocprim17ROCPRIM_400000_NS6detail17trampoline_kernelINS0_14default_configENS1_29reduce_by_key_config_selectorIjjN6thrust23THRUST_200600_302600_NS4plusIjEEEEZZNS1_33reduce_by_key_impl_wrapped_configILNS1_25lookback_scan_determinismE0ES3_S9_NS6_6detail15normal_iteratorINS6_10device_ptrIjEEEESG_SG_SG_PmS8_22is_equal_div_10_reduceIjEEE10hipError_tPvRmT2_T3_mT4_T5_T6_T7_T8_P12ihipStream_tbENKUlT_T0_E_clISt17integral_constantIbLb1EES11_EEDaSW_SX_EUlSW_E_NS1_11comp_targetILNS1_3genE9ELNS1_11target_archE1100ELNS1_3gpuE3ELNS1_3repE0EEENS1_30default_config_static_selectorELNS0_4arch9wavefront6targetE0EEEvT1_
                                        ; -- End function
	.section	.AMDGPU.csdata,"",@progbits
; Kernel info:
; codeLenInByte = 20080
; NumSgprs: 46
; NumVgprs: 87
; ScratchSize: 0
; MemoryBound: 0
; FloatMode: 240
; IeeeMode: 1
; LDSByteSize: 15360 bytes/workgroup (compile time only)
; SGPRBlocks: 5
; VGPRBlocks: 10
; NumSGPRsForWavesPerEU: 46
; NumVGPRsForWavesPerEU: 87
; Occupancy: 16
; WaveLimiterHint : 1
; COMPUTE_PGM_RSRC2:SCRATCH_EN: 0
; COMPUTE_PGM_RSRC2:USER_SGPR: 15
; COMPUTE_PGM_RSRC2:TRAP_HANDLER: 0
; COMPUTE_PGM_RSRC2:TGID_X_EN: 1
; COMPUTE_PGM_RSRC2:TGID_Y_EN: 0
; COMPUTE_PGM_RSRC2:TGID_Z_EN: 0
; COMPUTE_PGM_RSRC2:TIDIG_COMP_CNT: 0
	.section	.text._ZN7rocprim17ROCPRIM_400000_NS6detail17trampoline_kernelINS0_14default_configENS1_29reduce_by_key_config_selectorIjjN6thrust23THRUST_200600_302600_NS4plusIjEEEEZZNS1_33reduce_by_key_impl_wrapped_configILNS1_25lookback_scan_determinismE0ES3_S9_NS6_6detail15normal_iteratorINS6_10device_ptrIjEEEESG_SG_SG_PmS8_22is_equal_div_10_reduceIjEEE10hipError_tPvRmT2_T3_mT4_T5_T6_T7_T8_P12ihipStream_tbENKUlT_T0_E_clISt17integral_constantIbLb1EES11_EEDaSW_SX_EUlSW_E_NS1_11comp_targetILNS1_3genE8ELNS1_11target_archE1030ELNS1_3gpuE2ELNS1_3repE0EEENS1_30default_config_static_selectorELNS0_4arch9wavefront6targetE0EEEvT1_,"axG",@progbits,_ZN7rocprim17ROCPRIM_400000_NS6detail17trampoline_kernelINS0_14default_configENS1_29reduce_by_key_config_selectorIjjN6thrust23THRUST_200600_302600_NS4plusIjEEEEZZNS1_33reduce_by_key_impl_wrapped_configILNS1_25lookback_scan_determinismE0ES3_S9_NS6_6detail15normal_iteratorINS6_10device_ptrIjEEEESG_SG_SG_PmS8_22is_equal_div_10_reduceIjEEE10hipError_tPvRmT2_T3_mT4_T5_T6_T7_T8_P12ihipStream_tbENKUlT_T0_E_clISt17integral_constantIbLb1EES11_EEDaSW_SX_EUlSW_E_NS1_11comp_targetILNS1_3genE8ELNS1_11target_archE1030ELNS1_3gpuE2ELNS1_3repE0EEENS1_30default_config_static_selectorELNS0_4arch9wavefront6targetE0EEEvT1_,comdat
	.protected	_ZN7rocprim17ROCPRIM_400000_NS6detail17trampoline_kernelINS0_14default_configENS1_29reduce_by_key_config_selectorIjjN6thrust23THRUST_200600_302600_NS4plusIjEEEEZZNS1_33reduce_by_key_impl_wrapped_configILNS1_25lookback_scan_determinismE0ES3_S9_NS6_6detail15normal_iteratorINS6_10device_ptrIjEEEESG_SG_SG_PmS8_22is_equal_div_10_reduceIjEEE10hipError_tPvRmT2_T3_mT4_T5_T6_T7_T8_P12ihipStream_tbENKUlT_T0_E_clISt17integral_constantIbLb1EES11_EEDaSW_SX_EUlSW_E_NS1_11comp_targetILNS1_3genE8ELNS1_11target_archE1030ELNS1_3gpuE2ELNS1_3repE0EEENS1_30default_config_static_selectorELNS0_4arch9wavefront6targetE0EEEvT1_ ; -- Begin function _ZN7rocprim17ROCPRIM_400000_NS6detail17trampoline_kernelINS0_14default_configENS1_29reduce_by_key_config_selectorIjjN6thrust23THRUST_200600_302600_NS4plusIjEEEEZZNS1_33reduce_by_key_impl_wrapped_configILNS1_25lookback_scan_determinismE0ES3_S9_NS6_6detail15normal_iteratorINS6_10device_ptrIjEEEESG_SG_SG_PmS8_22is_equal_div_10_reduceIjEEE10hipError_tPvRmT2_T3_mT4_T5_T6_T7_T8_P12ihipStream_tbENKUlT_T0_E_clISt17integral_constantIbLb1EES11_EEDaSW_SX_EUlSW_E_NS1_11comp_targetILNS1_3genE8ELNS1_11target_archE1030ELNS1_3gpuE2ELNS1_3repE0EEENS1_30default_config_static_selectorELNS0_4arch9wavefront6targetE0EEEvT1_
	.globl	_ZN7rocprim17ROCPRIM_400000_NS6detail17trampoline_kernelINS0_14default_configENS1_29reduce_by_key_config_selectorIjjN6thrust23THRUST_200600_302600_NS4plusIjEEEEZZNS1_33reduce_by_key_impl_wrapped_configILNS1_25lookback_scan_determinismE0ES3_S9_NS6_6detail15normal_iteratorINS6_10device_ptrIjEEEESG_SG_SG_PmS8_22is_equal_div_10_reduceIjEEE10hipError_tPvRmT2_T3_mT4_T5_T6_T7_T8_P12ihipStream_tbENKUlT_T0_E_clISt17integral_constantIbLb1EES11_EEDaSW_SX_EUlSW_E_NS1_11comp_targetILNS1_3genE8ELNS1_11target_archE1030ELNS1_3gpuE2ELNS1_3repE0EEENS1_30default_config_static_selectorELNS0_4arch9wavefront6targetE0EEEvT1_
	.p2align	8
	.type	_ZN7rocprim17ROCPRIM_400000_NS6detail17trampoline_kernelINS0_14default_configENS1_29reduce_by_key_config_selectorIjjN6thrust23THRUST_200600_302600_NS4plusIjEEEEZZNS1_33reduce_by_key_impl_wrapped_configILNS1_25lookback_scan_determinismE0ES3_S9_NS6_6detail15normal_iteratorINS6_10device_ptrIjEEEESG_SG_SG_PmS8_22is_equal_div_10_reduceIjEEE10hipError_tPvRmT2_T3_mT4_T5_T6_T7_T8_P12ihipStream_tbENKUlT_T0_E_clISt17integral_constantIbLb1EES11_EEDaSW_SX_EUlSW_E_NS1_11comp_targetILNS1_3genE8ELNS1_11target_archE1030ELNS1_3gpuE2ELNS1_3repE0EEENS1_30default_config_static_selectorELNS0_4arch9wavefront6targetE0EEEvT1_,@function
_ZN7rocprim17ROCPRIM_400000_NS6detail17trampoline_kernelINS0_14default_configENS1_29reduce_by_key_config_selectorIjjN6thrust23THRUST_200600_302600_NS4plusIjEEEEZZNS1_33reduce_by_key_impl_wrapped_configILNS1_25lookback_scan_determinismE0ES3_S9_NS6_6detail15normal_iteratorINS6_10device_ptrIjEEEESG_SG_SG_PmS8_22is_equal_div_10_reduceIjEEE10hipError_tPvRmT2_T3_mT4_T5_T6_T7_T8_P12ihipStream_tbENKUlT_T0_E_clISt17integral_constantIbLb1EES11_EEDaSW_SX_EUlSW_E_NS1_11comp_targetILNS1_3genE8ELNS1_11target_archE1030ELNS1_3gpuE2ELNS1_3repE0EEENS1_30default_config_static_selectorELNS0_4arch9wavefront6targetE0EEEvT1_: ; @_ZN7rocprim17ROCPRIM_400000_NS6detail17trampoline_kernelINS0_14default_configENS1_29reduce_by_key_config_selectorIjjN6thrust23THRUST_200600_302600_NS4plusIjEEEEZZNS1_33reduce_by_key_impl_wrapped_configILNS1_25lookback_scan_determinismE0ES3_S9_NS6_6detail15normal_iteratorINS6_10device_ptrIjEEEESG_SG_SG_PmS8_22is_equal_div_10_reduceIjEEE10hipError_tPvRmT2_T3_mT4_T5_T6_T7_T8_P12ihipStream_tbENKUlT_T0_E_clISt17integral_constantIbLb1EES11_EEDaSW_SX_EUlSW_E_NS1_11comp_targetILNS1_3genE8ELNS1_11target_archE1030ELNS1_3gpuE2ELNS1_3repE0EEENS1_30default_config_static_selectorELNS0_4arch9wavefront6targetE0EEEvT1_
; %bb.0:
	.section	.rodata,"a",@progbits
	.p2align	6, 0x0
	.amdhsa_kernel _ZN7rocprim17ROCPRIM_400000_NS6detail17trampoline_kernelINS0_14default_configENS1_29reduce_by_key_config_selectorIjjN6thrust23THRUST_200600_302600_NS4plusIjEEEEZZNS1_33reduce_by_key_impl_wrapped_configILNS1_25lookback_scan_determinismE0ES3_S9_NS6_6detail15normal_iteratorINS6_10device_ptrIjEEEESG_SG_SG_PmS8_22is_equal_div_10_reduceIjEEE10hipError_tPvRmT2_T3_mT4_T5_T6_T7_T8_P12ihipStream_tbENKUlT_T0_E_clISt17integral_constantIbLb1EES11_EEDaSW_SX_EUlSW_E_NS1_11comp_targetILNS1_3genE8ELNS1_11target_archE1030ELNS1_3gpuE2ELNS1_3repE0EEENS1_30default_config_static_selectorELNS0_4arch9wavefront6targetE0EEEvT1_
		.amdhsa_group_segment_fixed_size 0
		.amdhsa_private_segment_fixed_size 0
		.amdhsa_kernarg_size 120
		.amdhsa_user_sgpr_count 15
		.amdhsa_user_sgpr_dispatch_ptr 0
		.amdhsa_user_sgpr_queue_ptr 0
		.amdhsa_user_sgpr_kernarg_segment_ptr 1
		.amdhsa_user_sgpr_dispatch_id 0
		.amdhsa_user_sgpr_private_segment_size 0
		.amdhsa_wavefront_size32 1
		.amdhsa_uses_dynamic_stack 0
		.amdhsa_enable_private_segment 0
		.amdhsa_system_sgpr_workgroup_id_x 1
		.amdhsa_system_sgpr_workgroup_id_y 0
		.amdhsa_system_sgpr_workgroup_id_z 0
		.amdhsa_system_sgpr_workgroup_info 0
		.amdhsa_system_vgpr_workitem_id 0
		.amdhsa_next_free_vgpr 1
		.amdhsa_next_free_sgpr 1
		.amdhsa_reserve_vcc 0
		.amdhsa_float_round_mode_32 0
		.amdhsa_float_round_mode_16_64 0
		.amdhsa_float_denorm_mode_32 3
		.amdhsa_float_denorm_mode_16_64 3
		.amdhsa_dx10_clamp 1
		.amdhsa_ieee_mode 1
		.amdhsa_fp16_overflow 0
		.amdhsa_workgroup_processor_mode 1
		.amdhsa_memory_ordered 1
		.amdhsa_forward_progress 0
		.amdhsa_shared_vgpr_count 0
		.amdhsa_exception_fp_ieee_invalid_op 0
		.amdhsa_exception_fp_denorm_src 0
		.amdhsa_exception_fp_ieee_div_zero 0
		.amdhsa_exception_fp_ieee_overflow 0
		.amdhsa_exception_fp_ieee_underflow 0
		.amdhsa_exception_fp_ieee_inexact 0
		.amdhsa_exception_int_div_zero 0
	.end_amdhsa_kernel
	.section	.text._ZN7rocprim17ROCPRIM_400000_NS6detail17trampoline_kernelINS0_14default_configENS1_29reduce_by_key_config_selectorIjjN6thrust23THRUST_200600_302600_NS4plusIjEEEEZZNS1_33reduce_by_key_impl_wrapped_configILNS1_25lookback_scan_determinismE0ES3_S9_NS6_6detail15normal_iteratorINS6_10device_ptrIjEEEESG_SG_SG_PmS8_22is_equal_div_10_reduceIjEEE10hipError_tPvRmT2_T3_mT4_T5_T6_T7_T8_P12ihipStream_tbENKUlT_T0_E_clISt17integral_constantIbLb1EES11_EEDaSW_SX_EUlSW_E_NS1_11comp_targetILNS1_3genE8ELNS1_11target_archE1030ELNS1_3gpuE2ELNS1_3repE0EEENS1_30default_config_static_selectorELNS0_4arch9wavefront6targetE0EEEvT1_,"axG",@progbits,_ZN7rocprim17ROCPRIM_400000_NS6detail17trampoline_kernelINS0_14default_configENS1_29reduce_by_key_config_selectorIjjN6thrust23THRUST_200600_302600_NS4plusIjEEEEZZNS1_33reduce_by_key_impl_wrapped_configILNS1_25lookback_scan_determinismE0ES3_S9_NS6_6detail15normal_iteratorINS6_10device_ptrIjEEEESG_SG_SG_PmS8_22is_equal_div_10_reduceIjEEE10hipError_tPvRmT2_T3_mT4_T5_T6_T7_T8_P12ihipStream_tbENKUlT_T0_E_clISt17integral_constantIbLb1EES11_EEDaSW_SX_EUlSW_E_NS1_11comp_targetILNS1_3genE8ELNS1_11target_archE1030ELNS1_3gpuE2ELNS1_3repE0EEENS1_30default_config_static_selectorELNS0_4arch9wavefront6targetE0EEEvT1_,comdat
.Lfunc_end371:
	.size	_ZN7rocprim17ROCPRIM_400000_NS6detail17trampoline_kernelINS0_14default_configENS1_29reduce_by_key_config_selectorIjjN6thrust23THRUST_200600_302600_NS4plusIjEEEEZZNS1_33reduce_by_key_impl_wrapped_configILNS1_25lookback_scan_determinismE0ES3_S9_NS6_6detail15normal_iteratorINS6_10device_ptrIjEEEESG_SG_SG_PmS8_22is_equal_div_10_reduceIjEEE10hipError_tPvRmT2_T3_mT4_T5_T6_T7_T8_P12ihipStream_tbENKUlT_T0_E_clISt17integral_constantIbLb1EES11_EEDaSW_SX_EUlSW_E_NS1_11comp_targetILNS1_3genE8ELNS1_11target_archE1030ELNS1_3gpuE2ELNS1_3repE0EEENS1_30default_config_static_selectorELNS0_4arch9wavefront6targetE0EEEvT1_, .Lfunc_end371-_ZN7rocprim17ROCPRIM_400000_NS6detail17trampoline_kernelINS0_14default_configENS1_29reduce_by_key_config_selectorIjjN6thrust23THRUST_200600_302600_NS4plusIjEEEEZZNS1_33reduce_by_key_impl_wrapped_configILNS1_25lookback_scan_determinismE0ES3_S9_NS6_6detail15normal_iteratorINS6_10device_ptrIjEEEESG_SG_SG_PmS8_22is_equal_div_10_reduceIjEEE10hipError_tPvRmT2_T3_mT4_T5_T6_T7_T8_P12ihipStream_tbENKUlT_T0_E_clISt17integral_constantIbLb1EES11_EEDaSW_SX_EUlSW_E_NS1_11comp_targetILNS1_3genE8ELNS1_11target_archE1030ELNS1_3gpuE2ELNS1_3repE0EEENS1_30default_config_static_selectorELNS0_4arch9wavefront6targetE0EEEvT1_
                                        ; -- End function
	.section	.AMDGPU.csdata,"",@progbits
; Kernel info:
; codeLenInByte = 0
; NumSgprs: 0
; NumVgprs: 0
; ScratchSize: 0
; MemoryBound: 0
; FloatMode: 240
; IeeeMode: 1
; LDSByteSize: 0 bytes/workgroup (compile time only)
; SGPRBlocks: 0
; VGPRBlocks: 0
; NumSGPRsForWavesPerEU: 1
; NumVGPRsForWavesPerEU: 1
; Occupancy: 16
; WaveLimiterHint : 0
; COMPUTE_PGM_RSRC2:SCRATCH_EN: 0
; COMPUTE_PGM_RSRC2:USER_SGPR: 15
; COMPUTE_PGM_RSRC2:TRAP_HANDLER: 0
; COMPUTE_PGM_RSRC2:TGID_X_EN: 1
; COMPUTE_PGM_RSRC2:TGID_Y_EN: 0
; COMPUTE_PGM_RSRC2:TGID_Z_EN: 0
; COMPUTE_PGM_RSRC2:TIDIG_COMP_CNT: 0
	.section	.text._ZN7rocprim17ROCPRIM_400000_NS6detail17trampoline_kernelINS0_14default_configENS1_29reduce_by_key_config_selectorIjjN6thrust23THRUST_200600_302600_NS4plusIjEEEEZZNS1_33reduce_by_key_impl_wrapped_configILNS1_25lookback_scan_determinismE0ES3_S9_NS6_6detail15normal_iteratorINS6_10device_ptrIjEEEESG_SG_SG_PmS8_22is_equal_div_10_reduceIjEEE10hipError_tPvRmT2_T3_mT4_T5_T6_T7_T8_P12ihipStream_tbENKUlT_T0_E_clISt17integral_constantIbLb1EES10_IbLb0EEEEDaSW_SX_EUlSW_E_NS1_11comp_targetILNS1_3genE0ELNS1_11target_archE4294967295ELNS1_3gpuE0ELNS1_3repE0EEENS1_30default_config_static_selectorELNS0_4arch9wavefront6targetE0EEEvT1_,"axG",@progbits,_ZN7rocprim17ROCPRIM_400000_NS6detail17trampoline_kernelINS0_14default_configENS1_29reduce_by_key_config_selectorIjjN6thrust23THRUST_200600_302600_NS4plusIjEEEEZZNS1_33reduce_by_key_impl_wrapped_configILNS1_25lookback_scan_determinismE0ES3_S9_NS6_6detail15normal_iteratorINS6_10device_ptrIjEEEESG_SG_SG_PmS8_22is_equal_div_10_reduceIjEEE10hipError_tPvRmT2_T3_mT4_T5_T6_T7_T8_P12ihipStream_tbENKUlT_T0_E_clISt17integral_constantIbLb1EES10_IbLb0EEEEDaSW_SX_EUlSW_E_NS1_11comp_targetILNS1_3genE0ELNS1_11target_archE4294967295ELNS1_3gpuE0ELNS1_3repE0EEENS1_30default_config_static_selectorELNS0_4arch9wavefront6targetE0EEEvT1_,comdat
	.protected	_ZN7rocprim17ROCPRIM_400000_NS6detail17trampoline_kernelINS0_14default_configENS1_29reduce_by_key_config_selectorIjjN6thrust23THRUST_200600_302600_NS4plusIjEEEEZZNS1_33reduce_by_key_impl_wrapped_configILNS1_25lookback_scan_determinismE0ES3_S9_NS6_6detail15normal_iteratorINS6_10device_ptrIjEEEESG_SG_SG_PmS8_22is_equal_div_10_reduceIjEEE10hipError_tPvRmT2_T3_mT4_T5_T6_T7_T8_P12ihipStream_tbENKUlT_T0_E_clISt17integral_constantIbLb1EES10_IbLb0EEEEDaSW_SX_EUlSW_E_NS1_11comp_targetILNS1_3genE0ELNS1_11target_archE4294967295ELNS1_3gpuE0ELNS1_3repE0EEENS1_30default_config_static_selectorELNS0_4arch9wavefront6targetE0EEEvT1_ ; -- Begin function _ZN7rocprim17ROCPRIM_400000_NS6detail17trampoline_kernelINS0_14default_configENS1_29reduce_by_key_config_selectorIjjN6thrust23THRUST_200600_302600_NS4plusIjEEEEZZNS1_33reduce_by_key_impl_wrapped_configILNS1_25lookback_scan_determinismE0ES3_S9_NS6_6detail15normal_iteratorINS6_10device_ptrIjEEEESG_SG_SG_PmS8_22is_equal_div_10_reduceIjEEE10hipError_tPvRmT2_T3_mT4_T5_T6_T7_T8_P12ihipStream_tbENKUlT_T0_E_clISt17integral_constantIbLb1EES10_IbLb0EEEEDaSW_SX_EUlSW_E_NS1_11comp_targetILNS1_3genE0ELNS1_11target_archE4294967295ELNS1_3gpuE0ELNS1_3repE0EEENS1_30default_config_static_selectorELNS0_4arch9wavefront6targetE0EEEvT1_
	.globl	_ZN7rocprim17ROCPRIM_400000_NS6detail17trampoline_kernelINS0_14default_configENS1_29reduce_by_key_config_selectorIjjN6thrust23THRUST_200600_302600_NS4plusIjEEEEZZNS1_33reduce_by_key_impl_wrapped_configILNS1_25lookback_scan_determinismE0ES3_S9_NS6_6detail15normal_iteratorINS6_10device_ptrIjEEEESG_SG_SG_PmS8_22is_equal_div_10_reduceIjEEE10hipError_tPvRmT2_T3_mT4_T5_T6_T7_T8_P12ihipStream_tbENKUlT_T0_E_clISt17integral_constantIbLb1EES10_IbLb0EEEEDaSW_SX_EUlSW_E_NS1_11comp_targetILNS1_3genE0ELNS1_11target_archE4294967295ELNS1_3gpuE0ELNS1_3repE0EEENS1_30default_config_static_selectorELNS0_4arch9wavefront6targetE0EEEvT1_
	.p2align	8
	.type	_ZN7rocprim17ROCPRIM_400000_NS6detail17trampoline_kernelINS0_14default_configENS1_29reduce_by_key_config_selectorIjjN6thrust23THRUST_200600_302600_NS4plusIjEEEEZZNS1_33reduce_by_key_impl_wrapped_configILNS1_25lookback_scan_determinismE0ES3_S9_NS6_6detail15normal_iteratorINS6_10device_ptrIjEEEESG_SG_SG_PmS8_22is_equal_div_10_reduceIjEEE10hipError_tPvRmT2_T3_mT4_T5_T6_T7_T8_P12ihipStream_tbENKUlT_T0_E_clISt17integral_constantIbLb1EES10_IbLb0EEEEDaSW_SX_EUlSW_E_NS1_11comp_targetILNS1_3genE0ELNS1_11target_archE4294967295ELNS1_3gpuE0ELNS1_3repE0EEENS1_30default_config_static_selectorELNS0_4arch9wavefront6targetE0EEEvT1_,@function
_ZN7rocprim17ROCPRIM_400000_NS6detail17trampoline_kernelINS0_14default_configENS1_29reduce_by_key_config_selectorIjjN6thrust23THRUST_200600_302600_NS4plusIjEEEEZZNS1_33reduce_by_key_impl_wrapped_configILNS1_25lookback_scan_determinismE0ES3_S9_NS6_6detail15normal_iteratorINS6_10device_ptrIjEEEESG_SG_SG_PmS8_22is_equal_div_10_reduceIjEEE10hipError_tPvRmT2_T3_mT4_T5_T6_T7_T8_P12ihipStream_tbENKUlT_T0_E_clISt17integral_constantIbLb1EES10_IbLb0EEEEDaSW_SX_EUlSW_E_NS1_11comp_targetILNS1_3genE0ELNS1_11target_archE4294967295ELNS1_3gpuE0ELNS1_3repE0EEENS1_30default_config_static_selectorELNS0_4arch9wavefront6targetE0EEEvT1_: ; @_ZN7rocprim17ROCPRIM_400000_NS6detail17trampoline_kernelINS0_14default_configENS1_29reduce_by_key_config_selectorIjjN6thrust23THRUST_200600_302600_NS4plusIjEEEEZZNS1_33reduce_by_key_impl_wrapped_configILNS1_25lookback_scan_determinismE0ES3_S9_NS6_6detail15normal_iteratorINS6_10device_ptrIjEEEESG_SG_SG_PmS8_22is_equal_div_10_reduceIjEEE10hipError_tPvRmT2_T3_mT4_T5_T6_T7_T8_P12ihipStream_tbENKUlT_T0_E_clISt17integral_constantIbLb1EES10_IbLb0EEEEDaSW_SX_EUlSW_E_NS1_11comp_targetILNS1_3genE0ELNS1_11target_archE4294967295ELNS1_3gpuE0ELNS1_3repE0EEENS1_30default_config_static_selectorELNS0_4arch9wavefront6targetE0EEEvT1_
; %bb.0:
	.section	.rodata,"a",@progbits
	.p2align	6, 0x0
	.amdhsa_kernel _ZN7rocprim17ROCPRIM_400000_NS6detail17trampoline_kernelINS0_14default_configENS1_29reduce_by_key_config_selectorIjjN6thrust23THRUST_200600_302600_NS4plusIjEEEEZZNS1_33reduce_by_key_impl_wrapped_configILNS1_25lookback_scan_determinismE0ES3_S9_NS6_6detail15normal_iteratorINS6_10device_ptrIjEEEESG_SG_SG_PmS8_22is_equal_div_10_reduceIjEEE10hipError_tPvRmT2_T3_mT4_T5_T6_T7_T8_P12ihipStream_tbENKUlT_T0_E_clISt17integral_constantIbLb1EES10_IbLb0EEEEDaSW_SX_EUlSW_E_NS1_11comp_targetILNS1_3genE0ELNS1_11target_archE4294967295ELNS1_3gpuE0ELNS1_3repE0EEENS1_30default_config_static_selectorELNS0_4arch9wavefront6targetE0EEEvT1_
		.amdhsa_group_segment_fixed_size 0
		.amdhsa_private_segment_fixed_size 0
		.amdhsa_kernarg_size 120
		.amdhsa_user_sgpr_count 15
		.amdhsa_user_sgpr_dispatch_ptr 0
		.amdhsa_user_sgpr_queue_ptr 0
		.amdhsa_user_sgpr_kernarg_segment_ptr 1
		.amdhsa_user_sgpr_dispatch_id 0
		.amdhsa_user_sgpr_private_segment_size 0
		.amdhsa_wavefront_size32 1
		.amdhsa_uses_dynamic_stack 0
		.amdhsa_enable_private_segment 0
		.amdhsa_system_sgpr_workgroup_id_x 1
		.amdhsa_system_sgpr_workgroup_id_y 0
		.amdhsa_system_sgpr_workgroup_id_z 0
		.amdhsa_system_sgpr_workgroup_info 0
		.amdhsa_system_vgpr_workitem_id 0
		.amdhsa_next_free_vgpr 1
		.amdhsa_next_free_sgpr 1
		.amdhsa_reserve_vcc 0
		.amdhsa_float_round_mode_32 0
		.amdhsa_float_round_mode_16_64 0
		.amdhsa_float_denorm_mode_32 3
		.amdhsa_float_denorm_mode_16_64 3
		.amdhsa_dx10_clamp 1
		.amdhsa_ieee_mode 1
		.amdhsa_fp16_overflow 0
		.amdhsa_workgroup_processor_mode 1
		.amdhsa_memory_ordered 1
		.amdhsa_forward_progress 0
		.amdhsa_shared_vgpr_count 0
		.amdhsa_exception_fp_ieee_invalid_op 0
		.amdhsa_exception_fp_denorm_src 0
		.amdhsa_exception_fp_ieee_div_zero 0
		.amdhsa_exception_fp_ieee_overflow 0
		.amdhsa_exception_fp_ieee_underflow 0
		.amdhsa_exception_fp_ieee_inexact 0
		.amdhsa_exception_int_div_zero 0
	.end_amdhsa_kernel
	.section	.text._ZN7rocprim17ROCPRIM_400000_NS6detail17trampoline_kernelINS0_14default_configENS1_29reduce_by_key_config_selectorIjjN6thrust23THRUST_200600_302600_NS4plusIjEEEEZZNS1_33reduce_by_key_impl_wrapped_configILNS1_25lookback_scan_determinismE0ES3_S9_NS6_6detail15normal_iteratorINS6_10device_ptrIjEEEESG_SG_SG_PmS8_22is_equal_div_10_reduceIjEEE10hipError_tPvRmT2_T3_mT4_T5_T6_T7_T8_P12ihipStream_tbENKUlT_T0_E_clISt17integral_constantIbLb1EES10_IbLb0EEEEDaSW_SX_EUlSW_E_NS1_11comp_targetILNS1_3genE0ELNS1_11target_archE4294967295ELNS1_3gpuE0ELNS1_3repE0EEENS1_30default_config_static_selectorELNS0_4arch9wavefront6targetE0EEEvT1_,"axG",@progbits,_ZN7rocprim17ROCPRIM_400000_NS6detail17trampoline_kernelINS0_14default_configENS1_29reduce_by_key_config_selectorIjjN6thrust23THRUST_200600_302600_NS4plusIjEEEEZZNS1_33reduce_by_key_impl_wrapped_configILNS1_25lookback_scan_determinismE0ES3_S9_NS6_6detail15normal_iteratorINS6_10device_ptrIjEEEESG_SG_SG_PmS8_22is_equal_div_10_reduceIjEEE10hipError_tPvRmT2_T3_mT4_T5_T6_T7_T8_P12ihipStream_tbENKUlT_T0_E_clISt17integral_constantIbLb1EES10_IbLb0EEEEDaSW_SX_EUlSW_E_NS1_11comp_targetILNS1_3genE0ELNS1_11target_archE4294967295ELNS1_3gpuE0ELNS1_3repE0EEENS1_30default_config_static_selectorELNS0_4arch9wavefront6targetE0EEEvT1_,comdat
.Lfunc_end372:
	.size	_ZN7rocprim17ROCPRIM_400000_NS6detail17trampoline_kernelINS0_14default_configENS1_29reduce_by_key_config_selectorIjjN6thrust23THRUST_200600_302600_NS4plusIjEEEEZZNS1_33reduce_by_key_impl_wrapped_configILNS1_25lookback_scan_determinismE0ES3_S9_NS6_6detail15normal_iteratorINS6_10device_ptrIjEEEESG_SG_SG_PmS8_22is_equal_div_10_reduceIjEEE10hipError_tPvRmT2_T3_mT4_T5_T6_T7_T8_P12ihipStream_tbENKUlT_T0_E_clISt17integral_constantIbLb1EES10_IbLb0EEEEDaSW_SX_EUlSW_E_NS1_11comp_targetILNS1_3genE0ELNS1_11target_archE4294967295ELNS1_3gpuE0ELNS1_3repE0EEENS1_30default_config_static_selectorELNS0_4arch9wavefront6targetE0EEEvT1_, .Lfunc_end372-_ZN7rocprim17ROCPRIM_400000_NS6detail17trampoline_kernelINS0_14default_configENS1_29reduce_by_key_config_selectorIjjN6thrust23THRUST_200600_302600_NS4plusIjEEEEZZNS1_33reduce_by_key_impl_wrapped_configILNS1_25lookback_scan_determinismE0ES3_S9_NS6_6detail15normal_iteratorINS6_10device_ptrIjEEEESG_SG_SG_PmS8_22is_equal_div_10_reduceIjEEE10hipError_tPvRmT2_T3_mT4_T5_T6_T7_T8_P12ihipStream_tbENKUlT_T0_E_clISt17integral_constantIbLb1EES10_IbLb0EEEEDaSW_SX_EUlSW_E_NS1_11comp_targetILNS1_3genE0ELNS1_11target_archE4294967295ELNS1_3gpuE0ELNS1_3repE0EEENS1_30default_config_static_selectorELNS0_4arch9wavefront6targetE0EEEvT1_
                                        ; -- End function
	.section	.AMDGPU.csdata,"",@progbits
; Kernel info:
; codeLenInByte = 0
; NumSgprs: 0
; NumVgprs: 0
; ScratchSize: 0
; MemoryBound: 0
; FloatMode: 240
; IeeeMode: 1
; LDSByteSize: 0 bytes/workgroup (compile time only)
; SGPRBlocks: 0
; VGPRBlocks: 0
; NumSGPRsForWavesPerEU: 1
; NumVGPRsForWavesPerEU: 1
; Occupancy: 16
; WaveLimiterHint : 0
; COMPUTE_PGM_RSRC2:SCRATCH_EN: 0
; COMPUTE_PGM_RSRC2:USER_SGPR: 15
; COMPUTE_PGM_RSRC2:TRAP_HANDLER: 0
; COMPUTE_PGM_RSRC2:TGID_X_EN: 1
; COMPUTE_PGM_RSRC2:TGID_Y_EN: 0
; COMPUTE_PGM_RSRC2:TGID_Z_EN: 0
; COMPUTE_PGM_RSRC2:TIDIG_COMP_CNT: 0
	.section	.text._ZN7rocprim17ROCPRIM_400000_NS6detail17trampoline_kernelINS0_14default_configENS1_29reduce_by_key_config_selectorIjjN6thrust23THRUST_200600_302600_NS4plusIjEEEEZZNS1_33reduce_by_key_impl_wrapped_configILNS1_25lookback_scan_determinismE0ES3_S9_NS6_6detail15normal_iteratorINS6_10device_ptrIjEEEESG_SG_SG_PmS8_22is_equal_div_10_reduceIjEEE10hipError_tPvRmT2_T3_mT4_T5_T6_T7_T8_P12ihipStream_tbENKUlT_T0_E_clISt17integral_constantIbLb1EES10_IbLb0EEEEDaSW_SX_EUlSW_E_NS1_11comp_targetILNS1_3genE5ELNS1_11target_archE942ELNS1_3gpuE9ELNS1_3repE0EEENS1_30default_config_static_selectorELNS0_4arch9wavefront6targetE0EEEvT1_,"axG",@progbits,_ZN7rocprim17ROCPRIM_400000_NS6detail17trampoline_kernelINS0_14default_configENS1_29reduce_by_key_config_selectorIjjN6thrust23THRUST_200600_302600_NS4plusIjEEEEZZNS1_33reduce_by_key_impl_wrapped_configILNS1_25lookback_scan_determinismE0ES3_S9_NS6_6detail15normal_iteratorINS6_10device_ptrIjEEEESG_SG_SG_PmS8_22is_equal_div_10_reduceIjEEE10hipError_tPvRmT2_T3_mT4_T5_T6_T7_T8_P12ihipStream_tbENKUlT_T0_E_clISt17integral_constantIbLb1EES10_IbLb0EEEEDaSW_SX_EUlSW_E_NS1_11comp_targetILNS1_3genE5ELNS1_11target_archE942ELNS1_3gpuE9ELNS1_3repE0EEENS1_30default_config_static_selectorELNS0_4arch9wavefront6targetE0EEEvT1_,comdat
	.protected	_ZN7rocprim17ROCPRIM_400000_NS6detail17trampoline_kernelINS0_14default_configENS1_29reduce_by_key_config_selectorIjjN6thrust23THRUST_200600_302600_NS4plusIjEEEEZZNS1_33reduce_by_key_impl_wrapped_configILNS1_25lookback_scan_determinismE0ES3_S9_NS6_6detail15normal_iteratorINS6_10device_ptrIjEEEESG_SG_SG_PmS8_22is_equal_div_10_reduceIjEEE10hipError_tPvRmT2_T3_mT4_T5_T6_T7_T8_P12ihipStream_tbENKUlT_T0_E_clISt17integral_constantIbLb1EES10_IbLb0EEEEDaSW_SX_EUlSW_E_NS1_11comp_targetILNS1_3genE5ELNS1_11target_archE942ELNS1_3gpuE9ELNS1_3repE0EEENS1_30default_config_static_selectorELNS0_4arch9wavefront6targetE0EEEvT1_ ; -- Begin function _ZN7rocprim17ROCPRIM_400000_NS6detail17trampoline_kernelINS0_14default_configENS1_29reduce_by_key_config_selectorIjjN6thrust23THRUST_200600_302600_NS4plusIjEEEEZZNS1_33reduce_by_key_impl_wrapped_configILNS1_25lookback_scan_determinismE0ES3_S9_NS6_6detail15normal_iteratorINS6_10device_ptrIjEEEESG_SG_SG_PmS8_22is_equal_div_10_reduceIjEEE10hipError_tPvRmT2_T3_mT4_T5_T6_T7_T8_P12ihipStream_tbENKUlT_T0_E_clISt17integral_constantIbLb1EES10_IbLb0EEEEDaSW_SX_EUlSW_E_NS1_11comp_targetILNS1_3genE5ELNS1_11target_archE942ELNS1_3gpuE9ELNS1_3repE0EEENS1_30default_config_static_selectorELNS0_4arch9wavefront6targetE0EEEvT1_
	.globl	_ZN7rocprim17ROCPRIM_400000_NS6detail17trampoline_kernelINS0_14default_configENS1_29reduce_by_key_config_selectorIjjN6thrust23THRUST_200600_302600_NS4plusIjEEEEZZNS1_33reduce_by_key_impl_wrapped_configILNS1_25lookback_scan_determinismE0ES3_S9_NS6_6detail15normal_iteratorINS6_10device_ptrIjEEEESG_SG_SG_PmS8_22is_equal_div_10_reduceIjEEE10hipError_tPvRmT2_T3_mT4_T5_T6_T7_T8_P12ihipStream_tbENKUlT_T0_E_clISt17integral_constantIbLb1EES10_IbLb0EEEEDaSW_SX_EUlSW_E_NS1_11comp_targetILNS1_3genE5ELNS1_11target_archE942ELNS1_3gpuE9ELNS1_3repE0EEENS1_30default_config_static_selectorELNS0_4arch9wavefront6targetE0EEEvT1_
	.p2align	8
	.type	_ZN7rocprim17ROCPRIM_400000_NS6detail17trampoline_kernelINS0_14default_configENS1_29reduce_by_key_config_selectorIjjN6thrust23THRUST_200600_302600_NS4plusIjEEEEZZNS1_33reduce_by_key_impl_wrapped_configILNS1_25lookback_scan_determinismE0ES3_S9_NS6_6detail15normal_iteratorINS6_10device_ptrIjEEEESG_SG_SG_PmS8_22is_equal_div_10_reduceIjEEE10hipError_tPvRmT2_T3_mT4_T5_T6_T7_T8_P12ihipStream_tbENKUlT_T0_E_clISt17integral_constantIbLb1EES10_IbLb0EEEEDaSW_SX_EUlSW_E_NS1_11comp_targetILNS1_3genE5ELNS1_11target_archE942ELNS1_3gpuE9ELNS1_3repE0EEENS1_30default_config_static_selectorELNS0_4arch9wavefront6targetE0EEEvT1_,@function
_ZN7rocprim17ROCPRIM_400000_NS6detail17trampoline_kernelINS0_14default_configENS1_29reduce_by_key_config_selectorIjjN6thrust23THRUST_200600_302600_NS4plusIjEEEEZZNS1_33reduce_by_key_impl_wrapped_configILNS1_25lookback_scan_determinismE0ES3_S9_NS6_6detail15normal_iteratorINS6_10device_ptrIjEEEESG_SG_SG_PmS8_22is_equal_div_10_reduceIjEEE10hipError_tPvRmT2_T3_mT4_T5_T6_T7_T8_P12ihipStream_tbENKUlT_T0_E_clISt17integral_constantIbLb1EES10_IbLb0EEEEDaSW_SX_EUlSW_E_NS1_11comp_targetILNS1_3genE5ELNS1_11target_archE942ELNS1_3gpuE9ELNS1_3repE0EEENS1_30default_config_static_selectorELNS0_4arch9wavefront6targetE0EEEvT1_: ; @_ZN7rocprim17ROCPRIM_400000_NS6detail17trampoline_kernelINS0_14default_configENS1_29reduce_by_key_config_selectorIjjN6thrust23THRUST_200600_302600_NS4plusIjEEEEZZNS1_33reduce_by_key_impl_wrapped_configILNS1_25lookback_scan_determinismE0ES3_S9_NS6_6detail15normal_iteratorINS6_10device_ptrIjEEEESG_SG_SG_PmS8_22is_equal_div_10_reduceIjEEE10hipError_tPvRmT2_T3_mT4_T5_T6_T7_T8_P12ihipStream_tbENKUlT_T0_E_clISt17integral_constantIbLb1EES10_IbLb0EEEEDaSW_SX_EUlSW_E_NS1_11comp_targetILNS1_3genE5ELNS1_11target_archE942ELNS1_3gpuE9ELNS1_3repE0EEENS1_30default_config_static_selectorELNS0_4arch9wavefront6targetE0EEEvT1_
; %bb.0:
	.section	.rodata,"a",@progbits
	.p2align	6, 0x0
	.amdhsa_kernel _ZN7rocprim17ROCPRIM_400000_NS6detail17trampoline_kernelINS0_14default_configENS1_29reduce_by_key_config_selectorIjjN6thrust23THRUST_200600_302600_NS4plusIjEEEEZZNS1_33reduce_by_key_impl_wrapped_configILNS1_25lookback_scan_determinismE0ES3_S9_NS6_6detail15normal_iteratorINS6_10device_ptrIjEEEESG_SG_SG_PmS8_22is_equal_div_10_reduceIjEEE10hipError_tPvRmT2_T3_mT4_T5_T6_T7_T8_P12ihipStream_tbENKUlT_T0_E_clISt17integral_constantIbLb1EES10_IbLb0EEEEDaSW_SX_EUlSW_E_NS1_11comp_targetILNS1_3genE5ELNS1_11target_archE942ELNS1_3gpuE9ELNS1_3repE0EEENS1_30default_config_static_selectorELNS0_4arch9wavefront6targetE0EEEvT1_
		.amdhsa_group_segment_fixed_size 0
		.amdhsa_private_segment_fixed_size 0
		.amdhsa_kernarg_size 120
		.amdhsa_user_sgpr_count 15
		.amdhsa_user_sgpr_dispatch_ptr 0
		.amdhsa_user_sgpr_queue_ptr 0
		.amdhsa_user_sgpr_kernarg_segment_ptr 1
		.amdhsa_user_sgpr_dispatch_id 0
		.amdhsa_user_sgpr_private_segment_size 0
		.amdhsa_wavefront_size32 1
		.amdhsa_uses_dynamic_stack 0
		.amdhsa_enable_private_segment 0
		.amdhsa_system_sgpr_workgroup_id_x 1
		.amdhsa_system_sgpr_workgroup_id_y 0
		.amdhsa_system_sgpr_workgroup_id_z 0
		.amdhsa_system_sgpr_workgroup_info 0
		.amdhsa_system_vgpr_workitem_id 0
		.amdhsa_next_free_vgpr 1
		.amdhsa_next_free_sgpr 1
		.amdhsa_reserve_vcc 0
		.amdhsa_float_round_mode_32 0
		.amdhsa_float_round_mode_16_64 0
		.amdhsa_float_denorm_mode_32 3
		.amdhsa_float_denorm_mode_16_64 3
		.amdhsa_dx10_clamp 1
		.amdhsa_ieee_mode 1
		.amdhsa_fp16_overflow 0
		.amdhsa_workgroup_processor_mode 1
		.amdhsa_memory_ordered 1
		.amdhsa_forward_progress 0
		.amdhsa_shared_vgpr_count 0
		.amdhsa_exception_fp_ieee_invalid_op 0
		.amdhsa_exception_fp_denorm_src 0
		.amdhsa_exception_fp_ieee_div_zero 0
		.amdhsa_exception_fp_ieee_overflow 0
		.amdhsa_exception_fp_ieee_underflow 0
		.amdhsa_exception_fp_ieee_inexact 0
		.amdhsa_exception_int_div_zero 0
	.end_amdhsa_kernel
	.section	.text._ZN7rocprim17ROCPRIM_400000_NS6detail17trampoline_kernelINS0_14default_configENS1_29reduce_by_key_config_selectorIjjN6thrust23THRUST_200600_302600_NS4plusIjEEEEZZNS1_33reduce_by_key_impl_wrapped_configILNS1_25lookback_scan_determinismE0ES3_S9_NS6_6detail15normal_iteratorINS6_10device_ptrIjEEEESG_SG_SG_PmS8_22is_equal_div_10_reduceIjEEE10hipError_tPvRmT2_T3_mT4_T5_T6_T7_T8_P12ihipStream_tbENKUlT_T0_E_clISt17integral_constantIbLb1EES10_IbLb0EEEEDaSW_SX_EUlSW_E_NS1_11comp_targetILNS1_3genE5ELNS1_11target_archE942ELNS1_3gpuE9ELNS1_3repE0EEENS1_30default_config_static_selectorELNS0_4arch9wavefront6targetE0EEEvT1_,"axG",@progbits,_ZN7rocprim17ROCPRIM_400000_NS6detail17trampoline_kernelINS0_14default_configENS1_29reduce_by_key_config_selectorIjjN6thrust23THRUST_200600_302600_NS4plusIjEEEEZZNS1_33reduce_by_key_impl_wrapped_configILNS1_25lookback_scan_determinismE0ES3_S9_NS6_6detail15normal_iteratorINS6_10device_ptrIjEEEESG_SG_SG_PmS8_22is_equal_div_10_reduceIjEEE10hipError_tPvRmT2_T3_mT4_T5_T6_T7_T8_P12ihipStream_tbENKUlT_T0_E_clISt17integral_constantIbLb1EES10_IbLb0EEEEDaSW_SX_EUlSW_E_NS1_11comp_targetILNS1_3genE5ELNS1_11target_archE942ELNS1_3gpuE9ELNS1_3repE0EEENS1_30default_config_static_selectorELNS0_4arch9wavefront6targetE0EEEvT1_,comdat
.Lfunc_end373:
	.size	_ZN7rocprim17ROCPRIM_400000_NS6detail17trampoline_kernelINS0_14default_configENS1_29reduce_by_key_config_selectorIjjN6thrust23THRUST_200600_302600_NS4plusIjEEEEZZNS1_33reduce_by_key_impl_wrapped_configILNS1_25lookback_scan_determinismE0ES3_S9_NS6_6detail15normal_iteratorINS6_10device_ptrIjEEEESG_SG_SG_PmS8_22is_equal_div_10_reduceIjEEE10hipError_tPvRmT2_T3_mT4_T5_T6_T7_T8_P12ihipStream_tbENKUlT_T0_E_clISt17integral_constantIbLb1EES10_IbLb0EEEEDaSW_SX_EUlSW_E_NS1_11comp_targetILNS1_3genE5ELNS1_11target_archE942ELNS1_3gpuE9ELNS1_3repE0EEENS1_30default_config_static_selectorELNS0_4arch9wavefront6targetE0EEEvT1_, .Lfunc_end373-_ZN7rocprim17ROCPRIM_400000_NS6detail17trampoline_kernelINS0_14default_configENS1_29reduce_by_key_config_selectorIjjN6thrust23THRUST_200600_302600_NS4plusIjEEEEZZNS1_33reduce_by_key_impl_wrapped_configILNS1_25lookback_scan_determinismE0ES3_S9_NS6_6detail15normal_iteratorINS6_10device_ptrIjEEEESG_SG_SG_PmS8_22is_equal_div_10_reduceIjEEE10hipError_tPvRmT2_T3_mT4_T5_T6_T7_T8_P12ihipStream_tbENKUlT_T0_E_clISt17integral_constantIbLb1EES10_IbLb0EEEEDaSW_SX_EUlSW_E_NS1_11comp_targetILNS1_3genE5ELNS1_11target_archE942ELNS1_3gpuE9ELNS1_3repE0EEENS1_30default_config_static_selectorELNS0_4arch9wavefront6targetE0EEEvT1_
                                        ; -- End function
	.section	.AMDGPU.csdata,"",@progbits
; Kernel info:
; codeLenInByte = 0
; NumSgprs: 0
; NumVgprs: 0
; ScratchSize: 0
; MemoryBound: 0
; FloatMode: 240
; IeeeMode: 1
; LDSByteSize: 0 bytes/workgroup (compile time only)
; SGPRBlocks: 0
; VGPRBlocks: 0
; NumSGPRsForWavesPerEU: 1
; NumVGPRsForWavesPerEU: 1
; Occupancy: 16
; WaveLimiterHint : 0
; COMPUTE_PGM_RSRC2:SCRATCH_EN: 0
; COMPUTE_PGM_RSRC2:USER_SGPR: 15
; COMPUTE_PGM_RSRC2:TRAP_HANDLER: 0
; COMPUTE_PGM_RSRC2:TGID_X_EN: 1
; COMPUTE_PGM_RSRC2:TGID_Y_EN: 0
; COMPUTE_PGM_RSRC2:TGID_Z_EN: 0
; COMPUTE_PGM_RSRC2:TIDIG_COMP_CNT: 0
	.section	.text._ZN7rocprim17ROCPRIM_400000_NS6detail17trampoline_kernelINS0_14default_configENS1_29reduce_by_key_config_selectorIjjN6thrust23THRUST_200600_302600_NS4plusIjEEEEZZNS1_33reduce_by_key_impl_wrapped_configILNS1_25lookback_scan_determinismE0ES3_S9_NS6_6detail15normal_iteratorINS6_10device_ptrIjEEEESG_SG_SG_PmS8_22is_equal_div_10_reduceIjEEE10hipError_tPvRmT2_T3_mT4_T5_T6_T7_T8_P12ihipStream_tbENKUlT_T0_E_clISt17integral_constantIbLb1EES10_IbLb0EEEEDaSW_SX_EUlSW_E_NS1_11comp_targetILNS1_3genE4ELNS1_11target_archE910ELNS1_3gpuE8ELNS1_3repE0EEENS1_30default_config_static_selectorELNS0_4arch9wavefront6targetE0EEEvT1_,"axG",@progbits,_ZN7rocprim17ROCPRIM_400000_NS6detail17trampoline_kernelINS0_14default_configENS1_29reduce_by_key_config_selectorIjjN6thrust23THRUST_200600_302600_NS4plusIjEEEEZZNS1_33reduce_by_key_impl_wrapped_configILNS1_25lookback_scan_determinismE0ES3_S9_NS6_6detail15normal_iteratorINS6_10device_ptrIjEEEESG_SG_SG_PmS8_22is_equal_div_10_reduceIjEEE10hipError_tPvRmT2_T3_mT4_T5_T6_T7_T8_P12ihipStream_tbENKUlT_T0_E_clISt17integral_constantIbLb1EES10_IbLb0EEEEDaSW_SX_EUlSW_E_NS1_11comp_targetILNS1_3genE4ELNS1_11target_archE910ELNS1_3gpuE8ELNS1_3repE0EEENS1_30default_config_static_selectorELNS0_4arch9wavefront6targetE0EEEvT1_,comdat
	.protected	_ZN7rocprim17ROCPRIM_400000_NS6detail17trampoline_kernelINS0_14default_configENS1_29reduce_by_key_config_selectorIjjN6thrust23THRUST_200600_302600_NS4plusIjEEEEZZNS1_33reduce_by_key_impl_wrapped_configILNS1_25lookback_scan_determinismE0ES3_S9_NS6_6detail15normal_iteratorINS6_10device_ptrIjEEEESG_SG_SG_PmS8_22is_equal_div_10_reduceIjEEE10hipError_tPvRmT2_T3_mT4_T5_T6_T7_T8_P12ihipStream_tbENKUlT_T0_E_clISt17integral_constantIbLb1EES10_IbLb0EEEEDaSW_SX_EUlSW_E_NS1_11comp_targetILNS1_3genE4ELNS1_11target_archE910ELNS1_3gpuE8ELNS1_3repE0EEENS1_30default_config_static_selectorELNS0_4arch9wavefront6targetE0EEEvT1_ ; -- Begin function _ZN7rocprim17ROCPRIM_400000_NS6detail17trampoline_kernelINS0_14default_configENS1_29reduce_by_key_config_selectorIjjN6thrust23THRUST_200600_302600_NS4plusIjEEEEZZNS1_33reduce_by_key_impl_wrapped_configILNS1_25lookback_scan_determinismE0ES3_S9_NS6_6detail15normal_iteratorINS6_10device_ptrIjEEEESG_SG_SG_PmS8_22is_equal_div_10_reduceIjEEE10hipError_tPvRmT2_T3_mT4_T5_T6_T7_T8_P12ihipStream_tbENKUlT_T0_E_clISt17integral_constantIbLb1EES10_IbLb0EEEEDaSW_SX_EUlSW_E_NS1_11comp_targetILNS1_3genE4ELNS1_11target_archE910ELNS1_3gpuE8ELNS1_3repE0EEENS1_30default_config_static_selectorELNS0_4arch9wavefront6targetE0EEEvT1_
	.globl	_ZN7rocprim17ROCPRIM_400000_NS6detail17trampoline_kernelINS0_14default_configENS1_29reduce_by_key_config_selectorIjjN6thrust23THRUST_200600_302600_NS4plusIjEEEEZZNS1_33reduce_by_key_impl_wrapped_configILNS1_25lookback_scan_determinismE0ES3_S9_NS6_6detail15normal_iteratorINS6_10device_ptrIjEEEESG_SG_SG_PmS8_22is_equal_div_10_reduceIjEEE10hipError_tPvRmT2_T3_mT4_T5_T6_T7_T8_P12ihipStream_tbENKUlT_T0_E_clISt17integral_constantIbLb1EES10_IbLb0EEEEDaSW_SX_EUlSW_E_NS1_11comp_targetILNS1_3genE4ELNS1_11target_archE910ELNS1_3gpuE8ELNS1_3repE0EEENS1_30default_config_static_selectorELNS0_4arch9wavefront6targetE0EEEvT1_
	.p2align	8
	.type	_ZN7rocprim17ROCPRIM_400000_NS6detail17trampoline_kernelINS0_14default_configENS1_29reduce_by_key_config_selectorIjjN6thrust23THRUST_200600_302600_NS4plusIjEEEEZZNS1_33reduce_by_key_impl_wrapped_configILNS1_25lookback_scan_determinismE0ES3_S9_NS6_6detail15normal_iteratorINS6_10device_ptrIjEEEESG_SG_SG_PmS8_22is_equal_div_10_reduceIjEEE10hipError_tPvRmT2_T3_mT4_T5_T6_T7_T8_P12ihipStream_tbENKUlT_T0_E_clISt17integral_constantIbLb1EES10_IbLb0EEEEDaSW_SX_EUlSW_E_NS1_11comp_targetILNS1_3genE4ELNS1_11target_archE910ELNS1_3gpuE8ELNS1_3repE0EEENS1_30default_config_static_selectorELNS0_4arch9wavefront6targetE0EEEvT1_,@function
_ZN7rocprim17ROCPRIM_400000_NS6detail17trampoline_kernelINS0_14default_configENS1_29reduce_by_key_config_selectorIjjN6thrust23THRUST_200600_302600_NS4plusIjEEEEZZNS1_33reduce_by_key_impl_wrapped_configILNS1_25lookback_scan_determinismE0ES3_S9_NS6_6detail15normal_iteratorINS6_10device_ptrIjEEEESG_SG_SG_PmS8_22is_equal_div_10_reduceIjEEE10hipError_tPvRmT2_T3_mT4_T5_T6_T7_T8_P12ihipStream_tbENKUlT_T0_E_clISt17integral_constantIbLb1EES10_IbLb0EEEEDaSW_SX_EUlSW_E_NS1_11comp_targetILNS1_3genE4ELNS1_11target_archE910ELNS1_3gpuE8ELNS1_3repE0EEENS1_30default_config_static_selectorELNS0_4arch9wavefront6targetE0EEEvT1_: ; @_ZN7rocprim17ROCPRIM_400000_NS6detail17trampoline_kernelINS0_14default_configENS1_29reduce_by_key_config_selectorIjjN6thrust23THRUST_200600_302600_NS4plusIjEEEEZZNS1_33reduce_by_key_impl_wrapped_configILNS1_25lookback_scan_determinismE0ES3_S9_NS6_6detail15normal_iteratorINS6_10device_ptrIjEEEESG_SG_SG_PmS8_22is_equal_div_10_reduceIjEEE10hipError_tPvRmT2_T3_mT4_T5_T6_T7_T8_P12ihipStream_tbENKUlT_T0_E_clISt17integral_constantIbLb1EES10_IbLb0EEEEDaSW_SX_EUlSW_E_NS1_11comp_targetILNS1_3genE4ELNS1_11target_archE910ELNS1_3gpuE8ELNS1_3repE0EEENS1_30default_config_static_selectorELNS0_4arch9wavefront6targetE0EEEvT1_
; %bb.0:
	.section	.rodata,"a",@progbits
	.p2align	6, 0x0
	.amdhsa_kernel _ZN7rocprim17ROCPRIM_400000_NS6detail17trampoline_kernelINS0_14default_configENS1_29reduce_by_key_config_selectorIjjN6thrust23THRUST_200600_302600_NS4plusIjEEEEZZNS1_33reduce_by_key_impl_wrapped_configILNS1_25lookback_scan_determinismE0ES3_S9_NS6_6detail15normal_iteratorINS6_10device_ptrIjEEEESG_SG_SG_PmS8_22is_equal_div_10_reduceIjEEE10hipError_tPvRmT2_T3_mT4_T5_T6_T7_T8_P12ihipStream_tbENKUlT_T0_E_clISt17integral_constantIbLb1EES10_IbLb0EEEEDaSW_SX_EUlSW_E_NS1_11comp_targetILNS1_3genE4ELNS1_11target_archE910ELNS1_3gpuE8ELNS1_3repE0EEENS1_30default_config_static_selectorELNS0_4arch9wavefront6targetE0EEEvT1_
		.amdhsa_group_segment_fixed_size 0
		.amdhsa_private_segment_fixed_size 0
		.amdhsa_kernarg_size 120
		.amdhsa_user_sgpr_count 15
		.amdhsa_user_sgpr_dispatch_ptr 0
		.amdhsa_user_sgpr_queue_ptr 0
		.amdhsa_user_sgpr_kernarg_segment_ptr 1
		.amdhsa_user_sgpr_dispatch_id 0
		.amdhsa_user_sgpr_private_segment_size 0
		.amdhsa_wavefront_size32 1
		.amdhsa_uses_dynamic_stack 0
		.amdhsa_enable_private_segment 0
		.amdhsa_system_sgpr_workgroup_id_x 1
		.amdhsa_system_sgpr_workgroup_id_y 0
		.amdhsa_system_sgpr_workgroup_id_z 0
		.amdhsa_system_sgpr_workgroup_info 0
		.amdhsa_system_vgpr_workitem_id 0
		.amdhsa_next_free_vgpr 1
		.amdhsa_next_free_sgpr 1
		.amdhsa_reserve_vcc 0
		.amdhsa_float_round_mode_32 0
		.amdhsa_float_round_mode_16_64 0
		.amdhsa_float_denorm_mode_32 3
		.amdhsa_float_denorm_mode_16_64 3
		.amdhsa_dx10_clamp 1
		.amdhsa_ieee_mode 1
		.amdhsa_fp16_overflow 0
		.amdhsa_workgroup_processor_mode 1
		.amdhsa_memory_ordered 1
		.amdhsa_forward_progress 0
		.amdhsa_shared_vgpr_count 0
		.amdhsa_exception_fp_ieee_invalid_op 0
		.amdhsa_exception_fp_denorm_src 0
		.amdhsa_exception_fp_ieee_div_zero 0
		.amdhsa_exception_fp_ieee_overflow 0
		.amdhsa_exception_fp_ieee_underflow 0
		.amdhsa_exception_fp_ieee_inexact 0
		.amdhsa_exception_int_div_zero 0
	.end_amdhsa_kernel
	.section	.text._ZN7rocprim17ROCPRIM_400000_NS6detail17trampoline_kernelINS0_14default_configENS1_29reduce_by_key_config_selectorIjjN6thrust23THRUST_200600_302600_NS4plusIjEEEEZZNS1_33reduce_by_key_impl_wrapped_configILNS1_25lookback_scan_determinismE0ES3_S9_NS6_6detail15normal_iteratorINS6_10device_ptrIjEEEESG_SG_SG_PmS8_22is_equal_div_10_reduceIjEEE10hipError_tPvRmT2_T3_mT4_T5_T6_T7_T8_P12ihipStream_tbENKUlT_T0_E_clISt17integral_constantIbLb1EES10_IbLb0EEEEDaSW_SX_EUlSW_E_NS1_11comp_targetILNS1_3genE4ELNS1_11target_archE910ELNS1_3gpuE8ELNS1_3repE0EEENS1_30default_config_static_selectorELNS0_4arch9wavefront6targetE0EEEvT1_,"axG",@progbits,_ZN7rocprim17ROCPRIM_400000_NS6detail17trampoline_kernelINS0_14default_configENS1_29reduce_by_key_config_selectorIjjN6thrust23THRUST_200600_302600_NS4plusIjEEEEZZNS1_33reduce_by_key_impl_wrapped_configILNS1_25lookback_scan_determinismE0ES3_S9_NS6_6detail15normal_iteratorINS6_10device_ptrIjEEEESG_SG_SG_PmS8_22is_equal_div_10_reduceIjEEE10hipError_tPvRmT2_T3_mT4_T5_T6_T7_T8_P12ihipStream_tbENKUlT_T0_E_clISt17integral_constantIbLb1EES10_IbLb0EEEEDaSW_SX_EUlSW_E_NS1_11comp_targetILNS1_3genE4ELNS1_11target_archE910ELNS1_3gpuE8ELNS1_3repE0EEENS1_30default_config_static_selectorELNS0_4arch9wavefront6targetE0EEEvT1_,comdat
.Lfunc_end374:
	.size	_ZN7rocprim17ROCPRIM_400000_NS6detail17trampoline_kernelINS0_14default_configENS1_29reduce_by_key_config_selectorIjjN6thrust23THRUST_200600_302600_NS4plusIjEEEEZZNS1_33reduce_by_key_impl_wrapped_configILNS1_25lookback_scan_determinismE0ES3_S9_NS6_6detail15normal_iteratorINS6_10device_ptrIjEEEESG_SG_SG_PmS8_22is_equal_div_10_reduceIjEEE10hipError_tPvRmT2_T3_mT4_T5_T6_T7_T8_P12ihipStream_tbENKUlT_T0_E_clISt17integral_constantIbLb1EES10_IbLb0EEEEDaSW_SX_EUlSW_E_NS1_11comp_targetILNS1_3genE4ELNS1_11target_archE910ELNS1_3gpuE8ELNS1_3repE0EEENS1_30default_config_static_selectorELNS0_4arch9wavefront6targetE0EEEvT1_, .Lfunc_end374-_ZN7rocprim17ROCPRIM_400000_NS6detail17trampoline_kernelINS0_14default_configENS1_29reduce_by_key_config_selectorIjjN6thrust23THRUST_200600_302600_NS4plusIjEEEEZZNS1_33reduce_by_key_impl_wrapped_configILNS1_25lookback_scan_determinismE0ES3_S9_NS6_6detail15normal_iteratorINS6_10device_ptrIjEEEESG_SG_SG_PmS8_22is_equal_div_10_reduceIjEEE10hipError_tPvRmT2_T3_mT4_T5_T6_T7_T8_P12ihipStream_tbENKUlT_T0_E_clISt17integral_constantIbLb1EES10_IbLb0EEEEDaSW_SX_EUlSW_E_NS1_11comp_targetILNS1_3genE4ELNS1_11target_archE910ELNS1_3gpuE8ELNS1_3repE0EEENS1_30default_config_static_selectorELNS0_4arch9wavefront6targetE0EEEvT1_
                                        ; -- End function
	.section	.AMDGPU.csdata,"",@progbits
; Kernel info:
; codeLenInByte = 0
; NumSgprs: 0
; NumVgprs: 0
; ScratchSize: 0
; MemoryBound: 0
; FloatMode: 240
; IeeeMode: 1
; LDSByteSize: 0 bytes/workgroup (compile time only)
; SGPRBlocks: 0
; VGPRBlocks: 0
; NumSGPRsForWavesPerEU: 1
; NumVGPRsForWavesPerEU: 1
; Occupancy: 16
; WaveLimiterHint : 0
; COMPUTE_PGM_RSRC2:SCRATCH_EN: 0
; COMPUTE_PGM_RSRC2:USER_SGPR: 15
; COMPUTE_PGM_RSRC2:TRAP_HANDLER: 0
; COMPUTE_PGM_RSRC2:TGID_X_EN: 1
; COMPUTE_PGM_RSRC2:TGID_Y_EN: 0
; COMPUTE_PGM_RSRC2:TGID_Z_EN: 0
; COMPUTE_PGM_RSRC2:TIDIG_COMP_CNT: 0
	.section	.text._ZN7rocprim17ROCPRIM_400000_NS6detail17trampoline_kernelINS0_14default_configENS1_29reduce_by_key_config_selectorIjjN6thrust23THRUST_200600_302600_NS4plusIjEEEEZZNS1_33reduce_by_key_impl_wrapped_configILNS1_25lookback_scan_determinismE0ES3_S9_NS6_6detail15normal_iteratorINS6_10device_ptrIjEEEESG_SG_SG_PmS8_22is_equal_div_10_reduceIjEEE10hipError_tPvRmT2_T3_mT4_T5_T6_T7_T8_P12ihipStream_tbENKUlT_T0_E_clISt17integral_constantIbLb1EES10_IbLb0EEEEDaSW_SX_EUlSW_E_NS1_11comp_targetILNS1_3genE3ELNS1_11target_archE908ELNS1_3gpuE7ELNS1_3repE0EEENS1_30default_config_static_selectorELNS0_4arch9wavefront6targetE0EEEvT1_,"axG",@progbits,_ZN7rocprim17ROCPRIM_400000_NS6detail17trampoline_kernelINS0_14default_configENS1_29reduce_by_key_config_selectorIjjN6thrust23THRUST_200600_302600_NS4plusIjEEEEZZNS1_33reduce_by_key_impl_wrapped_configILNS1_25lookback_scan_determinismE0ES3_S9_NS6_6detail15normal_iteratorINS6_10device_ptrIjEEEESG_SG_SG_PmS8_22is_equal_div_10_reduceIjEEE10hipError_tPvRmT2_T3_mT4_T5_T6_T7_T8_P12ihipStream_tbENKUlT_T0_E_clISt17integral_constantIbLb1EES10_IbLb0EEEEDaSW_SX_EUlSW_E_NS1_11comp_targetILNS1_3genE3ELNS1_11target_archE908ELNS1_3gpuE7ELNS1_3repE0EEENS1_30default_config_static_selectorELNS0_4arch9wavefront6targetE0EEEvT1_,comdat
	.protected	_ZN7rocprim17ROCPRIM_400000_NS6detail17trampoline_kernelINS0_14default_configENS1_29reduce_by_key_config_selectorIjjN6thrust23THRUST_200600_302600_NS4plusIjEEEEZZNS1_33reduce_by_key_impl_wrapped_configILNS1_25lookback_scan_determinismE0ES3_S9_NS6_6detail15normal_iteratorINS6_10device_ptrIjEEEESG_SG_SG_PmS8_22is_equal_div_10_reduceIjEEE10hipError_tPvRmT2_T3_mT4_T5_T6_T7_T8_P12ihipStream_tbENKUlT_T0_E_clISt17integral_constantIbLb1EES10_IbLb0EEEEDaSW_SX_EUlSW_E_NS1_11comp_targetILNS1_3genE3ELNS1_11target_archE908ELNS1_3gpuE7ELNS1_3repE0EEENS1_30default_config_static_selectorELNS0_4arch9wavefront6targetE0EEEvT1_ ; -- Begin function _ZN7rocprim17ROCPRIM_400000_NS6detail17trampoline_kernelINS0_14default_configENS1_29reduce_by_key_config_selectorIjjN6thrust23THRUST_200600_302600_NS4plusIjEEEEZZNS1_33reduce_by_key_impl_wrapped_configILNS1_25lookback_scan_determinismE0ES3_S9_NS6_6detail15normal_iteratorINS6_10device_ptrIjEEEESG_SG_SG_PmS8_22is_equal_div_10_reduceIjEEE10hipError_tPvRmT2_T3_mT4_T5_T6_T7_T8_P12ihipStream_tbENKUlT_T0_E_clISt17integral_constantIbLb1EES10_IbLb0EEEEDaSW_SX_EUlSW_E_NS1_11comp_targetILNS1_3genE3ELNS1_11target_archE908ELNS1_3gpuE7ELNS1_3repE0EEENS1_30default_config_static_selectorELNS0_4arch9wavefront6targetE0EEEvT1_
	.globl	_ZN7rocprim17ROCPRIM_400000_NS6detail17trampoline_kernelINS0_14default_configENS1_29reduce_by_key_config_selectorIjjN6thrust23THRUST_200600_302600_NS4plusIjEEEEZZNS1_33reduce_by_key_impl_wrapped_configILNS1_25lookback_scan_determinismE0ES3_S9_NS6_6detail15normal_iteratorINS6_10device_ptrIjEEEESG_SG_SG_PmS8_22is_equal_div_10_reduceIjEEE10hipError_tPvRmT2_T3_mT4_T5_T6_T7_T8_P12ihipStream_tbENKUlT_T0_E_clISt17integral_constantIbLb1EES10_IbLb0EEEEDaSW_SX_EUlSW_E_NS1_11comp_targetILNS1_3genE3ELNS1_11target_archE908ELNS1_3gpuE7ELNS1_3repE0EEENS1_30default_config_static_selectorELNS0_4arch9wavefront6targetE0EEEvT1_
	.p2align	8
	.type	_ZN7rocprim17ROCPRIM_400000_NS6detail17trampoline_kernelINS0_14default_configENS1_29reduce_by_key_config_selectorIjjN6thrust23THRUST_200600_302600_NS4plusIjEEEEZZNS1_33reduce_by_key_impl_wrapped_configILNS1_25lookback_scan_determinismE0ES3_S9_NS6_6detail15normal_iteratorINS6_10device_ptrIjEEEESG_SG_SG_PmS8_22is_equal_div_10_reduceIjEEE10hipError_tPvRmT2_T3_mT4_T5_T6_T7_T8_P12ihipStream_tbENKUlT_T0_E_clISt17integral_constantIbLb1EES10_IbLb0EEEEDaSW_SX_EUlSW_E_NS1_11comp_targetILNS1_3genE3ELNS1_11target_archE908ELNS1_3gpuE7ELNS1_3repE0EEENS1_30default_config_static_selectorELNS0_4arch9wavefront6targetE0EEEvT1_,@function
_ZN7rocprim17ROCPRIM_400000_NS6detail17trampoline_kernelINS0_14default_configENS1_29reduce_by_key_config_selectorIjjN6thrust23THRUST_200600_302600_NS4plusIjEEEEZZNS1_33reduce_by_key_impl_wrapped_configILNS1_25lookback_scan_determinismE0ES3_S9_NS6_6detail15normal_iteratorINS6_10device_ptrIjEEEESG_SG_SG_PmS8_22is_equal_div_10_reduceIjEEE10hipError_tPvRmT2_T3_mT4_T5_T6_T7_T8_P12ihipStream_tbENKUlT_T0_E_clISt17integral_constantIbLb1EES10_IbLb0EEEEDaSW_SX_EUlSW_E_NS1_11comp_targetILNS1_3genE3ELNS1_11target_archE908ELNS1_3gpuE7ELNS1_3repE0EEENS1_30default_config_static_selectorELNS0_4arch9wavefront6targetE0EEEvT1_: ; @_ZN7rocprim17ROCPRIM_400000_NS6detail17trampoline_kernelINS0_14default_configENS1_29reduce_by_key_config_selectorIjjN6thrust23THRUST_200600_302600_NS4plusIjEEEEZZNS1_33reduce_by_key_impl_wrapped_configILNS1_25lookback_scan_determinismE0ES3_S9_NS6_6detail15normal_iteratorINS6_10device_ptrIjEEEESG_SG_SG_PmS8_22is_equal_div_10_reduceIjEEE10hipError_tPvRmT2_T3_mT4_T5_T6_T7_T8_P12ihipStream_tbENKUlT_T0_E_clISt17integral_constantIbLb1EES10_IbLb0EEEEDaSW_SX_EUlSW_E_NS1_11comp_targetILNS1_3genE3ELNS1_11target_archE908ELNS1_3gpuE7ELNS1_3repE0EEENS1_30default_config_static_selectorELNS0_4arch9wavefront6targetE0EEEvT1_
; %bb.0:
	.section	.rodata,"a",@progbits
	.p2align	6, 0x0
	.amdhsa_kernel _ZN7rocprim17ROCPRIM_400000_NS6detail17trampoline_kernelINS0_14default_configENS1_29reduce_by_key_config_selectorIjjN6thrust23THRUST_200600_302600_NS4plusIjEEEEZZNS1_33reduce_by_key_impl_wrapped_configILNS1_25lookback_scan_determinismE0ES3_S9_NS6_6detail15normal_iteratorINS6_10device_ptrIjEEEESG_SG_SG_PmS8_22is_equal_div_10_reduceIjEEE10hipError_tPvRmT2_T3_mT4_T5_T6_T7_T8_P12ihipStream_tbENKUlT_T0_E_clISt17integral_constantIbLb1EES10_IbLb0EEEEDaSW_SX_EUlSW_E_NS1_11comp_targetILNS1_3genE3ELNS1_11target_archE908ELNS1_3gpuE7ELNS1_3repE0EEENS1_30default_config_static_selectorELNS0_4arch9wavefront6targetE0EEEvT1_
		.amdhsa_group_segment_fixed_size 0
		.amdhsa_private_segment_fixed_size 0
		.amdhsa_kernarg_size 120
		.amdhsa_user_sgpr_count 15
		.amdhsa_user_sgpr_dispatch_ptr 0
		.amdhsa_user_sgpr_queue_ptr 0
		.amdhsa_user_sgpr_kernarg_segment_ptr 1
		.amdhsa_user_sgpr_dispatch_id 0
		.amdhsa_user_sgpr_private_segment_size 0
		.amdhsa_wavefront_size32 1
		.amdhsa_uses_dynamic_stack 0
		.amdhsa_enable_private_segment 0
		.amdhsa_system_sgpr_workgroup_id_x 1
		.amdhsa_system_sgpr_workgroup_id_y 0
		.amdhsa_system_sgpr_workgroup_id_z 0
		.amdhsa_system_sgpr_workgroup_info 0
		.amdhsa_system_vgpr_workitem_id 0
		.amdhsa_next_free_vgpr 1
		.amdhsa_next_free_sgpr 1
		.amdhsa_reserve_vcc 0
		.amdhsa_float_round_mode_32 0
		.amdhsa_float_round_mode_16_64 0
		.amdhsa_float_denorm_mode_32 3
		.amdhsa_float_denorm_mode_16_64 3
		.amdhsa_dx10_clamp 1
		.amdhsa_ieee_mode 1
		.amdhsa_fp16_overflow 0
		.amdhsa_workgroup_processor_mode 1
		.amdhsa_memory_ordered 1
		.amdhsa_forward_progress 0
		.amdhsa_shared_vgpr_count 0
		.amdhsa_exception_fp_ieee_invalid_op 0
		.amdhsa_exception_fp_denorm_src 0
		.amdhsa_exception_fp_ieee_div_zero 0
		.amdhsa_exception_fp_ieee_overflow 0
		.amdhsa_exception_fp_ieee_underflow 0
		.amdhsa_exception_fp_ieee_inexact 0
		.amdhsa_exception_int_div_zero 0
	.end_amdhsa_kernel
	.section	.text._ZN7rocprim17ROCPRIM_400000_NS6detail17trampoline_kernelINS0_14default_configENS1_29reduce_by_key_config_selectorIjjN6thrust23THRUST_200600_302600_NS4plusIjEEEEZZNS1_33reduce_by_key_impl_wrapped_configILNS1_25lookback_scan_determinismE0ES3_S9_NS6_6detail15normal_iteratorINS6_10device_ptrIjEEEESG_SG_SG_PmS8_22is_equal_div_10_reduceIjEEE10hipError_tPvRmT2_T3_mT4_T5_T6_T7_T8_P12ihipStream_tbENKUlT_T0_E_clISt17integral_constantIbLb1EES10_IbLb0EEEEDaSW_SX_EUlSW_E_NS1_11comp_targetILNS1_3genE3ELNS1_11target_archE908ELNS1_3gpuE7ELNS1_3repE0EEENS1_30default_config_static_selectorELNS0_4arch9wavefront6targetE0EEEvT1_,"axG",@progbits,_ZN7rocprim17ROCPRIM_400000_NS6detail17trampoline_kernelINS0_14default_configENS1_29reduce_by_key_config_selectorIjjN6thrust23THRUST_200600_302600_NS4plusIjEEEEZZNS1_33reduce_by_key_impl_wrapped_configILNS1_25lookback_scan_determinismE0ES3_S9_NS6_6detail15normal_iteratorINS6_10device_ptrIjEEEESG_SG_SG_PmS8_22is_equal_div_10_reduceIjEEE10hipError_tPvRmT2_T3_mT4_T5_T6_T7_T8_P12ihipStream_tbENKUlT_T0_E_clISt17integral_constantIbLb1EES10_IbLb0EEEEDaSW_SX_EUlSW_E_NS1_11comp_targetILNS1_3genE3ELNS1_11target_archE908ELNS1_3gpuE7ELNS1_3repE0EEENS1_30default_config_static_selectorELNS0_4arch9wavefront6targetE0EEEvT1_,comdat
.Lfunc_end375:
	.size	_ZN7rocprim17ROCPRIM_400000_NS6detail17trampoline_kernelINS0_14default_configENS1_29reduce_by_key_config_selectorIjjN6thrust23THRUST_200600_302600_NS4plusIjEEEEZZNS1_33reduce_by_key_impl_wrapped_configILNS1_25lookback_scan_determinismE0ES3_S9_NS6_6detail15normal_iteratorINS6_10device_ptrIjEEEESG_SG_SG_PmS8_22is_equal_div_10_reduceIjEEE10hipError_tPvRmT2_T3_mT4_T5_T6_T7_T8_P12ihipStream_tbENKUlT_T0_E_clISt17integral_constantIbLb1EES10_IbLb0EEEEDaSW_SX_EUlSW_E_NS1_11comp_targetILNS1_3genE3ELNS1_11target_archE908ELNS1_3gpuE7ELNS1_3repE0EEENS1_30default_config_static_selectorELNS0_4arch9wavefront6targetE0EEEvT1_, .Lfunc_end375-_ZN7rocprim17ROCPRIM_400000_NS6detail17trampoline_kernelINS0_14default_configENS1_29reduce_by_key_config_selectorIjjN6thrust23THRUST_200600_302600_NS4plusIjEEEEZZNS1_33reduce_by_key_impl_wrapped_configILNS1_25lookback_scan_determinismE0ES3_S9_NS6_6detail15normal_iteratorINS6_10device_ptrIjEEEESG_SG_SG_PmS8_22is_equal_div_10_reduceIjEEE10hipError_tPvRmT2_T3_mT4_T5_T6_T7_T8_P12ihipStream_tbENKUlT_T0_E_clISt17integral_constantIbLb1EES10_IbLb0EEEEDaSW_SX_EUlSW_E_NS1_11comp_targetILNS1_3genE3ELNS1_11target_archE908ELNS1_3gpuE7ELNS1_3repE0EEENS1_30default_config_static_selectorELNS0_4arch9wavefront6targetE0EEEvT1_
                                        ; -- End function
	.section	.AMDGPU.csdata,"",@progbits
; Kernel info:
; codeLenInByte = 0
; NumSgprs: 0
; NumVgprs: 0
; ScratchSize: 0
; MemoryBound: 0
; FloatMode: 240
; IeeeMode: 1
; LDSByteSize: 0 bytes/workgroup (compile time only)
; SGPRBlocks: 0
; VGPRBlocks: 0
; NumSGPRsForWavesPerEU: 1
; NumVGPRsForWavesPerEU: 1
; Occupancy: 16
; WaveLimiterHint : 0
; COMPUTE_PGM_RSRC2:SCRATCH_EN: 0
; COMPUTE_PGM_RSRC2:USER_SGPR: 15
; COMPUTE_PGM_RSRC2:TRAP_HANDLER: 0
; COMPUTE_PGM_RSRC2:TGID_X_EN: 1
; COMPUTE_PGM_RSRC2:TGID_Y_EN: 0
; COMPUTE_PGM_RSRC2:TGID_Z_EN: 0
; COMPUTE_PGM_RSRC2:TIDIG_COMP_CNT: 0
	.section	.text._ZN7rocprim17ROCPRIM_400000_NS6detail17trampoline_kernelINS0_14default_configENS1_29reduce_by_key_config_selectorIjjN6thrust23THRUST_200600_302600_NS4plusIjEEEEZZNS1_33reduce_by_key_impl_wrapped_configILNS1_25lookback_scan_determinismE0ES3_S9_NS6_6detail15normal_iteratorINS6_10device_ptrIjEEEESG_SG_SG_PmS8_22is_equal_div_10_reduceIjEEE10hipError_tPvRmT2_T3_mT4_T5_T6_T7_T8_P12ihipStream_tbENKUlT_T0_E_clISt17integral_constantIbLb1EES10_IbLb0EEEEDaSW_SX_EUlSW_E_NS1_11comp_targetILNS1_3genE2ELNS1_11target_archE906ELNS1_3gpuE6ELNS1_3repE0EEENS1_30default_config_static_selectorELNS0_4arch9wavefront6targetE0EEEvT1_,"axG",@progbits,_ZN7rocprim17ROCPRIM_400000_NS6detail17trampoline_kernelINS0_14default_configENS1_29reduce_by_key_config_selectorIjjN6thrust23THRUST_200600_302600_NS4plusIjEEEEZZNS1_33reduce_by_key_impl_wrapped_configILNS1_25lookback_scan_determinismE0ES3_S9_NS6_6detail15normal_iteratorINS6_10device_ptrIjEEEESG_SG_SG_PmS8_22is_equal_div_10_reduceIjEEE10hipError_tPvRmT2_T3_mT4_T5_T6_T7_T8_P12ihipStream_tbENKUlT_T0_E_clISt17integral_constantIbLb1EES10_IbLb0EEEEDaSW_SX_EUlSW_E_NS1_11comp_targetILNS1_3genE2ELNS1_11target_archE906ELNS1_3gpuE6ELNS1_3repE0EEENS1_30default_config_static_selectorELNS0_4arch9wavefront6targetE0EEEvT1_,comdat
	.protected	_ZN7rocprim17ROCPRIM_400000_NS6detail17trampoline_kernelINS0_14default_configENS1_29reduce_by_key_config_selectorIjjN6thrust23THRUST_200600_302600_NS4plusIjEEEEZZNS1_33reduce_by_key_impl_wrapped_configILNS1_25lookback_scan_determinismE0ES3_S9_NS6_6detail15normal_iteratorINS6_10device_ptrIjEEEESG_SG_SG_PmS8_22is_equal_div_10_reduceIjEEE10hipError_tPvRmT2_T3_mT4_T5_T6_T7_T8_P12ihipStream_tbENKUlT_T0_E_clISt17integral_constantIbLb1EES10_IbLb0EEEEDaSW_SX_EUlSW_E_NS1_11comp_targetILNS1_3genE2ELNS1_11target_archE906ELNS1_3gpuE6ELNS1_3repE0EEENS1_30default_config_static_selectorELNS0_4arch9wavefront6targetE0EEEvT1_ ; -- Begin function _ZN7rocprim17ROCPRIM_400000_NS6detail17trampoline_kernelINS0_14default_configENS1_29reduce_by_key_config_selectorIjjN6thrust23THRUST_200600_302600_NS4plusIjEEEEZZNS1_33reduce_by_key_impl_wrapped_configILNS1_25lookback_scan_determinismE0ES3_S9_NS6_6detail15normal_iteratorINS6_10device_ptrIjEEEESG_SG_SG_PmS8_22is_equal_div_10_reduceIjEEE10hipError_tPvRmT2_T3_mT4_T5_T6_T7_T8_P12ihipStream_tbENKUlT_T0_E_clISt17integral_constantIbLb1EES10_IbLb0EEEEDaSW_SX_EUlSW_E_NS1_11comp_targetILNS1_3genE2ELNS1_11target_archE906ELNS1_3gpuE6ELNS1_3repE0EEENS1_30default_config_static_selectorELNS0_4arch9wavefront6targetE0EEEvT1_
	.globl	_ZN7rocprim17ROCPRIM_400000_NS6detail17trampoline_kernelINS0_14default_configENS1_29reduce_by_key_config_selectorIjjN6thrust23THRUST_200600_302600_NS4plusIjEEEEZZNS1_33reduce_by_key_impl_wrapped_configILNS1_25lookback_scan_determinismE0ES3_S9_NS6_6detail15normal_iteratorINS6_10device_ptrIjEEEESG_SG_SG_PmS8_22is_equal_div_10_reduceIjEEE10hipError_tPvRmT2_T3_mT4_T5_T6_T7_T8_P12ihipStream_tbENKUlT_T0_E_clISt17integral_constantIbLb1EES10_IbLb0EEEEDaSW_SX_EUlSW_E_NS1_11comp_targetILNS1_3genE2ELNS1_11target_archE906ELNS1_3gpuE6ELNS1_3repE0EEENS1_30default_config_static_selectorELNS0_4arch9wavefront6targetE0EEEvT1_
	.p2align	8
	.type	_ZN7rocprim17ROCPRIM_400000_NS6detail17trampoline_kernelINS0_14default_configENS1_29reduce_by_key_config_selectorIjjN6thrust23THRUST_200600_302600_NS4plusIjEEEEZZNS1_33reduce_by_key_impl_wrapped_configILNS1_25lookback_scan_determinismE0ES3_S9_NS6_6detail15normal_iteratorINS6_10device_ptrIjEEEESG_SG_SG_PmS8_22is_equal_div_10_reduceIjEEE10hipError_tPvRmT2_T3_mT4_T5_T6_T7_T8_P12ihipStream_tbENKUlT_T0_E_clISt17integral_constantIbLb1EES10_IbLb0EEEEDaSW_SX_EUlSW_E_NS1_11comp_targetILNS1_3genE2ELNS1_11target_archE906ELNS1_3gpuE6ELNS1_3repE0EEENS1_30default_config_static_selectorELNS0_4arch9wavefront6targetE0EEEvT1_,@function
_ZN7rocprim17ROCPRIM_400000_NS6detail17trampoline_kernelINS0_14default_configENS1_29reduce_by_key_config_selectorIjjN6thrust23THRUST_200600_302600_NS4plusIjEEEEZZNS1_33reduce_by_key_impl_wrapped_configILNS1_25lookback_scan_determinismE0ES3_S9_NS6_6detail15normal_iteratorINS6_10device_ptrIjEEEESG_SG_SG_PmS8_22is_equal_div_10_reduceIjEEE10hipError_tPvRmT2_T3_mT4_T5_T6_T7_T8_P12ihipStream_tbENKUlT_T0_E_clISt17integral_constantIbLb1EES10_IbLb0EEEEDaSW_SX_EUlSW_E_NS1_11comp_targetILNS1_3genE2ELNS1_11target_archE906ELNS1_3gpuE6ELNS1_3repE0EEENS1_30default_config_static_selectorELNS0_4arch9wavefront6targetE0EEEvT1_: ; @_ZN7rocprim17ROCPRIM_400000_NS6detail17trampoline_kernelINS0_14default_configENS1_29reduce_by_key_config_selectorIjjN6thrust23THRUST_200600_302600_NS4plusIjEEEEZZNS1_33reduce_by_key_impl_wrapped_configILNS1_25lookback_scan_determinismE0ES3_S9_NS6_6detail15normal_iteratorINS6_10device_ptrIjEEEESG_SG_SG_PmS8_22is_equal_div_10_reduceIjEEE10hipError_tPvRmT2_T3_mT4_T5_T6_T7_T8_P12ihipStream_tbENKUlT_T0_E_clISt17integral_constantIbLb1EES10_IbLb0EEEEDaSW_SX_EUlSW_E_NS1_11comp_targetILNS1_3genE2ELNS1_11target_archE906ELNS1_3gpuE6ELNS1_3repE0EEENS1_30default_config_static_selectorELNS0_4arch9wavefront6targetE0EEEvT1_
; %bb.0:
	.section	.rodata,"a",@progbits
	.p2align	6, 0x0
	.amdhsa_kernel _ZN7rocprim17ROCPRIM_400000_NS6detail17trampoline_kernelINS0_14default_configENS1_29reduce_by_key_config_selectorIjjN6thrust23THRUST_200600_302600_NS4plusIjEEEEZZNS1_33reduce_by_key_impl_wrapped_configILNS1_25lookback_scan_determinismE0ES3_S9_NS6_6detail15normal_iteratorINS6_10device_ptrIjEEEESG_SG_SG_PmS8_22is_equal_div_10_reduceIjEEE10hipError_tPvRmT2_T3_mT4_T5_T6_T7_T8_P12ihipStream_tbENKUlT_T0_E_clISt17integral_constantIbLb1EES10_IbLb0EEEEDaSW_SX_EUlSW_E_NS1_11comp_targetILNS1_3genE2ELNS1_11target_archE906ELNS1_3gpuE6ELNS1_3repE0EEENS1_30default_config_static_selectorELNS0_4arch9wavefront6targetE0EEEvT1_
		.amdhsa_group_segment_fixed_size 0
		.amdhsa_private_segment_fixed_size 0
		.amdhsa_kernarg_size 120
		.amdhsa_user_sgpr_count 15
		.amdhsa_user_sgpr_dispatch_ptr 0
		.amdhsa_user_sgpr_queue_ptr 0
		.amdhsa_user_sgpr_kernarg_segment_ptr 1
		.amdhsa_user_sgpr_dispatch_id 0
		.amdhsa_user_sgpr_private_segment_size 0
		.amdhsa_wavefront_size32 1
		.amdhsa_uses_dynamic_stack 0
		.amdhsa_enable_private_segment 0
		.amdhsa_system_sgpr_workgroup_id_x 1
		.amdhsa_system_sgpr_workgroup_id_y 0
		.amdhsa_system_sgpr_workgroup_id_z 0
		.amdhsa_system_sgpr_workgroup_info 0
		.amdhsa_system_vgpr_workitem_id 0
		.amdhsa_next_free_vgpr 1
		.amdhsa_next_free_sgpr 1
		.amdhsa_reserve_vcc 0
		.amdhsa_float_round_mode_32 0
		.amdhsa_float_round_mode_16_64 0
		.amdhsa_float_denorm_mode_32 3
		.amdhsa_float_denorm_mode_16_64 3
		.amdhsa_dx10_clamp 1
		.amdhsa_ieee_mode 1
		.amdhsa_fp16_overflow 0
		.amdhsa_workgroup_processor_mode 1
		.amdhsa_memory_ordered 1
		.amdhsa_forward_progress 0
		.amdhsa_shared_vgpr_count 0
		.amdhsa_exception_fp_ieee_invalid_op 0
		.amdhsa_exception_fp_denorm_src 0
		.amdhsa_exception_fp_ieee_div_zero 0
		.amdhsa_exception_fp_ieee_overflow 0
		.amdhsa_exception_fp_ieee_underflow 0
		.amdhsa_exception_fp_ieee_inexact 0
		.amdhsa_exception_int_div_zero 0
	.end_amdhsa_kernel
	.section	.text._ZN7rocprim17ROCPRIM_400000_NS6detail17trampoline_kernelINS0_14default_configENS1_29reduce_by_key_config_selectorIjjN6thrust23THRUST_200600_302600_NS4plusIjEEEEZZNS1_33reduce_by_key_impl_wrapped_configILNS1_25lookback_scan_determinismE0ES3_S9_NS6_6detail15normal_iteratorINS6_10device_ptrIjEEEESG_SG_SG_PmS8_22is_equal_div_10_reduceIjEEE10hipError_tPvRmT2_T3_mT4_T5_T6_T7_T8_P12ihipStream_tbENKUlT_T0_E_clISt17integral_constantIbLb1EES10_IbLb0EEEEDaSW_SX_EUlSW_E_NS1_11comp_targetILNS1_3genE2ELNS1_11target_archE906ELNS1_3gpuE6ELNS1_3repE0EEENS1_30default_config_static_selectorELNS0_4arch9wavefront6targetE0EEEvT1_,"axG",@progbits,_ZN7rocprim17ROCPRIM_400000_NS6detail17trampoline_kernelINS0_14default_configENS1_29reduce_by_key_config_selectorIjjN6thrust23THRUST_200600_302600_NS4plusIjEEEEZZNS1_33reduce_by_key_impl_wrapped_configILNS1_25lookback_scan_determinismE0ES3_S9_NS6_6detail15normal_iteratorINS6_10device_ptrIjEEEESG_SG_SG_PmS8_22is_equal_div_10_reduceIjEEE10hipError_tPvRmT2_T3_mT4_T5_T6_T7_T8_P12ihipStream_tbENKUlT_T0_E_clISt17integral_constantIbLb1EES10_IbLb0EEEEDaSW_SX_EUlSW_E_NS1_11comp_targetILNS1_3genE2ELNS1_11target_archE906ELNS1_3gpuE6ELNS1_3repE0EEENS1_30default_config_static_selectorELNS0_4arch9wavefront6targetE0EEEvT1_,comdat
.Lfunc_end376:
	.size	_ZN7rocprim17ROCPRIM_400000_NS6detail17trampoline_kernelINS0_14default_configENS1_29reduce_by_key_config_selectorIjjN6thrust23THRUST_200600_302600_NS4plusIjEEEEZZNS1_33reduce_by_key_impl_wrapped_configILNS1_25lookback_scan_determinismE0ES3_S9_NS6_6detail15normal_iteratorINS6_10device_ptrIjEEEESG_SG_SG_PmS8_22is_equal_div_10_reduceIjEEE10hipError_tPvRmT2_T3_mT4_T5_T6_T7_T8_P12ihipStream_tbENKUlT_T0_E_clISt17integral_constantIbLb1EES10_IbLb0EEEEDaSW_SX_EUlSW_E_NS1_11comp_targetILNS1_3genE2ELNS1_11target_archE906ELNS1_3gpuE6ELNS1_3repE0EEENS1_30default_config_static_selectorELNS0_4arch9wavefront6targetE0EEEvT1_, .Lfunc_end376-_ZN7rocprim17ROCPRIM_400000_NS6detail17trampoline_kernelINS0_14default_configENS1_29reduce_by_key_config_selectorIjjN6thrust23THRUST_200600_302600_NS4plusIjEEEEZZNS1_33reduce_by_key_impl_wrapped_configILNS1_25lookback_scan_determinismE0ES3_S9_NS6_6detail15normal_iteratorINS6_10device_ptrIjEEEESG_SG_SG_PmS8_22is_equal_div_10_reduceIjEEE10hipError_tPvRmT2_T3_mT4_T5_T6_T7_T8_P12ihipStream_tbENKUlT_T0_E_clISt17integral_constantIbLb1EES10_IbLb0EEEEDaSW_SX_EUlSW_E_NS1_11comp_targetILNS1_3genE2ELNS1_11target_archE906ELNS1_3gpuE6ELNS1_3repE0EEENS1_30default_config_static_selectorELNS0_4arch9wavefront6targetE0EEEvT1_
                                        ; -- End function
	.section	.AMDGPU.csdata,"",@progbits
; Kernel info:
; codeLenInByte = 0
; NumSgprs: 0
; NumVgprs: 0
; ScratchSize: 0
; MemoryBound: 0
; FloatMode: 240
; IeeeMode: 1
; LDSByteSize: 0 bytes/workgroup (compile time only)
; SGPRBlocks: 0
; VGPRBlocks: 0
; NumSGPRsForWavesPerEU: 1
; NumVGPRsForWavesPerEU: 1
; Occupancy: 16
; WaveLimiterHint : 0
; COMPUTE_PGM_RSRC2:SCRATCH_EN: 0
; COMPUTE_PGM_RSRC2:USER_SGPR: 15
; COMPUTE_PGM_RSRC2:TRAP_HANDLER: 0
; COMPUTE_PGM_RSRC2:TGID_X_EN: 1
; COMPUTE_PGM_RSRC2:TGID_Y_EN: 0
; COMPUTE_PGM_RSRC2:TGID_Z_EN: 0
; COMPUTE_PGM_RSRC2:TIDIG_COMP_CNT: 0
	.section	.text._ZN7rocprim17ROCPRIM_400000_NS6detail17trampoline_kernelINS0_14default_configENS1_29reduce_by_key_config_selectorIjjN6thrust23THRUST_200600_302600_NS4plusIjEEEEZZNS1_33reduce_by_key_impl_wrapped_configILNS1_25lookback_scan_determinismE0ES3_S9_NS6_6detail15normal_iteratorINS6_10device_ptrIjEEEESG_SG_SG_PmS8_22is_equal_div_10_reduceIjEEE10hipError_tPvRmT2_T3_mT4_T5_T6_T7_T8_P12ihipStream_tbENKUlT_T0_E_clISt17integral_constantIbLb1EES10_IbLb0EEEEDaSW_SX_EUlSW_E_NS1_11comp_targetILNS1_3genE10ELNS1_11target_archE1201ELNS1_3gpuE5ELNS1_3repE0EEENS1_30default_config_static_selectorELNS0_4arch9wavefront6targetE0EEEvT1_,"axG",@progbits,_ZN7rocprim17ROCPRIM_400000_NS6detail17trampoline_kernelINS0_14default_configENS1_29reduce_by_key_config_selectorIjjN6thrust23THRUST_200600_302600_NS4plusIjEEEEZZNS1_33reduce_by_key_impl_wrapped_configILNS1_25lookback_scan_determinismE0ES3_S9_NS6_6detail15normal_iteratorINS6_10device_ptrIjEEEESG_SG_SG_PmS8_22is_equal_div_10_reduceIjEEE10hipError_tPvRmT2_T3_mT4_T5_T6_T7_T8_P12ihipStream_tbENKUlT_T0_E_clISt17integral_constantIbLb1EES10_IbLb0EEEEDaSW_SX_EUlSW_E_NS1_11comp_targetILNS1_3genE10ELNS1_11target_archE1201ELNS1_3gpuE5ELNS1_3repE0EEENS1_30default_config_static_selectorELNS0_4arch9wavefront6targetE0EEEvT1_,comdat
	.protected	_ZN7rocprim17ROCPRIM_400000_NS6detail17trampoline_kernelINS0_14default_configENS1_29reduce_by_key_config_selectorIjjN6thrust23THRUST_200600_302600_NS4plusIjEEEEZZNS1_33reduce_by_key_impl_wrapped_configILNS1_25lookback_scan_determinismE0ES3_S9_NS6_6detail15normal_iteratorINS6_10device_ptrIjEEEESG_SG_SG_PmS8_22is_equal_div_10_reduceIjEEE10hipError_tPvRmT2_T3_mT4_T5_T6_T7_T8_P12ihipStream_tbENKUlT_T0_E_clISt17integral_constantIbLb1EES10_IbLb0EEEEDaSW_SX_EUlSW_E_NS1_11comp_targetILNS1_3genE10ELNS1_11target_archE1201ELNS1_3gpuE5ELNS1_3repE0EEENS1_30default_config_static_selectorELNS0_4arch9wavefront6targetE0EEEvT1_ ; -- Begin function _ZN7rocprim17ROCPRIM_400000_NS6detail17trampoline_kernelINS0_14default_configENS1_29reduce_by_key_config_selectorIjjN6thrust23THRUST_200600_302600_NS4plusIjEEEEZZNS1_33reduce_by_key_impl_wrapped_configILNS1_25lookback_scan_determinismE0ES3_S9_NS6_6detail15normal_iteratorINS6_10device_ptrIjEEEESG_SG_SG_PmS8_22is_equal_div_10_reduceIjEEE10hipError_tPvRmT2_T3_mT4_T5_T6_T7_T8_P12ihipStream_tbENKUlT_T0_E_clISt17integral_constantIbLb1EES10_IbLb0EEEEDaSW_SX_EUlSW_E_NS1_11comp_targetILNS1_3genE10ELNS1_11target_archE1201ELNS1_3gpuE5ELNS1_3repE0EEENS1_30default_config_static_selectorELNS0_4arch9wavefront6targetE0EEEvT1_
	.globl	_ZN7rocprim17ROCPRIM_400000_NS6detail17trampoline_kernelINS0_14default_configENS1_29reduce_by_key_config_selectorIjjN6thrust23THRUST_200600_302600_NS4plusIjEEEEZZNS1_33reduce_by_key_impl_wrapped_configILNS1_25lookback_scan_determinismE0ES3_S9_NS6_6detail15normal_iteratorINS6_10device_ptrIjEEEESG_SG_SG_PmS8_22is_equal_div_10_reduceIjEEE10hipError_tPvRmT2_T3_mT4_T5_T6_T7_T8_P12ihipStream_tbENKUlT_T0_E_clISt17integral_constantIbLb1EES10_IbLb0EEEEDaSW_SX_EUlSW_E_NS1_11comp_targetILNS1_3genE10ELNS1_11target_archE1201ELNS1_3gpuE5ELNS1_3repE0EEENS1_30default_config_static_selectorELNS0_4arch9wavefront6targetE0EEEvT1_
	.p2align	8
	.type	_ZN7rocprim17ROCPRIM_400000_NS6detail17trampoline_kernelINS0_14default_configENS1_29reduce_by_key_config_selectorIjjN6thrust23THRUST_200600_302600_NS4plusIjEEEEZZNS1_33reduce_by_key_impl_wrapped_configILNS1_25lookback_scan_determinismE0ES3_S9_NS6_6detail15normal_iteratorINS6_10device_ptrIjEEEESG_SG_SG_PmS8_22is_equal_div_10_reduceIjEEE10hipError_tPvRmT2_T3_mT4_T5_T6_T7_T8_P12ihipStream_tbENKUlT_T0_E_clISt17integral_constantIbLb1EES10_IbLb0EEEEDaSW_SX_EUlSW_E_NS1_11comp_targetILNS1_3genE10ELNS1_11target_archE1201ELNS1_3gpuE5ELNS1_3repE0EEENS1_30default_config_static_selectorELNS0_4arch9wavefront6targetE0EEEvT1_,@function
_ZN7rocprim17ROCPRIM_400000_NS6detail17trampoline_kernelINS0_14default_configENS1_29reduce_by_key_config_selectorIjjN6thrust23THRUST_200600_302600_NS4plusIjEEEEZZNS1_33reduce_by_key_impl_wrapped_configILNS1_25lookback_scan_determinismE0ES3_S9_NS6_6detail15normal_iteratorINS6_10device_ptrIjEEEESG_SG_SG_PmS8_22is_equal_div_10_reduceIjEEE10hipError_tPvRmT2_T3_mT4_T5_T6_T7_T8_P12ihipStream_tbENKUlT_T0_E_clISt17integral_constantIbLb1EES10_IbLb0EEEEDaSW_SX_EUlSW_E_NS1_11comp_targetILNS1_3genE10ELNS1_11target_archE1201ELNS1_3gpuE5ELNS1_3repE0EEENS1_30default_config_static_selectorELNS0_4arch9wavefront6targetE0EEEvT1_: ; @_ZN7rocprim17ROCPRIM_400000_NS6detail17trampoline_kernelINS0_14default_configENS1_29reduce_by_key_config_selectorIjjN6thrust23THRUST_200600_302600_NS4plusIjEEEEZZNS1_33reduce_by_key_impl_wrapped_configILNS1_25lookback_scan_determinismE0ES3_S9_NS6_6detail15normal_iteratorINS6_10device_ptrIjEEEESG_SG_SG_PmS8_22is_equal_div_10_reduceIjEEE10hipError_tPvRmT2_T3_mT4_T5_T6_T7_T8_P12ihipStream_tbENKUlT_T0_E_clISt17integral_constantIbLb1EES10_IbLb0EEEEDaSW_SX_EUlSW_E_NS1_11comp_targetILNS1_3genE10ELNS1_11target_archE1201ELNS1_3gpuE5ELNS1_3repE0EEENS1_30default_config_static_selectorELNS0_4arch9wavefront6targetE0EEEvT1_
; %bb.0:
	.section	.rodata,"a",@progbits
	.p2align	6, 0x0
	.amdhsa_kernel _ZN7rocprim17ROCPRIM_400000_NS6detail17trampoline_kernelINS0_14default_configENS1_29reduce_by_key_config_selectorIjjN6thrust23THRUST_200600_302600_NS4plusIjEEEEZZNS1_33reduce_by_key_impl_wrapped_configILNS1_25lookback_scan_determinismE0ES3_S9_NS6_6detail15normal_iteratorINS6_10device_ptrIjEEEESG_SG_SG_PmS8_22is_equal_div_10_reduceIjEEE10hipError_tPvRmT2_T3_mT4_T5_T6_T7_T8_P12ihipStream_tbENKUlT_T0_E_clISt17integral_constantIbLb1EES10_IbLb0EEEEDaSW_SX_EUlSW_E_NS1_11comp_targetILNS1_3genE10ELNS1_11target_archE1201ELNS1_3gpuE5ELNS1_3repE0EEENS1_30default_config_static_selectorELNS0_4arch9wavefront6targetE0EEEvT1_
		.amdhsa_group_segment_fixed_size 0
		.amdhsa_private_segment_fixed_size 0
		.amdhsa_kernarg_size 120
		.amdhsa_user_sgpr_count 15
		.amdhsa_user_sgpr_dispatch_ptr 0
		.amdhsa_user_sgpr_queue_ptr 0
		.amdhsa_user_sgpr_kernarg_segment_ptr 1
		.amdhsa_user_sgpr_dispatch_id 0
		.amdhsa_user_sgpr_private_segment_size 0
		.amdhsa_wavefront_size32 1
		.amdhsa_uses_dynamic_stack 0
		.amdhsa_enable_private_segment 0
		.amdhsa_system_sgpr_workgroup_id_x 1
		.amdhsa_system_sgpr_workgroup_id_y 0
		.amdhsa_system_sgpr_workgroup_id_z 0
		.amdhsa_system_sgpr_workgroup_info 0
		.amdhsa_system_vgpr_workitem_id 0
		.amdhsa_next_free_vgpr 1
		.amdhsa_next_free_sgpr 1
		.amdhsa_reserve_vcc 0
		.amdhsa_float_round_mode_32 0
		.amdhsa_float_round_mode_16_64 0
		.amdhsa_float_denorm_mode_32 3
		.amdhsa_float_denorm_mode_16_64 3
		.amdhsa_dx10_clamp 1
		.amdhsa_ieee_mode 1
		.amdhsa_fp16_overflow 0
		.amdhsa_workgroup_processor_mode 1
		.amdhsa_memory_ordered 1
		.amdhsa_forward_progress 0
		.amdhsa_shared_vgpr_count 0
		.amdhsa_exception_fp_ieee_invalid_op 0
		.amdhsa_exception_fp_denorm_src 0
		.amdhsa_exception_fp_ieee_div_zero 0
		.amdhsa_exception_fp_ieee_overflow 0
		.amdhsa_exception_fp_ieee_underflow 0
		.amdhsa_exception_fp_ieee_inexact 0
		.amdhsa_exception_int_div_zero 0
	.end_amdhsa_kernel
	.section	.text._ZN7rocprim17ROCPRIM_400000_NS6detail17trampoline_kernelINS0_14default_configENS1_29reduce_by_key_config_selectorIjjN6thrust23THRUST_200600_302600_NS4plusIjEEEEZZNS1_33reduce_by_key_impl_wrapped_configILNS1_25lookback_scan_determinismE0ES3_S9_NS6_6detail15normal_iteratorINS6_10device_ptrIjEEEESG_SG_SG_PmS8_22is_equal_div_10_reduceIjEEE10hipError_tPvRmT2_T3_mT4_T5_T6_T7_T8_P12ihipStream_tbENKUlT_T0_E_clISt17integral_constantIbLb1EES10_IbLb0EEEEDaSW_SX_EUlSW_E_NS1_11comp_targetILNS1_3genE10ELNS1_11target_archE1201ELNS1_3gpuE5ELNS1_3repE0EEENS1_30default_config_static_selectorELNS0_4arch9wavefront6targetE0EEEvT1_,"axG",@progbits,_ZN7rocprim17ROCPRIM_400000_NS6detail17trampoline_kernelINS0_14default_configENS1_29reduce_by_key_config_selectorIjjN6thrust23THRUST_200600_302600_NS4plusIjEEEEZZNS1_33reduce_by_key_impl_wrapped_configILNS1_25lookback_scan_determinismE0ES3_S9_NS6_6detail15normal_iteratorINS6_10device_ptrIjEEEESG_SG_SG_PmS8_22is_equal_div_10_reduceIjEEE10hipError_tPvRmT2_T3_mT4_T5_T6_T7_T8_P12ihipStream_tbENKUlT_T0_E_clISt17integral_constantIbLb1EES10_IbLb0EEEEDaSW_SX_EUlSW_E_NS1_11comp_targetILNS1_3genE10ELNS1_11target_archE1201ELNS1_3gpuE5ELNS1_3repE0EEENS1_30default_config_static_selectorELNS0_4arch9wavefront6targetE0EEEvT1_,comdat
.Lfunc_end377:
	.size	_ZN7rocprim17ROCPRIM_400000_NS6detail17trampoline_kernelINS0_14default_configENS1_29reduce_by_key_config_selectorIjjN6thrust23THRUST_200600_302600_NS4plusIjEEEEZZNS1_33reduce_by_key_impl_wrapped_configILNS1_25lookback_scan_determinismE0ES3_S9_NS6_6detail15normal_iteratorINS6_10device_ptrIjEEEESG_SG_SG_PmS8_22is_equal_div_10_reduceIjEEE10hipError_tPvRmT2_T3_mT4_T5_T6_T7_T8_P12ihipStream_tbENKUlT_T0_E_clISt17integral_constantIbLb1EES10_IbLb0EEEEDaSW_SX_EUlSW_E_NS1_11comp_targetILNS1_3genE10ELNS1_11target_archE1201ELNS1_3gpuE5ELNS1_3repE0EEENS1_30default_config_static_selectorELNS0_4arch9wavefront6targetE0EEEvT1_, .Lfunc_end377-_ZN7rocprim17ROCPRIM_400000_NS6detail17trampoline_kernelINS0_14default_configENS1_29reduce_by_key_config_selectorIjjN6thrust23THRUST_200600_302600_NS4plusIjEEEEZZNS1_33reduce_by_key_impl_wrapped_configILNS1_25lookback_scan_determinismE0ES3_S9_NS6_6detail15normal_iteratorINS6_10device_ptrIjEEEESG_SG_SG_PmS8_22is_equal_div_10_reduceIjEEE10hipError_tPvRmT2_T3_mT4_T5_T6_T7_T8_P12ihipStream_tbENKUlT_T0_E_clISt17integral_constantIbLb1EES10_IbLb0EEEEDaSW_SX_EUlSW_E_NS1_11comp_targetILNS1_3genE10ELNS1_11target_archE1201ELNS1_3gpuE5ELNS1_3repE0EEENS1_30default_config_static_selectorELNS0_4arch9wavefront6targetE0EEEvT1_
                                        ; -- End function
	.section	.AMDGPU.csdata,"",@progbits
; Kernel info:
; codeLenInByte = 0
; NumSgprs: 0
; NumVgprs: 0
; ScratchSize: 0
; MemoryBound: 0
; FloatMode: 240
; IeeeMode: 1
; LDSByteSize: 0 bytes/workgroup (compile time only)
; SGPRBlocks: 0
; VGPRBlocks: 0
; NumSGPRsForWavesPerEU: 1
; NumVGPRsForWavesPerEU: 1
; Occupancy: 16
; WaveLimiterHint : 0
; COMPUTE_PGM_RSRC2:SCRATCH_EN: 0
; COMPUTE_PGM_RSRC2:USER_SGPR: 15
; COMPUTE_PGM_RSRC2:TRAP_HANDLER: 0
; COMPUTE_PGM_RSRC2:TGID_X_EN: 1
; COMPUTE_PGM_RSRC2:TGID_Y_EN: 0
; COMPUTE_PGM_RSRC2:TGID_Z_EN: 0
; COMPUTE_PGM_RSRC2:TIDIG_COMP_CNT: 0
	.section	.text._ZN7rocprim17ROCPRIM_400000_NS6detail17trampoline_kernelINS0_14default_configENS1_29reduce_by_key_config_selectorIjjN6thrust23THRUST_200600_302600_NS4plusIjEEEEZZNS1_33reduce_by_key_impl_wrapped_configILNS1_25lookback_scan_determinismE0ES3_S9_NS6_6detail15normal_iteratorINS6_10device_ptrIjEEEESG_SG_SG_PmS8_22is_equal_div_10_reduceIjEEE10hipError_tPvRmT2_T3_mT4_T5_T6_T7_T8_P12ihipStream_tbENKUlT_T0_E_clISt17integral_constantIbLb1EES10_IbLb0EEEEDaSW_SX_EUlSW_E_NS1_11comp_targetILNS1_3genE10ELNS1_11target_archE1200ELNS1_3gpuE4ELNS1_3repE0EEENS1_30default_config_static_selectorELNS0_4arch9wavefront6targetE0EEEvT1_,"axG",@progbits,_ZN7rocprim17ROCPRIM_400000_NS6detail17trampoline_kernelINS0_14default_configENS1_29reduce_by_key_config_selectorIjjN6thrust23THRUST_200600_302600_NS4plusIjEEEEZZNS1_33reduce_by_key_impl_wrapped_configILNS1_25lookback_scan_determinismE0ES3_S9_NS6_6detail15normal_iteratorINS6_10device_ptrIjEEEESG_SG_SG_PmS8_22is_equal_div_10_reduceIjEEE10hipError_tPvRmT2_T3_mT4_T5_T6_T7_T8_P12ihipStream_tbENKUlT_T0_E_clISt17integral_constantIbLb1EES10_IbLb0EEEEDaSW_SX_EUlSW_E_NS1_11comp_targetILNS1_3genE10ELNS1_11target_archE1200ELNS1_3gpuE4ELNS1_3repE0EEENS1_30default_config_static_selectorELNS0_4arch9wavefront6targetE0EEEvT1_,comdat
	.protected	_ZN7rocprim17ROCPRIM_400000_NS6detail17trampoline_kernelINS0_14default_configENS1_29reduce_by_key_config_selectorIjjN6thrust23THRUST_200600_302600_NS4plusIjEEEEZZNS1_33reduce_by_key_impl_wrapped_configILNS1_25lookback_scan_determinismE0ES3_S9_NS6_6detail15normal_iteratorINS6_10device_ptrIjEEEESG_SG_SG_PmS8_22is_equal_div_10_reduceIjEEE10hipError_tPvRmT2_T3_mT4_T5_T6_T7_T8_P12ihipStream_tbENKUlT_T0_E_clISt17integral_constantIbLb1EES10_IbLb0EEEEDaSW_SX_EUlSW_E_NS1_11comp_targetILNS1_3genE10ELNS1_11target_archE1200ELNS1_3gpuE4ELNS1_3repE0EEENS1_30default_config_static_selectorELNS0_4arch9wavefront6targetE0EEEvT1_ ; -- Begin function _ZN7rocprim17ROCPRIM_400000_NS6detail17trampoline_kernelINS0_14default_configENS1_29reduce_by_key_config_selectorIjjN6thrust23THRUST_200600_302600_NS4plusIjEEEEZZNS1_33reduce_by_key_impl_wrapped_configILNS1_25lookback_scan_determinismE0ES3_S9_NS6_6detail15normal_iteratorINS6_10device_ptrIjEEEESG_SG_SG_PmS8_22is_equal_div_10_reduceIjEEE10hipError_tPvRmT2_T3_mT4_T5_T6_T7_T8_P12ihipStream_tbENKUlT_T0_E_clISt17integral_constantIbLb1EES10_IbLb0EEEEDaSW_SX_EUlSW_E_NS1_11comp_targetILNS1_3genE10ELNS1_11target_archE1200ELNS1_3gpuE4ELNS1_3repE0EEENS1_30default_config_static_selectorELNS0_4arch9wavefront6targetE0EEEvT1_
	.globl	_ZN7rocprim17ROCPRIM_400000_NS6detail17trampoline_kernelINS0_14default_configENS1_29reduce_by_key_config_selectorIjjN6thrust23THRUST_200600_302600_NS4plusIjEEEEZZNS1_33reduce_by_key_impl_wrapped_configILNS1_25lookback_scan_determinismE0ES3_S9_NS6_6detail15normal_iteratorINS6_10device_ptrIjEEEESG_SG_SG_PmS8_22is_equal_div_10_reduceIjEEE10hipError_tPvRmT2_T3_mT4_T5_T6_T7_T8_P12ihipStream_tbENKUlT_T0_E_clISt17integral_constantIbLb1EES10_IbLb0EEEEDaSW_SX_EUlSW_E_NS1_11comp_targetILNS1_3genE10ELNS1_11target_archE1200ELNS1_3gpuE4ELNS1_3repE0EEENS1_30default_config_static_selectorELNS0_4arch9wavefront6targetE0EEEvT1_
	.p2align	8
	.type	_ZN7rocprim17ROCPRIM_400000_NS6detail17trampoline_kernelINS0_14default_configENS1_29reduce_by_key_config_selectorIjjN6thrust23THRUST_200600_302600_NS4plusIjEEEEZZNS1_33reduce_by_key_impl_wrapped_configILNS1_25lookback_scan_determinismE0ES3_S9_NS6_6detail15normal_iteratorINS6_10device_ptrIjEEEESG_SG_SG_PmS8_22is_equal_div_10_reduceIjEEE10hipError_tPvRmT2_T3_mT4_T5_T6_T7_T8_P12ihipStream_tbENKUlT_T0_E_clISt17integral_constantIbLb1EES10_IbLb0EEEEDaSW_SX_EUlSW_E_NS1_11comp_targetILNS1_3genE10ELNS1_11target_archE1200ELNS1_3gpuE4ELNS1_3repE0EEENS1_30default_config_static_selectorELNS0_4arch9wavefront6targetE0EEEvT1_,@function
_ZN7rocprim17ROCPRIM_400000_NS6detail17trampoline_kernelINS0_14default_configENS1_29reduce_by_key_config_selectorIjjN6thrust23THRUST_200600_302600_NS4plusIjEEEEZZNS1_33reduce_by_key_impl_wrapped_configILNS1_25lookback_scan_determinismE0ES3_S9_NS6_6detail15normal_iteratorINS6_10device_ptrIjEEEESG_SG_SG_PmS8_22is_equal_div_10_reduceIjEEE10hipError_tPvRmT2_T3_mT4_T5_T6_T7_T8_P12ihipStream_tbENKUlT_T0_E_clISt17integral_constantIbLb1EES10_IbLb0EEEEDaSW_SX_EUlSW_E_NS1_11comp_targetILNS1_3genE10ELNS1_11target_archE1200ELNS1_3gpuE4ELNS1_3repE0EEENS1_30default_config_static_selectorELNS0_4arch9wavefront6targetE0EEEvT1_: ; @_ZN7rocprim17ROCPRIM_400000_NS6detail17trampoline_kernelINS0_14default_configENS1_29reduce_by_key_config_selectorIjjN6thrust23THRUST_200600_302600_NS4plusIjEEEEZZNS1_33reduce_by_key_impl_wrapped_configILNS1_25lookback_scan_determinismE0ES3_S9_NS6_6detail15normal_iteratorINS6_10device_ptrIjEEEESG_SG_SG_PmS8_22is_equal_div_10_reduceIjEEE10hipError_tPvRmT2_T3_mT4_T5_T6_T7_T8_P12ihipStream_tbENKUlT_T0_E_clISt17integral_constantIbLb1EES10_IbLb0EEEEDaSW_SX_EUlSW_E_NS1_11comp_targetILNS1_3genE10ELNS1_11target_archE1200ELNS1_3gpuE4ELNS1_3repE0EEENS1_30default_config_static_selectorELNS0_4arch9wavefront6targetE0EEEvT1_
; %bb.0:
	.section	.rodata,"a",@progbits
	.p2align	6, 0x0
	.amdhsa_kernel _ZN7rocprim17ROCPRIM_400000_NS6detail17trampoline_kernelINS0_14default_configENS1_29reduce_by_key_config_selectorIjjN6thrust23THRUST_200600_302600_NS4plusIjEEEEZZNS1_33reduce_by_key_impl_wrapped_configILNS1_25lookback_scan_determinismE0ES3_S9_NS6_6detail15normal_iteratorINS6_10device_ptrIjEEEESG_SG_SG_PmS8_22is_equal_div_10_reduceIjEEE10hipError_tPvRmT2_T3_mT4_T5_T6_T7_T8_P12ihipStream_tbENKUlT_T0_E_clISt17integral_constantIbLb1EES10_IbLb0EEEEDaSW_SX_EUlSW_E_NS1_11comp_targetILNS1_3genE10ELNS1_11target_archE1200ELNS1_3gpuE4ELNS1_3repE0EEENS1_30default_config_static_selectorELNS0_4arch9wavefront6targetE0EEEvT1_
		.amdhsa_group_segment_fixed_size 0
		.amdhsa_private_segment_fixed_size 0
		.amdhsa_kernarg_size 120
		.amdhsa_user_sgpr_count 15
		.amdhsa_user_sgpr_dispatch_ptr 0
		.amdhsa_user_sgpr_queue_ptr 0
		.amdhsa_user_sgpr_kernarg_segment_ptr 1
		.amdhsa_user_sgpr_dispatch_id 0
		.amdhsa_user_sgpr_private_segment_size 0
		.amdhsa_wavefront_size32 1
		.amdhsa_uses_dynamic_stack 0
		.amdhsa_enable_private_segment 0
		.amdhsa_system_sgpr_workgroup_id_x 1
		.amdhsa_system_sgpr_workgroup_id_y 0
		.amdhsa_system_sgpr_workgroup_id_z 0
		.amdhsa_system_sgpr_workgroup_info 0
		.amdhsa_system_vgpr_workitem_id 0
		.amdhsa_next_free_vgpr 1
		.amdhsa_next_free_sgpr 1
		.amdhsa_reserve_vcc 0
		.amdhsa_float_round_mode_32 0
		.amdhsa_float_round_mode_16_64 0
		.amdhsa_float_denorm_mode_32 3
		.amdhsa_float_denorm_mode_16_64 3
		.amdhsa_dx10_clamp 1
		.amdhsa_ieee_mode 1
		.amdhsa_fp16_overflow 0
		.amdhsa_workgroup_processor_mode 1
		.amdhsa_memory_ordered 1
		.amdhsa_forward_progress 0
		.amdhsa_shared_vgpr_count 0
		.amdhsa_exception_fp_ieee_invalid_op 0
		.amdhsa_exception_fp_denorm_src 0
		.amdhsa_exception_fp_ieee_div_zero 0
		.amdhsa_exception_fp_ieee_overflow 0
		.amdhsa_exception_fp_ieee_underflow 0
		.amdhsa_exception_fp_ieee_inexact 0
		.amdhsa_exception_int_div_zero 0
	.end_amdhsa_kernel
	.section	.text._ZN7rocprim17ROCPRIM_400000_NS6detail17trampoline_kernelINS0_14default_configENS1_29reduce_by_key_config_selectorIjjN6thrust23THRUST_200600_302600_NS4plusIjEEEEZZNS1_33reduce_by_key_impl_wrapped_configILNS1_25lookback_scan_determinismE0ES3_S9_NS6_6detail15normal_iteratorINS6_10device_ptrIjEEEESG_SG_SG_PmS8_22is_equal_div_10_reduceIjEEE10hipError_tPvRmT2_T3_mT4_T5_T6_T7_T8_P12ihipStream_tbENKUlT_T0_E_clISt17integral_constantIbLb1EES10_IbLb0EEEEDaSW_SX_EUlSW_E_NS1_11comp_targetILNS1_3genE10ELNS1_11target_archE1200ELNS1_3gpuE4ELNS1_3repE0EEENS1_30default_config_static_selectorELNS0_4arch9wavefront6targetE0EEEvT1_,"axG",@progbits,_ZN7rocprim17ROCPRIM_400000_NS6detail17trampoline_kernelINS0_14default_configENS1_29reduce_by_key_config_selectorIjjN6thrust23THRUST_200600_302600_NS4plusIjEEEEZZNS1_33reduce_by_key_impl_wrapped_configILNS1_25lookback_scan_determinismE0ES3_S9_NS6_6detail15normal_iteratorINS6_10device_ptrIjEEEESG_SG_SG_PmS8_22is_equal_div_10_reduceIjEEE10hipError_tPvRmT2_T3_mT4_T5_T6_T7_T8_P12ihipStream_tbENKUlT_T0_E_clISt17integral_constantIbLb1EES10_IbLb0EEEEDaSW_SX_EUlSW_E_NS1_11comp_targetILNS1_3genE10ELNS1_11target_archE1200ELNS1_3gpuE4ELNS1_3repE0EEENS1_30default_config_static_selectorELNS0_4arch9wavefront6targetE0EEEvT1_,comdat
.Lfunc_end378:
	.size	_ZN7rocprim17ROCPRIM_400000_NS6detail17trampoline_kernelINS0_14default_configENS1_29reduce_by_key_config_selectorIjjN6thrust23THRUST_200600_302600_NS4plusIjEEEEZZNS1_33reduce_by_key_impl_wrapped_configILNS1_25lookback_scan_determinismE0ES3_S9_NS6_6detail15normal_iteratorINS6_10device_ptrIjEEEESG_SG_SG_PmS8_22is_equal_div_10_reduceIjEEE10hipError_tPvRmT2_T3_mT4_T5_T6_T7_T8_P12ihipStream_tbENKUlT_T0_E_clISt17integral_constantIbLb1EES10_IbLb0EEEEDaSW_SX_EUlSW_E_NS1_11comp_targetILNS1_3genE10ELNS1_11target_archE1200ELNS1_3gpuE4ELNS1_3repE0EEENS1_30default_config_static_selectorELNS0_4arch9wavefront6targetE0EEEvT1_, .Lfunc_end378-_ZN7rocprim17ROCPRIM_400000_NS6detail17trampoline_kernelINS0_14default_configENS1_29reduce_by_key_config_selectorIjjN6thrust23THRUST_200600_302600_NS4plusIjEEEEZZNS1_33reduce_by_key_impl_wrapped_configILNS1_25lookback_scan_determinismE0ES3_S9_NS6_6detail15normal_iteratorINS6_10device_ptrIjEEEESG_SG_SG_PmS8_22is_equal_div_10_reduceIjEEE10hipError_tPvRmT2_T3_mT4_T5_T6_T7_T8_P12ihipStream_tbENKUlT_T0_E_clISt17integral_constantIbLb1EES10_IbLb0EEEEDaSW_SX_EUlSW_E_NS1_11comp_targetILNS1_3genE10ELNS1_11target_archE1200ELNS1_3gpuE4ELNS1_3repE0EEENS1_30default_config_static_selectorELNS0_4arch9wavefront6targetE0EEEvT1_
                                        ; -- End function
	.section	.AMDGPU.csdata,"",@progbits
; Kernel info:
; codeLenInByte = 0
; NumSgprs: 0
; NumVgprs: 0
; ScratchSize: 0
; MemoryBound: 0
; FloatMode: 240
; IeeeMode: 1
; LDSByteSize: 0 bytes/workgroup (compile time only)
; SGPRBlocks: 0
; VGPRBlocks: 0
; NumSGPRsForWavesPerEU: 1
; NumVGPRsForWavesPerEU: 1
; Occupancy: 16
; WaveLimiterHint : 0
; COMPUTE_PGM_RSRC2:SCRATCH_EN: 0
; COMPUTE_PGM_RSRC2:USER_SGPR: 15
; COMPUTE_PGM_RSRC2:TRAP_HANDLER: 0
; COMPUTE_PGM_RSRC2:TGID_X_EN: 1
; COMPUTE_PGM_RSRC2:TGID_Y_EN: 0
; COMPUTE_PGM_RSRC2:TGID_Z_EN: 0
; COMPUTE_PGM_RSRC2:TIDIG_COMP_CNT: 0
	.section	.text._ZN7rocprim17ROCPRIM_400000_NS6detail17trampoline_kernelINS0_14default_configENS1_29reduce_by_key_config_selectorIjjN6thrust23THRUST_200600_302600_NS4plusIjEEEEZZNS1_33reduce_by_key_impl_wrapped_configILNS1_25lookback_scan_determinismE0ES3_S9_NS6_6detail15normal_iteratorINS6_10device_ptrIjEEEESG_SG_SG_PmS8_22is_equal_div_10_reduceIjEEE10hipError_tPvRmT2_T3_mT4_T5_T6_T7_T8_P12ihipStream_tbENKUlT_T0_E_clISt17integral_constantIbLb1EES10_IbLb0EEEEDaSW_SX_EUlSW_E_NS1_11comp_targetILNS1_3genE9ELNS1_11target_archE1100ELNS1_3gpuE3ELNS1_3repE0EEENS1_30default_config_static_selectorELNS0_4arch9wavefront6targetE0EEEvT1_,"axG",@progbits,_ZN7rocprim17ROCPRIM_400000_NS6detail17trampoline_kernelINS0_14default_configENS1_29reduce_by_key_config_selectorIjjN6thrust23THRUST_200600_302600_NS4plusIjEEEEZZNS1_33reduce_by_key_impl_wrapped_configILNS1_25lookback_scan_determinismE0ES3_S9_NS6_6detail15normal_iteratorINS6_10device_ptrIjEEEESG_SG_SG_PmS8_22is_equal_div_10_reduceIjEEE10hipError_tPvRmT2_T3_mT4_T5_T6_T7_T8_P12ihipStream_tbENKUlT_T0_E_clISt17integral_constantIbLb1EES10_IbLb0EEEEDaSW_SX_EUlSW_E_NS1_11comp_targetILNS1_3genE9ELNS1_11target_archE1100ELNS1_3gpuE3ELNS1_3repE0EEENS1_30default_config_static_selectorELNS0_4arch9wavefront6targetE0EEEvT1_,comdat
	.protected	_ZN7rocprim17ROCPRIM_400000_NS6detail17trampoline_kernelINS0_14default_configENS1_29reduce_by_key_config_selectorIjjN6thrust23THRUST_200600_302600_NS4plusIjEEEEZZNS1_33reduce_by_key_impl_wrapped_configILNS1_25lookback_scan_determinismE0ES3_S9_NS6_6detail15normal_iteratorINS6_10device_ptrIjEEEESG_SG_SG_PmS8_22is_equal_div_10_reduceIjEEE10hipError_tPvRmT2_T3_mT4_T5_T6_T7_T8_P12ihipStream_tbENKUlT_T0_E_clISt17integral_constantIbLb1EES10_IbLb0EEEEDaSW_SX_EUlSW_E_NS1_11comp_targetILNS1_3genE9ELNS1_11target_archE1100ELNS1_3gpuE3ELNS1_3repE0EEENS1_30default_config_static_selectorELNS0_4arch9wavefront6targetE0EEEvT1_ ; -- Begin function _ZN7rocprim17ROCPRIM_400000_NS6detail17trampoline_kernelINS0_14default_configENS1_29reduce_by_key_config_selectorIjjN6thrust23THRUST_200600_302600_NS4plusIjEEEEZZNS1_33reduce_by_key_impl_wrapped_configILNS1_25lookback_scan_determinismE0ES3_S9_NS6_6detail15normal_iteratorINS6_10device_ptrIjEEEESG_SG_SG_PmS8_22is_equal_div_10_reduceIjEEE10hipError_tPvRmT2_T3_mT4_T5_T6_T7_T8_P12ihipStream_tbENKUlT_T0_E_clISt17integral_constantIbLb1EES10_IbLb0EEEEDaSW_SX_EUlSW_E_NS1_11comp_targetILNS1_3genE9ELNS1_11target_archE1100ELNS1_3gpuE3ELNS1_3repE0EEENS1_30default_config_static_selectorELNS0_4arch9wavefront6targetE0EEEvT1_
	.globl	_ZN7rocprim17ROCPRIM_400000_NS6detail17trampoline_kernelINS0_14default_configENS1_29reduce_by_key_config_selectorIjjN6thrust23THRUST_200600_302600_NS4plusIjEEEEZZNS1_33reduce_by_key_impl_wrapped_configILNS1_25lookback_scan_determinismE0ES3_S9_NS6_6detail15normal_iteratorINS6_10device_ptrIjEEEESG_SG_SG_PmS8_22is_equal_div_10_reduceIjEEE10hipError_tPvRmT2_T3_mT4_T5_T6_T7_T8_P12ihipStream_tbENKUlT_T0_E_clISt17integral_constantIbLb1EES10_IbLb0EEEEDaSW_SX_EUlSW_E_NS1_11comp_targetILNS1_3genE9ELNS1_11target_archE1100ELNS1_3gpuE3ELNS1_3repE0EEENS1_30default_config_static_selectorELNS0_4arch9wavefront6targetE0EEEvT1_
	.p2align	8
	.type	_ZN7rocprim17ROCPRIM_400000_NS6detail17trampoline_kernelINS0_14default_configENS1_29reduce_by_key_config_selectorIjjN6thrust23THRUST_200600_302600_NS4plusIjEEEEZZNS1_33reduce_by_key_impl_wrapped_configILNS1_25lookback_scan_determinismE0ES3_S9_NS6_6detail15normal_iteratorINS6_10device_ptrIjEEEESG_SG_SG_PmS8_22is_equal_div_10_reduceIjEEE10hipError_tPvRmT2_T3_mT4_T5_T6_T7_T8_P12ihipStream_tbENKUlT_T0_E_clISt17integral_constantIbLb1EES10_IbLb0EEEEDaSW_SX_EUlSW_E_NS1_11comp_targetILNS1_3genE9ELNS1_11target_archE1100ELNS1_3gpuE3ELNS1_3repE0EEENS1_30default_config_static_selectorELNS0_4arch9wavefront6targetE0EEEvT1_,@function
_ZN7rocprim17ROCPRIM_400000_NS6detail17trampoline_kernelINS0_14default_configENS1_29reduce_by_key_config_selectorIjjN6thrust23THRUST_200600_302600_NS4plusIjEEEEZZNS1_33reduce_by_key_impl_wrapped_configILNS1_25lookback_scan_determinismE0ES3_S9_NS6_6detail15normal_iteratorINS6_10device_ptrIjEEEESG_SG_SG_PmS8_22is_equal_div_10_reduceIjEEE10hipError_tPvRmT2_T3_mT4_T5_T6_T7_T8_P12ihipStream_tbENKUlT_T0_E_clISt17integral_constantIbLb1EES10_IbLb0EEEEDaSW_SX_EUlSW_E_NS1_11comp_targetILNS1_3genE9ELNS1_11target_archE1100ELNS1_3gpuE3ELNS1_3repE0EEENS1_30default_config_static_selectorELNS0_4arch9wavefront6targetE0EEEvT1_: ; @_ZN7rocprim17ROCPRIM_400000_NS6detail17trampoline_kernelINS0_14default_configENS1_29reduce_by_key_config_selectorIjjN6thrust23THRUST_200600_302600_NS4plusIjEEEEZZNS1_33reduce_by_key_impl_wrapped_configILNS1_25lookback_scan_determinismE0ES3_S9_NS6_6detail15normal_iteratorINS6_10device_ptrIjEEEESG_SG_SG_PmS8_22is_equal_div_10_reduceIjEEE10hipError_tPvRmT2_T3_mT4_T5_T6_T7_T8_P12ihipStream_tbENKUlT_T0_E_clISt17integral_constantIbLb1EES10_IbLb0EEEEDaSW_SX_EUlSW_E_NS1_11comp_targetILNS1_3genE9ELNS1_11target_archE1100ELNS1_3gpuE3ELNS1_3repE0EEENS1_30default_config_static_selectorELNS0_4arch9wavefront6targetE0EEEvT1_
; %bb.0:
	s_clause 0x4
	s_load_b256 s[16:23], s[0:1], 0x0
	s_load_b256 s[24:31], s[0:1], 0x38
	s_load_b128 s[36:39], s[0:1], 0x20
	s_load_b64 s[34:35], s[0:1], 0x68
	s_load_b128 s[40:43], s[0:1], 0x58
	s_mov_b32 s3, 0
	s_mul_i32 s2, s15, 0xf00
	s_waitcnt lgkmcnt(0)
	s_lshl_b64 s[0:1], s[18:19], 2
	s_mul_i32 s4, s28, s27
	s_add_u32 s8, s16, s0
	s_mul_hi_u32 s5, s28, s26
	s_addc_u32 s9, s17, s1
	s_add_u32 s10, s20, s0
	s_mul_i32 s6, s29, s26
	s_addc_u32 s11, s21, s1
	s_add_i32 s4, s5, s4
	s_lshl_b64 s[0:1], s[2:3], 2
	s_add_i32 s4, s4, s6
	s_add_u32 s14, s8, s0
	s_addc_u32 s21, s9, s1
	s_mul_i32 s7, s28, s26
	s_add_u32 s20, s10, s0
	s_addc_u32 s29, s11, s1
	s_add_u32 s16, s7, s15
	s_addc_u32 s17, s4, 0
	s_add_u32 s0, s30, -1
	s_addc_u32 s1, s31, -1
	s_mul_i32 s19, s0, 0xfffff100
	s_cmp_eq_u64 s[16:17], s[0:1]
	s_cselect_b32 s18, -1, 0
	s_cmp_lg_u64 s[16:17], s[0:1]
	s_cselect_b32 s28, -1, 0
	s_and_b32 vcc_lo, exec_lo, s18
	s_cbranch_vccnz .LBB379_2
; %bb.1:
	v_lshlrev_b32_e32 v8, 2, v0
	s_delay_alu instid0(VALU_DEP_1) | instskip(NEXT) | instid1(VALU_DEP_1)
	v_add_co_u32 v1, s0, s14, v8
	v_add_co_ci_u32_e64 v2, null, s21, 0, s0
	s_delay_alu instid0(VALU_DEP_2) | instskip(NEXT) | instid1(VALU_DEP_2)
	v_add_co_u32 v3, vcc_lo, 0x1000, v1
	v_add_co_ci_u32_e32 v4, vcc_lo, 0, v2, vcc_lo
	s_clause 0x7
	flat_load_b32 v9, v[1:2]
	flat_load_b32 v10, v[1:2] offset:1024
	flat_load_b32 v11, v[1:2] offset:2048
	flat_load_b32 v12, v[1:2] offset:3072
	flat_load_b32 v13, v[3:4]
	flat_load_b32 v14, v[3:4] offset:1024
	flat_load_b32 v15, v[3:4] offset:2048
	;; [unrolled: 1-line block ×3, first 2 shown]
	v_add_co_u32 v3, vcc_lo, 0x2000, v1
	v_add_co_ci_u32_e32 v4, vcc_lo, 0, v2, vcc_lo
	v_add_co_u32 v1, vcc_lo, 0x3000, v1
	v_add_co_ci_u32_e32 v2, vcc_lo, 0, v2, vcc_lo
	s_clause 0x6
	flat_load_b32 v17, v[3:4]
	flat_load_b32 v18, v[3:4] offset:1024
	flat_load_b32 v19, v[3:4] offset:2048
	;; [unrolled: 1-line block ×3, first 2 shown]
	flat_load_b32 v21, v[1:2]
	flat_load_b32 v22, v[1:2] offset:1024
	flat_load_b32 v25, v[1:2] offset:2048
	v_add_co_u32 v2, s0, s20, v8
	s_delay_alu instid0(VALU_DEP_1) | instskip(SKIP_1) | instid1(VALU_DEP_3)
	v_add_co_ci_u32_e64 v3, null, s29, 0, s0
	v_mad_u32_u24 v1, v0, 56, v8
	v_add_co_u32 v4, vcc_lo, 0x1000, v2
	s_delay_alu instid0(VALU_DEP_3)
	v_add_co_ci_u32_e32 v5, vcc_lo, 0, v3, vcc_lo
	v_add_co_u32 v6, vcc_lo, 0x2000, v2
	v_add_co_ci_u32_e32 v7, vcc_lo, 0, v3, vcc_lo
	v_add_co_u32 v23, vcc_lo, 0x3000, v2
	v_add_co_ci_u32_e32 v24, vcc_lo, 0, v3, vcc_lo
	s_waitcnt vmcnt(13) lgkmcnt(13)
	ds_store_2addr_stride64_b32 v8, v9, v10 offset1:4
	s_waitcnt vmcnt(11) lgkmcnt(12)
	ds_store_2addr_stride64_b32 v8, v11, v12 offset0:8 offset1:12
	s_waitcnt vmcnt(9) lgkmcnt(11)
	ds_store_2addr_stride64_b32 v8, v13, v14 offset0:16 offset1:20
	s_waitcnt vmcnt(7) lgkmcnt(10)
	ds_store_2addr_stride64_b32 v8, v15, v16 offset0:24 offset1:28
	s_waitcnt vmcnt(5) lgkmcnt(9)
	ds_store_2addr_stride64_b32 v8, v17, v18 offset0:32 offset1:36
	s_waitcnt vmcnt(3) lgkmcnt(8)
	ds_store_2addr_stride64_b32 v8, v19, v20 offset0:40 offset1:44
	s_waitcnt vmcnt(1) lgkmcnt(7)
	ds_store_2addr_stride64_b32 v8, v21, v22 offset0:48 offset1:52
	s_waitcnt vmcnt(0) lgkmcnt(7)
	ds_store_b32 v8, v25 offset:14336
	s_waitcnt lgkmcnt(0)
	s_barrier
	buffer_gl0_inv
	ds_load_2addr_b32 v[21:22], v1 offset1:1
	ds_load_2addr_b32 v[19:20], v1 offset0:2 offset1:3
	ds_load_2addr_b32 v[17:18], v1 offset0:4 offset1:5
	;; [unrolled: 1-line block ×6, first 2 shown]
	ds_load_b32 v77, v1 offset:56
	s_waitcnt lgkmcnt(0)
	s_barrier
	buffer_gl0_inv
	s_clause 0xe
	flat_load_b32 v25, v[2:3]
	flat_load_b32 v26, v[2:3] offset:1024
	flat_load_b32 v27, v[2:3] offset:2048
	flat_load_b32 v2, v[2:3] offset:3072
	flat_load_b32 v3, v[4:5]
	flat_load_b32 v28, v[4:5] offset:1024
	flat_load_b32 v29, v[4:5] offset:2048
	flat_load_b32 v4, v[4:5] offset:3072
	;; [unrolled: 4-line block ×3, first 2 shown]
	flat_load_b32 v7, v[23:24]
	flat_load_b32 v32, v[23:24] offset:1024
	flat_load_b32 v23, v[23:24] offset:2048
	s_waitcnt vmcnt(13) lgkmcnt(13)
	ds_store_2addr_stride64_b32 v8, v25, v26 offset1:4
	s_waitcnt vmcnt(11) lgkmcnt(12)
	ds_store_2addr_stride64_b32 v8, v27, v2 offset0:8 offset1:12
	s_waitcnt vmcnt(9) lgkmcnt(11)
	ds_store_2addr_stride64_b32 v8, v3, v28 offset0:16 offset1:20
	;; [unrolled: 2-line block ×6, first 2 shown]
	s_waitcnt vmcnt(0) lgkmcnt(7)
	ds_store_b32 v8, v23 offset:14336
	s_waitcnt lgkmcnt(0)
	s_barrier
	s_and_not1_b32 vcc_lo, exec_lo, s3
	s_add_i32 s19, s19, s40
	s_cbranch_vccz .LBB379_3
	s_branch .LBB379_50
.LBB379_2:
                                        ; implicit-def: $vgpr1
                                        ; implicit-def: $vgpr21
                                        ; implicit-def: $vgpr19
                                        ; implicit-def: $vgpr17
                                        ; implicit-def: $vgpr15
                                        ; implicit-def: $vgpr13
                                        ; implicit-def: $vgpr11
                                        ; implicit-def: $vgpr9
                                        ; implicit-def: $vgpr77
	s_add_i32 s19, s19, s40
.LBB379_3:
	s_delay_alu instid0(SALU_CYCLE_1)
	v_cmp_gt_u32_e32 vcc_lo, s19, v0
                                        ; implicit-def: $vgpr1
	s_and_saveexec_b32 s0, vcc_lo
	s_cbranch_execz .LBB379_5
; %bb.4:
	v_lshlrev_b32_e32 v1, 2, v0
	s_delay_alu instid0(VALU_DEP_1) | instskip(NEXT) | instid1(VALU_DEP_1)
	v_add_co_u32 v1, s1, s14, v1
	v_add_co_ci_u32_e64 v2, null, s21, 0, s1
	flat_load_b32 v1, v[1:2]
.LBB379_5:
	s_or_b32 exec_lo, exec_lo, s0
	v_or_b32_e32 v2, 0x100, v0
                                        ; implicit-def: $vgpr9
	s_delay_alu instid0(VALU_DEP_1) | instskip(NEXT) | instid1(VALU_DEP_1)
	v_cmp_gt_u32_e64 s0, s19, v2
	s_and_saveexec_b32 s1, s0
	s_cbranch_execz .LBB379_7
; %bb.6:
	v_lshlrev_b32_e32 v2, 2, v0
	s_delay_alu instid0(VALU_DEP_1) | instskip(NEXT) | instid1(VALU_DEP_1)
	v_add_co_u32 v2, s2, s14, v2
	v_add_co_ci_u32_e64 v3, null, s21, 0, s2
	flat_load_b32 v9, v[2:3] offset:1024
.LBB379_7:
	s_or_b32 exec_lo, exec_lo, s1
	v_or_b32_e32 v2, 0x200, v0
                                        ; implicit-def: $vgpr10
	s_delay_alu instid0(VALU_DEP_1) | instskip(NEXT) | instid1(VALU_DEP_1)
	v_cmp_gt_u32_e64 s1, s19, v2
	s_and_saveexec_b32 s2, s1
	s_cbranch_execz .LBB379_9
; %bb.8:
	v_lshlrev_b32_e32 v2, 2, v0
	s_delay_alu instid0(VALU_DEP_1) | instskip(NEXT) | instid1(VALU_DEP_1)
	v_add_co_u32 v2, s3, s14, v2
	v_add_co_ci_u32_e64 v3, null, s21, 0, s3
	flat_load_b32 v10, v[2:3] offset:2048
.LBB379_9:
	s_or_b32 exec_lo, exec_lo, s2
	v_or_b32_e32 v2, 0x300, v0
                                        ; implicit-def: $vgpr11
	s_delay_alu instid0(VALU_DEP_1) | instskip(NEXT) | instid1(VALU_DEP_1)
	v_cmp_gt_u32_e64 s2, s19, v2
	s_and_saveexec_b32 s3, s2
	s_cbranch_execz .LBB379_11
; %bb.10:
	v_lshlrev_b32_e32 v2, 2, v0
	s_delay_alu instid0(VALU_DEP_1) | instskip(NEXT) | instid1(VALU_DEP_1)
	v_add_co_u32 v2, s4, s14, v2
	v_add_co_ci_u32_e64 v3, null, s21, 0, s4
	flat_load_b32 v11, v[2:3] offset:3072
.LBB379_11:
	s_or_b32 exec_lo, exec_lo, s3
	v_or_b32_e32 v2, 0x400, v0
                                        ; implicit-def: $vgpr12
	s_delay_alu instid0(VALU_DEP_1) | instskip(NEXT) | instid1(VALU_DEP_1)
	v_cmp_gt_u32_e64 s3, s19, v2
	s_and_saveexec_b32 s4, s3
	s_cbranch_execz .LBB379_13
; %bb.12:
	v_lshlrev_b32_e32 v3, 2, v2
	s_delay_alu instid0(VALU_DEP_1) | instskip(NEXT) | instid1(VALU_DEP_1)
	v_add_co_u32 v3, s5, s14, v3
	v_add_co_ci_u32_e64 v4, null, s21, 0, s5
	flat_load_b32 v12, v[3:4]
.LBB379_13:
	s_or_b32 exec_lo, exec_lo, s4
	v_or_b32_e32 v3, 0x500, v0
                                        ; implicit-def: $vgpr13
	s_delay_alu instid0(VALU_DEP_1) | instskip(NEXT) | instid1(VALU_DEP_1)
	v_cmp_gt_u32_e64 s4, s19, v3
	s_and_saveexec_b32 s5, s4
	s_cbranch_execz .LBB379_15
; %bb.14:
	v_lshlrev_b32_e32 v4, 2, v3
	s_delay_alu instid0(VALU_DEP_1) | instskip(NEXT) | instid1(VALU_DEP_1)
	v_add_co_u32 v4, s6, s14, v4
	v_add_co_ci_u32_e64 v5, null, s21, 0, s6
	flat_load_b32 v13, v[4:5]
.LBB379_15:
	s_or_b32 exec_lo, exec_lo, s5
	v_or_b32_e32 v4, 0x600, v0
                                        ; implicit-def: $vgpr14
	s_delay_alu instid0(VALU_DEP_1) | instskip(NEXT) | instid1(VALU_DEP_1)
	v_cmp_gt_u32_e64 s5, s19, v4
	s_and_saveexec_b32 s6, s5
	s_cbranch_execz .LBB379_17
; %bb.16:
	v_lshlrev_b32_e32 v5, 2, v4
	s_delay_alu instid0(VALU_DEP_1) | instskip(NEXT) | instid1(VALU_DEP_1)
	v_add_co_u32 v5, s7, s14, v5
	v_add_co_ci_u32_e64 v6, null, s21, 0, s7
	flat_load_b32 v14, v[5:6]
.LBB379_17:
	s_or_b32 exec_lo, exec_lo, s6
	v_or_b32_e32 v5, 0x700, v0
                                        ; implicit-def: $vgpr15
	s_delay_alu instid0(VALU_DEP_1) | instskip(NEXT) | instid1(VALU_DEP_1)
	v_cmp_gt_u32_e64 s6, s19, v5
	s_and_saveexec_b32 s7, s6
	s_cbranch_execz .LBB379_19
; %bb.18:
	v_lshlrev_b32_e32 v6, 2, v5
	s_delay_alu instid0(VALU_DEP_1) | instskip(NEXT) | instid1(VALU_DEP_1)
	v_add_co_u32 v6, s8, s14, v6
	v_add_co_ci_u32_e64 v7, null, s21, 0, s8
	flat_load_b32 v15, v[6:7]
.LBB379_19:
	s_or_b32 exec_lo, exec_lo, s7
	v_or_b32_e32 v6, 0x800, v0
                                        ; implicit-def: $vgpr16
	s_delay_alu instid0(VALU_DEP_1) | instskip(NEXT) | instid1(VALU_DEP_1)
	v_cmp_gt_u32_e64 s7, s19, v6
	s_and_saveexec_b32 s8, s7
	s_cbranch_execz .LBB379_21
; %bb.20:
	v_lshlrev_b32_e32 v7, 2, v6
	s_delay_alu instid0(VALU_DEP_1) | instskip(NEXT) | instid1(VALU_DEP_1)
	v_add_co_u32 v7, s9, s14, v7
	v_add_co_ci_u32_e64 v8, null, s21, 0, s9
	flat_load_b32 v16, v[7:8]
.LBB379_21:
	s_or_b32 exec_lo, exec_lo, s8
	v_or_b32_e32 v8, 0x900, v0
                                        ; implicit-def: $vgpr17
	s_delay_alu instid0(VALU_DEP_1) | instskip(NEXT) | instid1(VALU_DEP_1)
	v_cmp_gt_u32_e64 s8, s19, v8
	s_and_saveexec_b32 s9, s8
	s_cbranch_execz .LBB379_23
; %bb.22:
	v_lshlrev_b32_e32 v7, 2, v8
	s_delay_alu instid0(VALU_DEP_1) | instskip(NEXT) | instid1(VALU_DEP_1)
	v_add_co_u32 v17, s10, s14, v7
	v_add_co_ci_u32_e64 v18, null, s21, 0, s10
	flat_load_b32 v17, v[17:18]
.LBB379_23:
	s_or_b32 exec_lo, exec_lo, s9
	v_or_b32_e32 v23, 0xa00, v0
                                        ; implicit-def: $vgpr18
	s_delay_alu instid0(VALU_DEP_1) | instskip(NEXT) | instid1(VALU_DEP_1)
	v_cmp_gt_u32_e64 s9, s19, v23
	s_and_saveexec_b32 s10, s9
	s_cbranch_execz .LBB379_25
; %bb.24:
	v_lshlrev_b32_e32 v7, 2, v23
	s_delay_alu instid0(VALU_DEP_1) | instskip(NEXT) | instid1(VALU_DEP_1)
	v_add_co_u32 v18, s11, s14, v7
	v_add_co_ci_u32_e64 v19, null, s21, 0, s11
	flat_load_b32 v18, v[18:19]
.LBB379_25:
	s_or_b32 exec_lo, exec_lo, s10
	v_or_b32_e32 v24, 0xb00, v0
                                        ; implicit-def: $vgpr19
	s_delay_alu instid0(VALU_DEP_1) | instskip(NEXT) | instid1(VALU_DEP_1)
	v_cmp_gt_u32_e64 s10, s19, v24
	s_and_saveexec_b32 s11, s10
	s_cbranch_execz .LBB379_27
; %bb.26:
	v_lshlrev_b32_e32 v7, 2, v24
	s_delay_alu instid0(VALU_DEP_1) | instskip(NEXT) | instid1(VALU_DEP_1)
	v_add_co_u32 v19, s12, s14, v7
	v_add_co_ci_u32_e64 v20, null, s21, 0, s12
	flat_load_b32 v19, v[19:20]
.LBB379_27:
	s_or_b32 exec_lo, exec_lo, s11
	v_or_b32_e32 v25, 0xc00, v0
                                        ; implicit-def: $vgpr20
	s_delay_alu instid0(VALU_DEP_1) | instskip(NEXT) | instid1(VALU_DEP_1)
	v_cmp_gt_u32_e64 s11, s19, v25
	s_and_saveexec_b32 s12, s11
	s_cbranch_execz .LBB379_29
; %bb.28:
	v_lshlrev_b32_e32 v7, 2, v25
	s_delay_alu instid0(VALU_DEP_1) | instskip(NEXT) | instid1(VALU_DEP_1)
	v_add_co_u32 v20, s13, s14, v7
	v_add_co_ci_u32_e64 v21, null, s21, 0, s13
	flat_load_b32 v20, v[20:21]
.LBB379_29:
	s_or_b32 exec_lo, exec_lo, s12
	v_or_b32_e32 v26, 0xd00, v0
                                        ; implicit-def: $vgpr21
	s_delay_alu instid0(VALU_DEP_1) | instskip(NEXT) | instid1(VALU_DEP_1)
	v_cmp_gt_u32_e64 s12, s19, v26
	s_and_saveexec_b32 s13, s12
	s_cbranch_execz .LBB379_31
; %bb.30:
	v_lshlrev_b32_e32 v7, 2, v26
	s_delay_alu instid0(VALU_DEP_1) | instskip(NEXT) | instid1(VALU_DEP_1)
	v_add_co_u32 v21, s30, s14, v7
	v_add_co_ci_u32_e64 v22, null, s21, 0, s30
	flat_load_b32 v21, v[21:22]
.LBB379_31:
	s_or_b32 exec_lo, exec_lo, s13
	v_or_b32_e32 v27, 0xe00, v0
                                        ; implicit-def: $vgpr22
	s_delay_alu instid0(VALU_DEP_1) | instskip(NEXT) | instid1(VALU_DEP_1)
	v_cmp_gt_u32_e64 s13, s19, v27
	s_and_saveexec_b32 s30, s13
	s_cbranch_execz .LBB379_33
; %bb.32:
	v_lshlrev_b32_e32 v7, 2, v27
	s_delay_alu instid0(VALU_DEP_1) | instskip(NEXT) | instid1(VALU_DEP_1)
	v_add_co_u32 v28, s31, s14, v7
	v_add_co_ci_u32_e64 v29, null, s21, 0, s31
	flat_load_b32 v22, v[28:29]
.LBB379_33:
	s_or_b32 exec_lo, exec_lo, s30
	v_lshlrev_b32_e32 v7, 2, v0
                                        ; implicit-def: $vgpr28
	s_waitcnt vmcnt(0) lgkmcnt(0)
	ds_store_2addr_stride64_b32 v7, v1, v9 offset1:4
	ds_store_2addr_stride64_b32 v7, v10, v11 offset0:8 offset1:12
	ds_store_2addr_stride64_b32 v7, v12, v13 offset0:16 offset1:20
	;; [unrolled: 1-line block ×6, first 2 shown]
	v_mad_u32_u24 v1, v0, 56, v7
	ds_store_b32 v7, v22 offset:14336
	s_waitcnt lgkmcnt(0)
	s_barrier
	buffer_gl0_inv
	ds_load_2addr_b32 v[21:22], v1 offset1:1
	ds_load_2addr_b32 v[19:20], v1 offset0:2 offset1:3
	ds_load_2addr_b32 v[17:18], v1 offset0:4 offset1:5
	;; [unrolled: 1-line block ×6, first 2 shown]
	ds_load_b32 v77, v1 offset:56
	s_waitcnt lgkmcnt(0)
	s_barrier
	buffer_gl0_inv
	s_and_saveexec_b32 s30, vcc_lo
	s_cbranch_execnz .LBB379_57
; %bb.34:
	s_or_b32 exec_lo, exec_lo, s30
                                        ; implicit-def: $vgpr29
	s_and_saveexec_b32 s30, s0
	s_cbranch_execnz .LBB379_58
.LBB379_35:
	s_or_b32 exec_lo, exec_lo, s30
                                        ; implicit-def: $vgpr30
	s_and_saveexec_b32 s0, s1
	s_cbranch_execnz .LBB379_59
.LBB379_36:
	s_or_b32 exec_lo, exec_lo, s0
                                        ; implicit-def: $vgpr31
	s_and_saveexec_b32 s0, s2
	s_cbranch_execnz .LBB379_60
.LBB379_37:
	s_or_b32 exec_lo, exec_lo, s0
                                        ; implicit-def: $vgpr32
	s_and_saveexec_b32 s0, s3
	s_cbranch_execnz .LBB379_61
.LBB379_38:
	s_or_b32 exec_lo, exec_lo, s0
                                        ; implicit-def: $vgpr2
	s_and_saveexec_b32 s0, s4
	s_cbranch_execnz .LBB379_62
.LBB379_39:
	s_or_b32 exec_lo, exec_lo, s0
                                        ; implicit-def: $vgpr3
	s_and_saveexec_b32 s0, s5
	s_cbranch_execnz .LBB379_63
.LBB379_40:
	s_or_b32 exec_lo, exec_lo, s0
                                        ; implicit-def: $vgpr4
	s_and_saveexec_b32 s0, s6
	s_cbranch_execnz .LBB379_64
.LBB379_41:
	s_or_b32 exec_lo, exec_lo, s0
                                        ; implicit-def: $vgpr5
	s_and_saveexec_b32 s0, s7
	s_cbranch_execnz .LBB379_65
.LBB379_42:
	s_or_b32 exec_lo, exec_lo, s0
                                        ; implicit-def: $vgpr6
	s_and_saveexec_b32 s0, s8
	s_cbranch_execnz .LBB379_66
.LBB379_43:
	s_or_b32 exec_lo, exec_lo, s0
                                        ; implicit-def: $vgpr8
	s_and_saveexec_b32 s0, s9
	s_cbranch_execnz .LBB379_67
.LBB379_44:
	s_or_b32 exec_lo, exec_lo, s0
                                        ; implicit-def: $vgpr23
	s_and_saveexec_b32 s0, s10
	s_cbranch_execnz .LBB379_68
.LBB379_45:
	s_or_b32 exec_lo, exec_lo, s0
                                        ; implicit-def: $vgpr24
	s_and_saveexec_b32 s0, s11
	s_cbranch_execnz .LBB379_69
.LBB379_46:
	s_or_b32 exec_lo, exec_lo, s0
                                        ; implicit-def: $vgpr25
	s_and_saveexec_b32 s0, s12
	s_cbranch_execnz .LBB379_70
.LBB379_47:
	s_or_b32 exec_lo, exec_lo, s0
                                        ; implicit-def: $vgpr26
	s_and_saveexec_b32 s0, s13
	s_cbranch_execz .LBB379_49
.LBB379_48:
	v_lshlrev_b32_e32 v26, 2, v27
	s_delay_alu instid0(VALU_DEP_1) | instskip(NEXT) | instid1(VALU_DEP_1)
	v_add_co_u32 v26, s1, s20, v26
	v_add_co_ci_u32_e64 v27, null, s29, 0, s1
	flat_load_b32 v26, v[26:27]
.LBB379_49:
	s_or_b32 exec_lo, exec_lo, s0
	s_waitcnt vmcnt(0) lgkmcnt(0)
	ds_store_2addr_stride64_b32 v7, v28, v29 offset1:4
	ds_store_2addr_stride64_b32 v7, v30, v31 offset0:8 offset1:12
	ds_store_2addr_stride64_b32 v7, v32, v2 offset0:16 offset1:20
	;; [unrolled: 1-line block ×6, first 2 shown]
	ds_store_b32 v7, v26 offset:14336
	s_waitcnt lgkmcnt(0)
	s_barrier
.LBB379_50:
	buffer_gl0_inv
	ds_load_2addr_b32 v[49:50], v1 offset1:1
	ds_load_2addr_b32 v[47:48], v1 offset0:2 offset1:3
	ds_load_2addr_b32 v[45:46], v1 offset0:4 offset1:5
	;; [unrolled: 1-line block ×6, first 2 shown]
	ds_load_b32 v79, v1 offset:56
	s_cmp_eq_u64 s[16:17], 0
	s_waitcnt lgkmcnt(0)
	s_cselect_b32 s20, -1, 0
	s_cmp_lg_u64 s[16:17], 0
	s_barrier
	s_cselect_b32 s29, -1, 0
	s_and_b32 vcc_lo, exec_lo, s28
	buffer_gl0_inv
	s_cbranch_vccz .LBB379_56
; %bb.51:
	s_and_b32 vcc_lo, exec_lo, s29
	s_cbranch_vccz .LBB379_71
; %bb.52:
	v_add_co_u32 v1, s0, -4, s14
	s_delay_alu instid0(VALU_DEP_1)
	v_add_co_ci_u32_e64 v2, null, -1, s21, s0
	v_mul_hi_i32 v3, 0x66666667, v10
	v_mul_hi_i32 v4, 0x66666667, v77
	;; [unrolled: 1-line block ×3, first 2 shown]
	flat_load_b32 v1, v[1:2]
	v_mul_hi_i32 v23, 0x66666667, v12
	v_mul_hi_i32 v24, 0x66666667, v11
	;; [unrolled: 1-line block ×3, first 2 shown]
	v_lshlrev_b32_e32 v2, 2, v0
	v_lshrrev_b32_e32 v6, 31, v3
	v_ashrrev_i32_e32 v3, 2, v3
	v_lshrrev_b32_e32 v7, 31, v4
	v_ashrrev_i32_e32 v4, 2, v4
	;; [unrolled: 2-line block ×3, first 2 shown]
	v_add_nc_u32_e32 v3, v3, v6
	v_mul_hi_i32 v6, 0x66666667, v14
	v_add_nc_u32_e32 v4, v4, v7
	v_lshrrev_b32_e32 v7, 31, v23
	v_add_nc_u32_e32 v5, v5, v8
	v_ashrrev_i32_e32 v8, 2, v23
	v_lshrrev_b32_e32 v23, 31, v24
	v_ashrrev_i32_e32 v24, 2, v24
	v_cmp_ne_u32_e32 vcc_lo, v3, v4
	v_cmp_ne_u32_e64 s0, v5, v3
	v_add_nc_u32_e32 v3, v8, v7
	v_lshrrev_b32_e32 v26, 31, v6
	v_ashrrev_i32_e32 v6, 2, v6
	v_add_nc_u32_e32 v4, v24, v23
	v_mul_hi_i32 v8, 0x66666667, v16
	v_mul_hi_i32 v24, 0x66666667, v15
	v_cmp_ne_u32_e64 s1, v3, v5
	v_mul_hi_i32 v5, 0x66666667, v18
	v_add_nc_u32_e32 v6, v6, v26
	v_lshrrev_b32_e32 v7, 31, v25
	v_ashrrev_i32_e32 v23, 2, v25
	v_cmp_ne_u32_e64 s2, v4, v3
	s_mov_b32 s28, -1
	v_cmp_ne_u32_e64 s3, v6, v4
	v_lshrrev_b32_e32 v4, 31, v8
	v_add_nc_u32_e32 v3, v23, v7
	v_ashrrev_i32_e32 v7, 2, v8
	v_lshrrev_b32_e32 v8, 31, v24
	v_ashrrev_i32_e32 v23, 2, v24
	v_lshrrev_b32_e32 v24, 31, v5
	v_ashrrev_i32_e32 v5, 2, v5
	v_add_nc_u32_e32 v4, v7, v4
	v_cmp_ne_u32_e64 s4, v3, v6
	v_add_nc_u32_e32 v6, v23, v8
	v_mul_hi_i32 v7, 0x66666667, v17
	v_add_nc_u32_e32 v5, v5, v24
	v_cmp_ne_u32_e64 s5, v4, v3
	v_mul_hi_i32 v3, 0x66666667, v20
	v_cmp_ne_u32_e64 s6, v6, v4
	v_mul_hi_i32 v4, 0x66666667, v19
	;; [unrolled: 2-line block ×3, first 2 shown]
	v_mul_hi_i32 v23, 0x66666667, v21
	v_lshrrev_b32_e32 v8, 31, v7
	v_ashrrev_i32_e32 v7, 2, v7
	v_lshrrev_b32_e32 v24, 31, v3
	v_ashrrev_i32_e32 v3, 2, v3
	;; [unrolled: 2-line block ×5, first 2 shown]
	v_add_nc_u32_e32 v7, v7, v8
	v_add_nc_u32_e32 v8, v3, v24
	;; [unrolled: 1-line block ×5, first 2 shown]
	v_cmp_ne_u32_e64 s12, v7, v5
	v_cmp_ne_u32_e64 s8, v8, v7
	;; [unrolled: 1-line block ×5, first 2 shown]
	s_mov_b32 s30, 0
	s_mov_b32 s31, exec_lo
	ds_store_b32 v2, v77
	s_waitcnt vmcnt(0) lgkmcnt(0)
	s_barrier
	buffer_gl0_inv
	v_cmpx_ne_u32_e32 0, v0
	s_cbranch_execz .LBB379_54
; %bb.53:
	v_add_nc_u32_e32 v1, -4, v2
	ds_load_b32 v1, v1
.LBB379_54:
	s_or_b32 exec_lo, exec_lo, s31
	s_waitcnt lgkmcnt(0)
	v_mul_hi_i32 v1, 0x66666667, v1
	v_cndmask_b32_e64 v78, 0, 1, vcc_lo
	v_cndmask_b32_e64 v24, 0, 1, s0
	v_cndmask_b32_e64 v23, 0, 1, s1
	;; [unrolled: 1-line block ×6, first 2 shown]
	v_lshrrev_b32_e32 v2, 31, v1
	v_ashrrev_i32_e32 v1, 2, v1
	v_cndmask_b32_e64 v30, 0, 1, s6
	v_cndmask_b32_e64 v29, 0, 1, s7
	;; [unrolled: 1-line block ×4, first 2 shown]
	v_add_nc_u32_e32 v1, v1, v2
	v_cndmask_b32_e64 v34, 0, 1, s9
	v_cndmask_b32_e64 v33, 0, 1, s10
	;; [unrolled: 1-line block ×3, first 2 shown]
	s_delay_alu instid0(VALU_DEP_4)
	v_cmp_ne_u32_e64 s2, v1, v3
	s_and_b32 vcc_lo, exec_lo, s30
	s_cbranch_vccnz .LBB379_72
.LBB379_55:
                                        ; implicit-def: $sgpr0
	s_branch .LBB379_110
.LBB379_56:
	s_mov_b32 s28, 0
                                        ; implicit-def: $sgpr2
                                        ; implicit-def: $vgpr78
                                        ; implicit-def: $vgpr24
                                        ; implicit-def: $vgpr23
                                        ; implicit-def: $vgpr26
                                        ; implicit-def: $vgpr25
                                        ; implicit-def: $vgpr28
                                        ; implicit-def: $vgpr27
                                        ; implicit-def: $vgpr30
                                        ; implicit-def: $vgpr29
                                        ; implicit-def: $vgpr32
                                        ; implicit-def: $vgpr31
                                        ; implicit-def: $vgpr34
                                        ; implicit-def: $vgpr33
                                        ; implicit-def: $vgpr36
                                        ; implicit-def: $sgpr0
	s_cbranch_execnz .LBB379_75
	s_branch .LBB379_110
.LBB379_57:
	v_add_co_u32 v28, s31, s20, v7
	s_delay_alu instid0(VALU_DEP_1)
	v_add_co_ci_u32_e64 v29, null, s29, 0, s31
	flat_load_b32 v28, v[28:29]
	s_or_b32 exec_lo, exec_lo, s30
                                        ; implicit-def: $vgpr29
	s_and_saveexec_b32 s30, s0
	s_cbranch_execz .LBB379_35
.LBB379_58:
	v_add_co_u32 v29, s0, s20, v7
	s_delay_alu instid0(VALU_DEP_1)
	v_add_co_ci_u32_e64 v30, null, s29, 0, s0
	flat_load_b32 v29, v[29:30] offset:1024
	s_or_b32 exec_lo, exec_lo, s30
                                        ; implicit-def: $vgpr30
	s_and_saveexec_b32 s0, s1
	s_cbranch_execz .LBB379_36
.LBB379_59:
	v_add_co_u32 v30, s1, s20, v7
	s_delay_alu instid0(VALU_DEP_1)
	v_add_co_ci_u32_e64 v31, null, s29, 0, s1
	flat_load_b32 v30, v[30:31] offset:2048
	s_or_b32 exec_lo, exec_lo, s0
                                        ; implicit-def: $vgpr31
	s_and_saveexec_b32 s0, s2
	s_cbranch_execz .LBB379_37
.LBB379_60:
	v_add_co_u32 v31, s1, s20, v7
	s_delay_alu instid0(VALU_DEP_1)
	v_add_co_ci_u32_e64 v32, null, s29, 0, s1
	flat_load_b32 v31, v[31:32] offset:3072
	s_or_b32 exec_lo, exec_lo, s0
                                        ; implicit-def: $vgpr32
	s_and_saveexec_b32 s0, s3
	s_cbranch_execz .LBB379_38
.LBB379_61:
	v_lshlrev_b32_e32 v2, 2, v2
	s_delay_alu instid0(VALU_DEP_1) | instskip(NEXT) | instid1(VALU_DEP_1)
	v_add_co_u32 v32, s1, s20, v2
	v_add_co_ci_u32_e64 v33, null, s29, 0, s1
	flat_load_b32 v32, v[32:33]
	s_or_b32 exec_lo, exec_lo, s0
                                        ; implicit-def: $vgpr2
	s_and_saveexec_b32 s0, s4
	s_cbranch_execz .LBB379_39
.LBB379_62:
	v_lshlrev_b32_e32 v2, 2, v3
	s_delay_alu instid0(VALU_DEP_1) | instskip(NEXT) | instid1(VALU_DEP_1)
	v_add_co_u32 v2, s1, s20, v2
	v_add_co_ci_u32_e64 v3, null, s29, 0, s1
	flat_load_b32 v2, v[2:3]
	s_or_b32 exec_lo, exec_lo, s0
                                        ; implicit-def: $vgpr3
	s_and_saveexec_b32 s0, s5
	s_cbranch_execz .LBB379_40
.LBB379_63:
	v_lshlrev_b32_e32 v3, 2, v4
	s_delay_alu instid0(VALU_DEP_1) | instskip(NEXT) | instid1(VALU_DEP_1)
	v_add_co_u32 v3, s1, s20, v3
	v_add_co_ci_u32_e64 v4, null, s29, 0, s1
	flat_load_b32 v3, v[3:4]
	s_or_b32 exec_lo, exec_lo, s0
                                        ; implicit-def: $vgpr4
	s_and_saveexec_b32 s0, s6
	s_cbranch_execz .LBB379_41
.LBB379_64:
	v_lshlrev_b32_e32 v4, 2, v5
	s_delay_alu instid0(VALU_DEP_1) | instskip(NEXT) | instid1(VALU_DEP_1)
	v_add_co_u32 v4, s1, s20, v4
	v_add_co_ci_u32_e64 v5, null, s29, 0, s1
	flat_load_b32 v4, v[4:5]
	s_or_b32 exec_lo, exec_lo, s0
                                        ; implicit-def: $vgpr5
	s_and_saveexec_b32 s0, s7
	s_cbranch_execz .LBB379_42
.LBB379_65:
	v_lshlrev_b32_e32 v5, 2, v6
	s_delay_alu instid0(VALU_DEP_1) | instskip(NEXT) | instid1(VALU_DEP_1)
	v_add_co_u32 v5, s1, s20, v5
	v_add_co_ci_u32_e64 v6, null, s29, 0, s1
	flat_load_b32 v5, v[5:6]
	s_or_b32 exec_lo, exec_lo, s0
                                        ; implicit-def: $vgpr6
	s_and_saveexec_b32 s0, s8
	s_cbranch_execz .LBB379_43
.LBB379_66:
	v_lshlrev_b32_e32 v6, 2, v8
	s_delay_alu instid0(VALU_DEP_1) | instskip(NEXT) | instid1(VALU_DEP_1)
	v_add_co_u32 v33, s1, s20, v6
	v_add_co_ci_u32_e64 v34, null, s29, 0, s1
	flat_load_b32 v6, v[33:34]
	s_or_b32 exec_lo, exec_lo, s0
                                        ; implicit-def: $vgpr8
	s_and_saveexec_b32 s0, s9
	s_cbranch_execz .LBB379_44
.LBB379_67:
	v_lshlrev_b32_e32 v8, 2, v23
	s_delay_alu instid0(VALU_DEP_1) | instskip(NEXT) | instid1(VALU_DEP_1)
	v_add_co_u32 v33, s1, s20, v8
	v_add_co_ci_u32_e64 v34, null, s29, 0, s1
	flat_load_b32 v8, v[33:34]
	s_or_b32 exec_lo, exec_lo, s0
                                        ; implicit-def: $vgpr23
	s_and_saveexec_b32 s0, s10
	s_cbranch_execz .LBB379_45
.LBB379_68:
	v_lshlrev_b32_e32 v23, 2, v24
	s_delay_alu instid0(VALU_DEP_1) | instskip(NEXT) | instid1(VALU_DEP_1)
	v_add_co_u32 v23, s1, s20, v23
	v_add_co_ci_u32_e64 v24, null, s29, 0, s1
	flat_load_b32 v23, v[23:24]
	s_or_b32 exec_lo, exec_lo, s0
                                        ; implicit-def: $vgpr24
	s_and_saveexec_b32 s0, s11
	s_cbranch_execz .LBB379_46
.LBB379_69:
	v_lshlrev_b32_e32 v24, 2, v25
	s_delay_alu instid0(VALU_DEP_1) | instskip(NEXT) | instid1(VALU_DEP_1)
	v_add_co_u32 v24, s1, s20, v24
	v_add_co_ci_u32_e64 v25, null, s29, 0, s1
	flat_load_b32 v24, v[24:25]
	s_or_b32 exec_lo, exec_lo, s0
                                        ; implicit-def: $vgpr25
	s_and_saveexec_b32 s0, s12
	s_cbranch_execz .LBB379_47
.LBB379_70:
	v_lshlrev_b32_e32 v25, 2, v26
	s_delay_alu instid0(VALU_DEP_1) | instskip(NEXT) | instid1(VALU_DEP_1)
	v_add_co_u32 v25, s1, s20, v25
	v_add_co_ci_u32_e64 v26, null, s29, 0, s1
	flat_load_b32 v25, v[25:26]
	s_or_b32 exec_lo, exec_lo, s0
                                        ; implicit-def: $vgpr26
	s_and_saveexec_b32 s0, s13
	s_cbranch_execnz .LBB379_48
	s_branch .LBB379_49
.LBB379_71:
	s_mov_b32 s28, 0
                                        ; implicit-def: $sgpr2
                                        ; implicit-def: $vgpr78
                                        ; implicit-def: $vgpr24
                                        ; implicit-def: $vgpr23
                                        ; implicit-def: $vgpr26
                                        ; implicit-def: $vgpr25
                                        ; implicit-def: $vgpr28
                                        ; implicit-def: $vgpr27
                                        ; implicit-def: $vgpr30
                                        ; implicit-def: $vgpr29
                                        ; implicit-def: $vgpr32
                                        ; implicit-def: $vgpr31
                                        ; implicit-def: $vgpr34
                                        ; implicit-def: $vgpr33
                                        ; implicit-def: $vgpr36
	s_cbranch_execz .LBB379_55
.LBB379_72:
	v_mul_hi_i32 v1, 0x66666667, v10
	v_mul_hi_i32 v2, 0x66666667, v77
	;; [unrolled: 1-line block ×8, first 2 shown]
	v_lshrrev_b32_e32 v6, 31, v1
	v_ashrrev_i32_e32 v7, 2, v1
	v_lshrrev_b32_e32 v8, 31, v2
	v_ashrrev_i32_e32 v2, 2, v2
	;; [unrolled: 2-line block ×3, first 2 shown]
	v_add_nc_u32_e32 v6, v7, v6
	v_lshrrev_b32_e32 v7, 31, v4
	v_add_nc_u32_e32 v2, v2, v8
	v_ashrrev_i32_e32 v4, 2, v4
	v_add_nc_u32_e32 v3, v3, v23
	v_mul_hi_i32 v23, 0x66666667, v14
	v_lshrrev_b32_e32 v8, 31, v5
	v_cmp_ne_u32_e32 vcc_lo, v6, v2
	v_ashrrev_i32_e32 v5, 2, v5
	v_add_nc_u32_e32 v2, v4, v7
	v_lshrrev_b32_e32 v7, 31, v25
	v_lshlrev_b32_e32 v1, 2, v0
	v_cndmask_b32_e64 v78, 0, 1, vcc_lo
	v_cmp_ne_u32_e32 vcc_lo, v3, v6
	v_add_nc_u32_e32 v4, v5, v8
	v_lshrrev_b32_e32 v5, 31, v23
	v_ashrrev_i32_e32 v6, 2, v23
	v_ashrrev_i32_e32 v8, 2, v25
	v_cndmask_b32_e64 v24, 0, 1, vcc_lo
	v_cmp_ne_u32_e32 vcc_lo, v2, v3
	v_mul_hi_i32 v25, 0x66666667, v16
	s_mov_b32 s0, exec_lo
	v_add_nc_u32_e32 v3, v8, v7
	v_lshrrev_b32_e32 v7, 31, v27
	v_cndmask_b32_e64 v23, 0, 1, vcc_lo
	v_cmp_ne_u32_e32 vcc_lo, v4, v2
	v_add_nc_u32_e32 v2, v6, v5
	v_ashrrev_i32_e32 v8, 2, v27
	v_mul_hi_i32 v27, 0x66666667, v18
	v_lshrrev_b32_e32 v5, 31, v25
	v_cndmask_b32_e64 v26, 0, 1, vcc_lo
	v_ashrrev_i32_e32 v6, 2, v25
	v_cmp_ne_u32_e32 vcc_lo, v2, v4
	v_add_nc_u32_e32 v4, v8, v7
	v_lshrrev_b32_e32 v7, 31, v29
	v_ashrrev_i32_e32 v8, 2, v29
	ds_store_b32 v1, v77
	v_cndmask_b32_e64 v25, 0, 1, vcc_lo
	v_cmp_ne_u32_e32 vcc_lo, v3, v2
	v_add_nc_u32_e32 v2, v6, v5
	v_lshrrev_b32_e32 v5, 31, v27
	v_ashrrev_i32_e32 v6, 2, v27
	s_waitcnt lgkmcnt(0)
	v_cndmask_b32_e64 v28, 0, 1, vcc_lo
	v_cmp_ne_u32_e32 vcc_lo, v2, v3
	s_barrier
	v_add_nc_u32_e32 v3, v6, v5
	v_mul_hi_i32 v5, 0x66666667, v20
	v_mul_hi_i32 v6, 0x66666667, v19
	v_cndmask_b32_e64 v27, 0, 1, vcc_lo
	v_cmp_ne_u32_e32 vcc_lo, v4, v2
	v_add_nc_u32_e32 v2, v8, v7
	buffer_gl0_inv
                                        ; implicit-def: $sgpr2
	v_cndmask_b32_e64 v30, 0, 1, vcc_lo
	v_cmp_ne_u32_e32 vcc_lo, v3, v4
	v_lshrrev_b32_e32 v7, 31, v5
	v_ashrrev_i32_e32 v5, 2, v5
	v_mul_hi_i32 v4, 0x66666667, v22
	v_lshrrev_b32_e32 v8, 31, v6
	v_cndmask_b32_e64 v29, 0, 1, vcc_lo
	v_cmp_ne_u32_e32 vcc_lo, v2, v3
	v_ashrrev_i32_e32 v6, 2, v6
	v_add_nc_u32_e32 v5, v5, v7
	v_mul_hi_i32 v3, 0x66666667, v21
	v_cndmask_b32_e64 v32, 0, 1, vcc_lo
	v_lshrrev_b32_e32 v31, 31, v4
	v_ashrrev_i32_e32 v4, 2, v4
	v_add_nc_u32_e32 v6, v6, v8
	v_cmp_ne_u32_e32 vcc_lo, v5, v2
	v_lshrrev_b32_e32 v7, 31, v3
	v_ashrrev_i32_e32 v3, 2, v3
	v_add_nc_u32_e32 v4, v4, v31
	v_cndmask_b32_e64 v31, 0, 1, vcc_lo
	v_cmp_ne_u32_e32 vcc_lo, v6, v5
	s_delay_alu instid0(VALU_DEP_4) | instskip(SKIP_3) | instid1(VALU_DEP_4)
	v_add_nc_u32_e32 v2, v3, v7
	v_cndmask_b32_e64 v34, 0, 1, vcc_lo
	v_cmp_ne_u32_e32 vcc_lo, v4, v6
	v_cndmask_b32_e64 v33, 0, 1, vcc_lo
	v_cmp_ne_u32_e32 vcc_lo, v2, v4
	v_cndmask_b32_e64 v36, 0, 1, vcc_lo
	v_cmpx_ne_u32_e32 0, v0
	s_xor_b32 s0, exec_lo, s0
	s_cbranch_execz .LBB379_74
; %bb.73:
	v_add_nc_u32_e32 v1, -4, v1
	s_or_b32 s28, s28, exec_lo
	ds_load_b32 v1, v1
	s_waitcnt lgkmcnt(0)
	v_mul_hi_i32 v1, 0x66666667, v1
	s_delay_alu instid0(VALU_DEP_1) | instskip(SKIP_1) | instid1(VALU_DEP_1)
	v_lshrrev_b32_e32 v3, 31, v1
	v_ashrrev_i32_e32 v1, 2, v1
	v_add_nc_u32_e32 v1, v1, v3
	s_delay_alu instid0(VALU_DEP_1)
	v_cmp_ne_u32_e32 vcc_lo, v1, v2
	s_and_b32 s2, vcc_lo, exec_lo
.LBB379_74:
	s_or_b32 exec_lo, exec_lo, s0
	s_mov_b32 s0, 1
	s_branch .LBB379_110
.LBB379_75:
	s_mul_hi_u32 s0, s16, 0xfffff100
	s_mul_i32 s1, s17, 0xfffff100
	s_sub_i32 s0, s0, s16
	s_mul_i32 s2, s16, 0xfffff100
	s_add_i32 s1, s0, s1
	s_add_u32 s0, s2, s40
	s_addc_u32 s1, s1, s41
	s_and_b32 vcc_lo, exec_lo, s29
	s_cbranch_vccz .LBB379_195
; %bb.76:
	v_add_co_u32 v1, s2, -4, s14
	s_delay_alu instid0(VALU_DEP_1)
	v_add_co_ci_u32_e64 v2, null, -1, s21, s2
	v_mad_u32_u24 v23, v0, 15, 14
	v_mov_b32_e32 v24, 0
	v_mov_b32_e32 v78, 0
	flat_load_b32 v3, v[1:2]
	v_lshlrev_b32_e32 v2, 2, v0
	v_mul_u32_u24_e32 v1, 15, v0
	s_mov_b32 s2, exec_lo
	ds_store_b32 v2, v77
	v_cmpx_gt_u64_e64 s[0:1], v[23:24]
; %bb.77:
	v_mul_hi_i32 v4, 0x66666667, v10
	v_mul_hi_i32 v5, 0x66666667, v77
	s_delay_alu instid0(VALU_DEP_2) | instskip(SKIP_1) | instid1(VALU_DEP_3)
	v_lshrrev_b32_e32 v6, 31, v4
	v_ashrrev_i32_e32 v4, 2, v4
	v_lshrrev_b32_e32 v7, 31, v5
	v_ashrrev_i32_e32 v5, 2, v5
	s_delay_alu instid0(VALU_DEP_3) | instskip(NEXT) | instid1(VALU_DEP_2)
	v_add_nc_u32_e32 v4, v4, v6
	v_add_nc_u32_e32 v5, v5, v7
	s_delay_alu instid0(VALU_DEP_1)
	v_cmp_ne_u32_e32 vcc_lo, v4, v5
	v_cndmask_b32_e64 v78, 0, 1, vcc_lo
; %bb.78:
	s_or_b32 exec_lo, exec_lo, s2
	v_add_nc_u32_e32 v23, 13, v1
	s_mov_b32 s2, exec_lo
	s_delay_alu instid0(VALU_DEP_1)
	v_cmpx_gt_u64_e64 s[0:1], v[23:24]
; %bb.79:
	v_mul_hi_i32 v4, 0x66666667, v9
	v_mul_hi_i32 v5, 0x66666667, v10
	s_delay_alu instid0(VALU_DEP_2) | instskip(SKIP_1) | instid1(VALU_DEP_3)
	v_lshrrev_b32_e32 v6, 31, v4
	v_ashrrev_i32_e32 v4, 2, v4
	v_lshrrev_b32_e32 v7, 31, v5
	v_ashrrev_i32_e32 v5, 2, v5
	s_delay_alu instid0(VALU_DEP_3) | instskip(NEXT) | instid1(VALU_DEP_2)
	v_add_nc_u32_e32 v4, v4, v6
	v_add_nc_u32_e32 v5, v5, v7
	s_delay_alu instid0(VALU_DEP_1)
	v_cmp_ne_u32_e32 vcc_lo, v4, v5
	v_cndmask_b32_e64 v24, 0, 1, vcc_lo
; %bb.80:
	s_or_b32 exec_lo, exec_lo, s2
	v_dual_mov_b32 v26, 0 :: v_dual_add_nc_u32 v25, 12, v1
	v_mov_b32_e32 v23, 0
	s_mov_b32 s2, exec_lo
	s_delay_alu instid0(VALU_DEP_2)
	v_cmpx_gt_u64_e64 s[0:1], v[25:26]
; %bb.81:
	v_mul_hi_i32 v4, 0x66666667, v12
	v_mul_hi_i32 v5, 0x66666667, v9
	s_delay_alu instid0(VALU_DEP_2) | instskip(SKIP_1) | instid1(VALU_DEP_3)
	v_lshrrev_b32_e32 v6, 31, v4
	v_ashrrev_i32_e32 v4, 2, v4
	v_lshrrev_b32_e32 v7, 31, v5
	v_ashrrev_i32_e32 v5, 2, v5
	s_delay_alu instid0(VALU_DEP_3) | instskip(NEXT) | instid1(VALU_DEP_2)
	v_add_nc_u32_e32 v4, v4, v6
	v_add_nc_u32_e32 v5, v5, v7
	s_delay_alu instid0(VALU_DEP_1)
	v_cmp_ne_u32_e32 vcc_lo, v4, v5
	v_cndmask_b32_e64 v23, 0, 1, vcc_lo
; %bb.82:
	s_or_b32 exec_lo, exec_lo, s2
	v_add_nc_u32_e32 v25, 11, v1
	s_mov_b32 s2, exec_lo
	s_delay_alu instid0(VALU_DEP_1)
	v_cmpx_gt_u64_e64 s[0:1], v[25:26]
; %bb.83:
	v_mul_hi_i32 v4, 0x66666667, v11
	v_mul_hi_i32 v5, 0x66666667, v12
	s_delay_alu instid0(VALU_DEP_2) | instskip(SKIP_1) | instid1(VALU_DEP_3)
	v_lshrrev_b32_e32 v6, 31, v4
	v_ashrrev_i32_e32 v4, 2, v4
	v_lshrrev_b32_e32 v7, 31, v5
	v_ashrrev_i32_e32 v5, 2, v5
	s_delay_alu instid0(VALU_DEP_3) | instskip(NEXT) | instid1(VALU_DEP_2)
	v_add_nc_u32_e32 v4, v4, v6
	v_add_nc_u32_e32 v5, v5, v7
	s_delay_alu instid0(VALU_DEP_1)
	v_cmp_ne_u32_e32 vcc_lo, v4, v5
	v_cndmask_b32_e64 v26, 0, 1, vcc_lo
; %bb.84:
	s_or_b32 exec_lo, exec_lo, s2
	v_dual_mov_b32 v28, 0 :: v_dual_add_nc_u32 v27, 10, v1
	v_mov_b32_e32 v25, 0
	s_mov_b32 s2, exec_lo
	s_delay_alu instid0(VALU_DEP_2)
	;; [unrolled: 41-line block ×6, first 2 shown]
	v_cmpx_gt_u64_e64 s[0:1], v[35:36]
; %bb.101:
	v_mul_hi_i32 v4, 0x66666667, v22
	v_mul_hi_i32 v5, 0x66666667, v19
	s_delay_alu instid0(VALU_DEP_2) | instskip(SKIP_1) | instid1(VALU_DEP_3)
	v_lshrrev_b32_e32 v6, 31, v4
	v_ashrrev_i32_e32 v4, 2, v4
	v_lshrrev_b32_e32 v7, 31, v5
	v_ashrrev_i32_e32 v5, 2, v5
	s_delay_alu instid0(VALU_DEP_3) | instskip(NEXT) | instid1(VALU_DEP_2)
	v_add_nc_u32_e32 v4, v4, v6
	v_add_nc_u32_e32 v5, v5, v7
	s_delay_alu instid0(VALU_DEP_1)
	v_cmp_ne_u32_e32 vcc_lo, v4, v5
	v_cndmask_b32_e64 v33, 0, 1, vcc_lo
; %bb.102:
	s_or_b32 exec_lo, exec_lo, s2
	v_add_nc_u32_e32 v35, 1, v1
	s_mov_b32 s2, exec_lo
	s_delay_alu instid0(VALU_DEP_1)
	v_cmpx_gt_u64_e64 s[0:1], v[35:36]
; %bb.103:
	v_mul_hi_i32 v4, 0x66666667, v21
	v_mul_hi_i32 v5, 0x66666667, v22
	s_delay_alu instid0(VALU_DEP_2) | instskip(SKIP_1) | instid1(VALU_DEP_3)
	v_lshrrev_b32_e32 v6, 31, v4
	v_ashrrev_i32_e32 v4, 2, v4
	v_lshrrev_b32_e32 v7, 31, v5
	v_ashrrev_i32_e32 v5, 2, v5
	s_delay_alu instid0(VALU_DEP_3) | instskip(NEXT) | instid1(VALU_DEP_2)
	v_add_nc_u32_e32 v4, v4, v6
	v_add_nc_u32_e32 v5, v5, v7
	s_delay_alu instid0(VALU_DEP_1)
	v_cmp_ne_u32_e32 vcc_lo, v4, v5
	v_cndmask_b32_e64 v36, 0, 1, vcc_lo
; %bb.104:
	s_or_b32 exec_lo, exec_lo, s2
	s_mov_b32 s2, 0
	s_mov_b32 s3, exec_lo
	s_waitcnt vmcnt(0) lgkmcnt(0)
	s_barrier
	buffer_gl0_inv
	v_cmpx_ne_u32_e32 0, v0
	s_cbranch_execz .LBB379_106
; %bb.105:
	v_add_nc_u32_e32 v2, -4, v2
	ds_load_b32 v3, v2
.LBB379_106:
	s_or_b32 exec_lo, exec_lo, s3
	v_mov_b32_e32 v2, 0
	s_mov_b32 s3, exec_lo
	s_delay_alu instid0(VALU_DEP_1)
	v_cmpx_gt_u64_e64 s[0:1], v[1:2]
	s_cbranch_execz .LBB379_108
; %bb.107:
	s_waitcnt lgkmcnt(0)
	v_mul_hi_i32 v1, 0x66666667, v3
	v_mul_hi_i32 v2, 0x66666667, v21
	s_delay_alu instid0(VALU_DEP_2) | instskip(SKIP_1) | instid1(VALU_DEP_3)
	v_lshrrev_b32_e32 v3, 31, v1
	v_ashrrev_i32_e32 v1, 2, v1
	v_lshrrev_b32_e32 v4, 31, v2
	v_ashrrev_i32_e32 v2, 2, v2
	s_delay_alu instid0(VALU_DEP_3) | instskip(NEXT) | instid1(VALU_DEP_2)
	v_add_nc_u32_e32 v1, v1, v3
	v_add_nc_u32_e32 v2, v2, v4
	s_delay_alu instid0(VALU_DEP_1)
	v_cmp_ne_u32_e32 vcc_lo, v1, v2
	s_and_b32 s2, vcc_lo, exec_lo
.LBB379_108:
	s_or_b32 exec_lo, exec_lo, s3
	s_mov_b32 s28, -1
.LBB379_109:
                                        ; implicit-def: $sgpr0
.LBB379_110:
	v_mov_b32_e32 v35, s0
	s_and_saveexec_b32 s0, s28
.LBB379_111:
	v_cndmask_b32_e64 v35, 0, 1, s2
.LBB379_112:
	s_or_b32 exec_lo, exec_lo, s0
	s_delay_alu instid0(VALU_DEP_1)
	v_add3_u32 v1, v36, v35, v33
	v_cmp_eq_u32_e64 s12, 0, v36
	v_cmp_eq_u32_e64 s11, 0, v33
	;; [unrolled: 1-line block ×4, first 2 shown]
	v_add3_u32 v84, v1, v34, v31
	v_cmp_eq_u32_e64 s8, 0, v32
	v_cmp_eq_u32_e64 s7, 0, v29
	;; [unrolled: 1-line block ×9, first 2 shown]
	v_cmp_eq_u32_e32 vcc_lo, 0, v78
	v_mbcnt_lo_u32_b32 v81, -1, 0
	v_lshrrev_b32_e32 v82, 5, v0
	v_or_b32_e32 v83, 31, v0
	s_cmp_eq_u64 s[26:27], 0
	s_cselect_b32 s16, -1, 0
	s_cmp_lg_u32 s15, 0
	s_cbranch_scc0 .LBB379_143
; %bb.113:
	v_cndmask_b32_e64 v1, 0, v49, s12
	v_add3_u32 v2, v84, v32, v29
	s_delay_alu instid0(VALU_DEP_2) | instskip(NEXT) | instid1(VALU_DEP_2)
	v_add_nc_u32_e32 v1, v1, v50
	v_add3_u32 v2, v2, v30, v27
	s_delay_alu instid0(VALU_DEP_2) | instskip(NEXT) | instid1(VALU_DEP_2)
	v_cndmask_b32_e64 v1, 0, v1, s11
	v_add3_u32 v2, v2, v28, v25
	s_delay_alu instid0(VALU_DEP_2) | instskip(NEXT) | instid1(VALU_DEP_2)
	v_add_nc_u32_e32 v1, v1, v47
	v_add3_u32 v2, v2, v26, v23
	s_delay_alu instid0(VALU_DEP_2) | instskip(NEXT) | instid1(VALU_DEP_2)
	v_cndmask_b32_e64 v1, 0, v1, s10
	v_add3_u32 v2, v2, v24, v78
	s_delay_alu instid0(VALU_DEP_2) | instskip(NEXT) | instid1(VALU_DEP_2)
	v_add_nc_u32_e32 v1, v1, v48
	v_mov_b32_dpp v5, v2 row_shr:1 row_mask:0xf bank_mask:0xf
	s_delay_alu instid0(VALU_DEP_2) | instskip(NEXT) | instid1(VALU_DEP_1)
	v_cndmask_b32_e64 v1, 0, v1, s9
	v_add_nc_u32_e32 v1, v1, v45
	s_delay_alu instid0(VALU_DEP_1) | instskip(NEXT) | instid1(VALU_DEP_1)
	v_cndmask_b32_e64 v1, 0, v1, s8
	v_add_nc_u32_e32 v1, v1, v46
	s_delay_alu instid0(VALU_DEP_1) | instskip(NEXT) | instid1(VALU_DEP_1)
	;; [unrolled: 3-line block ×9, first 2 shown]
	v_cndmask_b32_e64 v1, 0, v1, s0
	v_add_nc_u32_e32 v1, v1, v38
	s_delay_alu instid0(VALU_DEP_1) | instskip(SKIP_1) | instid1(VALU_DEP_2)
	v_cndmask_b32_e32 v1, 0, v1, vcc_lo
	v_cmp_eq_u32_e32 vcc_lo, 0, v2
	v_add_nc_u32_e32 v1, v1, v79
	s_waitcnt lgkmcnt(0)
	s_delay_alu instid0(VALU_DEP_1) | instskip(NEXT) | instid1(VALU_DEP_1)
	v_mov_b32_dpp v3, v1 row_shr:1 row_mask:0xf bank_mask:0xf
	v_dual_cndmask_b32 v3, 0, v3 :: v_dual_and_b32 v4, 15, v81
	s_delay_alu instid0(VALU_DEP_1) | instskip(SKIP_2) | instid1(VALU_DEP_4)
	v_cmp_eq_u32_e32 vcc_lo, 0, v4
	v_cmp_lt_u32_e64 s13, 1, v4
	v_cndmask_b32_e64 v5, v5, 0, vcc_lo
	v_cndmask_b32_e64 v3, v3, 0, vcc_lo
	s_delay_alu instid0(VALU_DEP_2) | instskip(NEXT) | instid1(VALU_DEP_2)
	v_add_nc_u32_e32 v2, v5, v2
	v_add_nc_u32_e32 v1, v3, v1
	s_delay_alu instid0(VALU_DEP_2) | instskip(SKIP_1) | instid1(VALU_DEP_3)
	v_mov_b32_dpp v3, v2 row_shr:2 row_mask:0xf bank_mask:0xf
	v_cmp_eq_u32_e32 vcc_lo, 0, v2
	v_mov_b32_dpp v5, v1 row_shr:2 row_mask:0xf bank_mask:0xf
	s_delay_alu instid0(VALU_DEP_3) | instskip(SKIP_2) | instid1(VALU_DEP_2)
	v_cndmask_b32_e64 v3, 0, v3, s13
	s_and_b32 vcc_lo, s13, vcc_lo
	v_cmp_lt_u32_e64 s13, 3, v4
	v_dual_cndmask_b32 v5, 0, v5 :: v_dual_add_nc_u32 v2, v2, v3
	s_delay_alu instid0(VALU_DEP_1) | instskip(NEXT) | instid1(VALU_DEP_2)
	v_add_nc_u32_e32 v1, v5, v1
	v_mov_b32_dpp v3, v2 row_shr:4 row_mask:0xf bank_mask:0xf
	v_cmp_eq_u32_e32 vcc_lo, 0, v2
	s_delay_alu instid0(VALU_DEP_3) | instskip(NEXT) | instid1(VALU_DEP_3)
	v_mov_b32_dpp v5, v1 row_shr:4 row_mask:0xf bank_mask:0xf
	v_cndmask_b32_e64 v3, 0, v3, s13
	s_and_b32 vcc_lo, s13, vcc_lo
	v_cmp_lt_u32_e64 s13, 7, v4
	s_delay_alu instid0(VALU_DEP_2) | instskip(NEXT) | instid1(VALU_DEP_1)
	v_dual_cndmask_b32 v5, 0, v5 :: v_dual_add_nc_u32 v2, v3, v2
	v_add_nc_u32_e32 v1, v1, v5
	v_bfe_i32 v5, v81, 4, 1
	s_delay_alu instid0(VALU_DEP_3) | instskip(SKIP_1) | instid1(VALU_DEP_4)
	v_cmp_eq_u32_e32 vcc_lo, 0, v2
	v_mov_b32_dpp v3, v2 row_shr:8 row_mask:0xf bank_mask:0xf
	v_mov_b32_dpp v4, v1 row_shr:8 row_mask:0xf bank_mask:0xf
	s_and_b32 vcc_lo, s13, vcc_lo
	s_delay_alu instid0(VALU_DEP_2) | instskip(SKIP_1) | instid1(VALU_DEP_2)
	v_cndmask_b32_e64 v3, 0, v3, s13
	s_mov_b32 s13, exec_lo
	v_cndmask_b32_e32 v4, 0, v4, vcc_lo
	s_delay_alu instid0(VALU_DEP_1) | instskip(NEXT) | instid1(VALU_DEP_3)
	v_add_nc_u32_e32 v4, v4, v1
	v_add_nc_u32_e32 v1, v3, v2
	ds_swizzle_b32 v2, v4 offset:swizzle(BROADCAST,32,15)
	ds_swizzle_b32 v3, v1 offset:swizzle(BROADCAST,32,15)
	v_cmp_eq_u32_e32 vcc_lo, 0, v1
	s_waitcnt lgkmcnt(0)
	v_dual_cndmask_b32 v2, 0, v2 :: v_dual_and_b32 v3, v5, v3
	s_delay_alu instid0(VALU_DEP_1) | instskip(NEXT) | instid1(VALU_DEP_2)
	v_and_b32_e32 v2, v5, v2
	v_add_nc_u32_e32 v1, v3, v1
	v_lshlrev_b32_e32 v3, 3, v82
	s_delay_alu instid0(VALU_DEP_3)
	v_add_nc_u32_e32 v2, v2, v4
	v_cmpx_eq_u32_e64 v83, v0
	s_cbranch_execz .LBB379_115
; %bb.114:
	ds_store_b64 v3, v[1:2] offset:2064
.LBB379_115:
	s_or_b32 exec_lo, exec_lo, s13
	s_delay_alu instid0(SALU_CYCLE_1)
	s_mov_b32 s14, exec_lo
	s_waitcnt lgkmcnt(0)
	s_barrier
	buffer_gl0_inv
	v_cmpx_gt_u32_e32 8, v0
	s_cbranch_execz .LBB379_117
; %bb.116:
	v_lshlrev_b32_e32 v6, 3, v0
	v_and_b32_e32 v8, 7, v81
	ds_load_b64 v[4:5], v6 offset:2064
	v_cmp_lt_u32_e64 s13, 1, v8
	s_waitcnt lgkmcnt(0)
	v_mov_b32_dpp v7, v5 row_shr:1 row_mask:0xf bank_mask:0xf
	v_cmp_eq_u32_e32 vcc_lo, 0, v4
	v_mov_b32_dpp v51, v4 row_shr:1 row_mask:0xf bank_mask:0xf
	s_delay_alu instid0(VALU_DEP_3) | instskip(SKIP_1) | instid1(VALU_DEP_3)
	v_cndmask_b32_e32 v7, 0, v7, vcc_lo
	v_cmp_eq_u32_e32 vcc_lo, 0, v8
	v_cndmask_b32_e64 v51, v51, 0, vcc_lo
	s_delay_alu instid0(VALU_DEP_3) | instskip(NEXT) | instid1(VALU_DEP_2)
	v_cndmask_b32_e64 v7, v7, 0, vcc_lo
	v_add_nc_u32_e32 v4, v51, v4
	s_delay_alu instid0(VALU_DEP_2) | instskip(NEXT) | instid1(VALU_DEP_2)
	v_add_nc_u32_e32 v5, v7, v5
	v_mov_b32_dpp v7, v4 row_shr:2 row_mask:0xf bank_mask:0xf
	v_cmp_eq_u32_e32 vcc_lo, 0, v4
	s_delay_alu instid0(VALU_DEP_3) | instskip(NEXT) | instid1(VALU_DEP_3)
	v_mov_b32_dpp v51, v5 row_shr:2 row_mask:0xf bank_mask:0xf
	v_cndmask_b32_e64 v7, 0, v7, s13
	s_and_b32 vcc_lo, s13, vcc_lo
	s_delay_alu instid0(VALU_DEP_2) | instskip(SKIP_1) | instid1(VALU_DEP_3)
	v_cndmask_b32_e32 v51, 0, v51, vcc_lo
	v_cmp_lt_u32_e64 s13, 3, v8
	v_add_nc_u32_e32 v4, v7, v4
	s_delay_alu instid0(VALU_DEP_3) | instskip(NEXT) | instid1(VALU_DEP_2)
	v_add_nc_u32_e32 v5, v51, v5
	v_cmp_eq_u32_e32 vcc_lo, 0, v4
	v_mov_b32_dpp v7, v4 row_shr:4 row_mask:0xf bank_mask:0xf
	s_delay_alu instid0(VALU_DEP_3) | instskip(SKIP_1) | instid1(VALU_DEP_2)
	v_mov_b32_dpp v8, v5 row_shr:4 row_mask:0xf bank_mask:0xf
	s_and_b32 vcc_lo, s13, vcc_lo
	v_cndmask_b32_e64 v7, 0, v7, s13
	s_delay_alu instid0(VALU_DEP_2) | instskip(NEXT) | instid1(VALU_DEP_2)
	v_cndmask_b32_e32 v8, 0, v8, vcc_lo
	v_add_nc_u32_e32 v4, v7, v4
	s_delay_alu instid0(VALU_DEP_2)
	v_add_nc_u32_e32 v5, v8, v5
	ds_store_b64 v6, v[4:5] offset:2064
.LBB379_117:
	s_or_b32 exec_lo, exec_lo, s14
	v_cmp_gt_u32_e32 vcc_lo, 32, v0
	v_dual_mov_b32 v51, 0 :: v_dual_mov_b32 v52, 0
	s_mov_b32 s14, exec_lo
	s_waitcnt lgkmcnt(0)
	s_barrier
	buffer_gl0_inv
	v_cmpx_lt_u32_e32 31, v0
	s_cbranch_execz .LBB379_119
; %bb.118:
	ds_load_b64 v[51:52], v3 offset:2056
	v_cmp_eq_u32_e64 s13, 0, v1
	s_waitcnt lgkmcnt(0)
	s_delay_alu instid0(VALU_DEP_1) | instskip(SKIP_1) | instid1(VALU_DEP_2)
	v_cndmask_b32_e64 v3, 0, v52, s13
	v_add_nc_u32_e32 v1, v51, v1
	v_add_nc_u32_e32 v2, v3, v2
.LBB379_119:
	s_or_b32 exec_lo, exec_lo, s14
	v_add_nc_u32_e32 v3, -1, v81
	s_delay_alu instid0(VALU_DEP_1) | instskip(NEXT) | instid1(VALU_DEP_1)
	v_cmp_gt_i32_e64 s13, 0, v3
	v_cndmask_b32_e64 v3, v3, v81, s13
	v_cmp_eq_u32_e64 s13, 0, v81
	s_delay_alu instid0(VALU_DEP_2)
	v_lshlrev_b32_e32 v3, 2, v3
	ds_bpermute_b32 v57, v3, v1
	ds_bpermute_b32 v58, v3, v2
	s_and_saveexec_b32 s17, vcc_lo
	s_cbranch_execz .LBB379_142
; %bb.120:
	v_mov_b32_e32 v4, 0
	ds_load_b64 v[1:2], v4 offset:2120
	s_waitcnt lgkmcnt(0)
	v_readfirstlane_b32 s21, v2
	s_and_saveexec_b32 s14, s13
	s_cbranch_execz .LBB379_122
; %bb.121:
	s_add_i32 s26, s15, 32
	s_mov_b32 s27, 0
	v_mov_b32_e32 v3, 1
	s_lshl_b64 s[28:29], s[26:27], 4
	s_mov_b32 s30, s27
	s_add_u32 s28, s24, s28
	s_addc_u32 s29, s25, s29
	s_and_b32 s31, s21, 0xff000000
	s_and_b32 s41, s21, 0xff0000
	s_mov_b32 s40, s27
	v_dual_mov_b32 v5, s28 :: v_dual_mov_b32 v6, s29
	s_or_b64 s[30:31], s[40:41], s[30:31]
	s_and_b32 s41, s21, 0xff00
	s_delay_alu instid0(SALU_CYCLE_1) | instskip(SKIP_1) | instid1(SALU_CYCLE_1)
	s_or_b64 s[30:31], s[30:31], s[40:41]
	s_and_b32 s41, s21, 0xff
	s_or_b64 s[26:27], s[30:31], s[40:41]
	s_delay_alu instid0(SALU_CYCLE_1)
	v_mov_b32_e32 v2, s27
	;;#ASMSTART
	global_store_dwordx4 v[5:6], v[1:4] off	
s_waitcnt vmcnt(0)
	;;#ASMEND
.LBB379_122:
	s_or_b32 exec_lo, exec_lo, s14
	v_xad_u32 v53, v81, -1, s15
	s_mov_b32 s26, 0
	s_mov_b32 s14, exec_lo
	s_delay_alu instid0(VALU_DEP_1) | instskip(NEXT) | instid1(VALU_DEP_1)
	v_add_nc_u32_e32 v3, 32, v53
	v_lshlrev_b64 v[2:3], 4, v[3:4]
	s_delay_alu instid0(VALU_DEP_1) | instskip(NEXT) | instid1(VALU_DEP_2)
	v_add_co_u32 v2, vcc_lo, s24, v2
	v_add_co_ci_u32_e32 v3, vcc_lo, s25, v3, vcc_lo
	;;#ASMSTART
	global_load_dwordx4 v[5:8], v[2:3] off glc	
s_waitcnt vmcnt(0)
	;;#ASMEND
	v_and_b32_e32 v4, 0xff, v6
	v_and_b32_e32 v8, 0xff00, v6
	;; [unrolled: 1-line block ×3, first 2 shown]
	v_or3_b32 v5, v5, 0, 0
	v_and_b32_e32 v6, 0xff000000, v6
	s_delay_alu instid0(VALU_DEP_4) | instskip(SKIP_1) | instid1(VALU_DEP_4)
	v_or3_b32 v4, 0, v4, v8
	v_and_b32_e32 v8, 0xff, v7
	v_or3_b32 v5, v5, 0, 0
	s_delay_alu instid0(VALU_DEP_3) | instskip(NEXT) | instid1(VALU_DEP_3)
	v_or3_b32 v6, v4, v54, v6
	v_cmpx_eq_u16_e32 0, v8
	s_cbranch_execz .LBB379_128
; %bb.123:
	s_mov_b32 s27, 1
	.p2align	6
.LBB379_124:                            ; =>This Loop Header: Depth=1
                                        ;     Child Loop BB379_125 Depth 2
	s_delay_alu instid0(SALU_CYCLE_1)
	s_max_u32 s28, s27, 1
.LBB379_125:                            ;   Parent Loop BB379_124 Depth=1
                                        ; =>  This Inner Loop Header: Depth=2
	s_delay_alu instid0(SALU_CYCLE_1)
	s_add_i32 s28, s28, -1
	s_sleep 1
	s_cmp_eq_u32 s28, 0
	s_cbranch_scc0 .LBB379_125
; %bb.126:                              ;   in Loop: Header=BB379_124 Depth=1
	;;#ASMSTART
	global_load_dwordx4 v[5:8], v[2:3] off glc	
s_waitcnt vmcnt(0)
	;;#ASMEND
	v_and_b32_e32 v4, 0xff, v7
	s_cmp_lt_u32 s27, 32
	s_cselect_b32 s28, -1, 0
	s_delay_alu instid0(VALU_DEP_1) | instskip(SKIP_3) | instid1(SALU_CYCLE_1)
	v_cmp_ne_u16_e32 vcc_lo, 0, v4
	s_cmp_lg_u32 s28, 0
	s_addc_u32 s27, s27, 0
	s_or_b32 s26, vcc_lo, s26
	s_and_not1_b32 exec_lo, exec_lo, s26
	s_cbranch_execnz .LBB379_124
; %bb.127:
	s_or_b32 exec_lo, exec_lo, s26
.LBB379_128:
	s_delay_alu instid0(SALU_CYCLE_1)
	s_or_b32 exec_lo, exec_lo, s14
	v_cmp_ne_u32_e32 vcc_lo, 31, v81
	v_and_b32_e32 v3, 0xff, v7
	v_lshlrev_b32_e64 v59, v81, -1
	v_add_nc_u32_e32 v61, 2, v81
	v_add_nc_u32_e32 v63, 4, v81
	v_add_co_ci_u32_e32 v2, vcc_lo, 0, v81, vcc_lo
	v_cmp_eq_u16_e32 vcc_lo, 2, v3
	v_add_nc_u32_e32 v65, 8, v81
	v_add_nc_u32_e32 v67, 16, v81
	v_and_or_b32 v8, vcc_lo, v59, 0x80000000
	v_cmp_gt_u32_e32 vcc_lo, 30, v81
	s_delay_alu instid0(VALU_DEP_2) | instskip(SKIP_2) | instid1(VALU_DEP_3)
	v_ctz_i32_b32_e32 v8, v8
	v_cndmask_b32_e64 v54, 0, 1, vcc_lo
	v_cmp_eq_u32_e32 vcc_lo, 0, v5
	v_cmp_lt_u32_e64 s14, v81, v8
	s_delay_alu instid0(VALU_DEP_3) | instskip(NEXT) | instid1(VALU_DEP_2)
	v_lshlrev_b32_e32 v54, 1, v54
	s_and_b32 vcc_lo, s14, vcc_lo
	v_lshlrev_b32_e32 v2, 2, v2
	s_delay_alu instid0(VALU_DEP_2)
	v_add_lshl_u32 v60, v54, v81, 2
	ds_bpermute_b32 v3, v2, v6
	s_waitcnt lgkmcnt(0)
	v_cndmask_b32_e32 v3, 0, v3, vcc_lo
	ds_bpermute_b32 v4, v2, v5
	v_cmp_gt_u32_e32 vcc_lo, 28, v81
	v_add_nc_u32_e32 v3, v3, v6
	ds_bpermute_b32 v6, v60, v3
	s_waitcnt lgkmcnt(1)
	v_cndmask_b32_e64 v4, 0, v4, s14
	s_delay_alu instid0(VALU_DEP_1) | instskip(SKIP_1) | instid1(VALU_DEP_2)
	v_add_nc_u32_e32 v4, v4, v5
	v_cndmask_b32_e64 v5, 0, 1, vcc_lo
	v_cmp_eq_u32_e32 vcc_lo, 0, v4
	ds_bpermute_b32 v54, v60, v4
	s_waitcnt lgkmcnt(1)
	v_dual_cndmask_b32 v6, 0, v6 :: v_dual_lshlrev_b32 v5, 2, v5
	v_cmp_gt_u32_e32 vcc_lo, v61, v8
	s_delay_alu instid0(VALU_DEP_2) | instskip(NEXT) | instid1(VALU_DEP_3)
	v_add_lshl_u32 v62, v5, v81, 2
	v_cndmask_b32_e64 v6, v6, 0, vcc_lo
	s_delay_alu instid0(VALU_DEP_1) | instskip(SKIP_4) | instid1(VALU_DEP_2)
	v_add_nc_u32_e32 v3, v6, v3
	ds_bpermute_b32 v5, v62, v3
	s_waitcnt lgkmcnt(1)
	v_cndmask_b32_e64 v6, v54, 0, vcc_lo
	v_cmp_gt_u32_e32 vcc_lo, 24, v81
	v_add_nc_u32_e32 v4, v4, v6
	v_cndmask_b32_e64 v54, 0, 1, vcc_lo
	ds_bpermute_b32 v6, v62, v4
	v_cmp_eq_u32_e32 vcc_lo, 0, v4
	v_lshlrev_b32_e32 v54, 3, v54
	s_delay_alu instid0(VALU_DEP_1) | instskip(SKIP_3) | instid1(VALU_DEP_2)
	v_add_lshl_u32 v64, v54, v81, 2
	s_waitcnt lgkmcnt(1)
	v_cndmask_b32_e32 v5, 0, v5, vcc_lo
	v_cmp_gt_u32_e32 vcc_lo, v63, v8
	v_cndmask_b32_e64 v5, v5, 0, vcc_lo
	s_delay_alu instid0(VALU_DEP_1)
	v_add_nc_u32_e32 v3, v3, v5
	s_waitcnt lgkmcnt(0)
	v_cndmask_b32_e64 v6, v6, 0, vcc_lo
	v_cmp_gt_u32_e32 vcc_lo, 16, v81
	ds_bpermute_b32 v5, v64, v3
	v_add_nc_u32_e32 v4, v4, v6
	v_cndmask_b32_e64 v54, 0, 1, vcc_lo
	ds_bpermute_b32 v6, v64, v4
	v_cmp_eq_u32_e32 vcc_lo, 0, v4
	v_lshlrev_b32_e32 v54, 4, v54
	s_delay_alu instid0(VALU_DEP_1) | instskip(SKIP_3) | instid1(VALU_DEP_2)
	v_add_lshl_u32 v66, v54, v81, 2
	s_waitcnt lgkmcnt(1)
	v_dual_mov_b32 v54, 0 :: v_dual_cndmask_b32 v5, 0, v5
	v_cmp_gt_u32_e32 vcc_lo, v65, v8
	v_cndmask_b32_e64 v5, v5, 0, vcc_lo
	s_delay_alu instid0(VALU_DEP_1)
	v_add_nc_u32_e32 v3, v3, v5
	s_waitcnt lgkmcnt(0)
	v_cndmask_b32_e64 v5, v6, 0, vcc_lo
	ds_bpermute_b32 v6, v66, v3
	v_add_nc_u32_e32 v4, v4, v5
	ds_bpermute_b32 v5, v66, v4
	v_cmp_eq_u32_e32 vcc_lo, 0, v4
	s_waitcnt lgkmcnt(1)
	v_cndmask_b32_e32 v6, 0, v6, vcc_lo
	v_cmp_gt_u32_e32 vcc_lo, v67, v8
	s_delay_alu instid0(VALU_DEP_2) | instskip(SKIP_2) | instid1(VALU_DEP_2)
	v_cndmask_b32_e64 v6, v6, 0, vcc_lo
	s_waitcnt lgkmcnt(0)
	v_cndmask_b32_e64 v5, v5, 0, vcc_lo
	v_add_nc_u32_e32 v6, v6, v3
	s_delay_alu instid0(VALU_DEP_2)
	v_add_nc_u32_e32 v5, v5, v4
	s_branch .LBB379_130
.LBB379_129:                            ;   in Loop: Header=BB379_130 Depth=1
	s_or_b32 exec_lo, exec_lo, s14
	v_and_b32_e32 v8, 0xff, v7
	ds_bpermute_b32 v55, v2, v5
	v_subrev_nc_u32_e32 v53, 32, v53
	v_cmp_eq_u16_e32 vcc_lo, 2, v8
	ds_bpermute_b32 v8, v2, v6
	v_and_or_b32 v56, vcc_lo, v59, 0x80000000
	v_cmp_eq_u32_e32 vcc_lo, 0, v5
	s_delay_alu instid0(VALU_DEP_2) | instskip(NEXT) | instid1(VALU_DEP_1)
	v_ctz_i32_b32_e32 v56, v56
	v_cmp_lt_u32_e64 s14, v81, v56
	s_delay_alu instid0(VALU_DEP_1) | instskip(SKIP_4) | instid1(VALU_DEP_2)
	s_and_b32 vcc_lo, s14, vcc_lo
	s_waitcnt lgkmcnt(1)
	v_cndmask_b32_e64 v55, 0, v55, s14
	s_waitcnt lgkmcnt(0)
	v_cndmask_b32_e32 v8, 0, v8, vcc_lo
	v_add_nc_u32_e32 v5, v55, v5
	s_delay_alu instid0(VALU_DEP_2)
	v_add_nc_u32_e32 v6, v8, v6
	ds_bpermute_b32 v55, v60, v5
	ds_bpermute_b32 v8, v60, v6
	v_cmp_eq_u32_e32 vcc_lo, 0, v5
	s_waitcnt lgkmcnt(0)
	v_cndmask_b32_e32 v8, 0, v8, vcc_lo
	v_cmp_gt_u32_e32 vcc_lo, v61, v56
	v_cndmask_b32_e64 v55, v55, 0, vcc_lo
	s_delay_alu instid0(VALU_DEP_1) | instskip(NEXT) | instid1(VALU_DEP_4)
	v_add_nc_u32_e32 v5, v5, v55
	v_cndmask_b32_e64 v8, v8, 0, vcc_lo
	ds_bpermute_b32 v55, v62, v5
	v_add_nc_u32_e32 v6, v8, v6
	v_cmp_eq_u32_e32 vcc_lo, 0, v5
	ds_bpermute_b32 v8, v62, v6
	s_waitcnt lgkmcnt(0)
	v_cndmask_b32_e32 v8, 0, v8, vcc_lo
	v_cmp_gt_u32_e32 vcc_lo, v63, v56
	v_cndmask_b32_e64 v55, v55, 0, vcc_lo
	s_delay_alu instid0(VALU_DEP_1) | instskip(NEXT) | instid1(VALU_DEP_4)
	v_add_nc_u32_e32 v5, v5, v55
	v_cndmask_b32_e64 v8, v8, 0, vcc_lo
	ds_bpermute_b32 v55, v64, v5
	v_add_nc_u32_e32 v6, v6, v8
	v_cmp_eq_u32_e32 vcc_lo, 0, v5
	ds_bpermute_b32 v8, v64, v6
	;; [unrolled: 11-line block ×3, first 2 shown]
	s_waitcnt lgkmcnt(0)
	v_cndmask_b32_e32 v8, 0, v8, vcc_lo
	v_cmp_gt_u32_e32 vcc_lo, v67, v56
	s_delay_alu instid0(VALU_DEP_2) | instskip(NEXT) | instid1(VALU_DEP_1)
	v_cndmask_b32_e64 v8, v8, 0, vcc_lo
	v_add_nc_u32_e32 v6, v8, v6
	v_cndmask_b32_e64 v8, v55, 0, vcc_lo
	v_cmp_eq_u32_e32 vcc_lo, 0, v3
	s_delay_alu instid0(VALU_DEP_2) | instskip(NEXT) | instid1(VALU_DEP_4)
	v_add3_u32 v5, v5, v3, v8
	v_cndmask_b32_e32 v6, 0, v6, vcc_lo
	s_delay_alu instid0(VALU_DEP_1)
	v_add_nc_u32_e32 v6, v6, v4
.LBB379_130:                            ; =>This Loop Header: Depth=1
                                        ;     Child Loop BB379_133 Depth 2
                                        ;       Child Loop BB379_134 Depth 3
	s_delay_alu instid0(VALU_DEP_1) | instskip(NEXT) | instid1(VALU_DEP_1)
	v_dual_mov_b32 v4, v6 :: v_dual_and_b32 v3, 0xff, v7
	v_cmp_ne_u16_e32 vcc_lo, 2, v3
	v_cndmask_b32_e64 v3, 0, 1, vcc_lo
	;;#ASMSTART
	;;#ASMEND
	s_delay_alu instid0(VALU_DEP_1)
	v_cmp_ne_u32_e32 vcc_lo, 0, v3
	v_mov_b32_e32 v3, v5
	s_cmp_lg_u32 vcc_lo, exec_lo
	s_cbranch_scc1 .LBB379_137
; %bb.131:                              ;   in Loop: Header=BB379_130 Depth=1
	v_lshlrev_b64 v[5:6], 4, v[53:54]
	s_mov_b32 s14, exec_lo
	s_delay_alu instid0(VALU_DEP_1) | instskip(NEXT) | instid1(VALU_DEP_2)
	v_add_co_u32 v55, vcc_lo, s24, v5
	v_add_co_ci_u32_e32 v56, vcc_lo, s25, v6, vcc_lo
	;;#ASMSTART
	global_load_dwordx4 v[5:8], v[55:56] off glc	
s_waitcnt vmcnt(0)
	;;#ASMEND
	v_and_b32_e32 v8, 0xff, v6
	v_and_b32_e32 v68, 0xff00, v6
	;; [unrolled: 1-line block ×3, first 2 shown]
	v_or3_b32 v5, v5, 0, 0
	v_and_b32_e32 v6, 0xff000000, v6
	s_delay_alu instid0(VALU_DEP_4) | instskip(SKIP_1) | instid1(VALU_DEP_4)
	v_or3_b32 v8, 0, v8, v68
	v_and_b32_e32 v68, 0xff, v7
	v_or3_b32 v5, v5, 0, 0
	s_delay_alu instid0(VALU_DEP_3) | instskip(NEXT) | instid1(VALU_DEP_3)
	v_or3_b32 v6, v8, v69, v6
	v_cmpx_eq_u16_e32 0, v68
	s_cbranch_execz .LBB379_129
; %bb.132:                              ;   in Loop: Header=BB379_130 Depth=1
	s_mov_b32 s27, 1
	s_mov_b32 s26, 0
	.p2align	6
.LBB379_133:                            ;   Parent Loop BB379_130 Depth=1
                                        ; =>  This Loop Header: Depth=2
                                        ;       Child Loop BB379_134 Depth 3
	s_max_u32 s28, s27, 1
.LBB379_134:                            ;   Parent Loop BB379_130 Depth=1
                                        ;     Parent Loop BB379_133 Depth=2
                                        ; =>    This Inner Loop Header: Depth=3
	s_delay_alu instid0(SALU_CYCLE_1)
	s_add_i32 s28, s28, -1
	s_sleep 1
	s_cmp_eq_u32 s28, 0
	s_cbranch_scc0 .LBB379_134
; %bb.135:                              ;   in Loop: Header=BB379_133 Depth=2
	;;#ASMSTART
	global_load_dwordx4 v[5:8], v[55:56] off glc	
s_waitcnt vmcnt(0)
	;;#ASMEND
	v_and_b32_e32 v8, 0xff, v7
	s_cmp_lt_u32 s27, 32
	s_cselect_b32 s28, -1, 0
	s_delay_alu instid0(SALU_CYCLE_1) | instskip(NEXT) | instid1(VALU_DEP_1)
	s_cmp_lg_u32 s28, 0
	v_cmp_ne_u16_e32 vcc_lo, 0, v8
	s_addc_u32 s27, s27, 0
	s_or_b32 s26, vcc_lo, s26
	s_delay_alu instid0(SALU_CYCLE_1)
	s_and_not1_b32 exec_lo, exec_lo, s26
	s_cbranch_execnz .LBB379_133
; %bb.136:                              ;   in Loop: Header=BB379_130 Depth=1
	s_or_b32 exec_lo, exec_lo, s26
	s_branch .LBB379_129
.LBB379_137:                            ;   in Loop: Header=BB379_130 Depth=1
                                        ; implicit-def: $vgpr6
                                        ; implicit-def: $vgpr5
                                        ; implicit-def: $vgpr7
	s_cbranch_execz .LBB379_130
; %bb.138:
	s_and_saveexec_b32 s14, s13
	s_cbranch_execz .LBB379_140
; %bb.139:
	v_cmp_eq_u32_e32 vcc_lo, 0, v1
	s_mov_b32 s27, 0
	s_add_i32 s26, s15, 32
	v_add_nc_u32_e32 v5, v3, v1
	s_lshl_b64 s[26:27], s[26:27], 4
	v_cndmask_b32_e32 v2, 0, v4, vcc_lo
	s_add_u32 s26, s24, s26
	s_addc_u32 s27, s25, s27
	v_mov_b32_e32 v8, 0
	s_delay_alu instid0(VALU_DEP_2) | instskip(NEXT) | instid1(VALU_DEP_1)
	v_add_nc_u32_e32 v2, s21, v2
	v_and_b32_e32 v6, 0xff000000, v2
	v_and_b32_e32 v7, 0xff0000, v2
	s_delay_alu instid0(VALU_DEP_1) | instskip(SKIP_3) | instid1(VALU_DEP_1)
	v_or_b32_e32 v6, v7, v6
	v_mov_b32_e32 v7, 2
	v_and_b32_e32 v53, 0xff00, v2
	v_and_b32_e32 v2, 0xff, v2
	v_or3_b32 v6, v6, v53, v2
	v_mov_b32_e32 v2, s21
	v_dual_mov_b32 v54, s27 :: v_dual_mov_b32 v53, s26
	;;#ASMSTART
	global_store_dwordx4 v[53:54], v[5:8] off	
s_waitcnt vmcnt(0)
	;;#ASMEND
	ds_store_b128 v8, v[1:4] offset:2048
.LBB379_140:
	s_or_b32 exec_lo, exec_lo, s14
	v_cmp_eq_u32_e32 vcc_lo, 0, v0
	s_and_b32 exec_lo, exec_lo, vcc_lo
	s_cbranch_execz .LBB379_142
; %bb.141:
	v_mov_b32_e32 v1, 0
	ds_store_b64 v1, v[3:4] offset:2120
.LBB379_142:
	s_or_b32 exec_lo, exec_lo, s17
	s_waitcnt lgkmcnt(1)
	v_cndmask_b32_e64 v4, v57, v51, s13
	s_waitcnt lgkmcnt(0)
	s_barrier
	buffer_gl0_inv
	v_cndmask_b32_e64 v5, v58, v52, s13
	v_cmp_eq_u32_e32 vcc_lo, 0, v4
	v_mov_b32_e32 v3, 0
	v_cmp_eq_u32_e64 s13, 0, v35
	ds_load_b64 v[1:2], v3 offset:2120
	s_waitcnt lgkmcnt(0)
	s_barrier
	buffer_gl0_inv
	v_cndmask_b32_e32 v6, 0, v2, vcc_lo
	v_cmp_eq_u32_e32 vcc_lo, 0, v0
	s_delay_alu instid0(VALU_DEP_2) | instskip(NEXT) | instid1(VALU_DEP_1)
	v_add_nc_u32_e32 v5, v6, v5
	v_cndmask_b32_e32 v68, v5, v2, vcc_lo
	s_delay_alu instid0(VALU_DEP_1) | instskip(NEXT) | instid1(VALU_DEP_1)
	v_cndmask_b32_e64 v2, 0, v68, s13
	v_add_nc_u32_e32 v74, v2, v49
	s_delay_alu instid0(VALU_DEP_1) | instskip(NEXT) | instid1(VALU_DEP_1)
	v_cndmask_b32_e64 v2, 0, v74, s12
	v_add_nc_u32_e32 v70, v2, v50
	;; [unrolled: 3-line block ×6, first 2 shown]
	v_cndmask_b32_e64 v2, v4, 0, vcc_lo
	s_delay_alu instid0(VALU_DEP_2) | instskip(NEXT) | instid1(VALU_DEP_2)
	v_cndmask_b32_e64 v4, 0, v54, s7
	v_add_nc_u32_e32 v67, v1, v2
	s_delay_alu instid0(VALU_DEP_2) | instskip(NEXT) | instid1(VALU_DEP_2)
	v_add_nc_u32_e32 v58, v4, v43
	v_add_nc_u32_e32 v73, v67, v35
	s_delay_alu instid0(VALU_DEP_2) | instskip(NEXT) | instid1(VALU_DEP_2)
	v_cndmask_b32_e64 v1, 0, v58, s6
	v_add_nc_u32_e32 v69, v73, v36
	s_delay_alu instid0(VALU_DEP_2) | instskip(NEXT) | instid1(VALU_DEP_2)
	v_add_nc_u32_e32 v62, v1, v44
	v_add_nc_u32_e32 v65, v69, v33
	;; [unrolled: 6-line block ×4, first 2 shown]
	s_delay_alu instid0(VALU_DEP_2) | instskip(NEXT) | instid1(VALU_DEP_2)
	v_cndmask_b32_e64 v1, 0, v8, s3
	v_add_nc_u32_e32 v61, v57, v30
	s_delay_alu instid0(VALU_DEP_2) | instskip(SKIP_3) | instid1(VALU_DEP_2)
	v_add_nc_u32_e32 v52, v1, v39
	ds_load_b128 v[1:4], v3 offset:2048
	v_add_nc_u32_e32 v5, v61, v27
	v_cndmask_b32_e64 v51, 0, v52, s2
	v_add_nc_u32_e32 v7, v5, v28
	s_delay_alu instid0(VALU_DEP_2) | instskip(NEXT) | instid1(VALU_DEP_2)
	v_add_nc_u32_e32 v76, v51, v40
	v_add_nc_u32_e32 v51, v7, v25
	s_delay_alu instid0(VALU_DEP_2) | instskip(NEXT) | instid1(VALU_DEP_2)
	v_cndmask_b32_e64 v63, 0, v76, s1
	v_add_nc_u32_e32 v75, v51, v26
	s_delay_alu instid0(VALU_DEP_2) | instskip(SKIP_2) | instid1(VALU_DEP_3)
	v_add_nc_u32_e32 v72, v63, v37
	s_waitcnt lgkmcnt(0)
	v_cmp_eq_u32_e32 vcc_lo, 0, v1
	v_add_nc_u32_e32 v71, v75, v23
	s_delay_alu instid0(VALU_DEP_3) | instskip(SKIP_1) | instid1(VALU_DEP_3)
	v_cndmask_b32_e64 v64, 0, v72, s0
	v_cndmask_b32_e32 v4, 0, v4, vcc_lo
	v_add_nc_u32_e32 v63, v71, v24
	s_delay_alu instid0(VALU_DEP_3) | instskip(NEXT) | instid1(VALU_DEP_3)
	v_add_nc_u32_e32 v64, v64, v38
	v_add_nc_u32_e32 v80, v4, v2
	s_branch .LBB379_155
.LBB379_143:
                                        ; implicit-def: $vgpr1
                                        ; implicit-def: $vgpr80
                                        ; implicit-def: $vgpr67_vgpr68
                                        ; implicit-def: $vgpr73_vgpr74
                                        ; implicit-def: $vgpr69_vgpr70
                                        ; implicit-def: $vgpr65_vgpr66
                                        ; implicit-def: $vgpr59_vgpr60
                                        ; implicit-def: $vgpr55_vgpr56
                                        ; implicit-def: $vgpr53_vgpr54
                                        ; implicit-def: $vgpr57_vgpr58
                                        ; implicit-def: $vgpr61_vgpr62
                                        ; implicit-def: $vgpr5_vgpr6
                                        ; implicit-def: $vgpr7_vgpr8
                                        ; implicit-def: $vgpr51_vgpr52
                                        ; implicit-def: $vgpr75_vgpr76
                                        ; implicit-def: $vgpr71_vgpr72
                                        ; implicit-def: $vgpr63_vgpr64
	s_cbranch_execz .LBB379_155
; %bb.144:
	s_and_b32 s0, s16, exec_lo
	v_mov_b32_e32 v63, v49
	s_cselect_b32 s1, 0, s35
	s_cselect_b32 s0, 0, s34
	s_delay_alu instid0(SALU_CYCLE_1)
	s_cmp_eq_u64 s[0:1], 0
	s_cbranch_scc1 .LBB379_146
; %bb.145:
	v_mov_b32_e32 v1, 0
	global_load_b32 v63, v1, s[0:1]
.LBB379_146:
	v_cmp_eq_u32_e64 s6, 0, v36
	v_cmp_eq_u32_e64 s7, 0, v33
	v_cmp_eq_u32_e64 s8, 0, v34
	v_cmp_eq_u32_e64 s9, 0, v31
	v_cmp_eq_u32_e64 s10, 0, v32
	v_cndmask_b32_e64 v1, 0, v49, s6
	v_cmp_eq_u32_e64 s11, 0, v29
	v_cmp_eq_u32_e64 s5, 0, v30
	;; [unrolled: 1-line block ×4, first 2 shown]
	v_add_nc_u32_e32 v1, v1, v50
	v_cmp_eq_u32_e64 s2, 0, v25
	v_add3_u32 v2, v84, v32, v29
	v_cmp_eq_u32_e64 s1, 0, v26
	v_cmp_eq_u32_e32 vcc_lo, 0, v23
	v_cndmask_b32_e64 v1, 0, v1, s7
	v_cmp_eq_u32_e64 s0, 0, v24
	v_add3_u32 v2, v2, v30, v27
	v_cmp_eq_u32_e64 s12, 0, v78
	v_and_b32_e32 v4, 15, v81
	v_add_nc_u32_e32 v1, v1, v47
	s_delay_alu instid0(VALU_DEP_4) | instskip(NEXT) | instid1(VALU_DEP_3)
	v_add3_u32 v2, v2, v28, v25
	v_cmp_lt_u32_e64 s13, 1, v4
	s_delay_alu instid0(VALU_DEP_3) | instskip(NEXT) | instid1(VALU_DEP_3)
	v_cndmask_b32_e64 v1, 0, v1, s8
	v_add3_u32 v2, v2, v26, v23
	s_delay_alu instid0(VALU_DEP_2) | instskip(NEXT) | instid1(VALU_DEP_2)
	v_add_nc_u32_e32 v1, v1, v48
	v_add3_u32 v2, v2, v24, v78
	s_delay_alu instid0(VALU_DEP_2) | instskip(NEXT) | instid1(VALU_DEP_2)
	v_cndmask_b32_e64 v1, 0, v1, s9
	v_mov_b32_dpp v5, v2 row_shr:1 row_mask:0xf bank_mask:0xf
	s_delay_alu instid0(VALU_DEP_2) | instskip(NEXT) | instid1(VALU_DEP_1)
	v_add_nc_u32_e32 v1, v1, v45
	v_cndmask_b32_e64 v1, 0, v1, s10
	s_delay_alu instid0(VALU_DEP_1) | instskip(NEXT) | instid1(VALU_DEP_1)
	v_add_nc_u32_e32 v1, v1, v46
	v_cndmask_b32_e64 v1, 0, v1, s11
	s_delay_alu instid0(VALU_DEP_1) | instskip(NEXT) | instid1(VALU_DEP_1)
	;; [unrolled: 3-line block ×7, first 2 shown]
	v_add_nc_u32_e32 v1, v1, v40
	v_cndmask_b32_e32 v1, 0, v1, vcc_lo
	s_delay_alu instid0(VALU_DEP_1) | instskip(NEXT) | instid1(VALU_DEP_1)
	v_add_nc_u32_e32 v1, v1, v37
	v_cndmask_b32_e64 v1, 0, v1, s0
	s_delay_alu instid0(VALU_DEP_1) | instskip(NEXT) | instid1(VALU_DEP_1)
	v_add_nc_u32_e32 v1, v1, v38
	v_cndmask_b32_e64 v1, 0, v1, s12
	v_cmp_eq_u32_e64 s12, 0, v2
	s_delay_alu instid0(VALU_DEP_2) | instskip(SKIP_1) | instid1(VALU_DEP_1)
	v_add_nc_u32_e32 v1, v1, v79
	s_waitcnt lgkmcnt(0)
	v_mov_b32_dpp v3, v1 row_shr:1 row_mask:0xf bank_mask:0xf
	s_delay_alu instid0(VALU_DEP_1) | instskip(SKIP_1) | instid1(VALU_DEP_1)
	v_cndmask_b32_e64 v3, 0, v3, s12
	v_cmp_eq_u32_e64 s12, 0, v4
	v_cndmask_b32_e64 v5, v5, 0, s12
	s_delay_alu instid0(VALU_DEP_3) | instskip(NEXT) | instid1(VALU_DEP_2)
	v_cndmask_b32_e64 v3, v3, 0, s12
	v_add_nc_u32_e32 v2, v5, v2
	s_delay_alu instid0(VALU_DEP_2) | instskip(NEXT) | instid1(VALU_DEP_2)
	v_add_nc_u32_e32 v1, v3, v1
	v_mov_b32_dpp v3, v2 row_shr:2 row_mask:0xf bank_mask:0xf
	v_cmp_eq_u32_e64 s12, 0, v2
	s_delay_alu instid0(VALU_DEP_3) | instskip(NEXT) | instid1(VALU_DEP_3)
	v_mov_b32_dpp v5, v1 row_shr:2 row_mask:0xf bank_mask:0xf
	v_cndmask_b32_e64 v3, 0, v3, s13
	s_delay_alu instid0(VALU_DEP_3) | instskip(SKIP_1) | instid1(VALU_DEP_3)
	s_and_b32 s12, s13, s12
	v_cmp_lt_u32_e64 s13, 3, v4
	v_cndmask_b32_e64 v5, 0, v5, s12
	s_delay_alu instid0(VALU_DEP_3) | instskip(NEXT) | instid1(VALU_DEP_2)
	v_add_nc_u32_e32 v2, v2, v3
	v_add_nc_u32_e32 v1, v5, v1
	s_delay_alu instid0(VALU_DEP_2) | instskip(SKIP_1) | instid1(VALU_DEP_3)
	v_mov_b32_dpp v3, v2 row_shr:4 row_mask:0xf bank_mask:0xf
	v_cmp_eq_u32_e64 s12, 0, v2
	v_mov_b32_dpp v5, v1 row_shr:4 row_mask:0xf bank_mask:0xf
	s_delay_alu instid0(VALU_DEP_3) | instskip(NEXT) | instid1(VALU_DEP_3)
	v_cndmask_b32_e64 v3, 0, v3, s13
	s_and_b32 s12, s13, s12
	v_cmp_lt_u32_e64 s13, 7, v4
	s_delay_alu instid0(VALU_DEP_3) | instskip(NEXT) | instid1(VALU_DEP_3)
	v_cndmask_b32_e64 v5, 0, v5, s12
	v_add_nc_u32_e32 v2, v3, v2
	s_delay_alu instid0(VALU_DEP_2) | instskip(SKIP_1) | instid1(VALU_DEP_3)
	v_add_nc_u32_e32 v1, v1, v5
	v_bfe_i32 v5, v81, 4, 1
	v_cmp_eq_u32_e64 s12, 0, v2
	v_mov_b32_dpp v3, v2 row_shr:8 row_mask:0xf bank_mask:0xf
	s_delay_alu instid0(VALU_DEP_4) | instskip(NEXT) | instid1(VALU_DEP_3)
	v_mov_b32_dpp v4, v1 row_shr:8 row_mask:0xf bank_mask:0xf
	s_and_b32 s12, s13, s12
	s_delay_alu instid0(VALU_DEP_2) | instskip(SKIP_1) | instid1(VALU_DEP_2)
	v_cndmask_b32_e64 v3, 0, v3, s13
	s_mov_b32 s13, exec_lo
	v_cndmask_b32_e64 v4, 0, v4, s12
	s_delay_alu instid0(VALU_DEP_1) | instskip(NEXT) | instid1(VALU_DEP_3)
	v_add_nc_u32_e32 v4, v4, v1
	v_add_nc_u32_e32 v1, v3, v2
	ds_swizzle_b32 v2, v4 offset:swizzle(BROADCAST,32,15)
	ds_swizzle_b32 v3, v1 offset:swizzle(BROADCAST,32,15)
	v_cmp_eq_u32_e64 s12, 0, v1
	s_waitcnt lgkmcnt(1)
	s_delay_alu instid0(VALU_DEP_1) | instskip(SKIP_2) | instid1(VALU_DEP_2)
	v_cndmask_b32_e64 v2, 0, v2, s12
	s_waitcnt lgkmcnt(0)
	v_and_b32_e32 v3, v5, v3
	v_and_b32_e32 v2, v5, v2
	s_delay_alu instid0(VALU_DEP_2) | instskip(NEXT) | instid1(VALU_DEP_2)
	v_add_nc_u32_e32 v1, v3, v1
	v_add_nc_u32_e32 v2, v2, v4
	v_cmpx_eq_u32_e64 v83, v0
	s_cbranch_execz .LBB379_148
; %bb.147:
	v_lshlrev_b32_e32 v3, 3, v82
	ds_store_b64 v3, v[1:2] offset:2064
.LBB379_148:
	s_or_b32 exec_lo, exec_lo, s13
	s_delay_alu instid0(SALU_CYCLE_1)
	s_mov_b32 s14, exec_lo
	s_waitcnt vmcnt(0) lgkmcnt(0)
	s_barrier
	buffer_gl0_inv
	v_cmpx_gt_u32_e32 8, v0
	s_cbranch_execz .LBB379_150
; %bb.149:
	v_lshlrev_b32_e32 v5, 3, v0
	v_and_b32_e32 v7, 7, v81
	ds_load_b64 v[3:4], v5 offset:2064
	v_cmp_lt_u32_e64 s13, 1, v7
	s_waitcnt lgkmcnt(0)
	v_mov_b32_dpp v6, v4 row_shr:1 row_mask:0xf bank_mask:0xf
	v_cmp_eq_u32_e64 s12, 0, v3
	v_mov_b32_dpp v8, v3 row_shr:1 row_mask:0xf bank_mask:0xf
	s_delay_alu instid0(VALU_DEP_2) | instskip(SKIP_1) | instid1(VALU_DEP_1)
	v_cndmask_b32_e64 v6, 0, v6, s12
	v_cmp_eq_u32_e64 s12, 0, v7
	v_cndmask_b32_e64 v8, v8, 0, s12
	s_delay_alu instid0(VALU_DEP_3) | instskip(NEXT) | instid1(VALU_DEP_2)
	v_cndmask_b32_e64 v6, v6, 0, s12
	v_add_nc_u32_e32 v3, v8, v3
	s_delay_alu instid0(VALU_DEP_2) | instskip(NEXT) | instid1(VALU_DEP_2)
	v_add_nc_u32_e32 v4, v6, v4
	v_mov_b32_dpp v6, v3 row_shr:2 row_mask:0xf bank_mask:0xf
	v_cmp_eq_u32_e64 s12, 0, v3
	s_delay_alu instid0(VALU_DEP_3) | instskip(NEXT) | instid1(VALU_DEP_3)
	v_mov_b32_dpp v8, v4 row_shr:2 row_mask:0xf bank_mask:0xf
	v_cndmask_b32_e64 v6, 0, v6, s13
	s_delay_alu instid0(VALU_DEP_3) | instskip(SKIP_1) | instid1(VALU_DEP_3)
	s_and_b32 s12, s13, s12
	v_cmp_lt_u32_e64 s13, 3, v7
	v_cndmask_b32_e64 v8, 0, v8, s12
	s_delay_alu instid0(VALU_DEP_3) | instskip(NEXT) | instid1(VALU_DEP_2)
	v_add_nc_u32_e32 v3, v6, v3
	v_add_nc_u32_e32 v4, v8, v4
	s_delay_alu instid0(VALU_DEP_2) | instskip(SKIP_1) | instid1(VALU_DEP_3)
	v_cmp_eq_u32_e64 s12, 0, v3
	v_mov_b32_dpp v6, v3 row_shr:4 row_mask:0xf bank_mask:0xf
	v_mov_b32_dpp v7, v4 row_shr:4 row_mask:0xf bank_mask:0xf
	s_delay_alu instid0(VALU_DEP_3) | instskip(NEXT) | instid1(VALU_DEP_2)
	s_and_b32 s12, s13, s12
	v_cndmask_b32_e64 v6, 0, v6, s13
	s_delay_alu instid0(VALU_DEP_2) | instskip(NEXT) | instid1(VALU_DEP_2)
	v_cndmask_b32_e64 v7, 0, v7, s12
	v_add_nc_u32_e32 v3, v6, v3
	s_delay_alu instid0(VALU_DEP_2)
	v_add_nc_u32_e32 v4, v7, v4
	ds_store_b64 v5, v[3:4] offset:2064
.LBB379_150:
	s_or_b32 exec_lo, exec_lo, s14
	v_dual_mov_b32 v7, 0 :: v_dual_mov_b32 v4, v63
	v_mov_b32_e32 v3, 0
	s_mov_b32 s13, exec_lo
	s_waitcnt lgkmcnt(0)
	s_barrier
	buffer_gl0_inv
	v_cmpx_lt_u32_e32 31, v0
	s_cbranch_execz .LBB379_152
; %bb.151:
	v_lshlrev_b32_e32 v3, 3, v82
	ds_load_b64 v[3:4], v3 offset:2056
	s_waitcnt lgkmcnt(0)
	v_cmp_eq_u32_e64 s12, 0, v3
	s_delay_alu instid0(VALU_DEP_1) | instskip(NEXT) | instid1(VALU_DEP_1)
	v_cndmask_b32_e64 v5, 0, v63, s12
	v_add_nc_u32_e32 v4, v5, v4
.LBB379_152:
	s_or_b32 exec_lo, exec_lo, s13
	v_add_nc_u32_e32 v5, -1, v81
	v_cmp_eq_u32_e64 s13, 0, v35
	s_delay_alu instid0(VALU_DEP_2) | instskip(NEXT) | instid1(VALU_DEP_1)
	v_cmp_gt_i32_e64 s12, 0, v5
	v_cndmask_b32_e64 v5, v5, v81, s12
	v_cmp_eq_u32_e64 s12, 0, v1
	v_add_nc_u32_e32 v1, v3, v1
	s_delay_alu instid0(VALU_DEP_3) | instskip(NEXT) | instid1(VALU_DEP_3)
	v_lshlrev_b32_e32 v5, 2, v5
	v_cndmask_b32_e64 v6, 0, v4, s12
	v_cmp_eq_u32_e64 s12, 0, v81
	ds_bpermute_b32 v1, v5, v1
	v_add_nc_u32_e32 v2, v6, v2
	ds_bpermute_b32 v2, v5, v2
	s_waitcnt lgkmcnt(1)
	v_cndmask_b32_e64 v1, v1, v3, s12
	s_waitcnt lgkmcnt(0)
	v_cndmask_b32_e64 v2, v2, v4, s12
	v_cmp_eq_u32_e64 s12, 0, v0
	s_delay_alu instid0(VALU_DEP_1) | instskip(SKIP_1) | instid1(VALU_DEP_2)
	v_cndmask_b32_e64 v68, v2, v63, s12
	v_cndmask_b32_e64 v67, v1, 0, s12
	;; [unrolled: 1-line block ×3, first 2 shown]
	s_delay_alu instid0(VALU_DEP_2) | instskip(NEXT) | instid1(VALU_DEP_2)
	v_add_nc_u32_e32 v73, v67, v35
	v_add_nc_u32_e32 v74, v2, v49
	s_delay_alu instid0(VALU_DEP_2) | instskip(NEXT) | instid1(VALU_DEP_2)
	v_add_nc_u32_e32 v69, v73, v36
	v_cndmask_b32_e64 v2, 0, v74, s6
	s_delay_alu instid0(VALU_DEP_2) | instskip(NEXT) | instid1(VALU_DEP_2)
	v_add_nc_u32_e32 v65, v69, v33
	v_add_nc_u32_e32 v70, v2, v50
	s_delay_alu instid0(VALU_DEP_2) | instskip(NEXT) | instid1(VALU_DEP_2)
	v_add_nc_u32_e32 v59, v65, v34
	v_cndmask_b32_e64 v2, 0, v70, s7
	;; [unrolled: 6-line block ×4, first 2 shown]
	s_delay_alu instid0(VALU_DEP_2) | instskip(NEXT) | instid1(VALU_DEP_2)
	v_add_nc_u32_e32 v5, v61, v27
	v_add_nc_u32_e32 v56, v2, v45
	s_delay_alu instid0(VALU_DEP_1) | instskip(NEXT) | instid1(VALU_DEP_1)
	v_cndmask_b32_e64 v2, 0, v56, s10
	v_add_nc_u32_e32 v54, v2, v46
	s_delay_alu instid0(VALU_DEP_1) | instskip(NEXT) | instid1(VALU_DEP_1)
	v_cndmask_b32_e64 v2, 0, v54, s11
	;; [unrolled: 3-line block ×6, first 2 shown]
	v_add_nc_u32_e32 v52, v1, v39
	ds_load_b64 v[1:2], v7 offset:2120
	v_add_nc_u32_e32 v7, v5, v28
	v_cndmask_b32_e64 v3, 0, v52, s1
	s_delay_alu instid0(VALU_DEP_2) | instskip(NEXT) | instid1(VALU_DEP_2)
	v_add_nc_u32_e32 v51, v7, v25
	v_add_nc_u32_e32 v76, v3, v40
	s_delay_alu instid0(VALU_DEP_2) | instskip(NEXT) | instid1(VALU_DEP_2)
	v_add_nc_u32_e32 v75, v51, v26
	v_cndmask_b32_e32 v3, 0, v76, vcc_lo
	s_delay_alu instid0(VALU_DEP_2) | instskip(NEXT) | instid1(VALU_DEP_2)
	v_add_nc_u32_e32 v71, v75, v23
	v_add_nc_u32_e32 v72, v3, v37
	s_waitcnt lgkmcnt(0)
	v_cmp_eq_u32_e32 vcc_lo, 0, v1
	s_delay_alu instid0(VALU_DEP_2) | instskip(SKIP_1) | instid1(VALU_DEP_2)
	v_cndmask_b32_e64 v3, 0, v72, s0
	v_dual_cndmask_b32 v4, 0, v63 :: v_dual_add_nc_u32 v63, v71, v24
	v_add_nc_u32_e32 v64, v3, v38
	s_delay_alu instid0(VALU_DEP_2)
	v_add_nc_u32_e32 v80, v4, v2
	s_and_saveexec_b32 s0, s12
	s_cbranch_execz .LBB379_154
; %bb.153:
	s_delay_alu instid0(VALU_DEP_1)
	v_and_b32_e32 v2, 0xff000000, v80
	v_dual_mov_b32 v4, 0 :: v_dual_and_b32 v3, 0xff0000, v80
	s_add_u32 s2, s24, 0x200
	v_and_b32_e32 v37, 0xff00, v80
	s_addc_u32 s3, s25, 0
	v_and_b32_e32 v38, 0xff, v80
	v_or_b32_e32 v2, v3, v2
	v_mov_b32_e32 v3, 2
	s_delay_alu instid0(VALU_DEP_2)
	v_or3_b32 v2, v2, v37, v38
	v_dual_mov_b32 v38, s3 :: v_dual_mov_b32 v37, s2
	;;#ASMSTART
	global_store_dwordx4 v[37:38], v[1:4] off	
s_waitcnt vmcnt(0)
	;;#ASMEND
.LBB379_154:
	s_or_b32 exec_lo, exec_lo, s0
	v_mov_b32_e32 v3, 0
.LBB379_155:
	v_mov_b32_e32 v37, 0
	s_and_b32 s0, s16, exec_lo
	v_mov_b32_e32 v38, 0
	s_cselect_b32 s1, 0, s43
	s_cselect_b32 s0, 0, s42
	s_waitcnt lgkmcnt(0)
	s_cmp_eq_u64 s[0:1], 0
	s_barrier
	buffer_gl0_inv
	s_cbranch_scc1 .LBB379_157
; %bb.156:
	v_mov_b32_e32 v2, 0
	global_load_b64 v[37:38], v2, s[0:1]
.LBB379_157:
	v_cmp_eq_u32_e32 vcc_lo, 0, v35
	v_cmp_ne_u32_e64 s14, 0, v35
	v_cmp_ne_u32_e64 s13, 0, v36
	;; [unrolled: 1-line block ×4, first 2 shown]
	v_cndmask_b32_e64 v2, 1, 2, vcc_lo
	v_cmp_eq_u32_e32 vcc_lo, 0, v36
	v_cmp_ne_u32_e64 s10, 0, v31
	v_cmp_ne_u32_e64 s9, 0, v32
	v_cmp_ne_u32_e64 s7, 0, v29
	v_cmp_ne_u32_e64 s5, 0, v30
	v_cndmask_b32_e64 v4, 1, 2, vcc_lo
	v_cmp_eq_u32_e32 vcc_lo, 0, v33
	v_cmp_ne_u32_e64 s8, 0, v27
	v_cmp_ne_u32_e64 s6, 0, v28
	;; [unrolled: 1-line block ×3, first 2 shown]
	v_and_b32_e32 v2, v4, v2
	v_cndmask_b32_e64 v39, 1, 2, vcc_lo
	v_cmp_eq_u32_e32 vcc_lo, 0, v34
	v_cmp_ne_u32_e64 s3, 0, v26
	v_cmp_ne_u32_e64 s2, 0, v23
	;; [unrolled: 1-line block ×3, first 2 shown]
	v_and_b32_e32 v2, v2, v39
	v_cndmask_b32_e64 v4, 1, 2, vcc_lo
	v_cmp_eq_u32_e32 vcc_lo, 0, v31
	v_cmp_ne_u32_e64 s0, 0, v78
	s_mov_b32 s16, -1
	s_delay_alu instid0(VALU_DEP_3) | instskip(SKIP_2) | instid1(VALU_DEP_2)
	v_and_b32_e32 v2, v2, v4
	v_cndmask_b32_e64 v39, 1, 2, vcc_lo
	v_cmp_eq_u32_e32 vcc_lo, 0, v32
	v_and_b32_e32 v2, v2, v39
	v_cndmask_b32_e64 v4, 1, 2, vcc_lo
	v_cmp_eq_u32_e32 vcc_lo, 0, v29
	s_waitcnt vmcnt(0)
	v_lshlrev_b64 v[39:40], 2, v[37:38]
	s_delay_alu instid0(VALU_DEP_3) | instskip(SKIP_2) | instid1(VALU_DEP_2)
	v_and_b32_e32 v2, v2, v4
	v_cndmask_b32_e64 v41, 1, 2, vcc_lo
	v_cmp_eq_u32_e32 vcc_lo, 0, v30
	v_and_b32_e32 v2, v2, v41
	v_cndmask_b32_e64 v42, 1, 2, vcc_lo
	v_cmp_eq_u32_e32 vcc_lo, 0, v27
	s_delay_alu instid0(VALU_DEP_2) | instskip(SKIP_2) | instid1(VALU_DEP_2)
	v_and_b32_e32 v2, v2, v42
	v_cndmask_b32_e64 v41, 1, 2, vcc_lo
	v_cmp_eq_u32_e32 vcc_lo, 0, v28
	v_and_b32_e32 v2, v2, v41
	v_cndmask_b32_e64 v42, 1, 2, vcc_lo
	v_cmp_eq_u32_e32 vcc_lo, 0, v25
	s_delay_alu instid0(VALU_DEP_2) | instskip(SKIP_2) | instid1(VALU_DEP_2)
	;; [unrolled: 7-line block ×3, first 2 shown]
	v_and_b32_e32 v2, v2, v43
	v_cndmask_b32_e64 v44, 1, 2, vcc_lo
	v_cmp_eq_u32_e32 vcc_lo, 0, v24
	v_and_b32_e32 v44, v2, v44
	v_cndmask_b32_e64 v45, 1, 2, vcc_lo
	v_mov_b32_e32 v4, 0
	s_delay_alu instid0(VALU_DEP_1) | instskip(SKIP_2) | instid1(VALU_DEP_2)
	v_lshlrev_b64 v[41:42], 2, v[3:4]
	v_add_co_u32 v4, vcc_lo, s22, v39
	v_add_co_ci_u32_e32 v43, vcc_lo, s23, v40, vcc_lo
	v_add_co_u32 v2, vcc_lo, v4, v41
	s_delay_alu instid0(VALU_DEP_2) | instskip(SKIP_4) | instid1(VALU_DEP_2)
	v_add_co_ci_u32_e32 v4, vcc_lo, v43, v42, vcc_lo
	v_and_b32_e32 v43, v44, v45
	v_cmp_eq_u32_e32 vcc_lo, 0, v78
	v_cndmask_b32_e64 v44, 1, 2, vcc_lo
	v_cmp_gt_u32_e32 vcc_lo, 0x100, v1
	v_and_b32_e32 v43, v43, v44
	s_delay_alu instid0(VALU_DEP_1)
	v_cmp_gt_i16_e64 s15, 2, v43
	s_cbranch_vccz .LBB379_164
; %bb.158:
	s_delay_alu instid0(VALU_DEP_1)
	s_and_saveexec_b32 s16, s15
	s_cbranch_execz .LBB379_163
; %bb.159:
	s_mov_b32 s17, 0
	s_mov_b32 s15, exec_lo
	v_cmpx_ne_u16_e32 1, v43
	s_xor_b32 s15, exec_lo, s15
	s_cbranch_execnz .LBB379_229
; %bb.160:
	s_and_not1_saveexec_b32 s15, s15
	s_cbranch_execnz .LBB379_245
.LBB379_161:
	s_or_b32 exec_lo, exec_lo, s15
	s_delay_alu instid0(SALU_CYCLE_1)
	s_and_b32 exec_lo, exec_lo, s17
	s_cbranch_execz .LBB379_163
.LBB379_162:
	v_sub_nc_u32_e32 v44, v63, v3
	v_mov_b32_e32 v45, 0
	s_delay_alu instid0(VALU_DEP_1) | instskip(NEXT) | instid1(VALU_DEP_1)
	v_lshlrev_b64 v[44:45], 2, v[44:45]
	v_add_co_u32 v44, vcc_lo, v2, v44
	s_delay_alu instid0(VALU_DEP_2)
	v_add_co_ci_u32_e32 v45, vcc_lo, v4, v45, vcc_lo
	global_store_b32 v[44:45], v77, off
.LBB379_163:
	s_or_b32 exec_lo, exec_lo, s16
	s_mov_b32 s16, 0
.LBB379_164:
	s_delay_alu instid0(SALU_CYCLE_1)
	s_and_b32 vcc_lo, exec_lo, s16
	s_cbranch_vccz .LBB379_174
; %bb.165:
	s_mov_b32 s15, exec_lo
	v_cmpx_gt_i16_e32 2, v43
	s_cbranch_execz .LBB379_170
; %bb.166:
	s_mov_b32 s17, 0
	s_mov_b32 s16, exec_lo
	v_cmpx_ne_u16_e32 1, v43
	s_xor_b32 s16, exec_lo, s16
	s_cbranch_execnz .LBB379_246
; %bb.167:
	s_and_not1_saveexec_b32 s0, s16
	s_cbranch_execnz .LBB379_262
.LBB379_168:
	s_or_b32 exec_lo, exec_lo, s0
	s_delay_alu instid0(SALU_CYCLE_1)
	s_and_b32 exec_lo, exec_lo, s17
	s_cbranch_execz .LBB379_170
.LBB379_169:
	v_sub_nc_u32_e32 v9, v63, v3
	s_delay_alu instid0(VALU_DEP_1)
	v_lshlrev_b32_e32 v9, 2, v9
	ds_store_b32 v9, v77
.LBB379_170:
	s_or_b32 exec_lo, exec_lo, s15
	s_delay_alu instid0(SALU_CYCLE_1)
	s_mov_b32 s1, exec_lo
	s_waitcnt lgkmcnt(0)
	s_waitcnt_vscnt null, 0x0
	s_barrier
	buffer_gl0_inv
	v_cmpx_lt_u32_e64 v0, v1
	s_cbranch_execz .LBB379_173
; %bb.171:
	v_dual_mov_b32 v10, 0 :: v_dual_lshlrev_b32 v11, 2, v0
	v_mov_b32_e32 v9, v0
	s_mov_b32 s2, 0
	.p2align	6
.LBB379_172:                            ; =>This Inner Loop Header: Depth=1
	ds_load_b32 v14, v11
	v_lshlrev_b64 v[12:13], 2, v[9:10]
	v_add_nc_u32_e32 v9, 0x100, v9
	v_add_nc_u32_e32 v11, 0x400, v11
	s_delay_alu instid0(VALU_DEP_2) | instskip(NEXT) | instid1(VALU_DEP_4)
	v_cmp_ge_u32_e32 vcc_lo, v9, v1
	v_add_co_u32 v12, s0, v2, v12
	s_delay_alu instid0(VALU_DEP_1)
	v_add_co_ci_u32_e64 v13, s0, v4, v13, s0
	s_or_b32 s2, vcc_lo, s2
	s_waitcnt lgkmcnt(0)
	global_store_b32 v[12:13], v14, off
	s_and_not1_b32 exec_lo, exec_lo, s2
	s_cbranch_execnz .LBB379_172
.LBB379_173:
	s_or_b32 exec_lo, exec_lo, s1
.LBB379_174:
	s_cmpk_lg_i32 s19, 0xf00
	v_cmp_eq_u32_e32 vcc_lo, 0, v0
	s_cselect_b32 s0, -1, 0
	v_cndmask_b32_e64 v4, 0, 1, s20
	s_and_b32 s0, s18, s0
	v_mad_i32_i24 v10, v0, -15, s19
	v_cndmask_b32_e64 v9, 0, 1, s0
	s_mul_hi_u32 s0, s19, 0x88888889
	s_and_b32 s1, vcc_lo, s20
	s_lshr_b32 s0, s0, 3
	v_sub_nc_u32_e32 v2, v1, v4
	v_cndmask_b32_e64 v11, v35, 0, s1
	v_cmp_eq_u32_e32 vcc_lo, s0, v0
	v_cmp_ne_u32_e64 s0, 0, v10
	s_mov_b32 s16, -1
	s_waitcnt_vscnt null, 0x0
	s_barrier
	s_and_b32 vcc_lo, s18, vcc_lo
	v_add_nc_u32_e32 v2, v2, v9
	v_cndmask_b32_e64 v9, 1, v11, s0
	v_cmp_ne_u32_e64 s0, 1, v10
	buffer_gl0_inv
	v_cndmask_b32_e64 v12, 1, v36, s0
	v_cmp_ne_u32_e64 s0, 14, v10
	s_delay_alu instid0(VALU_DEP_2) | instskip(NEXT) | instid1(VALU_DEP_2)
	v_cndmask_b32_e32 v17, v36, v12, vcc_lo
	v_cndmask_b32_e64 v13, 1, v78, s0
	v_cmp_ne_u32_e64 s0, 2, v10
	s_delay_alu instid0(VALU_DEP_3) | instskip(NEXT) | instid1(VALU_DEP_3)
	v_cmp_ne_u32_e64 s13, 0, v17
	v_cndmask_b32_e32 v16, v78, v13, vcc_lo
	s_delay_alu instid0(VALU_DEP_3) | instskip(SKIP_1) | instid1(VALU_DEP_2)
	v_cndmask_b32_e64 v14, 1, v33, s0
	v_cmp_ne_u32_e64 s0, 3, v10
	v_dual_cndmask_b32 v13, v11, v9 :: v_dual_cndmask_b32 v14, v33, v14
	s_delay_alu instid0(VALU_DEP_2) | instskip(SKIP_1) | instid1(VALU_DEP_3)
	v_cndmask_b32_e64 v15, 1, v34, s0
	v_cmp_ne_u32_e64 s0, 4, v10
	v_cmp_ne_u32_e64 s14, 0, v13
	s_delay_alu instid0(VALU_DEP_4) | instskip(NEXT) | instid1(VALU_DEP_3)
	v_cmp_ne_u32_e64 s12, 0, v14
	v_cndmask_b32_e64 v9, 1, v31, s0
	v_cmp_ne_u32_e64 s0, 5, v10
	s_delay_alu instid0(VALU_DEP_1) | instskip(SKIP_1) | instid1(VALU_DEP_1)
	v_cndmask_b32_e64 v11, 1, v32, s0
	v_cmp_eq_u32_e64 s0, 0, v13
	v_cndmask_b32_e64 v12, 1, 2, s0
	v_cmp_eq_u32_e64 s0, 0, v17
	s_delay_alu instid0(VALU_DEP_1) | instskip(SKIP_1) | instid1(VALU_DEP_1)
	v_cndmask_b32_e64 v18, 1, 2, s0
	v_cmp_ne_u32_e64 s0, 6, v10
	v_cndmask_b32_e64 v19, 1, v29, s0
	v_cmp_eq_u32_e64 s0, 0, v14
	s_delay_alu instid0(VALU_DEP_2) | instskip(NEXT) | instid1(VALU_DEP_2)
	v_dual_cndmask_b32 v19, v29, v19 :: v_dual_and_b32 v12, v18, v12
	v_cndmask_b32_e64 v18, 1, 2, s0
	v_cmp_ne_u32_e64 s0, 7, v10
	v_cndmask_b32_e32 v15, v34, v15, vcc_lo
	s_delay_alu instid0(VALU_DEP_4) | instskip(NEXT) | instid1(VALU_DEP_4)
	v_cmp_ne_u32_e64 s8, 0, v19
	v_and_b32_e32 v12, v12, v18
	s_delay_alu instid0(VALU_DEP_4) | instskip(SKIP_2) | instid1(VALU_DEP_2)
	v_cndmask_b32_e64 v20, 1, v30, s0
	v_cmp_ne_u32_e64 s0, 8, v10
	v_cmp_ne_u32_e64 s11, 0, v15
	v_cndmask_b32_e64 v21, 1, v27, s0
	v_cmp_eq_u32_e64 s0, 0, v15
	s_delay_alu instid0(VALU_DEP_2) | instskip(NEXT) | instid1(VALU_DEP_2)
	v_dual_cndmask_b32 v20, v30, v20 :: v_dual_cndmask_b32 v21, v27, v21
	v_cndmask_b32_e64 v18, 1, 2, s0
	v_cndmask_b32_e32 v22, v31, v9, vcc_lo
	v_cmp_ne_u32_e64 s0, 9, v10
	v_cndmask_b32_e32 v31, v32, v11, vcc_lo
	v_cmp_ne_u32_e64 s7, 0, v20
	v_and_b32_e32 v11, v12, v18
	v_cmp_ne_u32_e64 s10, 0, v22
	v_cndmask_b32_e64 v9, 1, v28, s0
	v_cmp_eq_u32_e64 s0, 0, v22
	v_cmp_ne_u32_e64 s9, 0, v31
	v_cmp_ne_u32_e64 s6, 0, v21
	s_delay_alu instid0(VALU_DEP_3) | instskip(SKIP_1) | instid1(VALU_DEP_2)
	v_cndmask_b32_e64 v12, 1, 2, s0
	v_cmp_ne_u32_e64 s0, 10, v10
	v_and_b32_e32 v11, v11, v12
	s_delay_alu instid0(VALU_DEP_2) | instskip(SKIP_1) | instid1(VALU_DEP_2)
	v_cndmask_b32_e64 v18, 1, v25, s0
	v_cmp_ne_u32_e64 s0, 12, v10
	v_cndmask_b32_e32 v18, v25, v18, vcc_lo
	s_delay_alu instid0(VALU_DEP_2) | instskip(SKIP_2) | instid1(VALU_DEP_4)
	v_cndmask_b32_e64 v32, 1, v23, s0
	v_cmp_eq_u32_e64 s0, 0, v31
	v_cndmask_b32_e32 v25, v28, v9, vcc_lo
	v_cmp_ne_u32_e64 s4, 0, v18
	s_delay_alu instid0(VALU_DEP_4) | instskip(NEXT) | instid1(VALU_DEP_4)
	v_cndmask_b32_e32 v23, v23, v32, vcc_lo
	v_cndmask_b32_e64 v12, 1, 2, s0
	v_cmp_ne_u32_e64 s0, 13, v10
	s_delay_alu instid0(VALU_DEP_3) | instskip(NEXT) | instid1(VALU_DEP_2)
	v_cmp_ne_u32_e64 s2, 0, v23
	v_cndmask_b32_e64 v29, 1, v24, s0
	v_cmp_eq_u32_e64 s0, 0, v19
	s_delay_alu instid0(VALU_DEP_2) | instskip(NEXT) | instid1(VALU_DEP_2)
	v_dual_cndmask_b32 v24, v24, v29 :: v_dual_and_b32 v11, v11, v12
	v_cndmask_b32_e64 v12, 1, 2, s0
	v_cmp_ne_u32_e64 s0, 11, v10
	s_delay_alu instid0(VALU_DEP_3) | instskip(NEXT) | instid1(VALU_DEP_2)
	v_cmp_ne_u32_e64 s1, 0, v24
	v_cndmask_b32_e64 v10, 1, v26, s0
	v_cmp_eq_u32_e64 s0, 0, v20
	s_delay_alu instid0(VALU_DEP_2) | instskip(NEXT) | instid1(VALU_DEP_2)
	v_dual_cndmask_b32 v26, v26, v10 :: v_dual_and_b32 v11, v11, v12
	v_cndmask_b32_e64 v12, 1, 2, s0
	v_cmp_eq_u32_e32 vcc_lo, 0, v21
	v_cmp_ne_u32_e64 s0, 0, v16
	s_delay_alu instid0(VALU_DEP_4) | instskip(NEXT) | instid1(VALU_DEP_4)
	v_cmp_ne_u32_e64 s3, 0, v26
	v_and_b32_e32 v9, v11, v12
	v_cndmask_b32_e64 v10, 1, 2, vcc_lo
	v_add_co_u32 v11, vcc_lo, s36, v39
	v_add_co_ci_u32_e32 v12, vcc_lo, s37, v40, vcc_lo
	v_cmp_eq_u32_e32 vcc_lo, 0, v25
	s_delay_alu instid0(VALU_DEP_4)
	v_and_b32_e32 v27, v9, v10
	v_cndmask_b32_e64 v28, 1, 2, vcc_lo
	v_add_co_u32 v9, vcc_lo, v11, v41
	v_add_co_ci_u32_e32 v10, vcc_lo, v12, v42, vcc_lo
	v_lshlrev_b32_e32 v11, 2, v4
	v_cmp_eq_u32_e32 vcc_lo, 0, v18
	v_and_b32_e32 v12, v27, v28
	v_add_nc_u32_e32 v4, v3, v4
	v_cmp_ne_u32_e64 s5, 0, v25
	v_cndmask_b32_e64 v27, 1, 2, vcc_lo
	v_add_co_u32 v11, vcc_lo, v11, v9
	v_add_co_ci_u32_e32 v28, vcc_lo, 0, v10, vcc_lo
	v_cmp_eq_u32_e32 vcc_lo, 0, v26
	s_delay_alu instid0(VALU_DEP_4) | instskip(SKIP_4) | instid1(VALU_DEP_4)
	v_and_b32_e32 v27, v12, v27
	v_cndmask_b32_e64 v29, 1, 2, vcc_lo
	v_add_co_u32 v11, vcc_lo, v11, -4
	v_add_co_ci_u32_e32 v12, vcc_lo, -1, v28, vcc_lo
	v_cmp_eq_u32_e32 vcc_lo, 0, v23
	v_and_b32_e32 v27, v27, v29
	v_cndmask_b32_e64 v28, 1, 2, vcc_lo
	v_cmp_eq_u32_e32 vcc_lo, 0, v24
	s_delay_alu instid0(VALU_DEP_2) | instskip(SKIP_2) | instid1(VALU_DEP_2)
	v_and_b32_e32 v13, v27, v28
	v_cndmask_b32_e64 v14, 1, 2, vcc_lo
	v_cmp_eq_u32_e32 vcc_lo, 0, v16
	v_and_b32_e32 v13, v13, v14
	v_cndmask_b32_e64 v14, 1, 2, vcc_lo
	v_cmp_gt_u32_e32 vcc_lo, 0x100, v2
	s_delay_alu instid0(VALU_DEP_2) | instskip(NEXT) | instid1(VALU_DEP_1)
	v_and_b32_e32 v13, v13, v14
	v_cmp_gt_i16_e64 s15, 2, v13
	s_cbranch_vccnz .LBB379_178
; %bb.175:
	s_and_b32 vcc_lo, exec_lo, s16
	s_cbranch_vccnz .LBB379_184
.LBB379_176:
	v_cmp_eq_u32_e32 vcc_lo, 0xff, v0
	s_and_b32 s0, vcc_lo, s18
	s_delay_alu instid0(SALU_CYCLE_1)
	s_and_saveexec_b32 s1, s0
	s_cbranch_execnz .LBB379_193
.LBB379_177:
	s_nop 0
	s_sendmsg sendmsg(MSG_DEALLOC_VGPRS)
	s_endpgm
.LBB379_178:
	s_delay_alu instid0(VALU_DEP_1)
	s_and_saveexec_b32 s16, s15
	s_cbranch_execz .LBB379_183
; %bb.179:
	s_mov_b32 s17, 0
	s_mov_b32 s15, exec_lo
	v_cmpx_ne_u16_e32 1, v13
	s_xor_b32 s15, exec_lo, s15
	s_cbranch_execnz .LBB379_263
; %bb.180:
	s_and_not1_saveexec_b32 s15, s15
	s_cbranch_execnz .LBB379_279
.LBB379_181:
	s_or_b32 exec_lo, exec_lo, s15
	s_delay_alu instid0(SALU_CYCLE_1)
	s_and_b32 exec_lo, exec_lo, s17
	s_cbranch_execz .LBB379_183
.LBB379_182:
	v_sub_nc_u32_e32 v14, v63, v4
	v_mov_b32_e32 v15, 0
	s_delay_alu instid0(VALU_DEP_1) | instskip(NEXT) | instid1(VALU_DEP_1)
	v_lshlrev_b64 v[14:15], 2, v[14:15]
	v_add_co_u32 v14, vcc_lo, v11, v14
	s_delay_alu instid0(VALU_DEP_2)
	v_add_co_ci_u32_e32 v15, vcc_lo, v12, v15, vcc_lo
	global_store_b32 v[14:15], v64, off
.LBB379_183:
	s_or_b32 exec_lo, exec_lo, s16
	s_branch .LBB379_176
.LBB379_184:
	s_mov_b32 s15, exec_lo
	v_cmpx_gt_i16_e32 2, v13
	s_cbranch_execz .LBB379_189
; %bb.185:
	s_mov_b32 s17, 0
	s_mov_b32 s16, exec_lo
	v_cmpx_ne_u16_e32 1, v13
	s_xor_b32 s16, exec_lo, s16
	s_cbranch_execnz .LBB379_280
; %bb.186:
	s_and_not1_saveexec_b32 s0, s16
	s_cbranch_execnz .LBB379_296
.LBB379_187:
	s_or_b32 exec_lo, exec_lo, s0
	s_delay_alu instid0(SALU_CYCLE_1)
	s_and_b32 exec_lo, exec_lo, s17
	s_cbranch_execz .LBB379_189
.LBB379_188:
	v_sub_nc_u32_e32 v4, v63, v4
	s_delay_alu instid0(VALU_DEP_1)
	v_lshlrev_b32_e32 v4, 2, v4
	ds_store_b32 v4, v64
.LBB379_189:
	s_or_b32 exec_lo, exec_lo, s15
	s_delay_alu instid0(SALU_CYCLE_1)
	s_mov_b32 s1, exec_lo
	s_waitcnt lgkmcnt(0)
	s_waitcnt_vscnt null, 0x0
	s_barrier
	buffer_gl0_inv
	v_cmpx_lt_u32_e64 v0, v2
	s_cbranch_execz .LBB379_192
; %bb.190:
	v_dual_mov_b32 v5, 0 :: v_dual_lshlrev_b32 v6, 2, v0
	v_mov_b32_e32 v4, v0
	s_mov_b32 s2, 0
	.p2align	6
.LBB379_191:                            ; =>This Inner Loop Header: Depth=1
	ds_load_b32 v13, v6
	v_lshlrev_b64 v[7:8], 2, v[4:5]
	v_add_nc_u32_e32 v4, 0x100, v4
	v_add_nc_u32_e32 v6, 0x400, v6
	s_delay_alu instid0(VALU_DEP_2) | instskip(NEXT) | instid1(VALU_DEP_4)
	v_cmp_ge_u32_e32 vcc_lo, v4, v2
	v_add_co_u32 v7, s0, v11, v7
	s_delay_alu instid0(VALU_DEP_1)
	v_add_co_ci_u32_e64 v8, s0, v12, v8, s0
	s_or_b32 s2, vcc_lo, s2
	s_waitcnt lgkmcnt(0)
	global_store_b32 v[7:8], v13, off
	s_and_not1_b32 exec_lo, exec_lo, s2
	s_cbranch_execnz .LBB379_191
.LBB379_192:
	s_or_b32 exec_lo, exec_lo, s1
	v_cmp_eq_u32_e32 vcc_lo, 0xff, v0
	s_and_b32 s0, vcc_lo, s18
	s_delay_alu instid0(SALU_CYCLE_1)
	s_and_saveexec_b32 s1, s0
	s_cbranch_execz .LBB379_177
.LBB379_193:
	v_add_co_u32 v0, s0, v1, v3
	s_delay_alu instid0(VALU_DEP_1) | instskip(SKIP_1) | instid1(VALU_DEP_3)
	v_add_co_ci_u32_e64 v4, null, 0, 0, s0
	v_mov_b32_e32 v2, 0
	v_add_co_u32 v3, vcc_lo, v0, v37
	s_delay_alu instid0(VALU_DEP_3)
	v_add_co_ci_u32_e32 v4, vcc_lo, v4, v38, vcc_lo
	s_cmpk_lg_i32 s19, 0xf00
	global_store_b64 v2, v[3:4], s[38:39]
	s_cbranch_scc1 .LBB379_177
; %bb.194:
	v_lshlrev_b64 v[0:1], 2, v[1:2]
	s_delay_alu instid0(VALU_DEP_1) | instskip(NEXT) | instid1(VALU_DEP_2)
	v_add_co_u32 v0, vcc_lo, v9, v0
	v_add_co_ci_u32_e32 v1, vcc_lo, v10, v1, vcc_lo
	global_store_b32 v[0:1], v80, off offset:-4
	s_nop 0
	s_sendmsg sendmsg(MSG_DEALLOC_VGPRS)
	s_endpgm
.LBB379_195:
                                        ; implicit-def: $sgpr2
                                        ; implicit-def: $vgpr78
                                        ; implicit-def: $vgpr24
                                        ; implicit-def: $vgpr23
                                        ; implicit-def: $vgpr26
                                        ; implicit-def: $vgpr25
                                        ; implicit-def: $vgpr28
                                        ; implicit-def: $vgpr27
                                        ; implicit-def: $vgpr30
                                        ; implicit-def: $vgpr29
                                        ; implicit-def: $vgpr32
                                        ; implicit-def: $vgpr31
                                        ; implicit-def: $vgpr34
                                        ; implicit-def: $vgpr33
                                        ; implicit-def: $vgpr36
	s_cbranch_execz .LBB379_109
; %bb.196:
	v_mad_u32_u24 v23, v0, 15, 14
	s_waitcnt lgkmcnt(0)
	v_dual_mov_b32 v24, 0 :: v_dual_lshlrev_b32 v3, 2, v0
	v_mul_u32_u24_e32 v1, 15, v0
	v_mov_b32_e32 v78, 0
	s_mov_b32 s2, exec_lo
	ds_store_b32 v3, v77
	v_cmpx_gt_u64_e64 s[0:1], v[23:24]
; %bb.197:
	v_mul_hi_i32 v2, 0x66666667, v10
	v_mul_hi_i32 v4, 0x66666667, v77
	s_delay_alu instid0(VALU_DEP_2) | instskip(SKIP_1) | instid1(VALU_DEP_3)
	v_lshrrev_b32_e32 v5, 31, v2
	v_ashrrev_i32_e32 v2, 2, v2
	v_lshrrev_b32_e32 v6, 31, v4
	v_ashrrev_i32_e32 v4, 2, v4
	s_delay_alu instid0(VALU_DEP_3) | instskip(NEXT) | instid1(VALU_DEP_2)
	v_add_nc_u32_e32 v2, v2, v5
	v_add_nc_u32_e32 v4, v4, v6
	s_delay_alu instid0(VALU_DEP_1)
	v_cmp_ne_u32_e32 vcc_lo, v2, v4
	v_cndmask_b32_e64 v78, 0, 1, vcc_lo
; %bb.198:
	s_or_b32 exec_lo, exec_lo, s2
	v_add_nc_u32_e32 v23, 13, v1
	s_mov_b32 s2, exec_lo
	s_delay_alu instid0(VALU_DEP_1)
	v_cmpx_gt_u64_e64 s[0:1], v[23:24]
; %bb.199:
	v_mul_hi_i32 v2, 0x66666667, v9
	v_mul_hi_i32 v4, 0x66666667, v10
	s_delay_alu instid0(VALU_DEP_2) | instskip(SKIP_1) | instid1(VALU_DEP_3)
	v_lshrrev_b32_e32 v5, 31, v2
	v_ashrrev_i32_e32 v2, 2, v2
	v_lshrrev_b32_e32 v6, 31, v4
	v_ashrrev_i32_e32 v4, 2, v4
	s_delay_alu instid0(VALU_DEP_3) | instskip(NEXT) | instid1(VALU_DEP_2)
	v_add_nc_u32_e32 v2, v2, v5
	v_add_nc_u32_e32 v4, v4, v6
	s_delay_alu instid0(VALU_DEP_1)
	v_cmp_ne_u32_e32 vcc_lo, v2, v4
	v_cndmask_b32_e64 v24, 0, 1, vcc_lo
; %bb.200:
	s_or_b32 exec_lo, exec_lo, s2
	v_dual_mov_b32 v26, 0 :: v_dual_add_nc_u32 v25, 12, v1
	v_mov_b32_e32 v23, 0
	s_mov_b32 s2, exec_lo
	s_delay_alu instid0(VALU_DEP_2)
	v_cmpx_gt_u64_e64 s[0:1], v[25:26]
; %bb.201:
	v_mul_hi_i32 v2, 0x66666667, v12
	v_mul_hi_i32 v4, 0x66666667, v9
	s_delay_alu instid0(VALU_DEP_2) | instskip(SKIP_1) | instid1(VALU_DEP_3)
	v_lshrrev_b32_e32 v5, 31, v2
	v_ashrrev_i32_e32 v2, 2, v2
	v_lshrrev_b32_e32 v6, 31, v4
	v_ashrrev_i32_e32 v4, 2, v4
	s_delay_alu instid0(VALU_DEP_3) | instskip(NEXT) | instid1(VALU_DEP_2)
	v_add_nc_u32_e32 v2, v2, v5
	v_add_nc_u32_e32 v4, v4, v6
	s_delay_alu instid0(VALU_DEP_1)
	v_cmp_ne_u32_e32 vcc_lo, v2, v4
	v_cndmask_b32_e64 v23, 0, 1, vcc_lo
; %bb.202:
	s_or_b32 exec_lo, exec_lo, s2
	v_add_nc_u32_e32 v25, 11, v1
	s_mov_b32 s2, exec_lo
	s_delay_alu instid0(VALU_DEP_1)
	v_cmpx_gt_u64_e64 s[0:1], v[25:26]
; %bb.203:
	v_mul_hi_i32 v2, 0x66666667, v11
	v_mul_hi_i32 v4, 0x66666667, v12
	s_delay_alu instid0(VALU_DEP_2) | instskip(SKIP_1) | instid1(VALU_DEP_3)
	v_lshrrev_b32_e32 v5, 31, v2
	v_ashrrev_i32_e32 v2, 2, v2
	v_lshrrev_b32_e32 v6, 31, v4
	v_ashrrev_i32_e32 v4, 2, v4
	s_delay_alu instid0(VALU_DEP_3) | instskip(NEXT) | instid1(VALU_DEP_2)
	v_add_nc_u32_e32 v2, v2, v5
	v_add_nc_u32_e32 v4, v4, v6
	s_delay_alu instid0(VALU_DEP_1)
	v_cmp_ne_u32_e32 vcc_lo, v2, v4
	v_cndmask_b32_e64 v26, 0, 1, vcc_lo
; %bb.204:
	s_or_b32 exec_lo, exec_lo, s2
	v_dual_mov_b32 v28, 0 :: v_dual_add_nc_u32 v27, 10, v1
	v_mov_b32_e32 v25, 0
	s_mov_b32 s2, exec_lo
	s_delay_alu instid0(VALU_DEP_2)
	;; [unrolled: 41-line block ×6, first 2 shown]
	v_cmpx_gt_u64_e64 s[0:1], v[35:36]
; %bb.221:
	v_mul_hi_i32 v2, 0x66666667, v22
	v_mul_hi_i32 v4, 0x66666667, v19
	s_delay_alu instid0(VALU_DEP_2) | instskip(SKIP_1) | instid1(VALU_DEP_3)
	v_lshrrev_b32_e32 v5, 31, v2
	v_ashrrev_i32_e32 v2, 2, v2
	v_lshrrev_b32_e32 v6, 31, v4
	v_ashrrev_i32_e32 v4, 2, v4
	s_delay_alu instid0(VALU_DEP_3) | instskip(NEXT) | instid1(VALU_DEP_2)
	v_add_nc_u32_e32 v2, v2, v5
	v_add_nc_u32_e32 v4, v4, v6
	s_delay_alu instid0(VALU_DEP_1)
	v_cmp_ne_u32_e32 vcc_lo, v2, v4
	v_cndmask_b32_e64 v33, 0, 1, vcc_lo
; %bb.222:
	s_or_b32 exec_lo, exec_lo, s2
	v_add_nc_u32_e32 v35, 1, v1
	s_mov_b32 s2, exec_lo
	s_delay_alu instid0(VALU_DEP_1)
	v_cmpx_gt_u64_e64 s[0:1], v[35:36]
; %bb.223:
	v_mul_hi_i32 v2, 0x66666667, v21
	v_mul_hi_i32 v4, 0x66666667, v22
	s_delay_alu instid0(VALU_DEP_2) | instskip(SKIP_1) | instid1(VALU_DEP_3)
	v_lshrrev_b32_e32 v5, 31, v2
	v_ashrrev_i32_e32 v2, 2, v2
	v_lshrrev_b32_e32 v6, 31, v4
	v_ashrrev_i32_e32 v4, 2, v4
	s_delay_alu instid0(VALU_DEP_3) | instskip(NEXT) | instid1(VALU_DEP_2)
	v_add_nc_u32_e32 v2, v2, v5
	v_add_nc_u32_e32 v4, v4, v6
	s_delay_alu instid0(VALU_DEP_1)
	v_cmp_ne_u32_e32 vcc_lo, v2, v4
	v_cndmask_b32_e64 v36, 0, 1, vcc_lo
; %bb.224:
	s_or_b32 exec_lo, exec_lo, s2
	s_mov_b32 s4, 0
	s_mov_b32 s3, exec_lo
	s_waitcnt lgkmcnt(0)
	s_barrier
	buffer_gl0_inv
                                        ; implicit-def: $sgpr2
	v_cmpx_ne_u32_e32 0, v0
	s_cbranch_execz .LBB379_228
; %bb.225:
	v_mov_b32_e32 v2, 0
	s_delay_alu instid0(VALU_DEP_1)
	v_cmp_gt_u64_e32 vcc_lo, s[0:1], v[1:2]
	s_and_saveexec_b32 s0, vcc_lo
	s_cbranch_execz .LBB379_227
; %bb.226:
	v_add_nc_u32_e32 v1, -4, v3
	v_mul_hi_i32 v2, 0x66666667, v21
	ds_load_b32 v1, v1
	v_lshrrev_b32_e32 v3, 31, v2
	v_ashrrev_i32_e32 v2, 2, v2
	s_delay_alu instid0(VALU_DEP_1) | instskip(SKIP_2) | instid1(VALU_DEP_1)
	v_add_nc_u32_e32 v2, v2, v3
	s_waitcnt lgkmcnt(0)
	v_mul_hi_i32 v1, 0x66666667, v1
	v_lshrrev_b32_e32 v4, 31, v1
	v_ashrrev_i32_e32 v1, 2, v1
	s_delay_alu instid0(VALU_DEP_1) | instskip(NEXT) | instid1(VALU_DEP_1)
	v_add_nc_u32_e32 v1, v1, v4
	v_cmp_ne_u32_e32 vcc_lo, v1, v2
	s_and_b32 s4, vcc_lo, exec_lo
.LBB379_227:
	s_or_b32 exec_lo, exec_lo, s0
	s_delay_alu instid0(SALU_CYCLE_1)
	s_and_b32 s2, s4, exec_lo
	s_or_b32 s28, s28, exec_lo
.LBB379_228:
	s_or_b32 exec_lo, exec_lo, s3
	s_mov_b32 s0, 1
	s_delay_alu instid0(SALU_CYCLE_1)
	v_mov_b32_e32 v35, s0
	s_and_saveexec_b32 s0, s28
	s_cbranch_execnz .LBB379_111
	s_branch .LBB379_112
.LBB379_229:
	s_and_saveexec_b32 s17, s14
	s_cbranch_execnz .LBB379_297
; %bb.230:
	s_or_b32 exec_lo, exec_lo, s17
	s_and_saveexec_b32 s17, s13
	s_cbranch_execnz .LBB379_298
.LBB379_231:
	s_or_b32 exec_lo, exec_lo, s17
	s_and_saveexec_b32 s17, s12
	s_cbranch_execnz .LBB379_299
.LBB379_232:
	s_or_b32 exec_lo, exec_lo, s17
	s_and_saveexec_b32 s17, s11
	s_cbranch_execnz .LBB379_300
.LBB379_233:
	s_or_b32 exec_lo, exec_lo, s17
	s_and_saveexec_b32 s17, s10
	s_cbranch_execnz .LBB379_301
.LBB379_234:
	s_or_b32 exec_lo, exec_lo, s17
	s_and_saveexec_b32 s17, s9
	s_cbranch_execnz .LBB379_302
.LBB379_235:
	s_or_b32 exec_lo, exec_lo, s17
	s_and_saveexec_b32 s17, s7
	s_cbranch_execnz .LBB379_303
.LBB379_236:
	s_or_b32 exec_lo, exec_lo, s17
	s_and_saveexec_b32 s17, s5
	s_cbranch_execnz .LBB379_304
.LBB379_237:
	s_or_b32 exec_lo, exec_lo, s17
	s_and_saveexec_b32 s17, s8
	s_cbranch_execnz .LBB379_305
.LBB379_238:
	s_or_b32 exec_lo, exec_lo, s17
	s_and_saveexec_b32 s17, s6
	s_cbranch_execnz .LBB379_306
.LBB379_239:
	s_or_b32 exec_lo, exec_lo, s17
	s_and_saveexec_b32 s17, s4
	s_cbranch_execnz .LBB379_307
.LBB379_240:
	s_or_b32 exec_lo, exec_lo, s17
	s_and_saveexec_b32 s17, s3
	s_cbranch_execnz .LBB379_308
.LBB379_241:
	s_or_b32 exec_lo, exec_lo, s17
	s_and_saveexec_b32 s17, s2
	s_cbranch_execnz .LBB379_309
.LBB379_242:
	s_or_b32 exec_lo, exec_lo, s17
	s_and_saveexec_b32 s17, s1
	s_cbranch_execz .LBB379_244
.LBB379_243:
	v_sub_nc_u32_e32 v44, v71, v3
	v_mov_b32_e32 v45, 0
	s_delay_alu instid0(VALU_DEP_1) | instskip(NEXT) | instid1(VALU_DEP_1)
	v_lshlrev_b64 v[44:45], 2, v[44:45]
	v_add_co_u32 v44, vcc_lo, v2, v44
	s_delay_alu instid0(VALU_DEP_2)
	v_add_co_ci_u32_e32 v45, vcc_lo, v4, v45, vcc_lo
	global_store_b32 v[44:45], v10, off
.LBB379_244:
	s_or_b32 exec_lo, exec_lo, s17
	s_delay_alu instid0(SALU_CYCLE_1)
	s_and_b32 s17, s0, exec_lo
	s_and_not1_saveexec_b32 s15, s15
	s_cbranch_execz .LBB379_161
.LBB379_245:
	v_sub_nc_u32_e32 v44, v67, v3
	v_mov_b32_e32 v45, 0
	s_or_b32 s17, s17, exec_lo
	s_delay_alu instid0(VALU_DEP_1) | instskip(SKIP_1) | instid1(VALU_DEP_1)
	v_lshlrev_b64 v[46:47], 2, v[44:45]
	v_sub_nc_u32_e32 v44, v73, v3
	v_lshlrev_b64 v[48:49], 2, v[44:45]
	v_sub_nc_u32_e32 v44, v69, v3
	s_delay_alu instid0(VALU_DEP_4) | instskip(SKIP_1) | instid1(VALU_DEP_3)
	v_add_co_u32 v46, vcc_lo, v2, v46
	v_add_co_ci_u32_e32 v47, vcc_lo, v4, v47, vcc_lo
	v_lshlrev_b64 v[81:82], 2, v[44:45]
	v_sub_nc_u32_e32 v44, v65, v3
	v_add_co_u32 v48, vcc_lo, v2, v48
	v_add_co_ci_u32_e32 v49, vcc_lo, v4, v49, vcc_lo
	global_store_b32 v[46:47], v21, off
	v_lshlrev_b64 v[46:47], 2, v[44:45]
	v_sub_nc_u32_e32 v44, v59, v3
	global_store_b32 v[48:49], v22, off
	v_add_co_u32 v48, vcc_lo, v2, v81
	v_add_co_ci_u32_e32 v49, vcc_lo, v4, v82, vcc_lo
	v_lshlrev_b64 v[81:82], 2, v[44:45]
	v_sub_nc_u32_e32 v44, v55, v3
	v_add_co_u32 v46, vcc_lo, v2, v46
	v_add_co_ci_u32_e32 v47, vcc_lo, v4, v47, vcc_lo
	s_delay_alu instid0(VALU_DEP_3) | instskip(SKIP_3) | instid1(VALU_DEP_3)
	v_lshlrev_b64 v[83:84], 2, v[44:45]
	v_sub_nc_u32_e32 v44, v53, v3
	v_add_co_u32 v81, vcc_lo, v2, v81
	v_add_co_ci_u32_e32 v82, vcc_lo, v4, v82, vcc_lo
	v_lshlrev_b64 v[85:86], 2, v[44:45]
	v_sub_nc_u32_e32 v44, v57, v3
	v_add_co_u32 v83, vcc_lo, v2, v83
	v_add_co_ci_u32_e32 v84, vcc_lo, v4, v84, vcc_lo
	s_clause 0x3
	global_store_b32 v[48:49], v19, off
	global_store_b32 v[46:47], v20, off
	global_store_b32 v[81:82], v17, off
	global_store_b32 v[83:84], v18, off
	v_lshlrev_b64 v[46:47], 2, v[44:45]
	v_sub_nc_u32_e32 v44, v61, v3
	v_add_co_u32 v48, vcc_lo, v2, v85
	v_add_co_ci_u32_e32 v49, vcc_lo, v4, v86, vcc_lo
	s_delay_alu instid0(VALU_DEP_3) | instskip(SKIP_3) | instid1(VALU_DEP_3)
	v_lshlrev_b64 v[81:82], 2, v[44:45]
	v_sub_nc_u32_e32 v44, v5, v3
	v_add_co_u32 v46, vcc_lo, v2, v46
	v_add_co_ci_u32_e32 v47, vcc_lo, v4, v47, vcc_lo
	v_lshlrev_b64 v[83:84], 2, v[44:45]
	v_sub_nc_u32_e32 v44, v7, v3
	v_add_co_u32 v81, vcc_lo, v2, v81
	v_add_co_ci_u32_e32 v82, vcc_lo, v4, v82, vcc_lo
	s_delay_alu instid0(VALU_DEP_3)
	v_lshlrev_b64 v[85:86], 2, v[44:45]
	v_sub_nc_u32_e32 v44, v51, v3
	v_add_co_u32 v83, vcc_lo, v2, v83
	v_add_co_ci_u32_e32 v84, vcc_lo, v4, v84, vcc_lo
	s_clause 0x3
	global_store_b32 v[48:49], v15, off
	global_store_b32 v[46:47], v16, off
	;; [unrolled: 1-line block ×4, first 2 shown]
	v_lshlrev_b64 v[46:47], 2, v[44:45]
	v_sub_nc_u32_e32 v44, v75, v3
	v_add_co_u32 v48, vcc_lo, v2, v85
	v_add_co_ci_u32_e32 v49, vcc_lo, v4, v86, vcc_lo
	s_delay_alu instid0(VALU_DEP_3) | instskip(SKIP_3) | instid1(VALU_DEP_3)
	v_lshlrev_b64 v[81:82], 2, v[44:45]
	v_sub_nc_u32_e32 v44, v71, v3
	v_add_co_u32 v46, vcc_lo, v2, v46
	v_add_co_ci_u32_e32 v47, vcc_lo, v4, v47, vcc_lo
	v_lshlrev_b64 v[44:45], 2, v[44:45]
	v_add_co_u32 v81, vcc_lo, v2, v81
	v_add_co_ci_u32_e32 v82, vcc_lo, v4, v82, vcc_lo
	s_clause 0x2
	global_store_b32 v[48:49], v11, off
	global_store_b32 v[46:47], v12, off
	;; [unrolled: 1-line block ×3, first 2 shown]
	v_add_co_u32 v44, vcc_lo, v2, v44
	v_add_co_ci_u32_e32 v45, vcc_lo, v4, v45, vcc_lo
	global_store_b32 v[44:45], v10, off
	s_or_b32 exec_lo, exec_lo, s15
	s_delay_alu instid0(SALU_CYCLE_1)
	s_and_b32 exec_lo, exec_lo, s17
	s_cbranch_execnz .LBB379_162
	s_branch .LBB379_163
.LBB379_246:
	s_and_saveexec_b32 s17, s14
	s_cbranch_execnz .LBB379_310
; %bb.247:
	s_or_b32 exec_lo, exec_lo, s17
	s_and_saveexec_b32 s14, s13
	s_cbranch_execnz .LBB379_311
.LBB379_248:
	s_or_b32 exec_lo, exec_lo, s14
	s_and_saveexec_b32 s13, s12
	s_cbranch_execnz .LBB379_312
.LBB379_249:
	s_or_b32 exec_lo, exec_lo, s13
	s_and_saveexec_b32 s12, s11
	s_cbranch_execnz .LBB379_313
.LBB379_250:
	s_or_b32 exec_lo, exec_lo, s12
	s_and_saveexec_b32 s11, s10
	s_cbranch_execnz .LBB379_314
.LBB379_251:
	s_or_b32 exec_lo, exec_lo, s11
	s_and_saveexec_b32 s10, s9
	s_cbranch_execnz .LBB379_315
.LBB379_252:
	s_or_b32 exec_lo, exec_lo, s10
	s_and_saveexec_b32 s9, s7
	s_cbranch_execnz .LBB379_316
.LBB379_253:
	s_or_b32 exec_lo, exec_lo, s9
	s_and_saveexec_b32 s7, s5
	s_cbranch_execnz .LBB379_317
.LBB379_254:
	s_or_b32 exec_lo, exec_lo, s7
	s_and_saveexec_b32 s5, s8
	s_cbranch_execnz .LBB379_318
.LBB379_255:
	s_or_b32 exec_lo, exec_lo, s5
	s_and_saveexec_b32 s5, s6
	s_cbranch_execnz .LBB379_319
.LBB379_256:
	s_or_b32 exec_lo, exec_lo, s5
	s_and_saveexec_b32 s5, s4
	s_cbranch_execnz .LBB379_320
.LBB379_257:
	s_or_b32 exec_lo, exec_lo, s5
	s_and_saveexec_b32 s4, s3
	s_cbranch_execnz .LBB379_321
.LBB379_258:
	s_or_b32 exec_lo, exec_lo, s4
	s_and_saveexec_b32 s3, s2
	s_cbranch_execnz .LBB379_322
.LBB379_259:
	s_or_b32 exec_lo, exec_lo, s3
	s_and_saveexec_b32 s2, s1
	s_cbranch_execz .LBB379_261
.LBB379_260:
	v_sub_nc_u32_e32 v9, v71, v3
	s_delay_alu instid0(VALU_DEP_1)
	v_lshlrev_b32_e32 v9, 2, v9
	ds_store_b32 v9, v10
.LBB379_261:
	s_or_b32 exec_lo, exec_lo, s2
	s_delay_alu instid0(SALU_CYCLE_1)
	s_and_b32 s17, s0, exec_lo
                                        ; implicit-def: $vgpr21
                                        ; implicit-def: $vgpr19
                                        ; implicit-def: $vgpr17
                                        ; implicit-def: $vgpr15
                                        ; implicit-def: $vgpr13
                                        ; implicit-def: $vgpr11
                                        ; implicit-def: $vgpr9
	s_and_not1_saveexec_b32 s0, s16
	s_cbranch_execz .LBB379_168
.LBB379_262:
	v_sub_nc_u32_e32 v43, v67, v3
	v_sub_nc_u32_e32 v46, v65, v3
	;; [unrolled: 1-line block ×4, first 2 shown]
	s_or_b32 s17, s17, exec_lo
	v_lshlrev_b32_e32 v43, 2, v43
	v_lshlrev_b32_e32 v46, 2, v46
	;; [unrolled: 1-line block ×4, first 2 shown]
	ds_store_b32 v43, v21
	ds_store_b32 v44, v22
	;; [unrolled: 1-line block ×3, first 2 shown]
	v_sub_nc_u32_e32 v19, v59, v3
	ds_store_b32 v46, v20
	v_sub_nc_u32_e32 v20, v55, v3
	v_sub_nc_u32_e32 v21, v53, v3
	;; [unrolled: 1-line block ×3, first 2 shown]
	v_lshlrev_b32_e32 v19, 2, v19
	v_sub_nc_u32_e32 v43, v61, v3
	v_lshlrev_b32_e32 v20, 2, v20
	v_lshlrev_b32_e32 v21, 2, v21
	;; [unrolled: 1-line block ×3, first 2 shown]
	ds_store_b32 v19, v17
	v_lshlrev_b32_e32 v17, 2, v43
	ds_store_b32 v20, v18
	ds_store_b32 v21, v15
	;; [unrolled: 1-line block ×3, first 2 shown]
	v_sub_nc_u32_e32 v15, v5, v3
	v_sub_nc_u32_e32 v18, v71, v3
	;; [unrolled: 1-line block ×3, first 2 shown]
	ds_store_b32 v17, v13
	v_sub_nc_u32_e32 v13, v7, v3
	v_lshlrev_b32_e32 v15, 2, v15
	v_sub_nc_u32_e32 v17, v75, v3
	v_lshlrev_b32_e32 v16, 2, v16
	s_delay_alu instid0(VALU_DEP_4)
	v_lshlrev_b32_e32 v13, 2, v13
	ds_store_b32 v15, v14
	v_lshlrev_b32_e32 v14, 2, v18
	v_lshlrev_b32_e32 v17, 2, v17
	ds_store_b32 v13, v11
	ds_store_b32 v16, v12
	ds_store_b32 v17, v9
	ds_store_b32 v14, v10
	s_or_b32 exec_lo, exec_lo, s0
	s_delay_alu instid0(SALU_CYCLE_1)
	s_and_b32 exec_lo, exec_lo, s17
	s_cbranch_execnz .LBB379_169
	s_branch .LBB379_170
.LBB379_263:
	s_and_saveexec_b32 s17, s14
	s_cbranch_execnz .LBB379_323
; %bb.264:
	s_or_b32 exec_lo, exec_lo, s17
	s_and_saveexec_b32 s17, s13
	s_cbranch_execnz .LBB379_324
.LBB379_265:
	s_or_b32 exec_lo, exec_lo, s17
	s_and_saveexec_b32 s17, s12
	s_cbranch_execnz .LBB379_325
.LBB379_266:
	s_or_b32 exec_lo, exec_lo, s17
	s_and_saveexec_b32 s17, s11
	s_cbranch_execnz .LBB379_326
.LBB379_267:
	s_or_b32 exec_lo, exec_lo, s17
	s_and_saveexec_b32 s17, s10
	s_cbranch_execnz .LBB379_327
.LBB379_268:
	s_or_b32 exec_lo, exec_lo, s17
	s_and_saveexec_b32 s17, s9
	s_cbranch_execnz .LBB379_328
.LBB379_269:
	s_or_b32 exec_lo, exec_lo, s17
	s_and_saveexec_b32 s17, s8
	s_cbranch_execnz .LBB379_329
.LBB379_270:
	s_or_b32 exec_lo, exec_lo, s17
	s_and_saveexec_b32 s17, s7
	s_cbranch_execnz .LBB379_330
.LBB379_271:
	s_or_b32 exec_lo, exec_lo, s17
	s_and_saveexec_b32 s17, s6
	s_cbranch_execnz .LBB379_331
.LBB379_272:
	s_or_b32 exec_lo, exec_lo, s17
	s_and_saveexec_b32 s17, s5
	s_cbranch_execnz .LBB379_332
.LBB379_273:
	s_or_b32 exec_lo, exec_lo, s17
	s_and_saveexec_b32 s17, s4
	s_cbranch_execnz .LBB379_333
.LBB379_274:
	s_or_b32 exec_lo, exec_lo, s17
	s_and_saveexec_b32 s17, s3
	s_cbranch_execnz .LBB379_334
.LBB379_275:
	s_or_b32 exec_lo, exec_lo, s17
	s_and_saveexec_b32 s17, s2
	s_cbranch_execnz .LBB379_335
.LBB379_276:
	s_or_b32 exec_lo, exec_lo, s17
	s_and_saveexec_b32 s17, s1
	s_cbranch_execz .LBB379_278
.LBB379_277:
	v_sub_nc_u32_e32 v14, v71, v4
	v_mov_b32_e32 v15, 0
	s_delay_alu instid0(VALU_DEP_1) | instskip(NEXT) | instid1(VALU_DEP_1)
	v_lshlrev_b64 v[14:15], 2, v[14:15]
	v_add_co_u32 v14, vcc_lo, v11, v14
	s_delay_alu instid0(VALU_DEP_2)
	v_add_co_ci_u32_e32 v15, vcc_lo, v12, v15, vcc_lo
	global_store_b32 v[14:15], v72, off
.LBB379_278:
	s_or_b32 exec_lo, exec_lo, s17
	s_delay_alu instid0(SALU_CYCLE_1)
	s_and_b32 s17, s0, exec_lo
	s_and_not1_saveexec_b32 s15, s15
	s_cbranch_execz .LBB379_181
.LBB379_279:
	v_sub_nc_u32_e32 v14, v67, v4
	v_mov_b32_e32 v15, 0
	s_or_b32 s17, s17, exec_lo
	s_delay_alu instid0(VALU_DEP_1) | instskip(SKIP_1) | instid1(VALU_DEP_1)
	v_lshlrev_b64 v[16:17], 2, v[14:15]
	v_sub_nc_u32_e32 v14, v73, v4
	v_lshlrev_b64 v[18:19], 2, v[14:15]
	v_sub_nc_u32_e32 v14, v69, v4
	s_delay_alu instid0(VALU_DEP_4) | instskip(SKIP_1) | instid1(VALU_DEP_3)
	v_add_co_u32 v16, vcc_lo, v11, v16
	v_add_co_ci_u32_e32 v17, vcc_lo, v12, v17, vcc_lo
	v_lshlrev_b64 v[20:21], 2, v[14:15]
	v_sub_nc_u32_e32 v14, v65, v4
	v_add_co_u32 v18, vcc_lo, v11, v18
	v_add_co_ci_u32_e32 v19, vcc_lo, v12, v19, vcc_lo
	global_store_b32 v[16:17], v68, off
	v_lshlrev_b64 v[16:17], 2, v[14:15]
	v_sub_nc_u32_e32 v14, v59, v4
	global_store_b32 v[18:19], v74, off
	v_add_co_u32 v18, vcc_lo, v11, v20
	v_add_co_ci_u32_e32 v19, vcc_lo, v12, v21, vcc_lo
	v_lshlrev_b64 v[20:21], 2, v[14:15]
	v_sub_nc_u32_e32 v14, v55, v4
	v_add_co_u32 v16, vcc_lo, v11, v16
	v_add_co_ci_u32_e32 v17, vcc_lo, v12, v17, vcc_lo
	s_delay_alu instid0(VALU_DEP_3) | instskip(SKIP_3) | instid1(VALU_DEP_3)
	v_lshlrev_b64 v[22:23], 2, v[14:15]
	v_sub_nc_u32_e32 v14, v53, v4
	v_add_co_u32 v20, vcc_lo, v11, v20
	v_add_co_ci_u32_e32 v21, vcc_lo, v12, v21, vcc_lo
	v_lshlrev_b64 v[24:25], 2, v[14:15]
	v_sub_nc_u32_e32 v14, v57, v4
	v_add_co_u32 v22, vcc_lo, v11, v22
	v_add_co_ci_u32_e32 v23, vcc_lo, v12, v23, vcc_lo
	s_clause 0x3
	global_store_b32 v[18:19], v70, off
	global_store_b32 v[16:17], v66, off
	;; [unrolled: 1-line block ×4, first 2 shown]
	v_lshlrev_b64 v[16:17], 2, v[14:15]
	v_sub_nc_u32_e32 v14, v61, v4
	v_add_co_u32 v18, vcc_lo, v11, v24
	v_add_co_ci_u32_e32 v19, vcc_lo, v12, v25, vcc_lo
	s_delay_alu instid0(VALU_DEP_3) | instskip(SKIP_3) | instid1(VALU_DEP_3)
	v_lshlrev_b64 v[20:21], 2, v[14:15]
	v_sub_nc_u32_e32 v14, v5, v4
	v_add_co_u32 v16, vcc_lo, v11, v16
	v_add_co_ci_u32_e32 v17, vcc_lo, v12, v17, vcc_lo
	v_lshlrev_b64 v[22:23], 2, v[14:15]
	v_sub_nc_u32_e32 v14, v7, v4
	v_add_co_u32 v20, vcc_lo, v11, v20
	v_add_co_ci_u32_e32 v21, vcc_lo, v12, v21, vcc_lo
	s_delay_alu instid0(VALU_DEP_3)
	v_lshlrev_b64 v[24:25], 2, v[14:15]
	v_sub_nc_u32_e32 v14, v51, v4
	v_add_co_u32 v22, vcc_lo, v11, v22
	v_add_co_ci_u32_e32 v23, vcc_lo, v12, v23, vcc_lo
	s_clause 0x3
	global_store_b32 v[18:19], v54, off
	global_store_b32 v[16:17], v58, off
	;; [unrolled: 1-line block ×4, first 2 shown]
	v_lshlrev_b64 v[16:17], 2, v[14:15]
	v_sub_nc_u32_e32 v14, v75, v4
	v_add_co_u32 v18, vcc_lo, v11, v24
	v_add_co_ci_u32_e32 v19, vcc_lo, v12, v25, vcc_lo
	s_delay_alu instid0(VALU_DEP_3) | instskip(SKIP_3) | instid1(VALU_DEP_3)
	v_lshlrev_b64 v[20:21], 2, v[14:15]
	v_sub_nc_u32_e32 v14, v71, v4
	v_add_co_u32 v16, vcc_lo, v11, v16
	v_add_co_ci_u32_e32 v17, vcc_lo, v12, v17, vcc_lo
	v_lshlrev_b64 v[14:15], 2, v[14:15]
	v_add_co_u32 v20, vcc_lo, v11, v20
	v_add_co_ci_u32_e32 v21, vcc_lo, v12, v21, vcc_lo
	s_clause 0x2
	global_store_b32 v[18:19], v8, off
	global_store_b32 v[16:17], v52, off
	;; [unrolled: 1-line block ×3, first 2 shown]
	v_add_co_u32 v14, vcc_lo, v11, v14
	v_add_co_ci_u32_e32 v15, vcc_lo, v12, v15, vcc_lo
	global_store_b32 v[14:15], v72, off
	s_or_b32 exec_lo, exec_lo, s15
	s_delay_alu instid0(SALU_CYCLE_1)
	s_and_b32 exec_lo, exec_lo, s17
	s_cbranch_execnz .LBB379_182
	s_branch .LBB379_183
.LBB379_280:
	s_and_saveexec_b32 s17, s14
	s_cbranch_execnz .LBB379_336
; %bb.281:
	s_or_b32 exec_lo, exec_lo, s17
	s_and_saveexec_b32 s14, s13
	s_cbranch_execnz .LBB379_337
.LBB379_282:
	s_or_b32 exec_lo, exec_lo, s14
	s_and_saveexec_b32 s13, s12
	s_cbranch_execnz .LBB379_338
.LBB379_283:
	s_or_b32 exec_lo, exec_lo, s13
	s_and_saveexec_b32 s12, s11
	s_cbranch_execnz .LBB379_339
.LBB379_284:
	s_or_b32 exec_lo, exec_lo, s12
	s_and_saveexec_b32 s11, s10
	s_cbranch_execnz .LBB379_340
.LBB379_285:
	s_or_b32 exec_lo, exec_lo, s11
	s_and_saveexec_b32 s10, s9
	s_cbranch_execnz .LBB379_341
.LBB379_286:
	s_or_b32 exec_lo, exec_lo, s10
	s_and_saveexec_b32 s9, s8
	s_cbranch_execnz .LBB379_342
.LBB379_287:
	s_or_b32 exec_lo, exec_lo, s9
	s_and_saveexec_b32 s8, s7
	s_cbranch_execnz .LBB379_343
.LBB379_288:
	s_or_b32 exec_lo, exec_lo, s8
	s_and_saveexec_b32 s7, s6
	s_cbranch_execnz .LBB379_344
.LBB379_289:
	s_or_b32 exec_lo, exec_lo, s7
	s_and_saveexec_b32 s6, s5
	s_cbranch_execnz .LBB379_345
.LBB379_290:
	s_or_b32 exec_lo, exec_lo, s6
	s_and_saveexec_b32 s5, s4
	s_cbranch_execnz .LBB379_346
.LBB379_291:
	s_or_b32 exec_lo, exec_lo, s5
	s_and_saveexec_b32 s4, s3
	s_cbranch_execnz .LBB379_347
.LBB379_292:
	s_or_b32 exec_lo, exec_lo, s4
	s_and_saveexec_b32 s3, s2
	s_cbranch_execnz .LBB379_348
.LBB379_293:
	s_or_b32 exec_lo, exec_lo, s3
	s_and_saveexec_b32 s2, s1
	s_cbranch_execz .LBB379_295
.LBB379_294:
	v_sub_nc_u32_e32 v5, v71, v4
	s_delay_alu instid0(VALU_DEP_1)
	v_lshlrev_b32_e32 v5, 2, v5
	ds_store_b32 v5, v72
.LBB379_295:
	s_or_b32 exec_lo, exec_lo, s2
	s_delay_alu instid0(SALU_CYCLE_1)
	s_and_b32 s17, s0, exec_lo
                                        ; implicit-def: $vgpr67_vgpr68
                                        ; implicit-def: $vgpr73_vgpr74
                                        ; implicit-def: $vgpr69_vgpr70
                                        ; implicit-def: $vgpr65_vgpr66
                                        ; implicit-def: $vgpr59_vgpr60
                                        ; implicit-def: $vgpr55_vgpr56
                                        ; implicit-def: $vgpr53_vgpr54
                                        ; implicit-def: $vgpr57_vgpr58
                                        ; implicit-def: $vgpr61_vgpr62
                                        ; implicit-def: $vgpr5_vgpr6
                                        ; implicit-def: $vgpr7_vgpr8
                                        ; implicit-def: $vgpr51_vgpr52
                                        ; implicit-def: $vgpr75_vgpr76
                                        ; implicit-def: $vgpr71_vgpr72
	s_and_not1_saveexec_b32 s0, s16
	s_cbranch_execz .LBB379_187
.LBB379_296:
	v_sub_nc_u32_e32 v13, v67, v4
	v_sub_nc_u32_e32 v14, v73, v4
	;; [unrolled: 1-line block ×5, first 2 shown]
	v_lshlrev_b32_e32 v13, 2, v13
	v_lshlrev_b32_e32 v14, 2, v14
	;; [unrolled: 1-line block ×4, first 2 shown]
	v_sub_nc_u32_e32 v5, v5, v4
	ds_store_b32 v13, v68
	ds_store_b32 v14, v74
	ds_store_b32 v15, v70
	v_sub_nc_u32_e32 v13, v59, v4
	v_sub_nc_u32_e32 v14, v55, v4
	;; [unrolled: 1-line block ×3, first 2 shown]
	ds_store_b32 v16, v66
	v_sub_nc_u32_e32 v16, v57, v4
	v_lshlrev_b32_e32 v13, 2, v13
	v_lshlrev_b32_e32 v14, 2, v14
	;; [unrolled: 1-line block ×3, first 2 shown]
	v_sub_nc_u32_e32 v7, v7, v4
	v_lshlrev_b32_e32 v16, 2, v16
	ds_store_b32 v13, v60
	v_lshlrev_b32_e32 v13, 2, v17
	ds_store_b32 v14, v56
	ds_store_b32 v15, v54
	;; [unrolled: 1-line block ×3, first 2 shown]
	v_lshlrev_b32_e32 v5, 2, v5
	v_sub_nc_u32_e32 v15, v71, v4
	v_sub_nc_u32_e32 v14, v75, v4
	ds_store_b32 v13, v62
	v_sub_nc_u32_e32 v13, v51, v4
	v_lshlrev_b32_e32 v7, 2, v7
	ds_store_b32 v5, v6
	v_lshlrev_b32_e32 v5, 2, v15
	v_lshlrev_b32_e32 v14, 2, v14
	;; [unrolled: 1-line block ×3, first 2 shown]
	s_or_b32 s17, s17, exec_lo
	ds_store_b32 v7, v8
	ds_store_b32 v13, v52
	;; [unrolled: 1-line block ×4, first 2 shown]
	s_or_b32 exec_lo, exec_lo, s0
	s_delay_alu instid0(SALU_CYCLE_1)
	s_and_b32 exec_lo, exec_lo, s17
	s_cbranch_execnz .LBB379_188
	s_branch .LBB379_189
.LBB379_297:
	v_sub_nc_u32_e32 v44, v67, v3
	v_mov_b32_e32 v45, 0
	s_delay_alu instid0(VALU_DEP_1) | instskip(NEXT) | instid1(VALU_DEP_1)
	v_lshlrev_b64 v[44:45], 2, v[44:45]
	v_add_co_u32 v44, vcc_lo, v2, v44
	s_delay_alu instid0(VALU_DEP_2)
	v_add_co_ci_u32_e32 v45, vcc_lo, v4, v45, vcc_lo
	global_store_b32 v[44:45], v21, off
	s_or_b32 exec_lo, exec_lo, s17
	s_and_saveexec_b32 s17, s13
	s_cbranch_execz .LBB379_231
.LBB379_298:
	v_sub_nc_u32_e32 v44, v73, v3
	v_mov_b32_e32 v45, 0
	s_delay_alu instid0(VALU_DEP_1) | instskip(NEXT) | instid1(VALU_DEP_1)
	v_lshlrev_b64 v[44:45], 2, v[44:45]
	v_add_co_u32 v44, vcc_lo, v2, v44
	s_delay_alu instid0(VALU_DEP_2)
	v_add_co_ci_u32_e32 v45, vcc_lo, v4, v45, vcc_lo
	global_store_b32 v[44:45], v22, off
	s_or_b32 exec_lo, exec_lo, s17
	s_and_saveexec_b32 s17, s12
	s_cbranch_execz .LBB379_232
.LBB379_299:
	v_sub_nc_u32_e32 v44, v69, v3
	v_mov_b32_e32 v45, 0
	s_delay_alu instid0(VALU_DEP_1) | instskip(NEXT) | instid1(VALU_DEP_1)
	v_lshlrev_b64 v[44:45], 2, v[44:45]
	v_add_co_u32 v44, vcc_lo, v2, v44
	s_delay_alu instid0(VALU_DEP_2)
	v_add_co_ci_u32_e32 v45, vcc_lo, v4, v45, vcc_lo
	global_store_b32 v[44:45], v19, off
	s_or_b32 exec_lo, exec_lo, s17
	s_and_saveexec_b32 s17, s11
	s_cbranch_execz .LBB379_233
.LBB379_300:
	v_sub_nc_u32_e32 v44, v65, v3
	v_mov_b32_e32 v45, 0
	s_delay_alu instid0(VALU_DEP_1) | instskip(NEXT) | instid1(VALU_DEP_1)
	v_lshlrev_b64 v[44:45], 2, v[44:45]
	v_add_co_u32 v44, vcc_lo, v2, v44
	s_delay_alu instid0(VALU_DEP_2)
	v_add_co_ci_u32_e32 v45, vcc_lo, v4, v45, vcc_lo
	global_store_b32 v[44:45], v20, off
	s_or_b32 exec_lo, exec_lo, s17
	s_and_saveexec_b32 s17, s10
	s_cbranch_execz .LBB379_234
.LBB379_301:
	v_sub_nc_u32_e32 v44, v59, v3
	v_mov_b32_e32 v45, 0
	s_delay_alu instid0(VALU_DEP_1) | instskip(NEXT) | instid1(VALU_DEP_1)
	v_lshlrev_b64 v[44:45], 2, v[44:45]
	v_add_co_u32 v44, vcc_lo, v2, v44
	s_delay_alu instid0(VALU_DEP_2)
	v_add_co_ci_u32_e32 v45, vcc_lo, v4, v45, vcc_lo
	global_store_b32 v[44:45], v17, off
	s_or_b32 exec_lo, exec_lo, s17
	s_and_saveexec_b32 s17, s9
	s_cbranch_execz .LBB379_235
.LBB379_302:
	v_sub_nc_u32_e32 v44, v55, v3
	v_mov_b32_e32 v45, 0
	s_delay_alu instid0(VALU_DEP_1) | instskip(NEXT) | instid1(VALU_DEP_1)
	v_lshlrev_b64 v[44:45], 2, v[44:45]
	v_add_co_u32 v44, vcc_lo, v2, v44
	s_delay_alu instid0(VALU_DEP_2)
	v_add_co_ci_u32_e32 v45, vcc_lo, v4, v45, vcc_lo
	global_store_b32 v[44:45], v18, off
	s_or_b32 exec_lo, exec_lo, s17
	s_and_saveexec_b32 s17, s7
	s_cbranch_execz .LBB379_236
.LBB379_303:
	v_sub_nc_u32_e32 v44, v53, v3
	v_mov_b32_e32 v45, 0
	s_delay_alu instid0(VALU_DEP_1) | instskip(NEXT) | instid1(VALU_DEP_1)
	v_lshlrev_b64 v[44:45], 2, v[44:45]
	v_add_co_u32 v44, vcc_lo, v2, v44
	s_delay_alu instid0(VALU_DEP_2)
	v_add_co_ci_u32_e32 v45, vcc_lo, v4, v45, vcc_lo
	global_store_b32 v[44:45], v15, off
	s_or_b32 exec_lo, exec_lo, s17
	s_and_saveexec_b32 s17, s5
	s_cbranch_execz .LBB379_237
.LBB379_304:
	v_sub_nc_u32_e32 v44, v57, v3
	v_mov_b32_e32 v45, 0
	s_delay_alu instid0(VALU_DEP_1) | instskip(NEXT) | instid1(VALU_DEP_1)
	v_lshlrev_b64 v[44:45], 2, v[44:45]
	v_add_co_u32 v44, vcc_lo, v2, v44
	s_delay_alu instid0(VALU_DEP_2)
	v_add_co_ci_u32_e32 v45, vcc_lo, v4, v45, vcc_lo
	global_store_b32 v[44:45], v16, off
	s_or_b32 exec_lo, exec_lo, s17
	s_and_saveexec_b32 s17, s8
	s_cbranch_execz .LBB379_238
.LBB379_305:
	v_sub_nc_u32_e32 v44, v61, v3
	v_mov_b32_e32 v45, 0
	s_delay_alu instid0(VALU_DEP_1) | instskip(NEXT) | instid1(VALU_DEP_1)
	v_lshlrev_b64 v[44:45], 2, v[44:45]
	v_add_co_u32 v44, vcc_lo, v2, v44
	s_delay_alu instid0(VALU_DEP_2)
	v_add_co_ci_u32_e32 v45, vcc_lo, v4, v45, vcc_lo
	global_store_b32 v[44:45], v13, off
	s_or_b32 exec_lo, exec_lo, s17
	s_and_saveexec_b32 s17, s6
	s_cbranch_execz .LBB379_239
.LBB379_306:
	v_sub_nc_u32_e32 v44, v5, v3
	v_mov_b32_e32 v45, 0
	s_delay_alu instid0(VALU_DEP_1) | instskip(NEXT) | instid1(VALU_DEP_1)
	v_lshlrev_b64 v[44:45], 2, v[44:45]
	v_add_co_u32 v44, vcc_lo, v2, v44
	s_delay_alu instid0(VALU_DEP_2)
	v_add_co_ci_u32_e32 v45, vcc_lo, v4, v45, vcc_lo
	global_store_b32 v[44:45], v14, off
	s_or_b32 exec_lo, exec_lo, s17
	s_and_saveexec_b32 s17, s4
	s_cbranch_execz .LBB379_240
.LBB379_307:
	v_sub_nc_u32_e32 v44, v7, v3
	v_mov_b32_e32 v45, 0
	s_delay_alu instid0(VALU_DEP_1) | instskip(NEXT) | instid1(VALU_DEP_1)
	v_lshlrev_b64 v[44:45], 2, v[44:45]
	v_add_co_u32 v44, vcc_lo, v2, v44
	s_delay_alu instid0(VALU_DEP_2)
	v_add_co_ci_u32_e32 v45, vcc_lo, v4, v45, vcc_lo
	global_store_b32 v[44:45], v11, off
	s_or_b32 exec_lo, exec_lo, s17
	s_and_saveexec_b32 s17, s3
	s_cbranch_execz .LBB379_241
.LBB379_308:
	v_sub_nc_u32_e32 v44, v51, v3
	v_mov_b32_e32 v45, 0
	s_delay_alu instid0(VALU_DEP_1) | instskip(NEXT) | instid1(VALU_DEP_1)
	v_lshlrev_b64 v[44:45], 2, v[44:45]
	v_add_co_u32 v44, vcc_lo, v2, v44
	s_delay_alu instid0(VALU_DEP_2)
	v_add_co_ci_u32_e32 v45, vcc_lo, v4, v45, vcc_lo
	global_store_b32 v[44:45], v12, off
	s_or_b32 exec_lo, exec_lo, s17
	s_and_saveexec_b32 s17, s2
	s_cbranch_execz .LBB379_242
.LBB379_309:
	v_sub_nc_u32_e32 v44, v75, v3
	v_mov_b32_e32 v45, 0
	s_delay_alu instid0(VALU_DEP_1) | instskip(NEXT) | instid1(VALU_DEP_1)
	v_lshlrev_b64 v[44:45], 2, v[44:45]
	v_add_co_u32 v44, vcc_lo, v2, v44
	s_delay_alu instid0(VALU_DEP_2)
	v_add_co_ci_u32_e32 v45, vcc_lo, v4, v45, vcc_lo
	global_store_b32 v[44:45], v9, off
	s_or_b32 exec_lo, exec_lo, s17
	s_and_saveexec_b32 s17, s1
	s_cbranch_execnz .LBB379_243
	s_branch .LBB379_244
.LBB379_310:
	v_sub_nc_u32_e32 v43, v67, v3
	s_delay_alu instid0(VALU_DEP_1)
	v_lshlrev_b32_e32 v43, 2, v43
	ds_store_b32 v43, v21
	s_or_b32 exec_lo, exec_lo, s17
	s_and_saveexec_b32 s14, s13
	s_cbranch_execz .LBB379_248
.LBB379_311:
	v_sub_nc_u32_e32 v21, v73, v3
	s_delay_alu instid0(VALU_DEP_1)
	v_lshlrev_b32_e32 v21, 2, v21
	ds_store_b32 v21, v22
	s_or_b32 exec_lo, exec_lo, s14
	s_and_saveexec_b32 s13, s12
	s_cbranch_execz .LBB379_249
.LBB379_312:
	v_sub_nc_u32_e32 v21, v69, v3
	s_delay_alu instid0(VALU_DEP_1)
	v_lshlrev_b32_e32 v21, 2, v21
	ds_store_b32 v21, v19
	s_or_b32 exec_lo, exec_lo, s13
	s_and_saveexec_b32 s12, s11
	s_cbranch_execz .LBB379_250
.LBB379_313:
	v_sub_nc_u32_e32 v19, v65, v3
	s_delay_alu instid0(VALU_DEP_1)
	v_lshlrev_b32_e32 v19, 2, v19
	ds_store_b32 v19, v20
	s_or_b32 exec_lo, exec_lo, s12
	s_and_saveexec_b32 s11, s10
	s_cbranch_execz .LBB379_251
.LBB379_314:
	v_sub_nc_u32_e32 v19, v59, v3
	s_delay_alu instid0(VALU_DEP_1)
	v_lshlrev_b32_e32 v19, 2, v19
	ds_store_b32 v19, v17
	s_or_b32 exec_lo, exec_lo, s11
	s_and_saveexec_b32 s10, s9
	s_cbranch_execz .LBB379_252
.LBB379_315:
	v_sub_nc_u32_e32 v17, v55, v3
	s_delay_alu instid0(VALU_DEP_1)
	v_lshlrev_b32_e32 v17, 2, v17
	ds_store_b32 v17, v18
	s_or_b32 exec_lo, exec_lo, s10
	s_and_saveexec_b32 s9, s7
	s_cbranch_execz .LBB379_253
.LBB379_316:
	v_sub_nc_u32_e32 v17, v53, v3
	s_delay_alu instid0(VALU_DEP_1)
	v_lshlrev_b32_e32 v17, 2, v17
	ds_store_b32 v17, v15
	s_or_b32 exec_lo, exec_lo, s9
	s_and_saveexec_b32 s7, s5
	s_cbranch_execz .LBB379_254
.LBB379_317:
	v_sub_nc_u32_e32 v15, v57, v3
	s_delay_alu instid0(VALU_DEP_1)
	v_lshlrev_b32_e32 v15, 2, v15
	ds_store_b32 v15, v16
	s_or_b32 exec_lo, exec_lo, s7
	s_and_saveexec_b32 s5, s8
	s_cbranch_execz .LBB379_255
.LBB379_318:
	v_sub_nc_u32_e32 v15, v61, v3
	s_delay_alu instid0(VALU_DEP_1)
	v_lshlrev_b32_e32 v15, 2, v15
	ds_store_b32 v15, v13
	s_or_b32 exec_lo, exec_lo, s5
	s_and_saveexec_b32 s5, s6
	s_cbranch_execz .LBB379_256
.LBB379_319:
	v_sub_nc_u32_e32 v13, v5, v3
	s_delay_alu instid0(VALU_DEP_1)
	v_lshlrev_b32_e32 v13, 2, v13
	ds_store_b32 v13, v14
	s_or_b32 exec_lo, exec_lo, s5
	s_and_saveexec_b32 s5, s4
	s_cbranch_execz .LBB379_257
.LBB379_320:
	v_sub_nc_u32_e32 v13, v7, v3
	s_delay_alu instid0(VALU_DEP_1)
	v_lshlrev_b32_e32 v13, 2, v13
	ds_store_b32 v13, v11
	s_or_b32 exec_lo, exec_lo, s5
	s_and_saveexec_b32 s4, s3
	s_cbranch_execz .LBB379_258
.LBB379_321:
	v_sub_nc_u32_e32 v11, v51, v3
	s_delay_alu instid0(VALU_DEP_1)
	v_lshlrev_b32_e32 v11, 2, v11
	ds_store_b32 v11, v12
	s_or_b32 exec_lo, exec_lo, s4
	s_and_saveexec_b32 s3, s2
	s_cbranch_execz .LBB379_259
.LBB379_322:
	v_sub_nc_u32_e32 v11, v75, v3
	s_delay_alu instid0(VALU_DEP_1)
	v_lshlrev_b32_e32 v11, 2, v11
	ds_store_b32 v11, v9
	s_or_b32 exec_lo, exec_lo, s3
	s_and_saveexec_b32 s2, s1
	s_cbranch_execnz .LBB379_260
	s_branch .LBB379_261
.LBB379_323:
	v_sub_nc_u32_e32 v14, v67, v4
	v_mov_b32_e32 v15, 0
	s_delay_alu instid0(VALU_DEP_1) | instskip(NEXT) | instid1(VALU_DEP_1)
	v_lshlrev_b64 v[14:15], 2, v[14:15]
	v_add_co_u32 v14, vcc_lo, v11, v14
	s_delay_alu instid0(VALU_DEP_2)
	v_add_co_ci_u32_e32 v15, vcc_lo, v12, v15, vcc_lo
	global_store_b32 v[14:15], v68, off
	s_or_b32 exec_lo, exec_lo, s17
	s_and_saveexec_b32 s17, s13
	s_cbranch_execz .LBB379_265
.LBB379_324:
	v_sub_nc_u32_e32 v14, v73, v4
	v_mov_b32_e32 v15, 0
	s_delay_alu instid0(VALU_DEP_1) | instskip(NEXT) | instid1(VALU_DEP_1)
	v_lshlrev_b64 v[14:15], 2, v[14:15]
	v_add_co_u32 v14, vcc_lo, v11, v14
	s_delay_alu instid0(VALU_DEP_2)
	v_add_co_ci_u32_e32 v15, vcc_lo, v12, v15, vcc_lo
	global_store_b32 v[14:15], v74, off
	s_or_b32 exec_lo, exec_lo, s17
	s_and_saveexec_b32 s17, s12
	s_cbranch_execz .LBB379_266
.LBB379_325:
	v_sub_nc_u32_e32 v14, v69, v4
	v_mov_b32_e32 v15, 0
	s_delay_alu instid0(VALU_DEP_1) | instskip(NEXT) | instid1(VALU_DEP_1)
	v_lshlrev_b64 v[14:15], 2, v[14:15]
	v_add_co_u32 v14, vcc_lo, v11, v14
	s_delay_alu instid0(VALU_DEP_2)
	v_add_co_ci_u32_e32 v15, vcc_lo, v12, v15, vcc_lo
	global_store_b32 v[14:15], v70, off
	s_or_b32 exec_lo, exec_lo, s17
	s_and_saveexec_b32 s17, s11
	s_cbranch_execz .LBB379_267
.LBB379_326:
	v_sub_nc_u32_e32 v14, v65, v4
	v_mov_b32_e32 v15, 0
	s_delay_alu instid0(VALU_DEP_1) | instskip(NEXT) | instid1(VALU_DEP_1)
	v_lshlrev_b64 v[14:15], 2, v[14:15]
	v_add_co_u32 v14, vcc_lo, v11, v14
	s_delay_alu instid0(VALU_DEP_2)
	v_add_co_ci_u32_e32 v15, vcc_lo, v12, v15, vcc_lo
	global_store_b32 v[14:15], v66, off
	s_or_b32 exec_lo, exec_lo, s17
	s_and_saveexec_b32 s17, s10
	s_cbranch_execz .LBB379_268
.LBB379_327:
	v_sub_nc_u32_e32 v14, v59, v4
	v_mov_b32_e32 v15, 0
	s_delay_alu instid0(VALU_DEP_1) | instskip(NEXT) | instid1(VALU_DEP_1)
	v_lshlrev_b64 v[14:15], 2, v[14:15]
	v_add_co_u32 v14, vcc_lo, v11, v14
	s_delay_alu instid0(VALU_DEP_2)
	v_add_co_ci_u32_e32 v15, vcc_lo, v12, v15, vcc_lo
	global_store_b32 v[14:15], v60, off
	s_or_b32 exec_lo, exec_lo, s17
	s_and_saveexec_b32 s17, s9
	s_cbranch_execz .LBB379_269
.LBB379_328:
	v_sub_nc_u32_e32 v14, v55, v4
	v_mov_b32_e32 v15, 0
	s_delay_alu instid0(VALU_DEP_1) | instskip(NEXT) | instid1(VALU_DEP_1)
	v_lshlrev_b64 v[14:15], 2, v[14:15]
	v_add_co_u32 v14, vcc_lo, v11, v14
	s_delay_alu instid0(VALU_DEP_2)
	v_add_co_ci_u32_e32 v15, vcc_lo, v12, v15, vcc_lo
	global_store_b32 v[14:15], v56, off
	s_or_b32 exec_lo, exec_lo, s17
	s_and_saveexec_b32 s17, s8
	s_cbranch_execz .LBB379_270
.LBB379_329:
	v_sub_nc_u32_e32 v14, v53, v4
	v_mov_b32_e32 v15, 0
	s_delay_alu instid0(VALU_DEP_1) | instskip(NEXT) | instid1(VALU_DEP_1)
	v_lshlrev_b64 v[14:15], 2, v[14:15]
	v_add_co_u32 v14, vcc_lo, v11, v14
	s_delay_alu instid0(VALU_DEP_2)
	v_add_co_ci_u32_e32 v15, vcc_lo, v12, v15, vcc_lo
	global_store_b32 v[14:15], v54, off
	s_or_b32 exec_lo, exec_lo, s17
	s_and_saveexec_b32 s17, s7
	s_cbranch_execz .LBB379_271
.LBB379_330:
	v_sub_nc_u32_e32 v14, v57, v4
	v_mov_b32_e32 v15, 0
	s_delay_alu instid0(VALU_DEP_1) | instskip(NEXT) | instid1(VALU_DEP_1)
	v_lshlrev_b64 v[14:15], 2, v[14:15]
	v_add_co_u32 v14, vcc_lo, v11, v14
	s_delay_alu instid0(VALU_DEP_2)
	v_add_co_ci_u32_e32 v15, vcc_lo, v12, v15, vcc_lo
	global_store_b32 v[14:15], v58, off
	s_or_b32 exec_lo, exec_lo, s17
	s_and_saveexec_b32 s17, s6
	s_cbranch_execz .LBB379_272
.LBB379_331:
	v_sub_nc_u32_e32 v14, v61, v4
	v_mov_b32_e32 v15, 0
	s_delay_alu instid0(VALU_DEP_1) | instskip(NEXT) | instid1(VALU_DEP_1)
	v_lshlrev_b64 v[14:15], 2, v[14:15]
	v_add_co_u32 v14, vcc_lo, v11, v14
	s_delay_alu instid0(VALU_DEP_2)
	v_add_co_ci_u32_e32 v15, vcc_lo, v12, v15, vcc_lo
	global_store_b32 v[14:15], v62, off
	s_or_b32 exec_lo, exec_lo, s17
	s_and_saveexec_b32 s17, s5
	s_cbranch_execz .LBB379_273
.LBB379_332:
	v_sub_nc_u32_e32 v14, v5, v4
	v_mov_b32_e32 v15, 0
	s_delay_alu instid0(VALU_DEP_1) | instskip(NEXT) | instid1(VALU_DEP_1)
	v_lshlrev_b64 v[14:15], 2, v[14:15]
	v_add_co_u32 v14, vcc_lo, v11, v14
	s_delay_alu instid0(VALU_DEP_2)
	v_add_co_ci_u32_e32 v15, vcc_lo, v12, v15, vcc_lo
	global_store_b32 v[14:15], v6, off
	s_or_b32 exec_lo, exec_lo, s17
	s_and_saveexec_b32 s17, s4
	s_cbranch_execz .LBB379_274
.LBB379_333:
	v_sub_nc_u32_e32 v14, v7, v4
	v_mov_b32_e32 v15, 0
	s_delay_alu instid0(VALU_DEP_1) | instskip(NEXT) | instid1(VALU_DEP_1)
	v_lshlrev_b64 v[14:15], 2, v[14:15]
	v_add_co_u32 v14, vcc_lo, v11, v14
	s_delay_alu instid0(VALU_DEP_2)
	v_add_co_ci_u32_e32 v15, vcc_lo, v12, v15, vcc_lo
	global_store_b32 v[14:15], v8, off
	s_or_b32 exec_lo, exec_lo, s17
	s_and_saveexec_b32 s17, s3
	s_cbranch_execz .LBB379_275
.LBB379_334:
	v_sub_nc_u32_e32 v14, v51, v4
	v_mov_b32_e32 v15, 0
	s_delay_alu instid0(VALU_DEP_1) | instskip(NEXT) | instid1(VALU_DEP_1)
	v_lshlrev_b64 v[14:15], 2, v[14:15]
	v_add_co_u32 v14, vcc_lo, v11, v14
	s_delay_alu instid0(VALU_DEP_2)
	v_add_co_ci_u32_e32 v15, vcc_lo, v12, v15, vcc_lo
	global_store_b32 v[14:15], v52, off
	s_or_b32 exec_lo, exec_lo, s17
	s_and_saveexec_b32 s17, s2
	s_cbranch_execz .LBB379_276
.LBB379_335:
	v_sub_nc_u32_e32 v14, v75, v4
	v_mov_b32_e32 v15, 0
	s_delay_alu instid0(VALU_DEP_1) | instskip(NEXT) | instid1(VALU_DEP_1)
	v_lshlrev_b64 v[14:15], 2, v[14:15]
	v_add_co_u32 v14, vcc_lo, v11, v14
	s_delay_alu instid0(VALU_DEP_2)
	v_add_co_ci_u32_e32 v15, vcc_lo, v12, v15, vcc_lo
	global_store_b32 v[14:15], v76, off
	s_or_b32 exec_lo, exec_lo, s17
	s_and_saveexec_b32 s17, s1
	s_cbranch_execnz .LBB379_277
	s_branch .LBB379_278
.LBB379_336:
	v_sub_nc_u32_e32 v13, v67, v4
	s_delay_alu instid0(VALU_DEP_1)
	v_lshlrev_b32_e32 v13, 2, v13
	ds_store_b32 v13, v68
	s_or_b32 exec_lo, exec_lo, s17
	s_and_saveexec_b32 s14, s13
	s_cbranch_execz .LBB379_282
.LBB379_337:
	v_sub_nc_u32_e32 v13, v73, v4
	s_delay_alu instid0(VALU_DEP_1)
	v_lshlrev_b32_e32 v13, 2, v13
	ds_store_b32 v13, v74
	s_or_b32 exec_lo, exec_lo, s14
	s_and_saveexec_b32 s13, s12
	s_cbranch_execz .LBB379_283
.LBB379_338:
	v_sub_nc_u32_e32 v13, v69, v4
	s_delay_alu instid0(VALU_DEP_1)
	v_lshlrev_b32_e32 v13, 2, v13
	ds_store_b32 v13, v70
	s_or_b32 exec_lo, exec_lo, s13
	s_and_saveexec_b32 s12, s11
	s_cbranch_execz .LBB379_284
.LBB379_339:
	v_sub_nc_u32_e32 v13, v65, v4
	s_delay_alu instid0(VALU_DEP_1)
	v_lshlrev_b32_e32 v13, 2, v13
	ds_store_b32 v13, v66
	s_or_b32 exec_lo, exec_lo, s12
	s_and_saveexec_b32 s11, s10
	s_cbranch_execz .LBB379_285
.LBB379_340:
	v_sub_nc_u32_e32 v13, v59, v4
	s_delay_alu instid0(VALU_DEP_1)
	v_lshlrev_b32_e32 v13, 2, v13
	ds_store_b32 v13, v60
	s_or_b32 exec_lo, exec_lo, s11
	s_and_saveexec_b32 s10, s9
	s_cbranch_execz .LBB379_286
.LBB379_341:
	v_sub_nc_u32_e32 v13, v55, v4
	s_delay_alu instid0(VALU_DEP_1)
	v_lshlrev_b32_e32 v13, 2, v13
	ds_store_b32 v13, v56
	s_or_b32 exec_lo, exec_lo, s10
	s_and_saveexec_b32 s9, s8
	s_cbranch_execz .LBB379_287
.LBB379_342:
	v_sub_nc_u32_e32 v13, v53, v4
	s_delay_alu instid0(VALU_DEP_1)
	v_lshlrev_b32_e32 v13, 2, v13
	ds_store_b32 v13, v54
	s_or_b32 exec_lo, exec_lo, s9
	s_and_saveexec_b32 s8, s7
	s_cbranch_execz .LBB379_288
.LBB379_343:
	v_sub_nc_u32_e32 v13, v57, v4
	s_delay_alu instid0(VALU_DEP_1)
	v_lshlrev_b32_e32 v13, 2, v13
	ds_store_b32 v13, v58
	s_or_b32 exec_lo, exec_lo, s8
	s_and_saveexec_b32 s7, s6
	s_cbranch_execz .LBB379_289
.LBB379_344:
	v_sub_nc_u32_e32 v13, v61, v4
	s_delay_alu instid0(VALU_DEP_1)
	v_lshlrev_b32_e32 v13, 2, v13
	ds_store_b32 v13, v62
	s_or_b32 exec_lo, exec_lo, s7
	s_and_saveexec_b32 s6, s5
	s_cbranch_execz .LBB379_290
.LBB379_345:
	v_sub_nc_u32_e32 v5, v5, v4
	s_delay_alu instid0(VALU_DEP_1)
	v_lshlrev_b32_e32 v5, 2, v5
	ds_store_b32 v5, v6
	s_or_b32 exec_lo, exec_lo, s6
	s_and_saveexec_b32 s5, s4
	s_cbranch_execz .LBB379_291
.LBB379_346:
	v_sub_nc_u32_e32 v5, v7, v4
	s_delay_alu instid0(VALU_DEP_1)
	v_lshlrev_b32_e32 v5, 2, v5
	ds_store_b32 v5, v8
	s_or_b32 exec_lo, exec_lo, s5
	s_and_saveexec_b32 s4, s3
	s_cbranch_execz .LBB379_292
.LBB379_347:
	v_sub_nc_u32_e32 v5, v51, v4
	s_delay_alu instid0(VALU_DEP_1)
	v_lshlrev_b32_e32 v5, 2, v5
	ds_store_b32 v5, v52
	s_or_b32 exec_lo, exec_lo, s4
	s_and_saveexec_b32 s3, s2
	s_cbranch_execz .LBB379_293
.LBB379_348:
	v_sub_nc_u32_e32 v5, v75, v4
	s_delay_alu instid0(VALU_DEP_1)
	v_lshlrev_b32_e32 v5, 2, v5
	ds_store_b32 v5, v76
	s_or_b32 exec_lo, exec_lo, s3
	s_and_saveexec_b32 s2, s1
	s_cbranch_execnz .LBB379_294
	s_branch .LBB379_295
	.section	.rodata,"a",@progbits
	.p2align	6, 0x0
	.amdhsa_kernel _ZN7rocprim17ROCPRIM_400000_NS6detail17trampoline_kernelINS0_14default_configENS1_29reduce_by_key_config_selectorIjjN6thrust23THRUST_200600_302600_NS4plusIjEEEEZZNS1_33reduce_by_key_impl_wrapped_configILNS1_25lookback_scan_determinismE0ES3_S9_NS6_6detail15normal_iteratorINS6_10device_ptrIjEEEESG_SG_SG_PmS8_22is_equal_div_10_reduceIjEEE10hipError_tPvRmT2_T3_mT4_T5_T6_T7_T8_P12ihipStream_tbENKUlT_T0_E_clISt17integral_constantIbLb1EES10_IbLb0EEEEDaSW_SX_EUlSW_E_NS1_11comp_targetILNS1_3genE9ELNS1_11target_archE1100ELNS1_3gpuE3ELNS1_3repE0EEENS1_30default_config_static_selectorELNS0_4arch9wavefront6targetE0EEEvT1_
		.amdhsa_group_segment_fixed_size 15360
		.amdhsa_private_segment_fixed_size 0
		.amdhsa_kernarg_size 120
		.amdhsa_user_sgpr_count 15
		.amdhsa_user_sgpr_dispatch_ptr 0
		.amdhsa_user_sgpr_queue_ptr 0
		.amdhsa_user_sgpr_kernarg_segment_ptr 1
		.amdhsa_user_sgpr_dispatch_id 0
		.amdhsa_user_sgpr_private_segment_size 0
		.amdhsa_wavefront_size32 1
		.amdhsa_uses_dynamic_stack 0
		.amdhsa_enable_private_segment 0
		.amdhsa_system_sgpr_workgroup_id_x 1
		.amdhsa_system_sgpr_workgroup_id_y 0
		.amdhsa_system_sgpr_workgroup_id_z 0
		.amdhsa_system_sgpr_workgroup_info 0
		.amdhsa_system_vgpr_workitem_id 0
		.amdhsa_next_free_vgpr 87
		.amdhsa_next_free_sgpr 44
		.amdhsa_reserve_vcc 1
		.amdhsa_float_round_mode_32 0
		.amdhsa_float_round_mode_16_64 0
		.amdhsa_float_denorm_mode_32 3
		.amdhsa_float_denorm_mode_16_64 3
		.amdhsa_dx10_clamp 1
		.amdhsa_ieee_mode 1
		.amdhsa_fp16_overflow 0
		.amdhsa_workgroup_processor_mode 1
		.amdhsa_memory_ordered 1
		.amdhsa_forward_progress 0
		.amdhsa_shared_vgpr_count 0
		.amdhsa_exception_fp_ieee_invalid_op 0
		.amdhsa_exception_fp_denorm_src 0
		.amdhsa_exception_fp_ieee_div_zero 0
		.amdhsa_exception_fp_ieee_overflow 0
		.amdhsa_exception_fp_ieee_underflow 0
		.amdhsa_exception_fp_ieee_inexact 0
		.amdhsa_exception_int_div_zero 0
	.end_amdhsa_kernel
	.section	.text._ZN7rocprim17ROCPRIM_400000_NS6detail17trampoline_kernelINS0_14default_configENS1_29reduce_by_key_config_selectorIjjN6thrust23THRUST_200600_302600_NS4plusIjEEEEZZNS1_33reduce_by_key_impl_wrapped_configILNS1_25lookback_scan_determinismE0ES3_S9_NS6_6detail15normal_iteratorINS6_10device_ptrIjEEEESG_SG_SG_PmS8_22is_equal_div_10_reduceIjEEE10hipError_tPvRmT2_T3_mT4_T5_T6_T7_T8_P12ihipStream_tbENKUlT_T0_E_clISt17integral_constantIbLb1EES10_IbLb0EEEEDaSW_SX_EUlSW_E_NS1_11comp_targetILNS1_3genE9ELNS1_11target_archE1100ELNS1_3gpuE3ELNS1_3repE0EEENS1_30default_config_static_selectorELNS0_4arch9wavefront6targetE0EEEvT1_,"axG",@progbits,_ZN7rocprim17ROCPRIM_400000_NS6detail17trampoline_kernelINS0_14default_configENS1_29reduce_by_key_config_selectorIjjN6thrust23THRUST_200600_302600_NS4plusIjEEEEZZNS1_33reduce_by_key_impl_wrapped_configILNS1_25lookback_scan_determinismE0ES3_S9_NS6_6detail15normal_iteratorINS6_10device_ptrIjEEEESG_SG_SG_PmS8_22is_equal_div_10_reduceIjEEE10hipError_tPvRmT2_T3_mT4_T5_T6_T7_T8_P12ihipStream_tbENKUlT_T0_E_clISt17integral_constantIbLb1EES10_IbLb0EEEEDaSW_SX_EUlSW_E_NS1_11comp_targetILNS1_3genE9ELNS1_11target_archE1100ELNS1_3gpuE3ELNS1_3repE0EEENS1_30default_config_static_selectorELNS0_4arch9wavefront6targetE0EEEvT1_,comdat
.Lfunc_end379:
	.size	_ZN7rocprim17ROCPRIM_400000_NS6detail17trampoline_kernelINS0_14default_configENS1_29reduce_by_key_config_selectorIjjN6thrust23THRUST_200600_302600_NS4plusIjEEEEZZNS1_33reduce_by_key_impl_wrapped_configILNS1_25lookback_scan_determinismE0ES3_S9_NS6_6detail15normal_iteratorINS6_10device_ptrIjEEEESG_SG_SG_PmS8_22is_equal_div_10_reduceIjEEE10hipError_tPvRmT2_T3_mT4_T5_T6_T7_T8_P12ihipStream_tbENKUlT_T0_E_clISt17integral_constantIbLb1EES10_IbLb0EEEEDaSW_SX_EUlSW_E_NS1_11comp_targetILNS1_3genE9ELNS1_11target_archE1100ELNS1_3gpuE3ELNS1_3repE0EEENS1_30default_config_static_selectorELNS0_4arch9wavefront6targetE0EEEvT1_, .Lfunc_end379-_ZN7rocprim17ROCPRIM_400000_NS6detail17trampoline_kernelINS0_14default_configENS1_29reduce_by_key_config_selectorIjjN6thrust23THRUST_200600_302600_NS4plusIjEEEEZZNS1_33reduce_by_key_impl_wrapped_configILNS1_25lookback_scan_determinismE0ES3_S9_NS6_6detail15normal_iteratorINS6_10device_ptrIjEEEESG_SG_SG_PmS8_22is_equal_div_10_reduceIjEEE10hipError_tPvRmT2_T3_mT4_T5_T6_T7_T8_P12ihipStream_tbENKUlT_T0_E_clISt17integral_constantIbLb1EES10_IbLb0EEEEDaSW_SX_EUlSW_E_NS1_11comp_targetILNS1_3genE9ELNS1_11target_archE1100ELNS1_3gpuE3ELNS1_3repE0EEENS1_30default_config_static_selectorELNS0_4arch9wavefront6targetE0EEEvT1_
                                        ; -- End function
	.section	.AMDGPU.csdata,"",@progbits
; Kernel info:
; codeLenInByte = 20016
; NumSgprs: 46
; NumVgprs: 87
; ScratchSize: 0
; MemoryBound: 0
; FloatMode: 240
; IeeeMode: 1
; LDSByteSize: 15360 bytes/workgroup (compile time only)
; SGPRBlocks: 5
; VGPRBlocks: 10
; NumSGPRsForWavesPerEU: 46
; NumVGPRsForWavesPerEU: 87
; Occupancy: 16
; WaveLimiterHint : 1
; COMPUTE_PGM_RSRC2:SCRATCH_EN: 0
; COMPUTE_PGM_RSRC2:USER_SGPR: 15
; COMPUTE_PGM_RSRC2:TRAP_HANDLER: 0
; COMPUTE_PGM_RSRC2:TGID_X_EN: 1
; COMPUTE_PGM_RSRC2:TGID_Y_EN: 0
; COMPUTE_PGM_RSRC2:TGID_Z_EN: 0
; COMPUTE_PGM_RSRC2:TIDIG_COMP_CNT: 0
	.section	.text._ZN7rocprim17ROCPRIM_400000_NS6detail17trampoline_kernelINS0_14default_configENS1_29reduce_by_key_config_selectorIjjN6thrust23THRUST_200600_302600_NS4plusIjEEEEZZNS1_33reduce_by_key_impl_wrapped_configILNS1_25lookback_scan_determinismE0ES3_S9_NS6_6detail15normal_iteratorINS6_10device_ptrIjEEEESG_SG_SG_PmS8_22is_equal_div_10_reduceIjEEE10hipError_tPvRmT2_T3_mT4_T5_T6_T7_T8_P12ihipStream_tbENKUlT_T0_E_clISt17integral_constantIbLb1EES10_IbLb0EEEEDaSW_SX_EUlSW_E_NS1_11comp_targetILNS1_3genE8ELNS1_11target_archE1030ELNS1_3gpuE2ELNS1_3repE0EEENS1_30default_config_static_selectorELNS0_4arch9wavefront6targetE0EEEvT1_,"axG",@progbits,_ZN7rocprim17ROCPRIM_400000_NS6detail17trampoline_kernelINS0_14default_configENS1_29reduce_by_key_config_selectorIjjN6thrust23THRUST_200600_302600_NS4plusIjEEEEZZNS1_33reduce_by_key_impl_wrapped_configILNS1_25lookback_scan_determinismE0ES3_S9_NS6_6detail15normal_iteratorINS6_10device_ptrIjEEEESG_SG_SG_PmS8_22is_equal_div_10_reduceIjEEE10hipError_tPvRmT2_T3_mT4_T5_T6_T7_T8_P12ihipStream_tbENKUlT_T0_E_clISt17integral_constantIbLb1EES10_IbLb0EEEEDaSW_SX_EUlSW_E_NS1_11comp_targetILNS1_3genE8ELNS1_11target_archE1030ELNS1_3gpuE2ELNS1_3repE0EEENS1_30default_config_static_selectorELNS0_4arch9wavefront6targetE0EEEvT1_,comdat
	.protected	_ZN7rocprim17ROCPRIM_400000_NS6detail17trampoline_kernelINS0_14default_configENS1_29reduce_by_key_config_selectorIjjN6thrust23THRUST_200600_302600_NS4plusIjEEEEZZNS1_33reduce_by_key_impl_wrapped_configILNS1_25lookback_scan_determinismE0ES3_S9_NS6_6detail15normal_iteratorINS6_10device_ptrIjEEEESG_SG_SG_PmS8_22is_equal_div_10_reduceIjEEE10hipError_tPvRmT2_T3_mT4_T5_T6_T7_T8_P12ihipStream_tbENKUlT_T0_E_clISt17integral_constantIbLb1EES10_IbLb0EEEEDaSW_SX_EUlSW_E_NS1_11comp_targetILNS1_3genE8ELNS1_11target_archE1030ELNS1_3gpuE2ELNS1_3repE0EEENS1_30default_config_static_selectorELNS0_4arch9wavefront6targetE0EEEvT1_ ; -- Begin function _ZN7rocprim17ROCPRIM_400000_NS6detail17trampoline_kernelINS0_14default_configENS1_29reduce_by_key_config_selectorIjjN6thrust23THRUST_200600_302600_NS4plusIjEEEEZZNS1_33reduce_by_key_impl_wrapped_configILNS1_25lookback_scan_determinismE0ES3_S9_NS6_6detail15normal_iteratorINS6_10device_ptrIjEEEESG_SG_SG_PmS8_22is_equal_div_10_reduceIjEEE10hipError_tPvRmT2_T3_mT4_T5_T6_T7_T8_P12ihipStream_tbENKUlT_T0_E_clISt17integral_constantIbLb1EES10_IbLb0EEEEDaSW_SX_EUlSW_E_NS1_11comp_targetILNS1_3genE8ELNS1_11target_archE1030ELNS1_3gpuE2ELNS1_3repE0EEENS1_30default_config_static_selectorELNS0_4arch9wavefront6targetE0EEEvT1_
	.globl	_ZN7rocprim17ROCPRIM_400000_NS6detail17trampoline_kernelINS0_14default_configENS1_29reduce_by_key_config_selectorIjjN6thrust23THRUST_200600_302600_NS4plusIjEEEEZZNS1_33reduce_by_key_impl_wrapped_configILNS1_25lookback_scan_determinismE0ES3_S9_NS6_6detail15normal_iteratorINS6_10device_ptrIjEEEESG_SG_SG_PmS8_22is_equal_div_10_reduceIjEEE10hipError_tPvRmT2_T3_mT4_T5_T6_T7_T8_P12ihipStream_tbENKUlT_T0_E_clISt17integral_constantIbLb1EES10_IbLb0EEEEDaSW_SX_EUlSW_E_NS1_11comp_targetILNS1_3genE8ELNS1_11target_archE1030ELNS1_3gpuE2ELNS1_3repE0EEENS1_30default_config_static_selectorELNS0_4arch9wavefront6targetE0EEEvT1_
	.p2align	8
	.type	_ZN7rocprim17ROCPRIM_400000_NS6detail17trampoline_kernelINS0_14default_configENS1_29reduce_by_key_config_selectorIjjN6thrust23THRUST_200600_302600_NS4plusIjEEEEZZNS1_33reduce_by_key_impl_wrapped_configILNS1_25lookback_scan_determinismE0ES3_S9_NS6_6detail15normal_iteratorINS6_10device_ptrIjEEEESG_SG_SG_PmS8_22is_equal_div_10_reduceIjEEE10hipError_tPvRmT2_T3_mT4_T5_T6_T7_T8_P12ihipStream_tbENKUlT_T0_E_clISt17integral_constantIbLb1EES10_IbLb0EEEEDaSW_SX_EUlSW_E_NS1_11comp_targetILNS1_3genE8ELNS1_11target_archE1030ELNS1_3gpuE2ELNS1_3repE0EEENS1_30default_config_static_selectorELNS0_4arch9wavefront6targetE0EEEvT1_,@function
_ZN7rocprim17ROCPRIM_400000_NS6detail17trampoline_kernelINS0_14default_configENS1_29reduce_by_key_config_selectorIjjN6thrust23THRUST_200600_302600_NS4plusIjEEEEZZNS1_33reduce_by_key_impl_wrapped_configILNS1_25lookback_scan_determinismE0ES3_S9_NS6_6detail15normal_iteratorINS6_10device_ptrIjEEEESG_SG_SG_PmS8_22is_equal_div_10_reduceIjEEE10hipError_tPvRmT2_T3_mT4_T5_T6_T7_T8_P12ihipStream_tbENKUlT_T0_E_clISt17integral_constantIbLb1EES10_IbLb0EEEEDaSW_SX_EUlSW_E_NS1_11comp_targetILNS1_3genE8ELNS1_11target_archE1030ELNS1_3gpuE2ELNS1_3repE0EEENS1_30default_config_static_selectorELNS0_4arch9wavefront6targetE0EEEvT1_: ; @_ZN7rocprim17ROCPRIM_400000_NS6detail17trampoline_kernelINS0_14default_configENS1_29reduce_by_key_config_selectorIjjN6thrust23THRUST_200600_302600_NS4plusIjEEEEZZNS1_33reduce_by_key_impl_wrapped_configILNS1_25lookback_scan_determinismE0ES3_S9_NS6_6detail15normal_iteratorINS6_10device_ptrIjEEEESG_SG_SG_PmS8_22is_equal_div_10_reduceIjEEE10hipError_tPvRmT2_T3_mT4_T5_T6_T7_T8_P12ihipStream_tbENKUlT_T0_E_clISt17integral_constantIbLb1EES10_IbLb0EEEEDaSW_SX_EUlSW_E_NS1_11comp_targetILNS1_3genE8ELNS1_11target_archE1030ELNS1_3gpuE2ELNS1_3repE0EEENS1_30default_config_static_selectorELNS0_4arch9wavefront6targetE0EEEvT1_
; %bb.0:
	.section	.rodata,"a",@progbits
	.p2align	6, 0x0
	.amdhsa_kernel _ZN7rocprim17ROCPRIM_400000_NS6detail17trampoline_kernelINS0_14default_configENS1_29reduce_by_key_config_selectorIjjN6thrust23THRUST_200600_302600_NS4plusIjEEEEZZNS1_33reduce_by_key_impl_wrapped_configILNS1_25lookback_scan_determinismE0ES3_S9_NS6_6detail15normal_iteratorINS6_10device_ptrIjEEEESG_SG_SG_PmS8_22is_equal_div_10_reduceIjEEE10hipError_tPvRmT2_T3_mT4_T5_T6_T7_T8_P12ihipStream_tbENKUlT_T0_E_clISt17integral_constantIbLb1EES10_IbLb0EEEEDaSW_SX_EUlSW_E_NS1_11comp_targetILNS1_3genE8ELNS1_11target_archE1030ELNS1_3gpuE2ELNS1_3repE0EEENS1_30default_config_static_selectorELNS0_4arch9wavefront6targetE0EEEvT1_
		.amdhsa_group_segment_fixed_size 0
		.amdhsa_private_segment_fixed_size 0
		.amdhsa_kernarg_size 120
		.amdhsa_user_sgpr_count 15
		.amdhsa_user_sgpr_dispatch_ptr 0
		.amdhsa_user_sgpr_queue_ptr 0
		.amdhsa_user_sgpr_kernarg_segment_ptr 1
		.amdhsa_user_sgpr_dispatch_id 0
		.amdhsa_user_sgpr_private_segment_size 0
		.amdhsa_wavefront_size32 1
		.amdhsa_uses_dynamic_stack 0
		.amdhsa_enable_private_segment 0
		.amdhsa_system_sgpr_workgroup_id_x 1
		.amdhsa_system_sgpr_workgroup_id_y 0
		.amdhsa_system_sgpr_workgroup_id_z 0
		.amdhsa_system_sgpr_workgroup_info 0
		.amdhsa_system_vgpr_workitem_id 0
		.amdhsa_next_free_vgpr 1
		.amdhsa_next_free_sgpr 1
		.amdhsa_reserve_vcc 0
		.amdhsa_float_round_mode_32 0
		.amdhsa_float_round_mode_16_64 0
		.amdhsa_float_denorm_mode_32 3
		.amdhsa_float_denorm_mode_16_64 3
		.amdhsa_dx10_clamp 1
		.amdhsa_ieee_mode 1
		.amdhsa_fp16_overflow 0
		.amdhsa_workgroup_processor_mode 1
		.amdhsa_memory_ordered 1
		.amdhsa_forward_progress 0
		.amdhsa_shared_vgpr_count 0
		.amdhsa_exception_fp_ieee_invalid_op 0
		.amdhsa_exception_fp_denorm_src 0
		.amdhsa_exception_fp_ieee_div_zero 0
		.amdhsa_exception_fp_ieee_overflow 0
		.amdhsa_exception_fp_ieee_underflow 0
		.amdhsa_exception_fp_ieee_inexact 0
		.amdhsa_exception_int_div_zero 0
	.end_amdhsa_kernel
	.section	.text._ZN7rocprim17ROCPRIM_400000_NS6detail17trampoline_kernelINS0_14default_configENS1_29reduce_by_key_config_selectorIjjN6thrust23THRUST_200600_302600_NS4plusIjEEEEZZNS1_33reduce_by_key_impl_wrapped_configILNS1_25lookback_scan_determinismE0ES3_S9_NS6_6detail15normal_iteratorINS6_10device_ptrIjEEEESG_SG_SG_PmS8_22is_equal_div_10_reduceIjEEE10hipError_tPvRmT2_T3_mT4_T5_T6_T7_T8_P12ihipStream_tbENKUlT_T0_E_clISt17integral_constantIbLb1EES10_IbLb0EEEEDaSW_SX_EUlSW_E_NS1_11comp_targetILNS1_3genE8ELNS1_11target_archE1030ELNS1_3gpuE2ELNS1_3repE0EEENS1_30default_config_static_selectorELNS0_4arch9wavefront6targetE0EEEvT1_,"axG",@progbits,_ZN7rocprim17ROCPRIM_400000_NS6detail17trampoline_kernelINS0_14default_configENS1_29reduce_by_key_config_selectorIjjN6thrust23THRUST_200600_302600_NS4plusIjEEEEZZNS1_33reduce_by_key_impl_wrapped_configILNS1_25lookback_scan_determinismE0ES3_S9_NS6_6detail15normal_iteratorINS6_10device_ptrIjEEEESG_SG_SG_PmS8_22is_equal_div_10_reduceIjEEE10hipError_tPvRmT2_T3_mT4_T5_T6_T7_T8_P12ihipStream_tbENKUlT_T0_E_clISt17integral_constantIbLb1EES10_IbLb0EEEEDaSW_SX_EUlSW_E_NS1_11comp_targetILNS1_3genE8ELNS1_11target_archE1030ELNS1_3gpuE2ELNS1_3repE0EEENS1_30default_config_static_selectorELNS0_4arch9wavefront6targetE0EEEvT1_,comdat
.Lfunc_end380:
	.size	_ZN7rocprim17ROCPRIM_400000_NS6detail17trampoline_kernelINS0_14default_configENS1_29reduce_by_key_config_selectorIjjN6thrust23THRUST_200600_302600_NS4plusIjEEEEZZNS1_33reduce_by_key_impl_wrapped_configILNS1_25lookback_scan_determinismE0ES3_S9_NS6_6detail15normal_iteratorINS6_10device_ptrIjEEEESG_SG_SG_PmS8_22is_equal_div_10_reduceIjEEE10hipError_tPvRmT2_T3_mT4_T5_T6_T7_T8_P12ihipStream_tbENKUlT_T0_E_clISt17integral_constantIbLb1EES10_IbLb0EEEEDaSW_SX_EUlSW_E_NS1_11comp_targetILNS1_3genE8ELNS1_11target_archE1030ELNS1_3gpuE2ELNS1_3repE0EEENS1_30default_config_static_selectorELNS0_4arch9wavefront6targetE0EEEvT1_, .Lfunc_end380-_ZN7rocprim17ROCPRIM_400000_NS6detail17trampoline_kernelINS0_14default_configENS1_29reduce_by_key_config_selectorIjjN6thrust23THRUST_200600_302600_NS4plusIjEEEEZZNS1_33reduce_by_key_impl_wrapped_configILNS1_25lookback_scan_determinismE0ES3_S9_NS6_6detail15normal_iteratorINS6_10device_ptrIjEEEESG_SG_SG_PmS8_22is_equal_div_10_reduceIjEEE10hipError_tPvRmT2_T3_mT4_T5_T6_T7_T8_P12ihipStream_tbENKUlT_T0_E_clISt17integral_constantIbLb1EES10_IbLb0EEEEDaSW_SX_EUlSW_E_NS1_11comp_targetILNS1_3genE8ELNS1_11target_archE1030ELNS1_3gpuE2ELNS1_3repE0EEENS1_30default_config_static_selectorELNS0_4arch9wavefront6targetE0EEEvT1_
                                        ; -- End function
	.section	.AMDGPU.csdata,"",@progbits
; Kernel info:
; codeLenInByte = 0
; NumSgprs: 0
; NumVgprs: 0
; ScratchSize: 0
; MemoryBound: 0
; FloatMode: 240
; IeeeMode: 1
; LDSByteSize: 0 bytes/workgroup (compile time only)
; SGPRBlocks: 0
; VGPRBlocks: 0
; NumSGPRsForWavesPerEU: 1
; NumVGPRsForWavesPerEU: 1
; Occupancy: 16
; WaveLimiterHint : 0
; COMPUTE_PGM_RSRC2:SCRATCH_EN: 0
; COMPUTE_PGM_RSRC2:USER_SGPR: 15
; COMPUTE_PGM_RSRC2:TRAP_HANDLER: 0
; COMPUTE_PGM_RSRC2:TGID_X_EN: 1
; COMPUTE_PGM_RSRC2:TGID_Y_EN: 0
; COMPUTE_PGM_RSRC2:TGID_Z_EN: 0
; COMPUTE_PGM_RSRC2:TIDIG_COMP_CNT: 0
	.section	.text._ZN7rocprim17ROCPRIM_400000_NS6detail17trampoline_kernelINS0_14default_configENS1_29reduce_by_key_config_selectorIjjN6thrust23THRUST_200600_302600_NS4plusIjEEEEZZNS1_33reduce_by_key_impl_wrapped_configILNS1_25lookback_scan_determinismE0ES3_S9_NS6_6detail15normal_iteratorINS6_10device_ptrIjEEEESG_SG_SG_PmS8_22is_equal_div_10_reduceIjEEE10hipError_tPvRmT2_T3_mT4_T5_T6_T7_T8_P12ihipStream_tbENKUlT_T0_E_clISt17integral_constantIbLb0EES10_IbLb1EEEEDaSW_SX_EUlSW_E_NS1_11comp_targetILNS1_3genE0ELNS1_11target_archE4294967295ELNS1_3gpuE0ELNS1_3repE0EEENS1_30default_config_static_selectorELNS0_4arch9wavefront6targetE0EEEvT1_,"axG",@progbits,_ZN7rocprim17ROCPRIM_400000_NS6detail17trampoline_kernelINS0_14default_configENS1_29reduce_by_key_config_selectorIjjN6thrust23THRUST_200600_302600_NS4plusIjEEEEZZNS1_33reduce_by_key_impl_wrapped_configILNS1_25lookback_scan_determinismE0ES3_S9_NS6_6detail15normal_iteratorINS6_10device_ptrIjEEEESG_SG_SG_PmS8_22is_equal_div_10_reduceIjEEE10hipError_tPvRmT2_T3_mT4_T5_T6_T7_T8_P12ihipStream_tbENKUlT_T0_E_clISt17integral_constantIbLb0EES10_IbLb1EEEEDaSW_SX_EUlSW_E_NS1_11comp_targetILNS1_3genE0ELNS1_11target_archE4294967295ELNS1_3gpuE0ELNS1_3repE0EEENS1_30default_config_static_selectorELNS0_4arch9wavefront6targetE0EEEvT1_,comdat
	.protected	_ZN7rocprim17ROCPRIM_400000_NS6detail17trampoline_kernelINS0_14default_configENS1_29reduce_by_key_config_selectorIjjN6thrust23THRUST_200600_302600_NS4plusIjEEEEZZNS1_33reduce_by_key_impl_wrapped_configILNS1_25lookback_scan_determinismE0ES3_S9_NS6_6detail15normal_iteratorINS6_10device_ptrIjEEEESG_SG_SG_PmS8_22is_equal_div_10_reduceIjEEE10hipError_tPvRmT2_T3_mT4_T5_T6_T7_T8_P12ihipStream_tbENKUlT_T0_E_clISt17integral_constantIbLb0EES10_IbLb1EEEEDaSW_SX_EUlSW_E_NS1_11comp_targetILNS1_3genE0ELNS1_11target_archE4294967295ELNS1_3gpuE0ELNS1_3repE0EEENS1_30default_config_static_selectorELNS0_4arch9wavefront6targetE0EEEvT1_ ; -- Begin function _ZN7rocprim17ROCPRIM_400000_NS6detail17trampoline_kernelINS0_14default_configENS1_29reduce_by_key_config_selectorIjjN6thrust23THRUST_200600_302600_NS4plusIjEEEEZZNS1_33reduce_by_key_impl_wrapped_configILNS1_25lookback_scan_determinismE0ES3_S9_NS6_6detail15normal_iteratorINS6_10device_ptrIjEEEESG_SG_SG_PmS8_22is_equal_div_10_reduceIjEEE10hipError_tPvRmT2_T3_mT4_T5_T6_T7_T8_P12ihipStream_tbENKUlT_T0_E_clISt17integral_constantIbLb0EES10_IbLb1EEEEDaSW_SX_EUlSW_E_NS1_11comp_targetILNS1_3genE0ELNS1_11target_archE4294967295ELNS1_3gpuE0ELNS1_3repE0EEENS1_30default_config_static_selectorELNS0_4arch9wavefront6targetE0EEEvT1_
	.globl	_ZN7rocprim17ROCPRIM_400000_NS6detail17trampoline_kernelINS0_14default_configENS1_29reduce_by_key_config_selectorIjjN6thrust23THRUST_200600_302600_NS4plusIjEEEEZZNS1_33reduce_by_key_impl_wrapped_configILNS1_25lookback_scan_determinismE0ES3_S9_NS6_6detail15normal_iteratorINS6_10device_ptrIjEEEESG_SG_SG_PmS8_22is_equal_div_10_reduceIjEEE10hipError_tPvRmT2_T3_mT4_T5_T6_T7_T8_P12ihipStream_tbENKUlT_T0_E_clISt17integral_constantIbLb0EES10_IbLb1EEEEDaSW_SX_EUlSW_E_NS1_11comp_targetILNS1_3genE0ELNS1_11target_archE4294967295ELNS1_3gpuE0ELNS1_3repE0EEENS1_30default_config_static_selectorELNS0_4arch9wavefront6targetE0EEEvT1_
	.p2align	8
	.type	_ZN7rocprim17ROCPRIM_400000_NS6detail17trampoline_kernelINS0_14default_configENS1_29reduce_by_key_config_selectorIjjN6thrust23THRUST_200600_302600_NS4plusIjEEEEZZNS1_33reduce_by_key_impl_wrapped_configILNS1_25lookback_scan_determinismE0ES3_S9_NS6_6detail15normal_iteratorINS6_10device_ptrIjEEEESG_SG_SG_PmS8_22is_equal_div_10_reduceIjEEE10hipError_tPvRmT2_T3_mT4_T5_T6_T7_T8_P12ihipStream_tbENKUlT_T0_E_clISt17integral_constantIbLb0EES10_IbLb1EEEEDaSW_SX_EUlSW_E_NS1_11comp_targetILNS1_3genE0ELNS1_11target_archE4294967295ELNS1_3gpuE0ELNS1_3repE0EEENS1_30default_config_static_selectorELNS0_4arch9wavefront6targetE0EEEvT1_,@function
_ZN7rocprim17ROCPRIM_400000_NS6detail17trampoline_kernelINS0_14default_configENS1_29reduce_by_key_config_selectorIjjN6thrust23THRUST_200600_302600_NS4plusIjEEEEZZNS1_33reduce_by_key_impl_wrapped_configILNS1_25lookback_scan_determinismE0ES3_S9_NS6_6detail15normal_iteratorINS6_10device_ptrIjEEEESG_SG_SG_PmS8_22is_equal_div_10_reduceIjEEE10hipError_tPvRmT2_T3_mT4_T5_T6_T7_T8_P12ihipStream_tbENKUlT_T0_E_clISt17integral_constantIbLb0EES10_IbLb1EEEEDaSW_SX_EUlSW_E_NS1_11comp_targetILNS1_3genE0ELNS1_11target_archE4294967295ELNS1_3gpuE0ELNS1_3repE0EEENS1_30default_config_static_selectorELNS0_4arch9wavefront6targetE0EEEvT1_: ; @_ZN7rocprim17ROCPRIM_400000_NS6detail17trampoline_kernelINS0_14default_configENS1_29reduce_by_key_config_selectorIjjN6thrust23THRUST_200600_302600_NS4plusIjEEEEZZNS1_33reduce_by_key_impl_wrapped_configILNS1_25lookback_scan_determinismE0ES3_S9_NS6_6detail15normal_iteratorINS6_10device_ptrIjEEEESG_SG_SG_PmS8_22is_equal_div_10_reduceIjEEE10hipError_tPvRmT2_T3_mT4_T5_T6_T7_T8_P12ihipStream_tbENKUlT_T0_E_clISt17integral_constantIbLb0EES10_IbLb1EEEEDaSW_SX_EUlSW_E_NS1_11comp_targetILNS1_3genE0ELNS1_11target_archE4294967295ELNS1_3gpuE0ELNS1_3repE0EEENS1_30default_config_static_selectorELNS0_4arch9wavefront6targetE0EEEvT1_
; %bb.0:
	.section	.rodata,"a",@progbits
	.p2align	6, 0x0
	.amdhsa_kernel _ZN7rocprim17ROCPRIM_400000_NS6detail17trampoline_kernelINS0_14default_configENS1_29reduce_by_key_config_selectorIjjN6thrust23THRUST_200600_302600_NS4plusIjEEEEZZNS1_33reduce_by_key_impl_wrapped_configILNS1_25lookback_scan_determinismE0ES3_S9_NS6_6detail15normal_iteratorINS6_10device_ptrIjEEEESG_SG_SG_PmS8_22is_equal_div_10_reduceIjEEE10hipError_tPvRmT2_T3_mT4_T5_T6_T7_T8_P12ihipStream_tbENKUlT_T0_E_clISt17integral_constantIbLb0EES10_IbLb1EEEEDaSW_SX_EUlSW_E_NS1_11comp_targetILNS1_3genE0ELNS1_11target_archE4294967295ELNS1_3gpuE0ELNS1_3repE0EEENS1_30default_config_static_selectorELNS0_4arch9wavefront6targetE0EEEvT1_
		.amdhsa_group_segment_fixed_size 0
		.amdhsa_private_segment_fixed_size 0
		.amdhsa_kernarg_size 120
		.amdhsa_user_sgpr_count 15
		.amdhsa_user_sgpr_dispatch_ptr 0
		.amdhsa_user_sgpr_queue_ptr 0
		.amdhsa_user_sgpr_kernarg_segment_ptr 1
		.amdhsa_user_sgpr_dispatch_id 0
		.amdhsa_user_sgpr_private_segment_size 0
		.amdhsa_wavefront_size32 1
		.amdhsa_uses_dynamic_stack 0
		.amdhsa_enable_private_segment 0
		.amdhsa_system_sgpr_workgroup_id_x 1
		.amdhsa_system_sgpr_workgroup_id_y 0
		.amdhsa_system_sgpr_workgroup_id_z 0
		.amdhsa_system_sgpr_workgroup_info 0
		.amdhsa_system_vgpr_workitem_id 0
		.amdhsa_next_free_vgpr 1
		.amdhsa_next_free_sgpr 1
		.amdhsa_reserve_vcc 0
		.amdhsa_float_round_mode_32 0
		.amdhsa_float_round_mode_16_64 0
		.amdhsa_float_denorm_mode_32 3
		.amdhsa_float_denorm_mode_16_64 3
		.amdhsa_dx10_clamp 1
		.amdhsa_ieee_mode 1
		.amdhsa_fp16_overflow 0
		.amdhsa_workgroup_processor_mode 1
		.amdhsa_memory_ordered 1
		.amdhsa_forward_progress 0
		.amdhsa_shared_vgpr_count 0
		.amdhsa_exception_fp_ieee_invalid_op 0
		.amdhsa_exception_fp_denorm_src 0
		.amdhsa_exception_fp_ieee_div_zero 0
		.amdhsa_exception_fp_ieee_overflow 0
		.amdhsa_exception_fp_ieee_underflow 0
		.amdhsa_exception_fp_ieee_inexact 0
		.amdhsa_exception_int_div_zero 0
	.end_amdhsa_kernel
	.section	.text._ZN7rocprim17ROCPRIM_400000_NS6detail17trampoline_kernelINS0_14default_configENS1_29reduce_by_key_config_selectorIjjN6thrust23THRUST_200600_302600_NS4plusIjEEEEZZNS1_33reduce_by_key_impl_wrapped_configILNS1_25lookback_scan_determinismE0ES3_S9_NS6_6detail15normal_iteratorINS6_10device_ptrIjEEEESG_SG_SG_PmS8_22is_equal_div_10_reduceIjEEE10hipError_tPvRmT2_T3_mT4_T5_T6_T7_T8_P12ihipStream_tbENKUlT_T0_E_clISt17integral_constantIbLb0EES10_IbLb1EEEEDaSW_SX_EUlSW_E_NS1_11comp_targetILNS1_3genE0ELNS1_11target_archE4294967295ELNS1_3gpuE0ELNS1_3repE0EEENS1_30default_config_static_selectorELNS0_4arch9wavefront6targetE0EEEvT1_,"axG",@progbits,_ZN7rocprim17ROCPRIM_400000_NS6detail17trampoline_kernelINS0_14default_configENS1_29reduce_by_key_config_selectorIjjN6thrust23THRUST_200600_302600_NS4plusIjEEEEZZNS1_33reduce_by_key_impl_wrapped_configILNS1_25lookback_scan_determinismE0ES3_S9_NS6_6detail15normal_iteratorINS6_10device_ptrIjEEEESG_SG_SG_PmS8_22is_equal_div_10_reduceIjEEE10hipError_tPvRmT2_T3_mT4_T5_T6_T7_T8_P12ihipStream_tbENKUlT_T0_E_clISt17integral_constantIbLb0EES10_IbLb1EEEEDaSW_SX_EUlSW_E_NS1_11comp_targetILNS1_3genE0ELNS1_11target_archE4294967295ELNS1_3gpuE0ELNS1_3repE0EEENS1_30default_config_static_selectorELNS0_4arch9wavefront6targetE0EEEvT1_,comdat
.Lfunc_end381:
	.size	_ZN7rocprim17ROCPRIM_400000_NS6detail17trampoline_kernelINS0_14default_configENS1_29reduce_by_key_config_selectorIjjN6thrust23THRUST_200600_302600_NS4plusIjEEEEZZNS1_33reduce_by_key_impl_wrapped_configILNS1_25lookback_scan_determinismE0ES3_S9_NS6_6detail15normal_iteratorINS6_10device_ptrIjEEEESG_SG_SG_PmS8_22is_equal_div_10_reduceIjEEE10hipError_tPvRmT2_T3_mT4_T5_T6_T7_T8_P12ihipStream_tbENKUlT_T0_E_clISt17integral_constantIbLb0EES10_IbLb1EEEEDaSW_SX_EUlSW_E_NS1_11comp_targetILNS1_3genE0ELNS1_11target_archE4294967295ELNS1_3gpuE0ELNS1_3repE0EEENS1_30default_config_static_selectorELNS0_4arch9wavefront6targetE0EEEvT1_, .Lfunc_end381-_ZN7rocprim17ROCPRIM_400000_NS6detail17trampoline_kernelINS0_14default_configENS1_29reduce_by_key_config_selectorIjjN6thrust23THRUST_200600_302600_NS4plusIjEEEEZZNS1_33reduce_by_key_impl_wrapped_configILNS1_25lookback_scan_determinismE0ES3_S9_NS6_6detail15normal_iteratorINS6_10device_ptrIjEEEESG_SG_SG_PmS8_22is_equal_div_10_reduceIjEEE10hipError_tPvRmT2_T3_mT4_T5_T6_T7_T8_P12ihipStream_tbENKUlT_T0_E_clISt17integral_constantIbLb0EES10_IbLb1EEEEDaSW_SX_EUlSW_E_NS1_11comp_targetILNS1_3genE0ELNS1_11target_archE4294967295ELNS1_3gpuE0ELNS1_3repE0EEENS1_30default_config_static_selectorELNS0_4arch9wavefront6targetE0EEEvT1_
                                        ; -- End function
	.section	.AMDGPU.csdata,"",@progbits
; Kernel info:
; codeLenInByte = 0
; NumSgprs: 0
; NumVgprs: 0
; ScratchSize: 0
; MemoryBound: 0
; FloatMode: 240
; IeeeMode: 1
; LDSByteSize: 0 bytes/workgroup (compile time only)
; SGPRBlocks: 0
; VGPRBlocks: 0
; NumSGPRsForWavesPerEU: 1
; NumVGPRsForWavesPerEU: 1
; Occupancy: 16
; WaveLimiterHint : 0
; COMPUTE_PGM_RSRC2:SCRATCH_EN: 0
; COMPUTE_PGM_RSRC2:USER_SGPR: 15
; COMPUTE_PGM_RSRC2:TRAP_HANDLER: 0
; COMPUTE_PGM_RSRC2:TGID_X_EN: 1
; COMPUTE_PGM_RSRC2:TGID_Y_EN: 0
; COMPUTE_PGM_RSRC2:TGID_Z_EN: 0
; COMPUTE_PGM_RSRC2:TIDIG_COMP_CNT: 0
	.section	.text._ZN7rocprim17ROCPRIM_400000_NS6detail17trampoline_kernelINS0_14default_configENS1_29reduce_by_key_config_selectorIjjN6thrust23THRUST_200600_302600_NS4plusIjEEEEZZNS1_33reduce_by_key_impl_wrapped_configILNS1_25lookback_scan_determinismE0ES3_S9_NS6_6detail15normal_iteratorINS6_10device_ptrIjEEEESG_SG_SG_PmS8_22is_equal_div_10_reduceIjEEE10hipError_tPvRmT2_T3_mT4_T5_T6_T7_T8_P12ihipStream_tbENKUlT_T0_E_clISt17integral_constantIbLb0EES10_IbLb1EEEEDaSW_SX_EUlSW_E_NS1_11comp_targetILNS1_3genE5ELNS1_11target_archE942ELNS1_3gpuE9ELNS1_3repE0EEENS1_30default_config_static_selectorELNS0_4arch9wavefront6targetE0EEEvT1_,"axG",@progbits,_ZN7rocprim17ROCPRIM_400000_NS6detail17trampoline_kernelINS0_14default_configENS1_29reduce_by_key_config_selectorIjjN6thrust23THRUST_200600_302600_NS4plusIjEEEEZZNS1_33reduce_by_key_impl_wrapped_configILNS1_25lookback_scan_determinismE0ES3_S9_NS6_6detail15normal_iteratorINS6_10device_ptrIjEEEESG_SG_SG_PmS8_22is_equal_div_10_reduceIjEEE10hipError_tPvRmT2_T3_mT4_T5_T6_T7_T8_P12ihipStream_tbENKUlT_T0_E_clISt17integral_constantIbLb0EES10_IbLb1EEEEDaSW_SX_EUlSW_E_NS1_11comp_targetILNS1_3genE5ELNS1_11target_archE942ELNS1_3gpuE9ELNS1_3repE0EEENS1_30default_config_static_selectorELNS0_4arch9wavefront6targetE0EEEvT1_,comdat
	.protected	_ZN7rocprim17ROCPRIM_400000_NS6detail17trampoline_kernelINS0_14default_configENS1_29reduce_by_key_config_selectorIjjN6thrust23THRUST_200600_302600_NS4plusIjEEEEZZNS1_33reduce_by_key_impl_wrapped_configILNS1_25lookback_scan_determinismE0ES3_S9_NS6_6detail15normal_iteratorINS6_10device_ptrIjEEEESG_SG_SG_PmS8_22is_equal_div_10_reduceIjEEE10hipError_tPvRmT2_T3_mT4_T5_T6_T7_T8_P12ihipStream_tbENKUlT_T0_E_clISt17integral_constantIbLb0EES10_IbLb1EEEEDaSW_SX_EUlSW_E_NS1_11comp_targetILNS1_3genE5ELNS1_11target_archE942ELNS1_3gpuE9ELNS1_3repE0EEENS1_30default_config_static_selectorELNS0_4arch9wavefront6targetE0EEEvT1_ ; -- Begin function _ZN7rocprim17ROCPRIM_400000_NS6detail17trampoline_kernelINS0_14default_configENS1_29reduce_by_key_config_selectorIjjN6thrust23THRUST_200600_302600_NS4plusIjEEEEZZNS1_33reduce_by_key_impl_wrapped_configILNS1_25lookback_scan_determinismE0ES3_S9_NS6_6detail15normal_iteratorINS6_10device_ptrIjEEEESG_SG_SG_PmS8_22is_equal_div_10_reduceIjEEE10hipError_tPvRmT2_T3_mT4_T5_T6_T7_T8_P12ihipStream_tbENKUlT_T0_E_clISt17integral_constantIbLb0EES10_IbLb1EEEEDaSW_SX_EUlSW_E_NS1_11comp_targetILNS1_3genE5ELNS1_11target_archE942ELNS1_3gpuE9ELNS1_3repE0EEENS1_30default_config_static_selectorELNS0_4arch9wavefront6targetE0EEEvT1_
	.globl	_ZN7rocprim17ROCPRIM_400000_NS6detail17trampoline_kernelINS0_14default_configENS1_29reduce_by_key_config_selectorIjjN6thrust23THRUST_200600_302600_NS4plusIjEEEEZZNS1_33reduce_by_key_impl_wrapped_configILNS1_25lookback_scan_determinismE0ES3_S9_NS6_6detail15normal_iteratorINS6_10device_ptrIjEEEESG_SG_SG_PmS8_22is_equal_div_10_reduceIjEEE10hipError_tPvRmT2_T3_mT4_T5_T6_T7_T8_P12ihipStream_tbENKUlT_T0_E_clISt17integral_constantIbLb0EES10_IbLb1EEEEDaSW_SX_EUlSW_E_NS1_11comp_targetILNS1_3genE5ELNS1_11target_archE942ELNS1_3gpuE9ELNS1_3repE0EEENS1_30default_config_static_selectorELNS0_4arch9wavefront6targetE0EEEvT1_
	.p2align	8
	.type	_ZN7rocprim17ROCPRIM_400000_NS6detail17trampoline_kernelINS0_14default_configENS1_29reduce_by_key_config_selectorIjjN6thrust23THRUST_200600_302600_NS4plusIjEEEEZZNS1_33reduce_by_key_impl_wrapped_configILNS1_25lookback_scan_determinismE0ES3_S9_NS6_6detail15normal_iteratorINS6_10device_ptrIjEEEESG_SG_SG_PmS8_22is_equal_div_10_reduceIjEEE10hipError_tPvRmT2_T3_mT4_T5_T6_T7_T8_P12ihipStream_tbENKUlT_T0_E_clISt17integral_constantIbLb0EES10_IbLb1EEEEDaSW_SX_EUlSW_E_NS1_11comp_targetILNS1_3genE5ELNS1_11target_archE942ELNS1_3gpuE9ELNS1_3repE0EEENS1_30default_config_static_selectorELNS0_4arch9wavefront6targetE0EEEvT1_,@function
_ZN7rocprim17ROCPRIM_400000_NS6detail17trampoline_kernelINS0_14default_configENS1_29reduce_by_key_config_selectorIjjN6thrust23THRUST_200600_302600_NS4plusIjEEEEZZNS1_33reduce_by_key_impl_wrapped_configILNS1_25lookback_scan_determinismE0ES3_S9_NS6_6detail15normal_iteratorINS6_10device_ptrIjEEEESG_SG_SG_PmS8_22is_equal_div_10_reduceIjEEE10hipError_tPvRmT2_T3_mT4_T5_T6_T7_T8_P12ihipStream_tbENKUlT_T0_E_clISt17integral_constantIbLb0EES10_IbLb1EEEEDaSW_SX_EUlSW_E_NS1_11comp_targetILNS1_3genE5ELNS1_11target_archE942ELNS1_3gpuE9ELNS1_3repE0EEENS1_30default_config_static_selectorELNS0_4arch9wavefront6targetE0EEEvT1_: ; @_ZN7rocprim17ROCPRIM_400000_NS6detail17trampoline_kernelINS0_14default_configENS1_29reduce_by_key_config_selectorIjjN6thrust23THRUST_200600_302600_NS4plusIjEEEEZZNS1_33reduce_by_key_impl_wrapped_configILNS1_25lookback_scan_determinismE0ES3_S9_NS6_6detail15normal_iteratorINS6_10device_ptrIjEEEESG_SG_SG_PmS8_22is_equal_div_10_reduceIjEEE10hipError_tPvRmT2_T3_mT4_T5_T6_T7_T8_P12ihipStream_tbENKUlT_T0_E_clISt17integral_constantIbLb0EES10_IbLb1EEEEDaSW_SX_EUlSW_E_NS1_11comp_targetILNS1_3genE5ELNS1_11target_archE942ELNS1_3gpuE9ELNS1_3repE0EEENS1_30default_config_static_selectorELNS0_4arch9wavefront6targetE0EEEvT1_
; %bb.0:
	.section	.rodata,"a",@progbits
	.p2align	6, 0x0
	.amdhsa_kernel _ZN7rocprim17ROCPRIM_400000_NS6detail17trampoline_kernelINS0_14default_configENS1_29reduce_by_key_config_selectorIjjN6thrust23THRUST_200600_302600_NS4plusIjEEEEZZNS1_33reduce_by_key_impl_wrapped_configILNS1_25lookback_scan_determinismE0ES3_S9_NS6_6detail15normal_iteratorINS6_10device_ptrIjEEEESG_SG_SG_PmS8_22is_equal_div_10_reduceIjEEE10hipError_tPvRmT2_T3_mT4_T5_T6_T7_T8_P12ihipStream_tbENKUlT_T0_E_clISt17integral_constantIbLb0EES10_IbLb1EEEEDaSW_SX_EUlSW_E_NS1_11comp_targetILNS1_3genE5ELNS1_11target_archE942ELNS1_3gpuE9ELNS1_3repE0EEENS1_30default_config_static_selectorELNS0_4arch9wavefront6targetE0EEEvT1_
		.amdhsa_group_segment_fixed_size 0
		.amdhsa_private_segment_fixed_size 0
		.amdhsa_kernarg_size 120
		.amdhsa_user_sgpr_count 15
		.amdhsa_user_sgpr_dispatch_ptr 0
		.amdhsa_user_sgpr_queue_ptr 0
		.amdhsa_user_sgpr_kernarg_segment_ptr 1
		.amdhsa_user_sgpr_dispatch_id 0
		.amdhsa_user_sgpr_private_segment_size 0
		.amdhsa_wavefront_size32 1
		.amdhsa_uses_dynamic_stack 0
		.amdhsa_enable_private_segment 0
		.amdhsa_system_sgpr_workgroup_id_x 1
		.amdhsa_system_sgpr_workgroup_id_y 0
		.amdhsa_system_sgpr_workgroup_id_z 0
		.amdhsa_system_sgpr_workgroup_info 0
		.amdhsa_system_vgpr_workitem_id 0
		.amdhsa_next_free_vgpr 1
		.amdhsa_next_free_sgpr 1
		.amdhsa_reserve_vcc 0
		.amdhsa_float_round_mode_32 0
		.amdhsa_float_round_mode_16_64 0
		.amdhsa_float_denorm_mode_32 3
		.amdhsa_float_denorm_mode_16_64 3
		.amdhsa_dx10_clamp 1
		.amdhsa_ieee_mode 1
		.amdhsa_fp16_overflow 0
		.amdhsa_workgroup_processor_mode 1
		.amdhsa_memory_ordered 1
		.amdhsa_forward_progress 0
		.amdhsa_shared_vgpr_count 0
		.amdhsa_exception_fp_ieee_invalid_op 0
		.amdhsa_exception_fp_denorm_src 0
		.amdhsa_exception_fp_ieee_div_zero 0
		.amdhsa_exception_fp_ieee_overflow 0
		.amdhsa_exception_fp_ieee_underflow 0
		.amdhsa_exception_fp_ieee_inexact 0
		.amdhsa_exception_int_div_zero 0
	.end_amdhsa_kernel
	.section	.text._ZN7rocprim17ROCPRIM_400000_NS6detail17trampoline_kernelINS0_14default_configENS1_29reduce_by_key_config_selectorIjjN6thrust23THRUST_200600_302600_NS4plusIjEEEEZZNS1_33reduce_by_key_impl_wrapped_configILNS1_25lookback_scan_determinismE0ES3_S9_NS6_6detail15normal_iteratorINS6_10device_ptrIjEEEESG_SG_SG_PmS8_22is_equal_div_10_reduceIjEEE10hipError_tPvRmT2_T3_mT4_T5_T6_T7_T8_P12ihipStream_tbENKUlT_T0_E_clISt17integral_constantIbLb0EES10_IbLb1EEEEDaSW_SX_EUlSW_E_NS1_11comp_targetILNS1_3genE5ELNS1_11target_archE942ELNS1_3gpuE9ELNS1_3repE0EEENS1_30default_config_static_selectorELNS0_4arch9wavefront6targetE0EEEvT1_,"axG",@progbits,_ZN7rocprim17ROCPRIM_400000_NS6detail17trampoline_kernelINS0_14default_configENS1_29reduce_by_key_config_selectorIjjN6thrust23THRUST_200600_302600_NS4plusIjEEEEZZNS1_33reduce_by_key_impl_wrapped_configILNS1_25lookback_scan_determinismE0ES3_S9_NS6_6detail15normal_iteratorINS6_10device_ptrIjEEEESG_SG_SG_PmS8_22is_equal_div_10_reduceIjEEE10hipError_tPvRmT2_T3_mT4_T5_T6_T7_T8_P12ihipStream_tbENKUlT_T0_E_clISt17integral_constantIbLb0EES10_IbLb1EEEEDaSW_SX_EUlSW_E_NS1_11comp_targetILNS1_3genE5ELNS1_11target_archE942ELNS1_3gpuE9ELNS1_3repE0EEENS1_30default_config_static_selectorELNS0_4arch9wavefront6targetE0EEEvT1_,comdat
.Lfunc_end382:
	.size	_ZN7rocprim17ROCPRIM_400000_NS6detail17trampoline_kernelINS0_14default_configENS1_29reduce_by_key_config_selectorIjjN6thrust23THRUST_200600_302600_NS4plusIjEEEEZZNS1_33reduce_by_key_impl_wrapped_configILNS1_25lookback_scan_determinismE0ES3_S9_NS6_6detail15normal_iteratorINS6_10device_ptrIjEEEESG_SG_SG_PmS8_22is_equal_div_10_reduceIjEEE10hipError_tPvRmT2_T3_mT4_T5_T6_T7_T8_P12ihipStream_tbENKUlT_T0_E_clISt17integral_constantIbLb0EES10_IbLb1EEEEDaSW_SX_EUlSW_E_NS1_11comp_targetILNS1_3genE5ELNS1_11target_archE942ELNS1_3gpuE9ELNS1_3repE0EEENS1_30default_config_static_selectorELNS0_4arch9wavefront6targetE0EEEvT1_, .Lfunc_end382-_ZN7rocprim17ROCPRIM_400000_NS6detail17trampoline_kernelINS0_14default_configENS1_29reduce_by_key_config_selectorIjjN6thrust23THRUST_200600_302600_NS4plusIjEEEEZZNS1_33reduce_by_key_impl_wrapped_configILNS1_25lookback_scan_determinismE0ES3_S9_NS6_6detail15normal_iteratorINS6_10device_ptrIjEEEESG_SG_SG_PmS8_22is_equal_div_10_reduceIjEEE10hipError_tPvRmT2_T3_mT4_T5_T6_T7_T8_P12ihipStream_tbENKUlT_T0_E_clISt17integral_constantIbLb0EES10_IbLb1EEEEDaSW_SX_EUlSW_E_NS1_11comp_targetILNS1_3genE5ELNS1_11target_archE942ELNS1_3gpuE9ELNS1_3repE0EEENS1_30default_config_static_selectorELNS0_4arch9wavefront6targetE0EEEvT1_
                                        ; -- End function
	.section	.AMDGPU.csdata,"",@progbits
; Kernel info:
; codeLenInByte = 0
; NumSgprs: 0
; NumVgprs: 0
; ScratchSize: 0
; MemoryBound: 0
; FloatMode: 240
; IeeeMode: 1
; LDSByteSize: 0 bytes/workgroup (compile time only)
; SGPRBlocks: 0
; VGPRBlocks: 0
; NumSGPRsForWavesPerEU: 1
; NumVGPRsForWavesPerEU: 1
; Occupancy: 16
; WaveLimiterHint : 0
; COMPUTE_PGM_RSRC2:SCRATCH_EN: 0
; COMPUTE_PGM_RSRC2:USER_SGPR: 15
; COMPUTE_PGM_RSRC2:TRAP_HANDLER: 0
; COMPUTE_PGM_RSRC2:TGID_X_EN: 1
; COMPUTE_PGM_RSRC2:TGID_Y_EN: 0
; COMPUTE_PGM_RSRC2:TGID_Z_EN: 0
; COMPUTE_PGM_RSRC2:TIDIG_COMP_CNT: 0
	.section	.text._ZN7rocprim17ROCPRIM_400000_NS6detail17trampoline_kernelINS0_14default_configENS1_29reduce_by_key_config_selectorIjjN6thrust23THRUST_200600_302600_NS4plusIjEEEEZZNS1_33reduce_by_key_impl_wrapped_configILNS1_25lookback_scan_determinismE0ES3_S9_NS6_6detail15normal_iteratorINS6_10device_ptrIjEEEESG_SG_SG_PmS8_22is_equal_div_10_reduceIjEEE10hipError_tPvRmT2_T3_mT4_T5_T6_T7_T8_P12ihipStream_tbENKUlT_T0_E_clISt17integral_constantIbLb0EES10_IbLb1EEEEDaSW_SX_EUlSW_E_NS1_11comp_targetILNS1_3genE4ELNS1_11target_archE910ELNS1_3gpuE8ELNS1_3repE0EEENS1_30default_config_static_selectorELNS0_4arch9wavefront6targetE0EEEvT1_,"axG",@progbits,_ZN7rocprim17ROCPRIM_400000_NS6detail17trampoline_kernelINS0_14default_configENS1_29reduce_by_key_config_selectorIjjN6thrust23THRUST_200600_302600_NS4plusIjEEEEZZNS1_33reduce_by_key_impl_wrapped_configILNS1_25lookback_scan_determinismE0ES3_S9_NS6_6detail15normal_iteratorINS6_10device_ptrIjEEEESG_SG_SG_PmS8_22is_equal_div_10_reduceIjEEE10hipError_tPvRmT2_T3_mT4_T5_T6_T7_T8_P12ihipStream_tbENKUlT_T0_E_clISt17integral_constantIbLb0EES10_IbLb1EEEEDaSW_SX_EUlSW_E_NS1_11comp_targetILNS1_3genE4ELNS1_11target_archE910ELNS1_3gpuE8ELNS1_3repE0EEENS1_30default_config_static_selectorELNS0_4arch9wavefront6targetE0EEEvT1_,comdat
	.protected	_ZN7rocprim17ROCPRIM_400000_NS6detail17trampoline_kernelINS0_14default_configENS1_29reduce_by_key_config_selectorIjjN6thrust23THRUST_200600_302600_NS4plusIjEEEEZZNS1_33reduce_by_key_impl_wrapped_configILNS1_25lookback_scan_determinismE0ES3_S9_NS6_6detail15normal_iteratorINS6_10device_ptrIjEEEESG_SG_SG_PmS8_22is_equal_div_10_reduceIjEEE10hipError_tPvRmT2_T3_mT4_T5_T6_T7_T8_P12ihipStream_tbENKUlT_T0_E_clISt17integral_constantIbLb0EES10_IbLb1EEEEDaSW_SX_EUlSW_E_NS1_11comp_targetILNS1_3genE4ELNS1_11target_archE910ELNS1_3gpuE8ELNS1_3repE0EEENS1_30default_config_static_selectorELNS0_4arch9wavefront6targetE0EEEvT1_ ; -- Begin function _ZN7rocprim17ROCPRIM_400000_NS6detail17trampoline_kernelINS0_14default_configENS1_29reduce_by_key_config_selectorIjjN6thrust23THRUST_200600_302600_NS4plusIjEEEEZZNS1_33reduce_by_key_impl_wrapped_configILNS1_25lookback_scan_determinismE0ES3_S9_NS6_6detail15normal_iteratorINS6_10device_ptrIjEEEESG_SG_SG_PmS8_22is_equal_div_10_reduceIjEEE10hipError_tPvRmT2_T3_mT4_T5_T6_T7_T8_P12ihipStream_tbENKUlT_T0_E_clISt17integral_constantIbLb0EES10_IbLb1EEEEDaSW_SX_EUlSW_E_NS1_11comp_targetILNS1_3genE4ELNS1_11target_archE910ELNS1_3gpuE8ELNS1_3repE0EEENS1_30default_config_static_selectorELNS0_4arch9wavefront6targetE0EEEvT1_
	.globl	_ZN7rocprim17ROCPRIM_400000_NS6detail17trampoline_kernelINS0_14default_configENS1_29reduce_by_key_config_selectorIjjN6thrust23THRUST_200600_302600_NS4plusIjEEEEZZNS1_33reduce_by_key_impl_wrapped_configILNS1_25lookback_scan_determinismE0ES3_S9_NS6_6detail15normal_iteratorINS6_10device_ptrIjEEEESG_SG_SG_PmS8_22is_equal_div_10_reduceIjEEE10hipError_tPvRmT2_T3_mT4_T5_T6_T7_T8_P12ihipStream_tbENKUlT_T0_E_clISt17integral_constantIbLb0EES10_IbLb1EEEEDaSW_SX_EUlSW_E_NS1_11comp_targetILNS1_3genE4ELNS1_11target_archE910ELNS1_3gpuE8ELNS1_3repE0EEENS1_30default_config_static_selectorELNS0_4arch9wavefront6targetE0EEEvT1_
	.p2align	8
	.type	_ZN7rocprim17ROCPRIM_400000_NS6detail17trampoline_kernelINS0_14default_configENS1_29reduce_by_key_config_selectorIjjN6thrust23THRUST_200600_302600_NS4plusIjEEEEZZNS1_33reduce_by_key_impl_wrapped_configILNS1_25lookback_scan_determinismE0ES3_S9_NS6_6detail15normal_iteratorINS6_10device_ptrIjEEEESG_SG_SG_PmS8_22is_equal_div_10_reduceIjEEE10hipError_tPvRmT2_T3_mT4_T5_T6_T7_T8_P12ihipStream_tbENKUlT_T0_E_clISt17integral_constantIbLb0EES10_IbLb1EEEEDaSW_SX_EUlSW_E_NS1_11comp_targetILNS1_3genE4ELNS1_11target_archE910ELNS1_3gpuE8ELNS1_3repE0EEENS1_30default_config_static_selectorELNS0_4arch9wavefront6targetE0EEEvT1_,@function
_ZN7rocprim17ROCPRIM_400000_NS6detail17trampoline_kernelINS0_14default_configENS1_29reduce_by_key_config_selectorIjjN6thrust23THRUST_200600_302600_NS4plusIjEEEEZZNS1_33reduce_by_key_impl_wrapped_configILNS1_25lookback_scan_determinismE0ES3_S9_NS6_6detail15normal_iteratorINS6_10device_ptrIjEEEESG_SG_SG_PmS8_22is_equal_div_10_reduceIjEEE10hipError_tPvRmT2_T3_mT4_T5_T6_T7_T8_P12ihipStream_tbENKUlT_T0_E_clISt17integral_constantIbLb0EES10_IbLb1EEEEDaSW_SX_EUlSW_E_NS1_11comp_targetILNS1_3genE4ELNS1_11target_archE910ELNS1_3gpuE8ELNS1_3repE0EEENS1_30default_config_static_selectorELNS0_4arch9wavefront6targetE0EEEvT1_: ; @_ZN7rocprim17ROCPRIM_400000_NS6detail17trampoline_kernelINS0_14default_configENS1_29reduce_by_key_config_selectorIjjN6thrust23THRUST_200600_302600_NS4plusIjEEEEZZNS1_33reduce_by_key_impl_wrapped_configILNS1_25lookback_scan_determinismE0ES3_S9_NS6_6detail15normal_iteratorINS6_10device_ptrIjEEEESG_SG_SG_PmS8_22is_equal_div_10_reduceIjEEE10hipError_tPvRmT2_T3_mT4_T5_T6_T7_T8_P12ihipStream_tbENKUlT_T0_E_clISt17integral_constantIbLb0EES10_IbLb1EEEEDaSW_SX_EUlSW_E_NS1_11comp_targetILNS1_3genE4ELNS1_11target_archE910ELNS1_3gpuE8ELNS1_3repE0EEENS1_30default_config_static_selectorELNS0_4arch9wavefront6targetE0EEEvT1_
; %bb.0:
	.section	.rodata,"a",@progbits
	.p2align	6, 0x0
	.amdhsa_kernel _ZN7rocprim17ROCPRIM_400000_NS6detail17trampoline_kernelINS0_14default_configENS1_29reduce_by_key_config_selectorIjjN6thrust23THRUST_200600_302600_NS4plusIjEEEEZZNS1_33reduce_by_key_impl_wrapped_configILNS1_25lookback_scan_determinismE0ES3_S9_NS6_6detail15normal_iteratorINS6_10device_ptrIjEEEESG_SG_SG_PmS8_22is_equal_div_10_reduceIjEEE10hipError_tPvRmT2_T3_mT4_T5_T6_T7_T8_P12ihipStream_tbENKUlT_T0_E_clISt17integral_constantIbLb0EES10_IbLb1EEEEDaSW_SX_EUlSW_E_NS1_11comp_targetILNS1_3genE4ELNS1_11target_archE910ELNS1_3gpuE8ELNS1_3repE0EEENS1_30default_config_static_selectorELNS0_4arch9wavefront6targetE0EEEvT1_
		.amdhsa_group_segment_fixed_size 0
		.amdhsa_private_segment_fixed_size 0
		.amdhsa_kernarg_size 120
		.amdhsa_user_sgpr_count 15
		.amdhsa_user_sgpr_dispatch_ptr 0
		.amdhsa_user_sgpr_queue_ptr 0
		.amdhsa_user_sgpr_kernarg_segment_ptr 1
		.amdhsa_user_sgpr_dispatch_id 0
		.amdhsa_user_sgpr_private_segment_size 0
		.amdhsa_wavefront_size32 1
		.amdhsa_uses_dynamic_stack 0
		.amdhsa_enable_private_segment 0
		.amdhsa_system_sgpr_workgroup_id_x 1
		.amdhsa_system_sgpr_workgroup_id_y 0
		.amdhsa_system_sgpr_workgroup_id_z 0
		.amdhsa_system_sgpr_workgroup_info 0
		.amdhsa_system_vgpr_workitem_id 0
		.amdhsa_next_free_vgpr 1
		.amdhsa_next_free_sgpr 1
		.amdhsa_reserve_vcc 0
		.amdhsa_float_round_mode_32 0
		.amdhsa_float_round_mode_16_64 0
		.amdhsa_float_denorm_mode_32 3
		.amdhsa_float_denorm_mode_16_64 3
		.amdhsa_dx10_clamp 1
		.amdhsa_ieee_mode 1
		.amdhsa_fp16_overflow 0
		.amdhsa_workgroup_processor_mode 1
		.amdhsa_memory_ordered 1
		.amdhsa_forward_progress 0
		.amdhsa_shared_vgpr_count 0
		.amdhsa_exception_fp_ieee_invalid_op 0
		.amdhsa_exception_fp_denorm_src 0
		.amdhsa_exception_fp_ieee_div_zero 0
		.amdhsa_exception_fp_ieee_overflow 0
		.amdhsa_exception_fp_ieee_underflow 0
		.amdhsa_exception_fp_ieee_inexact 0
		.amdhsa_exception_int_div_zero 0
	.end_amdhsa_kernel
	.section	.text._ZN7rocprim17ROCPRIM_400000_NS6detail17trampoline_kernelINS0_14default_configENS1_29reduce_by_key_config_selectorIjjN6thrust23THRUST_200600_302600_NS4plusIjEEEEZZNS1_33reduce_by_key_impl_wrapped_configILNS1_25lookback_scan_determinismE0ES3_S9_NS6_6detail15normal_iteratorINS6_10device_ptrIjEEEESG_SG_SG_PmS8_22is_equal_div_10_reduceIjEEE10hipError_tPvRmT2_T3_mT4_T5_T6_T7_T8_P12ihipStream_tbENKUlT_T0_E_clISt17integral_constantIbLb0EES10_IbLb1EEEEDaSW_SX_EUlSW_E_NS1_11comp_targetILNS1_3genE4ELNS1_11target_archE910ELNS1_3gpuE8ELNS1_3repE0EEENS1_30default_config_static_selectorELNS0_4arch9wavefront6targetE0EEEvT1_,"axG",@progbits,_ZN7rocprim17ROCPRIM_400000_NS6detail17trampoline_kernelINS0_14default_configENS1_29reduce_by_key_config_selectorIjjN6thrust23THRUST_200600_302600_NS4plusIjEEEEZZNS1_33reduce_by_key_impl_wrapped_configILNS1_25lookback_scan_determinismE0ES3_S9_NS6_6detail15normal_iteratorINS6_10device_ptrIjEEEESG_SG_SG_PmS8_22is_equal_div_10_reduceIjEEE10hipError_tPvRmT2_T3_mT4_T5_T6_T7_T8_P12ihipStream_tbENKUlT_T0_E_clISt17integral_constantIbLb0EES10_IbLb1EEEEDaSW_SX_EUlSW_E_NS1_11comp_targetILNS1_3genE4ELNS1_11target_archE910ELNS1_3gpuE8ELNS1_3repE0EEENS1_30default_config_static_selectorELNS0_4arch9wavefront6targetE0EEEvT1_,comdat
.Lfunc_end383:
	.size	_ZN7rocprim17ROCPRIM_400000_NS6detail17trampoline_kernelINS0_14default_configENS1_29reduce_by_key_config_selectorIjjN6thrust23THRUST_200600_302600_NS4plusIjEEEEZZNS1_33reduce_by_key_impl_wrapped_configILNS1_25lookback_scan_determinismE0ES3_S9_NS6_6detail15normal_iteratorINS6_10device_ptrIjEEEESG_SG_SG_PmS8_22is_equal_div_10_reduceIjEEE10hipError_tPvRmT2_T3_mT4_T5_T6_T7_T8_P12ihipStream_tbENKUlT_T0_E_clISt17integral_constantIbLb0EES10_IbLb1EEEEDaSW_SX_EUlSW_E_NS1_11comp_targetILNS1_3genE4ELNS1_11target_archE910ELNS1_3gpuE8ELNS1_3repE0EEENS1_30default_config_static_selectorELNS0_4arch9wavefront6targetE0EEEvT1_, .Lfunc_end383-_ZN7rocprim17ROCPRIM_400000_NS6detail17trampoline_kernelINS0_14default_configENS1_29reduce_by_key_config_selectorIjjN6thrust23THRUST_200600_302600_NS4plusIjEEEEZZNS1_33reduce_by_key_impl_wrapped_configILNS1_25lookback_scan_determinismE0ES3_S9_NS6_6detail15normal_iteratorINS6_10device_ptrIjEEEESG_SG_SG_PmS8_22is_equal_div_10_reduceIjEEE10hipError_tPvRmT2_T3_mT4_T5_T6_T7_T8_P12ihipStream_tbENKUlT_T0_E_clISt17integral_constantIbLb0EES10_IbLb1EEEEDaSW_SX_EUlSW_E_NS1_11comp_targetILNS1_3genE4ELNS1_11target_archE910ELNS1_3gpuE8ELNS1_3repE0EEENS1_30default_config_static_selectorELNS0_4arch9wavefront6targetE0EEEvT1_
                                        ; -- End function
	.section	.AMDGPU.csdata,"",@progbits
; Kernel info:
; codeLenInByte = 0
; NumSgprs: 0
; NumVgprs: 0
; ScratchSize: 0
; MemoryBound: 0
; FloatMode: 240
; IeeeMode: 1
; LDSByteSize: 0 bytes/workgroup (compile time only)
; SGPRBlocks: 0
; VGPRBlocks: 0
; NumSGPRsForWavesPerEU: 1
; NumVGPRsForWavesPerEU: 1
; Occupancy: 16
; WaveLimiterHint : 0
; COMPUTE_PGM_RSRC2:SCRATCH_EN: 0
; COMPUTE_PGM_RSRC2:USER_SGPR: 15
; COMPUTE_PGM_RSRC2:TRAP_HANDLER: 0
; COMPUTE_PGM_RSRC2:TGID_X_EN: 1
; COMPUTE_PGM_RSRC2:TGID_Y_EN: 0
; COMPUTE_PGM_RSRC2:TGID_Z_EN: 0
; COMPUTE_PGM_RSRC2:TIDIG_COMP_CNT: 0
	.section	.text._ZN7rocprim17ROCPRIM_400000_NS6detail17trampoline_kernelINS0_14default_configENS1_29reduce_by_key_config_selectorIjjN6thrust23THRUST_200600_302600_NS4plusIjEEEEZZNS1_33reduce_by_key_impl_wrapped_configILNS1_25lookback_scan_determinismE0ES3_S9_NS6_6detail15normal_iteratorINS6_10device_ptrIjEEEESG_SG_SG_PmS8_22is_equal_div_10_reduceIjEEE10hipError_tPvRmT2_T3_mT4_T5_T6_T7_T8_P12ihipStream_tbENKUlT_T0_E_clISt17integral_constantIbLb0EES10_IbLb1EEEEDaSW_SX_EUlSW_E_NS1_11comp_targetILNS1_3genE3ELNS1_11target_archE908ELNS1_3gpuE7ELNS1_3repE0EEENS1_30default_config_static_selectorELNS0_4arch9wavefront6targetE0EEEvT1_,"axG",@progbits,_ZN7rocprim17ROCPRIM_400000_NS6detail17trampoline_kernelINS0_14default_configENS1_29reduce_by_key_config_selectorIjjN6thrust23THRUST_200600_302600_NS4plusIjEEEEZZNS1_33reduce_by_key_impl_wrapped_configILNS1_25lookback_scan_determinismE0ES3_S9_NS6_6detail15normal_iteratorINS6_10device_ptrIjEEEESG_SG_SG_PmS8_22is_equal_div_10_reduceIjEEE10hipError_tPvRmT2_T3_mT4_T5_T6_T7_T8_P12ihipStream_tbENKUlT_T0_E_clISt17integral_constantIbLb0EES10_IbLb1EEEEDaSW_SX_EUlSW_E_NS1_11comp_targetILNS1_3genE3ELNS1_11target_archE908ELNS1_3gpuE7ELNS1_3repE0EEENS1_30default_config_static_selectorELNS0_4arch9wavefront6targetE0EEEvT1_,comdat
	.protected	_ZN7rocprim17ROCPRIM_400000_NS6detail17trampoline_kernelINS0_14default_configENS1_29reduce_by_key_config_selectorIjjN6thrust23THRUST_200600_302600_NS4plusIjEEEEZZNS1_33reduce_by_key_impl_wrapped_configILNS1_25lookback_scan_determinismE0ES3_S9_NS6_6detail15normal_iteratorINS6_10device_ptrIjEEEESG_SG_SG_PmS8_22is_equal_div_10_reduceIjEEE10hipError_tPvRmT2_T3_mT4_T5_T6_T7_T8_P12ihipStream_tbENKUlT_T0_E_clISt17integral_constantIbLb0EES10_IbLb1EEEEDaSW_SX_EUlSW_E_NS1_11comp_targetILNS1_3genE3ELNS1_11target_archE908ELNS1_3gpuE7ELNS1_3repE0EEENS1_30default_config_static_selectorELNS0_4arch9wavefront6targetE0EEEvT1_ ; -- Begin function _ZN7rocprim17ROCPRIM_400000_NS6detail17trampoline_kernelINS0_14default_configENS1_29reduce_by_key_config_selectorIjjN6thrust23THRUST_200600_302600_NS4plusIjEEEEZZNS1_33reduce_by_key_impl_wrapped_configILNS1_25lookback_scan_determinismE0ES3_S9_NS6_6detail15normal_iteratorINS6_10device_ptrIjEEEESG_SG_SG_PmS8_22is_equal_div_10_reduceIjEEE10hipError_tPvRmT2_T3_mT4_T5_T6_T7_T8_P12ihipStream_tbENKUlT_T0_E_clISt17integral_constantIbLb0EES10_IbLb1EEEEDaSW_SX_EUlSW_E_NS1_11comp_targetILNS1_3genE3ELNS1_11target_archE908ELNS1_3gpuE7ELNS1_3repE0EEENS1_30default_config_static_selectorELNS0_4arch9wavefront6targetE0EEEvT1_
	.globl	_ZN7rocprim17ROCPRIM_400000_NS6detail17trampoline_kernelINS0_14default_configENS1_29reduce_by_key_config_selectorIjjN6thrust23THRUST_200600_302600_NS4plusIjEEEEZZNS1_33reduce_by_key_impl_wrapped_configILNS1_25lookback_scan_determinismE0ES3_S9_NS6_6detail15normal_iteratorINS6_10device_ptrIjEEEESG_SG_SG_PmS8_22is_equal_div_10_reduceIjEEE10hipError_tPvRmT2_T3_mT4_T5_T6_T7_T8_P12ihipStream_tbENKUlT_T0_E_clISt17integral_constantIbLb0EES10_IbLb1EEEEDaSW_SX_EUlSW_E_NS1_11comp_targetILNS1_3genE3ELNS1_11target_archE908ELNS1_3gpuE7ELNS1_3repE0EEENS1_30default_config_static_selectorELNS0_4arch9wavefront6targetE0EEEvT1_
	.p2align	8
	.type	_ZN7rocprim17ROCPRIM_400000_NS6detail17trampoline_kernelINS0_14default_configENS1_29reduce_by_key_config_selectorIjjN6thrust23THRUST_200600_302600_NS4plusIjEEEEZZNS1_33reduce_by_key_impl_wrapped_configILNS1_25lookback_scan_determinismE0ES3_S9_NS6_6detail15normal_iteratorINS6_10device_ptrIjEEEESG_SG_SG_PmS8_22is_equal_div_10_reduceIjEEE10hipError_tPvRmT2_T3_mT4_T5_T6_T7_T8_P12ihipStream_tbENKUlT_T0_E_clISt17integral_constantIbLb0EES10_IbLb1EEEEDaSW_SX_EUlSW_E_NS1_11comp_targetILNS1_3genE3ELNS1_11target_archE908ELNS1_3gpuE7ELNS1_3repE0EEENS1_30default_config_static_selectorELNS0_4arch9wavefront6targetE0EEEvT1_,@function
_ZN7rocprim17ROCPRIM_400000_NS6detail17trampoline_kernelINS0_14default_configENS1_29reduce_by_key_config_selectorIjjN6thrust23THRUST_200600_302600_NS4plusIjEEEEZZNS1_33reduce_by_key_impl_wrapped_configILNS1_25lookback_scan_determinismE0ES3_S9_NS6_6detail15normal_iteratorINS6_10device_ptrIjEEEESG_SG_SG_PmS8_22is_equal_div_10_reduceIjEEE10hipError_tPvRmT2_T3_mT4_T5_T6_T7_T8_P12ihipStream_tbENKUlT_T0_E_clISt17integral_constantIbLb0EES10_IbLb1EEEEDaSW_SX_EUlSW_E_NS1_11comp_targetILNS1_3genE3ELNS1_11target_archE908ELNS1_3gpuE7ELNS1_3repE0EEENS1_30default_config_static_selectorELNS0_4arch9wavefront6targetE0EEEvT1_: ; @_ZN7rocprim17ROCPRIM_400000_NS6detail17trampoline_kernelINS0_14default_configENS1_29reduce_by_key_config_selectorIjjN6thrust23THRUST_200600_302600_NS4plusIjEEEEZZNS1_33reduce_by_key_impl_wrapped_configILNS1_25lookback_scan_determinismE0ES3_S9_NS6_6detail15normal_iteratorINS6_10device_ptrIjEEEESG_SG_SG_PmS8_22is_equal_div_10_reduceIjEEE10hipError_tPvRmT2_T3_mT4_T5_T6_T7_T8_P12ihipStream_tbENKUlT_T0_E_clISt17integral_constantIbLb0EES10_IbLb1EEEEDaSW_SX_EUlSW_E_NS1_11comp_targetILNS1_3genE3ELNS1_11target_archE908ELNS1_3gpuE7ELNS1_3repE0EEENS1_30default_config_static_selectorELNS0_4arch9wavefront6targetE0EEEvT1_
; %bb.0:
	.section	.rodata,"a",@progbits
	.p2align	6, 0x0
	.amdhsa_kernel _ZN7rocprim17ROCPRIM_400000_NS6detail17trampoline_kernelINS0_14default_configENS1_29reduce_by_key_config_selectorIjjN6thrust23THRUST_200600_302600_NS4plusIjEEEEZZNS1_33reduce_by_key_impl_wrapped_configILNS1_25lookback_scan_determinismE0ES3_S9_NS6_6detail15normal_iteratorINS6_10device_ptrIjEEEESG_SG_SG_PmS8_22is_equal_div_10_reduceIjEEE10hipError_tPvRmT2_T3_mT4_T5_T6_T7_T8_P12ihipStream_tbENKUlT_T0_E_clISt17integral_constantIbLb0EES10_IbLb1EEEEDaSW_SX_EUlSW_E_NS1_11comp_targetILNS1_3genE3ELNS1_11target_archE908ELNS1_3gpuE7ELNS1_3repE0EEENS1_30default_config_static_selectorELNS0_4arch9wavefront6targetE0EEEvT1_
		.amdhsa_group_segment_fixed_size 0
		.amdhsa_private_segment_fixed_size 0
		.amdhsa_kernarg_size 120
		.amdhsa_user_sgpr_count 15
		.amdhsa_user_sgpr_dispatch_ptr 0
		.amdhsa_user_sgpr_queue_ptr 0
		.amdhsa_user_sgpr_kernarg_segment_ptr 1
		.amdhsa_user_sgpr_dispatch_id 0
		.amdhsa_user_sgpr_private_segment_size 0
		.amdhsa_wavefront_size32 1
		.amdhsa_uses_dynamic_stack 0
		.amdhsa_enable_private_segment 0
		.amdhsa_system_sgpr_workgroup_id_x 1
		.amdhsa_system_sgpr_workgroup_id_y 0
		.amdhsa_system_sgpr_workgroup_id_z 0
		.amdhsa_system_sgpr_workgroup_info 0
		.amdhsa_system_vgpr_workitem_id 0
		.amdhsa_next_free_vgpr 1
		.amdhsa_next_free_sgpr 1
		.amdhsa_reserve_vcc 0
		.amdhsa_float_round_mode_32 0
		.amdhsa_float_round_mode_16_64 0
		.amdhsa_float_denorm_mode_32 3
		.amdhsa_float_denorm_mode_16_64 3
		.amdhsa_dx10_clamp 1
		.amdhsa_ieee_mode 1
		.amdhsa_fp16_overflow 0
		.amdhsa_workgroup_processor_mode 1
		.amdhsa_memory_ordered 1
		.amdhsa_forward_progress 0
		.amdhsa_shared_vgpr_count 0
		.amdhsa_exception_fp_ieee_invalid_op 0
		.amdhsa_exception_fp_denorm_src 0
		.amdhsa_exception_fp_ieee_div_zero 0
		.amdhsa_exception_fp_ieee_overflow 0
		.amdhsa_exception_fp_ieee_underflow 0
		.amdhsa_exception_fp_ieee_inexact 0
		.amdhsa_exception_int_div_zero 0
	.end_amdhsa_kernel
	.section	.text._ZN7rocprim17ROCPRIM_400000_NS6detail17trampoline_kernelINS0_14default_configENS1_29reduce_by_key_config_selectorIjjN6thrust23THRUST_200600_302600_NS4plusIjEEEEZZNS1_33reduce_by_key_impl_wrapped_configILNS1_25lookback_scan_determinismE0ES3_S9_NS6_6detail15normal_iteratorINS6_10device_ptrIjEEEESG_SG_SG_PmS8_22is_equal_div_10_reduceIjEEE10hipError_tPvRmT2_T3_mT4_T5_T6_T7_T8_P12ihipStream_tbENKUlT_T0_E_clISt17integral_constantIbLb0EES10_IbLb1EEEEDaSW_SX_EUlSW_E_NS1_11comp_targetILNS1_3genE3ELNS1_11target_archE908ELNS1_3gpuE7ELNS1_3repE0EEENS1_30default_config_static_selectorELNS0_4arch9wavefront6targetE0EEEvT1_,"axG",@progbits,_ZN7rocprim17ROCPRIM_400000_NS6detail17trampoline_kernelINS0_14default_configENS1_29reduce_by_key_config_selectorIjjN6thrust23THRUST_200600_302600_NS4plusIjEEEEZZNS1_33reduce_by_key_impl_wrapped_configILNS1_25lookback_scan_determinismE0ES3_S9_NS6_6detail15normal_iteratorINS6_10device_ptrIjEEEESG_SG_SG_PmS8_22is_equal_div_10_reduceIjEEE10hipError_tPvRmT2_T3_mT4_T5_T6_T7_T8_P12ihipStream_tbENKUlT_T0_E_clISt17integral_constantIbLb0EES10_IbLb1EEEEDaSW_SX_EUlSW_E_NS1_11comp_targetILNS1_3genE3ELNS1_11target_archE908ELNS1_3gpuE7ELNS1_3repE0EEENS1_30default_config_static_selectorELNS0_4arch9wavefront6targetE0EEEvT1_,comdat
.Lfunc_end384:
	.size	_ZN7rocprim17ROCPRIM_400000_NS6detail17trampoline_kernelINS0_14default_configENS1_29reduce_by_key_config_selectorIjjN6thrust23THRUST_200600_302600_NS4plusIjEEEEZZNS1_33reduce_by_key_impl_wrapped_configILNS1_25lookback_scan_determinismE0ES3_S9_NS6_6detail15normal_iteratorINS6_10device_ptrIjEEEESG_SG_SG_PmS8_22is_equal_div_10_reduceIjEEE10hipError_tPvRmT2_T3_mT4_T5_T6_T7_T8_P12ihipStream_tbENKUlT_T0_E_clISt17integral_constantIbLb0EES10_IbLb1EEEEDaSW_SX_EUlSW_E_NS1_11comp_targetILNS1_3genE3ELNS1_11target_archE908ELNS1_3gpuE7ELNS1_3repE0EEENS1_30default_config_static_selectorELNS0_4arch9wavefront6targetE0EEEvT1_, .Lfunc_end384-_ZN7rocprim17ROCPRIM_400000_NS6detail17trampoline_kernelINS0_14default_configENS1_29reduce_by_key_config_selectorIjjN6thrust23THRUST_200600_302600_NS4plusIjEEEEZZNS1_33reduce_by_key_impl_wrapped_configILNS1_25lookback_scan_determinismE0ES3_S9_NS6_6detail15normal_iteratorINS6_10device_ptrIjEEEESG_SG_SG_PmS8_22is_equal_div_10_reduceIjEEE10hipError_tPvRmT2_T3_mT4_T5_T6_T7_T8_P12ihipStream_tbENKUlT_T0_E_clISt17integral_constantIbLb0EES10_IbLb1EEEEDaSW_SX_EUlSW_E_NS1_11comp_targetILNS1_3genE3ELNS1_11target_archE908ELNS1_3gpuE7ELNS1_3repE0EEENS1_30default_config_static_selectorELNS0_4arch9wavefront6targetE0EEEvT1_
                                        ; -- End function
	.section	.AMDGPU.csdata,"",@progbits
; Kernel info:
; codeLenInByte = 0
; NumSgprs: 0
; NumVgprs: 0
; ScratchSize: 0
; MemoryBound: 0
; FloatMode: 240
; IeeeMode: 1
; LDSByteSize: 0 bytes/workgroup (compile time only)
; SGPRBlocks: 0
; VGPRBlocks: 0
; NumSGPRsForWavesPerEU: 1
; NumVGPRsForWavesPerEU: 1
; Occupancy: 16
; WaveLimiterHint : 0
; COMPUTE_PGM_RSRC2:SCRATCH_EN: 0
; COMPUTE_PGM_RSRC2:USER_SGPR: 15
; COMPUTE_PGM_RSRC2:TRAP_HANDLER: 0
; COMPUTE_PGM_RSRC2:TGID_X_EN: 1
; COMPUTE_PGM_RSRC2:TGID_Y_EN: 0
; COMPUTE_PGM_RSRC2:TGID_Z_EN: 0
; COMPUTE_PGM_RSRC2:TIDIG_COMP_CNT: 0
	.section	.text._ZN7rocprim17ROCPRIM_400000_NS6detail17trampoline_kernelINS0_14default_configENS1_29reduce_by_key_config_selectorIjjN6thrust23THRUST_200600_302600_NS4plusIjEEEEZZNS1_33reduce_by_key_impl_wrapped_configILNS1_25lookback_scan_determinismE0ES3_S9_NS6_6detail15normal_iteratorINS6_10device_ptrIjEEEESG_SG_SG_PmS8_22is_equal_div_10_reduceIjEEE10hipError_tPvRmT2_T3_mT4_T5_T6_T7_T8_P12ihipStream_tbENKUlT_T0_E_clISt17integral_constantIbLb0EES10_IbLb1EEEEDaSW_SX_EUlSW_E_NS1_11comp_targetILNS1_3genE2ELNS1_11target_archE906ELNS1_3gpuE6ELNS1_3repE0EEENS1_30default_config_static_selectorELNS0_4arch9wavefront6targetE0EEEvT1_,"axG",@progbits,_ZN7rocprim17ROCPRIM_400000_NS6detail17trampoline_kernelINS0_14default_configENS1_29reduce_by_key_config_selectorIjjN6thrust23THRUST_200600_302600_NS4plusIjEEEEZZNS1_33reduce_by_key_impl_wrapped_configILNS1_25lookback_scan_determinismE0ES3_S9_NS6_6detail15normal_iteratorINS6_10device_ptrIjEEEESG_SG_SG_PmS8_22is_equal_div_10_reduceIjEEE10hipError_tPvRmT2_T3_mT4_T5_T6_T7_T8_P12ihipStream_tbENKUlT_T0_E_clISt17integral_constantIbLb0EES10_IbLb1EEEEDaSW_SX_EUlSW_E_NS1_11comp_targetILNS1_3genE2ELNS1_11target_archE906ELNS1_3gpuE6ELNS1_3repE0EEENS1_30default_config_static_selectorELNS0_4arch9wavefront6targetE0EEEvT1_,comdat
	.protected	_ZN7rocprim17ROCPRIM_400000_NS6detail17trampoline_kernelINS0_14default_configENS1_29reduce_by_key_config_selectorIjjN6thrust23THRUST_200600_302600_NS4plusIjEEEEZZNS1_33reduce_by_key_impl_wrapped_configILNS1_25lookback_scan_determinismE0ES3_S9_NS6_6detail15normal_iteratorINS6_10device_ptrIjEEEESG_SG_SG_PmS8_22is_equal_div_10_reduceIjEEE10hipError_tPvRmT2_T3_mT4_T5_T6_T7_T8_P12ihipStream_tbENKUlT_T0_E_clISt17integral_constantIbLb0EES10_IbLb1EEEEDaSW_SX_EUlSW_E_NS1_11comp_targetILNS1_3genE2ELNS1_11target_archE906ELNS1_3gpuE6ELNS1_3repE0EEENS1_30default_config_static_selectorELNS0_4arch9wavefront6targetE0EEEvT1_ ; -- Begin function _ZN7rocprim17ROCPRIM_400000_NS6detail17trampoline_kernelINS0_14default_configENS1_29reduce_by_key_config_selectorIjjN6thrust23THRUST_200600_302600_NS4plusIjEEEEZZNS1_33reduce_by_key_impl_wrapped_configILNS1_25lookback_scan_determinismE0ES3_S9_NS6_6detail15normal_iteratorINS6_10device_ptrIjEEEESG_SG_SG_PmS8_22is_equal_div_10_reduceIjEEE10hipError_tPvRmT2_T3_mT4_T5_T6_T7_T8_P12ihipStream_tbENKUlT_T0_E_clISt17integral_constantIbLb0EES10_IbLb1EEEEDaSW_SX_EUlSW_E_NS1_11comp_targetILNS1_3genE2ELNS1_11target_archE906ELNS1_3gpuE6ELNS1_3repE0EEENS1_30default_config_static_selectorELNS0_4arch9wavefront6targetE0EEEvT1_
	.globl	_ZN7rocprim17ROCPRIM_400000_NS6detail17trampoline_kernelINS0_14default_configENS1_29reduce_by_key_config_selectorIjjN6thrust23THRUST_200600_302600_NS4plusIjEEEEZZNS1_33reduce_by_key_impl_wrapped_configILNS1_25lookback_scan_determinismE0ES3_S9_NS6_6detail15normal_iteratorINS6_10device_ptrIjEEEESG_SG_SG_PmS8_22is_equal_div_10_reduceIjEEE10hipError_tPvRmT2_T3_mT4_T5_T6_T7_T8_P12ihipStream_tbENKUlT_T0_E_clISt17integral_constantIbLb0EES10_IbLb1EEEEDaSW_SX_EUlSW_E_NS1_11comp_targetILNS1_3genE2ELNS1_11target_archE906ELNS1_3gpuE6ELNS1_3repE0EEENS1_30default_config_static_selectorELNS0_4arch9wavefront6targetE0EEEvT1_
	.p2align	8
	.type	_ZN7rocprim17ROCPRIM_400000_NS6detail17trampoline_kernelINS0_14default_configENS1_29reduce_by_key_config_selectorIjjN6thrust23THRUST_200600_302600_NS4plusIjEEEEZZNS1_33reduce_by_key_impl_wrapped_configILNS1_25lookback_scan_determinismE0ES3_S9_NS6_6detail15normal_iteratorINS6_10device_ptrIjEEEESG_SG_SG_PmS8_22is_equal_div_10_reduceIjEEE10hipError_tPvRmT2_T3_mT4_T5_T6_T7_T8_P12ihipStream_tbENKUlT_T0_E_clISt17integral_constantIbLb0EES10_IbLb1EEEEDaSW_SX_EUlSW_E_NS1_11comp_targetILNS1_3genE2ELNS1_11target_archE906ELNS1_3gpuE6ELNS1_3repE0EEENS1_30default_config_static_selectorELNS0_4arch9wavefront6targetE0EEEvT1_,@function
_ZN7rocprim17ROCPRIM_400000_NS6detail17trampoline_kernelINS0_14default_configENS1_29reduce_by_key_config_selectorIjjN6thrust23THRUST_200600_302600_NS4plusIjEEEEZZNS1_33reduce_by_key_impl_wrapped_configILNS1_25lookback_scan_determinismE0ES3_S9_NS6_6detail15normal_iteratorINS6_10device_ptrIjEEEESG_SG_SG_PmS8_22is_equal_div_10_reduceIjEEE10hipError_tPvRmT2_T3_mT4_T5_T6_T7_T8_P12ihipStream_tbENKUlT_T0_E_clISt17integral_constantIbLb0EES10_IbLb1EEEEDaSW_SX_EUlSW_E_NS1_11comp_targetILNS1_3genE2ELNS1_11target_archE906ELNS1_3gpuE6ELNS1_3repE0EEENS1_30default_config_static_selectorELNS0_4arch9wavefront6targetE0EEEvT1_: ; @_ZN7rocprim17ROCPRIM_400000_NS6detail17trampoline_kernelINS0_14default_configENS1_29reduce_by_key_config_selectorIjjN6thrust23THRUST_200600_302600_NS4plusIjEEEEZZNS1_33reduce_by_key_impl_wrapped_configILNS1_25lookback_scan_determinismE0ES3_S9_NS6_6detail15normal_iteratorINS6_10device_ptrIjEEEESG_SG_SG_PmS8_22is_equal_div_10_reduceIjEEE10hipError_tPvRmT2_T3_mT4_T5_T6_T7_T8_P12ihipStream_tbENKUlT_T0_E_clISt17integral_constantIbLb0EES10_IbLb1EEEEDaSW_SX_EUlSW_E_NS1_11comp_targetILNS1_3genE2ELNS1_11target_archE906ELNS1_3gpuE6ELNS1_3repE0EEENS1_30default_config_static_selectorELNS0_4arch9wavefront6targetE0EEEvT1_
; %bb.0:
	.section	.rodata,"a",@progbits
	.p2align	6, 0x0
	.amdhsa_kernel _ZN7rocprim17ROCPRIM_400000_NS6detail17trampoline_kernelINS0_14default_configENS1_29reduce_by_key_config_selectorIjjN6thrust23THRUST_200600_302600_NS4plusIjEEEEZZNS1_33reduce_by_key_impl_wrapped_configILNS1_25lookback_scan_determinismE0ES3_S9_NS6_6detail15normal_iteratorINS6_10device_ptrIjEEEESG_SG_SG_PmS8_22is_equal_div_10_reduceIjEEE10hipError_tPvRmT2_T3_mT4_T5_T6_T7_T8_P12ihipStream_tbENKUlT_T0_E_clISt17integral_constantIbLb0EES10_IbLb1EEEEDaSW_SX_EUlSW_E_NS1_11comp_targetILNS1_3genE2ELNS1_11target_archE906ELNS1_3gpuE6ELNS1_3repE0EEENS1_30default_config_static_selectorELNS0_4arch9wavefront6targetE0EEEvT1_
		.amdhsa_group_segment_fixed_size 0
		.amdhsa_private_segment_fixed_size 0
		.amdhsa_kernarg_size 120
		.amdhsa_user_sgpr_count 15
		.amdhsa_user_sgpr_dispatch_ptr 0
		.amdhsa_user_sgpr_queue_ptr 0
		.amdhsa_user_sgpr_kernarg_segment_ptr 1
		.amdhsa_user_sgpr_dispatch_id 0
		.amdhsa_user_sgpr_private_segment_size 0
		.amdhsa_wavefront_size32 1
		.amdhsa_uses_dynamic_stack 0
		.amdhsa_enable_private_segment 0
		.amdhsa_system_sgpr_workgroup_id_x 1
		.amdhsa_system_sgpr_workgroup_id_y 0
		.amdhsa_system_sgpr_workgroup_id_z 0
		.amdhsa_system_sgpr_workgroup_info 0
		.amdhsa_system_vgpr_workitem_id 0
		.amdhsa_next_free_vgpr 1
		.amdhsa_next_free_sgpr 1
		.amdhsa_reserve_vcc 0
		.amdhsa_float_round_mode_32 0
		.amdhsa_float_round_mode_16_64 0
		.amdhsa_float_denorm_mode_32 3
		.amdhsa_float_denorm_mode_16_64 3
		.amdhsa_dx10_clamp 1
		.amdhsa_ieee_mode 1
		.amdhsa_fp16_overflow 0
		.amdhsa_workgroup_processor_mode 1
		.amdhsa_memory_ordered 1
		.amdhsa_forward_progress 0
		.amdhsa_shared_vgpr_count 0
		.amdhsa_exception_fp_ieee_invalid_op 0
		.amdhsa_exception_fp_denorm_src 0
		.amdhsa_exception_fp_ieee_div_zero 0
		.amdhsa_exception_fp_ieee_overflow 0
		.amdhsa_exception_fp_ieee_underflow 0
		.amdhsa_exception_fp_ieee_inexact 0
		.amdhsa_exception_int_div_zero 0
	.end_amdhsa_kernel
	.section	.text._ZN7rocprim17ROCPRIM_400000_NS6detail17trampoline_kernelINS0_14default_configENS1_29reduce_by_key_config_selectorIjjN6thrust23THRUST_200600_302600_NS4plusIjEEEEZZNS1_33reduce_by_key_impl_wrapped_configILNS1_25lookback_scan_determinismE0ES3_S9_NS6_6detail15normal_iteratorINS6_10device_ptrIjEEEESG_SG_SG_PmS8_22is_equal_div_10_reduceIjEEE10hipError_tPvRmT2_T3_mT4_T5_T6_T7_T8_P12ihipStream_tbENKUlT_T0_E_clISt17integral_constantIbLb0EES10_IbLb1EEEEDaSW_SX_EUlSW_E_NS1_11comp_targetILNS1_3genE2ELNS1_11target_archE906ELNS1_3gpuE6ELNS1_3repE0EEENS1_30default_config_static_selectorELNS0_4arch9wavefront6targetE0EEEvT1_,"axG",@progbits,_ZN7rocprim17ROCPRIM_400000_NS6detail17trampoline_kernelINS0_14default_configENS1_29reduce_by_key_config_selectorIjjN6thrust23THRUST_200600_302600_NS4plusIjEEEEZZNS1_33reduce_by_key_impl_wrapped_configILNS1_25lookback_scan_determinismE0ES3_S9_NS6_6detail15normal_iteratorINS6_10device_ptrIjEEEESG_SG_SG_PmS8_22is_equal_div_10_reduceIjEEE10hipError_tPvRmT2_T3_mT4_T5_T6_T7_T8_P12ihipStream_tbENKUlT_T0_E_clISt17integral_constantIbLb0EES10_IbLb1EEEEDaSW_SX_EUlSW_E_NS1_11comp_targetILNS1_3genE2ELNS1_11target_archE906ELNS1_3gpuE6ELNS1_3repE0EEENS1_30default_config_static_selectorELNS0_4arch9wavefront6targetE0EEEvT1_,comdat
.Lfunc_end385:
	.size	_ZN7rocprim17ROCPRIM_400000_NS6detail17trampoline_kernelINS0_14default_configENS1_29reduce_by_key_config_selectorIjjN6thrust23THRUST_200600_302600_NS4plusIjEEEEZZNS1_33reduce_by_key_impl_wrapped_configILNS1_25lookback_scan_determinismE0ES3_S9_NS6_6detail15normal_iteratorINS6_10device_ptrIjEEEESG_SG_SG_PmS8_22is_equal_div_10_reduceIjEEE10hipError_tPvRmT2_T3_mT4_T5_T6_T7_T8_P12ihipStream_tbENKUlT_T0_E_clISt17integral_constantIbLb0EES10_IbLb1EEEEDaSW_SX_EUlSW_E_NS1_11comp_targetILNS1_3genE2ELNS1_11target_archE906ELNS1_3gpuE6ELNS1_3repE0EEENS1_30default_config_static_selectorELNS0_4arch9wavefront6targetE0EEEvT1_, .Lfunc_end385-_ZN7rocprim17ROCPRIM_400000_NS6detail17trampoline_kernelINS0_14default_configENS1_29reduce_by_key_config_selectorIjjN6thrust23THRUST_200600_302600_NS4plusIjEEEEZZNS1_33reduce_by_key_impl_wrapped_configILNS1_25lookback_scan_determinismE0ES3_S9_NS6_6detail15normal_iteratorINS6_10device_ptrIjEEEESG_SG_SG_PmS8_22is_equal_div_10_reduceIjEEE10hipError_tPvRmT2_T3_mT4_T5_T6_T7_T8_P12ihipStream_tbENKUlT_T0_E_clISt17integral_constantIbLb0EES10_IbLb1EEEEDaSW_SX_EUlSW_E_NS1_11comp_targetILNS1_3genE2ELNS1_11target_archE906ELNS1_3gpuE6ELNS1_3repE0EEENS1_30default_config_static_selectorELNS0_4arch9wavefront6targetE0EEEvT1_
                                        ; -- End function
	.section	.AMDGPU.csdata,"",@progbits
; Kernel info:
; codeLenInByte = 0
; NumSgprs: 0
; NumVgprs: 0
; ScratchSize: 0
; MemoryBound: 0
; FloatMode: 240
; IeeeMode: 1
; LDSByteSize: 0 bytes/workgroup (compile time only)
; SGPRBlocks: 0
; VGPRBlocks: 0
; NumSGPRsForWavesPerEU: 1
; NumVGPRsForWavesPerEU: 1
; Occupancy: 16
; WaveLimiterHint : 0
; COMPUTE_PGM_RSRC2:SCRATCH_EN: 0
; COMPUTE_PGM_RSRC2:USER_SGPR: 15
; COMPUTE_PGM_RSRC2:TRAP_HANDLER: 0
; COMPUTE_PGM_RSRC2:TGID_X_EN: 1
; COMPUTE_PGM_RSRC2:TGID_Y_EN: 0
; COMPUTE_PGM_RSRC2:TGID_Z_EN: 0
; COMPUTE_PGM_RSRC2:TIDIG_COMP_CNT: 0
	.section	.text._ZN7rocprim17ROCPRIM_400000_NS6detail17trampoline_kernelINS0_14default_configENS1_29reduce_by_key_config_selectorIjjN6thrust23THRUST_200600_302600_NS4plusIjEEEEZZNS1_33reduce_by_key_impl_wrapped_configILNS1_25lookback_scan_determinismE0ES3_S9_NS6_6detail15normal_iteratorINS6_10device_ptrIjEEEESG_SG_SG_PmS8_22is_equal_div_10_reduceIjEEE10hipError_tPvRmT2_T3_mT4_T5_T6_T7_T8_P12ihipStream_tbENKUlT_T0_E_clISt17integral_constantIbLb0EES10_IbLb1EEEEDaSW_SX_EUlSW_E_NS1_11comp_targetILNS1_3genE10ELNS1_11target_archE1201ELNS1_3gpuE5ELNS1_3repE0EEENS1_30default_config_static_selectorELNS0_4arch9wavefront6targetE0EEEvT1_,"axG",@progbits,_ZN7rocprim17ROCPRIM_400000_NS6detail17trampoline_kernelINS0_14default_configENS1_29reduce_by_key_config_selectorIjjN6thrust23THRUST_200600_302600_NS4plusIjEEEEZZNS1_33reduce_by_key_impl_wrapped_configILNS1_25lookback_scan_determinismE0ES3_S9_NS6_6detail15normal_iteratorINS6_10device_ptrIjEEEESG_SG_SG_PmS8_22is_equal_div_10_reduceIjEEE10hipError_tPvRmT2_T3_mT4_T5_T6_T7_T8_P12ihipStream_tbENKUlT_T0_E_clISt17integral_constantIbLb0EES10_IbLb1EEEEDaSW_SX_EUlSW_E_NS1_11comp_targetILNS1_3genE10ELNS1_11target_archE1201ELNS1_3gpuE5ELNS1_3repE0EEENS1_30default_config_static_selectorELNS0_4arch9wavefront6targetE0EEEvT1_,comdat
	.protected	_ZN7rocprim17ROCPRIM_400000_NS6detail17trampoline_kernelINS0_14default_configENS1_29reduce_by_key_config_selectorIjjN6thrust23THRUST_200600_302600_NS4plusIjEEEEZZNS1_33reduce_by_key_impl_wrapped_configILNS1_25lookback_scan_determinismE0ES3_S9_NS6_6detail15normal_iteratorINS6_10device_ptrIjEEEESG_SG_SG_PmS8_22is_equal_div_10_reduceIjEEE10hipError_tPvRmT2_T3_mT4_T5_T6_T7_T8_P12ihipStream_tbENKUlT_T0_E_clISt17integral_constantIbLb0EES10_IbLb1EEEEDaSW_SX_EUlSW_E_NS1_11comp_targetILNS1_3genE10ELNS1_11target_archE1201ELNS1_3gpuE5ELNS1_3repE0EEENS1_30default_config_static_selectorELNS0_4arch9wavefront6targetE0EEEvT1_ ; -- Begin function _ZN7rocprim17ROCPRIM_400000_NS6detail17trampoline_kernelINS0_14default_configENS1_29reduce_by_key_config_selectorIjjN6thrust23THRUST_200600_302600_NS4plusIjEEEEZZNS1_33reduce_by_key_impl_wrapped_configILNS1_25lookback_scan_determinismE0ES3_S9_NS6_6detail15normal_iteratorINS6_10device_ptrIjEEEESG_SG_SG_PmS8_22is_equal_div_10_reduceIjEEE10hipError_tPvRmT2_T3_mT4_T5_T6_T7_T8_P12ihipStream_tbENKUlT_T0_E_clISt17integral_constantIbLb0EES10_IbLb1EEEEDaSW_SX_EUlSW_E_NS1_11comp_targetILNS1_3genE10ELNS1_11target_archE1201ELNS1_3gpuE5ELNS1_3repE0EEENS1_30default_config_static_selectorELNS0_4arch9wavefront6targetE0EEEvT1_
	.globl	_ZN7rocprim17ROCPRIM_400000_NS6detail17trampoline_kernelINS0_14default_configENS1_29reduce_by_key_config_selectorIjjN6thrust23THRUST_200600_302600_NS4plusIjEEEEZZNS1_33reduce_by_key_impl_wrapped_configILNS1_25lookback_scan_determinismE0ES3_S9_NS6_6detail15normal_iteratorINS6_10device_ptrIjEEEESG_SG_SG_PmS8_22is_equal_div_10_reduceIjEEE10hipError_tPvRmT2_T3_mT4_T5_T6_T7_T8_P12ihipStream_tbENKUlT_T0_E_clISt17integral_constantIbLb0EES10_IbLb1EEEEDaSW_SX_EUlSW_E_NS1_11comp_targetILNS1_3genE10ELNS1_11target_archE1201ELNS1_3gpuE5ELNS1_3repE0EEENS1_30default_config_static_selectorELNS0_4arch9wavefront6targetE0EEEvT1_
	.p2align	8
	.type	_ZN7rocprim17ROCPRIM_400000_NS6detail17trampoline_kernelINS0_14default_configENS1_29reduce_by_key_config_selectorIjjN6thrust23THRUST_200600_302600_NS4plusIjEEEEZZNS1_33reduce_by_key_impl_wrapped_configILNS1_25lookback_scan_determinismE0ES3_S9_NS6_6detail15normal_iteratorINS6_10device_ptrIjEEEESG_SG_SG_PmS8_22is_equal_div_10_reduceIjEEE10hipError_tPvRmT2_T3_mT4_T5_T6_T7_T8_P12ihipStream_tbENKUlT_T0_E_clISt17integral_constantIbLb0EES10_IbLb1EEEEDaSW_SX_EUlSW_E_NS1_11comp_targetILNS1_3genE10ELNS1_11target_archE1201ELNS1_3gpuE5ELNS1_3repE0EEENS1_30default_config_static_selectorELNS0_4arch9wavefront6targetE0EEEvT1_,@function
_ZN7rocprim17ROCPRIM_400000_NS6detail17trampoline_kernelINS0_14default_configENS1_29reduce_by_key_config_selectorIjjN6thrust23THRUST_200600_302600_NS4plusIjEEEEZZNS1_33reduce_by_key_impl_wrapped_configILNS1_25lookback_scan_determinismE0ES3_S9_NS6_6detail15normal_iteratorINS6_10device_ptrIjEEEESG_SG_SG_PmS8_22is_equal_div_10_reduceIjEEE10hipError_tPvRmT2_T3_mT4_T5_T6_T7_T8_P12ihipStream_tbENKUlT_T0_E_clISt17integral_constantIbLb0EES10_IbLb1EEEEDaSW_SX_EUlSW_E_NS1_11comp_targetILNS1_3genE10ELNS1_11target_archE1201ELNS1_3gpuE5ELNS1_3repE0EEENS1_30default_config_static_selectorELNS0_4arch9wavefront6targetE0EEEvT1_: ; @_ZN7rocprim17ROCPRIM_400000_NS6detail17trampoline_kernelINS0_14default_configENS1_29reduce_by_key_config_selectorIjjN6thrust23THRUST_200600_302600_NS4plusIjEEEEZZNS1_33reduce_by_key_impl_wrapped_configILNS1_25lookback_scan_determinismE0ES3_S9_NS6_6detail15normal_iteratorINS6_10device_ptrIjEEEESG_SG_SG_PmS8_22is_equal_div_10_reduceIjEEE10hipError_tPvRmT2_T3_mT4_T5_T6_T7_T8_P12ihipStream_tbENKUlT_T0_E_clISt17integral_constantIbLb0EES10_IbLb1EEEEDaSW_SX_EUlSW_E_NS1_11comp_targetILNS1_3genE10ELNS1_11target_archE1201ELNS1_3gpuE5ELNS1_3repE0EEENS1_30default_config_static_selectorELNS0_4arch9wavefront6targetE0EEEvT1_
; %bb.0:
	.section	.rodata,"a",@progbits
	.p2align	6, 0x0
	.amdhsa_kernel _ZN7rocprim17ROCPRIM_400000_NS6detail17trampoline_kernelINS0_14default_configENS1_29reduce_by_key_config_selectorIjjN6thrust23THRUST_200600_302600_NS4plusIjEEEEZZNS1_33reduce_by_key_impl_wrapped_configILNS1_25lookback_scan_determinismE0ES3_S9_NS6_6detail15normal_iteratorINS6_10device_ptrIjEEEESG_SG_SG_PmS8_22is_equal_div_10_reduceIjEEE10hipError_tPvRmT2_T3_mT4_T5_T6_T7_T8_P12ihipStream_tbENKUlT_T0_E_clISt17integral_constantIbLb0EES10_IbLb1EEEEDaSW_SX_EUlSW_E_NS1_11comp_targetILNS1_3genE10ELNS1_11target_archE1201ELNS1_3gpuE5ELNS1_3repE0EEENS1_30default_config_static_selectorELNS0_4arch9wavefront6targetE0EEEvT1_
		.amdhsa_group_segment_fixed_size 0
		.amdhsa_private_segment_fixed_size 0
		.amdhsa_kernarg_size 120
		.amdhsa_user_sgpr_count 15
		.amdhsa_user_sgpr_dispatch_ptr 0
		.amdhsa_user_sgpr_queue_ptr 0
		.amdhsa_user_sgpr_kernarg_segment_ptr 1
		.amdhsa_user_sgpr_dispatch_id 0
		.amdhsa_user_sgpr_private_segment_size 0
		.amdhsa_wavefront_size32 1
		.amdhsa_uses_dynamic_stack 0
		.amdhsa_enable_private_segment 0
		.amdhsa_system_sgpr_workgroup_id_x 1
		.amdhsa_system_sgpr_workgroup_id_y 0
		.amdhsa_system_sgpr_workgroup_id_z 0
		.amdhsa_system_sgpr_workgroup_info 0
		.amdhsa_system_vgpr_workitem_id 0
		.amdhsa_next_free_vgpr 1
		.amdhsa_next_free_sgpr 1
		.amdhsa_reserve_vcc 0
		.amdhsa_float_round_mode_32 0
		.amdhsa_float_round_mode_16_64 0
		.amdhsa_float_denorm_mode_32 3
		.amdhsa_float_denorm_mode_16_64 3
		.amdhsa_dx10_clamp 1
		.amdhsa_ieee_mode 1
		.amdhsa_fp16_overflow 0
		.amdhsa_workgroup_processor_mode 1
		.amdhsa_memory_ordered 1
		.amdhsa_forward_progress 0
		.amdhsa_shared_vgpr_count 0
		.amdhsa_exception_fp_ieee_invalid_op 0
		.amdhsa_exception_fp_denorm_src 0
		.amdhsa_exception_fp_ieee_div_zero 0
		.amdhsa_exception_fp_ieee_overflow 0
		.amdhsa_exception_fp_ieee_underflow 0
		.amdhsa_exception_fp_ieee_inexact 0
		.amdhsa_exception_int_div_zero 0
	.end_amdhsa_kernel
	.section	.text._ZN7rocprim17ROCPRIM_400000_NS6detail17trampoline_kernelINS0_14default_configENS1_29reduce_by_key_config_selectorIjjN6thrust23THRUST_200600_302600_NS4plusIjEEEEZZNS1_33reduce_by_key_impl_wrapped_configILNS1_25lookback_scan_determinismE0ES3_S9_NS6_6detail15normal_iteratorINS6_10device_ptrIjEEEESG_SG_SG_PmS8_22is_equal_div_10_reduceIjEEE10hipError_tPvRmT2_T3_mT4_T5_T6_T7_T8_P12ihipStream_tbENKUlT_T0_E_clISt17integral_constantIbLb0EES10_IbLb1EEEEDaSW_SX_EUlSW_E_NS1_11comp_targetILNS1_3genE10ELNS1_11target_archE1201ELNS1_3gpuE5ELNS1_3repE0EEENS1_30default_config_static_selectorELNS0_4arch9wavefront6targetE0EEEvT1_,"axG",@progbits,_ZN7rocprim17ROCPRIM_400000_NS6detail17trampoline_kernelINS0_14default_configENS1_29reduce_by_key_config_selectorIjjN6thrust23THRUST_200600_302600_NS4plusIjEEEEZZNS1_33reduce_by_key_impl_wrapped_configILNS1_25lookback_scan_determinismE0ES3_S9_NS6_6detail15normal_iteratorINS6_10device_ptrIjEEEESG_SG_SG_PmS8_22is_equal_div_10_reduceIjEEE10hipError_tPvRmT2_T3_mT4_T5_T6_T7_T8_P12ihipStream_tbENKUlT_T0_E_clISt17integral_constantIbLb0EES10_IbLb1EEEEDaSW_SX_EUlSW_E_NS1_11comp_targetILNS1_3genE10ELNS1_11target_archE1201ELNS1_3gpuE5ELNS1_3repE0EEENS1_30default_config_static_selectorELNS0_4arch9wavefront6targetE0EEEvT1_,comdat
.Lfunc_end386:
	.size	_ZN7rocprim17ROCPRIM_400000_NS6detail17trampoline_kernelINS0_14default_configENS1_29reduce_by_key_config_selectorIjjN6thrust23THRUST_200600_302600_NS4plusIjEEEEZZNS1_33reduce_by_key_impl_wrapped_configILNS1_25lookback_scan_determinismE0ES3_S9_NS6_6detail15normal_iteratorINS6_10device_ptrIjEEEESG_SG_SG_PmS8_22is_equal_div_10_reduceIjEEE10hipError_tPvRmT2_T3_mT4_T5_T6_T7_T8_P12ihipStream_tbENKUlT_T0_E_clISt17integral_constantIbLb0EES10_IbLb1EEEEDaSW_SX_EUlSW_E_NS1_11comp_targetILNS1_3genE10ELNS1_11target_archE1201ELNS1_3gpuE5ELNS1_3repE0EEENS1_30default_config_static_selectorELNS0_4arch9wavefront6targetE0EEEvT1_, .Lfunc_end386-_ZN7rocprim17ROCPRIM_400000_NS6detail17trampoline_kernelINS0_14default_configENS1_29reduce_by_key_config_selectorIjjN6thrust23THRUST_200600_302600_NS4plusIjEEEEZZNS1_33reduce_by_key_impl_wrapped_configILNS1_25lookback_scan_determinismE0ES3_S9_NS6_6detail15normal_iteratorINS6_10device_ptrIjEEEESG_SG_SG_PmS8_22is_equal_div_10_reduceIjEEE10hipError_tPvRmT2_T3_mT4_T5_T6_T7_T8_P12ihipStream_tbENKUlT_T0_E_clISt17integral_constantIbLb0EES10_IbLb1EEEEDaSW_SX_EUlSW_E_NS1_11comp_targetILNS1_3genE10ELNS1_11target_archE1201ELNS1_3gpuE5ELNS1_3repE0EEENS1_30default_config_static_selectorELNS0_4arch9wavefront6targetE0EEEvT1_
                                        ; -- End function
	.section	.AMDGPU.csdata,"",@progbits
; Kernel info:
; codeLenInByte = 0
; NumSgprs: 0
; NumVgprs: 0
; ScratchSize: 0
; MemoryBound: 0
; FloatMode: 240
; IeeeMode: 1
; LDSByteSize: 0 bytes/workgroup (compile time only)
; SGPRBlocks: 0
; VGPRBlocks: 0
; NumSGPRsForWavesPerEU: 1
; NumVGPRsForWavesPerEU: 1
; Occupancy: 16
; WaveLimiterHint : 0
; COMPUTE_PGM_RSRC2:SCRATCH_EN: 0
; COMPUTE_PGM_RSRC2:USER_SGPR: 15
; COMPUTE_PGM_RSRC2:TRAP_HANDLER: 0
; COMPUTE_PGM_RSRC2:TGID_X_EN: 1
; COMPUTE_PGM_RSRC2:TGID_Y_EN: 0
; COMPUTE_PGM_RSRC2:TGID_Z_EN: 0
; COMPUTE_PGM_RSRC2:TIDIG_COMP_CNT: 0
	.section	.text._ZN7rocprim17ROCPRIM_400000_NS6detail17trampoline_kernelINS0_14default_configENS1_29reduce_by_key_config_selectorIjjN6thrust23THRUST_200600_302600_NS4plusIjEEEEZZNS1_33reduce_by_key_impl_wrapped_configILNS1_25lookback_scan_determinismE0ES3_S9_NS6_6detail15normal_iteratorINS6_10device_ptrIjEEEESG_SG_SG_PmS8_22is_equal_div_10_reduceIjEEE10hipError_tPvRmT2_T3_mT4_T5_T6_T7_T8_P12ihipStream_tbENKUlT_T0_E_clISt17integral_constantIbLb0EES10_IbLb1EEEEDaSW_SX_EUlSW_E_NS1_11comp_targetILNS1_3genE10ELNS1_11target_archE1200ELNS1_3gpuE4ELNS1_3repE0EEENS1_30default_config_static_selectorELNS0_4arch9wavefront6targetE0EEEvT1_,"axG",@progbits,_ZN7rocprim17ROCPRIM_400000_NS6detail17trampoline_kernelINS0_14default_configENS1_29reduce_by_key_config_selectorIjjN6thrust23THRUST_200600_302600_NS4plusIjEEEEZZNS1_33reduce_by_key_impl_wrapped_configILNS1_25lookback_scan_determinismE0ES3_S9_NS6_6detail15normal_iteratorINS6_10device_ptrIjEEEESG_SG_SG_PmS8_22is_equal_div_10_reduceIjEEE10hipError_tPvRmT2_T3_mT4_T5_T6_T7_T8_P12ihipStream_tbENKUlT_T0_E_clISt17integral_constantIbLb0EES10_IbLb1EEEEDaSW_SX_EUlSW_E_NS1_11comp_targetILNS1_3genE10ELNS1_11target_archE1200ELNS1_3gpuE4ELNS1_3repE0EEENS1_30default_config_static_selectorELNS0_4arch9wavefront6targetE0EEEvT1_,comdat
	.protected	_ZN7rocprim17ROCPRIM_400000_NS6detail17trampoline_kernelINS0_14default_configENS1_29reduce_by_key_config_selectorIjjN6thrust23THRUST_200600_302600_NS4plusIjEEEEZZNS1_33reduce_by_key_impl_wrapped_configILNS1_25lookback_scan_determinismE0ES3_S9_NS6_6detail15normal_iteratorINS6_10device_ptrIjEEEESG_SG_SG_PmS8_22is_equal_div_10_reduceIjEEE10hipError_tPvRmT2_T3_mT4_T5_T6_T7_T8_P12ihipStream_tbENKUlT_T0_E_clISt17integral_constantIbLb0EES10_IbLb1EEEEDaSW_SX_EUlSW_E_NS1_11comp_targetILNS1_3genE10ELNS1_11target_archE1200ELNS1_3gpuE4ELNS1_3repE0EEENS1_30default_config_static_selectorELNS0_4arch9wavefront6targetE0EEEvT1_ ; -- Begin function _ZN7rocprim17ROCPRIM_400000_NS6detail17trampoline_kernelINS0_14default_configENS1_29reduce_by_key_config_selectorIjjN6thrust23THRUST_200600_302600_NS4plusIjEEEEZZNS1_33reduce_by_key_impl_wrapped_configILNS1_25lookback_scan_determinismE0ES3_S9_NS6_6detail15normal_iteratorINS6_10device_ptrIjEEEESG_SG_SG_PmS8_22is_equal_div_10_reduceIjEEE10hipError_tPvRmT2_T3_mT4_T5_T6_T7_T8_P12ihipStream_tbENKUlT_T0_E_clISt17integral_constantIbLb0EES10_IbLb1EEEEDaSW_SX_EUlSW_E_NS1_11comp_targetILNS1_3genE10ELNS1_11target_archE1200ELNS1_3gpuE4ELNS1_3repE0EEENS1_30default_config_static_selectorELNS0_4arch9wavefront6targetE0EEEvT1_
	.globl	_ZN7rocprim17ROCPRIM_400000_NS6detail17trampoline_kernelINS0_14default_configENS1_29reduce_by_key_config_selectorIjjN6thrust23THRUST_200600_302600_NS4plusIjEEEEZZNS1_33reduce_by_key_impl_wrapped_configILNS1_25lookback_scan_determinismE0ES3_S9_NS6_6detail15normal_iteratorINS6_10device_ptrIjEEEESG_SG_SG_PmS8_22is_equal_div_10_reduceIjEEE10hipError_tPvRmT2_T3_mT4_T5_T6_T7_T8_P12ihipStream_tbENKUlT_T0_E_clISt17integral_constantIbLb0EES10_IbLb1EEEEDaSW_SX_EUlSW_E_NS1_11comp_targetILNS1_3genE10ELNS1_11target_archE1200ELNS1_3gpuE4ELNS1_3repE0EEENS1_30default_config_static_selectorELNS0_4arch9wavefront6targetE0EEEvT1_
	.p2align	8
	.type	_ZN7rocprim17ROCPRIM_400000_NS6detail17trampoline_kernelINS0_14default_configENS1_29reduce_by_key_config_selectorIjjN6thrust23THRUST_200600_302600_NS4plusIjEEEEZZNS1_33reduce_by_key_impl_wrapped_configILNS1_25lookback_scan_determinismE0ES3_S9_NS6_6detail15normal_iteratorINS6_10device_ptrIjEEEESG_SG_SG_PmS8_22is_equal_div_10_reduceIjEEE10hipError_tPvRmT2_T3_mT4_T5_T6_T7_T8_P12ihipStream_tbENKUlT_T0_E_clISt17integral_constantIbLb0EES10_IbLb1EEEEDaSW_SX_EUlSW_E_NS1_11comp_targetILNS1_3genE10ELNS1_11target_archE1200ELNS1_3gpuE4ELNS1_3repE0EEENS1_30default_config_static_selectorELNS0_4arch9wavefront6targetE0EEEvT1_,@function
_ZN7rocprim17ROCPRIM_400000_NS6detail17trampoline_kernelINS0_14default_configENS1_29reduce_by_key_config_selectorIjjN6thrust23THRUST_200600_302600_NS4plusIjEEEEZZNS1_33reduce_by_key_impl_wrapped_configILNS1_25lookback_scan_determinismE0ES3_S9_NS6_6detail15normal_iteratorINS6_10device_ptrIjEEEESG_SG_SG_PmS8_22is_equal_div_10_reduceIjEEE10hipError_tPvRmT2_T3_mT4_T5_T6_T7_T8_P12ihipStream_tbENKUlT_T0_E_clISt17integral_constantIbLb0EES10_IbLb1EEEEDaSW_SX_EUlSW_E_NS1_11comp_targetILNS1_3genE10ELNS1_11target_archE1200ELNS1_3gpuE4ELNS1_3repE0EEENS1_30default_config_static_selectorELNS0_4arch9wavefront6targetE0EEEvT1_: ; @_ZN7rocprim17ROCPRIM_400000_NS6detail17trampoline_kernelINS0_14default_configENS1_29reduce_by_key_config_selectorIjjN6thrust23THRUST_200600_302600_NS4plusIjEEEEZZNS1_33reduce_by_key_impl_wrapped_configILNS1_25lookback_scan_determinismE0ES3_S9_NS6_6detail15normal_iteratorINS6_10device_ptrIjEEEESG_SG_SG_PmS8_22is_equal_div_10_reduceIjEEE10hipError_tPvRmT2_T3_mT4_T5_T6_T7_T8_P12ihipStream_tbENKUlT_T0_E_clISt17integral_constantIbLb0EES10_IbLb1EEEEDaSW_SX_EUlSW_E_NS1_11comp_targetILNS1_3genE10ELNS1_11target_archE1200ELNS1_3gpuE4ELNS1_3repE0EEENS1_30default_config_static_selectorELNS0_4arch9wavefront6targetE0EEEvT1_
; %bb.0:
	.section	.rodata,"a",@progbits
	.p2align	6, 0x0
	.amdhsa_kernel _ZN7rocprim17ROCPRIM_400000_NS6detail17trampoline_kernelINS0_14default_configENS1_29reduce_by_key_config_selectorIjjN6thrust23THRUST_200600_302600_NS4plusIjEEEEZZNS1_33reduce_by_key_impl_wrapped_configILNS1_25lookback_scan_determinismE0ES3_S9_NS6_6detail15normal_iteratorINS6_10device_ptrIjEEEESG_SG_SG_PmS8_22is_equal_div_10_reduceIjEEE10hipError_tPvRmT2_T3_mT4_T5_T6_T7_T8_P12ihipStream_tbENKUlT_T0_E_clISt17integral_constantIbLb0EES10_IbLb1EEEEDaSW_SX_EUlSW_E_NS1_11comp_targetILNS1_3genE10ELNS1_11target_archE1200ELNS1_3gpuE4ELNS1_3repE0EEENS1_30default_config_static_selectorELNS0_4arch9wavefront6targetE0EEEvT1_
		.amdhsa_group_segment_fixed_size 0
		.amdhsa_private_segment_fixed_size 0
		.amdhsa_kernarg_size 120
		.amdhsa_user_sgpr_count 15
		.amdhsa_user_sgpr_dispatch_ptr 0
		.amdhsa_user_sgpr_queue_ptr 0
		.amdhsa_user_sgpr_kernarg_segment_ptr 1
		.amdhsa_user_sgpr_dispatch_id 0
		.amdhsa_user_sgpr_private_segment_size 0
		.amdhsa_wavefront_size32 1
		.amdhsa_uses_dynamic_stack 0
		.amdhsa_enable_private_segment 0
		.amdhsa_system_sgpr_workgroup_id_x 1
		.amdhsa_system_sgpr_workgroup_id_y 0
		.amdhsa_system_sgpr_workgroup_id_z 0
		.amdhsa_system_sgpr_workgroup_info 0
		.amdhsa_system_vgpr_workitem_id 0
		.amdhsa_next_free_vgpr 1
		.amdhsa_next_free_sgpr 1
		.amdhsa_reserve_vcc 0
		.amdhsa_float_round_mode_32 0
		.amdhsa_float_round_mode_16_64 0
		.amdhsa_float_denorm_mode_32 3
		.amdhsa_float_denorm_mode_16_64 3
		.amdhsa_dx10_clamp 1
		.amdhsa_ieee_mode 1
		.amdhsa_fp16_overflow 0
		.amdhsa_workgroup_processor_mode 1
		.amdhsa_memory_ordered 1
		.amdhsa_forward_progress 0
		.amdhsa_shared_vgpr_count 0
		.amdhsa_exception_fp_ieee_invalid_op 0
		.amdhsa_exception_fp_denorm_src 0
		.amdhsa_exception_fp_ieee_div_zero 0
		.amdhsa_exception_fp_ieee_overflow 0
		.amdhsa_exception_fp_ieee_underflow 0
		.amdhsa_exception_fp_ieee_inexact 0
		.amdhsa_exception_int_div_zero 0
	.end_amdhsa_kernel
	.section	.text._ZN7rocprim17ROCPRIM_400000_NS6detail17trampoline_kernelINS0_14default_configENS1_29reduce_by_key_config_selectorIjjN6thrust23THRUST_200600_302600_NS4plusIjEEEEZZNS1_33reduce_by_key_impl_wrapped_configILNS1_25lookback_scan_determinismE0ES3_S9_NS6_6detail15normal_iteratorINS6_10device_ptrIjEEEESG_SG_SG_PmS8_22is_equal_div_10_reduceIjEEE10hipError_tPvRmT2_T3_mT4_T5_T6_T7_T8_P12ihipStream_tbENKUlT_T0_E_clISt17integral_constantIbLb0EES10_IbLb1EEEEDaSW_SX_EUlSW_E_NS1_11comp_targetILNS1_3genE10ELNS1_11target_archE1200ELNS1_3gpuE4ELNS1_3repE0EEENS1_30default_config_static_selectorELNS0_4arch9wavefront6targetE0EEEvT1_,"axG",@progbits,_ZN7rocprim17ROCPRIM_400000_NS6detail17trampoline_kernelINS0_14default_configENS1_29reduce_by_key_config_selectorIjjN6thrust23THRUST_200600_302600_NS4plusIjEEEEZZNS1_33reduce_by_key_impl_wrapped_configILNS1_25lookback_scan_determinismE0ES3_S9_NS6_6detail15normal_iteratorINS6_10device_ptrIjEEEESG_SG_SG_PmS8_22is_equal_div_10_reduceIjEEE10hipError_tPvRmT2_T3_mT4_T5_T6_T7_T8_P12ihipStream_tbENKUlT_T0_E_clISt17integral_constantIbLb0EES10_IbLb1EEEEDaSW_SX_EUlSW_E_NS1_11comp_targetILNS1_3genE10ELNS1_11target_archE1200ELNS1_3gpuE4ELNS1_3repE0EEENS1_30default_config_static_selectorELNS0_4arch9wavefront6targetE0EEEvT1_,comdat
.Lfunc_end387:
	.size	_ZN7rocprim17ROCPRIM_400000_NS6detail17trampoline_kernelINS0_14default_configENS1_29reduce_by_key_config_selectorIjjN6thrust23THRUST_200600_302600_NS4plusIjEEEEZZNS1_33reduce_by_key_impl_wrapped_configILNS1_25lookback_scan_determinismE0ES3_S9_NS6_6detail15normal_iteratorINS6_10device_ptrIjEEEESG_SG_SG_PmS8_22is_equal_div_10_reduceIjEEE10hipError_tPvRmT2_T3_mT4_T5_T6_T7_T8_P12ihipStream_tbENKUlT_T0_E_clISt17integral_constantIbLb0EES10_IbLb1EEEEDaSW_SX_EUlSW_E_NS1_11comp_targetILNS1_3genE10ELNS1_11target_archE1200ELNS1_3gpuE4ELNS1_3repE0EEENS1_30default_config_static_selectorELNS0_4arch9wavefront6targetE0EEEvT1_, .Lfunc_end387-_ZN7rocprim17ROCPRIM_400000_NS6detail17trampoline_kernelINS0_14default_configENS1_29reduce_by_key_config_selectorIjjN6thrust23THRUST_200600_302600_NS4plusIjEEEEZZNS1_33reduce_by_key_impl_wrapped_configILNS1_25lookback_scan_determinismE0ES3_S9_NS6_6detail15normal_iteratorINS6_10device_ptrIjEEEESG_SG_SG_PmS8_22is_equal_div_10_reduceIjEEE10hipError_tPvRmT2_T3_mT4_T5_T6_T7_T8_P12ihipStream_tbENKUlT_T0_E_clISt17integral_constantIbLb0EES10_IbLb1EEEEDaSW_SX_EUlSW_E_NS1_11comp_targetILNS1_3genE10ELNS1_11target_archE1200ELNS1_3gpuE4ELNS1_3repE0EEENS1_30default_config_static_selectorELNS0_4arch9wavefront6targetE0EEEvT1_
                                        ; -- End function
	.section	.AMDGPU.csdata,"",@progbits
; Kernel info:
; codeLenInByte = 0
; NumSgprs: 0
; NumVgprs: 0
; ScratchSize: 0
; MemoryBound: 0
; FloatMode: 240
; IeeeMode: 1
; LDSByteSize: 0 bytes/workgroup (compile time only)
; SGPRBlocks: 0
; VGPRBlocks: 0
; NumSGPRsForWavesPerEU: 1
; NumVGPRsForWavesPerEU: 1
; Occupancy: 16
; WaveLimiterHint : 0
; COMPUTE_PGM_RSRC2:SCRATCH_EN: 0
; COMPUTE_PGM_RSRC2:USER_SGPR: 15
; COMPUTE_PGM_RSRC2:TRAP_HANDLER: 0
; COMPUTE_PGM_RSRC2:TGID_X_EN: 1
; COMPUTE_PGM_RSRC2:TGID_Y_EN: 0
; COMPUTE_PGM_RSRC2:TGID_Z_EN: 0
; COMPUTE_PGM_RSRC2:TIDIG_COMP_CNT: 0
	.section	.text._ZN7rocprim17ROCPRIM_400000_NS6detail17trampoline_kernelINS0_14default_configENS1_29reduce_by_key_config_selectorIjjN6thrust23THRUST_200600_302600_NS4plusIjEEEEZZNS1_33reduce_by_key_impl_wrapped_configILNS1_25lookback_scan_determinismE0ES3_S9_NS6_6detail15normal_iteratorINS6_10device_ptrIjEEEESG_SG_SG_PmS8_22is_equal_div_10_reduceIjEEE10hipError_tPvRmT2_T3_mT4_T5_T6_T7_T8_P12ihipStream_tbENKUlT_T0_E_clISt17integral_constantIbLb0EES10_IbLb1EEEEDaSW_SX_EUlSW_E_NS1_11comp_targetILNS1_3genE9ELNS1_11target_archE1100ELNS1_3gpuE3ELNS1_3repE0EEENS1_30default_config_static_selectorELNS0_4arch9wavefront6targetE0EEEvT1_,"axG",@progbits,_ZN7rocprim17ROCPRIM_400000_NS6detail17trampoline_kernelINS0_14default_configENS1_29reduce_by_key_config_selectorIjjN6thrust23THRUST_200600_302600_NS4plusIjEEEEZZNS1_33reduce_by_key_impl_wrapped_configILNS1_25lookback_scan_determinismE0ES3_S9_NS6_6detail15normal_iteratorINS6_10device_ptrIjEEEESG_SG_SG_PmS8_22is_equal_div_10_reduceIjEEE10hipError_tPvRmT2_T3_mT4_T5_T6_T7_T8_P12ihipStream_tbENKUlT_T0_E_clISt17integral_constantIbLb0EES10_IbLb1EEEEDaSW_SX_EUlSW_E_NS1_11comp_targetILNS1_3genE9ELNS1_11target_archE1100ELNS1_3gpuE3ELNS1_3repE0EEENS1_30default_config_static_selectorELNS0_4arch9wavefront6targetE0EEEvT1_,comdat
	.protected	_ZN7rocprim17ROCPRIM_400000_NS6detail17trampoline_kernelINS0_14default_configENS1_29reduce_by_key_config_selectorIjjN6thrust23THRUST_200600_302600_NS4plusIjEEEEZZNS1_33reduce_by_key_impl_wrapped_configILNS1_25lookback_scan_determinismE0ES3_S9_NS6_6detail15normal_iteratorINS6_10device_ptrIjEEEESG_SG_SG_PmS8_22is_equal_div_10_reduceIjEEE10hipError_tPvRmT2_T3_mT4_T5_T6_T7_T8_P12ihipStream_tbENKUlT_T0_E_clISt17integral_constantIbLb0EES10_IbLb1EEEEDaSW_SX_EUlSW_E_NS1_11comp_targetILNS1_3genE9ELNS1_11target_archE1100ELNS1_3gpuE3ELNS1_3repE0EEENS1_30default_config_static_selectorELNS0_4arch9wavefront6targetE0EEEvT1_ ; -- Begin function _ZN7rocprim17ROCPRIM_400000_NS6detail17trampoline_kernelINS0_14default_configENS1_29reduce_by_key_config_selectorIjjN6thrust23THRUST_200600_302600_NS4plusIjEEEEZZNS1_33reduce_by_key_impl_wrapped_configILNS1_25lookback_scan_determinismE0ES3_S9_NS6_6detail15normal_iteratorINS6_10device_ptrIjEEEESG_SG_SG_PmS8_22is_equal_div_10_reduceIjEEE10hipError_tPvRmT2_T3_mT4_T5_T6_T7_T8_P12ihipStream_tbENKUlT_T0_E_clISt17integral_constantIbLb0EES10_IbLb1EEEEDaSW_SX_EUlSW_E_NS1_11comp_targetILNS1_3genE9ELNS1_11target_archE1100ELNS1_3gpuE3ELNS1_3repE0EEENS1_30default_config_static_selectorELNS0_4arch9wavefront6targetE0EEEvT1_
	.globl	_ZN7rocprim17ROCPRIM_400000_NS6detail17trampoline_kernelINS0_14default_configENS1_29reduce_by_key_config_selectorIjjN6thrust23THRUST_200600_302600_NS4plusIjEEEEZZNS1_33reduce_by_key_impl_wrapped_configILNS1_25lookback_scan_determinismE0ES3_S9_NS6_6detail15normal_iteratorINS6_10device_ptrIjEEEESG_SG_SG_PmS8_22is_equal_div_10_reduceIjEEE10hipError_tPvRmT2_T3_mT4_T5_T6_T7_T8_P12ihipStream_tbENKUlT_T0_E_clISt17integral_constantIbLb0EES10_IbLb1EEEEDaSW_SX_EUlSW_E_NS1_11comp_targetILNS1_3genE9ELNS1_11target_archE1100ELNS1_3gpuE3ELNS1_3repE0EEENS1_30default_config_static_selectorELNS0_4arch9wavefront6targetE0EEEvT1_
	.p2align	8
	.type	_ZN7rocprim17ROCPRIM_400000_NS6detail17trampoline_kernelINS0_14default_configENS1_29reduce_by_key_config_selectorIjjN6thrust23THRUST_200600_302600_NS4plusIjEEEEZZNS1_33reduce_by_key_impl_wrapped_configILNS1_25lookback_scan_determinismE0ES3_S9_NS6_6detail15normal_iteratorINS6_10device_ptrIjEEEESG_SG_SG_PmS8_22is_equal_div_10_reduceIjEEE10hipError_tPvRmT2_T3_mT4_T5_T6_T7_T8_P12ihipStream_tbENKUlT_T0_E_clISt17integral_constantIbLb0EES10_IbLb1EEEEDaSW_SX_EUlSW_E_NS1_11comp_targetILNS1_3genE9ELNS1_11target_archE1100ELNS1_3gpuE3ELNS1_3repE0EEENS1_30default_config_static_selectorELNS0_4arch9wavefront6targetE0EEEvT1_,@function
_ZN7rocprim17ROCPRIM_400000_NS6detail17trampoline_kernelINS0_14default_configENS1_29reduce_by_key_config_selectorIjjN6thrust23THRUST_200600_302600_NS4plusIjEEEEZZNS1_33reduce_by_key_impl_wrapped_configILNS1_25lookback_scan_determinismE0ES3_S9_NS6_6detail15normal_iteratorINS6_10device_ptrIjEEEESG_SG_SG_PmS8_22is_equal_div_10_reduceIjEEE10hipError_tPvRmT2_T3_mT4_T5_T6_T7_T8_P12ihipStream_tbENKUlT_T0_E_clISt17integral_constantIbLb0EES10_IbLb1EEEEDaSW_SX_EUlSW_E_NS1_11comp_targetILNS1_3genE9ELNS1_11target_archE1100ELNS1_3gpuE3ELNS1_3repE0EEENS1_30default_config_static_selectorELNS0_4arch9wavefront6targetE0EEEvT1_: ; @_ZN7rocprim17ROCPRIM_400000_NS6detail17trampoline_kernelINS0_14default_configENS1_29reduce_by_key_config_selectorIjjN6thrust23THRUST_200600_302600_NS4plusIjEEEEZZNS1_33reduce_by_key_impl_wrapped_configILNS1_25lookback_scan_determinismE0ES3_S9_NS6_6detail15normal_iteratorINS6_10device_ptrIjEEEESG_SG_SG_PmS8_22is_equal_div_10_reduceIjEEE10hipError_tPvRmT2_T3_mT4_T5_T6_T7_T8_P12ihipStream_tbENKUlT_T0_E_clISt17integral_constantIbLb0EES10_IbLb1EEEEDaSW_SX_EUlSW_E_NS1_11comp_targetILNS1_3genE9ELNS1_11target_archE1100ELNS1_3gpuE3ELNS1_3repE0EEENS1_30default_config_static_selectorELNS0_4arch9wavefront6targetE0EEEvT1_
; %bb.0:
	s_clause 0x4
	s_load_b256 s[12:19], s[0:1], 0x0
	s_load_b128 s[28:31], s[0:1], 0x20
	s_load_b256 s[20:27], s[0:1], 0x38
	s_load_b64 s[34:35], s[0:1], 0x68
	s_load_b128 s[36:39], s[0:1], 0x58
	v_cmp_ne_u32_e64 s3, 0, v0
	v_cmp_eq_u32_e64 s2, 0, v0
	s_delay_alu instid0(VALU_DEP_1)
	s_and_saveexec_b32 s4, s2
	s_cbranch_execz .LBB388_4
; %bb.1:
	s_mov_b32 s6, exec_lo
	s_mov_b32 s5, exec_lo
	v_mbcnt_lo_u32_b32 v1, s6, 0
                                        ; implicit-def: $vgpr2
	s_delay_alu instid0(VALU_DEP_1)
	v_cmpx_eq_u32_e32 0, v1
	s_cbranch_execz .LBB388_3
; %bb.2:
	s_load_b64 s[0:1], s[0:1], 0x70
	s_bcnt1_i32_b32 s6, s6
	s_delay_alu instid0(SALU_CYCLE_1)
	v_dual_mov_b32 v2, 0 :: v_dual_mov_b32 v3, s6
	s_waitcnt lgkmcnt(0)
	global_atomic_add_u32 v2, v2, v3, s[0:1] glc
.LBB388_3:
	s_or_b32 exec_lo, exec_lo, s5
	s_waitcnt vmcnt(0)
	v_readfirstlane_b32 s0, v2
	s_delay_alu instid0(VALU_DEP_1)
	v_dual_mov_b32 v2, 0 :: v_dual_add_nc_u32 v1, s0, v1
	ds_store_b32 v2, v1
.LBB388_4:
	s_or_b32 exec_lo, exec_lo, s4
	v_mov_b32_e32 v2, 0
	s_waitcnt lgkmcnt(0)
	s_barrier
	buffer_gl0_inv
	s_lshl_b64 s[4:5], s[14:15], 2
	ds_load_b32 v1, v2
	s_add_u32 s9, s12, s4
	s_mul_i32 s1, s24, s23
	s_mul_hi_u32 s6, s24, s22
	s_addc_u32 s10, s13, s5
	s_add_u32 s11, s16, s4
	s_mul_i32 s7, s25, s22
	s_addc_u32 s12, s17, s5
	s_add_i32 s1, s6, s1
	s_mul_i32 s8, s24, s22
	s_add_i32 s1, s1, s7
	s_mov_b32 s0, 0
	s_waitcnt lgkmcnt(0)
	s_barrier
	buffer_gl0_inv
	v_readfirstlane_b32 s33, v1
	v_mul_lo_u32 v1, 0xf00, v1
	s_delay_alu instid0(VALU_DEP_2) | instskip(SKIP_3) | instid1(VALU_DEP_1)
	s_add_u32 s24, s8, s33
	s_addc_u32 s25, s1, 0
	s_add_u32 s4, s26, -1
	s_addc_u32 s5, s27, -1
	v_lshlrev_b64 v[2:3], 2, v[1:2]
	s_cmp_eq_u64 s[24:25], s[4:5]
	s_mul_i32 s26, s4, 0xfffff100
	s_cselect_b32 s17, -1, 0
	s_cmp_lg_u64 s[24:25], s[4:5]
	s_delay_alu instid0(VALU_DEP_1)
	v_add_co_u32 v1, vcc_lo, s9, v2
	v_add_co_ci_u32_e32 v4, vcc_lo, s10, v3, vcc_lo
	v_add_co_u32 v2, vcc_lo, s11, v2
	v_add_co_ci_u32_e32 v3, vcc_lo, s12, v3, vcc_lo
	s_cselect_b32 s40, -1, 0
	s_and_b32 vcc_lo, exec_lo, s17
	s_cbranch_vccnz .LBB388_6
; %bb.5:
	v_lshlrev_b32_e32 v29, 2, v0
	s_delay_alu instid0(VALU_DEP_1) | instskip(SKIP_1) | instid1(VALU_DEP_2)
	v_add_co_u32 v5, vcc_lo, v1, v29
	v_add_co_ci_u32_e32 v6, vcc_lo, 0, v4, vcc_lo
	v_add_co_u32 v7, vcc_lo, 0x1000, v5
	s_delay_alu instid0(VALU_DEP_2)
	v_add_co_ci_u32_e32 v8, vcc_lo, 0, v6, vcc_lo
	s_clause 0x7
	flat_load_b32 v9, v[5:6]
	flat_load_b32 v10, v[5:6] offset:1024
	flat_load_b32 v11, v[5:6] offset:2048
	;; [unrolled: 1-line block ×3, first 2 shown]
	flat_load_b32 v13, v[7:8]
	flat_load_b32 v14, v[7:8] offset:1024
	flat_load_b32 v15, v[7:8] offset:2048
	;; [unrolled: 1-line block ×3, first 2 shown]
	v_add_co_u32 v7, vcc_lo, 0x2000, v5
	v_add_co_ci_u32_e32 v8, vcc_lo, 0, v6, vcc_lo
	v_add_co_u32 v5, vcc_lo, 0x3000, v5
	v_add_co_ci_u32_e32 v6, vcc_lo, 0, v6, vcc_lo
	s_clause 0x6
	flat_load_b32 v17, v[7:8]
	flat_load_b32 v18, v[7:8] offset:1024
	flat_load_b32 v19, v[7:8] offset:2048
	;; [unrolled: 1-line block ×3, first 2 shown]
	flat_load_b32 v20, v[5:6]
	flat_load_b32 v21, v[5:6] offset:1024
	flat_load_b32 v22, v[5:6] offset:2048
	v_add_co_u32 v6, vcc_lo, v2, v29
	v_add_co_ci_u32_e32 v7, vcc_lo, 0, v3, vcc_lo
	v_mad_u32_u24 v5, v0, 56, v29
	s_delay_alu instid0(VALU_DEP_3) | instskip(NEXT) | instid1(VALU_DEP_3)
	v_add_co_u32 v23, vcc_lo, 0x1000, v6
	v_add_co_ci_u32_e32 v24, vcc_lo, 0, v7, vcc_lo
	v_add_co_u32 v25, vcc_lo, 0x2000, v6
	v_add_co_ci_u32_e32 v26, vcc_lo, 0, v7, vcc_lo
	v_add_co_u32 v27, vcc_lo, 0x3000, v6
	v_add_co_ci_u32_e32 v28, vcc_lo, 0, v7, vcc_lo
	s_waitcnt vmcnt(13) lgkmcnt(13)
	ds_store_2addr_stride64_b32 v29, v9, v10 offset1:4
	s_waitcnt vmcnt(11) lgkmcnt(12)
	ds_store_2addr_stride64_b32 v29, v11, v12 offset0:8 offset1:12
	s_waitcnt vmcnt(9) lgkmcnt(11)
	ds_store_2addr_stride64_b32 v29, v13, v14 offset0:16 offset1:20
	;; [unrolled: 2-line block ×6, first 2 shown]
	s_waitcnt vmcnt(0) lgkmcnt(7)
	ds_store_b32 v29, v22 offset:14336
	s_waitcnt lgkmcnt(0)
	s_barrier
	buffer_gl0_inv
	ds_load_2addr_b32 v[21:22], v5 offset1:1
	ds_load_2addr_b32 v[19:20], v5 offset0:2 offset1:3
	ds_load_2addr_b32 v[17:18], v5 offset0:4 offset1:5
	;; [unrolled: 1-line block ×6, first 2 shown]
	ds_load_b32 v77, v5 offset:56
	s_waitcnt lgkmcnt(0)
	s_barrier
	buffer_gl0_inv
	s_clause 0xe
	flat_load_b32 v8, v[6:7]
	flat_load_b32 v30, v[6:7] offset:1024
	flat_load_b32 v31, v[6:7] offset:2048
	flat_load_b32 v6, v[6:7] offset:3072
	flat_load_b32 v7, v[23:24]
	flat_load_b32 v32, v[23:24] offset:1024
	flat_load_b32 v33, v[23:24] offset:2048
	flat_load_b32 v23, v[23:24] offset:3072
	flat_load_b32 v24, v[25:26]
	flat_load_b32 v34, v[25:26] offset:1024
	flat_load_b32 v35, v[25:26] offset:2048
	flat_load_b32 v25, v[25:26] offset:3072
	flat_load_b32 v26, v[27:28]
	flat_load_b32 v36, v[27:28] offset:1024
	flat_load_b32 v27, v[27:28] offset:2048
	s_waitcnt vmcnt(13) lgkmcnt(13)
	ds_store_2addr_stride64_b32 v29, v8, v30 offset1:4
	s_waitcnt vmcnt(11) lgkmcnt(12)
	ds_store_2addr_stride64_b32 v29, v31, v6 offset0:8 offset1:12
	s_waitcnt vmcnt(9) lgkmcnt(11)
	ds_store_2addr_stride64_b32 v29, v7, v32 offset0:16 offset1:20
	;; [unrolled: 2-line block ×6, first 2 shown]
	s_waitcnt vmcnt(0) lgkmcnt(7)
	ds_store_b32 v29, v27 offset:14336
	s_waitcnt lgkmcnt(0)
	s_barrier
	s_and_not1_b32 vcc_lo, exec_lo, s0
	s_add_i32 s26, s26, s36
	s_cbranch_vccz .LBB388_7
	s_branch .LBB388_54
.LBB388_6:
                                        ; implicit-def: $vgpr5
                                        ; implicit-def: $vgpr21
                                        ; implicit-def: $vgpr19
                                        ; implicit-def: $vgpr17
                                        ; implicit-def: $vgpr15
                                        ; implicit-def: $vgpr13
                                        ; implicit-def: $vgpr11
                                        ; implicit-def: $vgpr9
                                        ; implicit-def: $vgpr77
	s_add_i32 s26, s26, s36
.LBB388_7:
	s_delay_alu instid0(SALU_CYCLE_1)
	v_cmp_gt_u32_e32 vcc_lo, s26, v0
                                        ; implicit-def: $vgpr5
	s_and_saveexec_b32 s1, vcc_lo
	s_cbranch_execz .LBB388_9
; %bb.8:
	v_lshlrev_b32_e32 v5, 2, v0
	s_delay_alu instid0(VALU_DEP_1) | instskip(NEXT) | instid1(VALU_DEP_1)
	v_add_co_u32 v5, s0, v1, v5
	v_add_co_ci_u32_e64 v6, s0, 0, v4, s0
	flat_load_b32 v5, v[5:6]
.LBB388_9:
	s_or_b32 exec_lo, exec_lo, s1
	v_or_b32_e32 v6, 0x100, v0
                                        ; implicit-def: $vgpr9
	s_delay_alu instid0(VALU_DEP_1) | instskip(NEXT) | instid1(VALU_DEP_1)
	v_cmp_gt_u32_e64 s0, s26, v6
	s_and_saveexec_b32 s4, s0
	s_cbranch_execz .LBB388_11
; %bb.10:
	v_lshlrev_b32_e32 v6, 2, v0
	s_delay_alu instid0(VALU_DEP_1) | instskip(NEXT) | instid1(VALU_DEP_1)
	v_add_co_u32 v6, s1, v1, v6
	v_add_co_ci_u32_e64 v7, s1, 0, v4, s1
	flat_load_b32 v9, v[6:7] offset:1024
.LBB388_11:
	s_or_b32 exec_lo, exec_lo, s4
	v_or_b32_e32 v6, 0x200, v0
                                        ; implicit-def: $vgpr10
	s_delay_alu instid0(VALU_DEP_1) | instskip(NEXT) | instid1(VALU_DEP_1)
	v_cmp_gt_u32_e64 s1, s26, v6
	s_and_saveexec_b32 s5, s1
	s_cbranch_execz .LBB388_13
; %bb.12:
	v_lshlrev_b32_e32 v6, 2, v0
	s_delay_alu instid0(VALU_DEP_1) | instskip(NEXT) | instid1(VALU_DEP_1)
	v_add_co_u32 v6, s4, v1, v6
	v_add_co_ci_u32_e64 v7, s4, 0, v4, s4
	flat_load_b32 v10, v[6:7] offset:2048
.LBB388_13:
	s_or_b32 exec_lo, exec_lo, s5
	v_or_b32_e32 v6, 0x300, v0
                                        ; implicit-def: $vgpr11
	s_delay_alu instid0(VALU_DEP_1) | instskip(NEXT) | instid1(VALU_DEP_1)
	v_cmp_gt_u32_e64 s4, s26, v6
	s_and_saveexec_b32 s6, s4
	s_cbranch_execz .LBB388_15
; %bb.14:
	v_lshlrev_b32_e32 v6, 2, v0
	s_delay_alu instid0(VALU_DEP_1) | instskip(NEXT) | instid1(VALU_DEP_1)
	v_add_co_u32 v6, s5, v1, v6
	v_add_co_ci_u32_e64 v7, s5, 0, v4, s5
	flat_load_b32 v11, v[6:7] offset:3072
.LBB388_15:
	s_or_b32 exec_lo, exec_lo, s6
	v_or_b32_e32 v6, 0x400, v0
                                        ; implicit-def: $vgpr12
	s_delay_alu instid0(VALU_DEP_1) | instskip(SKIP_1) | instid1(VALU_DEP_2)
	v_cmp_gt_u32_e64 s5, s26, v6
	v_lshlrev_b32_e32 v6, 2, v6
	s_and_saveexec_b32 s7, s5
	s_cbranch_execz .LBB388_17
; %bb.16:
	s_delay_alu instid0(VALU_DEP_1) | instskip(NEXT) | instid1(VALU_DEP_1)
	v_add_co_u32 v7, s6, v1, v6
	v_add_co_ci_u32_e64 v8, s6, 0, v4, s6
	flat_load_b32 v12, v[7:8]
.LBB388_17:
	s_or_b32 exec_lo, exec_lo, s7
	v_or_b32_e32 v7, 0x500, v0
                                        ; implicit-def: $vgpr13
	s_delay_alu instid0(VALU_DEP_1) | instskip(SKIP_1) | instid1(VALU_DEP_2)
	v_cmp_gt_u32_e64 s6, s26, v7
	v_lshlrev_b32_e32 v7, 2, v7
	s_and_saveexec_b32 s8, s6
	s_cbranch_execz .LBB388_19
; %bb.18:
	s_delay_alu instid0(VALU_DEP_1) | instskip(NEXT) | instid1(VALU_DEP_1)
	v_add_co_u32 v13, s7, v1, v7
	v_add_co_ci_u32_e64 v14, s7, 0, v4, s7
	flat_load_b32 v13, v[13:14]
.LBB388_19:
	s_or_b32 exec_lo, exec_lo, s8
	v_or_b32_e32 v8, 0x600, v0
                                        ; implicit-def: $vgpr14
	s_delay_alu instid0(VALU_DEP_1) | instskip(SKIP_1) | instid1(VALU_DEP_2)
	v_cmp_gt_u32_e64 s7, s26, v8
	v_lshlrev_b32_e32 v8, 2, v8
	s_and_saveexec_b32 s9, s7
	s_cbranch_execz .LBB388_21
; %bb.20:
	s_delay_alu instid0(VALU_DEP_1) | instskip(NEXT) | instid1(VALU_DEP_1)
	v_add_co_u32 v14, s8, v1, v8
	v_add_co_ci_u32_e64 v15, s8, 0, v4, s8
	flat_load_b32 v14, v[14:15]
.LBB388_21:
	s_or_b32 exec_lo, exec_lo, s9
	v_or_b32_e32 v15, 0x700, v0
	s_delay_alu instid0(VALU_DEP_1) | instskip(SKIP_1) | instid1(VALU_DEP_2)
	v_cmp_gt_u32_e64 s8, s26, v15
	v_lshlrev_b32_e32 v23, 2, v15
                                        ; implicit-def: $vgpr15
	s_and_saveexec_b32 s10, s8
	s_cbranch_execz .LBB388_23
; %bb.22:
	s_delay_alu instid0(VALU_DEP_1) | instskip(NEXT) | instid1(VALU_DEP_1)
	v_add_co_u32 v15, s9, v1, v23
	v_add_co_ci_u32_e64 v16, s9, 0, v4, s9
	flat_load_b32 v15, v[15:16]
.LBB388_23:
	s_or_b32 exec_lo, exec_lo, s10
	v_or_b32_e32 v16, 0x800, v0
	s_delay_alu instid0(VALU_DEP_1) | instskip(SKIP_1) | instid1(VALU_DEP_2)
	v_cmp_gt_u32_e64 s9, s26, v16
	v_lshlrev_b32_e32 v24, 2, v16
                                        ; implicit-def: $vgpr16
	s_and_saveexec_b32 s11, s9
	s_cbranch_execz .LBB388_25
; %bb.24:
	s_delay_alu instid0(VALU_DEP_1) | instskip(NEXT) | instid1(VALU_DEP_1)
	v_add_co_u32 v16, s10, v1, v24
	v_add_co_ci_u32_e64 v17, s10, 0, v4, s10
	flat_load_b32 v16, v[16:17]
.LBB388_25:
	s_or_b32 exec_lo, exec_lo, s11
	v_or_b32_e32 v17, 0x900, v0
	s_delay_alu instid0(VALU_DEP_1) | instskip(SKIP_1) | instid1(VALU_DEP_2)
	v_cmp_gt_u32_e64 s10, s26, v17
	v_lshlrev_b32_e32 v25, 2, v17
                                        ; implicit-def: $vgpr17
	s_and_saveexec_b32 s12, s10
	s_cbranch_execz .LBB388_27
; %bb.26:
	s_delay_alu instid0(VALU_DEP_1) | instskip(NEXT) | instid1(VALU_DEP_1)
	v_add_co_u32 v17, s11, v1, v25
	v_add_co_ci_u32_e64 v18, s11, 0, v4, s11
	flat_load_b32 v17, v[17:18]
.LBB388_27:
	s_or_b32 exec_lo, exec_lo, s12
	v_or_b32_e32 v18, 0xa00, v0
	s_delay_alu instid0(VALU_DEP_1) | instskip(SKIP_1) | instid1(VALU_DEP_2)
	v_cmp_gt_u32_e64 s11, s26, v18
	v_lshlrev_b32_e32 v27, 2, v18
                                        ; implicit-def: $vgpr18
	s_and_saveexec_b32 s13, s11
	s_cbranch_execz .LBB388_29
; %bb.28:
	s_delay_alu instid0(VALU_DEP_1) | instskip(NEXT) | instid1(VALU_DEP_1)
	v_add_co_u32 v18, s12, v1, v27
	v_add_co_ci_u32_e64 v19, s12, 0, v4, s12
	flat_load_b32 v18, v[18:19]
.LBB388_29:
	s_or_b32 exec_lo, exec_lo, s13
	v_or_b32_e32 v19, 0xb00, v0
	s_delay_alu instid0(VALU_DEP_1) | instskip(SKIP_1) | instid1(VALU_DEP_2)
	v_cmp_gt_u32_e64 s12, s26, v19
	v_lshlrev_b32_e32 v28, 2, v19
                                        ; implicit-def: $vgpr19
	s_and_saveexec_b32 s14, s12
	s_cbranch_execz .LBB388_31
; %bb.30:
	s_delay_alu instid0(VALU_DEP_1) | instskip(NEXT) | instid1(VALU_DEP_1)
	v_add_co_u32 v19, s13, v1, v28
	v_add_co_ci_u32_e64 v20, s13, 0, v4, s13
	flat_load_b32 v19, v[19:20]
.LBB388_31:
	s_or_b32 exec_lo, exec_lo, s14
	v_or_b32_e32 v20, 0xc00, v0
	s_delay_alu instid0(VALU_DEP_1) | instskip(SKIP_1) | instid1(VALU_DEP_2)
	v_cmp_gt_u32_e64 s13, s26, v20
	v_lshlrev_b32_e32 v29, 2, v20
                                        ; implicit-def: $vgpr20
	s_and_saveexec_b32 s15, s13
	s_cbranch_execz .LBB388_33
; %bb.32:
	s_delay_alu instid0(VALU_DEP_1) | instskip(NEXT) | instid1(VALU_DEP_1)
	v_add_co_u32 v20, s14, v1, v29
	v_add_co_ci_u32_e64 v21, s14, 0, v4, s14
	flat_load_b32 v20, v[20:21]
.LBB388_33:
	s_or_b32 exec_lo, exec_lo, s15
	v_or_b32_e32 v21, 0xd00, v0
	s_delay_alu instid0(VALU_DEP_1) | instskip(SKIP_1) | instid1(VALU_DEP_2)
	v_cmp_gt_u32_e64 s14, s26, v21
	v_lshlrev_b32_e32 v30, 2, v21
                                        ; implicit-def: $vgpr21
	s_and_saveexec_b32 s16, s14
	s_cbranch_execz .LBB388_35
; %bb.34:
	s_delay_alu instid0(VALU_DEP_1) | instskip(NEXT) | instid1(VALU_DEP_1)
	v_add_co_u32 v21, s15, v1, v30
	v_add_co_ci_u32_e64 v22, s15, 0, v4, s15
	flat_load_b32 v21, v[21:22]
.LBB388_35:
	s_or_b32 exec_lo, exec_lo, s16
	v_or_b32_e32 v22, 0xe00, v0
	s_delay_alu instid0(VALU_DEP_1) | instskip(SKIP_1) | instid1(VALU_DEP_2)
	v_cmp_gt_u32_e64 s15, s26, v22
	v_lshlrev_b32_e32 v31, 2, v22
                                        ; implicit-def: $vgpr22
	s_and_saveexec_b32 s27, s15
	s_cbranch_execz .LBB388_37
; %bb.36:
	s_delay_alu instid0(VALU_DEP_1) | instskip(NEXT) | instid1(VALU_DEP_1)
	v_add_co_u32 v32, s16, v1, v31
	v_add_co_ci_u32_e64 v33, s16, 0, v4, s16
	flat_load_b32 v22, v[32:33]
.LBB388_37:
	s_or_b32 exec_lo, exec_lo, s27
	v_lshlrev_b32_e32 v26, 2, v0
                                        ; implicit-def: $vgpr32
	s_waitcnt vmcnt(0) lgkmcnt(0)
	ds_store_2addr_stride64_b32 v26, v5, v9 offset1:4
	ds_store_2addr_stride64_b32 v26, v10, v11 offset0:8 offset1:12
	ds_store_2addr_stride64_b32 v26, v12, v13 offset0:16 offset1:20
	;; [unrolled: 1-line block ×6, first 2 shown]
	v_mad_u32_u24 v5, v0, 56, v26
	ds_store_b32 v26, v22 offset:14336
	s_waitcnt lgkmcnt(0)
	s_barrier
	buffer_gl0_inv
	ds_load_2addr_b32 v[21:22], v5 offset1:1
	ds_load_2addr_b32 v[19:20], v5 offset0:2 offset1:3
	ds_load_2addr_b32 v[17:18], v5 offset0:4 offset1:5
	;; [unrolled: 1-line block ×6, first 2 shown]
	ds_load_b32 v77, v5 offset:56
	s_waitcnt lgkmcnt(0)
	s_barrier
	buffer_gl0_inv
	s_and_saveexec_b32 s16, vcc_lo
	s_cbranch_execnz .LBB388_61
; %bb.38:
	s_or_b32 exec_lo, exec_lo, s16
                                        ; implicit-def: $vgpr33
	s_and_saveexec_b32 s16, s0
	s_cbranch_execnz .LBB388_62
.LBB388_39:
	s_or_b32 exec_lo, exec_lo, s16
                                        ; implicit-def: $vgpr34
	s_and_saveexec_b32 s0, s1
	s_cbranch_execnz .LBB388_63
.LBB388_40:
	s_or_b32 exec_lo, exec_lo, s0
                                        ; implicit-def: $vgpr35
	s_and_saveexec_b32 s0, s4
	s_cbranch_execnz .LBB388_64
.LBB388_41:
	s_or_b32 exec_lo, exec_lo, s0
                                        ; implicit-def: $vgpr36
	s_and_saveexec_b32 s0, s5
	s_cbranch_execnz .LBB388_65
.LBB388_42:
	s_or_b32 exec_lo, exec_lo, s0
                                        ; implicit-def: $vgpr6
	s_and_saveexec_b32 s0, s6
	s_cbranch_execnz .LBB388_66
.LBB388_43:
	s_or_b32 exec_lo, exec_lo, s0
                                        ; implicit-def: $vgpr7
	s_and_saveexec_b32 s0, s7
	s_cbranch_execnz .LBB388_67
.LBB388_44:
	s_or_b32 exec_lo, exec_lo, s0
                                        ; implicit-def: $vgpr8
	s_and_saveexec_b32 s0, s8
	s_cbranch_execnz .LBB388_68
.LBB388_45:
	s_or_b32 exec_lo, exec_lo, s0
                                        ; implicit-def: $vgpr23
	s_and_saveexec_b32 s0, s9
	s_cbranch_execnz .LBB388_69
.LBB388_46:
	s_or_b32 exec_lo, exec_lo, s0
                                        ; implicit-def: $vgpr24
	s_and_saveexec_b32 s0, s10
	s_cbranch_execnz .LBB388_70
.LBB388_47:
	s_or_b32 exec_lo, exec_lo, s0
                                        ; implicit-def: $vgpr25
	s_and_saveexec_b32 s0, s11
	s_cbranch_execnz .LBB388_71
.LBB388_48:
	s_or_b32 exec_lo, exec_lo, s0
                                        ; implicit-def: $vgpr27
	s_and_saveexec_b32 s0, s12
	s_cbranch_execnz .LBB388_72
.LBB388_49:
	s_or_b32 exec_lo, exec_lo, s0
                                        ; implicit-def: $vgpr28
	s_and_saveexec_b32 s0, s13
	s_cbranch_execnz .LBB388_73
.LBB388_50:
	s_or_b32 exec_lo, exec_lo, s0
                                        ; implicit-def: $vgpr29
	s_and_saveexec_b32 s0, s14
	s_cbranch_execnz .LBB388_74
.LBB388_51:
	s_or_b32 exec_lo, exec_lo, s0
                                        ; implicit-def: $vgpr30
	s_and_saveexec_b32 s0, s15
	s_cbranch_execz .LBB388_53
.LBB388_52:
	v_add_co_u32 v2, vcc_lo, v2, v31
	v_add_co_ci_u32_e32 v3, vcc_lo, 0, v3, vcc_lo
	flat_load_b32 v30, v[2:3]
.LBB388_53:
	s_or_b32 exec_lo, exec_lo, s0
	s_waitcnt vmcnt(0) lgkmcnt(0)
	ds_store_2addr_stride64_b32 v26, v32, v33 offset1:4
	ds_store_2addr_stride64_b32 v26, v34, v35 offset0:8 offset1:12
	ds_store_2addr_stride64_b32 v26, v36, v6 offset0:16 offset1:20
	;; [unrolled: 1-line block ×6, first 2 shown]
	ds_store_b32 v26, v30 offset:14336
	s_waitcnt lgkmcnt(0)
	s_barrier
.LBB388_54:
	buffer_gl0_inv
	ds_load_2addr_b32 v[49:50], v5 offset1:1
	ds_load_2addr_b32 v[47:48], v5 offset0:2 offset1:3
	ds_load_2addr_b32 v[45:46], v5 offset0:4 offset1:5
	;; [unrolled: 1-line block ×6, first 2 shown]
	ds_load_b32 v80, v5 offset:56
	s_cmp_eq_u64 s[24:25], 0
	s_waitcnt lgkmcnt(0)
	s_cselect_b32 s27, -1, 0
	s_cmp_lg_u64 s[24:25], 0
	s_barrier
	s_cselect_b32 s16, -1, 0
	s_and_b32 vcc_lo, exec_lo, s40
	buffer_gl0_inv
	s_cbranch_vccz .LBB388_60
; %bb.55:
	s_and_b32 vcc_lo, exec_lo, s16
	s_cbranch_vccz .LBB388_75
; %bb.56:
	v_add_co_u32 v2, vcc_lo, -4, v1
	v_add_co_ci_u32_e32 v3, vcc_lo, -1, v4, vcc_lo
	v_mul_hi_i32 v5, 0x66666667, v77
	v_mul_hi_i32 v6, 0x66666667, v9
	;; [unrolled: 1-line block ×3, first 2 shown]
	flat_load_b32 v2, v[2:3]
	v_mul_hi_i32 v3, 0x66666667, v10
	v_mul_hi_i32 v26, 0x66666667, v11
	v_mul_hi_i32 v27, 0x66666667, v13
	s_mov_b32 s15, -1
	v_lshrrev_b32_e32 v23, 31, v5
	v_ashrrev_i32_e32 v5, 2, v5
	v_lshrrev_b32_e32 v24, 31, v6
	v_ashrrev_i32_e32 v6, 2, v6
	;; [unrolled: 2-line block ×3, first 2 shown]
	v_add_nc_u32_e32 v5, v5, v23
	v_lshrrev_b32_e32 v23, 31, v25
	v_add_nc_u32_e32 v6, v6, v24
	v_ashrrev_i32_e32 v24, 2, v25
	v_add_nc_u32_e32 v7, v8, v7
	v_mul_hi_i32 v8, 0x66666667, v14
	v_lshrrev_b32_e32 v25, 31, v26
	v_ashrrev_i32_e32 v26, 2, v26
	v_lshlrev_b32_e32 v3, 2, v0
	v_cmp_ne_u32_e32 vcc_lo, v7, v5
	v_add_nc_u32_e32 v5, v24, v23
	v_cmp_ne_u32_e64 s0, v6, v7
	v_add_nc_u32_e32 v7, v26, v25
	v_lshrrev_b32_e32 v28, 31, v8
	v_ashrrev_i32_e32 v8, 2, v8
	v_mul_hi_i32 v24, 0x66666667, v16
	v_mul_hi_i32 v26, 0x66666667, v15
	v_cmp_ne_u32_e64 s1, v5, v6
	v_mul_hi_i32 v6, 0x66666667, v18
	v_add_nc_u32_e32 v8, v8, v28
	v_lshrrev_b32_e32 v23, 31, v27
	v_ashrrev_i32_e32 v25, 2, v27
	v_cmp_ne_u32_e64 s4, v7, v5
	ds_store_b32 v3, v77
	v_cmp_ne_u32_e64 s5, v8, v7
	v_lshrrev_b32_e32 v7, 31, v24
	v_add_nc_u32_e32 v5, v25, v23
	v_ashrrev_i32_e32 v23, 2, v24
	v_lshrrev_b32_e32 v24, 31, v26
	v_ashrrev_i32_e32 v25, 2, v26
	v_lshrrev_b32_e32 v26, 31, v6
	v_ashrrev_i32_e32 v6, 2, v6
	v_add_nc_u32_e32 v7, v23, v7
	v_cmp_ne_u32_e64 s6, v5, v8
	v_add_nc_u32_e32 v8, v25, v24
	v_mul_hi_i32 v23, 0x66666667, v17
	v_add_nc_u32_e32 v6, v6, v26
	v_cmp_ne_u32_e64 s7, v7, v5
	v_mul_hi_i32 v5, 0x66666667, v20
	v_cmp_ne_u32_e64 s8, v8, v7
	v_mul_hi_i32 v7, 0x66666667, v19
	v_cmp_ne_u32_e64 s9, v6, v8
	v_mul_hi_i32 v8, 0x66666667, v22
	v_mul_hi_i32 v25, 0x66666667, v21
	v_lshrrev_b32_e32 v24, 31, v23
	v_ashrrev_i32_e32 v23, 2, v23
	v_lshrrev_b32_e32 v26, 31, v5
	v_ashrrev_i32_e32 v5, 2, v5
	;; [unrolled: 2-line block ×5, first 2 shown]
	v_add_nc_u32_e32 v23, v23, v24
	v_add_nc_u32_e32 v24, v5, v26
	v_add_nc_u32_e32 v7, v7, v27
	v_add_nc_u32_e32 v8, v8, v28
	v_add_nc_u32_e32 v5, v25, v29
	v_cmp_ne_u32_e64 s14, v23, v6
	v_cmp_ne_u32_e64 s10, v24, v23
	;; [unrolled: 1-line block ×5, first 2 shown]
	s_waitcnt vmcnt(0) lgkmcnt(0)
	s_barrier
	buffer_gl0_inv
	s_and_saveexec_b32 s40, s3
	s_cbranch_execz .LBB388_58
; %bb.57:
	v_add_nc_u32_e32 v2, -4, v3
	ds_load_b32 v2, v2
.LBB388_58:
	s_or_b32 exec_lo, exec_lo, s40
	s_waitcnt lgkmcnt(0)
	v_mul_hi_i32 v3, 0x66666667, v2
	v_cndmask_b32_e64 v78, 0, 1, vcc_lo
	v_cndmask_b32_e64 v2, 0, 1, s0
	v_cndmask_b32_e64 v79, 0, 1, s1
	v_cndmask_b32_e64 v24, 0, 1, s4
	v_cndmask_b32_e64 v23, 0, 1, s5
	v_cndmask_b32_e64 v26, 0, 1, s6
	v_cndmask_b32_e64 v25, 0, 1, s7
	v_lshrrev_b32_e32 v6, 31, v3
	v_ashrrev_i32_e32 v3, 2, v3
	v_cndmask_b32_e64 v30, 0, 1, s8
	v_cndmask_b32_e64 v29, 0, 1, s9
	v_cndmask_b32_e64 v32, 0, 1, s14
	v_cndmask_b32_e64 v31, 0, 1, s10
	v_add_nc_u32_e32 v3, v3, v6
	v_cndmask_b32_e64 v34, 0, 1, s11
	v_cndmask_b32_e64 v33, 0, 1, s12
	;; [unrolled: 1-line block ×3, first 2 shown]
	s_delay_alu instid0(VALU_DEP_4)
	v_cmp_ne_u32_e64 s4, v3, v5
.LBB388_59:
                                        ; implicit-def: $sgpr0
	s_branch .LBB388_79
.LBB388_60:
	s_mov_b32 s15, 0
                                        ; implicit-def: $sgpr4
                                        ; implicit-def: $vgpr78
                                        ; implicit-def: $vgpr2
                                        ; implicit-def: $vgpr79
                                        ; implicit-def: $vgpr24
                                        ; implicit-def: $vgpr23
                                        ; implicit-def: $vgpr26
                                        ; implicit-def: $vgpr25
                                        ; implicit-def: $vgpr30
                                        ; implicit-def: $vgpr29
                                        ; implicit-def: $vgpr32
                                        ; implicit-def: $vgpr31
                                        ; implicit-def: $vgpr34
                                        ; implicit-def: $vgpr33
                                        ; implicit-def: $vgpr36
                                        ; implicit-def: $vgpr28
                                        ; implicit-def: $sgpr0
	s_cbranch_execnz .LBB388_80
	s_branch .LBB388_115
.LBB388_61:
	v_add_co_u32 v32, vcc_lo, v2, v26
	v_add_co_ci_u32_e32 v33, vcc_lo, 0, v3, vcc_lo
	flat_load_b32 v32, v[32:33]
	s_or_b32 exec_lo, exec_lo, s16
                                        ; implicit-def: $vgpr33
	s_and_saveexec_b32 s16, s0
	s_cbranch_execz .LBB388_39
.LBB388_62:
	v_add_co_u32 v33, vcc_lo, v2, v26
	v_add_co_ci_u32_e32 v34, vcc_lo, 0, v3, vcc_lo
	flat_load_b32 v33, v[33:34] offset:1024
	s_or_b32 exec_lo, exec_lo, s16
                                        ; implicit-def: $vgpr34
	s_and_saveexec_b32 s0, s1
	s_cbranch_execz .LBB388_40
.LBB388_63:
	v_add_co_u32 v34, vcc_lo, v2, v26
	v_add_co_ci_u32_e32 v35, vcc_lo, 0, v3, vcc_lo
	flat_load_b32 v34, v[34:35] offset:2048
	s_or_b32 exec_lo, exec_lo, s0
                                        ; implicit-def: $vgpr35
	s_and_saveexec_b32 s0, s4
	s_cbranch_execz .LBB388_41
.LBB388_64:
	v_add_co_u32 v35, vcc_lo, v2, v26
	v_add_co_ci_u32_e32 v36, vcc_lo, 0, v3, vcc_lo
	flat_load_b32 v35, v[35:36] offset:3072
	s_or_b32 exec_lo, exec_lo, s0
                                        ; implicit-def: $vgpr36
	s_and_saveexec_b32 s0, s5
	s_cbranch_execz .LBB388_42
.LBB388_65:
	v_add_co_u32 v36, vcc_lo, v2, v6
	v_add_co_ci_u32_e32 v37, vcc_lo, 0, v3, vcc_lo
	flat_load_b32 v36, v[36:37]
	s_or_b32 exec_lo, exec_lo, s0
                                        ; implicit-def: $vgpr6
	s_and_saveexec_b32 s0, s6
	s_cbranch_execz .LBB388_43
.LBB388_66:
	v_add_co_u32 v6, vcc_lo, v2, v7
	v_add_co_ci_u32_e32 v7, vcc_lo, 0, v3, vcc_lo
	flat_load_b32 v6, v[6:7]
	s_or_b32 exec_lo, exec_lo, s0
                                        ; implicit-def: $vgpr7
	s_and_saveexec_b32 s0, s7
	s_cbranch_execz .LBB388_44
.LBB388_67:
	v_add_co_u32 v7, vcc_lo, v2, v8
	v_add_co_ci_u32_e32 v8, vcc_lo, 0, v3, vcc_lo
	flat_load_b32 v7, v[7:8]
	s_or_b32 exec_lo, exec_lo, s0
                                        ; implicit-def: $vgpr8
	s_and_saveexec_b32 s0, s8
	s_cbranch_execz .LBB388_45
.LBB388_68:
	v_add_co_u32 v37, vcc_lo, v2, v23
	v_add_co_ci_u32_e32 v38, vcc_lo, 0, v3, vcc_lo
	flat_load_b32 v8, v[37:38]
	s_or_b32 exec_lo, exec_lo, s0
                                        ; implicit-def: $vgpr23
	s_and_saveexec_b32 s0, s9
	s_cbranch_execz .LBB388_46
.LBB388_69:
	v_add_co_u32 v23, vcc_lo, v2, v24
	v_add_co_ci_u32_e32 v24, vcc_lo, 0, v3, vcc_lo
	flat_load_b32 v23, v[23:24]
	s_or_b32 exec_lo, exec_lo, s0
                                        ; implicit-def: $vgpr24
	s_and_saveexec_b32 s0, s10
	s_cbranch_execz .LBB388_47
.LBB388_70:
	v_add_co_u32 v24, vcc_lo, v2, v25
	v_add_co_ci_u32_e32 v25, vcc_lo, 0, v3, vcc_lo
	flat_load_b32 v24, v[24:25]
	s_or_b32 exec_lo, exec_lo, s0
                                        ; implicit-def: $vgpr25
	s_and_saveexec_b32 s0, s11
	s_cbranch_execz .LBB388_48
.LBB388_71:
	v_add_co_u32 v37, vcc_lo, v2, v27
	v_add_co_ci_u32_e32 v38, vcc_lo, 0, v3, vcc_lo
	flat_load_b32 v25, v[37:38]
	s_or_b32 exec_lo, exec_lo, s0
                                        ; implicit-def: $vgpr27
	s_and_saveexec_b32 s0, s12
	s_cbranch_execz .LBB388_49
.LBB388_72:
	v_add_co_u32 v27, vcc_lo, v2, v28
	v_add_co_ci_u32_e32 v28, vcc_lo, 0, v3, vcc_lo
	flat_load_b32 v27, v[27:28]
	s_or_b32 exec_lo, exec_lo, s0
                                        ; implicit-def: $vgpr28
	s_and_saveexec_b32 s0, s13
	s_cbranch_execz .LBB388_50
.LBB388_73:
	v_add_co_u32 v28, vcc_lo, v2, v29
	v_add_co_ci_u32_e32 v29, vcc_lo, 0, v3, vcc_lo
	flat_load_b32 v28, v[28:29]
	s_or_b32 exec_lo, exec_lo, s0
                                        ; implicit-def: $vgpr29
	s_and_saveexec_b32 s0, s14
	s_cbranch_execz .LBB388_51
.LBB388_74:
	v_add_co_u32 v29, vcc_lo, v2, v30
	v_add_co_ci_u32_e32 v30, vcc_lo, 0, v3, vcc_lo
	flat_load_b32 v29, v[29:30]
	s_or_b32 exec_lo, exec_lo, s0
                                        ; implicit-def: $vgpr30
	s_and_saveexec_b32 s0, s15
	s_cbranch_execnz .LBB388_52
	s_branch .LBB388_53
.LBB388_75:
	s_mov_b32 s15, 0
                                        ; implicit-def: $sgpr4
                                        ; implicit-def: $vgpr78
                                        ; implicit-def: $vgpr2
                                        ; implicit-def: $vgpr79
                                        ; implicit-def: $vgpr24
                                        ; implicit-def: $vgpr23
                                        ; implicit-def: $vgpr26
                                        ; implicit-def: $vgpr25
                                        ; implicit-def: $vgpr30
                                        ; implicit-def: $vgpr29
                                        ; implicit-def: $vgpr32
                                        ; implicit-def: $vgpr31
                                        ; implicit-def: $vgpr34
                                        ; implicit-def: $vgpr33
                                        ; implicit-def: $vgpr36
	s_cbranch_execz .LBB388_59
; %bb.76:
	v_mul_hi_i32 v2, 0x66666667, v10
	v_mul_hi_i32 v3, 0x66666667, v77
	;; [unrolled: 1-line block ×8, first 2 shown]
	v_lshrrev_b32_e32 v8, 31, v2
	v_ashrrev_i32_e32 v2, 2, v2
	v_lshrrev_b32_e32 v23, 31, v3
	v_ashrrev_i32_e32 v24, 2, v3
	;; [unrolled: 2-line block ×3, first 2 shown]
	v_add_nc_u32_e32 v2, v2, v8
	v_mul_hi_i32 v29, 0x66666667, v18
	v_add_nc_u32_e32 v8, v24, v23
	v_lshrrev_b32_e32 v23, 31, v6
	v_add_nc_u32_e32 v5, v5, v25
	v_ashrrev_i32_e32 v6, 2, v6
	v_mul_hi_i32 v25, 0x66666667, v14
	v_cmp_ne_u32_e32 vcc_lo, v2, v8
	v_lshrrev_b32_e32 v24, 31, v7
	v_ashrrev_i32_e32 v7, 2, v7
	v_add_nc_u32_e32 v6, v6, v23
	v_mul_hi_i32 v30, 0x66666667, v17
	v_cndmask_b32_e64 v78, 0, 1, vcc_lo
	v_cmp_ne_u32_e32 vcc_lo, v5, v2
	v_add_nc_u32_e32 v7, v7, v24
	v_lshrrev_b32_e32 v8, 31, v25
	v_ashrrev_i32_e32 v23, 2, v25
	v_lshrrev_b32_e32 v25, 31, v26
	v_cndmask_b32_e64 v2, 0, 1, vcc_lo
	v_cmp_ne_u32_e32 vcc_lo, v6, v5
	v_ashrrev_i32_e32 v26, 2, v26
	v_add_nc_u32_e32 v5, v23, v8
	v_lshrrev_b32_e32 v8, 31, v27
	v_lshlrev_b32_e32 v3, 2, v0
	v_cndmask_b32_e64 v79, 0, 1, vcc_lo
	v_cmp_ne_u32_e32 vcc_lo, v7, v6
	v_add_nc_u32_e32 v6, v26, v25
	v_ashrrev_i32_e32 v25, 2, v27
	v_lshrrev_b32_e32 v27, 31, v28
	v_ashrrev_i32_e32 v28, 2, v28
	v_cndmask_b32_e64 v24, 0, 1, vcc_lo
	v_cmp_ne_u32_e32 vcc_lo, v5, v7
	ds_store_b32 v3, v77
	s_waitcnt lgkmcnt(0)
	v_add_nc_u32_e32 v7, v28, v27
	v_ashrrev_i32_e32 v27, 2, v29
	v_cndmask_b32_e64 v23, 0, 1, vcc_lo
	v_cmp_ne_u32_e32 vcc_lo, v6, v5
	v_add_nc_u32_e32 v5, v25, v8
	v_lshrrev_b32_e32 v8, 31, v29
	v_lshrrev_b32_e32 v28, 31, v30
	v_ashrrev_i32_e32 v29, 2, v30
	v_cndmask_b32_e64 v26, 0, 1, vcc_lo
	v_cmp_ne_u32_e32 vcc_lo, v5, v6
	v_add_nc_u32_e32 v6, v27, v8
	v_mul_hi_i32 v8, 0x66666667, v20
	v_mul_hi_i32 v27, 0x66666667, v19
	s_barrier
	v_cndmask_b32_e64 v25, 0, 1, vcc_lo
	v_cmp_ne_u32_e32 vcc_lo, v7, v5
	v_add_nc_u32_e32 v5, v29, v28
	buffer_gl0_inv
                                        ; implicit-def: $sgpr4
	v_lshrrev_b32_e32 v28, 31, v8
	v_cndmask_b32_e64 v30, 0, 1, vcc_lo
	v_cmp_ne_u32_e32 vcc_lo, v6, v7
	v_ashrrev_i32_e32 v8, 2, v8
	v_mul_hi_i32 v7, 0x66666667, v22
	v_lshrrev_b32_e32 v31, 31, v27
	v_ashrrev_i32_e32 v27, 2, v27
	v_cndmask_b32_e64 v29, 0, 1, vcc_lo
	v_cmp_ne_u32_e32 vcc_lo, v5, v6
	v_add_nc_u32_e32 v8, v8, v28
	v_mul_hi_i32 v6, 0x66666667, v21
	v_add_nc_u32_e32 v27, v27, v31
	v_lshrrev_b32_e32 v33, 31, v7
	v_cndmask_b32_e64 v32, 0, 1, vcc_lo
	v_ashrrev_i32_e32 v7, 2, v7
	v_cmp_ne_u32_e32 vcc_lo, v8, v5
	v_lshrrev_b32_e32 v28, 31, v6
	v_ashrrev_i32_e32 v6, 2, v6
	s_delay_alu instid0(VALU_DEP_4) | instskip(SKIP_2) | instid1(VALU_DEP_4)
	v_add_nc_u32_e32 v7, v7, v33
	v_cndmask_b32_e64 v31, 0, 1, vcc_lo
	v_cmp_ne_u32_e32 vcc_lo, v27, v8
	v_add_nc_u32_e32 v5, v6, v28
	v_cndmask_b32_e64 v34, 0, 1, vcc_lo
	v_cmp_ne_u32_e32 vcc_lo, v7, v27
	v_cndmask_b32_e64 v33, 0, 1, vcc_lo
	s_delay_alu instid0(VALU_DEP_4) | instskip(SKIP_2) | instid1(SALU_CYCLE_1)
	v_cmp_ne_u32_e32 vcc_lo, v5, v7
	v_cndmask_b32_e64 v36, 0, 1, vcc_lo
	s_and_saveexec_b32 s0, s3
	s_xor_b32 s0, exec_lo, s0
	s_cbranch_execz .LBB388_78
; %bb.77:
	v_add_nc_u32_e32 v3, -4, v3
	s_or_b32 s15, s15, exec_lo
	ds_load_b32 v3, v3
	s_waitcnt lgkmcnt(0)
	v_mul_hi_i32 v3, 0x66666667, v3
	s_delay_alu instid0(VALU_DEP_1) | instskip(SKIP_1) | instid1(VALU_DEP_1)
	v_lshrrev_b32_e32 v6, 31, v3
	v_ashrrev_i32_e32 v3, 2, v3
	v_add_nc_u32_e32 v3, v3, v6
	s_delay_alu instid0(VALU_DEP_1)
	v_cmp_ne_u32_e32 vcc_lo, v3, v5
	s_and_b32 s4, vcc_lo, exec_lo
.LBB388_78:
	s_or_b32 exec_lo, exec_lo, s0
	s_mov_b32 s0, 1
.LBB388_79:
	v_mov_b32_e32 v28, v2
	s_branch .LBB388_115
.LBB388_80:
	s_mul_hi_u32 s0, s24, 0xfffff100
	s_mul_i32 s1, s25, 0xfffff100
	s_sub_i32 s0, s0, s24
	s_mul_i32 s4, s24, 0xfffff100
	v_mul_u32_u24_e32 v3, 15, v0
	v_mad_u32_u24 v27, v0, 15, 14
	s_add_i32 s1, s0, s1
	s_add_u32 s0, s4, s36
	s_addc_u32 s1, s1, s37
	s_and_b32 vcc_lo, exec_lo, s16
	s_cbranch_vccz .LBB388_195
; %bb.81:
	v_add_co_u32 v1, vcc_lo, -4, v1
	v_add_co_ci_u32_e32 v2, vcc_lo, -1, v4, vcc_lo
	v_lshlrev_b32_e32 v4, 2, v0
	v_mov_b32_e32 v78, 0
	s_mov_b32 s4, exec_lo
	flat_load_b32 v5, v[1:2]
	v_mov_b32_e32 v2, 0
	ds_store_b32 v4, v77
	v_mov_b32_e32 v28, v2
	s_delay_alu instid0(VALU_DEP_1)
	v_cmpx_gt_u64_e64 s[0:1], v[27:28]
; %bb.82:
	v_mul_hi_i32 v1, 0x66666667, v10
	v_mul_hi_i32 v6, 0x66666667, v77
	s_delay_alu instid0(VALU_DEP_2) | instskip(SKIP_1) | instid1(VALU_DEP_3)
	v_lshrrev_b32_e32 v7, 31, v1
	v_ashrrev_i32_e32 v1, 2, v1
	v_lshrrev_b32_e32 v8, 31, v6
	v_ashrrev_i32_e32 v6, 2, v6
	s_delay_alu instid0(VALU_DEP_3) | instskip(NEXT) | instid1(VALU_DEP_2)
	v_add_nc_u32_e32 v1, v1, v7
	v_add_nc_u32_e32 v6, v6, v8
	s_delay_alu instid0(VALU_DEP_1)
	v_cmp_ne_u32_e32 vcc_lo, v1, v6
	v_cndmask_b32_e64 v78, 0, 1, vcc_lo
; %bb.83:
	s_or_b32 exec_lo, exec_lo, s4
	v_add_nc_u32_e32 v1, 13, v3
	s_mov_b32 s4, exec_lo
	s_delay_alu instid0(VALU_DEP_1)
	v_cmpx_gt_u64_e64 s[0:1], v[1:2]
; %bb.84:
	v_mul_hi_i32 v1, 0x66666667, v9
	v_mul_hi_i32 v2, 0x66666667, v10
	s_delay_alu instid0(VALU_DEP_2) | instskip(SKIP_1) | instid1(VALU_DEP_3)
	v_lshrrev_b32_e32 v6, 31, v1
	v_ashrrev_i32_e32 v1, 2, v1
	v_lshrrev_b32_e32 v7, 31, v2
	v_ashrrev_i32_e32 v2, 2, v2
	s_delay_alu instid0(VALU_DEP_3) | instskip(NEXT) | instid1(VALU_DEP_2)
	v_add_nc_u32_e32 v1, v1, v6
	v_add_nc_u32_e32 v2, v2, v7
	s_delay_alu instid0(VALU_DEP_1)
	v_cmp_ne_u32_e32 vcc_lo, v1, v2
	v_cndmask_b32_e64 v2, 0, 1, vcc_lo
; %bb.85:
	s_or_b32 exec_lo, exec_lo, s4
	v_dual_mov_b32 v24, 0 :: v_dual_add_nc_u32 v23, 12, v3
	v_mov_b32_e32 v79, 0
	s_mov_b32 s4, exec_lo
	s_delay_alu instid0(VALU_DEP_2)
	v_cmpx_gt_u64_e64 s[0:1], v[23:24]
; %bb.86:
	v_mul_hi_i32 v1, 0x66666667, v12
	v_mul_hi_i32 v6, 0x66666667, v9
	s_delay_alu instid0(VALU_DEP_2) | instskip(SKIP_1) | instid1(VALU_DEP_3)
	v_lshrrev_b32_e32 v7, 31, v1
	v_ashrrev_i32_e32 v1, 2, v1
	v_lshrrev_b32_e32 v8, 31, v6
	v_ashrrev_i32_e32 v6, 2, v6
	s_delay_alu instid0(VALU_DEP_3) | instskip(NEXT) | instid1(VALU_DEP_2)
	v_add_nc_u32_e32 v1, v1, v7
	v_add_nc_u32_e32 v6, v6, v8
	s_delay_alu instid0(VALU_DEP_1)
	v_cmp_ne_u32_e32 vcc_lo, v1, v6
	v_cndmask_b32_e64 v79, 0, 1, vcc_lo
; %bb.87:
	s_or_b32 exec_lo, exec_lo, s4
	v_add_nc_u32_e32 v23, 11, v3
	s_mov_b32 s4, exec_lo
	s_delay_alu instid0(VALU_DEP_1)
	v_cmpx_gt_u64_e64 s[0:1], v[23:24]
; %bb.88:
	v_mul_hi_i32 v1, 0x66666667, v11
	v_mul_hi_i32 v6, 0x66666667, v12
	s_delay_alu instid0(VALU_DEP_2) | instskip(SKIP_1) | instid1(VALU_DEP_3)
	v_lshrrev_b32_e32 v7, 31, v1
	v_ashrrev_i32_e32 v1, 2, v1
	v_lshrrev_b32_e32 v8, 31, v6
	v_ashrrev_i32_e32 v6, 2, v6
	s_delay_alu instid0(VALU_DEP_3) | instskip(NEXT) | instid1(VALU_DEP_2)
	v_add_nc_u32_e32 v1, v1, v7
	v_add_nc_u32_e32 v6, v6, v8
	s_delay_alu instid0(VALU_DEP_1)
	v_cmp_ne_u32_e32 vcc_lo, v1, v6
	v_cndmask_b32_e64 v24, 0, 1, vcc_lo
; %bb.89:
	s_or_b32 exec_lo, exec_lo, s4
	v_dual_mov_b32 v26, 0 :: v_dual_add_nc_u32 v25, 10, v3
	v_mov_b32_e32 v23, 0
	s_mov_b32 s4, exec_lo
	s_delay_alu instid0(VALU_DEP_2)
	v_cmpx_gt_u64_e64 s[0:1], v[25:26]
; %bb.90:
	v_mul_hi_i32 v1, 0x66666667, v14
	v_mul_hi_i32 v6, 0x66666667, v11
	s_delay_alu instid0(VALU_DEP_2) | instskip(SKIP_1) | instid1(VALU_DEP_3)
	v_lshrrev_b32_e32 v7, 31, v1
	v_ashrrev_i32_e32 v1, 2, v1
	v_lshrrev_b32_e32 v8, 31, v6
	v_ashrrev_i32_e32 v6, 2, v6
	s_delay_alu instid0(VALU_DEP_3) | instskip(NEXT) | instid1(VALU_DEP_2)
	v_add_nc_u32_e32 v1, v1, v7
	v_add_nc_u32_e32 v6, v6, v8
	s_delay_alu instid0(VALU_DEP_1)
	v_cmp_ne_u32_e32 vcc_lo, v1, v6
	v_cndmask_b32_e64 v23, 0, 1, vcc_lo
; %bb.91:
	s_or_b32 exec_lo, exec_lo, s4
	v_add_nc_u32_e32 v25, 9, v3
	s_mov_b32 s4, exec_lo
	s_delay_alu instid0(VALU_DEP_1)
	v_cmpx_gt_u64_e64 s[0:1], v[25:26]
; %bb.92:
	v_mul_hi_i32 v1, 0x66666667, v13
	v_mul_hi_i32 v6, 0x66666667, v14
	s_delay_alu instid0(VALU_DEP_2) | instskip(SKIP_1) | instid1(VALU_DEP_3)
	v_lshrrev_b32_e32 v7, 31, v1
	v_ashrrev_i32_e32 v1, 2, v1
	v_lshrrev_b32_e32 v8, 31, v6
	v_ashrrev_i32_e32 v6, 2, v6
	s_delay_alu instid0(VALU_DEP_3) | instskip(NEXT) | instid1(VALU_DEP_2)
	v_add_nc_u32_e32 v1, v1, v7
	v_add_nc_u32_e32 v6, v6, v8
	s_delay_alu instid0(VALU_DEP_1)
	v_cmp_ne_u32_e32 vcc_lo, v1, v6
	v_cndmask_b32_e64 v26, 0, 1, vcc_lo
; %bb.93:
	s_or_b32 exec_lo, exec_lo, s4
	v_dual_mov_b32 v30, 0 :: v_dual_add_nc_u32 v29, 8, v3
	v_mov_b32_e32 v25, 0
	s_mov_b32 s4, exec_lo
	s_delay_alu instid0(VALU_DEP_2)
	v_cmpx_gt_u64_e64 s[0:1], v[29:30]
; %bb.94:
	v_mul_hi_i32 v1, 0x66666667, v16
	v_mul_hi_i32 v6, 0x66666667, v13
	s_delay_alu instid0(VALU_DEP_2) | instskip(SKIP_1) | instid1(VALU_DEP_3)
	v_lshrrev_b32_e32 v7, 31, v1
	v_ashrrev_i32_e32 v1, 2, v1
	v_lshrrev_b32_e32 v8, 31, v6
	v_ashrrev_i32_e32 v6, 2, v6
	s_delay_alu instid0(VALU_DEP_3) | instskip(NEXT) | instid1(VALU_DEP_2)
	v_add_nc_u32_e32 v1, v1, v7
	v_add_nc_u32_e32 v6, v6, v8
	s_delay_alu instid0(VALU_DEP_1)
	v_cmp_ne_u32_e32 vcc_lo, v1, v6
	v_cndmask_b32_e64 v25, 0, 1, vcc_lo
; %bb.95:
	s_or_b32 exec_lo, exec_lo, s4
	v_add_nc_u32_e32 v29, 7, v3
	s_mov_b32 s4, exec_lo
	s_delay_alu instid0(VALU_DEP_1)
	v_cmpx_gt_u64_e64 s[0:1], v[29:30]
; %bb.96:
	v_mul_hi_i32 v1, 0x66666667, v15
	v_mul_hi_i32 v6, 0x66666667, v16
	s_delay_alu instid0(VALU_DEP_2) | instskip(SKIP_1) | instid1(VALU_DEP_3)
	v_lshrrev_b32_e32 v7, 31, v1
	v_ashrrev_i32_e32 v1, 2, v1
	v_lshrrev_b32_e32 v8, 31, v6
	v_ashrrev_i32_e32 v6, 2, v6
	s_delay_alu instid0(VALU_DEP_3) | instskip(NEXT) | instid1(VALU_DEP_2)
	v_add_nc_u32_e32 v1, v1, v7
	v_add_nc_u32_e32 v6, v6, v8
	s_delay_alu instid0(VALU_DEP_1)
	v_cmp_ne_u32_e32 vcc_lo, v1, v6
	v_cndmask_b32_e64 v30, 0, 1, vcc_lo
; %bb.97:
	s_or_b32 exec_lo, exec_lo, s4
	v_dual_mov_b32 v32, 0 :: v_dual_add_nc_u32 v31, 6, v3
	v_mov_b32_e32 v29, 0
	s_mov_b32 s4, exec_lo
	s_delay_alu instid0(VALU_DEP_2)
	v_cmpx_gt_u64_e64 s[0:1], v[31:32]
; %bb.98:
	v_mul_hi_i32 v1, 0x66666667, v18
	v_mul_hi_i32 v6, 0x66666667, v15
	s_delay_alu instid0(VALU_DEP_2) | instskip(SKIP_1) | instid1(VALU_DEP_3)
	v_lshrrev_b32_e32 v7, 31, v1
	v_ashrrev_i32_e32 v1, 2, v1
	v_lshrrev_b32_e32 v8, 31, v6
	v_ashrrev_i32_e32 v6, 2, v6
	s_delay_alu instid0(VALU_DEP_3) | instskip(NEXT) | instid1(VALU_DEP_2)
	v_add_nc_u32_e32 v1, v1, v7
	v_add_nc_u32_e32 v6, v6, v8
	s_delay_alu instid0(VALU_DEP_1)
	v_cmp_ne_u32_e32 vcc_lo, v1, v6
	v_cndmask_b32_e64 v29, 0, 1, vcc_lo
; %bb.99:
	s_or_b32 exec_lo, exec_lo, s4
	v_add_nc_u32_e32 v31, 5, v3
	s_mov_b32 s4, exec_lo
	s_delay_alu instid0(VALU_DEP_1)
	v_cmpx_gt_u64_e64 s[0:1], v[31:32]
; %bb.100:
	v_mul_hi_i32 v1, 0x66666667, v17
	v_mul_hi_i32 v6, 0x66666667, v18
	s_delay_alu instid0(VALU_DEP_2) | instskip(SKIP_1) | instid1(VALU_DEP_3)
	v_lshrrev_b32_e32 v7, 31, v1
	v_ashrrev_i32_e32 v1, 2, v1
	v_lshrrev_b32_e32 v8, 31, v6
	v_ashrrev_i32_e32 v6, 2, v6
	s_delay_alu instid0(VALU_DEP_3) | instskip(NEXT) | instid1(VALU_DEP_2)
	v_add_nc_u32_e32 v1, v1, v7
	v_add_nc_u32_e32 v6, v6, v8
	s_delay_alu instid0(VALU_DEP_1)
	v_cmp_ne_u32_e32 vcc_lo, v1, v6
	v_cndmask_b32_e64 v32, 0, 1, vcc_lo
; %bb.101:
	s_or_b32 exec_lo, exec_lo, s4
	v_dual_mov_b32 v34, 0 :: v_dual_add_nc_u32 v33, 4, v3
	v_mov_b32_e32 v31, 0
	s_mov_b32 s4, exec_lo
	s_delay_alu instid0(VALU_DEP_2)
	v_cmpx_gt_u64_e64 s[0:1], v[33:34]
; %bb.102:
	v_mul_hi_i32 v1, 0x66666667, v20
	v_mul_hi_i32 v6, 0x66666667, v17
	s_delay_alu instid0(VALU_DEP_2) | instskip(SKIP_1) | instid1(VALU_DEP_3)
	v_lshrrev_b32_e32 v7, 31, v1
	v_ashrrev_i32_e32 v1, 2, v1
	v_lshrrev_b32_e32 v8, 31, v6
	v_ashrrev_i32_e32 v6, 2, v6
	s_delay_alu instid0(VALU_DEP_3) | instskip(NEXT) | instid1(VALU_DEP_2)
	v_add_nc_u32_e32 v1, v1, v7
	v_add_nc_u32_e32 v6, v6, v8
	s_delay_alu instid0(VALU_DEP_1)
	v_cmp_ne_u32_e32 vcc_lo, v1, v6
	v_cndmask_b32_e64 v31, 0, 1, vcc_lo
; %bb.103:
	s_or_b32 exec_lo, exec_lo, s4
	v_add_nc_u32_e32 v33, 3, v3
	s_mov_b32 s4, exec_lo
	s_delay_alu instid0(VALU_DEP_1)
	v_cmpx_gt_u64_e64 s[0:1], v[33:34]
; %bb.104:
	v_mul_hi_i32 v1, 0x66666667, v19
	v_mul_hi_i32 v6, 0x66666667, v20
	s_delay_alu instid0(VALU_DEP_2) | instskip(SKIP_1) | instid1(VALU_DEP_3)
	v_lshrrev_b32_e32 v7, 31, v1
	v_ashrrev_i32_e32 v1, 2, v1
	v_lshrrev_b32_e32 v8, 31, v6
	v_ashrrev_i32_e32 v6, 2, v6
	s_delay_alu instid0(VALU_DEP_3) | instskip(NEXT) | instid1(VALU_DEP_2)
	v_add_nc_u32_e32 v1, v1, v7
	v_add_nc_u32_e32 v6, v6, v8
	s_delay_alu instid0(VALU_DEP_1)
	v_cmp_ne_u32_e32 vcc_lo, v1, v6
	v_cndmask_b32_e64 v34, 0, 1, vcc_lo
; %bb.105:
	s_or_b32 exec_lo, exec_lo, s4
	v_dual_mov_b32 v36, 0 :: v_dual_add_nc_u32 v35, 2, v3
	v_mov_b32_e32 v33, 0
	s_mov_b32 s4, exec_lo
	s_delay_alu instid0(VALU_DEP_2)
	v_cmpx_gt_u64_e64 s[0:1], v[35:36]
; %bb.106:
	v_mul_hi_i32 v1, 0x66666667, v22
	v_mul_hi_i32 v6, 0x66666667, v19
	s_delay_alu instid0(VALU_DEP_2) | instskip(SKIP_1) | instid1(VALU_DEP_3)
	v_lshrrev_b32_e32 v7, 31, v1
	v_ashrrev_i32_e32 v1, 2, v1
	v_lshrrev_b32_e32 v8, 31, v6
	v_ashrrev_i32_e32 v6, 2, v6
	s_delay_alu instid0(VALU_DEP_3) | instskip(NEXT) | instid1(VALU_DEP_2)
	v_add_nc_u32_e32 v1, v1, v7
	v_add_nc_u32_e32 v6, v6, v8
	s_delay_alu instid0(VALU_DEP_1)
	v_cmp_ne_u32_e32 vcc_lo, v1, v6
	v_cndmask_b32_e64 v33, 0, 1, vcc_lo
; %bb.107:
	s_or_b32 exec_lo, exec_lo, s4
	v_add_nc_u32_e32 v35, 1, v3
	s_mov_b32 s4, exec_lo
	s_delay_alu instid0(VALU_DEP_1)
	v_cmpx_gt_u64_e64 s[0:1], v[35:36]
; %bb.108:
	v_mul_hi_i32 v1, 0x66666667, v21
	v_mul_hi_i32 v6, 0x66666667, v22
	s_delay_alu instid0(VALU_DEP_2) | instskip(SKIP_1) | instid1(VALU_DEP_3)
	v_lshrrev_b32_e32 v7, 31, v1
	v_ashrrev_i32_e32 v1, 2, v1
	v_lshrrev_b32_e32 v8, 31, v6
	v_ashrrev_i32_e32 v6, 2, v6
	s_delay_alu instid0(VALU_DEP_3) | instskip(NEXT) | instid1(VALU_DEP_2)
	v_add_nc_u32_e32 v1, v1, v7
	v_add_nc_u32_e32 v6, v6, v8
	s_delay_alu instid0(VALU_DEP_1)
	v_cmp_ne_u32_e32 vcc_lo, v1, v6
	v_cndmask_b32_e64 v36, 0, 1, vcc_lo
; %bb.109:
	s_or_b32 exec_lo, exec_lo, s4
	s_waitcnt vmcnt(0) lgkmcnt(0)
	s_barrier
	buffer_gl0_inv
	s_and_saveexec_b32 s4, s3
	s_cbranch_execz .LBB388_111
; %bb.110:
	v_add_nc_u32_e32 v1, -4, v4
	ds_load_b32 v5, v1
.LBB388_111:
	s_or_b32 exec_lo, exec_lo, s4
	v_mov_b32_e32 v4, 0
	s_mov_b32 s5, 0
	s_mov_b32 s4, 0
	s_mov_b32 s6, exec_lo
	s_delay_alu instid0(VALU_DEP_1)
	v_cmpx_gt_u64_e64 s[0:1], v[3:4]
	s_cbranch_execz .LBB388_113
; %bb.112:
	s_waitcnt lgkmcnt(0)
	v_mul_hi_i32 v1, 0x66666667, v5
	v_mul_hi_i32 v4, 0x66666667, v21
	s_delay_alu instid0(VALU_DEP_2) | instskip(SKIP_1) | instid1(VALU_DEP_3)
	v_lshrrev_b32_e32 v5, 31, v1
	v_ashrrev_i32_e32 v1, 2, v1
	v_lshrrev_b32_e32 v6, 31, v4
	v_ashrrev_i32_e32 v4, 2, v4
	s_delay_alu instid0(VALU_DEP_3) | instskip(NEXT) | instid1(VALU_DEP_2)
	v_add_nc_u32_e32 v1, v1, v5
	v_add_nc_u32_e32 v4, v4, v6
	s_delay_alu instid0(VALU_DEP_1)
	v_cmp_ne_u32_e32 vcc_lo, v1, v4
	s_and_b32 s4, vcc_lo, exec_lo
.LBB388_113:
	s_or_b32 exec_lo, exec_lo, s6
	s_mov_b32 s15, -1
	s_and_b32 vcc_lo, exec_lo, s5
	s_cbranch_vccnz .LBB388_196
.LBB388_114:
                                        ; implicit-def: $vgpr28
                                        ; implicit-def: $sgpr0
.LBB388_115:
	v_mov_b32_e32 v27, s0
	s_and_saveexec_b32 s0, s15
.LBB388_116:
	v_cndmask_b32_e64 v27, 0, 1, s4
	v_mov_b32_e32 v28, v2
.LBB388_117:
	s_or_b32 exec_lo, exec_lo, s0
	s_delay_alu instid0(VALU_DEP_1)
	v_add3_u32 v1, v36, v27, v33
	v_cmp_eq_u32_e64 s13, 0, v36
	v_cmp_eq_u32_e64 s12, 0, v33
	;; [unrolled: 1-line block ×4, first 2 shown]
	v_add3_u32 v84, v1, v34, v31
	v_cmp_eq_u32_e64 s9, 0, v32
	v_cmp_eq_u32_e64 s8, 0, v29
	;; [unrolled: 1-line block ×9, first 2 shown]
	v_cmp_eq_u32_e32 vcc_lo, 0, v78
	v_mbcnt_lo_u32_b32 v81, -1, 0
	v_lshrrev_b32_e32 v82, 5, v0
	v_or_b32_e32 v83, 31, v0
	s_cmp_eq_u64 s[22:23], 0
	s_cselect_b32 s16, -1, 0
	s_cmp_lg_u32 s33, 0
	s_cbranch_scc0 .LBB388_143
; %bb.118:
	v_cndmask_b32_e64 v1, 0, v49, s13
	v_add3_u32 v2, v84, v32, v29
	s_delay_alu instid0(VALU_DEP_2) | instskip(NEXT) | instid1(VALU_DEP_2)
	v_add_nc_u32_e32 v1, v1, v50
	v_add3_u32 v2, v2, v30, v25
	s_delay_alu instid0(VALU_DEP_2) | instskip(NEXT) | instid1(VALU_DEP_2)
	v_cndmask_b32_e64 v1, 0, v1, s12
	v_add3_u32 v2, v2, v26, v23
	s_delay_alu instid0(VALU_DEP_2) | instskip(NEXT) | instid1(VALU_DEP_2)
	v_add_nc_u32_e32 v1, v1, v47
	v_add3_u32 v2, v2, v24, v79
	s_delay_alu instid0(VALU_DEP_2) | instskip(NEXT) | instid1(VALU_DEP_2)
	v_cndmask_b32_e64 v1, 0, v1, s11
	v_add3_u32 v2, v2, v28, v78
	s_delay_alu instid0(VALU_DEP_2) | instskip(SKIP_1) | instid1(VALU_DEP_2)
	v_add_nc_u32_e32 v1, v1, v48
	s_waitcnt lgkmcnt(0)
	v_mov_b32_dpp v5, v2 row_shr:1 row_mask:0xf bank_mask:0xf
	s_delay_alu instid0(VALU_DEP_2) | instskip(NEXT) | instid1(VALU_DEP_1)
	v_cndmask_b32_e64 v1, 0, v1, s10
	v_add_nc_u32_e32 v1, v1, v45
	s_delay_alu instid0(VALU_DEP_1) | instskip(NEXT) | instid1(VALU_DEP_1)
	v_cndmask_b32_e64 v1, 0, v1, s9
	v_add_nc_u32_e32 v1, v1, v46
	s_delay_alu instid0(VALU_DEP_1) | instskip(NEXT) | instid1(VALU_DEP_1)
	;; [unrolled: 3-line block ×9, first 2 shown]
	v_cndmask_b32_e64 v1, 0, v1, s0
	v_add_nc_u32_e32 v1, v1, v38
	s_delay_alu instid0(VALU_DEP_1) | instskip(SKIP_1) | instid1(VALU_DEP_2)
	v_cndmask_b32_e32 v1, 0, v1, vcc_lo
	v_cmp_eq_u32_e32 vcc_lo, 0, v2
	v_add_nc_u32_e32 v1, v1, v80
	s_delay_alu instid0(VALU_DEP_1) | instskip(NEXT) | instid1(VALU_DEP_1)
	v_mov_b32_dpp v3, v1 row_shr:1 row_mask:0xf bank_mask:0xf
	v_dual_cndmask_b32 v3, 0, v3 :: v_dual_and_b32 v4, 15, v81
	s_delay_alu instid0(VALU_DEP_1) | instskip(SKIP_2) | instid1(VALU_DEP_4)
	v_cmp_eq_u32_e32 vcc_lo, 0, v4
	v_cmp_lt_u32_e64 s14, 1, v4
	v_cndmask_b32_e64 v5, v5, 0, vcc_lo
	v_cndmask_b32_e64 v3, v3, 0, vcc_lo
	s_delay_alu instid0(VALU_DEP_2) | instskip(NEXT) | instid1(VALU_DEP_2)
	v_add_nc_u32_e32 v2, v5, v2
	v_add_nc_u32_e32 v1, v3, v1
	s_delay_alu instid0(VALU_DEP_2) | instskip(SKIP_1) | instid1(VALU_DEP_3)
	v_mov_b32_dpp v3, v2 row_shr:2 row_mask:0xf bank_mask:0xf
	v_cmp_eq_u32_e32 vcc_lo, 0, v2
	v_mov_b32_dpp v5, v1 row_shr:2 row_mask:0xf bank_mask:0xf
	s_delay_alu instid0(VALU_DEP_3) | instskip(SKIP_2) | instid1(VALU_DEP_2)
	v_cndmask_b32_e64 v3, 0, v3, s14
	s_and_b32 vcc_lo, s14, vcc_lo
	v_cmp_lt_u32_e64 s14, 3, v4
	v_dual_cndmask_b32 v5, 0, v5 :: v_dual_add_nc_u32 v2, v2, v3
	s_delay_alu instid0(VALU_DEP_1) | instskip(NEXT) | instid1(VALU_DEP_2)
	v_add_nc_u32_e32 v1, v5, v1
	v_mov_b32_dpp v3, v2 row_shr:4 row_mask:0xf bank_mask:0xf
	v_cmp_eq_u32_e32 vcc_lo, 0, v2
	s_delay_alu instid0(VALU_DEP_3) | instskip(NEXT) | instid1(VALU_DEP_3)
	v_mov_b32_dpp v5, v1 row_shr:4 row_mask:0xf bank_mask:0xf
	v_cndmask_b32_e64 v3, 0, v3, s14
	s_and_b32 vcc_lo, s14, vcc_lo
	v_cmp_lt_u32_e64 s14, 7, v4
	s_delay_alu instid0(VALU_DEP_2) | instskip(NEXT) | instid1(VALU_DEP_1)
	v_dual_cndmask_b32 v5, 0, v5 :: v_dual_add_nc_u32 v2, v3, v2
	v_add_nc_u32_e32 v1, v1, v5
	v_bfe_i32 v5, v81, 4, 1
	s_delay_alu instid0(VALU_DEP_3) | instskip(SKIP_1) | instid1(VALU_DEP_4)
	v_cmp_eq_u32_e32 vcc_lo, 0, v2
	v_mov_b32_dpp v3, v2 row_shr:8 row_mask:0xf bank_mask:0xf
	v_mov_b32_dpp v4, v1 row_shr:8 row_mask:0xf bank_mask:0xf
	s_and_b32 vcc_lo, s14, vcc_lo
	s_delay_alu instid0(VALU_DEP_2) | instskip(SKIP_1) | instid1(VALU_DEP_2)
	v_cndmask_b32_e64 v3, 0, v3, s14
	s_mov_b32 s14, exec_lo
	v_cndmask_b32_e32 v4, 0, v4, vcc_lo
	s_delay_alu instid0(VALU_DEP_1) | instskip(NEXT) | instid1(VALU_DEP_3)
	v_add_nc_u32_e32 v4, v4, v1
	v_add_nc_u32_e32 v1, v3, v2
	ds_swizzle_b32 v2, v4 offset:swizzle(BROADCAST,32,15)
	ds_swizzle_b32 v3, v1 offset:swizzle(BROADCAST,32,15)
	v_cmp_eq_u32_e32 vcc_lo, 0, v1
	s_waitcnt lgkmcnt(0)
	v_dual_cndmask_b32 v2, 0, v2 :: v_dual_and_b32 v3, v5, v3
	s_delay_alu instid0(VALU_DEP_1) | instskip(NEXT) | instid1(VALU_DEP_2)
	v_and_b32_e32 v2, v5, v2
	v_add_nc_u32_e32 v1, v3, v1
	v_lshlrev_b32_e32 v3, 3, v82
	s_delay_alu instid0(VALU_DEP_3)
	v_add_nc_u32_e32 v2, v2, v4
	v_cmpx_eq_u32_e64 v83, v0
	s_cbranch_execz .LBB388_120
; %bb.119:
	ds_store_b64 v3, v[1:2] offset:2064
.LBB388_120:
	s_or_b32 exec_lo, exec_lo, s14
	s_delay_alu instid0(SALU_CYCLE_1)
	s_mov_b32 s15, exec_lo
	s_waitcnt lgkmcnt(0)
	s_barrier
	buffer_gl0_inv
	v_cmpx_gt_u32_e32 8, v0
	s_cbranch_execz .LBB388_122
; %bb.121:
	v_lshlrev_b32_e32 v6, 3, v0
	v_and_b32_e32 v8, 7, v81
	ds_load_b64 v[4:5], v6 offset:2064
	v_cmp_lt_u32_e64 s14, 1, v8
	s_waitcnt lgkmcnt(0)
	v_mov_b32_dpp v7, v5 row_shr:1 row_mask:0xf bank_mask:0xf
	v_cmp_eq_u32_e32 vcc_lo, 0, v4
	v_mov_b32_dpp v35, v4 row_shr:1 row_mask:0xf bank_mask:0xf
	s_delay_alu instid0(VALU_DEP_3) | instskip(SKIP_1) | instid1(VALU_DEP_3)
	v_cndmask_b32_e32 v7, 0, v7, vcc_lo
	v_cmp_eq_u32_e32 vcc_lo, 0, v8
	v_cndmask_b32_e64 v35, v35, 0, vcc_lo
	s_delay_alu instid0(VALU_DEP_3) | instskip(NEXT) | instid1(VALU_DEP_2)
	v_cndmask_b32_e64 v7, v7, 0, vcc_lo
	v_add_nc_u32_e32 v4, v35, v4
	s_delay_alu instid0(VALU_DEP_2) | instskip(NEXT) | instid1(VALU_DEP_2)
	v_add_nc_u32_e32 v5, v7, v5
	v_mov_b32_dpp v7, v4 row_shr:2 row_mask:0xf bank_mask:0xf
	v_cmp_eq_u32_e32 vcc_lo, 0, v4
	s_delay_alu instid0(VALU_DEP_3) | instskip(NEXT) | instid1(VALU_DEP_3)
	v_mov_b32_dpp v35, v5 row_shr:2 row_mask:0xf bank_mask:0xf
	v_cndmask_b32_e64 v7, 0, v7, s14
	s_and_b32 vcc_lo, s14, vcc_lo
	s_delay_alu instid0(VALU_DEP_2) | instskip(SKIP_1) | instid1(VALU_DEP_3)
	v_cndmask_b32_e32 v35, 0, v35, vcc_lo
	v_cmp_lt_u32_e64 s14, 3, v8
	v_add_nc_u32_e32 v4, v7, v4
	s_delay_alu instid0(VALU_DEP_3) | instskip(NEXT) | instid1(VALU_DEP_2)
	v_add_nc_u32_e32 v5, v35, v5
	v_cmp_eq_u32_e32 vcc_lo, 0, v4
	v_mov_b32_dpp v7, v4 row_shr:4 row_mask:0xf bank_mask:0xf
	s_delay_alu instid0(VALU_DEP_3) | instskip(SKIP_1) | instid1(VALU_DEP_2)
	v_mov_b32_dpp v8, v5 row_shr:4 row_mask:0xf bank_mask:0xf
	s_and_b32 vcc_lo, s14, vcc_lo
	v_cndmask_b32_e64 v7, 0, v7, s14
	s_delay_alu instid0(VALU_DEP_2) | instskip(NEXT) | instid1(VALU_DEP_2)
	v_cndmask_b32_e32 v8, 0, v8, vcc_lo
	v_add_nc_u32_e32 v4, v7, v4
	s_delay_alu instid0(VALU_DEP_2)
	v_add_nc_u32_e32 v5, v8, v5
	ds_store_b64 v6, v[4:5] offset:2064
.LBB388_122:
	s_or_b32 exec_lo, exec_lo, s15
	v_cmp_gt_u32_e32 vcc_lo, 32, v0
	v_dual_mov_b32 v51, 0 :: v_dual_mov_b32 v52, 0
	s_mov_b32 s15, exec_lo
	s_waitcnt lgkmcnt(0)
	s_barrier
	buffer_gl0_inv
	v_cmpx_lt_u32_e32 31, v0
	s_cbranch_execz .LBB388_124
; %bb.123:
	ds_load_b64 v[51:52], v3 offset:2056
	v_cmp_eq_u32_e64 s14, 0, v1
	s_waitcnt lgkmcnt(0)
	s_delay_alu instid0(VALU_DEP_1) | instskip(SKIP_1) | instid1(VALU_DEP_2)
	v_cndmask_b32_e64 v3, 0, v52, s14
	v_add_nc_u32_e32 v1, v51, v1
	v_add_nc_u32_e32 v2, v3, v2
.LBB388_124:
	s_or_b32 exec_lo, exec_lo, s15
	v_add_nc_u32_e32 v3, -1, v81
	s_delay_alu instid0(VALU_DEP_1) | instskip(NEXT) | instid1(VALU_DEP_1)
	v_cmp_gt_i32_e64 s14, 0, v3
	v_cndmask_b32_e64 v3, v3, v81, s14
	v_cmp_eq_u32_e64 s14, 0, v81
	s_delay_alu instid0(VALU_DEP_2)
	v_lshlrev_b32_e32 v3, 2, v3
	ds_bpermute_b32 v35, v3, v1
	ds_bpermute_b32 v57, v3, v2
	s_and_saveexec_b32 s22, vcc_lo
	s_cbranch_execz .LBB388_142
; %bb.125:
	v_mov_b32_e32 v4, 0
	ds_load_b64 v[1:2], v4 offset:2120
	s_waitcnt lgkmcnt(0)
	v_readfirstlane_b32 s23, v2
	s_and_saveexec_b32 s15, s14
	s_cbranch_execz .LBB388_127
; %bb.126:
	s_add_i32 s24, s33, 32
	s_mov_b32 s25, 0
	v_mov_b32_e32 v3, 1
	s_lshl_b64 s[36:37], s[24:25], 4
	s_mov_b32 s40, s25
	s_add_u32 s36, s20, s36
	s_addc_u32 s37, s21, s37
	s_and_b32 s41, s23, 0xff000000
	s_and_b32 s43, s23, 0xff0000
	s_mov_b32 s42, s25
	v_dual_mov_b32 v5, s36 :: v_dual_mov_b32 v6, s37
	s_or_b64 s[40:41], s[42:43], s[40:41]
	s_and_b32 s43, s23, 0xff00
	s_delay_alu instid0(SALU_CYCLE_1) | instskip(SKIP_1) | instid1(SALU_CYCLE_1)
	s_or_b64 s[40:41], s[40:41], s[42:43]
	s_and_b32 s43, s23, 0xff
	s_or_b64 s[24:25], s[40:41], s[42:43]
	s_delay_alu instid0(SALU_CYCLE_1)
	v_mov_b32_e32 v2, s25
	;;#ASMSTART
	global_store_dwordx4 v[5:6], v[1:4] off	
s_waitcnt vmcnt(0)
	;;#ASMEND
.LBB388_127:
	s_or_b32 exec_lo, exec_lo, s15
	v_xad_u32 v53, v81, -1, s33
	s_mov_b32 s24, 0
	s_mov_b32 s15, exec_lo
	s_delay_alu instid0(VALU_DEP_1) | instskip(NEXT) | instid1(VALU_DEP_1)
	v_add_nc_u32_e32 v3, 32, v53
	v_lshlrev_b64 v[2:3], 4, v[3:4]
	s_delay_alu instid0(VALU_DEP_1) | instskip(NEXT) | instid1(VALU_DEP_2)
	v_add_co_u32 v2, vcc_lo, s20, v2
	v_add_co_ci_u32_e32 v3, vcc_lo, s21, v3, vcc_lo
	;;#ASMSTART
	global_load_dwordx4 v[5:8], v[2:3] off glc	
s_waitcnt vmcnt(0)
	;;#ASMEND
	v_and_b32_e32 v4, 0xff, v6
	v_and_b32_e32 v8, 0xff00, v6
	;; [unrolled: 1-line block ×3, first 2 shown]
	v_or3_b32 v5, v5, 0, 0
	v_and_b32_e32 v6, 0xff000000, v6
	s_delay_alu instid0(VALU_DEP_4) | instskip(SKIP_1) | instid1(VALU_DEP_4)
	v_or3_b32 v4, 0, v4, v8
	v_and_b32_e32 v8, 0xff, v7
	v_or3_b32 v5, v5, 0, 0
	s_delay_alu instid0(VALU_DEP_3) | instskip(NEXT) | instid1(VALU_DEP_3)
	v_or3_b32 v6, v4, v54, v6
	v_cmpx_eq_u16_e32 0, v8
	s_cbranch_execz .LBB388_130
.LBB388_128:                            ; =>This Inner Loop Header: Depth=1
	;;#ASMSTART
	global_load_dwordx4 v[5:8], v[2:3] off glc	
s_waitcnt vmcnt(0)
	;;#ASMEND
	v_and_b32_e32 v4, 0xff, v7
	s_delay_alu instid0(VALU_DEP_1) | instskip(SKIP_1) | instid1(SALU_CYCLE_1)
	v_cmp_ne_u16_e32 vcc_lo, 0, v4
	s_or_b32 s24, vcc_lo, s24
	s_and_not1_b32 exec_lo, exec_lo, s24
	s_cbranch_execnz .LBB388_128
; %bb.129:
	s_or_b32 exec_lo, exec_lo, s24
.LBB388_130:
	s_delay_alu instid0(SALU_CYCLE_1)
	s_or_b32 exec_lo, exec_lo, s15
	v_cmp_ne_u32_e32 vcc_lo, 31, v81
	v_and_b32_e32 v3, 0xff, v7
	v_lshlrev_b32_e64 v58, v81, -1
	v_add_nc_u32_e32 v60, 2, v81
	v_add_nc_u32_e32 v62, 4, v81
	v_add_co_ci_u32_e32 v2, vcc_lo, 0, v81, vcc_lo
	v_cmp_eq_u16_e32 vcc_lo, 2, v3
	v_add_nc_u32_e32 v64, 8, v81
	v_add_nc_u32_e32 v66, 16, v81
	v_and_or_b32 v8, vcc_lo, v58, 0x80000000
	v_cmp_gt_u32_e32 vcc_lo, 30, v81
	s_delay_alu instid0(VALU_DEP_2) | instskip(SKIP_2) | instid1(VALU_DEP_3)
	v_ctz_i32_b32_e32 v8, v8
	v_cndmask_b32_e64 v54, 0, 1, vcc_lo
	v_cmp_eq_u32_e32 vcc_lo, 0, v5
	v_cmp_lt_u32_e64 s15, v81, v8
	s_delay_alu instid0(VALU_DEP_3) | instskip(NEXT) | instid1(VALU_DEP_2)
	v_lshlrev_b32_e32 v54, 1, v54
	s_and_b32 vcc_lo, s15, vcc_lo
	v_lshlrev_b32_e32 v2, 2, v2
	s_delay_alu instid0(VALU_DEP_2)
	v_add_lshl_u32 v59, v54, v81, 2
	ds_bpermute_b32 v3, v2, v6
	s_waitcnt lgkmcnt(0)
	v_cndmask_b32_e32 v3, 0, v3, vcc_lo
	ds_bpermute_b32 v4, v2, v5
	v_cmp_gt_u32_e32 vcc_lo, 28, v81
	v_add_nc_u32_e32 v3, v3, v6
	ds_bpermute_b32 v6, v59, v3
	s_waitcnt lgkmcnt(1)
	v_cndmask_b32_e64 v4, 0, v4, s15
	s_delay_alu instid0(VALU_DEP_1) | instskip(SKIP_1) | instid1(VALU_DEP_2)
	v_add_nc_u32_e32 v4, v4, v5
	v_cndmask_b32_e64 v5, 0, 1, vcc_lo
	v_cmp_eq_u32_e32 vcc_lo, 0, v4
	ds_bpermute_b32 v54, v59, v4
	s_waitcnt lgkmcnt(1)
	v_dual_cndmask_b32 v6, 0, v6 :: v_dual_lshlrev_b32 v5, 2, v5
	v_cmp_gt_u32_e32 vcc_lo, v60, v8
	s_delay_alu instid0(VALU_DEP_2) | instskip(NEXT) | instid1(VALU_DEP_3)
	v_add_lshl_u32 v61, v5, v81, 2
	v_cndmask_b32_e64 v6, v6, 0, vcc_lo
	s_delay_alu instid0(VALU_DEP_1) | instskip(SKIP_4) | instid1(VALU_DEP_2)
	v_add_nc_u32_e32 v3, v6, v3
	ds_bpermute_b32 v5, v61, v3
	s_waitcnt lgkmcnt(1)
	v_cndmask_b32_e64 v6, v54, 0, vcc_lo
	v_cmp_gt_u32_e32 vcc_lo, 24, v81
	v_add_nc_u32_e32 v4, v4, v6
	v_cndmask_b32_e64 v54, 0, 1, vcc_lo
	ds_bpermute_b32 v6, v61, v4
	v_cmp_eq_u32_e32 vcc_lo, 0, v4
	v_lshlrev_b32_e32 v54, 3, v54
	s_delay_alu instid0(VALU_DEP_1) | instskip(SKIP_3) | instid1(VALU_DEP_2)
	v_add_lshl_u32 v63, v54, v81, 2
	s_waitcnt lgkmcnt(1)
	v_cndmask_b32_e32 v5, 0, v5, vcc_lo
	v_cmp_gt_u32_e32 vcc_lo, v62, v8
	v_cndmask_b32_e64 v5, v5, 0, vcc_lo
	s_delay_alu instid0(VALU_DEP_1)
	v_add_nc_u32_e32 v3, v3, v5
	s_waitcnt lgkmcnt(0)
	v_cndmask_b32_e64 v6, v6, 0, vcc_lo
	v_cmp_gt_u32_e32 vcc_lo, 16, v81
	ds_bpermute_b32 v5, v63, v3
	v_add_nc_u32_e32 v4, v4, v6
	v_cndmask_b32_e64 v54, 0, 1, vcc_lo
	ds_bpermute_b32 v6, v63, v4
	v_cmp_eq_u32_e32 vcc_lo, 0, v4
	v_lshlrev_b32_e32 v54, 4, v54
	s_delay_alu instid0(VALU_DEP_1) | instskip(SKIP_3) | instid1(VALU_DEP_2)
	v_add_lshl_u32 v65, v54, v81, 2
	s_waitcnt lgkmcnt(1)
	v_dual_mov_b32 v54, 0 :: v_dual_cndmask_b32 v5, 0, v5
	v_cmp_gt_u32_e32 vcc_lo, v64, v8
	v_cndmask_b32_e64 v5, v5, 0, vcc_lo
	s_delay_alu instid0(VALU_DEP_1)
	v_add_nc_u32_e32 v3, v3, v5
	s_waitcnt lgkmcnt(0)
	v_cndmask_b32_e64 v5, v6, 0, vcc_lo
	ds_bpermute_b32 v6, v65, v3
	v_add_nc_u32_e32 v4, v4, v5
	ds_bpermute_b32 v5, v65, v4
	v_cmp_eq_u32_e32 vcc_lo, 0, v4
	s_waitcnt lgkmcnt(1)
	v_cndmask_b32_e32 v6, 0, v6, vcc_lo
	v_cmp_gt_u32_e32 vcc_lo, v66, v8
	s_delay_alu instid0(VALU_DEP_2) | instskip(SKIP_2) | instid1(VALU_DEP_2)
	v_cndmask_b32_e64 v6, v6, 0, vcc_lo
	s_waitcnt lgkmcnt(0)
	v_cndmask_b32_e64 v5, v5, 0, vcc_lo
	v_add_nc_u32_e32 v6, v6, v3
	s_delay_alu instid0(VALU_DEP_2)
	v_add_nc_u32_e32 v5, v5, v4
	s_branch .LBB388_132
.LBB388_131:                            ;   in Loop: Header=BB388_132 Depth=1
	s_or_b32 exec_lo, exec_lo, s15
	v_and_b32_e32 v8, 0xff, v7
	ds_bpermute_b32 v55, v2, v5
	v_subrev_nc_u32_e32 v53, 32, v53
	v_cmp_eq_u16_e32 vcc_lo, 2, v8
	ds_bpermute_b32 v8, v2, v6
	v_and_or_b32 v56, vcc_lo, v58, 0x80000000
	v_cmp_eq_u32_e32 vcc_lo, 0, v5
	s_delay_alu instid0(VALU_DEP_2) | instskip(NEXT) | instid1(VALU_DEP_1)
	v_ctz_i32_b32_e32 v56, v56
	v_cmp_lt_u32_e64 s15, v81, v56
	s_delay_alu instid0(VALU_DEP_1) | instskip(SKIP_4) | instid1(VALU_DEP_2)
	s_and_b32 vcc_lo, s15, vcc_lo
	s_waitcnt lgkmcnt(1)
	v_cndmask_b32_e64 v55, 0, v55, s15
	s_waitcnt lgkmcnt(0)
	v_cndmask_b32_e32 v8, 0, v8, vcc_lo
	v_add_nc_u32_e32 v5, v55, v5
	s_delay_alu instid0(VALU_DEP_2)
	v_add_nc_u32_e32 v6, v8, v6
	ds_bpermute_b32 v55, v59, v5
	ds_bpermute_b32 v8, v59, v6
	v_cmp_eq_u32_e32 vcc_lo, 0, v5
	s_waitcnt lgkmcnt(0)
	v_cndmask_b32_e32 v8, 0, v8, vcc_lo
	v_cmp_gt_u32_e32 vcc_lo, v60, v56
	v_cndmask_b32_e64 v55, v55, 0, vcc_lo
	s_delay_alu instid0(VALU_DEP_1) | instskip(NEXT) | instid1(VALU_DEP_4)
	v_add_nc_u32_e32 v5, v5, v55
	v_cndmask_b32_e64 v8, v8, 0, vcc_lo
	ds_bpermute_b32 v55, v61, v5
	v_add_nc_u32_e32 v6, v8, v6
	v_cmp_eq_u32_e32 vcc_lo, 0, v5
	ds_bpermute_b32 v8, v61, v6
	s_waitcnt lgkmcnt(0)
	v_cndmask_b32_e32 v8, 0, v8, vcc_lo
	v_cmp_gt_u32_e32 vcc_lo, v62, v56
	v_cndmask_b32_e64 v55, v55, 0, vcc_lo
	s_delay_alu instid0(VALU_DEP_1) | instskip(NEXT) | instid1(VALU_DEP_4)
	v_add_nc_u32_e32 v5, v5, v55
	v_cndmask_b32_e64 v8, v8, 0, vcc_lo
	ds_bpermute_b32 v55, v63, v5
	v_add_nc_u32_e32 v6, v6, v8
	v_cmp_eq_u32_e32 vcc_lo, 0, v5
	ds_bpermute_b32 v8, v63, v6
	;; [unrolled: 11-line block ×3, first 2 shown]
	s_waitcnt lgkmcnt(0)
	v_cndmask_b32_e32 v8, 0, v8, vcc_lo
	v_cmp_gt_u32_e32 vcc_lo, v66, v56
	s_delay_alu instid0(VALU_DEP_2) | instskip(NEXT) | instid1(VALU_DEP_1)
	v_cndmask_b32_e64 v8, v8, 0, vcc_lo
	v_add_nc_u32_e32 v6, v8, v6
	v_cndmask_b32_e64 v8, v55, 0, vcc_lo
	v_cmp_eq_u32_e32 vcc_lo, 0, v3
	s_delay_alu instid0(VALU_DEP_2) | instskip(NEXT) | instid1(VALU_DEP_4)
	v_add3_u32 v5, v5, v3, v8
	v_cndmask_b32_e32 v6, 0, v6, vcc_lo
	s_delay_alu instid0(VALU_DEP_1)
	v_add_nc_u32_e32 v6, v6, v4
.LBB388_132:                            ; =>This Loop Header: Depth=1
                                        ;     Child Loop BB388_135 Depth 2
	s_delay_alu instid0(VALU_DEP_1) | instskip(NEXT) | instid1(VALU_DEP_1)
	v_dual_mov_b32 v4, v6 :: v_dual_and_b32 v3, 0xff, v7
	v_cmp_ne_u16_e32 vcc_lo, 2, v3
	v_cndmask_b32_e64 v3, 0, 1, vcc_lo
	;;#ASMSTART
	;;#ASMEND
	s_delay_alu instid0(VALU_DEP_1)
	v_cmp_ne_u32_e32 vcc_lo, 0, v3
	v_mov_b32_e32 v3, v5
	s_cmp_lg_u32 vcc_lo, exec_lo
	s_cbranch_scc1 .LBB388_137
; %bb.133:                              ;   in Loop: Header=BB388_132 Depth=1
	v_lshlrev_b64 v[5:6], 4, v[53:54]
	s_mov_b32 s15, exec_lo
	s_delay_alu instid0(VALU_DEP_1) | instskip(NEXT) | instid1(VALU_DEP_2)
	v_add_co_u32 v55, vcc_lo, s20, v5
	v_add_co_ci_u32_e32 v56, vcc_lo, s21, v6, vcc_lo
	;;#ASMSTART
	global_load_dwordx4 v[5:8], v[55:56] off glc	
s_waitcnt vmcnt(0)
	;;#ASMEND
	v_and_b32_e32 v8, 0xff, v6
	v_and_b32_e32 v67, 0xff00, v6
	;; [unrolled: 1-line block ×3, first 2 shown]
	v_or3_b32 v5, v5, 0, 0
	v_and_b32_e32 v6, 0xff000000, v6
	s_delay_alu instid0(VALU_DEP_4) | instskip(SKIP_1) | instid1(VALU_DEP_4)
	v_or3_b32 v8, 0, v8, v67
	v_and_b32_e32 v67, 0xff, v7
	v_or3_b32 v5, v5, 0, 0
	s_delay_alu instid0(VALU_DEP_3) | instskip(NEXT) | instid1(VALU_DEP_3)
	v_or3_b32 v6, v8, v68, v6
	v_cmpx_eq_u16_e32 0, v67
	s_cbranch_execz .LBB388_131
; %bb.134:                              ;   in Loop: Header=BB388_132 Depth=1
	s_mov_b32 s24, 0
.LBB388_135:                            ;   Parent Loop BB388_132 Depth=1
                                        ; =>  This Inner Loop Header: Depth=2
	;;#ASMSTART
	global_load_dwordx4 v[5:8], v[55:56] off glc	
s_waitcnt vmcnt(0)
	;;#ASMEND
	v_and_b32_e32 v8, 0xff, v7
	s_delay_alu instid0(VALU_DEP_1) | instskip(SKIP_1) | instid1(SALU_CYCLE_1)
	v_cmp_ne_u16_e32 vcc_lo, 0, v8
	s_or_b32 s24, vcc_lo, s24
	s_and_not1_b32 exec_lo, exec_lo, s24
	s_cbranch_execnz .LBB388_135
; %bb.136:                              ;   in Loop: Header=BB388_132 Depth=1
	s_or_b32 exec_lo, exec_lo, s24
	s_branch .LBB388_131
.LBB388_137:                            ;   in Loop: Header=BB388_132 Depth=1
                                        ; implicit-def: $vgpr6
                                        ; implicit-def: $vgpr5
                                        ; implicit-def: $vgpr7
	s_cbranch_execz .LBB388_132
; %bb.138:
	s_and_saveexec_b32 s15, s14
	s_cbranch_execz .LBB388_140
; %bb.139:
	v_cmp_eq_u32_e32 vcc_lo, 0, v1
	s_mov_b32 s25, 0
	s_add_i32 s24, s33, 32
	v_add_nc_u32_e32 v5, v3, v1
	s_lshl_b64 s[24:25], s[24:25], 4
	v_cndmask_b32_e32 v2, 0, v4, vcc_lo
	s_add_u32 s24, s20, s24
	s_addc_u32 s25, s21, s25
	v_mov_b32_e32 v8, 0
	s_delay_alu instid0(VALU_DEP_2) | instskip(NEXT) | instid1(VALU_DEP_1)
	v_add_nc_u32_e32 v2, s23, v2
	v_and_b32_e32 v6, 0xff000000, v2
	v_and_b32_e32 v7, 0xff0000, v2
	s_delay_alu instid0(VALU_DEP_1) | instskip(SKIP_3) | instid1(VALU_DEP_1)
	v_or_b32_e32 v6, v7, v6
	v_mov_b32_e32 v7, 2
	v_and_b32_e32 v53, 0xff00, v2
	v_and_b32_e32 v2, 0xff, v2
	v_or3_b32 v6, v6, v53, v2
	v_mov_b32_e32 v2, s23
	v_dual_mov_b32 v54, s25 :: v_dual_mov_b32 v53, s24
	;;#ASMSTART
	global_store_dwordx4 v[53:54], v[5:8] off	
s_waitcnt vmcnt(0)
	;;#ASMEND
	ds_store_b128 v8, v[1:4] offset:2048
.LBB388_140:
	s_or_b32 exec_lo, exec_lo, s15
	s_delay_alu instid0(SALU_CYCLE_1)
	s_and_b32 exec_lo, exec_lo, s2
	s_cbranch_execz .LBB388_142
; %bb.141:
	v_mov_b32_e32 v1, 0
	ds_store_b64 v1, v[3:4] offset:2120
.LBB388_142:
	s_or_b32 exec_lo, exec_lo, s22
	s_waitcnt lgkmcnt(1)
	v_cndmask_b32_e64 v4, v35, v51, s14
	s_waitcnt lgkmcnt(0)
	s_barrier
	buffer_gl0_inv
	v_cndmask_b32_e64 v5, v57, v52, s14
	v_cmp_eq_u32_e32 vcc_lo, 0, v4
	v_mov_b32_e32 v3, 0
	ds_load_b64 v[1:2], v3 offset:2120
	s_waitcnt lgkmcnt(0)
	s_barrier
	buffer_gl0_inv
	v_cndmask_b32_e32 v6, 0, v2, vcc_lo
	v_cmp_eq_u32_e32 vcc_lo, 0, v27
	s_delay_alu instid0(VALU_DEP_2) | instskip(NEXT) | instid1(VALU_DEP_1)
	v_add_nc_u32_e32 v5, v6, v5
	v_cndmask_b32_e64 v68, v5, v2, s2
	s_delay_alu instid0(VALU_DEP_1) | instskip(NEXT) | instid1(VALU_DEP_1)
	v_cndmask_b32_e32 v2, 0, v68, vcc_lo
	v_add_nc_u32_e32 v74, v2, v49
	s_delay_alu instid0(VALU_DEP_1) | instskip(NEXT) | instid1(VALU_DEP_1)
	v_cndmask_b32_e64 v2, 0, v74, s13
	v_add_nc_u32_e32 v70, v2, v50
	s_delay_alu instid0(VALU_DEP_1) | instskip(NEXT) | instid1(VALU_DEP_1)
	v_cndmask_b32_e64 v2, 0, v70, s12
	;; [unrolled: 3-line block ×5, first 2 shown]
	v_add_nc_u32_e32 v54, v2, v46
	v_cndmask_b32_e64 v2, v4, 0, s2
	s_delay_alu instid0(VALU_DEP_2) | instskip(NEXT) | instid1(VALU_DEP_2)
	v_cndmask_b32_e64 v4, 0, v54, s8
	v_add_nc_u32_e32 v67, v1, v2
	s_delay_alu instid0(VALU_DEP_2) | instskip(NEXT) | instid1(VALU_DEP_1)
	v_add_nc_u32_e32 v58, v4, v43
	v_cndmask_b32_e64 v1, 0, v58, s7
	s_delay_alu instid0(VALU_DEP_1) | instskip(NEXT) | instid1(VALU_DEP_1)
	v_add_nc_u32_e32 v62, v1, v44
	v_cndmask_b32_e64 v1, 0, v62, s6
	s_delay_alu instid0(VALU_DEP_1) | instskip(NEXT) | instid1(VALU_DEP_1)
	;; [unrolled: 3-line block ×3, first 2 shown]
	v_add_nc_u32_e32 v8, v1, v42
	v_cndmask_b32_e64 v1, 0, v8, s4
	s_delay_alu instid0(VALU_DEP_1) | instskip(SKIP_2) | instid1(VALU_DEP_1)
	v_add_nc_u32_e32 v52, v1, v39
	ds_load_b128 v[1:4], v3 offset:2048
	v_cndmask_b32_e64 v35, 0, v52, s3
	v_add_nc_u32_e32 v76, v35, v40
	s_delay_alu instid0(VALU_DEP_1) | instskip(NEXT) | instid1(VALU_DEP_1)
	v_cndmask_b32_e64 v35, 0, v76, s1
	v_add_nc_u32_e32 v72, v35, v37
	s_waitcnt lgkmcnt(0)
	v_cmp_eq_u32_e32 vcc_lo, 0, v1
	s_delay_alu instid0(VALU_DEP_2) | instskip(SKIP_1) | instid1(VALU_DEP_2)
	v_cndmask_b32_e64 v35, 0, v72, s0
	v_dual_cndmask_b32 v4, 0, v4 :: v_dual_add_nc_u32 v73, v67, v27
	v_add_nc_u32_e32 v64, v35, v38
	s_delay_alu instid0(VALU_DEP_2) | instskip(NEXT) | instid1(VALU_DEP_3)
	v_add_nc_u32_e32 v35, v4, v2
	v_add_nc_u32_e32 v69, v73, v36
	s_delay_alu instid0(VALU_DEP_1) | instskip(NEXT) | instid1(VALU_DEP_1)
	v_add_nc_u32_e32 v65, v69, v33
	v_add_nc_u32_e32 v59, v65, v34
	s_delay_alu instid0(VALU_DEP_1) | instskip(NEXT) | instid1(VALU_DEP_1)
	;; [unrolled: 3-line block ×6, first 2 shown]
	v_add_nc_u32_e32 v71, v75, v79
	v_add_nc_u32_e32 v63, v71, v28
	s_branch .LBB388_155
.LBB388_143:
                                        ; implicit-def: $vgpr1
                                        ; implicit-def: $vgpr35
                                        ; implicit-def: $vgpr67_vgpr68
                                        ; implicit-def: $vgpr73_vgpr74
                                        ; implicit-def: $vgpr69_vgpr70
                                        ; implicit-def: $vgpr65_vgpr66
                                        ; implicit-def: $vgpr59_vgpr60
                                        ; implicit-def: $vgpr55_vgpr56
                                        ; implicit-def: $vgpr53_vgpr54
                                        ; implicit-def: $vgpr57_vgpr58
                                        ; implicit-def: $vgpr61_vgpr62
                                        ; implicit-def: $vgpr5_vgpr6
                                        ; implicit-def: $vgpr7_vgpr8
                                        ; implicit-def: $vgpr51_vgpr52
                                        ; implicit-def: $vgpr75_vgpr76
                                        ; implicit-def: $vgpr71_vgpr72
                                        ; implicit-def: $vgpr63_vgpr64
	s_cbranch_execz .LBB388_155
; %bb.144:
	s_and_b32 s0, s16, exec_lo
	v_mov_b32_e32 v35, v49
	s_cselect_b32 s1, 0, s35
	s_cselect_b32 s0, 0, s34
	s_delay_alu instid0(SALU_CYCLE_1)
	s_cmp_eq_u64 s[0:1], 0
	s_cbranch_scc1 .LBB388_146
; %bb.145:
	v_mov_b32_e32 v1, 0
	global_load_b32 v35, v1, s[0:1]
.LBB388_146:
	v_cmp_eq_u32_e64 s7, 0, v36
	v_cmp_eq_u32_e64 s8, 0, v33
	;; [unrolled: 1-line block ×5, first 2 shown]
	v_cndmask_b32_e64 v1, 0, v49, s7
	v_cmp_eq_u32_e64 s12, 0, v29
	v_cmp_eq_u32_e64 s6, 0, v30
	;; [unrolled: 1-line block ×4, first 2 shown]
	v_add_nc_u32_e32 v1, v1, v50
	v_cmp_eq_u32_e64 s3, 0, v23
	v_add3_u32 v2, v84, v32, v29
	v_cmp_eq_u32_e64 s1, 0, v24
	v_cmp_eq_u32_e32 vcc_lo, 0, v79
	v_cndmask_b32_e64 v1, 0, v1, s8
	v_cmp_eq_u32_e64 s0, 0, v28
	v_add3_u32 v2, v2, v30, v25
	v_cmp_eq_u32_e64 s13, 0, v78
	v_and_b32_e32 v4, 15, v81
	v_add_nc_u32_e32 v1, v1, v47
	s_delay_alu instid0(VALU_DEP_4) | instskip(NEXT) | instid1(VALU_DEP_3)
	v_add3_u32 v2, v2, v26, v23
	v_cmp_lt_u32_e64 s14, 1, v4
	s_delay_alu instid0(VALU_DEP_3) | instskip(NEXT) | instid1(VALU_DEP_3)
	v_cndmask_b32_e64 v1, 0, v1, s9
	v_add3_u32 v2, v2, v24, v79
	s_delay_alu instid0(VALU_DEP_2) | instskip(NEXT) | instid1(VALU_DEP_2)
	v_add_nc_u32_e32 v1, v1, v48
	v_add3_u32 v2, v2, v28, v78
	s_delay_alu instid0(VALU_DEP_2) | instskip(SKIP_1) | instid1(VALU_DEP_2)
	v_cndmask_b32_e64 v1, 0, v1, s10
	s_waitcnt lgkmcnt(0)
	v_mov_b32_dpp v5, v2 row_shr:1 row_mask:0xf bank_mask:0xf
	s_delay_alu instid0(VALU_DEP_2) | instskip(NEXT) | instid1(VALU_DEP_1)
	v_add_nc_u32_e32 v1, v1, v45
	v_cndmask_b32_e64 v1, 0, v1, s11
	s_delay_alu instid0(VALU_DEP_1) | instskip(NEXT) | instid1(VALU_DEP_1)
	v_add_nc_u32_e32 v1, v1, v46
	v_cndmask_b32_e64 v1, 0, v1, s12
	s_delay_alu instid0(VALU_DEP_1) | instskip(NEXT) | instid1(VALU_DEP_1)
	;; [unrolled: 3-line block ×7, first 2 shown]
	v_add_nc_u32_e32 v1, v1, v40
	v_cndmask_b32_e32 v1, 0, v1, vcc_lo
	s_delay_alu instid0(VALU_DEP_1) | instskip(NEXT) | instid1(VALU_DEP_1)
	v_add_nc_u32_e32 v1, v1, v37
	v_cndmask_b32_e64 v1, 0, v1, s0
	s_delay_alu instid0(VALU_DEP_1) | instskip(NEXT) | instid1(VALU_DEP_1)
	v_add_nc_u32_e32 v1, v1, v38
	v_cndmask_b32_e64 v1, 0, v1, s13
	v_cmp_eq_u32_e64 s13, 0, v2
	s_delay_alu instid0(VALU_DEP_2) | instskip(NEXT) | instid1(VALU_DEP_1)
	v_add_nc_u32_e32 v1, v1, v80
	v_mov_b32_dpp v3, v1 row_shr:1 row_mask:0xf bank_mask:0xf
	s_delay_alu instid0(VALU_DEP_1) | instskip(SKIP_1) | instid1(VALU_DEP_1)
	v_cndmask_b32_e64 v3, 0, v3, s13
	v_cmp_eq_u32_e64 s13, 0, v4
	v_cndmask_b32_e64 v5, v5, 0, s13
	s_delay_alu instid0(VALU_DEP_3) | instskip(NEXT) | instid1(VALU_DEP_2)
	v_cndmask_b32_e64 v3, v3, 0, s13
	v_add_nc_u32_e32 v2, v5, v2
	s_delay_alu instid0(VALU_DEP_2) | instskip(NEXT) | instid1(VALU_DEP_2)
	v_add_nc_u32_e32 v1, v3, v1
	v_mov_b32_dpp v3, v2 row_shr:2 row_mask:0xf bank_mask:0xf
	v_cmp_eq_u32_e64 s13, 0, v2
	s_delay_alu instid0(VALU_DEP_3) | instskip(NEXT) | instid1(VALU_DEP_3)
	v_mov_b32_dpp v5, v1 row_shr:2 row_mask:0xf bank_mask:0xf
	v_cndmask_b32_e64 v3, 0, v3, s14
	s_delay_alu instid0(VALU_DEP_3) | instskip(SKIP_1) | instid1(VALU_DEP_3)
	s_and_b32 s13, s14, s13
	v_cmp_lt_u32_e64 s14, 3, v4
	v_cndmask_b32_e64 v5, 0, v5, s13
	s_delay_alu instid0(VALU_DEP_3) | instskip(NEXT) | instid1(VALU_DEP_2)
	v_add_nc_u32_e32 v2, v2, v3
	v_add_nc_u32_e32 v1, v5, v1
	s_delay_alu instid0(VALU_DEP_2) | instskip(SKIP_1) | instid1(VALU_DEP_3)
	v_mov_b32_dpp v3, v2 row_shr:4 row_mask:0xf bank_mask:0xf
	v_cmp_eq_u32_e64 s13, 0, v2
	v_mov_b32_dpp v5, v1 row_shr:4 row_mask:0xf bank_mask:0xf
	s_delay_alu instid0(VALU_DEP_3) | instskip(NEXT) | instid1(VALU_DEP_3)
	v_cndmask_b32_e64 v3, 0, v3, s14
	s_and_b32 s13, s14, s13
	v_cmp_lt_u32_e64 s14, 7, v4
	s_delay_alu instid0(VALU_DEP_3) | instskip(NEXT) | instid1(VALU_DEP_3)
	v_cndmask_b32_e64 v5, 0, v5, s13
	v_add_nc_u32_e32 v2, v3, v2
	s_delay_alu instid0(VALU_DEP_2) | instskip(SKIP_1) | instid1(VALU_DEP_3)
	v_add_nc_u32_e32 v1, v1, v5
	v_bfe_i32 v5, v81, 4, 1
	v_cmp_eq_u32_e64 s13, 0, v2
	v_mov_b32_dpp v3, v2 row_shr:8 row_mask:0xf bank_mask:0xf
	s_delay_alu instid0(VALU_DEP_4) | instskip(NEXT) | instid1(VALU_DEP_3)
	v_mov_b32_dpp v4, v1 row_shr:8 row_mask:0xf bank_mask:0xf
	s_and_b32 s13, s14, s13
	s_delay_alu instid0(VALU_DEP_2) | instskip(SKIP_1) | instid1(VALU_DEP_2)
	v_cndmask_b32_e64 v3, 0, v3, s14
	s_mov_b32 s14, exec_lo
	v_cndmask_b32_e64 v4, 0, v4, s13
	s_delay_alu instid0(VALU_DEP_1) | instskip(NEXT) | instid1(VALU_DEP_3)
	v_add_nc_u32_e32 v4, v4, v1
	v_add_nc_u32_e32 v1, v3, v2
	ds_swizzle_b32 v2, v4 offset:swizzle(BROADCAST,32,15)
	ds_swizzle_b32 v3, v1 offset:swizzle(BROADCAST,32,15)
	v_cmp_eq_u32_e64 s13, 0, v1
	s_waitcnt lgkmcnt(1)
	s_delay_alu instid0(VALU_DEP_1) | instskip(SKIP_2) | instid1(VALU_DEP_2)
	v_cndmask_b32_e64 v2, 0, v2, s13
	s_waitcnt lgkmcnt(0)
	v_and_b32_e32 v3, v5, v3
	v_and_b32_e32 v2, v5, v2
	s_delay_alu instid0(VALU_DEP_2) | instskip(NEXT) | instid1(VALU_DEP_2)
	v_add_nc_u32_e32 v1, v3, v1
	v_add_nc_u32_e32 v2, v2, v4
	v_lshlrev_b32_e32 v4, 3, v82
	v_cmpx_eq_u32_e64 v83, v0
	s_cbranch_execz .LBB388_148
; %bb.147:
	ds_store_b64 v4, v[1:2] offset:2064
.LBB388_148:
	s_or_b32 exec_lo, exec_lo, s14
	s_delay_alu instid0(SALU_CYCLE_1)
	s_mov_b32 s15, exec_lo
	s_waitcnt vmcnt(0) lgkmcnt(0)
	s_barrier
	buffer_gl0_inv
	v_cmpx_gt_u32_e32 8, v0
	s_cbranch_execz .LBB388_150
; %bb.149:
	v_lshlrev_b32_e32 v3, 3, v0
	v_and_b32_e32 v8, 7, v81
	ds_load_b64 v[5:6], v3 offset:2064
	v_cmp_lt_u32_e64 s14, 1, v8
	s_waitcnt lgkmcnt(0)
	v_mov_b32_dpp v7, v6 row_shr:1 row_mask:0xf bank_mask:0xf
	v_cmp_eq_u32_e64 s13, 0, v5
	v_mov_b32_dpp v51, v5 row_shr:1 row_mask:0xf bank_mask:0xf
	s_delay_alu instid0(VALU_DEP_2) | instskip(SKIP_1) | instid1(VALU_DEP_1)
	v_cndmask_b32_e64 v7, 0, v7, s13
	v_cmp_eq_u32_e64 s13, 0, v8
	v_cndmask_b32_e64 v51, v51, 0, s13
	s_delay_alu instid0(VALU_DEP_3) | instskip(NEXT) | instid1(VALU_DEP_2)
	v_cndmask_b32_e64 v7, v7, 0, s13
	v_add_nc_u32_e32 v5, v51, v5
	s_delay_alu instid0(VALU_DEP_2) | instskip(NEXT) | instid1(VALU_DEP_2)
	v_add_nc_u32_e32 v6, v7, v6
	v_mov_b32_dpp v7, v5 row_shr:2 row_mask:0xf bank_mask:0xf
	v_cmp_eq_u32_e64 s13, 0, v5
	s_delay_alu instid0(VALU_DEP_3) | instskip(NEXT) | instid1(VALU_DEP_3)
	v_mov_b32_dpp v51, v6 row_shr:2 row_mask:0xf bank_mask:0xf
	v_cndmask_b32_e64 v7, 0, v7, s14
	s_delay_alu instid0(VALU_DEP_3) | instskip(SKIP_1) | instid1(VALU_DEP_3)
	s_and_b32 s13, s14, s13
	v_cmp_lt_u32_e64 s14, 3, v8
	v_cndmask_b32_e64 v51, 0, v51, s13
	s_delay_alu instid0(VALU_DEP_3) | instskip(NEXT) | instid1(VALU_DEP_2)
	v_add_nc_u32_e32 v5, v7, v5
	v_add_nc_u32_e32 v6, v51, v6
	s_delay_alu instid0(VALU_DEP_2) | instskip(SKIP_1) | instid1(VALU_DEP_3)
	v_cmp_eq_u32_e64 s13, 0, v5
	v_mov_b32_dpp v7, v5 row_shr:4 row_mask:0xf bank_mask:0xf
	v_mov_b32_dpp v8, v6 row_shr:4 row_mask:0xf bank_mask:0xf
	s_delay_alu instid0(VALU_DEP_3) | instskip(NEXT) | instid1(VALU_DEP_2)
	s_and_b32 s13, s14, s13
	v_cndmask_b32_e64 v7, 0, v7, s14
	s_delay_alu instid0(VALU_DEP_2) | instskip(NEXT) | instid1(VALU_DEP_2)
	v_cndmask_b32_e64 v8, 0, v8, s13
	v_add_nc_u32_e32 v5, v7, v5
	s_delay_alu instid0(VALU_DEP_2)
	v_add_nc_u32_e32 v6, v8, v6
	ds_store_b64 v3, v[5:6] offset:2064
.LBB388_150:
	s_or_b32 exec_lo, exec_lo, s15
	v_mov_b32_e32 v7, 0
	v_mov_b32_e32 v3, 0
	;; [unrolled: 1-line block ×3, first 2 shown]
	s_mov_b32 s14, exec_lo
	s_waitcnt lgkmcnt(0)
	s_barrier
	buffer_gl0_inv
	v_cmpx_lt_u32_e32 31, v0
	s_cbranch_execz .LBB388_152
; %bb.151:
	ds_load_b64 v[3:4], v4 offset:2056
	s_waitcnt lgkmcnt(0)
	v_cmp_eq_u32_e64 s13, 0, v3
	s_delay_alu instid0(VALU_DEP_1) | instskip(NEXT) | instid1(VALU_DEP_1)
	v_cndmask_b32_e64 v5, 0, v35, s13
	v_add_nc_u32_e32 v5, v5, v4
.LBB388_152:
	s_or_b32 exec_lo, exec_lo, s14
	v_add_nc_u32_e32 v4, -1, v81
	s_delay_alu instid0(VALU_DEP_1) | instskip(NEXT) | instid1(VALU_DEP_1)
	v_cmp_gt_i32_e64 s13, 0, v4
	v_cndmask_b32_e64 v4, v4, v81, s13
	v_cmp_eq_u32_e64 s13, 0, v1
	v_add_nc_u32_e32 v1, v3, v1
	s_delay_alu instid0(VALU_DEP_3) | instskip(NEXT) | instid1(VALU_DEP_3)
	v_lshlrev_b32_e32 v4, 2, v4
	v_cndmask_b32_e64 v6, 0, v5, s13
	v_cmp_eq_u32_e64 s13, 0, v81
	ds_bpermute_b32 v1, v4, v1
	v_add_nc_u32_e32 v2, v6, v2
	ds_bpermute_b32 v2, v4, v2
	s_waitcnt lgkmcnt(1)
	v_cndmask_b32_e64 v1, v1, v3, s13
	s_delay_alu instid0(VALU_DEP_1) | instskip(SKIP_3) | instid1(VALU_DEP_3)
	v_cndmask_b32_e64 v67, v1, 0, s2
	s_waitcnt lgkmcnt(0)
	v_cndmask_b32_e64 v2, v2, v5, s13
	v_cmp_eq_u32_e64 s13, 0, v27
	v_add_nc_u32_e32 v73, v67, v27
	s_delay_alu instid0(VALU_DEP_3) | instskip(NEXT) | instid1(VALU_DEP_2)
	v_cndmask_b32_e64 v68, v2, v35, s2
	v_add_nc_u32_e32 v69, v73, v36
	s_delay_alu instid0(VALU_DEP_2) | instskip(NEXT) | instid1(VALU_DEP_2)
	v_cndmask_b32_e64 v2, 0, v68, s13
	v_add_nc_u32_e32 v65, v69, v33
	s_delay_alu instid0(VALU_DEP_2) | instskip(NEXT) | instid1(VALU_DEP_2)
	v_add_nc_u32_e32 v74, v2, v49
	v_add_nc_u32_e32 v59, v65, v34
	s_delay_alu instid0(VALU_DEP_2) | instskip(NEXT) | instid1(VALU_DEP_2)
	v_cndmask_b32_e64 v2, 0, v74, s7
	v_add_nc_u32_e32 v55, v59, v31
	s_delay_alu instid0(VALU_DEP_2) | instskip(NEXT) | instid1(VALU_DEP_2)
	v_add_nc_u32_e32 v70, v2, v50
	v_add_nc_u32_e32 v53, v55, v32
	s_delay_alu instid0(VALU_DEP_2) | instskip(NEXT) | instid1(VALU_DEP_2)
	v_cndmask_b32_e64 v2, 0, v70, s8
	v_add_nc_u32_e32 v57, v53, v29
	s_delay_alu instid0(VALU_DEP_2) | instskip(NEXT) | instid1(VALU_DEP_2)
	v_add_nc_u32_e32 v66, v2, v47
	v_add_nc_u32_e32 v61, v57, v30
	s_delay_alu instid0(VALU_DEP_2) | instskip(NEXT) | instid1(VALU_DEP_2)
	v_cndmask_b32_e64 v2, 0, v66, s9
	v_add_nc_u32_e32 v5, v61, v25
	s_delay_alu instid0(VALU_DEP_2) | instskip(NEXT) | instid1(VALU_DEP_1)
	v_add_nc_u32_e32 v60, v2, v48
	v_cndmask_b32_e64 v2, 0, v60, s10
	s_delay_alu instid0(VALU_DEP_1) | instskip(NEXT) | instid1(VALU_DEP_1)
	v_add_nc_u32_e32 v56, v2, v45
	v_cndmask_b32_e64 v2, 0, v56, s11
	s_delay_alu instid0(VALU_DEP_1) | instskip(NEXT) | instid1(VALU_DEP_1)
	;; [unrolled: 3-line block ×6, first 2 shown]
	v_add_nc_u32_e32 v8, v1, v42
	v_cndmask_b32_e64 v1, 0, v8, s3
	s_delay_alu instid0(VALU_DEP_1) | instskip(SKIP_3) | instid1(VALU_DEP_2)
	v_add_nc_u32_e32 v52, v1, v39
	ds_load_b64 v[1:2], v7 offset:2120
	v_add_nc_u32_e32 v7, v5, v26
	v_cndmask_b32_e64 v3, 0, v52, s1
	v_add_nc_u32_e32 v51, v7, v23
	s_delay_alu instid0(VALU_DEP_2) | instskip(NEXT) | instid1(VALU_DEP_2)
	v_add_nc_u32_e32 v76, v3, v40
	v_add_nc_u32_e32 v75, v51, v24
	s_delay_alu instid0(VALU_DEP_2) | instskip(NEXT) | instid1(VALU_DEP_2)
	v_cndmask_b32_e32 v3, 0, v76, vcc_lo
	v_add_nc_u32_e32 v71, v75, v79
	s_delay_alu instid0(VALU_DEP_2) | instskip(SKIP_2) | instid1(VALU_DEP_3)
	v_add_nc_u32_e32 v72, v3, v37
	s_waitcnt lgkmcnt(0)
	v_cmp_eq_u32_e32 vcc_lo, 0, v1
	v_add_nc_u32_e32 v63, v71, v28
	s_delay_alu instid0(VALU_DEP_3) | instskip(SKIP_1) | instid1(VALU_DEP_2)
	v_cndmask_b32_e64 v3, 0, v72, s0
	v_cndmask_b32_e32 v4, 0, v35, vcc_lo
	v_add_nc_u32_e32 v64, v3, v38
	s_delay_alu instid0(VALU_DEP_2)
	v_add_nc_u32_e32 v35, v4, v2
	s_and_saveexec_b32 s0, s2
	s_cbranch_execz .LBB388_154
; %bb.153:
	s_delay_alu instid0(VALU_DEP_1)
	v_and_b32_e32 v2, 0xff000000, v35
	v_dual_mov_b32 v4, 0 :: v_dual_and_b32 v3, 0xff0000, v35
	s_add_u32 s4, s20, 0x200
	v_and_b32_e32 v37, 0xff00, v35
	s_addc_u32 s5, s21, 0
	v_and_b32_e32 v38, 0xff, v35
	v_or_b32_e32 v2, v3, v2
	v_mov_b32_e32 v3, 2
	s_delay_alu instid0(VALU_DEP_2)
	v_or3_b32 v2, v2, v37, v38
	v_dual_mov_b32 v38, s5 :: v_dual_mov_b32 v37, s4
	;;#ASMSTART
	global_store_dwordx4 v[37:38], v[1:4] off	
s_waitcnt vmcnt(0)
	;;#ASMEND
.LBB388_154:
	s_or_b32 exec_lo, exec_lo, s0
	v_mov_b32_e32 v3, 0
.LBB388_155:
	v_mov_b32_e32 v37, 0
	s_and_b32 s0, s16, exec_lo
	v_mov_b32_e32 v38, 0
	s_cselect_b32 s1, 0, s39
	s_cselect_b32 s0, 0, s38
	s_waitcnt lgkmcnt(0)
	s_cmp_eq_u64 s[0:1], 0
	s_barrier
	buffer_gl0_inv
	s_cbranch_scc1 .LBB388_157
; %bb.156:
	v_mov_b32_e32 v2, 0
	global_load_b64 v[37:38], v2, s[0:1]
.LBB388_157:
	v_cmp_eq_u32_e32 vcc_lo, 0, v27
	v_cmp_ne_u32_e64 s15, 0, v27
	v_cmp_ne_u32_e64 s14, 0, v36
	;; [unrolled: 1-line block ×4, first 2 shown]
	v_cndmask_b32_e64 v2, 1, 2, vcc_lo
	v_cmp_eq_u32_e32 vcc_lo, 0, v36
	v_cmp_ne_u32_e64 s11, 0, v31
	v_cmp_ne_u32_e64 s10, 0, v32
	;; [unrolled: 1-line block ×4, first 2 shown]
	v_cndmask_b32_e64 v4, 1, 2, vcc_lo
	v_cmp_eq_u32_e32 vcc_lo, 0, v33
	v_cmp_ne_u32_e64 s9, 0, v25
	v_cmp_ne_u32_e64 s7, 0, v26
	;; [unrolled: 1-line block ×3, first 2 shown]
	v_and_b32_e32 v2, v4, v2
	v_cndmask_b32_e64 v39, 1, 2, vcc_lo
	v_cmp_eq_u32_e32 vcc_lo, 0, v34
	v_cmp_ne_u32_e64 s4, 0, v24
	v_cmp_ne_u32_e64 s3, 0, v79
	;; [unrolled: 1-line block ×3, first 2 shown]
	v_and_b32_e32 v2, v2, v39
	v_cndmask_b32_e64 v4, 1, 2, vcc_lo
	v_cmp_eq_u32_e32 vcc_lo, 0, v31
	v_cmp_ne_u32_e64 s0, 0, v78
	s_delay_alu instid0(VALU_DEP_3) | instskip(SKIP_2) | instid1(VALU_DEP_2)
	v_and_b32_e32 v2, v2, v4
	v_cndmask_b32_e64 v39, 1, 2, vcc_lo
	v_cmp_eq_u32_e32 vcc_lo, 0, v32
	v_and_b32_e32 v2, v2, v39
	v_cndmask_b32_e64 v4, 1, 2, vcc_lo
	v_cmp_eq_u32_e32 vcc_lo, 0, v29
	s_waitcnt vmcnt(0)
	v_lshlrev_b64 v[39:40], 2, v[37:38]
	s_delay_alu instid0(VALU_DEP_3) | instskip(SKIP_2) | instid1(VALU_DEP_2)
	v_and_b32_e32 v2, v2, v4
	v_cndmask_b32_e64 v41, 1, 2, vcc_lo
	v_cmp_eq_u32_e32 vcc_lo, 0, v30
	v_and_b32_e32 v2, v2, v41
	v_cndmask_b32_e64 v42, 1, 2, vcc_lo
	v_cmp_eq_u32_e32 vcc_lo, 0, v25
	s_delay_alu instid0(VALU_DEP_2) | instskip(SKIP_2) | instid1(VALU_DEP_2)
	v_and_b32_e32 v2, v2, v42
	v_cndmask_b32_e64 v41, 1, 2, vcc_lo
	v_cmp_eq_u32_e32 vcc_lo, 0, v26
	v_and_b32_e32 v2, v2, v41
	v_cndmask_b32_e64 v42, 1, 2, vcc_lo
	v_cmp_eq_u32_e32 vcc_lo, 0, v23
	s_delay_alu instid0(VALU_DEP_2) | instskip(SKIP_2) | instid1(VALU_DEP_2)
	v_and_b32_e32 v2, v2, v42
	v_cndmask_b32_e64 v41, 1, 2, vcc_lo
	v_cmp_eq_u32_e32 vcc_lo, 0, v24
	v_and_b32_e32 v2, v2, v41
	v_cndmask_b32_e64 v43, 1, 2, vcc_lo
	v_cmp_eq_u32_e32 vcc_lo, 0, v79
	s_delay_alu instid0(VALU_DEP_2) | instskip(SKIP_2) | instid1(VALU_DEP_2)
	v_and_b32_e32 v2, v2, v43
	v_cndmask_b32_e64 v44, 1, 2, vcc_lo
	v_cmp_eq_u32_e32 vcc_lo, 0, v28
	v_and_b32_e32 v44, v2, v44
	v_cndmask_b32_e64 v45, 1, 2, vcc_lo
	v_mov_b32_e32 v4, 0
	s_delay_alu instid0(VALU_DEP_1) | instskip(SKIP_3) | instid1(VALU_DEP_2)
	v_lshlrev_b64 v[41:42], 2, v[3:4]
	v_add_co_u32 v4, vcc_lo, s18, v39
	v_add_co_ci_u32_e32 v43, vcc_lo, s19, v40, vcc_lo
	s_mov_b32 s18, -1
	v_add_co_u32 v2, vcc_lo, v4, v41
	s_delay_alu instid0(VALU_DEP_2) | instskip(SKIP_4) | instid1(VALU_DEP_2)
	v_add_co_ci_u32_e32 v4, vcc_lo, v43, v42, vcc_lo
	v_and_b32_e32 v43, v44, v45
	v_cmp_eq_u32_e32 vcc_lo, 0, v78
	v_cndmask_b32_e64 v44, 1, 2, vcc_lo
	v_cmp_gt_u32_e32 vcc_lo, 0x100, v1
	v_and_b32_e32 v43, v43, v44
	s_delay_alu instid0(VALU_DEP_1)
	v_cmp_gt_i16_e64 s16, 2, v43
	s_cbranch_vccz .LBB388_164
; %bb.158:
	s_delay_alu instid0(VALU_DEP_1)
	s_and_saveexec_b32 s18, s16
	s_cbranch_execz .LBB388_163
; %bb.159:
	s_mov_b32 s19, 0
	s_mov_b32 s16, exec_lo
	v_cmpx_ne_u16_e32 1, v43
	s_xor_b32 s16, exec_lo, s16
	s_cbranch_execnz .LBB388_229
; %bb.160:
	s_and_not1_saveexec_b32 s16, s16
	s_cbranch_execnz .LBB388_245
.LBB388_161:
	s_or_b32 exec_lo, exec_lo, s16
	s_delay_alu instid0(SALU_CYCLE_1)
	s_and_b32 exec_lo, exec_lo, s19
	s_cbranch_execz .LBB388_163
.LBB388_162:
	v_sub_nc_u32_e32 v44, v63, v3
	v_mov_b32_e32 v45, 0
	s_delay_alu instid0(VALU_DEP_1) | instskip(NEXT) | instid1(VALU_DEP_1)
	v_lshlrev_b64 v[44:45], 2, v[44:45]
	v_add_co_u32 v44, vcc_lo, v2, v44
	s_delay_alu instid0(VALU_DEP_2)
	v_add_co_ci_u32_e32 v45, vcc_lo, v4, v45, vcc_lo
	global_store_b32 v[44:45], v77, off
.LBB388_163:
	s_or_b32 exec_lo, exec_lo, s18
	s_mov_b32 s18, 0
.LBB388_164:
	s_delay_alu instid0(SALU_CYCLE_1)
	s_and_b32 vcc_lo, exec_lo, s18
	s_cbranch_vccz .LBB388_174
; %bb.165:
	s_mov_b32 s16, exec_lo
	v_cmpx_gt_i16_e32 2, v43
	s_cbranch_execz .LBB388_170
; %bb.166:
	s_mov_b32 s19, 0
	s_mov_b32 s18, exec_lo
	v_cmpx_ne_u16_e32 1, v43
	s_xor_b32 s18, exec_lo, s18
	s_cbranch_execnz .LBB388_246
; %bb.167:
	s_and_not1_saveexec_b32 s0, s18
	s_cbranch_execnz .LBB388_262
.LBB388_168:
	s_or_b32 exec_lo, exec_lo, s0
	s_delay_alu instid0(SALU_CYCLE_1)
	s_and_b32 exec_lo, exec_lo, s19
	s_cbranch_execz .LBB388_170
.LBB388_169:
	v_sub_nc_u32_e32 v9, v63, v3
	s_delay_alu instid0(VALU_DEP_1)
	v_lshlrev_b32_e32 v9, 2, v9
	ds_store_b32 v9, v77
.LBB388_170:
	s_or_b32 exec_lo, exec_lo, s16
	s_delay_alu instid0(SALU_CYCLE_1)
	s_mov_b32 s1, exec_lo
	s_waitcnt lgkmcnt(0)
	s_waitcnt_vscnt null, 0x0
	s_barrier
	buffer_gl0_inv
	v_cmpx_lt_u32_e64 v0, v1
	s_cbranch_execz .LBB388_173
; %bb.171:
	v_dual_mov_b32 v10, 0 :: v_dual_lshlrev_b32 v11, 2, v0
	v_mov_b32_e32 v9, v0
	s_mov_b32 s3, 0
	.p2align	6
.LBB388_172:                            ; =>This Inner Loop Header: Depth=1
	ds_load_b32 v14, v11
	v_lshlrev_b64 v[12:13], 2, v[9:10]
	v_add_nc_u32_e32 v9, 0x100, v9
	v_add_nc_u32_e32 v11, 0x400, v11
	s_delay_alu instid0(VALU_DEP_2) | instskip(NEXT) | instid1(VALU_DEP_4)
	v_cmp_ge_u32_e32 vcc_lo, v9, v1
	v_add_co_u32 v12, s0, v2, v12
	s_delay_alu instid0(VALU_DEP_1)
	v_add_co_ci_u32_e64 v13, s0, v4, v13, s0
	s_or_b32 s3, vcc_lo, s3
	s_waitcnt lgkmcnt(0)
	global_store_b32 v[12:13], v14, off
	s_and_not1_b32 exec_lo, exec_lo, s3
	s_cbranch_execnz .LBB388_172
.LBB388_173:
	s_or_b32 exec_lo, exec_lo, s1
.LBB388_174:
	s_cmpk_lg_i32 s26, 0xf00
	v_cndmask_b32_e64 v4, 0, 1, s27
	s_cselect_b32 s0, -1, 0
	v_mad_i32_i24 v10, v0, -15, s26
	s_and_b32 s0, s0, s17
	s_and_b32 s1, s2, s27
	v_cndmask_b32_e64 v9, 0, 1, s0
	s_mul_hi_u32 s0, s26, 0x88888889
	v_sub_nc_u32_e32 v2, v1, v4
	s_lshr_b32 s0, s0, 3
	v_cndmask_b32_e64 v11, v27, 0, s1
	v_cmp_eq_u32_e32 vcc_lo, s0, v0
	v_cmp_ne_u32_e64 s0, 0, v10
	s_mov_b32 s16, -1
	s_waitcnt_vscnt null, 0x0
	s_barrier
	s_and_b32 vcc_lo, vcc_lo, s17
	v_add_nc_u32_e32 v2, v2, v9
	v_cndmask_b32_e64 v9, 1, v11, s0
	v_cmp_ne_u32_e64 s0, 1, v10
	buffer_gl0_inv
	v_cndmask_b32_e64 v12, 1, v36, s0
	v_cmp_ne_u32_e64 s0, 14, v10
	s_delay_alu instid0(VALU_DEP_2) | instskip(NEXT) | instid1(VALU_DEP_2)
	v_cndmask_b32_e32 v17, v36, v12, vcc_lo
	v_cndmask_b32_e64 v13, 1, v78, s0
	v_cmp_ne_u32_e64 s0, 2, v10
	s_delay_alu instid0(VALU_DEP_3) | instskip(NEXT) | instid1(VALU_DEP_3)
	v_cmp_ne_u32_e64 s13, 0, v17
	v_cndmask_b32_e32 v16, v78, v13, vcc_lo
	s_delay_alu instid0(VALU_DEP_3) | instskip(SKIP_1) | instid1(VALU_DEP_2)
	v_cndmask_b32_e64 v14, 1, v33, s0
	v_cmp_ne_u32_e64 s0, 3, v10
	v_dual_cndmask_b32 v13, v11, v9 :: v_dual_cndmask_b32 v14, v33, v14
	s_delay_alu instid0(VALU_DEP_2) | instskip(SKIP_1) | instid1(VALU_DEP_3)
	v_cndmask_b32_e64 v15, 1, v34, s0
	v_cmp_ne_u32_e64 s0, 4, v10
	v_cmp_ne_u32_e64 s14, 0, v13
	s_delay_alu instid0(VALU_DEP_4) | instskip(NEXT) | instid1(VALU_DEP_3)
	v_cmp_ne_u32_e64 s12, 0, v14
	v_cndmask_b32_e64 v9, 1, v31, s0
	v_cmp_ne_u32_e64 s0, 5, v10
	s_delay_alu instid0(VALU_DEP_1) | instskip(SKIP_1) | instid1(VALU_DEP_2)
	v_cndmask_b32_e64 v11, 1, v32, s0
	v_cmp_eq_u32_e64 s0, 0, v13
	v_cndmask_b32_e32 v27, v32, v11, vcc_lo
	s_delay_alu instid0(VALU_DEP_2) | instskip(SKIP_1) | instid1(VALU_DEP_3)
	v_cndmask_b32_e64 v12, 1, 2, s0
	v_cmp_eq_u32_e64 s0, 0, v17
	v_cmp_ne_u32_e64 s9, 0, v27
	s_delay_alu instid0(VALU_DEP_2) | instskip(SKIP_1) | instid1(VALU_DEP_1)
	v_cndmask_b32_e64 v18, 1, 2, s0
	v_cmp_ne_u32_e64 s0, 6, v10
	v_cndmask_b32_e64 v19, 1, v29, s0
	v_cmp_eq_u32_e64 s0, 0, v14
	s_delay_alu instid0(VALU_DEP_2) | instskip(NEXT) | instid1(VALU_DEP_2)
	v_dual_cndmask_b32 v19, v29, v19 :: v_dual_and_b32 v12, v18, v12
	v_cndmask_b32_e64 v18, 1, 2, s0
	v_cmp_ne_u32_e64 s0, 7, v10
	v_cndmask_b32_e32 v15, v34, v15, vcc_lo
	s_delay_alu instid0(VALU_DEP_4) | instskip(NEXT) | instid1(VALU_DEP_4)
	v_cmp_ne_u32_e64 s8, 0, v19
	v_and_b32_e32 v12, v12, v18
	s_delay_alu instid0(VALU_DEP_4) | instskip(SKIP_2) | instid1(VALU_DEP_2)
	v_cndmask_b32_e64 v20, 1, v30, s0
	v_cmp_ne_u32_e64 s0, 8, v10
	v_cmp_ne_u32_e64 s11, 0, v15
	v_cndmask_b32_e64 v21, 1, v25, s0
	v_cmp_eq_u32_e64 s0, 0, v15
	s_delay_alu instid0(VALU_DEP_1) | instskip(SKIP_2) | instid1(VALU_DEP_3)
	v_cndmask_b32_e64 v18, 1, 2, s0
	v_cndmask_b32_e32 v22, v31, v9, vcc_lo
	v_cmp_ne_u32_e64 s0, 9, v10
	v_and_b32_e32 v11, v12, v18
	s_delay_alu instid0(VALU_DEP_3) | instskip(NEXT) | instid1(VALU_DEP_3)
	v_cmp_ne_u32_e64 s10, 0, v22
	v_cndmask_b32_e64 v9, 1, v26, s0
	v_cmp_eq_u32_e64 s0, 0, v22
	s_delay_alu instid0(VALU_DEP_1) | instskip(SKIP_1) | instid1(VALU_DEP_2)
	v_cndmask_b32_e64 v12, 1, 2, s0
	v_cmp_ne_u32_e64 s0, 10, v10
	v_and_b32_e32 v11, v11, v12
	s_delay_alu instid0(VALU_DEP_2) | instskip(SKIP_1) | instid1(VALU_DEP_2)
	v_cndmask_b32_e64 v18, 1, v23, s0
	v_cmp_ne_u32_e64 s0, 12, v10
	v_dual_cndmask_b32 v21, v25, v21 :: v_dual_cndmask_b32 v18, v23, v18
	s_delay_alu instid0(VALU_DEP_2)
	v_cndmask_b32_e64 v31, 1, v79, s0
	v_cmp_eq_u32_e64 s0, 0, v27
	v_cndmask_b32_e32 v20, v30, v20, vcc_lo
	v_cndmask_b32_e32 v23, v26, v9, vcc_lo
	v_cmp_ne_u32_e64 s6, 0, v21
	v_cmp_ne_u32_e64 s4, 0, v18
	v_cndmask_b32_e64 v12, 1, 2, s0
	v_cmp_ne_u32_e64 s0, 13, v10
	s_delay_alu instid0(VALU_DEP_1) | instskip(SKIP_1) | instid1(VALU_DEP_2)
	v_cndmask_b32_e64 v29, 1, v28, s0
	v_cmp_eq_u32_e64 s0, 0, v19
	v_dual_cndmask_b32 v28, v28, v29 :: v_dual_and_b32 v11, v11, v12
	s_delay_alu instid0(VALU_DEP_2) | instskip(SKIP_4) | instid1(VALU_DEP_4)
	v_cndmask_b32_e64 v12, 1, 2, s0
	v_cmp_ne_u32_e64 s0, 11, v10
	v_cndmask_b32_e32 v29, v79, v31, vcc_lo
	v_cmp_ne_u32_e64 s7, 0, v20
	v_cmp_ne_u32_e64 s1, 0, v28
	v_cndmask_b32_e64 v10, 1, v24, s0
	v_cmp_eq_u32_e64 s0, 0, v20
	v_cmp_ne_u32_e64 s2, 0, v29
	s_delay_alu instid0(VALU_DEP_3) | instskip(NEXT) | instid1(VALU_DEP_3)
	v_dual_cndmask_b32 v24, v24, v10 :: v_dual_and_b32 v11, v11, v12
	v_cndmask_b32_e64 v12, 1, 2, s0
	v_cmp_eq_u32_e32 vcc_lo, 0, v21
	v_cmp_ne_u32_e64 s0, 0, v16
	s_delay_alu instid0(VALU_DEP_4) | instskip(NEXT) | instid1(VALU_DEP_4)
	v_cmp_ne_u32_e64 s3, 0, v24
	v_and_b32_e32 v9, v11, v12
	v_cndmask_b32_e64 v10, 1, 2, vcc_lo
	v_add_co_u32 v11, vcc_lo, s28, v39
	v_add_co_ci_u32_e32 v12, vcc_lo, s29, v40, vcc_lo
	v_cmp_eq_u32_e32 vcc_lo, 0, v23
	s_delay_alu instid0(VALU_DEP_4)
	v_and_b32_e32 v25, v9, v10
	v_cndmask_b32_e64 v26, 1, 2, vcc_lo
	v_add_co_u32 v9, vcc_lo, v11, v41
	v_add_co_ci_u32_e32 v10, vcc_lo, v12, v42, vcc_lo
	v_lshlrev_b32_e32 v11, 2, v4
	v_cmp_eq_u32_e32 vcc_lo, 0, v18
	v_and_b32_e32 v12, v25, v26
	v_add_nc_u32_e32 v4, v3, v4
	v_cmp_ne_u32_e64 s5, 0, v23
	v_cndmask_b32_e64 v25, 1, 2, vcc_lo
	v_add_co_u32 v11, vcc_lo, v11, v9
	v_add_co_ci_u32_e32 v26, vcc_lo, 0, v10, vcc_lo
	v_cmp_eq_u32_e32 vcc_lo, 0, v24
	s_delay_alu instid0(VALU_DEP_4) | instskip(SKIP_4) | instid1(VALU_DEP_4)
	v_and_b32_e32 v25, v12, v25
	v_cndmask_b32_e64 v30, 1, 2, vcc_lo
	v_add_co_u32 v11, vcc_lo, v11, -4
	v_add_co_ci_u32_e32 v12, vcc_lo, -1, v26, vcc_lo
	v_cmp_eq_u32_e32 vcc_lo, 0, v29
	v_and_b32_e32 v25, v25, v30
	v_cndmask_b32_e64 v26, 1, 2, vcc_lo
	v_cmp_eq_u32_e32 vcc_lo, 0, v28
	s_delay_alu instid0(VALU_DEP_2) | instskip(SKIP_2) | instid1(VALU_DEP_2)
	v_and_b32_e32 v13, v25, v26
	v_cndmask_b32_e64 v14, 1, 2, vcc_lo
	v_cmp_eq_u32_e32 vcc_lo, 0, v16
	v_and_b32_e32 v13, v13, v14
	v_cndmask_b32_e64 v14, 1, 2, vcc_lo
	v_cmp_gt_u32_e32 vcc_lo, 0x100, v2
	s_delay_alu instid0(VALU_DEP_2) | instskip(NEXT) | instid1(VALU_DEP_1)
	v_and_b32_e32 v13, v13, v14
	v_cmp_gt_i16_e64 s15, 2, v13
	s_cbranch_vccnz .LBB388_178
; %bb.175:
	s_and_b32 vcc_lo, exec_lo, s16
	s_cbranch_vccnz .LBB388_184
.LBB388_176:
	v_cmp_eq_u32_e32 vcc_lo, 0xff, v0
	s_and_b32 s0, vcc_lo, s17
	s_delay_alu instid0(SALU_CYCLE_1)
	s_and_saveexec_b32 s1, s0
	s_cbranch_execnz .LBB388_193
.LBB388_177:
	s_nop 0
	s_sendmsg sendmsg(MSG_DEALLOC_VGPRS)
	s_endpgm
.LBB388_178:
	s_delay_alu instid0(VALU_DEP_1)
	s_and_saveexec_b32 s16, s15
	s_cbranch_execz .LBB388_183
; %bb.179:
	s_mov_b32 s18, 0
	s_mov_b32 s15, exec_lo
	v_cmpx_ne_u16_e32 1, v13
	s_xor_b32 s15, exec_lo, s15
	s_cbranch_execnz .LBB388_263
; %bb.180:
	s_and_not1_saveexec_b32 s15, s15
	s_cbranch_execnz .LBB388_279
.LBB388_181:
	s_or_b32 exec_lo, exec_lo, s15
	s_delay_alu instid0(SALU_CYCLE_1)
	s_and_b32 exec_lo, exec_lo, s18
	s_cbranch_execz .LBB388_183
.LBB388_182:
	v_sub_nc_u32_e32 v14, v63, v4
	v_mov_b32_e32 v15, 0
	s_delay_alu instid0(VALU_DEP_1) | instskip(NEXT) | instid1(VALU_DEP_1)
	v_lshlrev_b64 v[14:15], 2, v[14:15]
	v_add_co_u32 v14, vcc_lo, v11, v14
	s_delay_alu instid0(VALU_DEP_2)
	v_add_co_ci_u32_e32 v15, vcc_lo, v12, v15, vcc_lo
	global_store_b32 v[14:15], v64, off
.LBB388_183:
	s_or_b32 exec_lo, exec_lo, s16
	s_branch .LBB388_176
.LBB388_184:
	s_mov_b32 s15, exec_lo
	v_cmpx_gt_i16_e32 2, v13
	s_cbranch_execz .LBB388_189
; %bb.185:
	s_mov_b32 s18, 0
	s_mov_b32 s16, exec_lo
	v_cmpx_ne_u16_e32 1, v13
	s_xor_b32 s16, exec_lo, s16
	s_cbranch_execnz .LBB388_280
; %bb.186:
	s_and_not1_saveexec_b32 s0, s16
	s_cbranch_execnz .LBB388_296
.LBB388_187:
	s_or_b32 exec_lo, exec_lo, s0
	s_delay_alu instid0(SALU_CYCLE_1)
	s_and_b32 exec_lo, exec_lo, s18
	s_cbranch_execz .LBB388_189
.LBB388_188:
	v_sub_nc_u32_e32 v4, v63, v4
	s_delay_alu instid0(VALU_DEP_1)
	v_lshlrev_b32_e32 v4, 2, v4
	ds_store_b32 v4, v64
.LBB388_189:
	s_or_b32 exec_lo, exec_lo, s15
	s_delay_alu instid0(SALU_CYCLE_1)
	s_mov_b32 s1, exec_lo
	s_waitcnt lgkmcnt(0)
	s_waitcnt_vscnt null, 0x0
	s_barrier
	buffer_gl0_inv
	v_cmpx_lt_u32_e64 v0, v2
	s_cbranch_execz .LBB388_192
; %bb.190:
	v_dual_mov_b32 v5, 0 :: v_dual_lshlrev_b32 v6, 2, v0
	v_mov_b32_e32 v4, v0
	s_mov_b32 s2, 0
	.p2align	6
.LBB388_191:                            ; =>This Inner Loop Header: Depth=1
	ds_load_b32 v13, v6
	v_lshlrev_b64 v[7:8], 2, v[4:5]
	v_add_nc_u32_e32 v4, 0x100, v4
	v_add_nc_u32_e32 v6, 0x400, v6
	s_delay_alu instid0(VALU_DEP_2) | instskip(NEXT) | instid1(VALU_DEP_4)
	v_cmp_ge_u32_e32 vcc_lo, v4, v2
	v_add_co_u32 v7, s0, v11, v7
	s_delay_alu instid0(VALU_DEP_1)
	v_add_co_ci_u32_e64 v8, s0, v12, v8, s0
	s_or_b32 s2, vcc_lo, s2
	s_waitcnt lgkmcnt(0)
	global_store_b32 v[7:8], v13, off
	s_and_not1_b32 exec_lo, exec_lo, s2
	s_cbranch_execnz .LBB388_191
.LBB388_192:
	s_or_b32 exec_lo, exec_lo, s1
	v_cmp_eq_u32_e32 vcc_lo, 0xff, v0
	s_and_b32 s0, vcc_lo, s17
	s_delay_alu instid0(SALU_CYCLE_1)
	s_and_saveexec_b32 s1, s0
	s_cbranch_execz .LBB388_177
.LBB388_193:
	v_add_co_u32 v0, s0, v1, v3
	s_delay_alu instid0(VALU_DEP_1) | instskip(SKIP_1) | instid1(VALU_DEP_3)
	v_add_co_ci_u32_e64 v4, null, 0, 0, s0
	v_mov_b32_e32 v2, 0
	v_add_co_u32 v3, vcc_lo, v0, v37
	s_delay_alu instid0(VALU_DEP_3)
	v_add_co_ci_u32_e32 v4, vcc_lo, v4, v38, vcc_lo
	s_cmpk_lg_i32 s26, 0xf00
	global_store_b64 v2, v[3:4], s[30:31]
	s_cbranch_scc1 .LBB388_177
; %bb.194:
	v_lshlrev_b64 v[0:1], 2, v[1:2]
	s_delay_alu instid0(VALU_DEP_1) | instskip(NEXT) | instid1(VALU_DEP_2)
	v_add_co_u32 v0, vcc_lo, v9, v0
	v_add_co_ci_u32_e32 v1, vcc_lo, v10, v1, vcc_lo
	global_store_b32 v[0:1], v35, off offset:-4
	s_nop 0
	s_sendmsg sendmsg(MSG_DEALLOC_VGPRS)
	s_endpgm
.LBB388_195:
                                        ; implicit-def: $sgpr4
                                        ; implicit-def: $vgpr78
                                        ; implicit-def: $vgpr2
                                        ; implicit-def: $vgpr79
                                        ; implicit-def: $vgpr24
                                        ; implicit-def: $vgpr23
                                        ; implicit-def: $vgpr26
                                        ; implicit-def: $vgpr25
                                        ; implicit-def: $vgpr30
                                        ; implicit-def: $vgpr29
                                        ; implicit-def: $vgpr32
                                        ; implicit-def: $vgpr31
                                        ; implicit-def: $vgpr34
                                        ; implicit-def: $vgpr33
                                        ; implicit-def: $vgpr36
	s_cbranch_execz .LBB388_114
.LBB388_196:
	v_dual_mov_b32 v28, 0 :: v_dual_lshlrev_b32 v1, 2, v0
	v_mov_b32_e32 v78, 0
	s_mov_b32 s4, exec_lo
	ds_store_b32 v1, v77
	v_cmpx_gt_u64_e64 s[0:1], v[27:28]
	s_cbranch_execz .LBB388_198
; %bb.197:
	v_mul_hi_i32 v2, 0x66666667, v10
	v_mul_hi_i32 v4, 0x66666667, v77
	s_waitcnt lgkmcnt(1)
	s_delay_alu instid0(VALU_DEP_2) | instskip(SKIP_1) | instid1(VALU_DEP_3)
	v_lshrrev_b32_e32 v5, 31, v2
	v_ashrrev_i32_e32 v2, 2, v2
	v_lshrrev_b32_e32 v6, 31, v4
	v_ashrrev_i32_e32 v4, 2, v4
	s_delay_alu instid0(VALU_DEP_3) | instskip(NEXT) | instid1(VALU_DEP_2)
	v_add_nc_u32_e32 v2, v2, v5
	v_add_nc_u32_e32 v4, v4, v6
	s_delay_alu instid0(VALU_DEP_1)
	v_cmp_ne_u32_e32 vcc_lo, v2, v4
	v_cndmask_b32_e64 v78, 0, 1, vcc_lo
.LBB388_198:
	s_or_b32 exec_lo, exec_lo, s4
	v_add_nc_u32_e32 v27, 13, v3
	s_mov_b32 s4, exec_lo
	s_delay_alu instid0(VALU_DEP_1)
	v_cmpx_gt_u64_e64 s[0:1], v[27:28]
	s_cbranch_execz .LBB388_200
; %bb.199:
	v_mul_hi_i32 v2, 0x66666667, v9
	v_mul_hi_i32 v4, 0x66666667, v10
	s_waitcnt lgkmcnt(1)
	s_delay_alu instid0(VALU_DEP_2) | instskip(SKIP_1) | instid1(VALU_DEP_3)
	v_lshrrev_b32_e32 v5, 31, v2
	v_ashrrev_i32_e32 v2, 2, v2
	v_lshrrev_b32_e32 v6, 31, v4
	v_ashrrev_i32_e32 v4, 2, v4
	s_delay_alu instid0(VALU_DEP_3) | instskip(NEXT) | instid1(VALU_DEP_2)
	v_add_nc_u32_e32 v2, v2, v5
	v_add_nc_u32_e32 v4, v4, v6
	s_delay_alu instid0(VALU_DEP_1)
	v_cmp_ne_u32_e32 vcc_lo, v2, v4
	v_cndmask_b32_e64 v28, 0, 1, vcc_lo
.LBB388_200:
	s_or_b32 exec_lo, exec_lo, s4
	v_dual_mov_b32 v24, 0 :: v_dual_add_nc_u32 v23, 12, v3
	v_mov_b32_e32 v79, 0
	s_mov_b32 s4, exec_lo
	s_delay_alu instid0(VALU_DEP_2)
	v_cmpx_gt_u64_e64 s[0:1], v[23:24]
	s_cbranch_execz .LBB388_202
; %bb.201:
	v_mul_hi_i32 v2, 0x66666667, v12
	v_mul_hi_i32 v4, 0x66666667, v9
	s_waitcnt lgkmcnt(1)
	s_delay_alu instid0(VALU_DEP_2) | instskip(SKIP_1) | instid1(VALU_DEP_3)
	v_lshrrev_b32_e32 v5, 31, v2
	v_ashrrev_i32_e32 v2, 2, v2
	v_lshrrev_b32_e32 v6, 31, v4
	v_ashrrev_i32_e32 v4, 2, v4
	s_delay_alu instid0(VALU_DEP_3) | instskip(NEXT) | instid1(VALU_DEP_2)
	v_add_nc_u32_e32 v2, v2, v5
	v_add_nc_u32_e32 v4, v4, v6
	s_delay_alu instid0(VALU_DEP_1)
	v_cmp_ne_u32_e32 vcc_lo, v2, v4
	v_cndmask_b32_e64 v79, 0, 1, vcc_lo
.LBB388_202:
	s_or_b32 exec_lo, exec_lo, s4
	v_add_nc_u32_e32 v23, 11, v3
	s_mov_b32 s4, exec_lo
	s_delay_alu instid0(VALU_DEP_1)
	v_cmpx_gt_u64_e64 s[0:1], v[23:24]
	s_cbranch_execz .LBB388_204
; %bb.203:
	v_mul_hi_i32 v2, 0x66666667, v11
	v_mul_hi_i32 v4, 0x66666667, v12
	s_waitcnt lgkmcnt(1)
	s_delay_alu instid0(VALU_DEP_2) | instskip(SKIP_1) | instid1(VALU_DEP_3)
	v_lshrrev_b32_e32 v5, 31, v2
	v_ashrrev_i32_e32 v2, 2, v2
	v_lshrrev_b32_e32 v6, 31, v4
	v_ashrrev_i32_e32 v4, 2, v4
	s_delay_alu instid0(VALU_DEP_3) | instskip(NEXT) | instid1(VALU_DEP_2)
	v_add_nc_u32_e32 v2, v2, v5
	v_add_nc_u32_e32 v4, v4, v6
	s_delay_alu instid0(VALU_DEP_1)
	v_cmp_ne_u32_e32 vcc_lo, v2, v4
	v_cndmask_b32_e64 v24, 0, 1, vcc_lo
.LBB388_204:
	s_or_b32 exec_lo, exec_lo, s4
	v_dual_mov_b32 v26, 0 :: v_dual_add_nc_u32 v25, 10, v3
	v_mov_b32_e32 v23, 0
	s_mov_b32 s4, exec_lo
	s_delay_alu instid0(VALU_DEP_2)
	;; [unrolled: 45-line block ×6, first 2 shown]
	v_cmpx_gt_u64_e64 s[0:1], v[35:36]
	s_cbranch_execz .LBB388_222
; %bb.221:
	v_mul_hi_i32 v2, 0x66666667, v22
	v_mul_hi_i32 v4, 0x66666667, v19
	s_waitcnt lgkmcnt(1)
	s_delay_alu instid0(VALU_DEP_2) | instskip(SKIP_1) | instid1(VALU_DEP_3)
	v_lshrrev_b32_e32 v5, 31, v2
	v_ashrrev_i32_e32 v2, 2, v2
	v_lshrrev_b32_e32 v6, 31, v4
	v_ashrrev_i32_e32 v4, 2, v4
	s_delay_alu instid0(VALU_DEP_3) | instskip(NEXT) | instid1(VALU_DEP_2)
	v_add_nc_u32_e32 v2, v2, v5
	v_add_nc_u32_e32 v4, v4, v6
	s_delay_alu instid0(VALU_DEP_1)
	v_cmp_ne_u32_e32 vcc_lo, v2, v4
	v_cndmask_b32_e64 v33, 0, 1, vcc_lo
.LBB388_222:
	s_or_b32 exec_lo, exec_lo, s4
	v_add_nc_u32_e32 v35, 1, v3
	s_mov_b32 s4, exec_lo
	s_delay_alu instid0(VALU_DEP_1)
	v_cmpx_gt_u64_e64 s[0:1], v[35:36]
	s_cbranch_execz .LBB388_224
; %bb.223:
	v_mul_hi_i32 v2, 0x66666667, v21
	v_mul_hi_i32 v4, 0x66666667, v22
	s_waitcnt lgkmcnt(1)
	s_delay_alu instid0(VALU_DEP_2) | instskip(SKIP_1) | instid1(VALU_DEP_3)
	v_lshrrev_b32_e32 v5, 31, v2
	v_ashrrev_i32_e32 v2, 2, v2
	v_lshrrev_b32_e32 v6, 31, v4
	v_ashrrev_i32_e32 v4, 2, v4
	s_delay_alu instid0(VALU_DEP_3) | instskip(NEXT) | instid1(VALU_DEP_2)
	v_add_nc_u32_e32 v2, v2, v5
	v_add_nc_u32_e32 v4, v4, v6
	s_delay_alu instid0(VALU_DEP_1)
	v_cmp_ne_u32_e32 vcc_lo, v2, v4
	v_cndmask_b32_e64 v36, 0, 1, vcc_lo
.LBB388_224:
	s_or_b32 exec_lo, exec_lo, s4
	s_waitcnt lgkmcnt(0)
	s_barrier
	buffer_gl0_inv
                                        ; implicit-def: $sgpr4
	s_and_saveexec_b32 s5, s3
	s_cbranch_execz .LBB388_228
; %bb.225:
	v_mov_b32_e32 v4, 0
	s_delay_alu instid0(VALU_DEP_1)
	v_cmp_gt_u64_e32 vcc_lo, s[0:1], v[3:4]
	s_mov_b32 s1, 0
	s_and_saveexec_b32 s0, vcc_lo
	s_cbranch_execz .LBB388_227
; %bb.226:
	v_add_nc_u32_e32 v1, -4, v1
	v_mul_hi_i32 v2, 0x66666667, v21
	ds_load_b32 v1, v1
	v_lshrrev_b32_e32 v3, 31, v2
	v_ashrrev_i32_e32 v2, 2, v2
	s_delay_alu instid0(VALU_DEP_1) | instskip(SKIP_2) | instid1(VALU_DEP_1)
	v_add_nc_u32_e32 v2, v2, v3
	s_waitcnt lgkmcnt(0)
	v_mul_hi_i32 v1, 0x66666667, v1
	v_lshrrev_b32_e32 v4, 31, v1
	v_ashrrev_i32_e32 v1, 2, v1
	s_delay_alu instid0(VALU_DEP_1) | instskip(NEXT) | instid1(VALU_DEP_1)
	v_add_nc_u32_e32 v1, v1, v4
	v_cmp_ne_u32_e32 vcc_lo, v1, v2
	s_and_b32 s1, vcc_lo, exec_lo
.LBB388_227:
	s_or_b32 exec_lo, exec_lo, s0
	s_delay_alu instid0(SALU_CYCLE_1)
	s_and_b32 s4, s1, exec_lo
	s_or_b32 s15, s15, exec_lo
.LBB388_228:
	s_or_b32 exec_lo, exec_lo, s5
	v_mov_b32_e32 v2, v28
	s_mov_b32 s0, 1
	s_delay_alu instid0(SALU_CYCLE_1)
	v_mov_b32_e32 v27, s0
	s_and_saveexec_b32 s0, s15
	s_cbranch_execnz .LBB388_116
	s_branch .LBB388_117
.LBB388_229:
	s_and_saveexec_b32 s19, s15
	s_cbranch_execnz .LBB388_297
; %bb.230:
	s_or_b32 exec_lo, exec_lo, s19
	s_and_saveexec_b32 s19, s14
	s_cbranch_execnz .LBB388_298
.LBB388_231:
	s_or_b32 exec_lo, exec_lo, s19
	s_and_saveexec_b32 s19, s13
	s_cbranch_execnz .LBB388_299
.LBB388_232:
	s_or_b32 exec_lo, exec_lo, s19
	s_and_saveexec_b32 s19, s12
	s_cbranch_execnz .LBB388_300
.LBB388_233:
	s_or_b32 exec_lo, exec_lo, s19
	s_and_saveexec_b32 s19, s11
	s_cbranch_execnz .LBB388_301
.LBB388_234:
	s_or_b32 exec_lo, exec_lo, s19
	s_and_saveexec_b32 s19, s10
	s_cbranch_execnz .LBB388_302
.LBB388_235:
	s_or_b32 exec_lo, exec_lo, s19
	s_and_saveexec_b32 s19, s8
	s_cbranch_execnz .LBB388_303
.LBB388_236:
	s_or_b32 exec_lo, exec_lo, s19
	s_and_saveexec_b32 s19, s6
	s_cbranch_execnz .LBB388_304
.LBB388_237:
	s_or_b32 exec_lo, exec_lo, s19
	s_and_saveexec_b32 s19, s9
	s_cbranch_execnz .LBB388_305
.LBB388_238:
	s_or_b32 exec_lo, exec_lo, s19
	s_and_saveexec_b32 s19, s7
	s_cbranch_execnz .LBB388_306
.LBB388_239:
	s_or_b32 exec_lo, exec_lo, s19
	s_and_saveexec_b32 s19, s5
	s_cbranch_execnz .LBB388_307
.LBB388_240:
	s_or_b32 exec_lo, exec_lo, s19
	s_and_saveexec_b32 s19, s4
	s_cbranch_execnz .LBB388_308
.LBB388_241:
	s_or_b32 exec_lo, exec_lo, s19
	s_and_saveexec_b32 s19, s3
	s_cbranch_execnz .LBB388_309
.LBB388_242:
	s_or_b32 exec_lo, exec_lo, s19
	s_and_saveexec_b32 s19, s1
	s_cbranch_execz .LBB388_244
.LBB388_243:
	v_sub_nc_u32_e32 v44, v71, v3
	v_mov_b32_e32 v45, 0
	s_delay_alu instid0(VALU_DEP_1) | instskip(NEXT) | instid1(VALU_DEP_1)
	v_lshlrev_b64 v[44:45], 2, v[44:45]
	v_add_co_u32 v44, vcc_lo, v2, v44
	s_delay_alu instid0(VALU_DEP_2)
	v_add_co_ci_u32_e32 v45, vcc_lo, v4, v45, vcc_lo
	global_store_b32 v[44:45], v10, off
.LBB388_244:
	s_or_b32 exec_lo, exec_lo, s19
	s_delay_alu instid0(SALU_CYCLE_1)
	s_and_b32 s19, s0, exec_lo
	s_and_not1_saveexec_b32 s16, s16
	s_cbranch_execz .LBB388_161
.LBB388_245:
	v_sub_nc_u32_e32 v44, v67, v3
	v_mov_b32_e32 v45, 0
	s_or_b32 s19, s19, exec_lo
	s_delay_alu instid0(VALU_DEP_1) | instskip(SKIP_1) | instid1(VALU_DEP_1)
	v_lshlrev_b64 v[46:47], 2, v[44:45]
	v_sub_nc_u32_e32 v44, v73, v3
	v_lshlrev_b64 v[48:49], 2, v[44:45]
	v_sub_nc_u32_e32 v44, v69, v3
	s_delay_alu instid0(VALU_DEP_4) | instskip(SKIP_1) | instid1(VALU_DEP_3)
	v_add_co_u32 v46, vcc_lo, v2, v46
	v_add_co_ci_u32_e32 v47, vcc_lo, v4, v47, vcc_lo
	v_lshlrev_b64 v[80:81], 2, v[44:45]
	v_sub_nc_u32_e32 v44, v65, v3
	v_add_co_u32 v48, vcc_lo, v2, v48
	v_add_co_ci_u32_e32 v49, vcc_lo, v4, v49, vcc_lo
	global_store_b32 v[46:47], v21, off
	v_lshlrev_b64 v[46:47], 2, v[44:45]
	v_sub_nc_u32_e32 v44, v59, v3
	global_store_b32 v[48:49], v22, off
	v_add_co_u32 v48, vcc_lo, v2, v80
	v_add_co_ci_u32_e32 v49, vcc_lo, v4, v81, vcc_lo
	v_lshlrev_b64 v[80:81], 2, v[44:45]
	v_sub_nc_u32_e32 v44, v55, v3
	v_add_co_u32 v46, vcc_lo, v2, v46
	v_add_co_ci_u32_e32 v47, vcc_lo, v4, v47, vcc_lo
	s_delay_alu instid0(VALU_DEP_3) | instskip(SKIP_3) | instid1(VALU_DEP_3)
	v_lshlrev_b64 v[82:83], 2, v[44:45]
	v_sub_nc_u32_e32 v44, v53, v3
	v_add_co_u32 v80, vcc_lo, v2, v80
	v_add_co_ci_u32_e32 v81, vcc_lo, v4, v81, vcc_lo
	v_lshlrev_b64 v[84:85], 2, v[44:45]
	v_sub_nc_u32_e32 v44, v57, v3
	v_add_co_u32 v82, vcc_lo, v2, v82
	v_add_co_ci_u32_e32 v83, vcc_lo, v4, v83, vcc_lo
	s_clause 0x3
	global_store_b32 v[48:49], v19, off
	global_store_b32 v[46:47], v20, off
	;; [unrolled: 1-line block ×4, first 2 shown]
	v_lshlrev_b64 v[46:47], 2, v[44:45]
	v_sub_nc_u32_e32 v44, v61, v3
	v_add_co_u32 v48, vcc_lo, v2, v84
	v_add_co_ci_u32_e32 v49, vcc_lo, v4, v85, vcc_lo
	s_delay_alu instid0(VALU_DEP_3) | instskip(SKIP_3) | instid1(VALU_DEP_3)
	v_lshlrev_b64 v[80:81], 2, v[44:45]
	v_sub_nc_u32_e32 v44, v5, v3
	v_add_co_u32 v46, vcc_lo, v2, v46
	v_add_co_ci_u32_e32 v47, vcc_lo, v4, v47, vcc_lo
	v_lshlrev_b64 v[82:83], 2, v[44:45]
	v_sub_nc_u32_e32 v44, v7, v3
	v_add_co_u32 v80, vcc_lo, v2, v80
	v_add_co_ci_u32_e32 v81, vcc_lo, v4, v81, vcc_lo
	s_delay_alu instid0(VALU_DEP_3)
	v_lshlrev_b64 v[84:85], 2, v[44:45]
	v_sub_nc_u32_e32 v44, v51, v3
	v_add_co_u32 v82, vcc_lo, v2, v82
	v_add_co_ci_u32_e32 v83, vcc_lo, v4, v83, vcc_lo
	s_clause 0x3
	global_store_b32 v[48:49], v15, off
	global_store_b32 v[46:47], v16, off
	;; [unrolled: 1-line block ×4, first 2 shown]
	v_lshlrev_b64 v[46:47], 2, v[44:45]
	v_sub_nc_u32_e32 v44, v75, v3
	v_add_co_u32 v48, vcc_lo, v2, v84
	v_add_co_ci_u32_e32 v49, vcc_lo, v4, v85, vcc_lo
	s_delay_alu instid0(VALU_DEP_3) | instskip(SKIP_3) | instid1(VALU_DEP_3)
	v_lshlrev_b64 v[80:81], 2, v[44:45]
	v_sub_nc_u32_e32 v44, v71, v3
	v_add_co_u32 v46, vcc_lo, v2, v46
	v_add_co_ci_u32_e32 v47, vcc_lo, v4, v47, vcc_lo
	v_lshlrev_b64 v[44:45], 2, v[44:45]
	v_add_co_u32 v80, vcc_lo, v2, v80
	v_add_co_ci_u32_e32 v81, vcc_lo, v4, v81, vcc_lo
	s_clause 0x2
	global_store_b32 v[48:49], v11, off
	global_store_b32 v[46:47], v12, off
	;; [unrolled: 1-line block ×3, first 2 shown]
	v_add_co_u32 v44, vcc_lo, v2, v44
	v_add_co_ci_u32_e32 v45, vcc_lo, v4, v45, vcc_lo
	global_store_b32 v[44:45], v10, off
	s_or_b32 exec_lo, exec_lo, s16
	s_delay_alu instid0(SALU_CYCLE_1)
	s_and_b32 exec_lo, exec_lo, s19
	s_cbranch_execnz .LBB388_162
	s_branch .LBB388_163
.LBB388_246:
	s_and_saveexec_b32 s19, s15
	s_cbranch_execnz .LBB388_310
; %bb.247:
	s_or_b32 exec_lo, exec_lo, s19
	s_and_saveexec_b32 s15, s14
	s_cbranch_execnz .LBB388_311
.LBB388_248:
	s_or_b32 exec_lo, exec_lo, s15
	s_and_saveexec_b32 s14, s13
	s_cbranch_execnz .LBB388_312
.LBB388_249:
	s_or_b32 exec_lo, exec_lo, s14
	s_and_saveexec_b32 s13, s12
	s_cbranch_execnz .LBB388_313
.LBB388_250:
	s_or_b32 exec_lo, exec_lo, s13
	s_and_saveexec_b32 s12, s11
	s_cbranch_execnz .LBB388_314
.LBB388_251:
	s_or_b32 exec_lo, exec_lo, s12
	s_and_saveexec_b32 s11, s10
	s_cbranch_execnz .LBB388_315
.LBB388_252:
	s_or_b32 exec_lo, exec_lo, s11
	s_and_saveexec_b32 s10, s8
	s_cbranch_execnz .LBB388_316
.LBB388_253:
	s_or_b32 exec_lo, exec_lo, s10
	s_and_saveexec_b32 s8, s6
	s_cbranch_execnz .LBB388_317
.LBB388_254:
	s_or_b32 exec_lo, exec_lo, s8
	s_and_saveexec_b32 s6, s9
	s_cbranch_execnz .LBB388_318
.LBB388_255:
	s_or_b32 exec_lo, exec_lo, s6
	s_and_saveexec_b32 s6, s7
	s_cbranch_execnz .LBB388_319
.LBB388_256:
	s_or_b32 exec_lo, exec_lo, s6
	s_and_saveexec_b32 s6, s5
	s_cbranch_execnz .LBB388_320
.LBB388_257:
	s_or_b32 exec_lo, exec_lo, s6
	s_and_saveexec_b32 s5, s4
	s_cbranch_execnz .LBB388_321
.LBB388_258:
	s_or_b32 exec_lo, exec_lo, s5
	s_and_saveexec_b32 s4, s3
	s_cbranch_execnz .LBB388_322
.LBB388_259:
	s_or_b32 exec_lo, exec_lo, s4
	s_and_saveexec_b32 s3, s1
	s_cbranch_execz .LBB388_261
.LBB388_260:
	v_sub_nc_u32_e32 v9, v71, v3
	s_delay_alu instid0(VALU_DEP_1)
	v_lshlrev_b32_e32 v9, 2, v9
	ds_store_b32 v9, v10
.LBB388_261:
	s_or_b32 exec_lo, exec_lo, s3
	s_delay_alu instid0(SALU_CYCLE_1)
	s_and_b32 s19, s0, exec_lo
                                        ; implicit-def: $vgpr21
                                        ; implicit-def: $vgpr19
                                        ; implicit-def: $vgpr17
                                        ; implicit-def: $vgpr15
                                        ; implicit-def: $vgpr13
                                        ; implicit-def: $vgpr11
                                        ; implicit-def: $vgpr9
	s_and_not1_saveexec_b32 s0, s18
	s_cbranch_execz .LBB388_168
.LBB388_262:
	v_sub_nc_u32_e32 v43, v67, v3
	v_sub_nc_u32_e32 v46, v65, v3
	;; [unrolled: 1-line block ×4, first 2 shown]
	s_or_b32 s19, s19, exec_lo
	v_lshlrev_b32_e32 v43, 2, v43
	v_lshlrev_b32_e32 v46, 2, v46
	;; [unrolled: 1-line block ×4, first 2 shown]
	ds_store_b32 v43, v21
	ds_store_b32 v44, v22
	;; [unrolled: 1-line block ×3, first 2 shown]
	v_sub_nc_u32_e32 v19, v59, v3
	ds_store_b32 v46, v20
	v_sub_nc_u32_e32 v20, v55, v3
	v_sub_nc_u32_e32 v21, v53, v3
	;; [unrolled: 1-line block ×3, first 2 shown]
	v_lshlrev_b32_e32 v19, 2, v19
	v_sub_nc_u32_e32 v43, v61, v3
	v_lshlrev_b32_e32 v20, 2, v20
	v_lshlrev_b32_e32 v21, 2, v21
	;; [unrolled: 1-line block ×3, first 2 shown]
	ds_store_b32 v19, v17
	v_lshlrev_b32_e32 v17, 2, v43
	ds_store_b32 v20, v18
	ds_store_b32 v21, v15
	;; [unrolled: 1-line block ×3, first 2 shown]
	v_sub_nc_u32_e32 v15, v5, v3
	v_sub_nc_u32_e32 v18, v71, v3
	v_sub_nc_u32_e32 v16, v51, v3
	ds_store_b32 v17, v13
	v_sub_nc_u32_e32 v13, v7, v3
	v_lshlrev_b32_e32 v15, 2, v15
	v_sub_nc_u32_e32 v17, v75, v3
	v_lshlrev_b32_e32 v16, 2, v16
	s_delay_alu instid0(VALU_DEP_4)
	v_lshlrev_b32_e32 v13, 2, v13
	ds_store_b32 v15, v14
	v_lshlrev_b32_e32 v14, 2, v18
	v_lshlrev_b32_e32 v17, 2, v17
	ds_store_b32 v13, v11
	ds_store_b32 v16, v12
	;; [unrolled: 1-line block ×4, first 2 shown]
	s_or_b32 exec_lo, exec_lo, s0
	s_delay_alu instid0(SALU_CYCLE_1)
	s_and_b32 exec_lo, exec_lo, s19
	s_cbranch_execnz .LBB388_169
	s_branch .LBB388_170
.LBB388_263:
	s_and_saveexec_b32 s18, s14
	s_cbranch_execnz .LBB388_323
; %bb.264:
	s_or_b32 exec_lo, exec_lo, s18
	s_and_saveexec_b32 s18, s13
	s_cbranch_execnz .LBB388_324
.LBB388_265:
	s_or_b32 exec_lo, exec_lo, s18
	s_and_saveexec_b32 s18, s12
	s_cbranch_execnz .LBB388_325
.LBB388_266:
	s_or_b32 exec_lo, exec_lo, s18
	s_and_saveexec_b32 s18, s11
	s_cbranch_execnz .LBB388_326
.LBB388_267:
	s_or_b32 exec_lo, exec_lo, s18
	s_and_saveexec_b32 s18, s10
	s_cbranch_execnz .LBB388_327
.LBB388_268:
	s_or_b32 exec_lo, exec_lo, s18
	s_and_saveexec_b32 s18, s9
	s_cbranch_execnz .LBB388_328
.LBB388_269:
	s_or_b32 exec_lo, exec_lo, s18
	s_and_saveexec_b32 s18, s8
	s_cbranch_execnz .LBB388_329
.LBB388_270:
	s_or_b32 exec_lo, exec_lo, s18
	s_and_saveexec_b32 s18, s7
	s_cbranch_execnz .LBB388_330
.LBB388_271:
	s_or_b32 exec_lo, exec_lo, s18
	s_and_saveexec_b32 s18, s6
	s_cbranch_execnz .LBB388_331
.LBB388_272:
	s_or_b32 exec_lo, exec_lo, s18
	s_and_saveexec_b32 s18, s5
	s_cbranch_execnz .LBB388_332
.LBB388_273:
	s_or_b32 exec_lo, exec_lo, s18
	s_and_saveexec_b32 s18, s4
	s_cbranch_execnz .LBB388_333
.LBB388_274:
	s_or_b32 exec_lo, exec_lo, s18
	s_and_saveexec_b32 s18, s3
	s_cbranch_execnz .LBB388_334
.LBB388_275:
	s_or_b32 exec_lo, exec_lo, s18
	s_and_saveexec_b32 s18, s2
	s_cbranch_execnz .LBB388_335
.LBB388_276:
	s_or_b32 exec_lo, exec_lo, s18
	s_and_saveexec_b32 s18, s1
	s_cbranch_execz .LBB388_278
.LBB388_277:
	v_sub_nc_u32_e32 v14, v71, v4
	v_mov_b32_e32 v15, 0
	s_delay_alu instid0(VALU_DEP_1) | instskip(NEXT) | instid1(VALU_DEP_1)
	v_lshlrev_b64 v[14:15], 2, v[14:15]
	v_add_co_u32 v14, vcc_lo, v11, v14
	s_delay_alu instid0(VALU_DEP_2)
	v_add_co_ci_u32_e32 v15, vcc_lo, v12, v15, vcc_lo
	global_store_b32 v[14:15], v72, off
.LBB388_278:
	s_or_b32 exec_lo, exec_lo, s18
	s_delay_alu instid0(SALU_CYCLE_1)
	s_and_b32 s18, s0, exec_lo
	s_and_not1_saveexec_b32 s15, s15
	s_cbranch_execz .LBB388_181
.LBB388_279:
	v_sub_nc_u32_e32 v14, v67, v4
	v_mov_b32_e32 v15, 0
	s_or_b32 s18, s18, exec_lo
	s_delay_alu instid0(VALU_DEP_1) | instskip(SKIP_1) | instid1(VALU_DEP_1)
	v_lshlrev_b64 v[16:17], 2, v[14:15]
	v_sub_nc_u32_e32 v14, v73, v4
	v_lshlrev_b64 v[18:19], 2, v[14:15]
	v_sub_nc_u32_e32 v14, v69, v4
	s_delay_alu instid0(VALU_DEP_4) | instskip(SKIP_1) | instid1(VALU_DEP_3)
	v_add_co_u32 v16, vcc_lo, v11, v16
	v_add_co_ci_u32_e32 v17, vcc_lo, v12, v17, vcc_lo
	v_lshlrev_b64 v[20:21], 2, v[14:15]
	v_sub_nc_u32_e32 v14, v65, v4
	v_add_co_u32 v18, vcc_lo, v11, v18
	v_add_co_ci_u32_e32 v19, vcc_lo, v12, v19, vcc_lo
	global_store_b32 v[16:17], v68, off
	v_lshlrev_b64 v[16:17], 2, v[14:15]
	v_sub_nc_u32_e32 v14, v59, v4
	global_store_b32 v[18:19], v74, off
	v_add_co_u32 v18, vcc_lo, v11, v20
	v_add_co_ci_u32_e32 v19, vcc_lo, v12, v21, vcc_lo
	v_lshlrev_b64 v[20:21], 2, v[14:15]
	v_sub_nc_u32_e32 v14, v55, v4
	v_add_co_u32 v16, vcc_lo, v11, v16
	v_add_co_ci_u32_e32 v17, vcc_lo, v12, v17, vcc_lo
	s_delay_alu instid0(VALU_DEP_3) | instskip(SKIP_3) | instid1(VALU_DEP_3)
	v_lshlrev_b64 v[22:23], 2, v[14:15]
	v_sub_nc_u32_e32 v14, v53, v4
	v_add_co_u32 v20, vcc_lo, v11, v20
	v_add_co_ci_u32_e32 v21, vcc_lo, v12, v21, vcc_lo
	v_lshlrev_b64 v[24:25], 2, v[14:15]
	v_sub_nc_u32_e32 v14, v57, v4
	v_add_co_u32 v22, vcc_lo, v11, v22
	v_add_co_ci_u32_e32 v23, vcc_lo, v12, v23, vcc_lo
	s_clause 0x3
	global_store_b32 v[18:19], v70, off
	global_store_b32 v[16:17], v66, off
	;; [unrolled: 1-line block ×4, first 2 shown]
	v_lshlrev_b64 v[16:17], 2, v[14:15]
	v_sub_nc_u32_e32 v14, v61, v4
	v_add_co_u32 v18, vcc_lo, v11, v24
	v_add_co_ci_u32_e32 v19, vcc_lo, v12, v25, vcc_lo
	s_delay_alu instid0(VALU_DEP_3) | instskip(SKIP_3) | instid1(VALU_DEP_3)
	v_lshlrev_b64 v[20:21], 2, v[14:15]
	v_sub_nc_u32_e32 v14, v5, v4
	v_add_co_u32 v16, vcc_lo, v11, v16
	v_add_co_ci_u32_e32 v17, vcc_lo, v12, v17, vcc_lo
	v_lshlrev_b64 v[22:23], 2, v[14:15]
	v_sub_nc_u32_e32 v14, v7, v4
	v_add_co_u32 v20, vcc_lo, v11, v20
	v_add_co_ci_u32_e32 v21, vcc_lo, v12, v21, vcc_lo
	s_delay_alu instid0(VALU_DEP_3)
	v_lshlrev_b64 v[24:25], 2, v[14:15]
	v_sub_nc_u32_e32 v14, v51, v4
	v_add_co_u32 v22, vcc_lo, v11, v22
	v_add_co_ci_u32_e32 v23, vcc_lo, v12, v23, vcc_lo
	s_clause 0x3
	global_store_b32 v[18:19], v54, off
	global_store_b32 v[16:17], v58, off
	;; [unrolled: 1-line block ×4, first 2 shown]
	v_lshlrev_b64 v[16:17], 2, v[14:15]
	v_sub_nc_u32_e32 v14, v75, v4
	v_add_co_u32 v18, vcc_lo, v11, v24
	v_add_co_ci_u32_e32 v19, vcc_lo, v12, v25, vcc_lo
	s_delay_alu instid0(VALU_DEP_3) | instskip(SKIP_3) | instid1(VALU_DEP_3)
	v_lshlrev_b64 v[20:21], 2, v[14:15]
	v_sub_nc_u32_e32 v14, v71, v4
	v_add_co_u32 v16, vcc_lo, v11, v16
	v_add_co_ci_u32_e32 v17, vcc_lo, v12, v17, vcc_lo
	v_lshlrev_b64 v[14:15], 2, v[14:15]
	v_add_co_u32 v20, vcc_lo, v11, v20
	v_add_co_ci_u32_e32 v21, vcc_lo, v12, v21, vcc_lo
	s_clause 0x2
	global_store_b32 v[18:19], v8, off
	global_store_b32 v[16:17], v52, off
	;; [unrolled: 1-line block ×3, first 2 shown]
	v_add_co_u32 v14, vcc_lo, v11, v14
	v_add_co_ci_u32_e32 v15, vcc_lo, v12, v15, vcc_lo
	global_store_b32 v[14:15], v72, off
	s_or_b32 exec_lo, exec_lo, s15
	s_delay_alu instid0(SALU_CYCLE_1)
	s_and_b32 exec_lo, exec_lo, s18
	s_cbranch_execnz .LBB388_182
	s_branch .LBB388_183
.LBB388_280:
	s_and_saveexec_b32 s18, s14
	s_cbranch_execnz .LBB388_336
; %bb.281:
	s_or_b32 exec_lo, exec_lo, s18
	s_and_saveexec_b32 s14, s13
	s_cbranch_execnz .LBB388_337
.LBB388_282:
	s_or_b32 exec_lo, exec_lo, s14
	s_and_saveexec_b32 s13, s12
	s_cbranch_execnz .LBB388_338
.LBB388_283:
	s_or_b32 exec_lo, exec_lo, s13
	s_and_saveexec_b32 s12, s11
	s_cbranch_execnz .LBB388_339
.LBB388_284:
	s_or_b32 exec_lo, exec_lo, s12
	s_and_saveexec_b32 s11, s10
	s_cbranch_execnz .LBB388_340
.LBB388_285:
	s_or_b32 exec_lo, exec_lo, s11
	s_and_saveexec_b32 s10, s9
	s_cbranch_execnz .LBB388_341
.LBB388_286:
	s_or_b32 exec_lo, exec_lo, s10
	s_and_saveexec_b32 s9, s8
	s_cbranch_execnz .LBB388_342
.LBB388_287:
	s_or_b32 exec_lo, exec_lo, s9
	s_and_saveexec_b32 s8, s7
	s_cbranch_execnz .LBB388_343
.LBB388_288:
	s_or_b32 exec_lo, exec_lo, s8
	s_and_saveexec_b32 s7, s6
	s_cbranch_execnz .LBB388_344
.LBB388_289:
	s_or_b32 exec_lo, exec_lo, s7
	s_and_saveexec_b32 s6, s5
	s_cbranch_execnz .LBB388_345
.LBB388_290:
	s_or_b32 exec_lo, exec_lo, s6
	s_and_saveexec_b32 s5, s4
	s_cbranch_execnz .LBB388_346
.LBB388_291:
	s_or_b32 exec_lo, exec_lo, s5
	s_and_saveexec_b32 s4, s3
	s_cbranch_execnz .LBB388_347
.LBB388_292:
	s_or_b32 exec_lo, exec_lo, s4
	s_and_saveexec_b32 s3, s2
	s_cbranch_execnz .LBB388_348
.LBB388_293:
	s_or_b32 exec_lo, exec_lo, s3
	s_and_saveexec_b32 s2, s1
	s_cbranch_execz .LBB388_295
.LBB388_294:
	v_sub_nc_u32_e32 v5, v71, v4
	s_delay_alu instid0(VALU_DEP_1)
	v_lshlrev_b32_e32 v5, 2, v5
	ds_store_b32 v5, v72
.LBB388_295:
	s_or_b32 exec_lo, exec_lo, s2
	s_delay_alu instid0(SALU_CYCLE_1)
	s_and_b32 s18, s0, exec_lo
                                        ; implicit-def: $vgpr67_vgpr68
                                        ; implicit-def: $vgpr73_vgpr74
                                        ; implicit-def: $vgpr69_vgpr70
                                        ; implicit-def: $vgpr65_vgpr66
                                        ; implicit-def: $vgpr59_vgpr60
                                        ; implicit-def: $vgpr55_vgpr56
                                        ; implicit-def: $vgpr53_vgpr54
                                        ; implicit-def: $vgpr57_vgpr58
                                        ; implicit-def: $vgpr61_vgpr62
                                        ; implicit-def: $vgpr5_vgpr6
                                        ; implicit-def: $vgpr7_vgpr8
                                        ; implicit-def: $vgpr51_vgpr52
                                        ; implicit-def: $vgpr75_vgpr76
                                        ; implicit-def: $vgpr71_vgpr72
	s_and_not1_saveexec_b32 s0, s16
	s_cbranch_execz .LBB388_187
.LBB388_296:
	v_sub_nc_u32_e32 v13, v67, v4
	v_sub_nc_u32_e32 v14, v73, v4
	v_sub_nc_u32_e32 v15, v69, v4
	v_sub_nc_u32_e32 v16, v65, v4
	v_sub_nc_u32_e32 v17, v61, v4
	v_lshlrev_b32_e32 v13, 2, v13
	v_lshlrev_b32_e32 v14, 2, v14
	;; [unrolled: 1-line block ×4, first 2 shown]
	v_sub_nc_u32_e32 v5, v5, v4
	ds_store_b32 v13, v68
	ds_store_b32 v14, v74
	;; [unrolled: 1-line block ×3, first 2 shown]
	v_sub_nc_u32_e32 v13, v59, v4
	v_sub_nc_u32_e32 v14, v55, v4
	;; [unrolled: 1-line block ×3, first 2 shown]
	ds_store_b32 v16, v66
	v_sub_nc_u32_e32 v16, v57, v4
	v_lshlrev_b32_e32 v13, 2, v13
	v_lshlrev_b32_e32 v14, 2, v14
	;; [unrolled: 1-line block ×3, first 2 shown]
	v_sub_nc_u32_e32 v7, v7, v4
	v_lshlrev_b32_e32 v16, 2, v16
	ds_store_b32 v13, v60
	v_lshlrev_b32_e32 v13, 2, v17
	ds_store_b32 v14, v56
	ds_store_b32 v15, v54
	;; [unrolled: 1-line block ×3, first 2 shown]
	v_lshlrev_b32_e32 v5, 2, v5
	v_sub_nc_u32_e32 v15, v71, v4
	v_sub_nc_u32_e32 v14, v75, v4
	ds_store_b32 v13, v62
	v_sub_nc_u32_e32 v13, v51, v4
	v_lshlrev_b32_e32 v7, 2, v7
	ds_store_b32 v5, v6
	v_lshlrev_b32_e32 v5, 2, v15
	v_lshlrev_b32_e32 v14, 2, v14
	;; [unrolled: 1-line block ×3, first 2 shown]
	s_or_b32 s18, s18, exec_lo
	ds_store_b32 v7, v8
	ds_store_b32 v13, v52
	;; [unrolled: 1-line block ×4, first 2 shown]
	s_or_b32 exec_lo, exec_lo, s0
	s_delay_alu instid0(SALU_CYCLE_1)
	s_and_b32 exec_lo, exec_lo, s18
	s_cbranch_execnz .LBB388_188
	s_branch .LBB388_189
.LBB388_297:
	v_sub_nc_u32_e32 v44, v67, v3
	v_mov_b32_e32 v45, 0
	s_delay_alu instid0(VALU_DEP_1) | instskip(NEXT) | instid1(VALU_DEP_1)
	v_lshlrev_b64 v[44:45], 2, v[44:45]
	v_add_co_u32 v44, vcc_lo, v2, v44
	s_delay_alu instid0(VALU_DEP_2)
	v_add_co_ci_u32_e32 v45, vcc_lo, v4, v45, vcc_lo
	global_store_b32 v[44:45], v21, off
	s_or_b32 exec_lo, exec_lo, s19
	s_and_saveexec_b32 s19, s14
	s_cbranch_execz .LBB388_231
.LBB388_298:
	v_sub_nc_u32_e32 v44, v73, v3
	v_mov_b32_e32 v45, 0
	s_delay_alu instid0(VALU_DEP_1) | instskip(NEXT) | instid1(VALU_DEP_1)
	v_lshlrev_b64 v[44:45], 2, v[44:45]
	v_add_co_u32 v44, vcc_lo, v2, v44
	s_delay_alu instid0(VALU_DEP_2)
	v_add_co_ci_u32_e32 v45, vcc_lo, v4, v45, vcc_lo
	global_store_b32 v[44:45], v22, off
	s_or_b32 exec_lo, exec_lo, s19
	s_and_saveexec_b32 s19, s13
	s_cbranch_execz .LBB388_232
.LBB388_299:
	v_sub_nc_u32_e32 v44, v69, v3
	v_mov_b32_e32 v45, 0
	s_delay_alu instid0(VALU_DEP_1) | instskip(NEXT) | instid1(VALU_DEP_1)
	v_lshlrev_b64 v[44:45], 2, v[44:45]
	v_add_co_u32 v44, vcc_lo, v2, v44
	s_delay_alu instid0(VALU_DEP_2)
	v_add_co_ci_u32_e32 v45, vcc_lo, v4, v45, vcc_lo
	global_store_b32 v[44:45], v19, off
	s_or_b32 exec_lo, exec_lo, s19
	s_and_saveexec_b32 s19, s12
	s_cbranch_execz .LBB388_233
.LBB388_300:
	v_sub_nc_u32_e32 v44, v65, v3
	v_mov_b32_e32 v45, 0
	s_delay_alu instid0(VALU_DEP_1) | instskip(NEXT) | instid1(VALU_DEP_1)
	v_lshlrev_b64 v[44:45], 2, v[44:45]
	v_add_co_u32 v44, vcc_lo, v2, v44
	s_delay_alu instid0(VALU_DEP_2)
	v_add_co_ci_u32_e32 v45, vcc_lo, v4, v45, vcc_lo
	global_store_b32 v[44:45], v20, off
	s_or_b32 exec_lo, exec_lo, s19
	s_and_saveexec_b32 s19, s11
	s_cbranch_execz .LBB388_234
.LBB388_301:
	v_sub_nc_u32_e32 v44, v59, v3
	v_mov_b32_e32 v45, 0
	s_delay_alu instid0(VALU_DEP_1) | instskip(NEXT) | instid1(VALU_DEP_1)
	v_lshlrev_b64 v[44:45], 2, v[44:45]
	v_add_co_u32 v44, vcc_lo, v2, v44
	s_delay_alu instid0(VALU_DEP_2)
	v_add_co_ci_u32_e32 v45, vcc_lo, v4, v45, vcc_lo
	global_store_b32 v[44:45], v17, off
	s_or_b32 exec_lo, exec_lo, s19
	s_and_saveexec_b32 s19, s10
	s_cbranch_execz .LBB388_235
.LBB388_302:
	v_sub_nc_u32_e32 v44, v55, v3
	v_mov_b32_e32 v45, 0
	s_delay_alu instid0(VALU_DEP_1) | instskip(NEXT) | instid1(VALU_DEP_1)
	v_lshlrev_b64 v[44:45], 2, v[44:45]
	v_add_co_u32 v44, vcc_lo, v2, v44
	s_delay_alu instid0(VALU_DEP_2)
	v_add_co_ci_u32_e32 v45, vcc_lo, v4, v45, vcc_lo
	global_store_b32 v[44:45], v18, off
	s_or_b32 exec_lo, exec_lo, s19
	s_and_saveexec_b32 s19, s8
	s_cbranch_execz .LBB388_236
.LBB388_303:
	v_sub_nc_u32_e32 v44, v53, v3
	v_mov_b32_e32 v45, 0
	s_delay_alu instid0(VALU_DEP_1) | instskip(NEXT) | instid1(VALU_DEP_1)
	v_lshlrev_b64 v[44:45], 2, v[44:45]
	v_add_co_u32 v44, vcc_lo, v2, v44
	s_delay_alu instid0(VALU_DEP_2)
	v_add_co_ci_u32_e32 v45, vcc_lo, v4, v45, vcc_lo
	global_store_b32 v[44:45], v15, off
	s_or_b32 exec_lo, exec_lo, s19
	s_and_saveexec_b32 s19, s6
	s_cbranch_execz .LBB388_237
.LBB388_304:
	v_sub_nc_u32_e32 v44, v57, v3
	v_mov_b32_e32 v45, 0
	s_delay_alu instid0(VALU_DEP_1) | instskip(NEXT) | instid1(VALU_DEP_1)
	v_lshlrev_b64 v[44:45], 2, v[44:45]
	v_add_co_u32 v44, vcc_lo, v2, v44
	s_delay_alu instid0(VALU_DEP_2)
	v_add_co_ci_u32_e32 v45, vcc_lo, v4, v45, vcc_lo
	global_store_b32 v[44:45], v16, off
	s_or_b32 exec_lo, exec_lo, s19
	s_and_saveexec_b32 s19, s9
	s_cbranch_execz .LBB388_238
.LBB388_305:
	v_sub_nc_u32_e32 v44, v61, v3
	v_mov_b32_e32 v45, 0
	s_delay_alu instid0(VALU_DEP_1) | instskip(NEXT) | instid1(VALU_DEP_1)
	v_lshlrev_b64 v[44:45], 2, v[44:45]
	v_add_co_u32 v44, vcc_lo, v2, v44
	s_delay_alu instid0(VALU_DEP_2)
	v_add_co_ci_u32_e32 v45, vcc_lo, v4, v45, vcc_lo
	global_store_b32 v[44:45], v13, off
	s_or_b32 exec_lo, exec_lo, s19
	s_and_saveexec_b32 s19, s7
	s_cbranch_execz .LBB388_239
.LBB388_306:
	v_sub_nc_u32_e32 v44, v5, v3
	v_mov_b32_e32 v45, 0
	s_delay_alu instid0(VALU_DEP_1) | instskip(NEXT) | instid1(VALU_DEP_1)
	v_lshlrev_b64 v[44:45], 2, v[44:45]
	v_add_co_u32 v44, vcc_lo, v2, v44
	s_delay_alu instid0(VALU_DEP_2)
	v_add_co_ci_u32_e32 v45, vcc_lo, v4, v45, vcc_lo
	global_store_b32 v[44:45], v14, off
	s_or_b32 exec_lo, exec_lo, s19
	s_and_saveexec_b32 s19, s5
	s_cbranch_execz .LBB388_240
.LBB388_307:
	v_sub_nc_u32_e32 v44, v7, v3
	v_mov_b32_e32 v45, 0
	s_delay_alu instid0(VALU_DEP_1) | instskip(NEXT) | instid1(VALU_DEP_1)
	v_lshlrev_b64 v[44:45], 2, v[44:45]
	v_add_co_u32 v44, vcc_lo, v2, v44
	s_delay_alu instid0(VALU_DEP_2)
	v_add_co_ci_u32_e32 v45, vcc_lo, v4, v45, vcc_lo
	global_store_b32 v[44:45], v11, off
	s_or_b32 exec_lo, exec_lo, s19
	s_and_saveexec_b32 s19, s4
	s_cbranch_execz .LBB388_241
.LBB388_308:
	v_sub_nc_u32_e32 v44, v51, v3
	v_mov_b32_e32 v45, 0
	s_delay_alu instid0(VALU_DEP_1) | instskip(NEXT) | instid1(VALU_DEP_1)
	v_lshlrev_b64 v[44:45], 2, v[44:45]
	v_add_co_u32 v44, vcc_lo, v2, v44
	s_delay_alu instid0(VALU_DEP_2)
	v_add_co_ci_u32_e32 v45, vcc_lo, v4, v45, vcc_lo
	global_store_b32 v[44:45], v12, off
	s_or_b32 exec_lo, exec_lo, s19
	s_and_saveexec_b32 s19, s3
	s_cbranch_execz .LBB388_242
.LBB388_309:
	v_sub_nc_u32_e32 v44, v75, v3
	v_mov_b32_e32 v45, 0
	s_delay_alu instid0(VALU_DEP_1) | instskip(NEXT) | instid1(VALU_DEP_1)
	v_lshlrev_b64 v[44:45], 2, v[44:45]
	v_add_co_u32 v44, vcc_lo, v2, v44
	s_delay_alu instid0(VALU_DEP_2)
	v_add_co_ci_u32_e32 v45, vcc_lo, v4, v45, vcc_lo
	global_store_b32 v[44:45], v9, off
	s_or_b32 exec_lo, exec_lo, s19
	s_and_saveexec_b32 s19, s1
	s_cbranch_execnz .LBB388_243
	s_branch .LBB388_244
.LBB388_310:
	v_sub_nc_u32_e32 v43, v67, v3
	s_delay_alu instid0(VALU_DEP_1)
	v_lshlrev_b32_e32 v43, 2, v43
	ds_store_b32 v43, v21
	s_or_b32 exec_lo, exec_lo, s19
	s_and_saveexec_b32 s15, s14
	s_cbranch_execz .LBB388_248
.LBB388_311:
	v_sub_nc_u32_e32 v21, v73, v3
	s_delay_alu instid0(VALU_DEP_1)
	v_lshlrev_b32_e32 v21, 2, v21
	ds_store_b32 v21, v22
	s_or_b32 exec_lo, exec_lo, s15
	s_and_saveexec_b32 s14, s13
	s_cbranch_execz .LBB388_249
.LBB388_312:
	v_sub_nc_u32_e32 v21, v69, v3
	s_delay_alu instid0(VALU_DEP_1)
	v_lshlrev_b32_e32 v21, 2, v21
	ds_store_b32 v21, v19
	s_or_b32 exec_lo, exec_lo, s14
	s_and_saveexec_b32 s13, s12
	s_cbranch_execz .LBB388_250
.LBB388_313:
	v_sub_nc_u32_e32 v19, v65, v3
	s_delay_alu instid0(VALU_DEP_1)
	v_lshlrev_b32_e32 v19, 2, v19
	ds_store_b32 v19, v20
	s_or_b32 exec_lo, exec_lo, s13
	s_and_saveexec_b32 s12, s11
	s_cbranch_execz .LBB388_251
.LBB388_314:
	v_sub_nc_u32_e32 v19, v59, v3
	s_delay_alu instid0(VALU_DEP_1)
	v_lshlrev_b32_e32 v19, 2, v19
	ds_store_b32 v19, v17
	s_or_b32 exec_lo, exec_lo, s12
	s_and_saveexec_b32 s11, s10
	s_cbranch_execz .LBB388_252
.LBB388_315:
	v_sub_nc_u32_e32 v17, v55, v3
	s_delay_alu instid0(VALU_DEP_1)
	v_lshlrev_b32_e32 v17, 2, v17
	ds_store_b32 v17, v18
	s_or_b32 exec_lo, exec_lo, s11
	s_and_saveexec_b32 s10, s8
	s_cbranch_execz .LBB388_253
.LBB388_316:
	v_sub_nc_u32_e32 v17, v53, v3
	s_delay_alu instid0(VALU_DEP_1)
	v_lshlrev_b32_e32 v17, 2, v17
	ds_store_b32 v17, v15
	s_or_b32 exec_lo, exec_lo, s10
	s_and_saveexec_b32 s8, s6
	s_cbranch_execz .LBB388_254
.LBB388_317:
	v_sub_nc_u32_e32 v15, v57, v3
	s_delay_alu instid0(VALU_DEP_1)
	v_lshlrev_b32_e32 v15, 2, v15
	ds_store_b32 v15, v16
	s_or_b32 exec_lo, exec_lo, s8
	s_and_saveexec_b32 s6, s9
	s_cbranch_execz .LBB388_255
.LBB388_318:
	v_sub_nc_u32_e32 v15, v61, v3
	s_delay_alu instid0(VALU_DEP_1)
	v_lshlrev_b32_e32 v15, 2, v15
	ds_store_b32 v15, v13
	s_or_b32 exec_lo, exec_lo, s6
	s_and_saveexec_b32 s6, s7
	s_cbranch_execz .LBB388_256
.LBB388_319:
	v_sub_nc_u32_e32 v13, v5, v3
	s_delay_alu instid0(VALU_DEP_1)
	v_lshlrev_b32_e32 v13, 2, v13
	ds_store_b32 v13, v14
	s_or_b32 exec_lo, exec_lo, s6
	s_and_saveexec_b32 s6, s5
	s_cbranch_execz .LBB388_257
.LBB388_320:
	v_sub_nc_u32_e32 v13, v7, v3
	s_delay_alu instid0(VALU_DEP_1)
	v_lshlrev_b32_e32 v13, 2, v13
	ds_store_b32 v13, v11
	s_or_b32 exec_lo, exec_lo, s6
	s_and_saveexec_b32 s5, s4
	s_cbranch_execz .LBB388_258
.LBB388_321:
	v_sub_nc_u32_e32 v11, v51, v3
	s_delay_alu instid0(VALU_DEP_1)
	v_lshlrev_b32_e32 v11, 2, v11
	ds_store_b32 v11, v12
	s_or_b32 exec_lo, exec_lo, s5
	s_and_saveexec_b32 s4, s3
	s_cbranch_execz .LBB388_259
.LBB388_322:
	v_sub_nc_u32_e32 v11, v75, v3
	s_delay_alu instid0(VALU_DEP_1)
	v_lshlrev_b32_e32 v11, 2, v11
	ds_store_b32 v11, v9
	s_or_b32 exec_lo, exec_lo, s4
	s_and_saveexec_b32 s3, s1
	s_cbranch_execnz .LBB388_260
	s_branch .LBB388_261
.LBB388_323:
	v_sub_nc_u32_e32 v14, v67, v4
	v_mov_b32_e32 v15, 0
	s_delay_alu instid0(VALU_DEP_1) | instskip(NEXT) | instid1(VALU_DEP_1)
	v_lshlrev_b64 v[14:15], 2, v[14:15]
	v_add_co_u32 v14, vcc_lo, v11, v14
	s_delay_alu instid0(VALU_DEP_2)
	v_add_co_ci_u32_e32 v15, vcc_lo, v12, v15, vcc_lo
	global_store_b32 v[14:15], v68, off
	s_or_b32 exec_lo, exec_lo, s18
	s_and_saveexec_b32 s18, s13
	s_cbranch_execz .LBB388_265
.LBB388_324:
	v_sub_nc_u32_e32 v14, v73, v4
	v_mov_b32_e32 v15, 0
	s_delay_alu instid0(VALU_DEP_1) | instskip(NEXT) | instid1(VALU_DEP_1)
	v_lshlrev_b64 v[14:15], 2, v[14:15]
	v_add_co_u32 v14, vcc_lo, v11, v14
	s_delay_alu instid0(VALU_DEP_2)
	v_add_co_ci_u32_e32 v15, vcc_lo, v12, v15, vcc_lo
	global_store_b32 v[14:15], v74, off
	s_or_b32 exec_lo, exec_lo, s18
	s_and_saveexec_b32 s18, s12
	s_cbranch_execz .LBB388_266
.LBB388_325:
	v_sub_nc_u32_e32 v14, v69, v4
	v_mov_b32_e32 v15, 0
	s_delay_alu instid0(VALU_DEP_1) | instskip(NEXT) | instid1(VALU_DEP_1)
	v_lshlrev_b64 v[14:15], 2, v[14:15]
	v_add_co_u32 v14, vcc_lo, v11, v14
	s_delay_alu instid0(VALU_DEP_2)
	v_add_co_ci_u32_e32 v15, vcc_lo, v12, v15, vcc_lo
	global_store_b32 v[14:15], v70, off
	s_or_b32 exec_lo, exec_lo, s18
	s_and_saveexec_b32 s18, s11
	s_cbranch_execz .LBB388_267
.LBB388_326:
	v_sub_nc_u32_e32 v14, v65, v4
	v_mov_b32_e32 v15, 0
	s_delay_alu instid0(VALU_DEP_1) | instskip(NEXT) | instid1(VALU_DEP_1)
	v_lshlrev_b64 v[14:15], 2, v[14:15]
	v_add_co_u32 v14, vcc_lo, v11, v14
	s_delay_alu instid0(VALU_DEP_2)
	v_add_co_ci_u32_e32 v15, vcc_lo, v12, v15, vcc_lo
	global_store_b32 v[14:15], v66, off
	s_or_b32 exec_lo, exec_lo, s18
	s_and_saveexec_b32 s18, s10
	s_cbranch_execz .LBB388_268
.LBB388_327:
	v_sub_nc_u32_e32 v14, v59, v4
	v_mov_b32_e32 v15, 0
	s_delay_alu instid0(VALU_DEP_1) | instskip(NEXT) | instid1(VALU_DEP_1)
	v_lshlrev_b64 v[14:15], 2, v[14:15]
	v_add_co_u32 v14, vcc_lo, v11, v14
	s_delay_alu instid0(VALU_DEP_2)
	v_add_co_ci_u32_e32 v15, vcc_lo, v12, v15, vcc_lo
	global_store_b32 v[14:15], v60, off
	s_or_b32 exec_lo, exec_lo, s18
	s_and_saveexec_b32 s18, s9
	s_cbranch_execz .LBB388_269
.LBB388_328:
	v_sub_nc_u32_e32 v14, v55, v4
	v_mov_b32_e32 v15, 0
	s_delay_alu instid0(VALU_DEP_1) | instskip(NEXT) | instid1(VALU_DEP_1)
	v_lshlrev_b64 v[14:15], 2, v[14:15]
	v_add_co_u32 v14, vcc_lo, v11, v14
	s_delay_alu instid0(VALU_DEP_2)
	v_add_co_ci_u32_e32 v15, vcc_lo, v12, v15, vcc_lo
	global_store_b32 v[14:15], v56, off
	s_or_b32 exec_lo, exec_lo, s18
	s_and_saveexec_b32 s18, s8
	s_cbranch_execz .LBB388_270
.LBB388_329:
	v_sub_nc_u32_e32 v14, v53, v4
	v_mov_b32_e32 v15, 0
	s_delay_alu instid0(VALU_DEP_1) | instskip(NEXT) | instid1(VALU_DEP_1)
	v_lshlrev_b64 v[14:15], 2, v[14:15]
	v_add_co_u32 v14, vcc_lo, v11, v14
	s_delay_alu instid0(VALU_DEP_2)
	v_add_co_ci_u32_e32 v15, vcc_lo, v12, v15, vcc_lo
	global_store_b32 v[14:15], v54, off
	s_or_b32 exec_lo, exec_lo, s18
	s_and_saveexec_b32 s18, s7
	s_cbranch_execz .LBB388_271
.LBB388_330:
	v_sub_nc_u32_e32 v14, v57, v4
	v_mov_b32_e32 v15, 0
	s_delay_alu instid0(VALU_DEP_1) | instskip(NEXT) | instid1(VALU_DEP_1)
	v_lshlrev_b64 v[14:15], 2, v[14:15]
	v_add_co_u32 v14, vcc_lo, v11, v14
	s_delay_alu instid0(VALU_DEP_2)
	v_add_co_ci_u32_e32 v15, vcc_lo, v12, v15, vcc_lo
	global_store_b32 v[14:15], v58, off
	s_or_b32 exec_lo, exec_lo, s18
	s_and_saveexec_b32 s18, s6
	s_cbranch_execz .LBB388_272
.LBB388_331:
	v_sub_nc_u32_e32 v14, v61, v4
	v_mov_b32_e32 v15, 0
	s_delay_alu instid0(VALU_DEP_1) | instskip(NEXT) | instid1(VALU_DEP_1)
	v_lshlrev_b64 v[14:15], 2, v[14:15]
	v_add_co_u32 v14, vcc_lo, v11, v14
	s_delay_alu instid0(VALU_DEP_2)
	v_add_co_ci_u32_e32 v15, vcc_lo, v12, v15, vcc_lo
	global_store_b32 v[14:15], v62, off
	s_or_b32 exec_lo, exec_lo, s18
	s_and_saveexec_b32 s18, s5
	s_cbranch_execz .LBB388_273
.LBB388_332:
	v_sub_nc_u32_e32 v14, v5, v4
	v_mov_b32_e32 v15, 0
	s_delay_alu instid0(VALU_DEP_1) | instskip(NEXT) | instid1(VALU_DEP_1)
	v_lshlrev_b64 v[14:15], 2, v[14:15]
	v_add_co_u32 v14, vcc_lo, v11, v14
	s_delay_alu instid0(VALU_DEP_2)
	v_add_co_ci_u32_e32 v15, vcc_lo, v12, v15, vcc_lo
	global_store_b32 v[14:15], v6, off
	s_or_b32 exec_lo, exec_lo, s18
	s_and_saveexec_b32 s18, s4
	s_cbranch_execz .LBB388_274
.LBB388_333:
	v_sub_nc_u32_e32 v14, v7, v4
	v_mov_b32_e32 v15, 0
	s_delay_alu instid0(VALU_DEP_1) | instskip(NEXT) | instid1(VALU_DEP_1)
	v_lshlrev_b64 v[14:15], 2, v[14:15]
	v_add_co_u32 v14, vcc_lo, v11, v14
	s_delay_alu instid0(VALU_DEP_2)
	v_add_co_ci_u32_e32 v15, vcc_lo, v12, v15, vcc_lo
	global_store_b32 v[14:15], v8, off
	s_or_b32 exec_lo, exec_lo, s18
	s_and_saveexec_b32 s18, s3
	s_cbranch_execz .LBB388_275
.LBB388_334:
	v_sub_nc_u32_e32 v14, v51, v4
	v_mov_b32_e32 v15, 0
	s_delay_alu instid0(VALU_DEP_1) | instskip(NEXT) | instid1(VALU_DEP_1)
	v_lshlrev_b64 v[14:15], 2, v[14:15]
	v_add_co_u32 v14, vcc_lo, v11, v14
	s_delay_alu instid0(VALU_DEP_2)
	v_add_co_ci_u32_e32 v15, vcc_lo, v12, v15, vcc_lo
	global_store_b32 v[14:15], v52, off
	s_or_b32 exec_lo, exec_lo, s18
	s_and_saveexec_b32 s18, s2
	s_cbranch_execz .LBB388_276
.LBB388_335:
	v_sub_nc_u32_e32 v14, v75, v4
	v_mov_b32_e32 v15, 0
	s_delay_alu instid0(VALU_DEP_1) | instskip(NEXT) | instid1(VALU_DEP_1)
	v_lshlrev_b64 v[14:15], 2, v[14:15]
	v_add_co_u32 v14, vcc_lo, v11, v14
	s_delay_alu instid0(VALU_DEP_2)
	v_add_co_ci_u32_e32 v15, vcc_lo, v12, v15, vcc_lo
	global_store_b32 v[14:15], v76, off
	s_or_b32 exec_lo, exec_lo, s18
	s_and_saveexec_b32 s18, s1
	s_cbranch_execnz .LBB388_277
	s_branch .LBB388_278
.LBB388_336:
	v_sub_nc_u32_e32 v13, v67, v4
	s_delay_alu instid0(VALU_DEP_1)
	v_lshlrev_b32_e32 v13, 2, v13
	ds_store_b32 v13, v68
	s_or_b32 exec_lo, exec_lo, s18
	s_and_saveexec_b32 s14, s13
	s_cbranch_execz .LBB388_282
.LBB388_337:
	v_sub_nc_u32_e32 v13, v73, v4
	s_delay_alu instid0(VALU_DEP_1)
	v_lshlrev_b32_e32 v13, 2, v13
	ds_store_b32 v13, v74
	s_or_b32 exec_lo, exec_lo, s14
	s_and_saveexec_b32 s13, s12
	s_cbranch_execz .LBB388_283
.LBB388_338:
	v_sub_nc_u32_e32 v13, v69, v4
	s_delay_alu instid0(VALU_DEP_1)
	v_lshlrev_b32_e32 v13, 2, v13
	ds_store_b32 v13, v70
	s_or_b32 exec_lo, exec_lo, s13
	s_and_saveexec_b32 s12, s11
	s_cbranch_execz .LBB388_284
.LBB388_339:
	v_sub_nc_u32_e32 v13, v65, v4
	s_delay_alu instid0(VALU_DEP_1)
	v_lshlrev_b32_e32 v13, 2, v13
	ds_store_b32 v13, v66
	s_or_b32 exec_lo, exec_lo, s12
	s_and_saveexec_b32 s11, s10
	s_cbranch_execz .LBB388_285
.LBB388_340:
	v_sub_nc_u32_e32 v13, v59, v4
	s_delay_alu instid0(VALU_DEP_1)
	v_lshlrev_b32_e32 v13, 2, v13
	ds_store_b32 v13, v60
	s_or_b32 exec_lo, exec_lo, s11
	s_and_saveexec_b32 s10, s9
	s_cbranch_execz .LBB388_286
.LBB388_341:
	v_sub_nc_u32_e32 v13, v55, v4
	s_delay_alu instid0(VALU_DEP_1)
	v_lshlrev_b32_e32 v13, 2, v13
	ds_store_b32 v13, v56
	s_or_b32 exec_lo, exec_lo, s10
	s_and_saveexec_b32 s9, s8
	s_cbranch_execz .LBB388_287
.LBB388_342:
	v_sub_nc_u32_e32 v13, v53, v4
	s_delay_alu instid0(VALU_DEP_1)
	v_lshlrev_b32_e32 v13, 2, v13
	ds_store_b32 v13, v54
	s_or_b32 exec_lo, exec_lo, s9
	s_and_saveexec_b32 s8, s7
	s_cbranch_execz .LBB388_288
.LBB388_343:
	v_sub_nc_u32_e32 v13, v57, v4
	s_delay_alu instid0(VALU_DEP_1)
	v_lshlrev_b32_e32 v13, 2, v13
	ds_store_b32 v13, v58
	s_or_b32 exec_lo, exec_lo, s8
	s_and_saveexec_b32 s7, s6
	s_cbranch_execz .LBB388_289
.LBB388_344:
	v_sub_nc_u32_e32 v13, v61, v4
	s_delay_alu instid0(VALU_DEP_1)
	v_lshlrev_b32_e32 v13, 2, v13
	ds_store_b32 v13, v62
	s_or_b32 exec_lo, exec_lo, s7
	s_and_saveexec_b32 s6, s5
	s_cbranch_execz .LBB388_290
.LBB388_345:
	v_sub_nc_u32_e32 v5, v5, v4
	s_delay_alu instid0(VALU_DEP_1)
	v_lshlrev_b32_e32 v5, 2, v5
	ds_store_b32 v5, v6
	s_or_b32 exec_lo, exec_lo, s6
	s_and_saveexec_b32 s5, s4
	s_cbranch_execz .LBB388_291
.LBB388_346:
	v_sub_nc_u32_e32 v5, v7, v4
	s_delay_alu instid0(VALU_DEP_1)
	v_lshlrev_b32_e32 v5, 2, v5
	ds_store_b32 v5, v8
	s_or_b32 exec_lo, exec_lo, s5
	s_and_saveexec_b32 s4, s3
	s_cbranch_execz .LBB388_292
.LBB388_347:
	v_sub_nc_u32_e32 v5, v51, v4
	s_delay_alu instid0(VALU_DEP_1)
	v_lshlrev_b32_e32 v5, 2, v5
	ds_store_b32 v5, v52
	s_or_b32 exec_lo, exec_lo, s4
	s_and_saveexec_b32 s3, s2
	s_cbranch_execz .LBB388_293
.LBB388_348:
	v_sub_nc_u32_e32 v5, v75, v4
	s_delay_alu instid0(VALU_DEP_1)
	v_lshlrev_b32_e32 v5, 2, v5
	ds_store_b32 v5, v76
	s_or_b32 exec_lo, exec_lo, s3
	s_and_saveexec_b32 s2, s1
	s_cbranch_execnz .LBB388_294
	s_branch .LBB388_295
	.section	.rodata,"a",@progbits
	.p2align	6, 0x0
	.amdhsa_kernel _ZN7rocprim17ROCPRIM_400000_NS6detail17trampoline_kernelINS0_14default_configENS1_29reduce_by_key_config_selectorIjjN6thrust23THRUST_200600_302600_NS4plusIjEEEEZZNS1_33reduce_by_key_impl_wrapped_configILNS1_25lookback_scan_determinismE0ES3_S9_NS6_6detail15normal_iteratorINS6_10device_ptrIjEEEESG_SG_SG_PmS8_22is_equal_div_10_reduceIjEEE10hipError_tPvRmT2_T3_mT4_T5_T6_T7_T8_P12ihipStream_tbENKUlT_T0_E_clISt17integral_constantIbLb0EES10_IbLb1EEEEDaSW_SX_EUlSW_E_NS1_11comp_targetILNS1_3genE9ELNS1_11target_archE1100ELNS1_3gpuE3ELNS1_3repE0EEENS1_30default_config_static_selectorELNS0_4arch9wavefront6targetE0EEEvT1_
		.amdhsa_group_segment_fixed_size 15360
		.amdhsa_private_segment_fixed_size 0
		.amdhsa_kernarg_size 120
		.amdhsa_user_sgpr_count 15
		.amdhsa_user_sgpr_dispatch_ptr 0
		.amdhsa_user_sgpr_queue_ptr 0
		.amdhsa_user_sgpr_kernarg_segment_ptr 1
		.amdhsa_user_sgpr_dispatch_id 0
		.amdhsa_user_sgpr_private_segment_size 0
		.amdhsa_wavefront_size32 1
		.amdhsa_uses_dynamic_stack 0
		.amdhsa_enable_private_segment 0
		.amdhsa_system_sgpr_workgroup_id_x 1
		.amdhsa_system_sgpr_workgroup_id_y 0
		.amdhsa_system_sgpr_workgroup_id_z 0
		.amdhsa_system_sgpr_workgroup_info 0
		.amdhsa_system_vgpr_workitem_id 0
		.amdhsa_next_free_vgpr 86
		.amdhsa_next_free_sgpr 44
		.amdhsa_reserve_vcc 1
		.amdhsa_float_round_mode_32 0
		.amdhsa_float_round_mode_16_64 0
		.amdhsa_float_denorm_mode_32 3
		.amdhsa_float_denorm_mode_16_64 3
		.amdhsa_dx10_clamp 1
		.amdhsa_ieee_mode 1
		.amdhsa_fp16_overflow 0
		.amdhsa_workgroup_processor_mode 1
		.amdhsa_memory_ordered 1
		.amdhsa_forward_progress 0
		.amdhsa_shared_vgpr_count 0
		.amdhsa_exception_fp_ieee_invalid_op 0
		.amdhsa_exception_fp_denorm_src 0
		.amdhsa_exception_fp_ieee_div_zero 0
		.amdhsa_exception_fp_ieee_overflow 0
		.amdhsa_exception_fp_ieee_underflow 0
		.amdhsa_exception_fp_ieee_inexact 0
		.amdhsa_exception_int_div_zero 0
	.end_amdhsa_kernel
	.section	.text._ZN7rocprim17ROCPRIM_400000_NS6detail17trampoline_kernelINS0_14default_configENS1_29reduce_by_key_config_selectorIjjN6thrust23THRUST_200600_302600_NS4plusIjEEEEZZNS1_33reduce_by_key_impl_wrapped_configILNS1_25lookback_scan_determinismE0ES3_S9_NS6_6detail15normal_iteratorINS6_10device_ptrIjEEEESG_SG_SG_PmS8_22is_equal_div_10_reduceIjEEE10hipError_tPvRmT2_T3_mT4_T5_T6_T7_T8_P12ihipStream_tbENKUlT_T0_E_clISt17integral_constantIbLb0EES10_IbLb1EEEEDaSW_SX_EUlSW_E_NS1_11comp_targetILNS1_3genE9ELNS1_11target_archE1100ELNS1_3gpuE3ELNS1_3repE0EEENS1_30default_config_static_selectorELNS0_4arch9wavefront6targetE0EEEvT1_,"axG",@progbits,_ZN7rocprim17ROCPRIM_400000_NS6detail17trampoline_kernelINS0_14default_configENS1_29reduce_by_key_config_selectorIjjN6thrust23THRUST_200600_302600_NS4plusIjEEEEZZNS1_33reduce_by_key_impl_wrapped_configILNS1_25lookback_scan_determinismE0ES3_S9_NS6_6detail15normal_iteratorINS6_10device_ptrIjEEEESG_SG_SG_PmS8_22is_equal_div_10_reduceIjEEE10hipError_tPvRmT2_T3_mT4_T5_T6_T7_T8_P12ihipStream_tbENKUlT_T0_E_clISt17integral_constantIbLb0EES10_IbLb1EEEEDaSW_SX_EUlSW_E_NS1_11comp_targetILNS1_3genE9ELNS1_11target_archE1100ELNS1_3gpuE3ELNS1_3repE0EEENS1_30default_config_static_selectorELNS0_4arch9wavefront6targetE0EEEvT1_,comdat
.Lfunc_end388:
	.size	_ZN7rocprim17ROCPRIM_400000_NS6detail17trampoline_kernelINS0_14default_configENS1_29reduce_by_key_config_selectorIjjN6thrust23THRUST_200600_302600_NS4plusIjEEEEZZNS1_33reduce_by_key_impl_wrapped_configILNS1_25lookback_scan_determinismE0ES3_S9_NS6_6detail15normal_iteratorINS6_10device_ptrIjEEEESG_SG_SG_PmS8_22is_equal_div_10_reduceIjEEE10hipError_tPvRmT2_T3_mT4_T5_T6_T7_T8_P12ihipStream_tbENKUlT_T0_E_clISt17integral_constantIbLb0EES10_IbLb1EEEEDaSW_SX_EUlSW_E_NS1_11comp_targetILNS1_3genE9ELNS1_11target_archE1100ELNS1_3gpuE3ELNS1_3repE0EEENS1_30default_config_static_selectorELNS0_4arch9wavefront6targetE0EEEvT1_, .Lfunc_end388-_ZN7rocprim17ROCPRIM_400000_NS6detail17trampoline_kernelINS0_14default_configENS1_29reduce_by_key_config_selectorIjjN6thrust23THRUST_200600_302600_NS4plusIjEEEEZZNS1_33reduce_by_key_impl_wrapped_configILNS1_25lookback_scan_determinismE0ES3_S9_NS6_6detail15normal_iteratorINS6_10device_ptrIjEEEESG_SG_SG_PmS8_22is_equal_div_10_reduceIjEEE10hipError_tPvRmT2_T3_mT4_T5_T6_T7_T8_P12ihipStream_tbENKUlT_T0_E_clISt17integral_constantIbLb0EES10_IbLb1EEEEDaSW_SX_EUlSW_E_NS1_11comp_targetILNS1_3genE9ELNS1_11target_archE1100ELNS1_3gpuE3ELNS1_3repE0EEENS1_30default_config_static_selectorELNS0_4arch9wavefront6targetE0EEEvT1_
                                        ; -- End function
	.section	.AMDGPU.csdata,"",@progbits
; Kernel info:
; codeLenInByte = 20008
; NumSgprs: 46
; NumVgprs: 86
; ScratchSize: 0
; MemoryBound: 0
; FloatMode: 240
; IeeeMode: 1
; LDSByteSize: 15360 bytes/workgroup (compile time only)
; SGPRBlocks: 5
; VGPRBlocks: 10
; NumSGPRsForWavesPerEU: 46
; NumVGPRsForWavesPerEU: 86
; Occupancy: 16
; WaveLimiterHint : 1
; COMPUTE_PGM_RSRC2:SCRATCH_EN: 0
; COMPUTE_PGM_RSRC2:USER_SGPR: 15
; COMPUTE_PGM_RSRC2:TRAP_HANDLER: 0
; COMPUTE_PGM_RSRC2:TGID_X_EN: 1
; COMPUTE_PGM_RSRC2:TGID_Y_EN: 0
; COMPUTE_PGM_RSRC2:TGID_Z_EN: 0
; COMPUTE_PGM_RSRC2:TIDIG_COMP_CNT: 0
	.section	.text._ZN7rocprim17ROCPRIM_400000_NS6detail17trampoline_kernelINS0_14default_configENS1_29reduce_by_key_config_selectorIjjN6thrust23THRUST_200600_302600_NS4plusIjEEEEZZNS1_33reduce_by_key_impl_wrapped_configILNS1_25lookback_scan_determinismE0ES3_S9_NS6_6detail15normal_iteratorINS6_10device_ptrIjEEEESG_SG_SG_PmS8_22is_equal_div_10_reduceIjEEE10hipError_tPvRmT2_T3_mT4_T5_T6_T7_T8_P12ihipStream_tbENKUlT_T0_E_clISt17integral_constantIbLb0EES10_IbLb1EEEEDaSW_SX_EUlSW_E_NS1_11comp_targetILNS1_3genE8ELNS1_11target_archE1030ELNS1_3gpuE2ELNS1_3repE0EEENS1_30default_config_static_selectorELNS0_4arch9wavefront6targetE0EEEvT1_,"axG",@progbits,_ZN7rocprim17ROCPRIM_400000_NS6detail17trampoline_kernelINS0_14default_configENS1_29reduce_by_key_config_selectorIjjN6thrust23THRUST_200600_302600_NS4plusIjEEEEZZNS1_33reduce_by_key_impl_wrapped_configILNS1_25lookback_scan_determinismE0ES3_S9_NS6_6detail15normal_iteratorINS6_10device_ptrIjEEEESG_SG_SG_PmS8_22is_equal_div_10_reduceIjEEE10hipError_tPvRmT2_T3_mT4_T5_T6_T7_T8_P12ihipStream_tbENKUlT_T0_E_clISt17integral_constantIbLb0EES10_IbLb1EEEEDaSW_SX_EUlSW_E_NS1_11comp_targetILNS1_3genE8ELNS1_11target_archE1030ELNS1_3gpuE2ELNS1_3repE0EEENS1_30default_config_static_selectorELNS0_4arch9wavefront6targetE0EEEvT1_,comdat
	.protected	_ZN7rocprim17ROCPRIM_400000_NS6detail17trampoline_kernelINS0_14default_configENS1_29reduce_by_key_config_selectorIjjN6thrust23THRUST_200600_302600_NS4plusIjEEEEZZNS1_33reduce_by_key_impl_wrapped_configILNS1_25lookback_scan_determinismE0ES3_S9_NS6_6detail15normal_iteratorINS6_10device_ptrIjEEEESG_SG_SG_PmS8_22is_equal_div_10_reduceIjEEE10hipError_tPvRmT2_T3_mT4_T5_T6_T7_T8_P12ihipStream_tbENKUlT_T0_E_clISt17integral_constantIbLb0EES10_IbLb1EEEEDaSW_SX_EUlSW_E_NS1_11comp_targetILNS1_3genE8ELNS1_11target_archE1030ELNS1_3gpuE2ELNS1_3repE0EEENS1_30default_config_static_selectorELNS0_4arch9wavefront6targetE0EEEvT1_ ; -- Begin function _ZN7rocprim17ROCPRIM_400000_NS6detail17trampoline_kernelINS0_14default_configENS1_29reduce_by_key_config_selectorIjjN6thrust23THRUST_200600_302600_NS4plusIjEEEEZZNS1_33reduce_by_key_impl_wrapped_configILNS1_25lookback_scan_determinismE0ES3_S9_NS6_6detail15normal_iteratorINS6_10device_ptrIjEEEESG_SG_SG_PmS8_22is_equal_div_10_reduceIjEEE10hipError_tPvRmT2_T3_mT4_T5_T6_T7_T8_P12ihipStream_tbENKUlT_T0_E_clISt17integral_constantIbLb0EES10_IbLb1EEEEDaSW_SX_EUlSW_E_NS1_11comp_targetILNS1_3genE8ELNS1_11target_archE1030ELNS1_3gpuE2ELNS1_3repE0EEENS1_30default_config_static_selectorELNS0_4arch9wavefront6targetE0EEEvT1_
	.globl	_ZN7rocprim17ROCPRIM_400000_NS6detail17trampoline_kernelINS0_14default_configENS1_29reduce_by_key_config_selectorIjjN6thrust23THRUST_200600_302600_NS4plusIjEEEEZZNS1_33reduce_by_key_impl_wrapped_configILNS1_25lookback_scan_determinismE0ES3_S9_NS6_6detail15normal_iteratorINS6_10device_ptrIjEEEESG_SG_SG_PmS8_22is_equal_div_10_reduceIjEEE10hipError_tPvRmT2_T3_mT4_T5_T6_T7_T8_P12ihipStream_tbENKUlT_T0_E_clISt17integral_constantIbLb0EES10_IbLb1EEEEDaSW_SX_EUlSW_E_NS1_11comp_targetILNS1_3genE8ELNS1_11target_archE1030ELNS1_3gpuE2ELNS1_3repE0EEENS1_30default_config_static_selectorELNS0_4arch9wavefront6targetE0EEEvT1_
	.p2align	8
	.type	_ZN7rocprim17ROCPRIM_400000_NS6detail17trampoline_kernelINS0_14default_configENS1_29reduce_by_key_config_selectorIjjN6thrust23THRUST_200600_302600_NS4plusIjEEEEZZNS1_33reduce_by_key_impl_wrapped_configILNS1_25lookback_scan_determinismE0ES3_S9_NS6_6detail15normal_iteratorINS6_10device_ptrIjEEEESG_SG_SG_PmS8_22is_equal_div_10_reduceIjEEE10hipError_tPvRmT2_T3_mT4_T5_T6_T7_T8_P12ihipStream_tbENKUlT_T0_E_clISt17integral_constantIbLb0EES10_IbLb1EEEEDaSW_SX_EUlSW_E_NS1_11comp_targetILNS1_3genE8ELNS1_11target_archE1030ELNS1_3gpuE2ELNS1_3repE0EEENS1_30default_config_static_selectorELNS0_4arch9wavefront6targetE0EEEvT1_,@function
_ZN7rocprim17ROCPRIM_400000_NS6detail17trampoline_kernelINS0_14default_configENS1_29reduce_by_key_config_selectorIjjN6thrust23THRUST_200600_302600_NS4plusIjEEEEZZNS1_33reduce_by_key_impl_wrapped_configILNS1_25lookback_scan_determinismE0ES3_S9_NS6_6detail15normal_iteratorINS6_10device_ptrIjEEEESG_SG_SG_PmS8_22is_equal_div_10_reduceIjEEE10hipError_tPvRmT2_T3_mT4_T5_T6_T7_T8_P12ihipStream_tbENKUlT_T0_E_clISt17integral_constantIbLb0EES10_IbLb1EEEEDaSW_SX_EUlSW_E_NS1_11comp_targetILNS1_3genE8ELNS1_11target_archE1030ELNS1_3gpuE2ELNS1_3repE0EEENS1_30default_config_static_selectorELNS0_4arch9wavefront6targetE0EEEvT1_: ; @_ZN7rocprim17ROCPRIM_400000_NS6detail17trampoline_kernelINS0_14default_configENS1_29reduce_by_key_config_selectorIjjN6thrust23THRUST_200600_302600_NS4plusIjEEEEZZNS1_33reduce_by_key_impl_wrapped_configILNS1_25lookback_scan_determinismE0ES3_S9_NS6_6detail15normal_iteratorINS6_10device_ptrIjEEEESG_SG_SG_PmS8_22is_equal_div_10_reduceIjEEE10hipError_tPvRmT2_T3_mT4_T5_T6_T7_T8_P12ihipStream_tbENKUlT_T0_E_clISt17integral_constantIbLb0EES10_IbLb1EEEEDaSW_SX_EUlSW_E_NS1_11comp_targetILNS1_3genE8ELNS1_11target_archE1030ELNS1_3gpuE2ELNS1_3repE0EEENS1_30default_config_static_selectorELNS0_4arch9wavefront6targetE0EEEvT1_
; %bb.0:
	.section	.rodata,"a",@progbits
	.p2align	6, 0x0
	.amdhsa_kernel _ZN7rocprim17ROCPRIM_400000_NS6detail17trampoline_kernelINS0_14default_configENS1_29reduce_by_key_config_selectorIjjN6thrust23THRUST_200600_302600_NS4plusIjEEEEZZNS1_33reduce_by_key_impl_wrapped_configILNS1_25lookback_scan_determinismE0ES3_S9_NS6_6detail15normal_iteratorINS6_10device_ptrIjEEEESG_SG_SG_PmS8_22is_equal_div_10_reduceIjEEE10hipError_tPvRmT2_T3_mT4_T5_T6_T7_T8_P12ihipStream_tbENKUlT_T0_E_clISt17integral_constantIbLb0EES10_IbLb1EEEEDaSW_SX_EUlSW_E_NS1_11comp_targetILNS1_3genE8ELNS1_11target_archE1030ELNS1_3gpuE2ELNS1_3repE0EEENS1_30default_config_static_selectorELNS0_4arch9wavefront6targetE0EEEvT1_
		.amdhsa_group_segment_fixed_size 0
		.amdhsa_private_segment_fixed_size 0
		.amdhsa_kernarg_size 120
		.amdhsa_user_sgpr_count 15
		.amdhsa_user_sgpr_dispatch_ptr 0
		.amdhsa_user_sgpr_queue_ptr 0
		.amdhsa_user_sgpr_kernarg_segment_ptr 1
		.amdhsa_user_sgpr_dispatch_id 0
		.amdhsa_user_sgpr_private_segment_size 0
		.amdhsa_wavefront_size32 1
		.amdhsa_uses_dynamic_stack 0
		.amdhsa_enable_private_segment 0
		.amdhsa_system_sgpr_workgroup_id_x 1
		.amdhsa_system_sgpr_workgroup_id_y 0
		.amdhsa_system_sgpr_workgroup_id_z 0
		.amdhsa_system_sgpr_workgroup_info 0
		.amdhsa_system_vgpr_workitem_id 0
		.amdhsa_next_free_vgpr 1
		.amdhsa_next_free_sgpr 1
		.amdhsa_reserve_vcc 0
		.amdhsa_float_round_mode_32 0
		.amdhsa_float_round_mode_16_64 0
		.amdhsa_float_denorm_mode_32 3
		.amdhsa_float_denorm_mode_16_64 3
		.amdhsa_dx10_clamp 1
		.amdhsa_ieee_mode 1
		.amdhsa_fp16_overflow 0
		.amdhsa_workgroup_processor_mode 1
		.amdhsa_memory_ordered 1
		.amdhsa_forward_progress 0
		.amdhsa_shared_vgpr_count 0
		.amdhsa_exception_fp_ieee_invalid_op 0
		.amdhsa_exception_fp_denorm_src 0
		.amdhsa_exception_fp_ieee_div_zero 0
		.amdhsa_exception_fp_ieee_overflow 0
		.amdhsa_exception_fp_ieee_underflow 0
		.amdhsa_exception_fp_ieee_inexact 0
		.amdhsa_exception_int_div_zero 0
	.end_amdhsa_kernel
	.section	.text._ZN7rocprim17ROCPRIM_400000_NS6detail17trampoline_kernelINS0_14default_configENS1_29reduce_by_key_config_selectorIjjN6thrust23THRUST_200600_302600_NS4plusIjEEEEZZNS1_33reduce_by_key_impl_wrapped_configILNS1_25lookback_scan_determinismE0ES3_S9_NS6_6detail15normal_iteratorINS6_10device_ptrIjEEEESG_SG_SG_PmS8_22is_equal_div_10_reduceIjEEE10hipError_tPvRmT2_T3_mT4_T5_T6_T7_T8_P12ihipStream_tbENKUlT_T0_E_clISt17integral_constantIbLb0EES10_IbLb1EEEEDaSW_SX_EUlSW_E_NS1_11comp_targetILNS1_3genE8ELNS1_11target_archE1030ELNS1_3gpuE2ELNS1_3repE0EEENS1_30default_config_static_selectorELNS0_4arch9wavefront6targetE0EEEvT1_,"axG",@progbits,_ZN7rocprim17ROCPRIM_400000_NS6detail17trampoline_kernelINS0_14default_configENS1_29reduce_by_key_config_selectorIjjN6thrust23THRUST_200600_302600_NS4plusIjEEEEZZNS1_33reduce_by_key_impl_wrapped_configILNS1_25lookback_scan_determinismE0ES3_S9_NS6_6detail15normal_iteratorINS6_10device_ptrIjEEEESG_SG_SG_PmS8_22is_equal_div_10_reduceIjEEE10hipError_tPvRmT2_T3_mT4_T5_T6_T7_T8_P12ihipStream_tbENKUlT_T0_E_clISt17integral_constantIbLb0EES10_IbLb1EEEEDaSW_SX_EUlSW_E_NS1_11comp_targetILNS1_3genE8ELNS1_11target_archE1030ELNS1_3gpuE2ELNS1_3repE0EEENS1_30default_config_static_selectorELNS0_4arch9wavefront6targetE0EEEvT1_,comdat
.Lfunc_end389:
	.size	_ZN7rocprim17ROCPRIM_400000_NS6detail17trampoline_kernelINS0_14default_configENS1_29reduce_by_key_config_selectorIjjN6thrust23THRUST_200600_302600_NS4plusIjEEEEZZNS1_33reduce_by_key_impl_wrapped_configILNS1_25lookback_scan_determinismE0ES3_S9_NS6_6detail15normal_iteratorINS6_10device_ptrIjEEEESG_SG_SG_PmS8_22is_equal_div_10_reduceIjEEE10hipError_tPvRmT2_T3_mT4_T5_T6_T7_T8_P12ihipStream_tbENKUlT_T0_E_clISt17integral_constantIbLb0EES10_IbLb1EEEEDaSW_SX_EUlSW_E_NS1_11comp_targetILNS1_3genE8ELNS1_11target_archE1030ELNS1_3gpuE2ELNS1_3repE0EEENS1_30default_config_static_selectorELNS0_4arch9wavefront6targetE0EEEvT1_, .Lfunc_end389-_ZN7rocprim17ROCPRIM_400000_NS6detail17trampoline_kernelINS0_14default_configENS1_29reduce_by_key_config_selectorIjjN6thrust23THRUST_200600_302600_NS4plusIjEEEEZZNS1_33reduce_by_key_impl_wrapped_configILNS1_25lookback_scan_determinismE0ES3_S9_NS6_6detail15normal_iteratorINS6_10device_ptrIjEEEESG_SG_SG_PmS8_22is_equal_div_10_reduceIjEEE10hipError_tPvRmT2_T3_mT4_T5_T6_T7_T8_P12ihipStream_tbENKUlT_T0_E_clISt17integral_constantIbLb0EES10_IbLb1EEEEDaSW_SX_EUlSW_E_NS1_11comp_targetILNS1_3genE8ELNS1_11target_archE1030ELNS1_3gpuE2ELNS1_3repE0EEENS1_30default_config_static_selectorELNS0_4arch9wavefront6targetE0EEEvT1_
                                        ; -- End function
	.section	.AMDGPU.csdata,"",@progbits
; Kernel info:
; codeLenInByte = 0
; NumSgprs: 0
; NumVgprs: 0
; ScratchSize: 0
; MemoryBound: 0
; FloatMode: 240
; IeeeMode: 1
; LDSByteSize: 0 bytes/workgroup (compile time only)
; SGPRBlocks: 0
; VGPRBlocks: 0
; NumSGPRsForWavesPerEU: 1
; NumVGPRsForWavesPerEU: 1
; Occupancy: 16
; WaveLimiterHint : 0
; COMPUTE_PGM_RSRC2:SCRATCH_EN: 0
; COMPUTE_PGM_RSRC2:USER_SGPR: 15
; COMPUTE_PGM_RSRC2:TRAP_HANDLER: 0
; COMPUTE_PGM_RSRC2:TGID_X_EN: 1
; COMPUTE_PGM_RSRC2:TGID_Y_EN: 0
; COMPUTE_PGM_RSRC2:TGID_Z_EN: 0
; COMPUTE_PGM_RSRC2:TIDIG_COMP_CNT: 0
	.section	.text._ZN6thrust23THRUST_200600_302600_NS11hip_rocprim14__parallel_for6kernelILj256ENS1_20__uninitialized_fill7functorINS0_10device_ptrItEEtEEmLj1EEEvT0_T1_SA_,"axG",@progbits,_ZN6thrust23THRUST_200600_302600_NS11hip_rocprim14__parallel_for6kernelILj256ENS1_20__uninitialized_fill7functorINS0_10device_ptrItEEtEEmLj1EEEvT0_T1_SA_,comdat
	.protected	_ZN6thrust23THRUST_200600_302600_NS11hip_rocprim14__parallel_for6kernelILj256ENS1_20__uninitialized_fill7functorINS0_10device_ptrItEEtEEmLj1EEEvT0_T1_SA_ ; -- Begin function _ZN6thrust23THRUST_200600_302600_NS11hip_rocprim14__parallel_for6kernelILj256ENS1_20__uninitialized_fill7functorINS0_10device_ptrItEEtEEmLj1EEEvT0_T1_SA_
	.globl	_ZN6thrust23THRUST_200600_302600_NS11hip_rocprim14__parallel_for6kernelILj256ENS1_20__uninitialized_fill7functorINS0_10device_ptrItEEtEEmLj1EEEvT0_T1_SA_
	.p2align	8
	.type	_ZN6thrust23THRUST_200600_302600_NS11hip_rocprim14__parallel_for6kernelILj256ENS1_20__uninitialized_fill7functorINS0_10device_ptrItEEtEEmLj1EEEvT0_T1_SA_,@function
_ZN6thrust23THRUST_200600_302600_NS11hip_rocprim14__parallel_for6kernelILj256ENS1_20__uninitialized_fill7functorINS0_10device_ptrItEEtEEmLj1EEEvT0_T1_SA_: ; @_ZN6thrust23THRUST_200600_302600_NS11hip_rocprim14__parallel_for6kernelILj256ENS1_20__uninitialized_fill7functorINS0_10device_ptrItEEtEEmLj1EEEvT0_T1_SA_
; %bb.0:
	s_load_b128 s[4:7], s[0:1], 0x10
	s_lshl_b32 s2, s15, 8
	s_waitcnt lgkmcnt(0)
	s_add_u32 s2, s2, s6
	s_addc_u32 s3, 0, s7
	s_sub_u32 s4, s4, s2
	s_subb_u32 s5, s5, s3
	s_delay_alu instid0(SALU_CYCLE_1) | instskip(NEXT) | instid1(VALU_DEP_1)
	v_cmp_gt_u64_e64 s5, 0x100, s[4:5]
	s_and_b32 vcc_lo, exec_lo, s5
	s_mov_b32 s5, 0
	s_cbranch_vccz .LBB390_2
; %bb.1:
	v_cmp_gt_u32_e32 vcc_lo, s4, v0
	s_and_b32 s5, vcc_lo, exec_lo
	s_cbranch_execz .LBB390_3
	s_branch .LBB390_4
.LBB390_2:
.LBB390_3:
	s_or_b32 s5, s5, exec_lo
.LBB390_4:
	s_delay_alu instid0(SALU_CYCLE_1)
	s_and_saveexec_b32 s4, s5
	s_cbranch_execnz .LBB390_6
; %bb.5:
	s_endpgm
.LBB390_6:
	s_clause 0x1
	s_load_b64 s[4:5], s[0:1], 0x0
	s_load_b32 s6, s[0:1], 0x8
	v_mov_b32_e32 v1, 0
	s_lshl_b64 s[0:1], s[2:3], 1
	s_waitcnt lgkmcnt(0)
	s_add_u32 s0, s4, s0
	v_mov_b32_e32 v2, s6
	v_lshlrev_b64 v[0:1], 1, v[0:1]
	s_addc_u32 s1, s5, s1
	s_delay_alu instid0(VALU_DEP_1) | instskip(NEXT) | instid1(VALU_DEP_2)
	v_add_co_u32 v0, vcc_lo, s0, v0
	v_add_co_ci_u32_e32 v1, vcc_lo, s1, v1, vcc_lo
	flat_store_b16 v[0:1], v2
	s_endpgm
	.section	.rodata,"a",@progbits
	.p2align	6, 0x0
	.amdhsa_kernel _ZN6thrust23THRUST_200600_302600_NS11hip_rocprim14__parallel_for6kernelILj256ENS1_20__uninitialized_fill7functorINS0_10device_ptrItEEtEEmLj1EEEvT0_T1_SA_
		.amdhsa_group_segment_fixed_size 0
		.amdhsa_private_segment_fixed_size 0
		.amdhsa_kernarg_size 32
		.amdhsa_user_sgpr_count 15
		.amdhsa_user_sgpr_dispatch_ptr 0
		.amdhsa_user_sgpr_queue_ptr 0
		.amdhsa_user_sgpr_kernarg_segment_ptr 1
		.amdhsa_user_sgpr_dispatch_id 0
		.amdhsa_user_sgpr_private_segment_size 0
		.amdhsa_wavefront_size32 1
		.amdhsa_uses_dynamic_stack 0
		.amdhsa_enable_private_segment 0
		.amdhsa_system_sgpr_workgroup_id_x 1
		.amdhsa_system_sgpr_workgroup_id_y 0
		.amdhsa_system_sgpr_workgroup_id_z 0
		.amdhsa_system_sgpr_workgroup_info 0
		.amdhsa_system_vgpr_workitem_id 0
		.amdhsa_next_free_vgpr 3
		.amdhsa_next_free_sgpr 16
		.amdhsa_reserve_vcc 1
		.amdhsa_float_round_mode_32 0
		.amdhsa_float_round_mode_16_64 0
		.amdhsa_float_denorm_mode_32 3
		.amdhsa_float_denorm_mode_16_64 3
		.amdhsa_dx10_clamp 1
		.amdhsa_ieee_mode 1
		.amdhsa_fp16_overflow 0
		.amdhsa_workgroup_processor_mode 1
		.amdhsa_memory_ordered 1
		.amdhsa_forward_progress 0
		.amdhsa_shared_vgpr_count 0
		.amdhsa_exception_fp_ieee_invalid_op 0
		.amdhsa_exception_fp_denorm_src 0
		.amdhsa_exception_fp_ieee_div_zero 0
		.amdhsa_exception_fp_ieee_overflow 0
		.amdhsa_exception_fp_ieee_underflow 0
		.amdhsa_exception_fp_ieee_inexact 0
		.amdhsa_exception_int_div_zero 0
	.end_amdhsa_kernel
	.section	.text._ZN6thrust23THRUST_200600_302600_NS11hip_rocprim14__parallel_for6kernelILj256ENS1_20__uninitialized_fill7functorINS0_10device_ptrItEEtEEmLj1EEEvT0_T1_SA_,"axG",@progbits,_ZN6thrust23THRUST_200600_302600_NS11hip_rocprim14__parallel_for6kernelILj256ENS1_20__uninitialized_fill7functorINS0_10device_ptrItEEtEEmLj1EEEvT0_T1_SA_,comdat
.Lfunc_end390:
	.size	_ZN6thrust23THRUST_200600_302600_NS11hip_rocprim14__parallel_for6kernelILj256ENS1_20__uninitialized_fill7functorINS0_10device_ptrItEEtEEmLj1EEEvT0_T1_SA_, .Lfunc_end390-_ZN6thrust23THRUST_200600_302600_NS11hip_rocprim14__parallel_for6kernelILj256ENS1_20__uninitialized_fill7functorINS0_10device_ptrItEEtEEmLj1EEEvT0_T1_SA_
                                        ; -- End function
	.section	.AMDGPU.csdata,"",@progbits
; Kernel info:
; codeLenInByte = 176
; NumSgprs: 18
; NumVgprs: 3
; ScratchSize: 0
; MemoryBound: 0
; FloatMode: 240
; IeeeMode: 1
; LDSByteSize: 0 bytes/workgroup (compile time only)
; SGPRBlocks: 2
; VGPRBlocks: 0
; NumSGPRsForWavesPerEU: 18
; NumVGPRsForWavesPerEU: 3
; Occupancy: 16
; WaveLimiterHint : 0
; COMPUTE_PGM_RSRC2:SCRATCH_EN: 0
; COMPUTE_PGM_RSRC2:USER_SGPR: 15
; COMPUTE_PGM_RSRC2:TRAP_HANDLER: 0
; COMPUTE_PGM_RSRC2:TGID_X_EN: 1
; COMPUTE_PGM_RSRC2:TGID_Y_EN: 0
; COMPUTE_PGM_RSRC2:TGID_Z_EN: 0
; COMPUTE_PGM_RSRC2:TIDIG_COMP_CNT: 0
	.section	.text._ZN7rocprim17ROCPRIM_400000_NS6detail25reduce_by_key_init_kernelINS1_19lookback_scan_stateINS0_5tupleIJjtEEELb0ELb1EEEtNS1_16block_id_wrapperIjLb0EEEEEvT_jbjPmPT0_T1_,"axG",@progbits,_ZN7rocprim17ROCPRIM_400000_NS6detail25reduce_by_key_init_kernelINS1_19lookback_scan_stateINS0_5tupleIJjtEEELb0ELb1EEEtNS1_16block_id_wrapperIjLb0EEEEEvT_jbjPmPT0_T1_,comdat
	.protected	_ZN7rocprim17ROCPRIM_400000_NS6detail25reduce_by_key_init_kernelINS1_19lookback_scan_stateINS0_5tupleIJjtEEELb0ELb1EEEtNS1_16block_id_wrapperIjLb0EEEEEvT_jbjPmPT0_T1_ ; -- Begin function _ZN7rocprim17ROCPRIM_400000_NS6detail25reduce_by_key_init_kernelINS1_19lookback_scan_stateINS0_5tupleIJjtEEELb0ELb1EEEtNS1_16block_id_wrapperIjLb0EEEEEvT_jbjPmPT0_T1_
	.globl	_ZN7rocprim17ROCPRIM_400000_NS6detail25reduce_by_key_init_kernelINS1_19lookback_scan_stateINS0_5tupleIJjtEEELb0ELb1EEEtNS1_16block_id_wrapperIjLb0EEEEEvT_jbjPmPT0_T1_
	.p2align	8
	.type	_ZN7rocprim17ROCPRIM_400000_NS6detail25reduce_by_key_init_kernelINS1_19lookback_scan_stateINS0_5tupleIJjtEEELb0ELb1EEEtNS1_16block_id_wrapperIjLb0EEEEEvT_jbjPmPT0_T1_,@function
_ZN7rocprim17ROCPRIM_400000_NS6detail25reduce_by_key_init_kernelINS1_19lookback_scan_stateINS0_5tupleIJjtEEELb0ELb1EEEtNS1_16block_id_wrapperIjLb0EEEEEvT_jbjPmPT0_T1_: ; @_ZN7rocprim17ROCPRIM_400000_NS6detail25reduce_by_key_init_kernelINS1_19lookback_scan_stateINS0_5tupleIJjtEEELb0ELb1EEEtNS1_16block_id_wrapperIjLb0EEEEEvT_jbjPmPT0_T1_
; %bb.0:
	s_clause 0x2
	s_load_b32 s2, s[0:1], 0x3c
	s_load_b256 s[4:11], s[0:1], 0x8
	s_load_b64 s[0:1], s[0:1], 0x0
	s_waitcnt lgkmcnt(0)
	s_and_b32 s2, s2, 0xffff
	s_delay_alu instid0(SALU_CYCLE_1) | instskip(SKIP_1) | instid1(SALU_CYCLE_1)
	v_mad_u64_u32 v[1:2], null, s15, s2, v[0:1]
	s_and_b32 s2, s5, 1
	s_cmp_eq_u32 s2, 0
	s_mov_b32 s2, -1
	s_cbranch_scc1 .LBB391_7
; %bb.1:
	s_and_not1_b32 vcc_lo, exec_lo, s2
	s_cbranch_vccz .LBB391_14
.LBB391_2:
	s_mov_b32 s2, exec_lo
	v_cmpx_gt_u32_e64 s4, v1
	s_cbranch_execz .LBB391_4
.LBB391_3:
	v_dual_mov_b32 v3, 0 :: v_dual_add_nc_u32 v2, 32, v1
	s_delay_alu instid0(VALU_DEP_1) | instskip(SKIP_2) | instid1(VALU_DEP_3)
	v_lshlrev_b64 v[5:6], 4, v[2:3]
	v_mov_b32_e32 v2, v3
	v_mov_b32_e32 v4, v3
	v_add_co_u32 v7, vcc_lo, s0, v5
	s_delay_alu instid0(VALU_DEP_4)
	v_add_co_ci_u32_e32 v8, vcc_lo, s1, v6, vcc_lo
	v_mov_b32_e32 v5, v3
	global_store_b128 v[7:8], v[2:5], off
.LBB391_4:
	s_or_b32 exec_lo, exec_lo, s2
	s_delay_alu instid0(SALU_CYCLE_1)
	s_mov_b32 s2, exec_lo
	v_cmpx_gt_u32_e32 32, v1
	s_cbranch_execz .LBB391_6
; %bb.5:
	v_dual_mov_b32 v2, 0 :: v_dual_mov_b32 v3, 0xff
	s_delay_alu instid0(VALU_DEP_1) | instskip(SKIP_1) | instid1(VALU_DEP_2)
	v_lshlrev_b64 v[4:5], 4, v[1:2]
	v_mov_b32_e32 v1, v2
	v_add_co_u32 v6, vcc_lo, s0, v4
	s_delay_alu instid0(VALU_DEP_3)
	v_add_co_ci_u32_e32 v7, vcc_lo, s1, v5, vcc_lo
	v_mov_b32_e32 v4, v2
	global_store_b128 v[6:7], v[1:4], off
.LBB391_6:
	s_nop 0
	s_sendmsg sendmsg(MSG_DEALLOC_VGPRS)
	s_endpgm
.LBB391_7:
	s_cmp_lt_u32 s6, s4
	s_mov_b32 s5, exec_lo
	s_cselect_b32 s2, s6, 0
	s_delay_alu instid0(SALU_CYCLE_1)
	v_cmpx_eq_u32_e64 s2, v1
	s_cbranch_execz .LBB391_13
; %bb.8:
	s_add_i32 s2, s6, 32
	s_mov_b32 s3, 0
	v_mov_b32_e32 v6, 0
	s_lshl_b64 s[6:7], s[2:3], 4
	s_mov_b32 s2, exec_lo
	s_add_u32 s6, s0, s6
	s_addc_u32 s7, s1, s7
	s_delay_alu instid0(SALU_CYCLE_1) | instskip(SKIP_2) | instid1(VALU_DEP_1)
	v_dual_mov_b32 v2, s6 :: v_dual_mov_b32 v3, s7
	;;#ASMSTART
	global_load_dwordx4 v[2:5], v[2:3] off glc	
s_waitcnt vmcnt(0)
	;;#ASMEND
	v_and_b32_e32 v5, 0xff, v4
	v_cmpx_eq_u64_e32 0, v[5:6]
	s_cbranch_execz .LBB391_12
; %bb.9:
	v_dual_mov_b32 v8, s7 :: v_dual_mov_b32 v7, s6
.LBB391_10:                             ; =>This Inner Loop Header: Depth=1
	;;#ASMSTART
	global_load_dwordx4 v[2:5], v[7:8] off glc	
s_waitcnt vmcnt(0)
	;;#ASMEND
	v_and_b32_e32 v5, 0xff, v4
	s_delay_alu instid0(VALU_DEP_1) | instskip(SKIP_1) | instid1(SALU_CYCLE_1)
	v_cmp_ne_u64_e32 vcc_lo, 0, v[5:6]
	s_or_b32 s3, vcc_lo, s3
	s_and_not1_b32 exec_lo, exec_lo, s3
	s_cbranch_execnz .LBB391_10
; %bb.11:
	s_or_b32 exec_lo, exec_lo, s3
.LBB391_12:
	s_delay_alu instid0(SALU_CYCLE_1)
	s_or_b32 exec_lo, exec_lo, s2
	v_mov_b32_e32 v0, 0
	global_load_b64 v[4:5], v0, s[8:9]
	s_waitcnt vmcnt(0)
	v_add_co_u32 v4, vcc_lo, v4, v2
	v_add_co_ci_u32_e32 v5, vcc_lo, 0, v5, vcc_lo
	s_clause 0x1
	global_store_b64 v0, v[4:5], s[8:9]
	global_store_b16 v0, v3, s[10:11]
.LBB391_13:
	s_or_b32 exec_lo, exec_lo, s5
	s_cbranch_execnz .LBB391_2
.LBB391_14:
	s_delay_alu instid0(VALU_DEP_1) | instskip(SKIP_2) | instid1(SALU_CYCLE_1)
	v_cmp_eq_u32_e32 vcc_lo, 0, v1
	s_cmp_lg_u64 s[8:9], 0
	s_cselect_b32 s2, -1, 0
	s_and_b32 s3, s2, vcc_lo
	s_delay_alu instid0(SALU_CYCLE_1)
	s_and_saveexec_b32 s2, s3
	s_cbranch_execz .LBB391_16
; %bb.15:
	v_mov_b32_e32 v2, 0
	s_delay_alu instid0(VALU_DEP_1)
	v_mov_b32_e32 v3, v2
	global_store_b64 v2, v[2:3], s[8:9]
.LBB391_16:
	s_or_b32 exec_lo, exec_lo, s2
	s_delay_alu instid0(SALU_CYCLE_1)
	s_mov_b32 s2, exec_lo
	v_cmpx_gt_u32_e64 s4, v1
	s_cbranch_execnz .LBB391_3
	s_branch .LBB391_4
	.section	.rodata,"a",@progbits
	.p2align	6, 0x0
	.amdhsa_kernel _ZN7rocprim17ROCPRIM_400000_NS6detail25reduce_by_key_init_kernelINS1_19lookback_scan_stateINS0_5tupleIJjtEEELb0ELb1EEEtNS1_16block_id_wrapperIjLb0EEEEEvT_jbjPmPT0_T1_
		.amdhsa_group_segment_fixed_size 0
		.amdhsa_private_segment_fixed_size 0
		.amdhsa_kernarg_size 304
		.amdhsa_user_sgpr_count 15
		.amdhsa_user_sgpr_dispatch_ptr 0
		.amdhsa_user_sgpr_queue_ptr 0
		.amdhsa_user_sgpr_kernarg_segment_ptr 1
		.amdhsa_user_sgpr_dispatch_id 0
		.amdhsa_user_sgpr_private_segment_size 0
		.amdhsa_wavefront_size32 1
		.amdhsa_uses_dynamic_stack 0
		.amdhsa_enable_private_segment 0
		.amdhsa_system_sgpr_workgroup_id_x 1
		.amdhsa_system_sgpr_workgroup_id_y 0
		.amdhsa_system_sgpr_workgroup_id_z 0
		.amdhsa_system_sgpr_workgroup_info 0
		.amdhsa_system_vgpr_workitem_id 0
		.amdhsa_next_free_vgpr 9
		.amdhsa_next_free_sgpr 16
		.amdhsa_reserve_vcc 1
		.amdhsa_float_round_mode_32 0
		.amdhsa_float_round_mode_16_64 0
		.amdhsa_float_denorm_mode_32 3
		.amdhsa_float_denorm_mode_16_64 3
		.amdhsa_dx10_clamp 1
		.amdhsa_ieee_mode 1
		.amdhsa_fp16_overflow 0
		.amdhsa_workgroup_processor_mode 1
		.amdhsa_memory_ordered 1
		.amdhsa_forward_progress 0
		.amdhsa_shared_vgpr_count 0
		.amdhsa_exception_fp_ieee_invalid_op 0
		.amdhsa_exception_fp_denorm_src 0
		.amdhsa_exception_fp_ieee_div_zero 0
		.amdhsa_exception_fp_ieee_overflow 0
		.amdhsa_exception_fp_ieee_underflow 0
		.amdhsa_exception_fp_ieee_inexact 0
		.amdhsa_exception_int_div_zero 0
	.end_amdhsa_kernel
	.section	.text._ZN7rocprim17ROCPRIM_400000_NS6detail25reduce_by_key_init_kernelINS1_19lookback_scan_stateINS0_5tupleIJjtEEELb0ELb1EEEtNS1_16block_id_wrapperIjLb0EEEEEvT_jbjPmPT0_T1_,"axG",@progbits,_ZN7rocprim17ROCPRIM_400000_NS6detail25reduce_by_key_init_kernelINS1_19lookback_scan_stateINS0_5tupleIJjtEEELb0ELb1EEEtNS1_16block_id_wrapperIjLb0EEEEEvT_jbjPmPT0_T1_,comdat
.Lfunc_end391:
	.size	_ZN7rocprim17ROCPRIM_400000_NS6detail25reduce_by_key_init_kernelINS1_19lookback_scan_stateINS0_5tupleIJjtEEELb0ELb1EEEtNS1_16block_id_wrapperIjLb0EEEEEvT_jbjPmPT0_T1_, .Lfunc_end391-_ZN7rocprim17ROCPRIM_400000_NS6detail25reduce_by_key_init_kernelINS1_19lookback_scan_stateINS0_5tupleIJjtEEELb0ELb1EEEtNS1_16block_id_wrapperIjLb0EEEEEvT_jbjPmPT0_T1_
                                        ; -- End function
	.section	.AMDGPU.csdata,"",@progbits
; Kernel info:
; codeLenInByte = 584
; NumSgprs: 18
; NumVgprs: 9
; ScratchSize: 0
; MemoryBound: 0
; FloatMode: 240
; IeeeMode: 1
; LDSByteSize: 0 bytes/workgroup (compile time only)
; SGPRBlocks: 2
; VGPRBlocks: 1
; NumSGPRsForWavesPerEU: 18
; NumVGPRsForWavesPerEU: 9
; Occupancy: 16
; WaveLimiterHint : 0
; COMPUTE_PGM_RSRC2:SCRATCH_EN: 0
; COMPUTE_PGM_RSRC2:USER_SGPR: 15
; COMPUTE_PGM_RSRC2:TRAP_HANDLER: 0
; COMPUTE_PGM_RSRC2:TGID_X_EN: 1
; COMPUTE_PGM_RSRC2:TGID_Y_EN: 0
; COMPUTE_PGM_RSRC2:TGID_Z_EN: 0
; COMPUTE_PGM_RSRC2:TIDIG_COMP_CNT: 0
	.section	.text._ZN7rocprim17ROCPRIM_400000_NS6detail17trampoline_kernelINS0_14default_configENS1_29reduce_by_key_config_selectorIttN6thrust23THRUST_200600_302600_NS4plusItEEEEZZNS1_33reduce_by_key_impl_wrapped_configILNS1_25lookback_scan_determinismE0ES3_S9_NS6_6detail15normal_iteratorINS6_10device_ptrItEEEESG_SG_SG_PmS8_NS6_8equal_toItEEEE10hipError_tPvRmT2_T3_mT4_T5_T6_T7_T8_P12ihipStream_tbENKUlT_T0_E_clISt17integral_constantIbLb0EES11_EEDaSW_SX_EUlSW_E_NS1_11comp_targetILNS1_3genE0ELNS1_11target_archE4294967295ELNS1_3gpuE0ELNS1_3repE0EEENS1_30default_config_static_selectorELNS0_4arch9wavefront6targetE0EEEvT1_,"axG",@progbits,_ZN7rocprim17ROCPRIM_400000_NS6detail17trampoline_kernelINS0_14default_configENS1_29reduce_by_key_config_selectorIttN6thrust23THRUST_200600_302600_NS4plusItEEEEZZNS1_33reduce_by_key_impl_wrapped_configILNS1_25lookback_scan_determinismE0ES3_S9_NS6_6detail15normal_iteratorINS6_10device_ptrItEEEESG_SG_SG_PmS8_NS6_8equal_toItEEEE10hipError_tPvRmT2_T3_mT4_T5_T6_T7_T8_P12ihipStream_tbENKUlT_T0_E_clISt17integral_constantIbLb0EES11_EEDaSW_SX_EUlSW_E_NS1_11comp_targetILNS1_3genE0ELNS1_11target_archE4294967295ELNS1_3gpuE0ELNS1_3repE0EEENS1_30default_config_static_selectorELNS0_4arch9wavefront6targetE0EEEvT1_,comdat
	.protected	_ZN7rocprim17ROCPRIM_400000_NS6detail17trampoline_kernelINS0_14default_configENS1_29reduce_by_key_config_selectorIttN6thrust23THRUST_200600_302600_NS4plusItEEEEZZNS1_33reduce_by_key_impl_wrapped_configILNS1_25lookback_scan_determinismE0ES3_S9_NS6_6detail15normal_iteratorINS6_10device_ptrItEEEESG_SG_SG_PmS8_NS6_8equal_toItEEEE10hipError_tPvRmT2_T3_mT4_T5_T6_T7_T8_P12ihipStream_tbENKUlT_T0_E_clISt17integral_constantIbLb0EES11_EEDaSW_SX_EUlSW_E_NS1_11comp_targetILNS1_3genE0ELNS1_11target_archE4294967295ELNS1_3gpuE0ELNS1_3repE0EEENS1_30default_config_static_selectorELNS0_4arch9wavefront6targetE0EEEvT1_ ; -- Begin function _ZN7rocprim17ROCPRIM_400000_NS6detail17trampoline_kernelINS0_14default_configENS1_29reduce_by_key_config_selectorIttN6thrust23THRUST_200600_302600_NS4plusItEEEEZZNS1_33reduce_by_key_impl_wrapped_configILNS1_25lookback_scan_determinismE0ES3_S9_NS6_6detail15normal_iteratorINS6_10device_ptrItEEEESG_SG_SG_PmS8_NS6_8equal_toItEEEE10hipError_tPvRmT2_T3_mT4_T5_T6_T7_T8_P12ihipStream_tbENKUlT_T0_E_clISt17integral_constantIbLb0EES11_EEDaSW_SX_EUlSW_E_NS1_11comp_targetILNS1_3genE0ELNS1_11target_archE4294967295ELNS1_3gpuE0ELNS1_3repE0EEENS1_30default_config_static_selectorELNS0_4arch9wavefront6targetE0EEEvT1_
	.globl	_ZN7rocprim17ROCPRIM_400000_NS6detail17trampoline_kernelINS0_14default_configENS1_29reduce_by_key_config_selectorIttN6thrust23THRUST_200600_302600_NS4plusItEEEEZZNS1_33reduce_by_key_impl_wrapped_configILNS1_25lookback_scan_determinismE0ES3_S9_NS6_6detail15normal_iteratorINS6_10device_ptrItEEEESG_SG_SG_PmS8_NS6_8equal_toItEEEE10hipError_tPvRmT2_T3_mT4_T5_T6_T7_T8_P12ihipStream_tbENKUlT_T0_E_clISt17integral_constantIbLb0EES11_EEDaSW_SX_EUlSW_E_NS1_11comp_targetILNS1_3genE0ELNS1_11target_archE4294967295ELNS1_3gpuE0ELNS1_3repE0EEENS1_30default_config_static_selectorELNS0_4arch9wavefront6targetE0EEEvT1_
	.p2align	8
	.type	_ZN7rocprim17ROCPRIM_400000_NS6detail17trampoline_kernelINS0_14default_configENS1_29reduce_by_key_config_selectorIttN6thrust23THRUST_200600_302600_NS4plusItEEEEZZNS1_33reduce_by_key_impl_wrapped_configILNS1_25lookback_scan_determinismE0ES3_S9_NS6_6detail15normal_iteratorINS6_10device_ptrItEEEESG_SG_SG_PmS8_NS6_8equal_toItEEEE10hipError_tPvRmT2_T3_mT4_T5_T6_T7_T8_P12ihipStream_tbENKUlT_T0_E_clISt17integral_constantIbLb0EES11_EEDaSW_SX_EUlSW_E_NS1_11comp_targetILNS1_3genE0ELNS1_11target_archE4294967295ELNS1_3gpuE0ELNS1_3repE0EEENS1_30default_config_static_selectorELNS0_4arch9wavefront6targetE0EEEvT1_,@function
_ZN7rocprim17ROCPRIM_400000_NS6detail17trampoline_kernelINS0_14default_configENS1_29reduce_by_key_config_selectorIttN6thrust23THRUST_200600_302600_NS4plusItEEEEZZNS1_33reduce_by_key_impl_wrapped_configILNS1_25lookback_scan_determinismE0ES3_S9_NS6_6detail15normal_iteratorINS6_10device_ptrItEEEESG_SG_SG_PmS8_NS6_8equal_toItEEEE10hipError_tPvRmT2_T3_mT4_T5_T6_T7_T8_P12ihipStream_tbENKUlT_T0_E_clISt17integral_constantIbLb0EES11_EEDaSW_SX_EUlSW_E_NS1_11comp_targetILNS1_3genE0ELNS1_11target_archE4294967295ELNS1_3gpuE0ELNS1_3repE0EEENS1_30default_config_static_selectorELNS0_4arch9wavefront6targetE0EEEvT1_: ; @_ZN7rocprim17ROCPRIM_400000_NS6detail17trampoline_kernelINS0_14default_configENS1_29reduce_by_key_config_selectorIttN6thrust23THRUST_200600_302600_NS4plusItEEEEZZNS1_33reduce_by_key_impl_wrapped_configILNS1_25lookback_scan_determinismE0ES3_S9_NS6_6detail15normal_iteratorINS6_10device_ptrItEEEESG_SG_SG_PmS8_NS6_8equal_toItEEEE10hipError_tPvRmT2_T3_mT4_T5_T6_T7_T8_P12ihipStream_tbENKUlT_T0_E_clISt17integral_constantIbLb0EES11_EEDaSW_SX_EUlSW_E_NS1_11comp_targetILNS1_3genE0ELNS1_11target_archE4294967295ELNS1_3gpuE0ELNS1_3repE0EEENS1_30default_config_static_selectorELNS0_4arch9wavefront6targetE0EEEvT1_
; %bb.0:
	.section	.rodata,"a",@progbits
	.p2align	6, 0x0
	.amdhsa_kernel _ZN7rocprim17ROCPRIM_400000_NS6detail17trampoline_kernelINS0_14default_configENS1_29reduce_by_key_config_selectorIttN6thrust23THRUST_200600_302600_NS4plusItEEEEZZNS1_33reduce_by_key_impl_wrapped_configILNS1_25lookback_scan_determinismE0ES3_S9_NS6_6detail15normal_iteratorINS6_10device_ptrItEEEESG_SG_SG_PmS8_NS6_8equal_toItEEEE10hipError_tPvRmT2_T3_mT4_T5_T6_T7_T8_P12ihipStream_tbENKUlT_T0_E_clISt17integral_constantIbLb0EES11_EEDaSW_SX_EUlSW_E_NS1_11comp_targetILNS1_3genE0ELNS1_11target_archE4294967295ELNS1_3gpuE0ELNS1_3repE0EEENS1_30default_config_static_selectorELNS0_4arch9wavefront6targetE0EEEvT1_
		.amdhsa_group_segment_fixed_size 0
		.amdhsa_private_segment_fixed_size 0
		.amdhsa_kernarg_size 120
		.amdhsa_user_sgpr_count 15
		.amdhsa_user_sgpr_dispatch_ptr 0
		.amdhsa_user_sgpr_queue_ptr 0
		.amdhsa_user_sgpr_kernarg_segment_ptr 1
		.amdhsa_user_sgpr_dispatch_id 0
		.amdhsa_user_sgpr_private_segment_size 0
		.amdhsa_wavefront_size32 1
		.amdhsa_uses_dynamic_stack 0
		.amdhsa_enable_private_segment 0
		.amdhsa_system_sgpr_workgroup_id_x 1
		.amdhsa_system_sgpr_workgroup_id_y 0
		.amdhsa_system_sgpr_workgroup_id_z 0
		.amdhsa_system_sgpr_workgroup_info 0
		.amdhsa_system_vgpr_workitem_id 0
		.amdhsa_next_free_vgpr 1
		.amdhsa_next_free_sgpr 1
		.amdhsa_reserve_vcc 0
		.amdhsa_float_round_mode_32 0
		.amdhsa_float_round_mode_16_64 0
		.amdhsa_float_denorm_mode_32 3
		.amdhsa_float_denorm_mode_16_64 3
		.amdhsa_dx10_clamp 1
		.amdhsa_ieee_mode 1
		.amdhsa_fp16_overflow 0
		.amdhsa_workgroup_processor_mode 1
		.amdhsa_memory_ordered 1
		.amdhsa_forward_progress 0
		.amdhsa_shared_vgpr_count 0
		.amdhsa_exception_fp_ieee_invalid_op 0
		.amdhsa_exception_fp_denorm_src 0
		.amdhsa_exception_fp_ieee_div_zero 0
		.amdhsa_exception_fp_ieee_overflow 0
		.amdhsa_exception_fp_ieee_underflow 0
		.amdhsa_exception_fp_ieee_inexact 0
		.amdhsa_exception_int_div_zero 0
	.end_amdhsa_kernel
	.section	.text._ZN7rocprim17ROCPRIM_400000_NS6detail17trampoline_kernelINS0_14default_configENS1_29reduce_by_key_config_selectorIttN6thrust23THRUST_200600_302600_NS4plusItEEEEZZNS1_33reduce_by_key_impl_wrapped_configILNS1_25lookback_scan_determinismE0ES3_S9_NS6_6detail15normal_iteratorINS6_10device_ptrItEEEESG_SG_SG_PmS8_NS6_8equal_toItEEEE10hipError_tPvRmT2_T3_mT4_T5_T6_T7_T8_P12ihipStream_tbENKUlT_T0_E_clISt17integral_constantIbLb0EES11_EEDaSW_SX_EUlSW_E_NS1_11comp_targetILNS1_3genE0ELNS1_11target_archE4294967295ELNS1_3gpuE0ELNS1_3repE0EEENS1_30default_config_static_selectorELNS0_4arch9wavefront6targetE0EEEvT1_,"axG",@progbits,_ZN7rocprim17ROCPRIM_400000_NS6detail17trampoline_kernelINS0_14default_configENS1_29reduce_by_key_config_selectorIttN6thrust23THRUST_200600_302600_NS4plusItEEEEZZNS1_33reduce_by_key_impl_wrapped_configILNS1_25lookback_scan_determinismE0ES3_S9_NS6_6detail15normal_iteratorINS6_10device_ptrItEEEESG_SG_SG_PmS8_NS6_8equal_toItEEEE10hipError_tPvRmT2_T3_mT4_T5_T6_T7_T8_P12ihipStream_tbENKUlT_T0_E_clISt17integral_constantIbLb0EES11_EEDaSW_SX_EUlSW_E_NS1_11comp_targetILNS1_3genE0ELNS1_11target_archE4294967295ELNS1_3gpuE0ELNS1_3repE0EEENS1_30default_config_static_selectorELNS0_4arch9wavefront6targetE0EEEvT1_,comdat
.Lfunc_end392:
	.size	_ZN7rocprim17ROCPRIM_400000_NS6detail17trampoline_kernelINS0_14default_configENS1_29reduce_by_key_config_selectorIttN6thrust23THRUST_200600_302600_NS4plusItEEEEZZNS1_33reduce_by_key_impl_wrapped_configILNS1_25lookback_scan_determinismE0ES3_S9_NS6_6detail15normal_iteratorINS6_10device_ptrItEEEESG_SG_SG_PmS8_NS6_8equal_toItEEEE10hipError_tPvRmT2_T3_mT4_T5_T6_T7_T8_P12ihipStream_tbENKUlT_T0_E_clISt17integral_constantIbLb0EES11_EEDaSW_SX_EUlSW_E_NS1_11comp_targetILNS1_3genE0ELNS1_11target_archE4294967295ELNS1_3gpuE0ELNS1_3repE0EEENS1_30default_config_static_selectorELNS0_4arch9wavefront6targetE0EEEvT1_, .Lfunc_end392-_ZN7rocprim17ROCPRIM_400000_NS6detail17trampoline_kernelINS0_14default_configENS1_29reduce_by_key_config_selectorIttN6thrust23THRUST_200600_302600_NS4plusItEEEEZZNS1_33reduce_by_key_impl_wrapped_configILNS1_25lookback_scan_determinismE0ES3_S9_NS6_6detail15normal_iteratorINS6_10device_ptrItEEEESG_SG_SG_PmS8_NS6_8equal_toItEEEE10hipError_tPvRmT2_T3_mT4_T5_T6_T7_T8_P12ihipStream_tbENKUlT_T0_E_clISt17integral_constantIbLb0EES11_EEDaSW_SX_EUlSW_E_NS1_11comp_targetILNS1_3genE0ELNS1_11target_archE4294967295ELNS1_3gpuE0ELNS1_3repE0EEENS1_30default_config_static_selectorELNS0_4arch9wavefront6targetE0EEEvT1_
                                        ; -- End function
	.section	.AMDGPU.csdata,"",@progbits
; Kernel info:
; codeLenInByte = 0
; NumSgprs: 0
; NumVgprs: 0
; ScratchSize: 0
; MemoryBound: 0
; FloatMode: 240
; IeeeMode: 1
; LDSByteSize: 0 bytes/workgroup (compile time only)
; SGPRBlocks: 0
; VGPRBlocks: 0
; NumSGPRsForWavesPerEU: 1
; NumVGPRsForWavesPerEU: 1
; Occupancy: 16
; WaveLimiterHint : 0
; COMPUTE_PGM_RSRC2:SCRATCH_EN: 0
; COMPUTE_PGM_RSRC2:USER_SGPR: 15
; COMPUTE_PGM_RSRC2:TRAP_HANDLER: 0
; COMPUTE_PGM_RSRC2:TGID_X_EN: 1
; COMPUTE_PGM_RSRC2:TGID_Y_EN: 0
; COMPUTE_PGM_RSRC2:TGID_Z_EN: 0
; COMPUTE_PGM_RSRC2:TIDIG_COMP_CNT: 0
	.section	.text._ZN7rocprim17ROCPRIM_400000_NS6detail17trampoline_kernelINS0_14default_configENS1_29reduce_by_key_config_selectorIttN6thrust23THRUST_200600_302600_NS4plusItEEEEZZNS1_33reduce_by_key_impl_wrapped_configILNS1_25lookback_scan_determinismE0ES3_S9_NS6_6detail15normal_iteratorINS6_10device_ptrItEEEESG_SG_SG_PmS8_NS6_8equal_toItEEEE10hipError_tPvRmT2_T3_mT4_T5_T6_T7_T8_P12ihipStream_tbENKUlT_T0_E_clISt17integral_constantIbLb0EES11_EEDaSW_SX_EUlSW_E_NS1_11comp_targetILNS1_3genE5ELNS1_11target_archE942ELNS1_3gpuE9ELNS1_3repE0EEENS1_30default_config_static_selectorELNS0_4arch9wavefront6targetE0EEEvT1_,"axG",@progbits,_ZN7rocprim17ROCPRIM_400000_NS6detail17trampoline_kernelINS0_14default_configENS1_29reduce_by_key_config_selectorIttN6thrust23THRUST_200600_302600_NS4plusItEEEEZZNS1_33reduce_by_key_impl_wrapped_configILNS1_25lookback_scan_determinismE0ES3_S9_NS6_6detail15normal_iteratorINS6_10device_ptrItEEEESG_SG_SG_PmS8_NS6_8equal_toItEEEE10hipError_tPvRmT2_T3_mT4_T5_T6_T7_T8_P12ihipStream_tbENKUlT_T0_E_clISt17integral_constantIbLb0EES11_EEDaSW_SX_EUlSW_E_NS1_11comp_targetILNS1_3genE5ELNS1_11target_archE942ELNS1_3gpuE9ELNS1_3repE0EEENS1_30default_config_static_selectorELNS0_4arch9wavefront6targetE0EEEvT1_,comdat
	.protected	_ZN7rocprim17ROCPRIM_400000_NS6detail17trampoline_kernelINS0_14default_configENS1_29reduce_by_key_config_selectorIttN6thrust23THRUST_200600_302600_NS4plusItEEEEZZNS1_33reduce_by_key_impl_wrapped_configILNS1_25lookback_scan_determinismE0ES3_S9_NS6_6detail15normal_iteratorINS6_10device_ptrItEEEESG_SG_SG_PmS8_NS6_8equal_toItEEEE10hipError_tPvRmT2_T3_mT4_T5_T6_T7_T8_P12ihipStream_tbENKUlT_T0_E_clISt17integral_constantIbLb0EES11_EEDaSW_SX_EUlSW_E_NS1_11comp_targetILNS1_3genE5ELNS1_11target_archE942ELNS1_3gpuE9ELNS1_3repE0EEENS1_30default_config_static_selectorELNS0_4arch9wavefront6targetE0EEEvT1_ ; -- Begin function _ZN7rocprim17ROCPRIM_400000_NS6detail17trampoline_kernelINS0_14default_configENS1_29reduce_by_key_config_selectorIttN6thrust23THRUST_200600_302600_NS4plusItEEEEZZNS1_33reduce_by_key_impl_wrapped_configILNS1_25lookback_scan_determinismE0ES3_S9_NS6_6detail15normal_iteratorINS6_10device_ptrItEEEESG_SG_SG_PmS8_NS6_8equal_toItEEEE10hipError_tPvRmT2_T3_mT4_T5_T6_T7_T8_P12ihipStream_tbENKUlT_T0_E_clISt17integral_constantIbLb0EES11_EEDaSW_SX_EUlSW_E_NS1_11comp_targetILNS1_3genE5ELNS1_11target_archE942ELNS1_3gpuE9ELNS1_3repE0EEENS1_30default_config_static_selectorELNS0_4arch9wavefront6targetE0EEEvT1_
	.globl	_ZN7rocprim17ROCPRIM_400000_NS6detail17trampoline_kernelINS0_14default_configENS1_29reduce_by_key_config_selectorIttN6thrust23THRUST_200600_302600_NS4plusItEEEEZZNS1_33reduce_by_key_impl_wrapped_configILNS1_25lookback_scan_determinismE0ES3_S9_NS6_6detail15normal_iteratorINS6_10device_ptrItEEEESG_SG_SG_PmS8_NS6_8equal_toItEEEE10hipError_tPvRmT2_T3_mT4_T5_T6_T7_T8_P12ihipStream_tbENKUlT_T0_E_clISt17integral_constantIbLb0EES11_EEDaSW_SX_EUlSW_E_NS1_11comp_targetILNS1_3genE5ELNS1_11target_archE942ELNS1_3gpuE9ELNS1_3repE0EEENS1_30default_config_static_selectorELNS0_4arch9wavefront6targetE0EEEvT1_
	.p2align	8
	.type	_ZN7rocprim17ROCPRIM_400000_NS6detail17trampoline_kernelINS0_14default_configENS1_29reduce_by_key_config_selectorIttN6thrust23THRUST_200600_302600_NS4plusItEEEEZZNS1_33reduce_by_key_impl_wrapped_configILNS1_25lookback_scan_determinismE0ES3_S9_NS6_6detail15normal_iteratorINS6_10device_ptrItEEEESG_SG_SG_PmS8_NS6_8equal_toItEEEE10hipError_tPvRmT2_T3_mT4_T5_T6_T7_T8_P12ihipStream_tbENKUlT_T0_E_clISt17integral_constantIbLb0EES11_EEDaSW_SX_EUlSW_E_NS1_11comp_targetILNS1_3genE5ELNS1_11target_archE942ELNS1_3gpuE9ELNS1_3repE0EEENS1_30default_config_static_selectorELNS0_4arch9wavefront6targetE0EEEvT1_,@function
_ZN7rocprim17ROCPRIM_400000_NS6detail17trampoline_kernelINS0_14default_configENS1_29reduce_by_key_config_selectorIttN6thrust23THRUST_200600_302600_NS4plusItEEEEZZNS1_33reduce_by_key_impl_wrapped_configILNS1_25lookback_scan_determinismE0ES3_S9_NS6_6detail15normal_iteratorINS6_10device_ptrItEEEESG_SG_SG_PmS8_NS6_8equal_toItEEEE10hipError_tPvRmT2_T3_mT4_T5_T6_T7_T8_P12ihipStream_tbENKUlT_T0_E_clISt17integral_constantIbLb0EES11_EEDaSW_SX_EUlSW_E_NS1_11comp_targetILNS1_3genE5ELNS1_11target_archE942ELNS1_3gpuE9ELNS1_3repE0EEENS1_30default_config_static_selectorELNS0_4arch9wavefront6targetE0EEEvT1_: ; @_ZN7rocprim17ROCPRIM_400000_NS6detail17trampoline_kernelINS0_14default_configENS1_29reduce_by_key_config_selectorIttN6thrust23THRUST_200600_302600_NS4plusItEEEEZZNS1_33reduce_by_key_impl_wrapped_configILNS1_25lookback_scan_determinismE0ES3_S9_NS6_6detail15normal_iteratorINS6_10device_ptrItEEEESG_SG_SG_PmS8_NS6_8equal_toItEEEE10hipError_tPvRmT2_T3_mT4_T5_T6_T7_T8_P12ihipStream_tbENKUlT_T0_E_clISt17integral_constantIbLb0EES11_EEDaSW_SX_EUlSW_E_NS1_11comp_targetILNS1_3genE5ELNS1_11target_archE942ELNS1_3gpuE9ELNS1_3repE0EEENS1_30default_config_static_selectorELNS0_4arch9wavefront6targetE0EEEvT1_
; %bb.0:
	.section	.rodata,"a",@progbits
	.p2align	6, 0x0
	.amdhsa_kernel _ZN7rocprim17ROCPRIM_400000_NS6detail17trampoline_kernelINS0_14default_configENS1_29reduce_by_key_config_selectorIttN6thrust23THRUST_200600_302600_NS4plusItEEEEZZNS1_33reduce_by_key_impl_wrapped_configILNS1_25lookback_scan_determinismE0ES3_S9_NS6_6detail15normal_iteratorINS6_10device_ptrItEEEESG_SG_SG_PmS8_NS6_8equal_toItEEEE10hipError_tPvRmT2_T3_mT4_T5_T6_T7_T8_P12ihipStream_tbENKUlT_T0_E_clISt17integral_constantIbLb0EES11_EEDaSW_SX_EUlSW_E_NS1_11comp_targetILNS1_3genE5ELNS1_11target_archE942ELNS1_3gpuE9ELNS1_3repE0EEENS1_30default_config_static_selectorELNS0_4arch9wavefront6targetE0EEEvT1_
		.amdhsa_group_segment_fixed_size 0
		.amdhsa_private_segment_fixed_size 0
		.amdhsa_kernarg_size 120
		.amdhsa_user_sgpr_count 15
		.amdhsa_user_sgpr_dispatch_ptr 0
		.amdhsa_user_sgpr_queue_ptr 0
		.amdhsa_user_sgpr_kernarg_segment_ptr 1
		.amdhsa_user_sgpr_dispatch_id 0
		.amdhsa_user_sgpr_private_segment_size 0
		.amdhsa_wavefront_size32 1
		.amdhsa_uses_dynamic_stack 0
		.amdhsa_enable_private_segment 0
		.amdhsa_system_sgpr_workgroup_id_x 1
		.amdhsa_system_sgpr_workgroup_id_y 0
		.amdhsa_system_sgpr_workgroup_id_z 0
		.amdhsa_system_sgpr_workgroup_info 0
		.amdhsa_system_vgpr_workitem_id 0
		.amdhsa_next_free_vgpr 1
		.amdhsa_next_free_sgpr 1
		.amdhsa_reserve_vcc 0
		.amdhsa_float_round_mode_32 0
		.amdhsa_float_round_mode_16_64 0
		.amdhsa_float_denorm_mode_32 3
		.amdhsa_float_denorm_mode_16_64 3
		.amdhsa_dx10_clamp 1
		.amdhsa_ieee_mode 1
		.amdhsa_fp16_overflow 0
		.amdhsa_workgroup_processor_mode 1
		.amdhsa_memory_ordered 1
		.amdhsa_forward_progress 0
		.amdhsa_shared_vgpr_count 0
		.amdhsa_exception_fp_ieee_invalid_op 0
		.amdhsa_exception_fp_denorm_src 0
		.amdhsa_exception_fp_ieee_div_zero 0
		.amdhsa_exception_fp_ieee_overflow 0
		.amdhsa_exception_fp_ieee_underflow 0
		.amdhsa_exception_fp_ieee_inexact 0
		.amdhsa_exception_int_div_zero 0
	.end_amdhsa_kernel
	.section	.text._ZN7rocprim17ROCPRIM_400000_NS6detail17trampoline_kernelINS0_14default_configENS1_29reduce_by_key_config_selectorIttN6thrust23THRUST_200600_302600_NS4plusItEEEEZZNS1_33reduce_by_key_impl_wrapped_configILNS1_25lookback_scan_determinismE0ES3_S9_NS6_6detail15normal_iteratorINS6_10device_ptrItEEEESG_SG_SG_PmS8_NS6_8equal_toItEEEE10hipError_tPvRmT2_T3_mT4_T5_T6_T7_T8_P12ihipStream_tbENKUlT_T0_E_clISt17integral_constantIbLb0EES11_EEDaSW_SX_EUlSW_E_NS1_11comp_targetILNS1_3genE5ELNS1_11target_archE942ELNS1_3gpuE9ELNS1_3repE0EEENS1_30default_config_static_selectorELNS0_4arch9wavefront6targetE0EEEvT1_,"axG",@progbits,_ZN7rocprim17ROCPRIM_400000_NS6detail17trampoline_kernelINS0_14default_configENS1_29reduce_by_key_config_selectorIttN6thrust23THRUST_200600_302600_NS4plusItEEEEZZNS1_33reduce_by_key_impl_wrapped_configILNS1_25lookback_scan_determinismE0ES3_S9_NS6_6detail15normal_iteratorINS6_10device_ptrItEEEESG_SG_SG_PmS8_NS6_8equal_toItEEEE10hipError_tPvRmT2_T3_mT4_T5_T6_T7_T8_P12ihipStream_tbENKUlT_T0_E_clISt17integral_constantIbLb0EES11_EEDaSW_SX_EUlSW_E_NS1_11comp_targetILNS1_3genE5ELNS1_11target_archE942ELNS1_3gpuE9ELNS1_3repE0EEENS1_30default_config_static_selectorELNS0_4arch9wavefront6targetE0EEEvT1_,comdat
.Lfunc_end393:
	.size	_ZN7rocprim17ROCPRIM_400000_NS6detail17trampoline_kernelINS0_14default_configENS1_29reduce_by_key_config_selectorIttN6thrust23THRUST_200600_302600_NS4plusItEEEEZZNS1_33reduce_by_key_impl_wrapped_configILNS1_25lookback_scan_determinismE0ES3_S9_NS6_6detail15normal_iteratorINS6_10device_ptrItEEEESG_SG_SG_PmS8_NS6_8equal_toItEEEE10hipError_tPvRmT2_T3_mT4_T5_T6_T7_T8_P12ihipStream_tbENKUlT_T0_E_clISt17integral_constantIbLb0EES11_EEDaSW_SX_EUlSW_E_NS1_11comp_targetILNS1_3genE5ELNS1_11target_archE942ELNS1_3gpuE9ELNS1_3repE0EEENS1_30default_config_static_selectorELNS0_4arch9wavefront6targetE0EEEvT1_, .Lfunc_end393-_ZN7rocprim17ROCPRIM_400000_NS6detail17trampoline_kernelINS0_14default_configENS1_29reduce_by_key_config_selectorIttN6thrust23THRUST_200600_302600_NS4plusItEEEEZZNS1_33reduce_by_key_impl_wrapped_configILNS1_25lookback_scan_determinismE0ES3_S9_NS6_6detail15normal_iteratorINS6_10device_ptrItEEEESG_SG_SG_PmS8_NS6_8equal_toItEEEE10hipError_tPvRmT2_T3_mT4_T5_T6_T7_T8_P12ihipStream_tbENKUlT_T0_E_clISt17integral_constantIbLb0EES11_EEDaSW_SX_EUlSW_E_NS1_11comp_targetILNS1_3genE5ELNS1_11target_archE942ELNS1_3gpuE9ELNS1_3repE0EEENS1_30default_config_static_selectorELNS0_4arch9wavefront6targetE0EEEvT1_
                                        ; -- End function
	.section	.AMDGPU.csdata,"",@progbits
; Kernel info:
; codeLenInByte = 0
; NumSgprs: 0
; NumVgprs: 0
; ScratchSize: 0
; MemoryBound: 0
; FloatMode: 240
; IeeeMode: 1
; LDSByteSize: 0 bytes/workgroup (compile time only)
; SGPRBlocks: 0
; VGPRBlocks: 0
; NumSGPRsForWavesPerEU: 1
; NumVGPRsForWavesPerEU: 1
; Occupancy: 16
; WaveLimiterHint : 0
; COMPUTE_PGM_RSRC2:SCRATCH_EN: 0
; COMPUTE_PGM_RSRC2:USER_SGPR: 15
; COMPUTE_PGM_RSRC2:TRAP_HANDLER: 0
; COMPUTE_PGM_RSRC2:TGID_X_EN: 1
; COMPUTE_PGM_RSRC2:TGID_Y_EN: 0
; COMPUTE_PGM_RSRC2:TGID_Z_EN: 0
; COMPUTE_PGM_RSRC2:TIDIG_COMP_CNT: 0
	.section	.text._ZN7rocprim17ROCPRIM_400000_NS6detail17trampoline_kernelINS0_14default_configENS1_29reduce_by_key_config_selectorIttN6thrust23THRUST_200600_302600_NS4plusItEEEEZZNS1_33reduce_by_key_impl_wrapped_configILNS1_25lookback_scan_determinismE0ES3_S9_NS6_6detail15normal_iteratorINS6_10device_ptrItEEEESG_SG_SG_PmS8_NS6_8equal_toItEEEE10hipError_tPvRmT2_T3_mT4_T5_T6_T7_T8_P12ihipStream_tbENKUlT_T0_E_clISt17integral_constantIbLb0EES11_EEDaSW_SX_EUlSW_E_NS1_11comp_targetILNS1_3genE4ELNS1_11target_archE910ELNS1_3gpuE8ELNS1_3repE0EEENS1_30default_config_static_selectorELNS0_4arch9wavefront6targetE0EEEvT1_,"axG",@progbits,_ZN7rocprim17ROCPRIM_400000_NS6detail17trampoline_kernelINS0_14default_configENS1_29reduce_by_key_config_selectorIttN6thrust23THRUST_200600_302600_NS4plusItEEEEZZNS1_33reduce_by_key_impl_wrapped_configILNS1_25lookback_scan_determinismE0ES3_S9_NS6_6detail15normal_iteratorINS6_10device_ptrItEEEESG_SG_SG_PmS8_NS6_8equal_toItEEEE10hipError_tPvRmT2_T3_mT4_T5_T6_T7_T8_P12ihipStream_tbENKUlT_T0_E_clISt17integral_constantIbLb0EES11_EEDaSW_SX_EUlSW_E_NS1_11comp_targetILNS1_3genE4ELNS1_11target_archE910ELNS1_3gpuE8ELNS1_3repE0EEENS1_30default_config_static_selectorELNS0_4arch9wavefront6targetE0EEEvT1_,comdat
	.protected	_ZN7rocprim17ROCPRIM_400000_NS6detail17trampoline_kernelINS0_14default_configENS1_29reduce_by_key_config_selectorIttN6thrust23THRUST_200600_302600_NS4plusItEEEEZZNS1_33reduce_by_key_impl_wrapped_configILNS1_25lookback_scan_determinismE0ES3_S9_NS6_6detail15normal_iteratorINS6_10device_ptrItEEEESG_SG_SG_PmS8_NS6_8equal_toItEEEE10hipError_tPvRmT2_T3_mT4_T5_T6_T7_T8_P12ihipStream_tbENKUlT_T0_E_clISt17integral_constantIbLb0EES11_EEDaSW_SX_EUlSW_E_NS1_11comp_targetILNS1_3genE4ELNS1_11target_archE910ELNS1_3gpuE8ELNS1_3repE0EEENS1_30default_config_static_selectorELNS0_4arch9wavefront6targetE0EEEvT1_ ; -- Begin function _ZN7rocprim17ROCPRIM_400000_NS6detail17trampoline_kernelINS0_14default_configENS1_29reduce_by_key_config_selectorIttN6thrust23THRUST_200600_302600_NS4plusItEEEEZZNS1_33reduce_by_key_impl_wrapped_configILNS1_25lookback_scan_determinismE0ES3_S9_NS6_6detail15normal_iteratorINS6_10device_ptrItEEEESG_SG_SG_PmS8_NS6_8equal_toItEEEE10hipError_tPvRmT2_T3_mT4_T5_T6_T7_T8_P12ihipStream_tbENKUlT_T0_E_clISt17integral_constantIbLb0EES11_EEDaSW_SX_EUlSW_E_NS1_11comp_targetILNS1_3genE4ELNS1_11target_archE910ELNS1_3gpuE8ELNS1_3repE0EEENS1_30default_config_static_selectorELNS0_4arch9wavefront6targetE0EEEvT1_
	.globl	_ZN7rocprim17ROCPRIM_400000_NS6detail17trampoline_kernelINS0_14default_configENS1_29reduce_by_key_config_selectorIttN6thrust23THRUST_200600_302600_NS4plusItEEEEZZNS1_33reduce_by_key_impl_wrapped_configILNS1_25lookback_scan_determinismE0ES3_S9_NS6_6detail15normal_iteratorINS6_10device_ptrItEEEESG_SG_SG_PmS8_NS6_8equal_toItEEEE10hipError_tPvRmT2_T3_mT4_T5_T6_T7_T8_P12ihipStream_tbENKUlT_T0_E_clISt17integral_constantIbLb0EES11_EEDaSW_SX_EUlSW_E_NS1_11comp_targetILNS1_3genE4ELNS1_11target_archE910ELNS1_3gpuE8ELNS1_3repE0EEENS1_30default_config_static_selectorELNS0_4arch9wavefront6targetE0EEEvT1_
	.p2align	8
	.type	_ZN7rocprim17ROCPRIM_400000_NS6detail17trampoline_kernelINS0_14default_configENS1_29reduce_by_key_config_selectorIttN6thrust23THRUST_200600_302600_NS4plusItEEEEZZNS1_33reduce_by_key_impl_wrapped_configILNS1_25lookback_scan_determinismE0ES3_S9_NS6_6detail15normal_iteratorINS6_10device_ptrItEEEESG_SG_SG_PmS8_NS6_8equal_toItEEEE10hipError_tPvRmT2_T3_mT4_T5_T6_T7_T8_P12ihipStream_tbENKUlT_T0_E_clISt17integral_constantIbLb0EES11_EEDaSW_SX_EUlSW_E_NS1_11comp_targetILNS1_3genE4ELNS1_11target_archE910ELNS1_3gpuE8ELNS1_3repE0EEENS1_30default_config_static_selectorELNS0_4arch9wavefront6targetE0EEEvT1_,@function
_ZN7rocprim17ROCPRIM_400000_NS6detail17trampoline_kernelINS0_14default_configENS1_29reduce_by_key_config_selectorIttN6thrust23THRUST_200600_302600_NS4plusItEEEEZZNS1_33reduce_by_key_impl_wrapped_configILNS1_25lookback_scan_determinismE0ES3_S9_NS6_6detail15normal_iteratorINS6_10device_ptrItEEEESG_SG_SG_PmS8_NS6_8equal_toItEEEE10hipError_tPvRmT2_T3_mT4_T5_T6_T7_T8_P12ihipStream_tbENKUlT_T0_E_clISt17integral_constantIbLb0EES11_EEDaSW_SX_EUlSW_E_NS1_11comp_targetILNS1_3genE4ELNS1_11target_archE910ELNS1_3gpuE8ELNS1_3repE0EEENS1_30default_config_static_selectorELNS0_4arch9wavefront6targetE0EEEvT1_: ; @_ZN7rocprim17ROCPRIM_400000_NS6detail17trampoline_kernelINS0_14default_configENS1_29reduce_by_key_config_selectorIttN6thrust23THRUST_200600_302600_NS4plusItEEEEZZNS1_33reduce_by_key_impl_wrapped_configILNS1_25lookback_scan_determinismE0ES3_S9_NS6_6detail15normal_iteratorINS6_10device_ptrItEEEESG_SG_SG_PmS8_NS6_8equal_toItEEEE10hipError_tPvRmT2_T3_mT4_T5_T6_T7_T8_P12ihipStream_tbENKUlT_T0_E_clISt17integral_constantIbLb0EES11_EEDaSW_SX_EUlSW_E_NS1_11comp_targetILNS1_3genE4ELNS1_11target_archE910ELNS1_3gpuE8ELNS1_3repE0EEENS1_30default_config_static_selectorELNS0_4arch9wavefront6targetE0EEEvT1_
; %bb.0:
	.section	.rodata,"a",@progbits
	.p2align	6, 0x0
	.amdhsa_kernel _ZN7rocprim17ROCPRIM_400000_NS6detail17trampoline_kernelINS0_14default_configENS1_29reduce_by_key_config_selectorIttN6thrust23THRUST_200600_302600_NS4plusItEEEEZZNS1_33reduce_by_key_impl_wrapped_configILNS1_25lookback_scan_determinismE0ES3_S9_NS6_6detail15normal_iteratorINS6_10device_ptrItEEEESG_SG_SG_PmS8_NS6_8equal_toItEEEE10hipError_tPvRmT2_T3_mT4_T5_T6_T7_T8_P12ihipStream_tbENKUlT_T0_E_clISt17integral_constantIbLb0EES11_EEDaSW_SX_EUlSW_E_NS1_11comp_targetILNS1_3genE4ELNS1_11target_archE910ELNS1_3gpuE8ELNS1_3repE0EEENS1_30default_config_static_selectorELNS0_4arch9wavefront6targetE0EEEvT1_
		.amdhsa_group_segment_fixed_size 0
		.amdhsa_private_segment_fixed_size 0
		.amdhsa_kernarg_size 120
		.amdhsa_user_sgpr_count 15
		.amdhsa_user_sgpr_dispatch_ptr 0
		.amdhsa_user_sgpr_queue_ptr 0
		.amdhsa_user_sgpr_kernarg_segment_ptr 1
		.amdhsa_user_sgpr_dispatch_id 0
		.amdhsa_user_sgpr_private_segment_size 0
		.amdhsa_wavefront_size32 1
		.amdhsa_uses_dynamic_stack 0
		.amdhsa_enable_private_segment 0
		.amdhsa_system_sgpr_workgroup_id_x 1
		.amdhsa_system_sgpr_workgroup_id_y 0
		.amdhsa_system_sgpr_workgroup_id_z 0
		.amdhsa_system_sgpr_workgroup_info 0
		.amdhsa_system_vgpr_workitem_id 0
		.amdhsa_next_free_vgpr 1
		.amdhsa_next_free_sgpr 1
		.amdhsa_reserve_vcc 0
		.amdhsa_float_round_mode_32 0
		.amdhsa_float_round_mode_16_64 0
		.amdhsa_float_denorm_mode_32 3
		.amdhsa_float_denorm_mode_16_64 3
		.amdhsa_dx10_clamp 1
		.amdhsa_ieee_mode 1
		.amdhsa_fp16_overflow 0
		.amdhsa_workgroup_processor_mode 1
		.amdhsa_memory_ordered 1
		.amdhsa_forward_progress 0
		.amdhsa_shared_vgpr_count 0
		.amdhsa_exception_fp_ieee_invalid_op 0
		.amdhsa_exception_fp_denorm_src 0
		.amdhsa_exception_fp_ieee_div_zero 0
		.amdhsa_exception_fp_ieee_overflow 0
		.amdhsa_exception_fp_ieee_underflow 0
		.amdhsa_exception_fp_ieee_inexact 0
		.amdhsa_exception_int_div_zero 0
	.end_amdhsa_kernel
	.section	.text._ZN7rocprim17ROCPRIM_400000_NS6detail17trampoline_kernelINS0_14default_configENS1_29reduce_by_key_config_selectorIttN6thrust23THRUST_200600_302600_NS4plusItEEEEZZNS1_33reduce_by_key_impl_wrapped_configILNS1_25lookback_scan_determinismE0ES3_S9_NS6_6detail15normal_iteratorINS6_10device_ptrItEEEESG_SG_SG_PmS8_NS6_8equal_toItEEEE10hipError_tPvRmT2_T3_mT4_T5_T6_T7_T8_P12ihipStream_tbENKUlT_T0_E_clISt17integral_constantIbLb0EES11_EEDaSW_SX_EUlSW_E_NS1_11comp_targetILNS1_3genE4ELNS1_11target_archE910ELNS1_3gpuE8ELNS1_3repE0EEENS1_30default_config_static_selectorELNS0_4arch9wavefront6targetE0EEEvT1_,"axG",@progbits,_ZN7rocprim17ROCPRIM_400000_NS6detail17trampoline_kernelINS0_14default_configENS1_29reduce_by_key_config_selectorIttN6thrust23THRUST_200600_302600_NS4plusItEEEEZZNS1_33reduce_by_key_impl_wrapped_configILNS1_25lookback_scan_determinismE0ES3_S9_NS6_6detail15normal_iteratorINS6_10device_ptrItEEEESG_SG_SG_PmS8_NS6_8equal_toItEEEE10hipError_tPvRmT2_T3_mT4_T5_T6_T7_T8_P12ihipStream_tbENKUlT_T0_E_clISt17integral_constantIbLb0EES11_EEDaSW_SX_EUlSW_E_NS1_11comp_targetILNS1_3genE4ELNS1_11target_archE910ELNS1_3gpuE8ELNS1_3repE0EEENS1_30default_config_static_selectorELNS0_4arch9wavefront6targetE0EEEvT1_,comdat
.Lfunc_end394:
	.size	_ZN7rocprim17ROCPRIM_400000_NS6detail17trampoline_kernelINS0_14default_configENS1_29reduce_by_key_config_selectorIttN6thrust23THRUST_200600_302600_NS4plusItEEEEZZNS1_33reduce_by_key_impl_wrapped_configILNS1_25lookback_scan_determinismE0ES3_S9_NS6_6detail15normal_iteratorINS6_10device_ptrItEEEESG_SG_SG_PmS8_NS6_8equal_toItEEEE10hipError_tPvRmT2_T3_mT4_T5_T6_T7_T8_P12ihipStream_tbENKUlT_T0_E_clISt17integral_constantIbLb0EES11_EEDaSW_SX_EUlSW_E_NS1_11comp_targetILNS1_3genE4ELNS1_11target_archE910ELNS1_3gpuE8ELNS1_3repE0EEENS1_30default_config_static_selectorELNS0_4arch9wavefront6targetE0EEEvT1_, .Lfunc_end394-_ZN7rocprim17ROCPRIM_400000_NS6detail17trampoline_kernelINS0_14default_configENS1_29reduce_by_key_config_selectorIttN6thrust23THRUST_200600_302600_NS4plusItEEEEZZNS1_33reduce_by_key_impl_wrapped_configILNS1_25lookback_scan_determinismE0ES3_S9_NS6_6detail15normal_iteratorINS6_10device_ptrItEEEESG_SG_SG_PmS8_NS6_8equal_toItEEEE10hipError_tPvRmT2_T3_mT4_T5_T6_T7_T8_P12ihipStream_tbENKUlT_T0_E_clISt17integral_constantIbLb0EES11_EEDaSW_SX_EUlSW_E_NS1_11comp_targetILNS1_3genE4ELNS1_11target_archE910ELNS1_3gpuE8ELNS1_3repE0EEENS1_30default_config_static_selectorELNS0_4arch9wavefront6targetE0EEEvT1_
                                        ; -- End function
	.section	.AMDGPU.csdata,"",@progbits
; Kernel info:
; codeLenInByte = 0
; NumSgprs: 0
; NumVgprs: 0
; ScratchSize: 0
; MemoryBound: 0
; FloatMode: 240
; IeeeMode: 1
; LDSByteSize: 0 bytes/workgroup (compile time only)
; SGPRBlocks: 0
; VGPRBlocks: 0
; NumSGPRsForWavesPerEU: 1
; NumVGPRsForWavesPerEU: 1
; Occupancy: 16
; WaveLimiterHint : 0
; COMPUTE_PGM_RSRC2:SCRATCH_EN: 0
; COMPUTE_PGM_RSRC2:USER_SGPR: 15
; COMPUTE_PGM_RSRC2:TRAP_HANDLER: 0
; COMPUTE_PGM_RSRC2:TGID_X_EN: 1
; COMPUTE_PGM_RSRC2:TGID_Y_EN: 0
; COMPUTE_PGM_RSRC2:TGID_Z_EN: 0
; COMPUTE_PGM_RSRC2:TIDIG_COMP_CNT: 0
	.section	.text._ZN7rocprim17ROCPRIM_400000_NS6detail17trampoline_kernelINS0_14default_configENS1_29reduce_by_key_config_selectorIttN6thrust23THRUST_200600_302600_NS4plusItEEEEZZNS1_33reduce_by_key_impl_wrapped_configILNS1_25lookback_scan_determinismE0ES3_S9_NS6_6detail15normal_iteratorINS6_10device_ptrItEEEESG_SG_SG_PmS8_NS6_8equal_toItEEEE10hipError_tPvRmT2_T3_mT4_T5_T6_T7_T8_P12ihipStream_tbENKUlT_T0_E_clISt17integral_constantIbLb0EES11_EEDaSW_SX_EUlSW_E_NS1_11comp_targetILNS1_3genE3ELNS1_11target_archE908ELNS1_3gpuE7ELNS1_3repE0EEENS1_30default_config_static_selectorELNS0_4arch9wavefront6targetE0EEEvT1_,"axG",@progbits,_ZN7rocprim17ROCPRIM_400000_NS6detail17trampoline_kernelINS0_14default_configENS1_29reduce_by_key_config_selectorIttN6thrust23THRUST_200600_302600_NS4plusItEEEEZZNS1_33reduce_by_key_impl_wrapped_configILNS1_25lookback_scan_determinismE0ES3_S9_NS6_6detail15normal_iteratorINS6_10device_ptrItEEEESG_SG_SG_PmS8_NS6_8equal_toItEEEE10hipError_tPvRmT2_T3_mT4_T5_T6_T7_T8_P12ihipStream_tbENKUlT_T0_E_clISt17integral_constantIbLb0EES11_EEDaSW_SX_EUlSW_E_NS1_11comp_targetILNS1_3genE3ELNS1_11target_archE908ELNS1_3gpuE7ELNS1_3repE0EEENS1_30default_config_static_selectorELNS0_4arch9wavefront6targetE0EEEvT1_,comdat
	.protected	_ZN7rocprim17ROCPRIM_400000_NS6detail17trampoline_kernelINS0_14default_configENS1_29reduce_by_key_config_selectorIttN6thrust23THRUST_200600_302600_NS4plusItEEEEZZNS1_33reduce_by_key_impl_wrapped_configILNS1_25lookback_scan_determinismE0ES3_S9_NS6_6detail15normal_iteratorINS6_10device_ptrItEEEESG_SG_SG_PmS8_NS6_8equal_toItEEEE10hipError_tPvRmT2_T3_mT4_T5_T6_T7_T8_P12ihipStream_tbENKUlT_T0_E_clISt17integral_constantIbLb0EES11_EEDaSW_SX_EUlSW_E_NS1_11comp_targetILNS1_3genE3ELNS1_11target_archE908ELNS1_3gpuE7ELNS1_3repE0EEENS1_30default_config_static_selectorELNS0_4arch9wavefront6targetE0EEEvT1_ ; -- Begin function _ZN7rocprim17ROCPRIM_400000_NS6detail17trampoline_kernelINS0_14default_configENS1_29reduce_by_key_config_selectorIttN6thrust23THRUST_200600_302600_NS4plusItEEEEZZNS1_33reduce_by_key_impl_wrapped_configILNS1_25lookback_scan_determinismE0ES3_S9_NS6_6detail15normal_iteratorINS6_10device_ptrItEEEESG_SG_SG_PmS8_NS6_8equal_toItEEEE10hipError_tPvRmT2_T3_mT4_T5_T6_T7_T8_P12ihipStream_tbENKUlT_T0_E_clISt17integral_constantIbLb0EES11_EEDaSW_SX_EUlSW_E_NS1_11comp_targetILNS1_3genE3ELNS1_11target_archE908ELNS1_3gpuE7ELNS1_3repE0EEENS1_30default_config_static_selectorELNS0_4arch9wavefront6targetE0EEEvT1_
	.globl	_ZN7rocprim17ROCPRIM_400000_NS6detail17trampoline_kernelINS0_14default_configENS1_29reduce_by_key_config_selectorIttN6thrust23THRUST_200600_302600_NS4plusItEEEEZZNS1_33reduce_by_key_impl_wrapped_configILNS1_25lookback_scan_determinismE0ES3_S9_NS6_6detail15normal_iteratorINS6_10device_ptrItEEEESG_SG_SG_PmS8_NS6_8equal_toItEEEE10hipError_tPvRmT2_T3_mT4_T5_T6_T7_T8_P12ihipStream_tbENKUlT_T0_E_clISt17integral_constantIbLb0EES11_EEDaSW_SX_EUlSW_E_NS1_11comp_targetILNS1_3genE3ELNS1_11target_archE908ELNS1_3gpuE7ELNS1_3repE0EEENS1_30default_config_static_selectorELNS0_4arch9wavefront6targetE0EEEvT1_
	.p2align	8
	.type	_ZN7rocprim17ROCPRIM_400000_NS6detail17trampoline_kernelINS0_14default_configENS1_29reduce_by_key_config_selectorIttN6thrust23THRUST_200600_302600_NS4plusItEEEEZZNS1_33reduce_by_key_impl_wrapped_configILNS1_25lookback_scan_determinismE0ES3_S9_NS6_6detail15normal_iteratorINS6_10device_ptrItEEEESG_SG_SG_PmS8_NS6_8equal_toItEEEE10hipError_tPvRmT2_T3_mT4_T5_T6_T7_T8_P12ihipStream_tbENKUlT_T0_E_clISt17integral_constantIbLb0EES11_EEDaSW_SX_EUlSW_E_NS1_11comp_targetILNS1_3genE3ELNS1_11target_archE908ELNS1_3gpuE7ELNS1_3repE0EEENS1_30default_config_static_selectorELNS0_4arch9wavefront6targetE0EEEvT1_,@function
_ZN7rocprim17ROCPRIM_400000_NS6detail17trampoline_kernelINS0_14default_configENS1_29reduce_by_key_config_selectorIttN6thrust23THRUST_200600_302600_NS4plusItEEEEZZNS1_33reduce_by_key_impl_wrapped_configILNS1_25lookback_scan_determinismE0ES3_S9_NS6_6detail15normal_iteratorINS6_10device_ptrItEEEESG_SG_SG_PmS8_NS6_8equal_toItEEEE10hipError_tPvRmT2_T3_mT4_T5_T6_T7_T8_P12ihipStream_tbENKUlT_T0_E_clISt17integral_constantIbLb0EES11_EEDaSW_SX_EUlSW_E_NS1_11comp_targetILNS1_3genE3ELNS1_11target_archE908ELNS1_3gpuE7ELNS1_3repE0EEENS1_30default_config_static_selectorELNS0_4arch9wavefront6targetE0EEEvT1_: ; @_ZN7rocprim17ROCPRIM_400000_NS6detail17trampoline_kernelINS0_14default_configENS1_29reduce_by_key_config_selectorIttN6thrust23THRUST_200600_302600_NS4plusItEEEEZZNS1_33reduce_by_key_impl_wrapped_configILNS1_25lookback_scan_determinismE0ES3_S9_NS6_6detail15normal_iteratorINS6_10device_ptrItEEEESG_SG_SG_PmS8_NS6_8equal_toItEEEE10hipError_tPvRmT2_T3_mT4_T5_T6_T7_T8_P12ihipStream_tbENKUlT_T0_E_clISt17integral_constantIbLb0EES11_EEDaSW_SX_EUlSW_E_NS1_11comp_targetILNS1_3genE3ELNS1_11target_archE908ELNS1_3gpuE7ELNS1_3repE0EEENS1_30default_config_static_selectorELNS0_4arch9wavefront6targetE0EEEvT1_
; %bb.0:
	.section	.rodata,"a",@progbits
	.p2align	6, 0x0
	.amdhsa_kernel _ZN7rocprim17ROCPRIM_400000_NS6detail17trampoline_kernelINS0_14default_configENS1_29reduce_by_key_config_selectorIttN6thrust23THRUST_200600_302600_NS4plusItEEEEZZNS1_33reduce_by_key_impl_wrapped_configILNS1_25lookback_scan_determinismE0ES3_S9_NS6_6detail15normal_iteratorINS6_10device_ptrItEEEESG_SG_SG_PmS8_NS6_8equal_toItEEEE10hipError_tPvRmT2_T3_mT4_T5_T6_T7_T8_P12ihipStream_tbENKUlT_T0_E_clISt17integral_constantIbLb0EES11_EEDaSW_SX_EUlSW_E_NS1_11comp_targetILNS1_3genE3ELNS1_11target_archE908ELNS1_3gpuE7ELNS1_3repE0EEENS1_30default_config_static_selectorELNS0_4arch9wavefront6targetE0EEEvT1_
		.amdhsa_group_segment_fixed_size 0
		.amdhsa_private_segment_fixed_size 0
		.amdhsa_kernarg_size 120
		.amdhsa_user_sgpr_count 15
		.amdhsa_user_sgpr_dispatch_ptr 0
		.amdhsa_user_sgpr_queue_ptr 0
		.amdhsa_user_sgpr_kernarg_segment_ptr 1
		.amdhsa_user_sgpr_dispatch_id 0
		.amdhsa_user_sgpr_private_segment_size 0
		.amdhsa_wavefront_size32 1
		.amdhsa_uses_dynamic_stack 0
		.amdhsa_enable_private_segment 0
		.amdhsa_system_sgpr_workgroup_id_x 1
		.amdhsa_system_sgpr_workgroup_id_y 0
		.amdhsa_system_sgpr_workgroup_id_z 0
		.amdhsa_system_sgpr_workgroup_info 0
		.amdhsa_system_vgpr_workitem_id 0
		.amdhsa_next_free_vgpr 1
		.amdhsa_next_free_sgpr 1
		.amdhsa_reserve_vcc 0
		.amdhsa_float_round_mode_32 0
		.amdhsa_float_round_mode_16_64 0
		.amdhsa_float_denorm_mode_32 3
		.amdhsa_float_denorm_mode_16_64 3
		.amdhsa_dx10_clamp 1
		.amdhsa_ieee_mode 1
		.amdhsa_fp16_overflow 0
		.amdhsa_workgroup_processor_mode 1
		.amdhsa_memory_ordered 1
		.amdhsa_forward_progress 0
		.amdhsa_shared_vgpr_count 0
		.amdhsa_exception_fp_ieee_invalid_op 0
		.amdhsa_exception_fp_denorm_src 0
		.amdhsa_exception_fp_ieee_div_zero 0
		.amdhsa_exception_fp_ieee_overflow 0
		.amdhsa_exception_fp_ieee_underflow 0
		.amdhsa_exception_fp_ieee_inexact 0
		.amdhsa_exception_int_div_zero 0
	.end_amdhsa_kernel
	.section	.text._ZN7rocprim17ROCPRIM_400000_NS6detail17trampoline_kernelINS0_14default_configENS1_29reduce_by_key_config_selectorIttN6thrust23THRUST_200600_302600_NS4plusItEEEEZZNS1_33reduce_by_key_impl_wrapped_configILNS1_25lookback_scan_determinismE0ES3_S9_NS6_6detail15normal_iteratorINS6_10device_ptrItEEEESG_SG_SG_PmS8_NS6_8equal_toItEEEE10hipError_tPvRmT2_T3_mT4_T5_T6_T7_T8_P12ihipStream_tbENKUlT_T0_E_clISt17integral_constantIbLb0EES11_EEDaSW_SX_EUlSW_E_NS1_11comp_targetILNS1_3genE3ELNS1_11target_archE908ELNS1_3gpuE7ELNS1_3repE0EEENS1_30default_config_static_selectorELNS0_4arch9wavefront6targetE0EEEvT1_,"axG",@progbits,_ZN7rocprim17ROCPRIM_400000_NS6detail17trampoline_kernelINS0_14default_configENS1_29reduce_by_key_config_selectorIttN6thrust23THRUST_200600_302600_NS4plusItEEEEZZNS1_33reduce_by_key_impl_wrapped_configILNS1_25lookback_scan_determinismE0ES3_S9_NS6_6detail15normal_iteratorINS6_10device_ptrItEEEESG_SG_SG_PmS8_NS6_8equal_toItEEEE10hipError_tPvRmT2_T3_mT4_T5_T6_T7_T8_P12ihipStream_tbENKUlT_T0_E_clISt17integral_constantIbLb0EES11_EEDaSW_SX_EUlSW_E_NS1_11comp_targetILNS1_3genE3ELNS1_11target_archE908ELNS1_3gpuE7ELNS1_3repE0EEENS1_30default_config_static_selectorELNS0_4arch9wavefront6targetE0EEEvT1_,comdat
.Lfunc_end395:
	.size	_ZN7rocprim17ROCPRIM_400000_NS6detail17trampoline_kernelINS0_14default_configENS1_29reduce_by_key_config_selectorIttN6thrust23THRUST_200600_302600_NS4plusItEEEEZZNS1_33reduce_by_key_impl_wrapped_configILNS1_25lookback_scan_determinismE0ES3_S9_NS6_6detail15normal_iteratorINS6_10device_ptrItEEEESG_SG_SG_PmS8_NS6_8equal_toItEEEE10hipError_tPvRmT2_T3_mT4_T5_T6_T7_T8_P12ihipStream_tbENKUlT_T0_E_clISt17integral_constantIbLb0EES11_EEDaSW_SX_EUlSW_E_NS1_11comp_targetILNS1_3genE3ELNS1_11target_archE908ELNS1_3gpuE7ELNS1_3repE0EEENS1_30default_config_static_selectorELNS0_4arch9wavefront6targetE0EEEvT1_, .Lfunc_end395-_ZN7rocprim17ROCPRIM_400000_NS6detail17trampoline_kernelINS0_14default_configENS1_29reduce_by_key_config_selectorIttN6thrust23THRUST_200600_302600_NS4plusItEEEEZZNS1_33reduce_by_key_impl_wrapped_configILNS1_25lookback_scan_determinismE0ES3_S9_NS6_6detail15normal_iteratorINS6_10device_ptrItEEEESG_SG_SG_PmS8_NS6_8equal_toItEEEE10hipError_tPvRmT2_T3_mT4_T5_T6_T7_T8_P12ihipStream_tbENKUlT_T0_E_clISt17integral_constantIbLb0EES11_EEDaSW_SX_EUlSW_E_NS1_11comp_targetILNS1_3genE3ELNS1_11target_archE908ELNS1_3gpuE7ELNS1_3repE0EEENS1_30default_config_static_selectorELNS0_4arch9wavefront6targetE0EEEvT1_
                                        ; -- End function
	.section	.AMDGPU.csdata,"",@progbits
; Kernel info:
; codeLenInByte = 0
; NumSgprs: 0
; NumVgprs: 0
; ScratchSize: 0
; MemoryBound: 0
; FloatMode: 240
; IeeeMode: 1
; LDSByteSize: 0 bytes/workgroup (compile time only)
; SGPRBlocks: 0
; VGPRBlocks: 0
; NumSGPRsForWavesPerEU: 1
; NumVGPRsForWavesPerEU: 1
; Occupancy: 16
; WaveLimiterHint : 0
; COMPUTE_PGM_RSRC2:SCRATCH_EN: 0
; COMPUTE_PGM_RSRC2:USER_SGPR: 15
; COMPUTE_PGM_RSRC2:TRAP_HANDLER: 0
; COMPUTE_PGM_RSRC2:TGID_X_EN: 1
; COMPUTE_PGM_RSRC2:TGID_Y_EN: 0
; COMPUTE_PGM_RSRC2:TGID_Z_EN: 0
; COMPUTE_PGM_RSRC2:TIDIG_COMP_CNT: 0
	.section	.text._ZN7rocprim17ROCPRIM_400000_NS6detail17trampoline_kernelINS0_14default_configENS1_29reduce_by_key_config_selectorIttN6thrust23THRUST_200600_302600_NS4plusItEEEEZZNS1_33reduce_by_key_impl_wrapped_configILNS1_25lookback_scan_determinismE0ES3_S9_NS6_6detail15normal_iteratorINS6_10device_ptrItEEEESG_SG_SG_PmS8_NS6_8equal_toItEEEE10hipError_tPvRmT2_T3_mT4_T5_T6_T7_T8_P12ihipStream_tbENKUlT_T0_E_clISt17integral_constantIbLb0EES11_EEDaSW_SX_EUlSW_E_NS1_11comp_targetILNS1_3genE2ELNS1_11target_archE906ELNS1_3gpuE6ELNS1_3repE0EEENS1_30default_config_static_selectorELNS0_4arch9wavefront6targetE0EEEvT1_,"axG",@progbits,_ZN7rocprim17ROCPRIM_400000_NS6detail17trampoline_kernelINS0_14default_configENS1_29reduce_by_key_config_selectorIttN6thrust23THRUST_200600_302600_NS4plusItEEEEZZNS1_33reduce_by_key_impl_wrapped_configILNS1_25lookback_scan_determinismE0ES3_S9_NS6_6detail15normal_iteratorINS6_10device_ptrItEEEESG_SG_SG_PmS8_NS6_8equal_toItEEEE10hipError_tPvRmT2_T3_mT4_T5_T6_T7_T8_P12ihipStream_tbENKUlT_T0_E_clISt17integral_constantIbLb0EES11_EEDaSW_SX_EUlSW_E_NS1_11comp_targetILNS1_3genE2ELNS1_11target_archE906ELNS1_3gpuE6ELNS1_3repE0EEENS1_30default_config_static_selectorELNS0_4arch9wavefront6targetE0EEEvT1_,comdat
	.protected	_ZN7rocprim17ROCPRIM_400000_NS6detail17trampoline_kernelINS0_14default_configENS1_29reduce_by_key_config_selectorIttN6thrust23THRUST_200600_302600_NS4plusItEEEEZZNS1_33reduce_by_key_impl_wrapped_configILNS1_25lookback_scan_determinismE0ES3_S9_NS6_6detail15normal_iteratorINS6_10device_ptrItEEEESG_SG_SG_PmS8_NS6_8equal_toItEEEE10hipError_tPvRmT2_T3_mT4_T5_T6_T7_T8_P12ihipStream_tbENKUlT_T0_E_clISt17integral_constantIbLb0EES11_EEDaSW_SX_EUlSW_E_NS1_11comp_targetILNS1_3genE2ELNS1_11target_archE906ELNS1_3gpuE6ELNS1_3repE0EEENS1_30default_config_static_selectorELNS0_4arch9wavefront6targetE0EEEvT1_ ; -- Begin function _ZN7rocprim17ROCPRIM_400000_NS6detail17trampoline_kernelINS0_14default_configENS1_29reduce_by_key_config_selectorIttN6thrust23THRUST_200600_302600_NS4plusItEEEEZZNS1_33reduce_by_key_impl_wrapped_configILNS1_25lookback_scan_determinismE0ES3_S9_NS6_6detail15normal_iteratorINS6_10device_ptrItEEEESG_SG_SG_PmS8_NS6_8equal_toItEEEE10hipError_tPvRmT2_T3_mT4_T5_T6_T7_T8_P12ihipStream_tbENKUlT_T0_E_clISt17integral_constantIbLb0EES11_EEDaSW_SX_EUlSW_E_NS1_11comp_targetILNS1_3genE2ELNS1_11target_archE906ELNS1_3gpuE6ELNS1_3repE0EEENS1_30default_config_static_selectorELNS0_4arch9wavefront6targetE0EEEvT1_
	.globl	_ZN7rocprim17ROCPRIM_400000_NS6detail17trampoline_kernelINS0_14default_configENS1_29reduce_by_key_config_selectorIttN6thrust23THRUST_200600_302600_NS4plusItEEEEZZNS1_33reduce_by_key_impl_wrapped_configILNS1_25lookback_scan_determinismE0ES3_S9_NS6_6detail15normal_iteratorINS6_10device_ptrItEEEESG_SG_SG_PmS8_NS6_8equal_toItEEEE10hipError_tPvRmT2_T3_mT4_T5_T6_T7_T8_P12ihipStream_tbENKUlT_T0_E_clISt17integral_constantIbLb0EES11_EEDaSW_SX_EUlSW_E_NS1_11comp_targetILNS1_3genE2ELNS1_11target_archE906ELNS1_3gpuE6ELNS1_3repE0EEENS1_30default_config_static_selectorELNS0_4arch9wavefront6targetE0EEEvT1_
	.p2align	8
	.type	_ZN7rocprim17ROCPRIM_400000_NS6detail17trampoline_kernelINS0_14default_configENS1_29reduce_by_key_config_selectorIttN6thrust23THRUST_200600_302600_NS4plusItEEEEZZNS1_33reduce_by_key_impl_wrapped_configILNS1_25lookback_scan_determinismE0ES3_S9_NS6_6detail15normal_iteratorINS6_10device_ptrItEEEESG_SG_SG_PmS8_NS6_8equal_toItEEEE10hipError_tPvRmT2_T3_mT4_T5_T6_T7_T8_P12ihipStream_tbENKUlT_T0_E_clISt17integral_constantIbLb0EES11_EEDaSW_SX_EUlSW_E_NS1_11comp_targetILNS1_3genE2ELNS1_11target_archE906ELNS1_3gpuE6ELNS1_3repE0EEENS1_30default_config_static_selectorELNS0_4arch9wavefront6targetE0EEEvT1_,@function
_ZN7rocprim17ROCPRIM_400000_NS6detail17trampoline_kernelINS0_14default_configENS1_29reduce_by_key_config_selectorIttN6thrust23THRUST_200600_302600_NS4plusItEEEEZZNS1_33reduce_by_key_impl_wrapped_configILNS1_25lookback_scan_determinismE0ES3_S9_NS6_6detail15normal_iteratorINS6_10device_ptrItEEEESG_SG_SG_PmS8_NS6_8equal_toItEEEE10hipError_tPvRmT2_T3_mT4_T5_T6_T7_T8_P12ihipStream_tbENKUlT_T0_E_clISt17integral_constantIbLb0EES11_EEDaSW_SX_EUlSW_E_NS1_11comp_targetILNS1_3genE2ELNS1_11target_archE906ELNS1_3gpuE6ELNS1_3repE0EEENS1_30default_config_static_selectorELNS0_4arch9wavefront6targetE0EEEvT1_: ; @_ZN7rocprim17ROCPRIM_400000_NS6detail17trampoline_kernelINS0_14default_configENS1_29reduce_by_key_config_selectorIttN6thrust23THRUST_200600_302600_NS4plusItEEEEZZNS1_33reduce_by_key_impl_wrapped_configILNS1_25lookback_scan_determinismE0ES3_S9_NS6_6detail15normal_iteratorINS6_10device_ptrItEEEESG_SG_SG_PmS8_NS6_8equal_toItEEEE10hipError_tPvRmT2_T3_mT4_T5_T6_T7_T8_P12ihipStream_tbENKUlT_T0_E_clISt17integral_constantIbLb0EES11_EEDaSW_SX_EUlSW_E_NS1_11comp_targetILNS1_3genE2ELNS1_11target_archE906ELNS1_3gpuE6ELNS1_3repE0EEENS1_30default_config_static_selectorELNS0_4arch9wavefront6targetE0EEEvT1_
; %bb.0:
	.section	.rodata,"a",@progbits
	.p2align	6, 0x0
	.amdhsa_kernel _ZN7rocprim17ROCPRIM_400000_NS6detail17trampoline_kernelINS0_14default_configENS1_29reduce_by_key_config_selectorIttN6thrust23THRUST_200600_302600_NS4plusItEEEEZZNS1_33reduce_by_key_impl_wrapped_configILNS1_25lookback_scan_determinismE0ES3_S9_NS6_6detail15normal_iteratorINS6_10device_ptrItEEEESG_SG_SG_PmS8_NS6_8equal_toItEEEE10hipError_tPvRmT2_T3_mT4_T5_T6_T7_T8_P12ihipStream_tbENKUlT_T0_E_clISt17integral_constantIbLb0EES11_EEDaSW_SX_EUlSW_E_NS1_11comp_targetILNS1_3genE2ELNS1_11target_archE906ELNS1_3gpuE6ELNS1_3repE0EEENS1_30default_config_static_selectorELNS0_4arch9wavefront6targetE0EEEvT1_
		.amdhsa_group_segment_fixed_size 0
		.amdhsa_private_segment_fixed_size 0
		.amdhsa_kernarg_size 120
		.amdhsa_user_sgpr_count 15
		.amdhsa_user_sgpr_dispatch_ptr 0
		.amdhsa_user_sgpr_queue_ptr 0
		.amdhsa_user_sgpr_kernarg_segment_ptr 1
		.amdhsa_user_sgpr_dispatch_id 0
		.amdhsa_user_sgpr_private_segment_size 0
		.amdhsa_wavefront_size32 1
		.amdhsa_uses_dynamic_stack 0
		.amdhsa_enable_private_segment 0
		.amdhsa_system_sgpr_workgroup_id_x 1
		.amdhsa_system_sgpr_workgroup_id_y 0
		.amdhsa_system_sgpr_workgroup_id_z 0
		.amdhsa_system_sgpr_workgroup_info 0
		.amdhsa_system_vgpr_workitem_id 0
		.amdhsa_next_free_vgpr 1
		.amdhsa_next_free_sgpr 1
		.amdhsa_reserve_vcc 0
		.amdhsa_float_round_mode_32 0
		.amdhsa_float_round_mode_16_64 0
		.amdhsa_float_denorm_mode_32 3
		.amdhsa_float_denorm_mode_16_64 3
		.amdhsa_dx10_clamp 1
		.amdhsa_ieee_mode 1
		.amdhsa_fp16_overflow 0
		.amdhsa_workgroup_processor_mode 1
		.amdhsa_memory_ordered 1
		.amdhsa_forward_progress 0
		.amdhsa_shared_vgpr_count 0
		.amdhsa_exception_fp_ieee_invalid_op 0
		.amdhsa_exception_fp_denorm_src 0
		.amdhsa_exception_fp_ieee_div_zero 0
		.amdhsa_exception_fp_ieee_overflow 0
		.amdhsa_exception_fp_ieee_underflow 0
		.amdhsa_exception_fp_ieee_inexact 0
		.amdhsa_exception_int_div_zero 0
	.end_amdhsa_kernel
	.section	.text._ZN7rocprim17ROCPRIM_400000_NS6detail17trampoline_kernelINS0_14default_configENS1_29reduce_by_key_config_selectorIttN6thrust23THRUST_200600_302600_NS4plusItEEEEZZNS1_33reduce_by_key_impl_wrapped_configILNS1_25lookback_scan_determinismE0ES3_S9_NS6_6detail15normal_iteratorINS6_10device_ptrItEEEESG_SG_SG_PmS8_NS6_8equal_toItEEEE10hipError_tPvRmT2_T3_mT4_T5_T6_T7_T8_P12ihipStream_tbENKUlT_T0_E_clISt17integral_constantIbLb0EES11_EEDaSW_SX_EUlSW_E_NS1_11comp_targetILNS1_3genE2ELNS1_11target_archE906ELNS1_3gpuE6ELNS1_3repE0EEENS1_30default_config_static_selectorELNS0_4arch9wavefront6targetE0EEEvT1_,"axG",@progbits,_ZN7rocprim17ROCPRIM_400000_NS6detail17trampoline_kernelINS0_14default_configENS1_29reduce_by_key_config_selectorIttN6thrust23THRUST_200600_302600_NS4plusItEEEEZZNS1_33reduce_by_key_impl_wrapped_configILNS1_25lookback_scan_determinismE0ES3_S9_NS6_6detail15normal_iteratorINS6_10device_ptrItEEEESG_SG_SG_PmS8_NS6_8equal_toItEEEE10hipError_tPvRmT2_T3_mT4_T5_T6_T7_T8_P12ihipStream_tbENKUlT_T0_E_clISt17integral_constantIbLb0EES11_EEDaSW_SX_EUlSW_E_NS1_11comp_targetILNS1_3genE2ELNS1_11target_archE906ELNS1_3gpuE6ELNS1_3repE0EEENS1_30default_config_static_selectorELNS0_4arch9wavefront6targetE0EEEvT1_,comdat
.Lfunc_end396:
	.size	_ZN7rocprim17ROCPRIM_400000_NS6detail17trampoline_kernelINS0_14default_configENS1_29reduce_by_key_config_selectorIttN6thrust23THRUST_200600_302600_NS4plusItEEEEZZNS1_33reduce_by_key_impl_wrapped_configILNS1_25lookback_scan_determinismE0ES3_S9_NS6_6detail15normal_iteratorINS6_10device_ptrItEEEESG_SG_SG_PmS8_NS6_8equal_toItEEEE10hipError_tPvRmT2_T3_mT4_T5_T6_T7_T8_P12ihipStream_tbENKUlT_T0_E_clISt17integral_constantIbLb0EES11_EEDaSW_SX_EUlSW_E_NS1_11comp_targetILNS1_3genE2ELNS1_11target_archE906ELNS1_3gpuE6ELNS1_3repE0EEENS1_30default_config_static_selectorELNS0_4arch9wavefront6targetE0EEEvT1_, .Lfunc_end396-_ZN7rocprim17ROCPRIM_400000_NS6detail17trampoline_kernelINS0_14default_configENS1_29reduce_by_key_config_selectorIttN6thrust23THRUST_200600_302600_NS4plusItEEEEZZNS1_33reduce_by_key_impl_wrapped_configILNS1_25lookback_scan_determinismE0ES3_S9_NS6_6detail15normal_iteratorINS6_10device_ptrItEEEESG_SG_SG_PmS8_NS6_8equal_toItEEEE10hipError_tPvRmT2_T3_mT4_T5_T6_T7_T8_P12ihipStream_tbENKUlT_T0_E_clISt17integral_constantIbLb0EES11_EEDaSW_SX_EUlSW_E_NS1_11comp_targetILNS1_3genE2ELNS1_11target_archE906ELNS1_3gpuE6ELNS1_3repE0EEENS1_30default_config_static_selectorELNS0_4arch9wavefront6targetE0EEEvT1_
                                        ; -- End function
	.section	.AMDGPU.csdata,"",@progbits
; Kernel info:
; codeLenInByte = 0
; NumSgprs: 0
; NumVgprs: 0
; ScratchSize: 0
; MemoryBound: 0
; FloatMode: 240
; IeeeMode: 1
; LDSByteSize: 0 bytes/workgroup (compile time only)
; SGPRBlocks: 0
; VGPRBlocks: 0
; NumSGPRsForWavesPerEU: 1
; NumVGPRsForWavesPerEU: 1
; Occupancy: 16
; WaveLimiterHint : 0
; COMPUTE_PGM_RSRC2:SCRATCH_EN: 0
; COMPUTE_PGM_RSRC2:USER_SGPR: 15
; COMPUTE_PGM_RSRC2:TRAP_HANDLER: 0
; COMPUTE_PGM_RSRC2:TGID_X_EN: 1
; COMPUTE_PGM_RSRC2:TGID_Y_EN: 0
; COMPUTE_PGM_RSRC2:TGID_Z_EN: 0
; COMPUTE_PGM_RSRC2:TIDIG_COMP_CNT: 0
	.section	.text._ZN7rocprim17ROCPRIM_400000_NS6detail17trampoline_kernelINS0_14default_configENS1_29reduce_by_key_config_selectorIttN6thrust23THRUST_200600_302600_NS4plusItEEEEZZNS1_33reduce_by_key_impl_wrapped_configILNS1_25lookback_scan_determinismE0ES3_S9_NS6_6detail15normal_iteratorINS6_10device_ptrItEEEESG_SG_SG_PmS8_NS6_8equal_toItEEEE10hipError_tPvRmT2_T3_mT4_T5_T6_T7_T8_P12ihipStream_tbENKUlT_T0_E_clISt17integral_constantIbLb0EES11_EEDaSW_SX_EUlSW_E_NS1_11comp_targetILNS1_3genE10ELNS1_11target_archE1201ELNS1_3gpuE5ELNS1_3repE0EEENS1_30default_config_static_selectorELNS0_4arch9wavefront6targetE0EEEvT1_,"axG",@progbits,_ZN7rocprim17ROCPRIM_400000_NS6detail17trampoline_kernelINS0_14default_configENS1_29reduce_by_key_config_selectorIttN6thrust23THRUST_200600_302600_NS4plusItEEEEZZNS1_33reduce_by_key_impl_wrapped_configILNS1_25lookback_scan_determinismE0ES3_S9_NS6_6detail15normal_iteratorINS6_10device_ptrItEEEESG_SG_SG_PmS8_NS6_8equal_toItEEEE10hipError_tPvRmT2_T3_mT4_T5_T6_T7_T8_P12ihipStream_tbENKUlT_T0_E_clISt17integral_constantIbLb0EES11_EEDaSW_SX_EUlSW_E_NS1_11comp_targetILNS1_3genE10ELNS1_11target_archE1201ELNS1_3gpuE5ELNS1_3repE0EEENS1_30default_config_static_selectorELNS0_4arch9wavefront6targetE0EEEvT1_,comdat
	.protected	_ZN7rocprim17ROCPRIM_400000_NS6detail17trampoline_kernelINS0_14default_configENS1_29reduce_by_key_config_selectorIttN6thrust23THRUST_200600_302600_NS4plusItEEEEZZNS1_33reduce_by_key_impl_wrapped_configILNS1_25lookback_scan_determinismE0ES3_S9_NS6_6detail15normal_iteratorINS6_10device_ptrItEEEESG_SG_SG_PmS8_NS6_8equal_toItEEEE10hipError_tPvRmT2_T3_mT4_T5_T6_T7_T8_P12ihipStream_tbENKUlT_T0_E_clISt17integral_constantIbLb0EES11_EEDaSW_SX_EUlSW_E_NS1_11comp_targetILNS1_3genE10ELNS1_11target_archE1201ELNS1_3gpuE5ELNS1_3repE0EEENS1_30default_config_static_selectorELNS0_4arch9wavefront6targetE0EEEvT1_ ; -- Begin function _ZN7rocprim17ROCPRIM_400000_NS6detail17trampoline_kernelINS0_14default_configENS1_29reduce_by_key_config_selectorIttN6thrust23THRUST_200600_302600_NS4plusItEEEEZZNS1_33reduce_by_key_impl_wrapped_configILNS1_25lookback_scan_determinismE0ES3_S9_NS6_6detail15normal_iteratorINS6_10device_ptrItEEEESG_SG_SG_PmS8_NS6_8equal_toItEEEE10hipError_tPvRmT2_T3_mT4_T5_T6_T7_T8_P12ihipStream_tbENKUlT_T0_E_clISt17integral_constantIbLb0EES11_EEDaSW_SX_EUlSW_E_NS1_11comp_targetILNS1_3genE10ELNS1_11target_archE1201ELNS1_3gpuE5ELNS1_3repE0EEENS1_30default_config_static_selectorELNS0_4arch9wavefront6targetE0EEEvT1_
	.globl	_ZN7rocprim17ROCPRIM_400000_NS6detail17trampoline_kernelINS0_14default_configENS1_29reduce_by_key_config_selectorIttN6thrust23THRUST_200600_302600_NS4plusItEEEEZZNS1_33reduce_by_key_impl_wrapped_configILNS1_25lookback_scan_determinismE0ES3_S9_NS6_6detail15normal_iteratorINS6_10device_ptrItEEEESG_SG_SG_PmS8_NS6_8equal_toItEEEE10hipError_tPvRmT2_T3_mT4_T5_T6_T7_T8_P12ihipStream_tbENKUlT_T0_E_clISt17integral_constantIbLb0EES11_EEDaSW_SX_EUlSW_E_NS1_11comp_targetILNS1_3genE10ELNS1_11target_archE1201ELNS1_3gpuE5ELNS1_3repE0EEENS1_30default_config_static_selectorELNS0_4arch9wavefront6targetE0EEEvT1_
	.p2align	8
	.type	_ZN7rocprim17ROCPRIM_400000_NS6detail17trampoline_kernelINS0_14default_configENS1_29reduce_by_key_config_selectorIttN6thrust23THRUST_200600_302600_NS4plusItEEEEZZNS1_33reduce_by_key_impl_wrapped_configILNS1_25lookback_scan_determinismE0ES3_S9_NS6_6detail15normal_iteratorINS6_10device_ptrItEEEESG_SG_SG_PmS8_NS6_8equal_toItEEEE10hipError_tPvRmT2_T3_mT4_T5_T6_T7_T8_P12ihipStream_tbENKUlT_T0_E_clISt17integral_constantIbLb0EES11_EEDaSW_SX_EUlSW_E_NS1_11comp_targetILNS1_3genE10ELNS1_11target_archE1201ELNS1_3gpuE5ELNS1_3repE0EEENS1_30default_config_static_selectorELNS0_4arch9wavefront6targetE0EEEvT1_,@function
_ZN7rocprim17ROCPRIM_400000_NS6detail17trampoline_kernelINS0_14default_configENS1_29reduce_by_key_config_selectorIttN6thrust23THRUST_200600_302600_NS4plusItEEEEZZNS1_33reduce_by_key_impl_wrapped_configILNS1_25lookback_scan_determinismE0ES3_S9_NS6_6detail15normal_iteratorINS6_10device_ptrItEEEESG_SG_SG_PmS8_NS6_8equal_toItEEEE10hipError_tPvRmT2_T3_mT4_T5_T6_T7_T8_P12ihipStream_tbENKUlT_T0_E_clISt17integral_constantIbLb0EES11_EEDaSW_SX_EUlSW_E_NS1_11comp_targetILNS1_3genE10ELNS1_11target_archE1201ELNS1_3gpuE5ELNS1_3repE0EEENS1_30default_config_static_selectorELNS0_4arch9wavefront6targetE0EEEvT1_: ; @_ZN7rocprim17ROCPRIM_400000_NS6detail17trampoline_kernelINS0_14default_configENS1_29reduce_by_key_config_selectorIttN6thrust23THRUST_200600_302600_NS4plusItEEEEZZNS1_33reduce_by_key_impl_wrapped_configILNS1_25lookback_scan_determinismE0ES3_S9_NS6_6detail15normal_iteratorINS6_10device_ptrItEEEESG_SG_SG_PmS8_NS6_8equal_toItEEEE10hipError_tPvRmT2_T3_mT4_T5_T6_T7_T8_P12ihipStream_tbENKUlT_T0_E_clISt17integral_constantIbLb0EES11_EEDaSW_SX_EUlSW_E_NS1_11comp_targetILNS1_3genE10ELNS1_11target_archE1201ELNS1_3gpuE5ELNS1_3repE0EEENS1_30default_config_static_selectorELNS0_4arch9wavefront6targetE0EEEvT1_
; %bb.0:
	.section	.rodata,"a",@progbits
	.p2align	6, 0x0
	.amdhsa_kernel _ZN7rocprim17ROCPRIM_400000_NS6detail17trampoline_kernelINS0_14default_configENS1_29reduce_by_key_config_selectorIttN6thrust23THRUST_200600_302600_NS4plusItEEEEZZNS1_33reduce_by_key_impl_wrapped_configILNS1_25lookback_scan_determinismE0ES3_S9_NS6_6detail15normal_iteratorINS6_10device_ptrItEEEESG_SG_SG_PmS8_NS6_8equal_toItEEEE10hipError_tPvRmT2_T3_mT4_T5_T6_T7_T8_P12ihipStream_tbENKUlT_T0_E_clISt17integral_constantIbLb0EES11_EEDaSW_SX_EUlSW_E_NS1_11comp_targetILNS1_3genE10ELNS1_11target_archE1201ELNS1_3gpuE5ELNS1_3repE0EEENS1_30default_config_static_selectorELNS0_4arch9wavefront6targetE0EEEvT1_
		.amdhsa_group_segment_fixed_size 0
		.amdhsa_private_segment_fixed_size 0
		.amdhsa_kernarg_size 120
		.amdhsa_user_sgpr_count 15
		.amdhsa_user_sgpr_dispatch_ptr 0
		.amdhsa_user_sgpr_queue_ptr 0
		.amdhsa_user_sgpr_kernarg_segment_ptr 1
		.amdhsa_user_sgpr_dispatch_id 0
		.amdhsa_user_sgpr_private_segment_size 0
		.amdhsa_wavefront_size32 1
		.amdhsa_uses_dynamic_stack 0
		.amdhsa_enable_private_segment 0
		.amdhsa_system_sgpr_workgroup_id_x 1
		.amdhsa_system_sgpr_workgroup_id_y 0
		.amdhsa_system_sgpr_workgroup_id_z 0
		.amdhsa_system_sgpr_workgroup_info 0
		.amdhsa_system_vgpr_workitem_id 0
		.amdhsa_next_free_vgpr 1
		.amdhsa_next_free_sgpr 1
		.amdhsa_reserve_vcc 0
		.amdhsa_float_round_mode_32 0
		.amdhsa_float_round_mode_16_64 0
		.amdhsa_float_denorm_mode_32 3
		.amdhsa_float_denorm_mode_16_64 3
		.amdhsa_dx10_clamp 1
		.amdhsa_ieee_mode 1
		.amdhsa_fp16_overflow 0
		.amdhsa_workgroup_processor_mode 1
		.amdhsa_memory_ordered 1
		.amdhsa_forward_progress 0
		.amdhsa_shared_vgpr_count 0
		.amdhsa_exception_fp_ieee_invalid_op 0
		.amdhsa_exception_fp_denorm_src 0
		.amdhsa_exception_fp_ieee_div_zero 0
		.amdhsa_exception_fp_ieee_overflow 0
		.amdhsa_exception_fp_ieee_underflow 0
		.amdhsa_exception_fp_ieee_inexact 0
		.amdhsa_exception_int_div_zero 0
	.end_amdhsa_kernel
	.section	.text._ZN7rocprim17ROCPRIM_400000_NS6detail17trampoline_kernelINS0_14default_configENS1_29reduce_by_key_config_selectorIttN6thrust23THRUST_200600_302600_NS4plusItEEEEZZNS1_33reduce_by_key_impl_wrapped_configILNS1_25lookback_scan_determinismE0ES3_S9_NS6_6detail15normal_iteratorINS6_10device_ptrItEEEESG_SG_SG_PmS8_NS6_8equal_toItEEEE10hipError_tPvRmT2_T3_mT4_T5_T6_T7_T8_P12ihipStream_tbENKUlT_T0_E_clISt17integral_constantIbLb0EES11_EEDaSW_SX_EUlSW_E_NS1_11comp_targetILNS1_3genE10ELNS1_11target_archE1201ELNS1_3gpuE5ELNS1_3repE0EEENS1_30default_config_static_selectorELNS0_4arch9wavefront6targetE0EEEvT1_,"axG",@progbits,_ZN7rocprim17ROCPRIM_400000_NS6detail17trampoline_kernelINS0_14default_configENS1_29reduce_by_key_config_selectorIttN6thrust23THRUST_200600_302600_NS4plusItEEEEZZNS1_33reduce_by_key_impl_wrapped_configILNS1_25lookback_scan_determinismE0ES3_S9_NS6_6detail15normal_iteratorINS6_10device_ptrItEEEESG_SG_SG_PmS8_NS6_8equal_toItEEEE10hipError_tPvRmT2_T3_mT4_T5_T6_T7_T8_P12ihipStream_tbENKUlT_T0_E_clISt17integral_constantIbLb0EES11_EEDaSW_SX_EUlSW_E_NS1_11comp_targetILNS1_3genE10ELNS1_11target_archE1201ELNS1_3gpuE5ELNS1_3repE0EEENS1_30default_config_static_selectorELNS0_4arch9wavefront6targetE0EEEvT1_,comdat
.Lfunc_end397:
	.size	_ZN7rocprim17ROCPRIM_400000_NS6detail17trampoline_kernelINS0_14default_configENS1_29reduce_by_key_config_selectorIttN6thrust23THRUST_200600_302600_NS4plusItEEEEZZNS1_33reduce_by_key_impl_wrapped_configILNS1_25lookback_scan_determinismE0ES3_S9_NS6_6detail15normal_iteratorINS6_10device_ptrItEEEESG_SG_SG_PmS8_NS6_8equal_toItEEEE10hipError_tPvRmT2_T3_mT4_T5_T6_T7_T8_P12ihipStream_tbENKUlT_T0_E_clISt17integral_constantIbLb0EES11_EEDaSW_SX_EUlSW_E_NS1_11comp_targetILNS1_3genE10ELNS1_11target_archE1201ELNS1_3gpuE5ELNS1_3repE0EEENS1_30default_config_static_selectorELNS0_4arch9wavefront6targetE0EEEvT1_, .Lfunc_end397-_ZN7rocprim17ROCPRIM_400000_NS6detail17trampoline_kernelINS0_14default_configENS1_29reduce_by_key_config_selectorIttN6thrust23THRUST_200600_302600_NS4plusItEEEEZZNS1_33reduce_by_key_impl_wrapped_configILNS1_25lookback_scan_determinismE0ES3_S9_NS6_6detail15normal_iteratorINS6_10device_ptrItEEEESG_SG_SG_PmS8_NS6_8equal_toItEEEE10hipError_tPvRmT2_T3_mT4_T5_T6_T7_T8_P12ihipStream_tbENKUlT_T0_E_clISt17integral_constantIbLb0EES11_EEDaSW_SX_EUlSW_E_NS1_11comp_targetILNS1_3genE10ELNS1_11target_archE1201ELNS1_3gpuE5ELNS1_3repE0EEENS1_30default_config_static_selectorELNS0_4arch9wavefront6targetE0EEEvT1_
                                        ; -- End function
	.section	.AMDGPU.csdata,"",@progbits
; Kernel info:
; codeLenInByte = 0
; NumSgprs: 0
; NumVgprs: 0
; ScratchSize: 0
; MemoryBound: 0
; FloatMode: 240
; IeeeMode: 1
; LDSByteSize: 0 bytes/workgroup (compile time only)
; SGPRBlocks: 0
; VGPRBlocks: 0
; NumSGPRsForWavesPerEU: 1
; NumVGPRsForWavesPerEU: 1
; Occupancy: 16
; WaveLimiterHint : 0
; COMPUTE_PGM_RSRC2:SCRATCH_EN: 0
; COMPUTE_PGM_RSRC2:USER_SGPR: 15
; COMPUTE_PGM_RSRC2:TRAP_HANDLER: 0
; COMPUTE_PGM_RSRC2:TGID_X_EN: 1
; COMPUTE_PGM_RSRC2:TGID_Y_EN: 0
; COMPUTE_PGM_RSRC2:TGID_Z_EN: 0
; COMPUTE_PGM_RSRC2:TIDIG_COMP_CNT: 0
	.section	.text._ZN7rocprim17ROCPRIM_400000_NS6detail17trampoline_kernelINS0_14default_configENS1_29reduce_by_key_config_selectorIttN6thrust23THRUST_200600_302600_NS4plusItEEEEZZNS1_33reduce_by_key_impl_wrapped_configILNS1_25lookback_scan_determinismE0ES3_S9_NS6_6detail15normal_iteratorINS6_10device_ptrItEEEESG_SG_SG_PmS8_NS6_8equal_toItEEEE10hipError_tPvRmT2_T3_mT4_T5_T6_T7_T8_P12ihipStream_tbENKUlT_T0_E_clISt17integral_constantIbLb0EES11_EEDaSW_SX_EUlSW_E_NS1_11comp_targetILNS1_3genE10ELNS1_11target_archE1200ELNS1_3gpuE4ELNS1_3repE0EEENS1_30default_config_static_selectorELNS0_4arch9wavefront6targetE0EEEvT1_,"axG",@progbits,_ZN7rocprim17ROCPRIM_400000_NS6detail17trampoline_kernelINS0_14default_configENS1_29reduce_by_key_config_selectorIttN6thrust23THRUST_200600_302600_NS4plusItEEEEZZNS1_33reduce_by_key_impl_wrapped_configILNS1_25lookback_scan_determinismE0ES3_S9_NS6_6detail15normal_iteratorINS6_10device_ptrItEEEESG_SG_SG_PmS8_NS6_8equal_toItEEEE10hipError_tPvRmT2_T3_mT4_T5_T6_T7_T8_P12ihipStream_tbENKUlT_T0_E_clISt17integral_constantIbLb0EES11_EEDaSW_SX_EUlSW_E_NS1_11comp_targetILNS1_3genE10ELNS1_11target_archE1200ELNS1_3gpuE4ELNS1_3repE0EEENS1_30default_config_static_selectorELNS0_4arch9wavefront6targetE0EEEvT1_,comdat
	.protected	_ZN7rocprim17ROCPRIM_400000_NS6detail17trampoline_kernelINS0_14default_configENS1_29reduce_by_key_config_selectorIttN6thrust23THRUST_200600_302600_NS4plusItEEEEZZNS1_33reduce_by_key_impl_wrapped_configILNS1_25lookback_scan_determinismE0ES3_S9_NS6_6detail15normal_iteratorINS6_10device_ptrItEEEESG_SG_SG_PmS8_NS6_8equal_toItEEEE10hipError_tPvRmT2_T3_mT4_T5_T6_T7_T8_P12ihipStream_tbENKUlT_T0_E_clISt17integral_constantIbLb0EES11_EEDaSW_SX_EUlSW_E_NS1_11comp_targetILNS1_3genE10ELNS1_11target_archE1200ELNS1_3gpuE4ELNS1_3repE0EEENS1_30default_config_static_selectorELNS0_4arch9wavefront6targetE0EEEvT1_ ; -- Begin function _ZN7rocprim17ROCPRIM_400000_NS6detail17trampoline_kernelINS0_14default_configENS1_29reduce_by_key_config_selectorIttN6thrust23THRUST_200600_302600_NS4plusItEEEEZZNS1_33reduce_by_key_impl_wrapped_configILNS1_25lookback_scan_determinismE0ES3_S9_NS6_6detail15normal_iteratorINS6_10device_ptrItEEEESG_SG_SG_PmS8_NS6_8equal_toItEEEE10hipError_tPvRmT2_T3_mT4_T5_T6_T7_T8_P12ihipStream_tbENKUlT_T0_E_clISt17integral_constantIbLb0EES11_EEDaSW_SX_EUlSW_E_NS1_11comp_targetILNS1_3genE10ELNS1_11target_archE1200ELNS1_3gpuE4ELNS1_3repE0EEENS1_30default_config_static_selectorELNS0_4arch9wavefront6targetE0EEEvT1_
	.globl	_ZN7rocprim17ROCPRIM_400000_NS6detail17trampoline_kernelINS0_14default_configENS1_29reduce_by_key_config_selectorIttN6thrust23THRUST_200600_302600_NS4plusItEEEEZZNS1_33reduce_by_key_impl_wrapped_configILNS1_25lookback_scan_determinismE0ES3_S9_NS6_6detail15normal_iteratorINS6_10device_ptrItEEEESG_SG_SG_PmS8_NS6_8equal_toItEEEE10hipError_tPvRmT2_T3_mT4_T5_T6_T7_T8_P12ihipStream_tbENKUlT_T0_E_clISt17integral_constantIbLb0EES11_EEDaSW_SX_EUlSW_E_NS1_11comp_targetILNS1_3genE10ELNS1_11target_archE1200ELNS1_3gpuE4ELNS1_3repE0EEENS1_30default_config_static_selectorELNS0_4arch9wavefront6targetE0EEEvT1_
	.p2align	8
	.type	_ZN7rocprim17ROCPRIM_400000_NS6detail17trampoline_kernelINS0_14default_configENS1_29reduce_by_key_config_selectorIttN6thrust23THRUST_200600_302600_NS4plusItEEEEZZNS1_33reduce_by_key_impl_wrapped_configILNS1_25lookback_scan_determinismE0ES3_S9_NS6_6detail15normal_iteratorINS6_10device_ptrItEEEESG_SG_SG_PmS8_NS6_8equal_toItEEEE10hipError_tPvRmT2_T3_mT4_T5_T6_T7_T8_P12ihipStream_tbENKUlT_T0_E_clISt17integral_constantIbLb0EES11_EEDaSW_SX_EUlSW_E_NS1_11comp_targetILNS1_3genE10ELNS1_11target_archE1200ELNS1_3gpuE4ELNS1_3repE0EEENS1_30default_config_static_selectorELNS0_4arch9wavefront6targetE0EEEvT1_,@function
_ZN7rocprim17ROCPRIM_400000_NS6detail17trampoline_kernelINS0_14default_configENS1_29reduce_by_key_config_selectorIttN6thrust23THRUST_200600_302600_NS4plusItEEEEZZNS1_33reduce_by_key_impl_wrapped_configILNS1_25lookback_scan_determinismE0ES3_S9_NS6_6detail15normal_iteratorINS6_10device_ptrItEEEESG_SG_SG_PmS8_NS6_8equal_toItEEEE10hipError_tPvRmT2_T3_mT4_T5_T6_T7_T8_P12ihipStream_tbENKUlT_T0_E_clISt17integral_constantIbLb0EES11_EEDaSW_SX_EUlSW_E_NS1_11comp_targetILNS1_3genE10ELNS1_11target_archE1200ELNS1_3gpuE4ELNS1_3repE0EEENS1_30default_config_static_selectorELNS0_4arch9wavefront6targetE0EEEvT1_: ; @_ZN7rocprim17ROCPRIM_400000_NS6detail17trampoline_kernelINS0_14default_configENS1_29reduce_by_key_config_selectorIttN6thrust23THRUST_200600_302600_NS4plusItEEEEZZNS1_33reduce_by_key_impl_wrapped_configILNS1_25lookback_scan_determinismE0ES3_S9_NS6_6detail15normal_iteratorINS6_10device_ptrItEEEESG_SG_SG_PmS8_NS6_8equal_toItEEEE10hipError_tPvRmT2_T3_mT4_T5_T6_T7_T8_P12ihipStream_tbENKUlT_T0_E_clISt17integral_constantIbLb0EES11_EEDaSW_SX_EUlSW_E_NS1_11comp_targetILNS1_3genE10ELNS1_11target_archE1200ELNS1_3gpuE4ELNS1_3repE0EEENS1_30default_config_static_selectorELNS0_4arch9wavefront6targetE0EEEvT1_
; %bb.0:
	.section	.rodata,"a",@progbits
	.p2align	6, 0x0
	.amdhsa_kernel _ZN7rocprim17ROCPRIM_400000_NS6detail17trampoline_kernelINS0_14default_configENS1_29reduce_by_key_config_selectorIttN6thrust23THRUST_200600_302600_NS4plusItEEEEZZNS1_33reduce_by_key_impl_wrapped_configILNS1_25lookback_scan_determinismE0ES3_S9_NS6_6detail15normal_iteratorINS6_10device_ptrItEEEESG_SG_SG_PmS8_NS6_8equal_toItEEEE10hipError_tPvRmT2_T3_mT4_T5_T6_T7_T8_P12ihipStream_tbENKUlT_T0_E_clISt17integral_constantIbLb0EES11_EEDaSW_SX_EUlSW_E_NS1_11comp_targetILNS1_3genE10ELNS1_11target_archE1200ELNS1_3gpuE4ELNS1_3repE0EEENS1_30default_config_static_selectorELNS0_4arch9wavefront6targetE0EEEvT1_
		.amdhsa_group_segment_fixed_size 0
		.amdhsa_private_segment_fixed_size 0
		.amdhsa_kernarg_size 120
		.amdhsa_user_sgpr_count 15
		.amdhsa_user_sgpr_dispatch_ptr 0
		.amdhsa_user_sgpr_queue_ptr 0
		.amdhsa_user_sgpr_kernarg_segment_ptr 1
		.amdhsa_user_sgpr_dispatch_id 0
		.amdhsa_user_sgpr_private_segment_size 0
		.amdhsa_wavefront_size32 1
		.amdhsa_uses_dynamic_stack 0
		.amdhsa_enable_private_segment 0
		.amdhsa_system_sgpr_workgroup_id_x 1
		.amdhsa_system_sgpr_workgroup_id_y 0
		.amdhsa_system_sgpr_workgroup_id_z 0
		.amdhsa_system_sgpr_workgroup_info 0
		.amdhsa_system_vgpr_workitem_id 0
		.amdhsa_next_free_vgpr 1
		.amdhsa_next_free_sgpr 1
		.amdhsa_reserve_vcc 0
		.amdhsa_float_round_mode_32 0
		.amdhsa_float_round_mode_16_64 0
		.amdhsa_float_denorm_mode_32 3
		.amdhsa_float_denorm_mode_16_64 3
		.amdhsa_dx10_clamp 1
		.amdhsa_ieee_mode 1
		.amdhsa_fp16_overflow 0
		.amdhsa_workgroup_processor_mode 1
		.amdhsa_memory_ordered 1
		.amdhsa_forward_progress 0
		.amdhsa_shared_vgpr_count 0
		.amdhsa_exception_fp_ieee_invalid_op 0
		.amdhsa_exception_fp_denorm_src 0
		.amdhsa_exception_fp_ieee_div_zero 0
		.amdhsa_exception_fp_ieee_overflow 0
		.amdhsa_exception_fp_ieee_underflow 0
		.amdhsa_exception_fp_ieee_inexact 0
		.amdhsa_exception_int_div_zero 0
	.end_amdhsa_kernel
	.section	.text._ZN7rocprim17ROCPRIM_400000_NS6detail17trampoline_kernelINS0_14default_configENS1_29reduce_by_key_config_selectorIttN6thrust23THRUST_200600_302600_NS4plusItEEEEZZNS1_33reduce_by_key_impl_wrapped_configILNS1_25lookback_scan_determinismE0ES3_S9_NS6_6detail15normal_iteratorINS6_10device_ptrItEEEESG_SG_SG_PmS8_NS6_8equal_toItEEEE10hipError_tPvRmT2_T3_mT4_T5_T6_T7_T8_P12ihipStream_tbENKUlT_T0_E_clISt17integral_constantIbLb0EES11_EEDaSW_SX_EUlSW_E_NS1_11comp_targetILNS1_3genE10ELNS1_11target_archE1200ELNS1_3gpuE4ELNS1_3repE0EEENS1_30default_config_static_selectorELNS0_4arch9wavefront6targetE0EEEvT1_,"axG",@progbits,_ZN7rocprim17ROCPRIM_400000_NS6detail17trampoline_kernelINS0_14default_configENS1_29reduce_by_key_config_selectorIttN6thrust23THRUST_200600_302600_NS4plusItEEEEZZNS1_33reduce_by_key_impl_wrapped_configILNS1_25lookback_scan_determinismE0ES3_S9_NS6_6detail15normal_iteratorINS6_10device_ptrItEEEESG_SG_SG_PmS8_NS6_8equal_toItEEEE10hipError_tPvRmT2_T3_mT4_T5_T6_T7_T8_P12ihipStream_tbENKUlT_T0_E_clISt17integral_constantIbLb0EES11_EEDaSW_SX_EUlSW_E_NS1_11comp_targetILNS1_3genE10ELNS1_11target_archE1200ELNS1_3gpuE4ELNS1_3repE0EEENS1_30default_config_static_selectorELNS0_4arch9wavefront6targetE0EEEvT1_,comdat
.Lfunc_end398:
	.size	_ZN7rocprim17ROCPRIM_400000_NS6detail17trampoline_kernelINS0_14default_configENS1_29reduce_by_key_config_selectorIttN6thrust23THRUST_200600_302600_NS4plusItEEEEZZNS1_33reduce_by_key_impl_wrapped_configILNS1_25lookback_scan_determinismE0ES3_S9_NS6_6detail15normal_iteratorINS6_10device_ptrItEEEESG_SG_SG_PmS8_NS6_8equal_toItEEEE10hipError_tPvRmT2_T3_mT4_T5_T6_T7_T8_P12ihipStream_tbENKUlT_T0_E_clISt17integral_constantIbLb0EES11_EEDaSW_SX_EUlSW_E_NS1_11comp_targetILNS1_3genE10ELNS1_11target_archE1200ELNS1_3gpuE4ELNS1_3repE0EEENS1_30default_config_static_selectorELNS0_4arch9wavefront6targetE0EEEvT1_, .Lfunc_end398-_ZN7rocprim17ROCPRIM_400000_NS6detail17trampoline_kernelINS0_14default_configENS1_29reduce_by_key_config_selectorIttN6thrust23THRUST_200600_302600_NS4plusItEEEEZZNS1_33reduce_by_key_impl_wrapped_configILNS1_25lookback_scan_determinismE0ES3_S9_NS6_6detail15normal_iteratorINS6_10device_ptrItEEEESG_SG_SG_PmS8_NS6_8equal_toItEEEE10hipError_tPvRmT2_T3_mT4_T5_T6_T7_T8_P12ihipStream_tbENKUlT_T0_E_clISt17integral_constantIbLb0EES11_EEDaSW_SX_EUlSW_E_NS1_11comp_targetILNS1_3genE10ELNS1_11target_archE1200ELNS1_3gpuE4ELNS1_3repE0EEENS1_30default_config_static_selectorELNS0_4arch9wavefront6targetE0EEEvT1_
                                        ; -- End function
	.section	.AMDGPU.csdata,"",@progbits
; Kernel info:
; codeLenInByte = 0
; NumSgprs: 0
; NumVgprs: 0
; ScratchSize: 0
; MemoryBound: 0
; FloatMode: 240
; IeeeMode: 1
; LDSByteSize: 0 bytes/workgroup (compile time only)
; SGPRBlocks: 0
; VGPRBlocks: 0
; NumSGPRsForWavesPerEU: 1
; NumVGPRsForWavesPerEU: 1
; Occupancy: 16
; WaveLimiterHint : 0
; COMPUTE_PGM_RSRC2:SCRATCH_EN: 0
; COMPUTE_PGM_RSRC2:USER_SGPR: 15
; COMPUTE_PGM_RSRC2:TRAP_HANDLER: 0
; COMPUTE_PGM_RSRC2:TGID_X_EN: 1
; COMPUTE_PGM_RSRC2:TGID_Y_EN: 0
; COMPUTE_PGM_RSRC2:TGID_Z_EN: 0
; COMPUTE_PGM_RSRC2:TIDIG_COMP_CNT: 0
	.section	.text._ZN7rocprim17ROCPRIM_400000_NS6detail17trampoline_kernelINS0_14default_configENS1_29reduce_by_key_config_selectorIttN6thrust23THRUST_200600_302600_NS4plusItEEEEZZNS1_33reduce_by_key_impl_wrapped_configILNS1_25lookback_scan_determinismE0ES3_S9_NS6_6detail15normal_iteratorINS6_10device_ptrItEEEESG_SG_SG_PmS8_NS6_8equal_toItEEEE10hipError_tPvRmT2_T3_mT4_T5_T6_T7_T8_P12ihipStream_tbENKUlT_T0_E_clISt17integral_constantIbLb0EES11_EEDaSW_SX_EUlSW_E_NS1_11comp_targetILNS1_3genE9ELNS1_11target_archE1100ELNS1_3gpuE3ELNS1_3repE0EEENS1_30default_config_static_selectorELNS0_4arch9wavefront6targetE0EEEvT1_,"axG",@progbits,_ZN7rocprim17ROCPRIM_400000_NS6detail17trampoline_kernelINS0_14default_configENS1_29reduce_by_key_config_selectorIttN6thrust23THRUST_200600_302600_NS4plusItEEEEZZNS1_33reduce_by_key_impl_wrapped_configILNS1_25lookback_scan_determinismE0ES3_S9_NS6_6detail15normal_iteratorINS6_10device_ptrItEEEESG_SG_SG_PmS8_NS6_8equal_toItEEEE10hipError_tPvRmT2_T3_mT4_T5_T6_T7_T8_P12ihipStream_tbENKUlT_T0_E_clISt17integral_constantIbLb0EES11_EEDaSW_SX_EUlSW_E_NS1_11comp_targetILNS1_3genE9ELNS1_11target_archE1100ELNS1_3gpuE3ELNS1_3repE0EEENS1_30default_config_static_selectorELNS0_4arch9wavefront6targetE0EEEvT1_,comdat
	.protected	_ZN7rocprim17ROCPRIM_400000_NS6detail17trampoline_kernelINS0_14default_configENS1_29reduce_by_key_config_selectorIttN6thrust23THRUST_200600_302600_NS4plusItEEEEZZNS1_33reduce_by_key_impl_wrapped_configILNS1_25lookback_scan_determinismE0ES3_S9_NS6_6detail15normal_iteratorINS6_10device_ptrItEEEESG_SG_SG_PmS8_NS6_8equal_toItEEEE10hipError_tPvRmT2_T3_mT4_T5_T6_T7_T8_P12ihipStream_tbENKUlT_T0_E_clISt17integral_constantIbLb0EES11_EEDaSW_SX_EUlSW_E_NS1_11comp_targetILNS1_3genE9ELNS1_11target_archE1100ELNS1_3gpuE3ELNS1_3repE0EEENS1_30default_config_static_selectorELNS0_4arch9wavefront6targetE0EEEvT1_ ; -- Begin function _ZN7rocprim17ROCPRIM_400000_NS6detail17trampoline_kernelINS0_14default_configENS1_29reduce_by_key_config_selectorIttN6thrust23THRUST_200600_302600_NS4plusItEEEEZZNS1_33reduce_by_key_impl_wrapped_configILNS1_25lookback_scan_determinismE0ES3_S9_NS6_6detail15normal_iteratorINS6_10device_ptrItEEEESG_SG_SG_PmS8_NS6_8equal_toItEEEE10hipError_tPvRmT2_T3_mT4_T5_T6_T7_T8_P12ihipStream_tbENKUlT_T0_E_clISt17integral_constantIbLb0EES11_EEDaSW_SX_EUlSW_E_NS1_11comp_targetILNS1_3genE9ELNS1_11target_archE1100ELNS1_3gpuE3ELNS1_3repE0EEENS1_30default_config_static_selectorELNS0_4arch9wavefront6targetE0EEEvT1_
	.globl	_ZN7rocprim17ROCPRIM_400000_NS6detail17trampoline_kernelINS0_14default_configENS1_29reduce_by_key_config_selectorIttN6thrust23THRUST_200600_302600_NS4plusItEEEEZZNS1_33reduce_by_key_impl_wrapped_configILNS1_25lookback_scan_determinismE0ES3_S9_NS6_6detail15normal_iteratorINS6_10device_ptrItEEEESG_SG_SG_PmS8_NS6_8equal_toItEEEE10hipError_tPvRmT2_T3_mT4_T5_T6_T7_T8_P12ihipStream_tbENKUlT_T0_E_clISt17integral_constantIbLb0EES11_EEDaSW_SX_EUlSW_E_NS1_11comp_targetILNS1_3genE9ELNS1_11target_archE1100ELNS1_3gpuE3ELNS1_3repE0EEENS1_30default_config_static_selectorELNS0_4arch9wavefront6targetE0EEEvT1_
	.p2align	8
	.type	_ZN7rocprim17ROCPRIM_400000_NS6detail17trampoline_kernelINS0_14default_configENS1_29reduce_by_key_config_selectorIttN6thrust23THRUST_200600_302600_NS4plusItEEEEZZNS1_33reduce_by_key_impl_wrapped_configILNS1_25lookback_scan_determinismE0ES3_S9_NS6_6detail15normal_iteratorINS6_10device_ptrItEEEESG_SG_SG_PmS8_NS6_8equal_toItEEEE10hipError_tPvRmT2_T3_mT4_T5_T6_T7_T8_P12ihipStream_tbENKUlT_T0_E_clISt17integral_constantIbLb0EES11_EEDaSW_SX_EUlSW_E_NS1_11comp_targetILNS1_3genE9ELNS1_11target_archE1100ELNS1_3gpuE3ELNS1_3repE0EEENS1_30default_config_static_selectorELNS0_4arch9wavefront6targetE0EEEvT1_,@function
_ZN7rocprim17ROCPRIM_400000_NS6detail17trampoline_kernelINS0_14default_configENS1_29reduce_by_key_config_selectorIttN6thrust23THRUST_200600_302600_NS4plusItEEEEZZNS1_33reduce_by_key_impl_wrapped_configILNS1_25lookback_scan_determinismE0ES3_S9_NS6_6detail15normal_iteratorINS6_10device_ptrItEEEESG_SG_SG_PmS8_NS6_8equal_toItEEEE10hipError_tPvRmT2_T3_mT4_T5_T6_T7_T8_P12ihipStream_tbENKUlT_T0_E_clISt17integral_constantIbLb0EES11_EEDaSW_SX_EUlSW_E_NS1_11comp_targetILNS1_3genE9ELNS1_11target_archE1100ELNS1_3gpuE3ELNS1_3repE0EEENS1_30default_config_static_selectorELNS0_4arch9wavefront6targetE0EEEvT1_: ; @_ZN7rocprim17ROCPRIM_400000_NS6detail17trampoline_kernelINS0_14default_configENS1_29reduce_by_key_config_selectorIttN6thrust23THRUST_200600_302600_NS4plusItEEEEZZNS1_33reduce_by_key_impl_wrapped_configILNS1_25lookback_scan_determinismE0ES3_S9_NS6_6detail15normal_iteratorINS6_10device_ptrItEEEESG_SG_SG_PmS8_NS6_8equal_toItEEEE10hipError_tPvRmT2_T3_mT4_T5_T6_T7_T8_P12ihipStream_tbENKUlT_T0_E_clISt17integral_constantIbLb0EES11_EEDaSW_SX_EUlSW_E_NS1_11comp_targetILNS1_3genE9ELNS1_11target_archE1100ELNS1_3gpuE3ELNS1_3repE0EEENS1_30default_config_static_selectorELNS0_4arch9wavefront6targetE0EEEvT1_
; %bb.0:
	s_clause 0x4
	s_load_b256 s[16:23], s[0:1], 0x0
	s_load_b256 s[24:31], s[0:1], 0x38
	s_load_b128 s[36:39], s[0:1], 0x20
	s_load_b64 s[34:35], s[0:1], 0x68
	s_load_b128 s[40:43], s[0:1], 0x58
	s_mov_b32 s3, 0
	s_mul_i32 s2, s15, 0xf00
	s_waitcnt lgkmcnt(0)
	s_lshl_b64 s[0:1], s[18:19], 1
	s_mul_i32 s4, s28, s27
	s_add_u32 s8, s16, s0
	s_mul_hi_u32 s5, s28, s26
	s_addc_u32 s9, s17, s1
	s_add_u32 s10, s20, s0
	s_mul_i32 s6, s29, s26
	s_addc_u32 s11, s21, s1
	s_add_i32 s4, s5, s4
	s_lshl_b64 s[0:1], s[2:3], 1
	s_add_i32 s4, s4, s6
	s_add_u32 s21, s8, s0
	s_addc_u32 s14, s9, s1
	s_mul_i32 s7, s28, s26
	s_add_u32 s20, s10, s0
	s_addc_u32 s29, s11, s1
	s_add_u32 s16, s7, s15
	s_addc_u32 s17, s4, 0
	s_add_u32 s0, s30, -1
	s_addc_u32 s1, s31, -1
	s_mul_i32 s19, s0, 0xfffff100
	s_cmp_eq_u64 s[16:17], s[0:1]
	s_cselect_b32 s18, -1, 0
	s_cmp_lg_u64 s[16:17], s[0:1]
	s_cselect_b32 s28, -1, 0
	s_and_b32 vcc_lo, exec_lo, s18
	s_cbranch_vccnz .LBB399_2
; %bb.1:
	v_lshlrev_b32_e32 v13, 1, v0
	s_delay_alu instid0(VALU_DEP_1) | instskip(NEXT) | instid1(VALU_DEP_1)
	v_add_co_u32 v1, s0, s21, v13
	v_add_co_ci_u32_e64 v2, null, s14, 0, s0
	v_add_co_u32 v6, s0, s20, v13
	s_delay_alu instid0(VALU_DEP_3) | instskip(NEXT) | instid1(VALU_DEP_3)
	v_add_co_u32 v3, vcc_lo, 0x1000, v1
	v_add_co_ci_u32_e32 v4, vcc_lo, 0, v2, vcc_lo
	s_clause 0xe
	flat_load_u16 v10, v[1:2]
	flat_load_u16 v11, v[1:2] offset:512
	flat_load_u16 v12, v[1:2] offset:1024
	flat_load_u16 v14, v[1:2] offset:1536
	flat_load_u16 v15, v[1:2] offset:2048
	flat_load_u16 v16, v[1:2] offset:2560
	flat_load_u16 v17, v[1:2] offset:3072
	flat_load_u16 v1, v[1:2] offset:3584
	flat_load_u16 v2, v[3:4]
	flat_load_u16 v18, v[3:4] offset:512
	flat_load_u16 v19, v[3:4] offset:1024
	;; [unrolled: 1-line block ×6, first 2 shown]
	v_add_co_ci_u32_e64 v7, null, s29, 0, s0
	v_mad_u32_u24 v5, v0, 28, v13
	v_add_co_u32 v8, vcc_lo, 0x1000, v6
	s_delay_alu instid0(VALU_DEP_3)
	v_add_co_ci_u32_e32 v9, vcc_lo, 0, v7, vcc_lo
	s_waitcnt vmcnt(14) lgkmcnt(14)
	ds_store_b16 v13, v10
	s_waitcnt vmcnt(13) lgkmcnt(14)
	ds_store_b16 v13, v11 offset:512
	s_waitcnt vmcnt(12) lgkmcnt(14)
	ds_store_b16 v13, v12 offset:1024
	;; [unrolled: 2-line block ×14, first 2 shown]
	s_waitcnt lgkmcnt(0)
	s_barrier
	buffer_gl0_inv
	ds_load_u16 v55, v5
	ds_load_b128 v[1:4], v5 offset:2
	ds_load_b96 v[10:12], v5 offset:18
	s_waitcnt lgkmcnt(0)
	s_barrier
	buffer_gl0_inv
	s_clause 0xe
	flat_load_u16 v14, v[6:7]
	flat_load_u16 v15, v[6:7] offset:512
	flat_load_u16 v16, v[6:7] offset:1024
	;; [unrolled: 1-line block ×7, first 2 shown]
	flat_load_u16 v21, v[8:9]
	flat_load_u16 v22, v[8:9] offset:512
	flat_load_u16 v23, v[8:9] offset:1024
	;; [unrolled: 1-line block ×6, first 2 shown]
	v_mul_u32_u24_e32 v6, 15, v0
	s_waitcnt vmcnt(14) lgkmcnt(14)
	ds_store_b16 v13, v14
	s_waitcnt vmcnt(13) lgkmcnt(14)
	ds_store_b16 v13, v15 offset:512
	s_waitcnt vmcnt(12) lgkmcnt(14)
	ds_store_b16 v13, v16 offset:1024
	;; [unrolled: 2-line block ×14, first 2 shown]
	s_waitcnt lgkmcnt(0)
	s_barrier
	s_and_not1_b32 vcc_lo, exec_lo, s3
	s_add_i32 s19, s19, s40
	s_cbranch_vccz .LBB399_3
	s_branch .LBB399_50
.LBB399_2:
                                        ; implicit-def: $vgpr1
                                        ; implicit-def: $vgpr10
                                        ; implicit-def: $vgpr6
                                        ; implicit-def: $vgpr5
                                        ; implicit-def: $vgpr55
	s_add_i32 s19, s19, s40
.LBB399_3:
	s_delay_alu instid0(SALU_CYCLE_1)
	v_cmp_gt_u32_e32 vcc_lo, s19, v0
                                        ; implicit-def: $vgpr1
	s_and_saveexec_b32 s0, vcc_lo
	s_cbranch_execz .LBB399_5
; %bb.4:
	v_lshlrev_b32_e32 v1, 1, v0
	s_delay_alu instid0(VALU_DEP_1) | instskip(NEXT) | instid1(VALU_DEP_1)
	v_add_co_u32 v1, s1, s21, v1
	v_add_co_ci_u32_e64 v2, null, s14, 0, s1
	flat_load_u16 v1, v[1:2]
.LBB399_5:
	s_or_b32 exec_lo, exec_lo, s0
	v_or_b32_e32 v2, 0x100, v0
	s_delay_alu instid0(VALU_DEP_1) | instskip(NEXT) | instid1(VALU_DEP_1)
	v_cmp_gt_u32_e64 s0, s19, v2
                                        ; implicit-def: $vgpr2
	s_and_saveexec_b32 s1, s0
	s_cbranch_execz .LBB399_7
; %bb.6:
	v_lshlrev_b32_e32 v2, 1, v0
	s_delay_alu instid0(VALU_DEP_1) | instskip(NEXT) | instid1(VALU_DEP_1)
	v_add_co_u32 v2, s2, s21, v2
	v_add_co_ci_u32_e64 v3, null, s14, 0, s2
	flat_load_u16 v2, v[2:3] offset:512
.LBB399_7:
	s_or_b32 exec_lo, exec_lo, s1
	v_or_b32_e32 v3, 0x200, v0
	s_delay_alu instid0(VALU_DEP_1) | instskip(NEXT) | instid1(VALU_DEP_1)
	v_cmp_gt_u32_e64 s1, s19, v3
                                        ; implicit-def: $vgpr3
	s_and_saveexec_b32 s2, s1
	s_cbranch_execz .LBB399_9
; %bb.8:
	v_lshlrev_b32_e32 v3, 1, v0
	s_delay_alu instid0(VALU_DEP_1) | instskip(NEXT) | instid1(VALU_DEP_1)
	v_add_co_u32 v3, s3, s21, v3
	v_add_co_ci_u32_e64 v4, null, s14, 0, s3
	flat_load_u16 v3, v[3:4] offset:1024
.LBB399_9:
	s_or_b32 exec_lo, exec_lo, s2
	v_or_b32_e32 v4, 0x300, v0
	s_delay_alu instid0(VALU_DEP_1) | instskip(NEXT) | instid1(VALU_DEP_1)
	v_cmp_gt_u32_e64 s2, s19, v4
                                        ; implicit-def: $vgpr4
	s_and_saveexec_b32 s3, s2
	s_cbranch_execz .LBB399_11
; %bb.10:
	v_lshlrev_b32_e32 v4, 1, v0
	s_delay_alu instid0(VALU_DEP_1) | instskip(NEXT) | instid1(VALU_DEP_1)
	v_add_co_u32 v4, s4, s21, v4
	v_add_co_ci_u32_e64 v5, null, s14, 0, s4
	flat_load_u16 v4, v[4:5] offset:1536
.LBB399_11:
	s_or_b32 exec_lo, exec_lo, s3
	v_or_b32_e32 v5, 0x400, v0
	s_delay_alu instid0(VALU_DEP_1) | instskip(NEXT) | instid1(VALU_DEP_1)
	v_cmp_gt_u32_e64 s3, s19, v5
                                        ; implicit-def: $vgpr5
	s_and_saveexec_b32 s4, s3
	s_cbranch_execz .LBB399_13
; %bb.12:
	v_lshlrev_b32_e32 v5, 1, v0
	s_delay_alu instid0(VALU_DEP_1) | instskip(NEXT) | instid1(VALU_DEP_1)
	v_add_co_u32 v5, s5, s21, v5
	v_add_co_ci_u32_e64 v6, null, s14, 0, s5
	flat_load_u16 v5, v[5:6] offset:2048
.LBB399_13:
	s_or_b32 exec_lo, exec_lo, s4
	v_or_b32_e32 v6, 0x500, v0
                                        ; implicit-def: $vgpr10
	s_delay_alu instid0(VALU_DEP_1) | instskip(NEXT) | instid1(VALU_DEP_1)
	v_cmp_gt_u32_e64 s4, s19, v6
	s_and_saveexec_b32 s5, s4
	s_cbranch_execz .LBB399_15
; %bb.14:
	v_lshlrev_b32_e32 v6, 1, v0
	s_delay_alu instid0(VALU_DEP_1) | instskip(NEXT) | instid1(VALU_DEP_1)
	v_add_co_u32 v6, s6, s21, v6
	v_add_co_ci_u32_e64 v7, null, s14, 0, s6
	flat_load_u16 v10, v[6:7] offset:2560
.LBB399_15:
	s_or_b32 exec_lo, exec_lo, s5
	v_or_b32_e32 v6, 0x600, v0
                                        ; implicit-def: $vgpr11
	s_delay_alu instid0(VALU_DEP_1) | instskip(NEXT) | instid1(VALU_DEP_1)
	v_cmp_gt_u32_e64 s5, s19, v6
	s_and_saveexec_b32 s6, s5
	s_cbranch_execz .LBB399_17
; %bb.16:
	v_lshlrev_b32_e32 v6, 1, v0
	s_delay_alu instid0(VALU_DEP_1) | instskip(NEXT) | instid1(VALU_DEP_1)
	v_add_co_u32 v6, s7, s21, v6
	v_add_co_ci_u32_e64 v7, null, s14, 0, s7
	flat_load_u16 v11, v[6:7] offset:3072
.LBB399_17:
	s_or_b32 exec_lo, exec_lo, s6
	v_or_b32_e32 v6, 0x700, v0
                                        ; implicit-def: $vgpr12
	s_delay_alu instid0(VALU_DEP_1) | instskip(NEXT) | instid1(VALU_DEP_1)
	v_cmp_gt_u32_e64 s6, s19, v6
	s_and_saveexec_b32 s7, s6
	s_cbranch_execz .LBB399_19
; %bb.18:
	v_lshlrev_b32_e32 v6, 1, v0
	s_delay_alu instid0(VALU_DEP_1) | instskip(NEXT) | instid1(VALU_DEP_1)
	v_add_co_u32 v6, s8, s21, v6
	v_add_co_ci_u32_e64 v7, null, s14, 0, s8
	flat_load_u16 v12, v[6:7] offset:3584
.LBB399_19:
	s_or_b32 exec_lo, exec_lo, s7
	v_or_b32_e32 v6, 0x800, v0
                                        ; implicit-def: $vgpr17
	s_delay_alu instid0(VALU_DEP_1) | instskip(SKIP_1) | instid1(VALU_DEP_2)
	v_cmp_gt_u32_e64 s7, s19, v6
	v_lshlrev_b32_e32 v6, 1, v6
	s_and_saveexec_b32 s8, s7
	s_cbranch_execz .LBB399_21
; %bb.20:
	s_delay_alu instid0(VALU_DEP_1) | instskip(NEXT) | instid1(VALU_DEP_1)
	v_add_co_u32 v7, s9, s21, v6
	v_add_co_ci_u32_e64 v8, null, s14, 0, s9
	flat_load_u16 v17, v[7:8]
.LBB399_21:
	s_or_b32 exec_lo, exec_lo, s8
	v_or_b32_e32 v7, 0x900, v0
                                        ; implicit-def: $vgpr18
	s_delay_alu instid0(VALU_DEP_1) | instskip(SKIP_1) | instid1(VALU_DEP_2)
	v_cmp_gt_u32_e64 s8, s19, v7
	v_lshlrev_b32_e32 v7, 1, v7
	s_and_saveexec_b32 s9, s8
	s_cbranch_execz .LBB399_23
; %bb.22:
	s_delay_alu instid0(VALU_DEP_1) | instskip(NEXT) | instid1(VALU_DEP_1)
	v_add_co_u32 v8, s10, s21, v7
	v_add_co_ci_u32_e64 v9, null, s14, 0, s10
	flat_load_u16 v18, v[8:9]
.LBB399_23:
	s_or_b32 exec_lo, exec_lo, s9
	v_or_b32_e32 v8, 0xa00, v0
                                        ; implicit-def: $vgpr19
	s_delay_alu instid0(VALU_DEP_1) | instskip(SKIP_1) | instid1(VALU_DEP_2)
	v_cmp_gt_u32_e64 s9, s19, v8
	v_lshlrev_b32_e32 v9, 1, v8
	s_and_saveexec_b32 s10, s9
	s_cbranch_execz .LBB399_25
; %bb.24:
	s_delay_alu instid0(VALU_DEP_1) | instskip(NEXT) | instid1(VALU_DEP_1)
	v_add_co_u32 v13, s11, s21, v9
	v_add_co_ci_u32_e64 v14, null, s14, 0, s11
	flat_load_u16 v19, v[13:14]
.LBB399_25:
	s_or_b32 exec_lo, exec_lo, s10
	v_or_b32_e32 v8, 0xb00, v0
                                        ; implicit-def: $vgpr20
	s_delay_alu instid0(VALU_DEP_1) | instskip(SKIP_1) | instid1(VALU_DEP_2)
	v_cmp_gt_u32_e64 s10, s19, v8
	v_lshlrev_b32_e32 v13, 1, v8
	s_and_saveexec_b32 s11, s10
	s_cbranch_execz .LBB399_27
; %bb.26:
	s_delay_alu instid0(VALU_DEP_1) | instskip(NEXT) | instid1(VALU_DEP_1)
	v_add_co_u32 v14, s12, s21, v13
	v_add_co_ci_u32_e64 v15, null, s14, 0, s12
	flat_load_u16 v20, v[14:15]
.LBB399_27:
	s_or_b32 exec_lo, exec_lo, s11
	v_or_b32_e32 v8, 0xc00, v0
                                        ; implicit-def: $vgpr21
	s_delay_alu instid0(VALU_DEP_1) | instskip(SKIP_1) | instid1(VALU_DEP_2)
	v_cmp_gt_u32_e64 s11, s19, v8
	v_lshlrev_b32_e32 v14, 1, v8
	s_and_saveexec_b32 s12, s11
	s_cbranch_execz .LBB399_29
; %bb.28:
	s_delay_alu instid0(VALU_DEP_1) | instskip(NEXT) | instid1(VALU_DEP_1)
	v_add_co_u32 v15, s13, s21, v14
	v_add_co_ci_u32_e64 v16, null, s14, 0, s13
	flat_load_u16 v21, v[15:16]
.LBB399_29:
	s_or_b32 exec_lo, exec_lo, s12
	v_or_b32_e32 v8, 0xd00, v0
                                        ; implicit-def: $vgpr22
	s_delay_alu instid0(VALU_DEP_1) | instskip(SKIP_1) | instid1(VALU_DEP_2)
	v_cmp_gt_u32_e64 s12, s19, v8
	v_lshlrev_b32_e32 v15, 1, v8
	s_and_saveexec_b32 s13, s12
	s_cbranch_execz .LBB399_31
; %bb.30:
	s_delay_alu instid0(VALU_DEP_1) | instskip(NEXT) | instid1(VALU_DEP_1)
	v_add_co_u32 v22, s30, s21, v15
	v_add_co_ci_u32_e64 v23, null, s14, 0, s30
	flat_load_u16 v22, v[22:23]
.LBB399_31:
	s_or_b32 exec_lo, exec_lo, s13
	v_or_b32_e32 v8, 0xe00, v0
                                        ; implicit-def: $vgpr23
	s_delay_alu instid0(VALU_DEP_1) | instskip(SKIP_1) | instid1(VALU_DEP_2)
	v_cmp_gt_u32_e64 s13, s19, v8
	v_lshlrev_b32_e32 v16, 1, v8
	s_and_saveexec_b32 s30, s13
	s_cbranch_execz .LBB399_33
; %bb.32:
	s_delay_alu instid0(VALU_DEP_1) | instskip(NEXT) | instid1(VALU_DEP_1)
	v_add_co_u32 v23, s31, s21, v16
	v_add_co_ci_u32_e64 v24, null, s14, 0, s31
	flat_load_u16 v23, v[23:24]
.LBB399_33:
	s_or_b32 exec_lo, exec_lo, s30
	v_lshlrev_b32_e32 v8, 1, v0
	s_waitcnt vmcnt(0) lgkmcnt(0)
	ds_store_b16 v8, v1
	ds_store_b16 v8, v2 offset:512
	ds_store_b16 v8, v3 offset:1024
	;; [unrolled: 1-line block ×7, first 2 shown]
	v_mad_u32_u24 v5, v0, 28, v8
	ds_store_b16 v8, v17 offset:4096
	ds_store_b16 v8, v18 offset:4608
	;; [unrolled: 1-line block ×7, first 2 shown]
	s_waitcnt lgkmcnt(0)
	s_barrier
	buffer_gl0_inv
	ds_load_u16 v55, v5
	ds_load_b128 v[1:4], v5 offset:2
	ds_load_b96 v[10:12], v5 offset:18
	s_waitcnt lgkmcnt(0)
	s_barrier
	buffer_gl0_inv
                                        ; implicit-def: $vgpr17
	s_and_saveexec_b32 s30, vcc_lo
	s_cbranch_execnz .LBB399_57
; %bb.34:
	s_or_b32 exec_lo, exec_lo, s30
                                        ; implicit-def: $vgpr18
	s_and_saveexec_b32 s30, s0
	s_cbranch_execnz .LBB399_58
.LBB399_35:
	s_or_b32 exec_lo, exec_lo, s30
                                        ; implicit-def: $vgpr19
	s_and_saveexec_b32 s0, s1
	s_cbranch_execnz .LBB399_59
.LBB399_36:
	s_or_b32 exec_lo, exec_lo, s0
                                        ; implicit-def: $vgpr20
	s_and_saveexec_b32 s0, s2
	s_cbranch_execnz .LBB399_60
.LBB399_37:
	s_or_b32 exec_lo, exec_lo, s0
                                        ; implicit-def: $vgpr21
	s_and_saveexec_b32 s0, s3
	s_cbranch_execnz .LBB399_61
.LBB399_38:
	s_or_b32 exec_lo, exec_lo, s0
                                        ; implicit-def: $vgpr22
	s_and_saveexec_b32 s0, s4
	s_cbranch_execnz .LBB399_62
.LBB399_39:
	s_or_b32 exec_lo, exec_lo, s0
                                        ; implicit-def: $vgpr23
	s_and_saveexec_b32 s0, s5
	s_cbranch_execnz .LBB399_63
.LBB399_40:
	s_or_b32 exec_lo, exec_lo, s0
                                        ; implicit-def: $vgpr24
	s_and_saveexec_b32 s0, s6
	s_cbranch_execnz .LBB399_64
.LBB399_41:
	s_or_b32 exec_lo, exec_lo, s0
                                        ; implicit-def: $vgpr25
	s_and_saveexec_b32 s0, s7
	s_cbranch_execnz .LBB399_65
.LBB399_42:
	s_or_b32 exec_lo, exec_lo, s0
                                        ; implicit-def: $vgpr26
	s_and_saveexec_b32 s0, s8
	s_cbranch_execnz .LBB399_66
.LBB399_43:
	s_or_b32 exec_lo, exec_lo, s0
                                        ; implicit-def: $vgpr7
	s_and_saveexec_b32 s0, s9
	s_cbranch_execnz .LBB399_67
.LBB399_44:
	s_or_b32 exec_lo, exec_lo, s0
                                        ; implicit-def: $vgpr9
	s_and_saveexec_b32 s0, s10
	s_cbranch_execnz .LBB399_68
.LBB399_45:
	s_or_b32 exec_lo, exec_lo, s0
                                        ; implicit-def: $vgpr13
	s_and_saveexec_b32 s0, s11
	s_cbranch_execnz .LBB399_69
.LBB399_46:
	s_or_b32 exec_lo, exec_lo, s0
                                        ; implicit-def: $vgpr14
	s_and_saveexec_b32 s0, s12
	s_cbranch_execnz .LBB399_70
.LBB399_47:
	s_or_b32 exec_lo, exec_lo, s0
                                        ; implicit-def: $vgpr15
	s_and_saveexec_b32 s0, s13
	s_cbranch_execz .LBB399_49
.LBB399_48:
	v_add_co_u32 v15, s1, s20, v16
	s_delay_alu instid0(VALU_DEP_1)
	v_add_co_ci_u32_e64 v16, null, s29, 0, s1
	flat_load_u16 v15, v[15:16]
.LBB399_49:
	s_or_b32 exec_lo, exec_lo, s0
	v_mul_u32_u24_e32 v6, 15, v0
	s_waitcnt vmcnt(0) lgkmcnt(0)
	ds_store_b16 v8, v17
	ds_store_b16 v8, v18 offset:512
	ds_store_b16 v8, v19 offset:1024
	;; [unrolled: 1-line block ×14, first 2 shown]
	s_waitcnt lgkmcnt(0)
	s_barrier
.LBB399_50:
	v_lshlrev_b32_e32 v6, 1, v6
	buffer_gl0_inv
	ds_load_u16 v74, v5
	ds_load_u16 v73, v5 offset:2
	ds_load_u16 v71, v5 offset:6
	;; [unrolled: 1-line block ×14, first 2 shown]
	s_cmp_eq_u64 s[16:17], 0
	s_waitcnt lgkmcnt(0)
	s_cselect_b32 s20, -1, 0
	s_cmp_lg_u64 s[16:17], 0
	s_barrier
	s_cselect_b32 s29, -1, 0
	s_and_b32 vcc_lo, exec_lo, s28
	buffer_gl0_inv
	s_cbranch_vccz .LBB399_56
; %bb.51:
	s_and_b32 vcc_lo, exec_lo, s29
	s_cbranch_vccz .LBB399_71
; %bb.52:
	v_add_co_u32 v5, s0, -2, s21
	s_delay_alu instid0(VALU_DEP_1)
	v_add_co_ci_u32_e64 v6, null, -1, s14, s0
	v_lshrrev_b32_e32 v7, 16, v12
	v_lshrrev_b32_e32 v8, 16, v11
	;; [unrolled: 1-line block ×3, first 2 shown]
	flat_load_u16 v5, v[5:6]
	v_lshlrev_b32_e32 v6, 1, v0
	v_cmp_ne_u16_e32 vcc_lo, v12, v7
	v_cmp_ne_u16_e64 s0, v8, v12
	v_cmp_ne_u16_e64 s1, v11, v8
	;; [unrolled: 1-line block ×3, first 2 shown]
	ds_store_b16 v6, v7
	v_lshrrev_b32_e32 v7, 16, v4
	v_cmp_ne_u16_e64 s3, v10, v9
	v_lshrrev_b32_e32 v8, 16, v3
	v_lshrrev_b32_e32 v9, 16, v2
	v_cmp_ne_u16_e64 s12, v55, v1
	v_cmp_ne_u16_e64 s4, v7, v10
	;; [unrolled: 1-line block ×3, first 2 shown]
	v_lshrrev_b32_e32 v7, 16, v1
	v_cmp_ne_u16_e64 s6, v8, v4
	v_cmp_ne_u16_e64 s7, v3, v8
	;; [unrolled: 1-line block ×6, first 2 shown]
	s_mov_b32 s28, -1
	s_mov_b32 s30, 0
	s_mov_b32 s31, exec_lo
	s_waitcnt vmcnt(0) lgkmcnt(0)
	s_barrier
	buffer_gl0_inv
	v_cmpx_ne_u32_e32 0, v0
	s_cbranch_execz .LBB399_54
; %bb.53:
	v_add_nc_u32_e32 v5, -2, v6
	ds_load_u16 v5, v5
.LBB399_54:
	s_or_b32 exec_lo, exec_lo, s31
	v_cndmask_b32_e64 v52, 0, 1, vcc_lo
	v_cndmask_b32_e64 v47, 0, 1, s0
	v_cndmask_b32_e64 v48, 0, 1, s1
	;; [unrolled: 1-line block ×13, first 2 shown]
	s_waitcnt lgkmcnt(0)
	v_cmp_ne_u16_e64 s0, v5, v55
	s_and_b32 vcc_lo, exec_lo, s30
	s_cbranch_vccnz .LBB399_72
.LBB399_55:
                                        ; implicit-def: $sgpr5
	s_branch .LBB399_83
.LBB399_56:
	s_mov_b32 s28, 0
                                        ; implicit-def: $sgpr0
                                        ; implicit-def: $vgpr52
                                        ; implicit-def: $vgpr47
                                        ; implicit-def: $vgpr48
                                        ; implicit-def: $vgpr49
                                        ; implicit-def: $vgpr50
                                        ; implicit-def: $vgpr51
                                        ; implicit-def: $vgpr53
                                        ; implicit-def: $vgpr54
                                        ; implicit-def: $vgpr56
                                        ; implicit-def: $vgpr57
                                        ; implicit-def: $vgpr58
                                        ; implicit-def: $vgpr59
                                        ; implicit-def: $vgpr60
                                        ; implicit-def: $vgpr61
                                        ; implicit-def: $sgpr5
	s_cbranch_execnz .LBB399_75
	s_branch .LBB399_83
.LBB399_57:
	v_add_co_u32 v17, s31, s20, v8
	s_delay_alu instid0(VALU_DEP_1)
	v_add_co_ci_u32_e64 v18, null, s29, 0, s31
	flat_load_u16 v17, v[17:18]
	s_or_b32 exec_lo, exec_lo, s30
                                        ; implicit-def: $vgpr18
	s_and_saveexec_b32 s30, s0
	s_cbranch_execz .LBB399_35
.LBB399_58:
	v_add_co_u32 v18, s0, s20, v8
	s_delay_alu instid0(VALU_DEP_1)
	v_add_co_ci_u32_e64 v19, null, s29, 0, s0
	flat_load_u16 v18, v[18:19] offset:512
	s_or_b32 exec_lo, exec_lo, s30
                                        ; implicit-def: $vgpr19
	s_and_saveexec_b32 s0, s1
	s_cbranch_execz .LBB399_36
.LBB399_59:
	v_add_co_u32 v19, s1, s20, v8
	s_delay_alu instid0(VALU_DEP_1)
	v_add_co_ci_u32_e64 v20, null, s29, 0, s1
	flat_load_u16 v19, v[19:20] offset:1024
	s_or_b32 exec_lo, exec_lo, s0
                                        ; implicit-def: $vgpr20
	s_and_saveexec_b32 s0, s2
	s_cbranch_execz .LBB399_37
.LBB399_60:
	v_add_co_u32 v20, s1, s20, v8
	s_delay_alu instid0(VALU_DEP_1)
	v_add_co_ci_u32_e64 v21, null, s29, 0, s1
	flat_load_u16 v20, v[20:21] offset:1536
	s_or_b32 exec_lo, exec_lo, s0
                                        ; implicit-def: $vgpr21
	s_and_saveexec_b32 s0, s3
	s_cbranch_execz .LBB399_38
.LBB399_61:
	v_add_co_u32 v21, s1, s20, v8
	s_delay_alu instid0(VALU_DEP_1)
	v_add_co_ci_u32_e64 v22, null, s29, 0, s1
	flat_load_u16 v21, v[21:22] offset:2048
	s_or_b32 exec_lo, exec_lo, s0
                                        ; implicit-def: $vgpr22
	s_and_saveexec_b32 s0, s4
	s_cbranch_execz .LBB399_39
.LBB399_62:
	v_add_co_u32 v22, s1, s20, v8
	s_delay_alu instid0(VALU_DEP_1)
	v_add_co_ci_u32_e64 v23, null, s29, 0, s1
	flat_load_u16 v22, v[22:23] offset:2560
	s_or_b32 exec_lo, exec_lo, s0
                                        ; implicit-def: $vgpr23
	s_and_saveexec_b32 s0, s5
	s_cbranch_execz .LBB399_40
.LBB399_63:
	v_add_co_u32 v23, s1, s20, v8
	s_delay_alu instid0(VALU_DEP_1)
	v_add_co_ci_u32_e64 v24, null, s29, 0, s1
	flat_load_u16 v23, v[23:24] offset:3072
	s_or_b32 exec_lo, exec_lo, s0
                                        ; implicit-def: $vgpr24
	s_and_saveexec_b32 s0, s6
	s_cbranch_execz .LBB399_41
.LBB399_64:
	v_add_co_u32 v24, s1, s20, v8
	s_delay_alu instid0(VALU_DEP_1)
	v_add_co_ci_u32_e64 v25, null, s29, 0, s1
	flat_load_u16 v24, v[24:25] offset:3584
	s_or_b32 exec_lo, exec_lo, s0
                                        ; implicit-def: $vgpr25
	s_and_saveexec_b32 s0, s7
	s_cbranch_execz .LBB399_42
.LBB399_65:
	v_add_co_u32 v25, s1, s20, v6
	s_delay_alu instid0(VALU_DEP_1)
	v_add_co_ci_u32_e64 v26, null, s29, 0, s1
	flat_load_u16 v25, v[25:26]
	s_or_b32 exec_lo, exec_lo, s0
                                        ; implicit-def: $vgpr26
	s_and_saveexec_b32 s0, s8
	s_cbranch_execz .LBB399_43
.LBB399_66:
	v_add_co_u32 v6, s1, s20, v7
	s_delay_alu instid0(VALU_DEP_1)
	v_add_co_ci_u32_e64 v7, null, s29, 0, s1
	flat_load_u16 v26, v[6:7]
	s_or_b32 exec_lo, exec_lo, s0
                                        ; implicit-def: $vgpr7
	s_and_saveexec_b32 s0, s9
	s_cbranch_execz .LBB399_44
.LBB399_67:
	v_add_co_u32 v6, s1, s20, v9
	s_delay_alu instid0(VALU_DEP_1)
	v_add_co_ci_u32_e64 v7, null, s29, 0, s1
	flat_load_u16 v7, v[6:7]
	s_or_b32 exec_lo, exec_lo, s0
                                        ; implicit-def: $vgpr9
	s_and_saveexec_b32 s0, s10
	s_cbranch_execz .LBB399_45
.LBB399_68:
	v_add_co_u32 v27, s1, s20, v13
	s_delay_alu instid0(VALU_DEP_1)
	v_add_co_ci_u32_e64 v28, null, s29, 0, s1
	flat_load_u16 v9, v[27:28]
	s_or_b32 exec_lo, exec_lo, s0
                                        ; implicit-def: $vgpr13
	s_and_saveexec_b32 s0, s11
	s_cbranch_execz .LBB399_46
.LBB399_69:
	v_add_co_u32 v13, s1, s20, v14
	s_delay_alu instid0(VALU_DEP_1)
	v_add_co_ci_u32_e64 v14, null, s29, 0, s1
	flat_load_u16 v13, v[13:14]
	s_or_b32 exec_lo, exec_lo, s0
                                        ; implicit-def: $vgpr14
	s_and_saveexec_b32 s0, s12
	s_cbranch_execz .LBB399_47
.LBB399_70:
	v_add_co_u32 v14, s1, s20, v15
	s_delay_alu instid0(VALU_DEP_1)
	v_add_co_ci_u32_e64 v15, null, s29, 0, s1
	flat_load_u16 v14, v[14:15]
	s_or_b32 exec_lo, exec_lo, s0
                                        ; implicit-def: $vgpr15
	s_and_saveexec_b32 s0, s13
	s_cbranch_execnz .LBB399_48
	s_branch .LBB399_49
.LBB399_71:
	s_mov_b32 s28, 0
                                        ; implicit-def: $sgpr0
                                        ; implicit-def: $vgpr52
                                        ; implicit-def: $vgpr47
                                        ; implicit-def: $vgpr48
                                        ; implicit-def: $vgpr49
                                        ; implicit-def: $vgpr50
                                        ; implicit-def: $vgpr51
                                        ; implicit-def: $vgpr53
                                        ; implicit-def: $vgpr54
                                        ; implicit-def: $vgpr56
                                        ; implicit-def: $vgpr57
                                        ; implicit-def: $vgpr58
                                        ; implicit-def: $vgpr59
                                        ; implicit-def: $vgpr60
                                        ; implicit-def: $vgpr61
	s_cbranch_execz .LBB399_55
.LBB399_72:
	v_lshrrev_b32_e32 v6, 16, v12
	v_lshrrev_b32_e32 v7, 16, v11
	;; [unrolled: 1-line block ×3, first 2 shown]
	v_lshlrev_b32_e32 v5, 1, v0
	s_mov_b32 s5, 1
	v_cmp_ne_u16_e32 vcc_lo, v12, v6
	s_mov_b32 s1, exec_lo
                                        ; implicit-def: $sgpr0
	ds_store_b16 v5, v6
	s_waitcnt lgkmcnt(0)
	v_cndmask_b32_e64 v52, 0, 1, vcc_lo
	v_cmp_ne_u16_e32 vcc_lo, v7, v12
	s_barrier
	buffer_gl0_inv
	v_cndmask_b32_e64 v47, 0, 1, vcc_lo
	v_cmp_ne_u16_e32 vcc_lo, v11, v7
	v_lshrrev_b32_e32 v7, 16, v4
	v_cndmask_b32_e64 v48, 0, 1, vcc_lo
	v_cmp_ne_u16_e32 vcc_lo, v8, v11
	v_cndmask_b32_e64 v49, 0, 1, vcc_lo
	v_cmp_ne_u16_e32 vcc_lo, v10, v8
	v_lshrrev_b32_e32 v8, 16, v3
	v_cndmask_b32_e64 v50, 0, 1, vcc_lo
	v_cmp_ne_u16_e32 vcc_lo, v7, v10
	;; [unrolled: 5-line block ×4, first 2 shown]
	v_cndmask_b32_e64 v57, 0, 1, vcc_lo
	v_cmp_ne_u16_e32 vcc_lo, v2, v7
	v_cndmask_b32_e64 v58, 0, 1, vcc_lo
	v_cmp_ne_u16_e32 vcc_lo, v8, v2
	;; [unrolled: 2-line block ×4, first 2 shown]
	v_cndmask_b32_e64 v61, 0, 1, vcc_lo
	v_cmpx_ne_u32_e32 0, v0
	s_xor_b32 s1, exec_lo, s1
	s_cbranch_execz .LBB399_74
; %bb.73:
	v_add_nc_u32_e32 v5, -2, v5
	s_or_b32 s28, s28, exec_lo
	ds_load_u16 v5, v5
	s_waitcnt lgkmcnt(0)
	v_cmp_ne_u16_e32 vcc_lo, v5, v55
	s_and_b32 s0, vcc_lo, exec_lo
.LBB399_74:
	s_or_b32 exec_lo, exec_lo, s1
	s_branch .LBB399_83
.LBB399_75:
	s_mul_hi_u32 s0, s16, 0xfffff100
	s_mul_i32 s1, s17, 0xfffff100
	s_sub_i32 s0, s0, s16
	s_mul_i32 s2, s16, 0xfffff100
	s_add_i32 s0, s0, s1
	s_add_u32 s12, s2, s40
	s_addc_u32 s13, s0, s41
	v_lshrrev_b32_e32 v9, 16, v12
	v_mad_u32_u24 v5, v0, 15, 14
	v_mad_u32_u24 v35, v0, 15, 13
	v_lshrrev_b32_e32 v44, 16, v11
	v_mad_u32_u24 v33, v0, 15, 12
	v_mad_u32_u24 v31, v0, 15, 11
	;; [unrolled: 3-line block ×7, first 2 shown]
	v_cmp_ne_u16_e64 s1, v55, v1
	v_cmp_ne_u32_e64 s0, 0, v0
	s_and_b32 vcc_lo, exec_lo, s29
	s_cbranch_vccz .LBB399_80
; %bb.76:
	v_add_co_u32 v36, s2, -2, s21
	s_delay_alu instid0(VALU_DEP_1)
	v_add_co_ci_u32_e64 v37, null, -1, s14, s2
	v_mov_b32_e32 v6, 0
	v_cmp_ne_u16_e64 s2, v12, v9
	v_cmp_ne_u16_e64 s4, v44, v12
	flat_load_u16 v60, v[36:37]
	v_cmp_ne_u16_e64 s6, v10, v43
	v_mov_b32_e32 v36, v6
	v_cmp_gt_u64_e32 vcc_lo, s[12:13], v[5:6]
	v_mov_b32_e32 v34, v6
	v_mov_b32_e32 v32, v6
	;; [unrolled: 1-line block ×3, first 2 shown]
	v_cmp_gt_u64_e64 s3, s[12:13], v[35:36]
	v_mov_b32_e32 v28, v6
	s_and_b32 s16, vcc_lo, s2
	v_cmp_gt_u64_e32 vcc_lo, s[12:13], v[33:34]
	v_cmp_gt_u64_e64 s5, s[12:13], v[29:30]
	v_cmp_ne_u16_e64 s2, v11, v44
	s_and_b32 s17, s3, s4
	v_cmp_gt_u64_e64 s3, s[12:13], v[31:32]
	v_cmp_ne_u16_e64 s4, v43, v11
	v_mov_b32_e32 v26, v6
	v_mov_b32_e32 v24, v6
	s_and_b32 s21, vcc_lo, s2
	s_and_b32 s30, s5, s6
	s_and_b32 s29, s3, s4
	v_cmp_gt_u64_e32 vcc_lo, s[12:13], v[27:28]
	v_cmp_gt_u64_e64 s3, s[12:13], v[25:26]
	v_cmp_gt_u64_e64 s5, s[12:13], v[23:24]
	v_cmp_ne_u16_e64 s2, v42, v10
	v_cmp_ne_u16_e64 s4, v4, v42
	;; [unrolled: 1-line block ×3, first 2 shown]
	v_mov_b32_e32 v22, v6
	v_mov_b32_e32 v20, v6
	;; [unrolled: 1-line block ×6, first 2 shown]
	s_and_b32 s31, vcc_lo, s2
	s_and_b32 s33, s3, s4
	s_and_b32 s40, s5, s6
	v_cmp_gt_u64_e32 vcc_lo, s[12:13], v[21:22]
	v_cmp_gt_u64_e64 s3, s[12:13], v[19:20]
	v_cmp_gt_u64_e64 s5, s[12:13], v[17:18]
	;; [unrolled: 1-line block ×5, first 2 shown]
	v_cmp_ne_u16_e64 s2, v3, v41
	v_cmp_ne_u16_e64 s4, v40, v3
	;; [unrolled: 1-line block ×5, first 2 shown]
	v_lshlrev_b32_e32 v38, 1, v0
	v_mul_u32_u24_e32 v37, 15, v0
	s_mov_b32 s28, -1
	s_mov_b32 s14, 0
	s_and_b32 s41, vcc_lo, s2
	s_and_b32 s3, s3, s4
	s_and_b32 s4, s5, s6
	;; [unrolled: 1-line block ×5, first 2 shown]
	ds_store_b16 v38, v9
	s_waitcnt vmcnt(0) lgkmcnt(0)
	s_barrier
	buffer_gl0_inv
	s_and_saveexec_b32 s6, s0
	s_cbranch_execz .LBB399_78
; %bb.77:
	v_add_nc_u32_e32 v8, -2, v38
	ds_load_u16 v60, v8
.LBB399_78:
	s_or_b32 exec_lo, exec_lo, s6
	v_mov_b32_e32 v38, v6
	s_waitcnt lgkmcnt(0)
	v_cmp_ne_u16_e64 s0, v60, v55
	v_cndmask_b32_e64 v52, 0, 1, s16
	v_cndmask_b32_e64 v47, 0, 1, s17
	v_cndmask_b32_e64 v48, 0, 1, s21
	v_cmp_gt_u64_e32 vcc_lo, s[12:13], v[37:38]
	v_cndmask_b32_e64 v49, 0, 1, s29
	v_cndmask_b32_e64 v50, 0, 1, s30
	;; [unrolled: 1-line block ×11, first 2 shown]
	s_and_b32 s0, vcc_lo, s0
	s_and_b32 vcc_lo, exec_lo, s14
	s_cbranch_vccnz .LBB399_81
.LBB399_79:
                                        ; implicit-def: $sgpr5
	v_mov_b32_e32 v63, s5
	s_and_saveexec_b32 s1, s28
	s_cbranch_execnz .LBB399_84
	s_branch .LBB399_85
.LBB399_80:
                                        ; implicit-def: $sgpr0
                                        ; implicit-def: $vgpr52
                                        ; implicit-def: $vgpr47
                                        ; implicit-def: $vgpr48
                                        ; implicit-def: $vgpr49
                                        ; implicit-def: $vgpr50
                                        ; implicit-def: $vgpr51
                                        ; implicit-def: $vgpr53
                                        ; implicit-def: $vgpr54
                                        ; implicit-def: $vgpr56
                                        ; implicit-def: $vgpr57
                                        ; implicit-def: $vgpr58
                                        ; implicit-def: $vgpr59
                                        ; implicit-def: $vgpr60
                                        ; implicit-def: $vgpr61
	s_cbranch_execz .LBB399_79
.LBB399_81:
	v_dual_mov_b32 v6, 0 :: v_dual_lshlrev_b32 v37, 1, v0
	v_cmp_ne_u16_e32 vcc_lo, v12, v9
	v_cmp_ne_u16_e64 s2, v11, v44
	v_cmp_ne_u16_e64 s0, v44, v12
	s_delay_alu instid0(VALU_DEP_4)
	v_mov_b32_e32 v34, v6
	v_mov_b32_e32 v36, v6
	v_cmp_gt_u64_e64 s1, s[12:13], v[5:6]
	v_mov_b32_e32 v30, v6
	v_mov_b32_e32 v32, v6
	v_cmp_gt_u64_e64 s4, s[12:13], v[33:34]
	v_cmp_gt_u64_e64 s3, s[12:13], v[35:36]
	v_mov_b32_e32 v28, v6
	s_and_b32 s1, s1, vcc_lo
	v_cmp_gt_u64_e32 vcc_lo, s[12:13], v[31:32]
	v_cndmask_b32_e64 v52, 0, 1, s1
	s_and_b32 s1, s4, s2
	s_and_b32 s0, s3, s0
	v_cndmask_b32_e64 v48, 0, 1, s1
	v_cmp_gt_u64_e64 s1, s[12:13], v[29:30]
	v_cmp_ne_u16_e64 s2, v10, v43
	v_cndmask_b32_e64 v47, 0, 1, s0
	v_cmp_ne_u16_e64 s0, v43, v11
	v_mov_b32_e32 v26, v6
	v_mov_b32_e32 v24, v6
	s_and_b32 s1, s1, s2
	v_cmp_ne_u16_e64 s2, v4, v42
	s_and_b32 s0, vcc_lo, s0
	v_cmp_gt_u64_e32 vcc_lo, s[12:13], v[27:28]
	v_cndmask_b32_e64 v50, 0, 1, s1
	v_cmp_gt_u64_e64 s1, s[12:13], v[25:26]
	v_cndmask_b32_e64 v49, 0, 1, s0
	v_cmp_ne_u16_e64 s0, v42, v10
	v_mov_b32_e32 v22, v6
	v_mov_b32_e32 v20, v6
	;; [unrolled: 1-line block ×3, first 2 shown]
	s_and_b32 s1, s1, s2
	s_and_b32 s0, vcc_lo, s0
	v_cmp_gt_u64_e32 vcc_lo, s[12:13], v[23:24]
	v_cndmask_b32_e64 v51, 0, 1, s0
	v_cmp_ne_u16_e64 s0, v41, v4
	v_cndmask_b32_e64 v53, 0, 1, s1
	v_cmp_gt_u64_e64 s1, s[12:13], v[21:22]
	v_cmp_ne_u16_e64 s2, v3, v41
	v_mov_b32_e32 v16, v6
	s_and_b32 s0, vcc_lo, s0
	v_cmp_gt_u64_e32 vcc_lo, s[12:13], v[19:20]
	v_cndmask_b32_e64 v54, 0, 1, s0
	s_and_b32 s1, s1, s2
	v_cmp_ne_u16_e64 s0, v40, v3
	v_cndmask_b32_e64 v56, 0, 1, s1
	v_cmp_gt_u64_e64 s1, s[12:13], v[17:18]
	v_cmp_ne_u16_e64 s2, v2, v40
	v_mov_b32_e32 v14, v6
	s_and_b32 s0, vcc_lo, s0
	v_mov_b32_e32 v8, v6
	v_cndmask_b32_e64 v57, 0, 1, s0
	s_and_b32 s0, s1, s2
	v_cmp_gt_u64_e32 vcc_lo, s[12:13], v[15:16]
	v_cndmask_b32_e64 v58, 0, 1, s0
	v_cmp_ne_u16_e64 s0, v39, v2
	v_cmp_gt_u64_e64 s1, s[12:13], v[13:14]
	v_cmp_ne_u16_e64 s2, v1, v39
	v_cmp_gt_u64_e64 s3, s[12:13], v[7:8]
	v_cmp_ne_u16_e64 s4, v55, v1
	s_and_b32 s0, vcc_lo, s0
	s_mov_b32 s5, 1
	v_cndmask_b32_e64 v59, 0, 1, s0
	s_and_b32 s0, s1, s2
	s_mov_b32 s1, exec_lo
	v_cndmask_b32_e64 v60, 0, 1, s0
	s_and_b32 s0, s3, s4
	ds_store_b16 v37, v9
	v_cndmask_b32_e64 v61, 0, 1, s0
	s_waitcnt lgkmcnt(0)
	s_barrier
	buffer_gl0_inv
                                        ; implicit-def: $sgpr0
	v_cmpx_ne_u32_e32 0, v0
	s_cbranch_execz .LBB399_187
; %bb.82:
	v_add_nc_u32_e32 v5, -2, v37
	s_or_b32 s28, s28, exec_lo
	ds_load_u16 v7, v5
	v_mul_u32_u24_e32 v5, 15, v0
	s_delay_alu instid0(VALU_DEP_1) | instskip(SKIP_2) | instid1(VALU_DEP_1)
	v_cmp_gt_u64_e32 vcc_lo, s[12:13], v[5:6]
	s_waitcnt lgkmcnt(0)
	v_cmp_ne_u16_e64 s0, v7, v55
	s_and_b32 s0, vcc_lo, s0
	s_delay_alu instid0(SALU_CYCLE_1)
	s_and_b32 s0, s0, exec_lo
	s_or_b32 exec_lo, exec_lo, s1
.LBB399_83:
	v_mov_b32_e32 v63, s5
	s_and_saveexec_b32 s1, s28
.LBB399_84:
	v_cndmask_b32_e64 v63, 0, 1, s0
.LBB399_85:
	s_or_b32 exec_lo, exec_lo, s1
	s_delay_alu instid0(VALU_DEP_1)
	v_add3_u32 v5, v61, v63, v60
	v_cmp_eq_u32_e64 s12, 0, v61
	v_cmp_eq_u32_e64 s11, 0, v60
	;; [unrolled: 1-line block ×4, first 2 shown]
	v_add3_u32 v80, v5, v59, v58
	v_cmp_eq_u32_e64 s8, 0, v57
	v_cmp_eq_u32_e64 s7, 0, v56
	;; [unrolled: 1-line block ×9, first 2 shown]
	v_cmp_eq_u32_e32 vcc_lo, 0, v52
	v_mbcnt_lo_u32_b32 v77, -1, 0
	v_lshrrev_b32_e32 v78, 5, v0
	v_or_b32_e32 v79, 31, v0
	s_cmp_eq_u64 s[26:27], 0
	s_cselect_b32 s16, -1, 0
	s_cmp_lg_u32 s15, 0
	s_cbranch_scc0 .LBB399_111
; %bb.86:
	v_cndmask_b32_e64 v5, 0, v74, s12
	v_add3_u32 v6, v80, v57, v56
	v_and_b32_e32 v9, 15, v77
	s_delay_alu instid0(VALU_DEP_3) | instskip(NEXT) | instid1(VALU_DEP_3)
	v_add_nc_u16 v5, v5, v73
	v_add3_u32 v6, v6, v54, v53
	s_delay_alu instid0(VALU_DEP_2) | instskip(NEXT) | instid1(VALU_DEP_2)
	v_cndmask_b32_e64 v5, 0, v5, s11
	v_add3_u32 v6, v6, v51, v50
	s_delay_alu instid0(VALU_DEP_2) | instskip(NEXT) | instid1(VALU_DEP_2)
	v_add_nc_u16 v5, v5, v75
	v_add3_u32 v6, v6, v49, v48
	s_delay_alu instid0(VALU_DEP_2) | instskip(NEXT) | instid1(VALU_DEP_2)
	v_cndmask_b32_e64 v5, 0, v5, s10
	v_add3_u32 v6, v6, v47, v52
	s_delay_alu instid0(VALU_DEP_2) | instskip(NEXT) | instid1(VALU_DEP_2)
	v_add_nc_u16 v5, v5, v71
	v_mov_b32_dpp v13, v6 row_shr:1 row_mask:0xf bank_mask:0xf
	s_delay_alu instid0(VALU_DEP_2) | instskip(NEXT) | instid1(VALU_DEP_1)
	v_cndmask_b32_e64 v5, 0, v5, s9
	v_add_nc_u16 v5, v5, v72
	s_delay_alu instid0(VALU_DEP_1) | instskip(NEXT) | instid1(VALU_DEP_1)
	v_cndmask_b32_e64 v5, 0, v5, s8
	v_add_nc_u16 v5, v5, v69
	s_delay_alu instid0(VALU_DEP_1) | instskip(NEXT) | instid1(VALU_DEP_1)
	;; [unrolled: 3-line block ×9, first 2 shown]
	v_cndmask_b32_e64 v5, 0, v5, s0
	v_add_nc_u16 v5, v5, v45
	s_delay_alu instid0(VALU_DEP_1) | instskip(SKIP_1) | instid1(VALU_DEP_2)
	v_cndmask_b32_e32 v5, 0, v5, vcc_lo
	v_cmp_eq_u32_e32 vcc_lo, 0, v6
	v_add_nc_u16 v5, v5, v76
	s_delay_alu instid0(VALU_DEP_1) | instskip(NEXT) | instid1(VALU_DEP_1)
	v_and_b32_e32 v7, 0xffff, v5
	v_mov_b32_dpp v8, v7 row_shr:1 row_mask:0xf bank_mask:0xf
	s_delay_alu instid0(VALU_DEP_1) | instskip(SKIP_1) | instid1(VALU_DEP_2)
	v_cndmask_b32_e32 v8, 0, v8, vcc_lo
	v_cmp_eq_u32_e32 vcc_lo, 0, v9
	v_add_nc_u16 v8, v8, v5
	v_cndmask_b32_e64 v13, v13, 0, vcc_lo
	s_delay_alu instid0(VALU_DEP_2) | instskip(NEXT) | instid1(VALU_DEP_1)
	v_dual_cndmask_b32 v5, v8, v5 :: v_dual_and_b32 v14, 0xffff, v8
	v_dual_cndmask_b32 v7, v14, v7 :: v_dual_add_nc_u32 v6, v13, v6
	s_delay_alu instid0(VALU_DEP_1) | instskip(NEXT) | instid1(VALU_DEP_2)
	v_cmp_eq_u32_e32 vcc_lo, 0, v6
	v_mov_b32_dpp v13, v7 row_shr:2 row_mask:0xf bank_mask:0xf
	s_delay_alu instid0(VALU_DEP_1) | instskip(SKIP_2) | instid1(VALU_DEP_3)
	v_cndmask_b32_e32 v8, 0, v13, vcc_lo
	v_mov_b32_dpp v13, v6 row_shr:2 row_mask:0xf bank_mask:0xf
	v_cmp_lt_u32_e32 vcc_lo, 1, v9
	v_add_nc_u16 v8, v8, v5
	s_delay_alu instid0(VALU_DEP_1) | instskip(NEXT) | instid1(VALU_DEP_4)
	v_and_b32_e32 v14, 0xffff, v8
	v_dual_cndmask_b32 v5, v5, v8 :: v_dual_cndmask_b32 v8, 0, v13
	s_delay_alu instid0(VALU_DEP_1) | instskip(NEXT) | instid1(VALU_DEP_1)
	v_dual_cndmask_b32 v7, v7, v14 :: v_dual_add_nc_u32 v6, v6, v8
	v_mov_b32_dpp v8, v7 row_shr:4 row_mask:0xf bank_mask:0xf
	s_delay_alu instid0(VALU_DEP_2) | instskip(NEXT) | instid1(VALU_DEP_2)
	v_cmp_eq_u32_e32 vcc_lo, 0, v6
	v_cndmask_b32_e32 v8, 0, v8, vcc_lo
	v_cmp_lt_u32_e32 vcc_lo, 3, v9
	s_delay_alu instid0(VALU_DEP_2) | instskip(NEXT) | instid1(VALU_DEP_1)
	v_add_nc_u16 v8, v8, v5
	v_and_b32_e32 v14, 0xffff, v8
	s_delay_alu instid0(VALU_DEP_1) | instskip(SKIP_1) | instid1(VALU_DEP_1)
	v_cndmask_b32_e32 v7, v7, v14, vcc_lo
	v_mov_b32_dpp v13, v6 row_shr:4 row_mask:0xf bank_mask:0xf
	v_dual_cndmask_b32 v5, v5, v8 :: v_dual_cndmask_b32 v8, 0, v13
	s_delay_alu instid0(VALU_DEP_1) | instskip(NEXT) | instid1(VALU_DEP_4)
	v_add_nc_u32_e32 v6, v8, v6
	v_mov_b32_dpp v8, v7 row_shr:8 row_mask:0xf bank_mask:0xf
	s_delay_alu instid0(VALU_DEP_2) | instskip(NEXT) | instid1(VALU_DEP_2)
	v_cmp_eq_u32_e32 vcc_lo, 0, v6
	v_cndmask_b32_e32 v8, 0, v8, vcc_lo
	v_cmp_lt_u32_e32 vcc_lo, 7, v9
	s_delay_alu instid0(VALU_DEP_2) | instskip(NEXT) | instid1(VALU_DEP_1)
	v_add_nc_u16 v8, v8, v5
	v_cndmask_b32_e32 v5, v5, v8, vcc_lo
	v_mov_b32_dpp v13, v6 row_shr:8 row_mask:0xf bank_mask:0xf
	s_delay_alu instid0(VALU_DEP_1) | instskip(NEXT) | instid1(VALU_DEP_1)
	v_dual_cndmask_b32 v9, 0, v13 :: v_dual_and_b32 v8, 0xffff, v8
	v_cndmask_b32_e32 v7, v7, v8, vcc_lo
	v_bfe_i32 v13, v77, 4, 1
	s_delay_alu instid0(VALU_DEP_3)
	v_add_nc_u32_e32 v6, v9, v6
	ds_swizzle_b32 v7, v7 offset:swizzle(BROADCAST,32,15)
	v_and_b32_e32 v9, 16, v77
	ds_swizzle_b32 v8, v6 offset:swizzle(BROADCAST,32,15)
	v_cmp_eq_u32_e64 s13, 0, v6
	v_cmp_ne_u32_e32 vcc_lo, 0, v9
	s_delay_alu instid0(VALU_DEP_2) | instskip(SKIP_3) | instid1(VALU_DEP_1)
	s_and_b32 vcc_lo, vcc_lo, s13
	s_mov_b32 s13, exec_lo
	s_waitcnt lgkmcnt(0)
	v_dual_cndmask_b32 v7, 0, v7 :: v_dual_and_b32 v8, v13, v8
	v_add_nc_u16 v5, v7, v5
	v_lshlrev_b32_e32 v7, 3, v78
	s_delay_alu instid0(VALU_DEP_3)
	v_add_nc_u32_e32 v6, v8, v6
	v_cmpx_eq_u32_e64 v79, v0
	s_cbranch_execz .LBB399_88
; %bb.87:
	ds_store_b32 v7, v6 offset:1040
	ds_store_b16 v7, v5 offset:1044
.LBB399_88:
	s_or_b32 exec_lo, exec_lo, s13
	s_delay_alu instid0(SALU_CYCLE_1)
	s_mov_b32 s14, exec_lo
	s_waitcnt lgkmcnt(0)
	s_barrier
	buffer_gl0_inv
	v_cmpx_gt_u32_e32 8, v0
	s_cbranch_execz .LBB399_90
; %bb.89:
	v_lshlrev_b32_e32 v13, 3, v0
	v_and_b32_e32 v17, 7, v77
	ds_load_b64 v[8:9], v13 offset:1040
	s_waitcnt lgkmcnt(0)
	v_mov_b32_dpp v14, v9 row_shr:1 row_mask:0xf bank_mask:0xf
	v_cmp_eq_u32_e32 vcc_lo, 0, v8
	v_and_b32_e32 v15, 0xffff0000, v9
	v_mov_b32_dpp v18, v8 row_shr:1 row_mask:0xf bank_mask:0xf
	s_delay_alu instid0(VALU_DEP_4) | instskip(SKIP_1) | instid1(VALU_DEP_2)
	v_cndmask_b32_e32 v14, 0, v14, vcc_lo
	v_cmp_eq_u32_e32 vcc_lo, 0, v17
	v_add_nc_u16 v14, v14, v9
	s_delay_alu instid0(VALU_DEP_4) | instskip(NEXT) | instid1(VALU_DEP_2)
	v_cndmask_b32_e64 v18, v18, 0, vcc_lo
	v_and_b32_e32 v16, 0xffff, v14
	s_delay_alu instid0(VALU_DEP_1) | instskip(NEXT) | instid1(VALU_DEP_1)
	v_or_b32_e32 v16, v15, v16
	v_cndmask_b32_e32 v16, v16, v9, vcc_lo
	v_cndmask_b32_e32 v9, v14, v9, vcc_lo
	v_add_nc_u32_e32 v8, v18, v8
	s_delay_alu instid0(VALU_DEP_3) | instskip(NEXT) | instid1(VALU_DEP_2)
	v_mov_b32_dpp v18, v16 row_shr:2 row_mask:0xf bank_mask:0xf
	v_cmp_eq_u32_e32 vcc_lo, 0, v8
	s_delay_alu instid0(VALU_DEP_2) | instskip(SKIP_1) | instid1(VALU_DEP_2)
	v_cndmask_b32_e32 v14, 0, v18, vcc_lo
	v_cmp_lt_u32_e32 vcc_lo, 1, v17
	v_add_nc_u16 v14, v14, v9
	s_delay_alu instid0(VALU_DEP_1) | instskip(SKIP_2) | instid1(VALU_DEP_2)
	v_cndmask_b32_e32 v9, v9, v14, vcc_lo
	v_mov_b32_dpp v18, v8 row_shr:2 row_mask:0xf bank_mask:0xf
	v_and_b32_e32 v19, 0xffff, v14
	v_cndmask_b32_e32 v14, 0, v18, vcc_lo
	s_delay_alu instid0(VALU_DEP_2) | instskip(SKIP_1) | instid1(VALU_DEP_3)
	v_or_b32_e32 v15, v15, v19
	v_cmp_lt_u32_e64 s13, 3, v17
	v_add_nc_u32_e32 v8, v14, v8
	s_delay_alu instid0(VALU_DEP_3) | instskip(NEXT) | instid1(VALU_DEP_2)
	v_cndmask_b32_e32 v14, v16, v15, vcc_lo
	v_cmp_eq_u32_e32 vcc_lo, 0, v8
	v_mov_b32_dpp v15, v8 row_shr:4 row_mask:0xf bank_mask:0xf
	s_delay_alu instid0(VALU_DEP_3) | instskip(SKIP_1) | instid1(VALU_DEP_2)
	v_mov_b32_dpp v14, v14 row_shr:4 row_mask:0xf bank_mask:0xf
	s_and_b32 vcc_lo, s13, vcc_lo
	v_cndmask_b32_e64 v15, 0, v15, s13
	s_delay_alu instid0(VALU_DEP_2) | instskip(NEXT) | instid1(VALU_DEP_2)
	v_cndmask_b32_e32 v14, 0, v14, vcc_lo
	v_add_nc_u32_e32 v8, v15, v8
	s_delay_alu instid0(VALU_DEP_2)
	v_add_nc_u16 v9, v9, v14
	ds_store_b32 v13, v8 offset:1040
	ds_store_b16 v13, v9 offset:1044
.LBB399_90:
	s_or_b32 exec_lo, exec_lo, s14
	v_cmp_gt_u32_e32 vcc_lo, 32, v0
	v_dual_mov_b32 v18, 0 :: v_dual_mov_b32 v17, 0
	s_mov_b32 s14, exec_lo
	s_waitcnt lgkmcnt(0)
	s_barrier
	buffer_gl0_inv
	v_cmpx_lt_u32_e32 31, v0
	s_cbranch_execz .LBB399_92
; %bb.91:
	ds_load_u16 v17, v7 offset:1036
	ds_load_b32 v18, v7 offset:1032
	v_cmp_eq_u32_e64 s13, 0, v6
	s_waitcnt lgkmcnt(1)
	s_delay_alu instid0(VALU_DEP_1) | instskip(SKIP_2) | instid1(VALU_DEP_2)
	v_cndmask_b32_e64 v7, 0, v17, s13
	s_waitcnt lgkmcnt(0)
	v_add_nc_u32_e32 v6, v18, v6
	v_add_nc_u16 v5, v7, v5
.LBB399_92:
	s_or_b32 exec_lo, exec_lo, s14
	v_add_nc_u32_e32 v7, -1, v77
	s_delay_alu instid0(VALU_DEP_2) | instskip(NEXT) | instid1(VALU_DEP_2)
	v_and_b32_e32 v5, 0xffff, v5
	v_cmp_gt_i32_e64 s13, 0, v7
	s_delay_alu instid0(VALU_DEP_1) | instskip(SKIP_1) | instid1(VALU_DEP_2)
	v_cndmask_b32_e64 v7, v7, v77, s13
	v_cmp_eq_u32_e64 s13, 0, v77
	v_lshlrev_b32_e32 v7, 2, v7
	ds_bpermute_b32 v19, v7, v6
	ds_bpermute_b32 v20, v7, v5
	s_and_saveexec_b32 s17, vcc_lo
	s_cbranch_execz .LBB399_110
; %bb.93:
	v_mov_b32_e32 v8, 0
	ds_load_b64 v[5:6], v8 offset:1096
	s_waitcnt lgkmcnt(0)
	v_readfirstlane_b32 s21, v6
	s_and_saveexec_b32 s14, s13
	s_cbranch_execz .LBB399_95
; %bb.94:
	s_add_i32 s26, s15, 32
	s_mov_b32 s27, 0
	v_mov_b32_e32 v7, 1
	s_lshl_b64 s[28:29], s[26:27], 4
	s_mov_b32 s30, s27
	s_add_u32 s28, s24, s28
	s_addc_u32 s29, s25, s29
	s_and_b32 s31, s21, 0xff000000
	s_and_b32 s41, s21, 0xff0000
	s_mov_b32 s40, s27
	v_dual_mov_b32 v13, s28 :: v_dual_mov_b32 v14, s29
	s_or_b64 s[30:31], s[40:41], s[30:31]
	s_and_b32 s41, s21, 0xff00
	s_delay_alu instid0(SALU_CYCLE_1) | instskip(SKIP_1) | instid1(SALU_CYCLE_1)
	s_or_b64 s[30:31], s[30:31], s[40:41]
	s_and_b32 s41, s21, 0xff
	s_or_b64 s[26:27], s[30:31], s[40:41]
	s_delay_alu instid0(SALU_CYCLE_1)
	v_mov_b32_e32 v6, s27
	;;#ASMSTART
	global_store_dwordx4 v[13:14], v[5:8] off	
s_waitcnt vmcnt(0)
	;;#ASMEND
.LBB399_95:
	s_or_b32 exec_lo, exec_lo, s14
	v_xad_u32 v13, v77, -1, s15
	s_mov_b32 s26, 0
	s_mov_b32 s14, exec_lo
	s_delay_alu instid0(VALU_DEP_1) | instskip(NEXT) | instid1(VALU_DEP_1)
	v_add_nc_u32_e32 v7, 32, v13
	v_lshlrev_b64 v[6:7], 4, v[7:8]
	s_delay_alu instid0(VALU_DEP_1) | instskip(NEXT) | instid1(VALU_DEP_2)
	v_add_co_u32 v14, vcc_lo, s24, v6
	v_add_co_ci_u32_e32 v15, vcc_lo, s25, v7, vcc_lo
	;;#ASMSTART
	global_load_dwordx4 v[6:9], v[14:15] off glc	
s_waitcnt vmcnt(0)
	;;#ASMEND
	v_and_b32_e32 v9, 0xffffff, v6
	v_and_b32_e32 v6, 0xff000000, v6
	;; [unrolled: 1-line block ×4, first 2 shown]
	s_delay_alu instid0(VALU_DEP_3) | instskip(SKIP_1) | instid1(VALU_DEP_3)
	v_or_b32_e32 v6, v9, v6
	v_and_b32_e32 v9, 0xff, v8
	v_or3_b32 v7, 0, v16, v7
	s_delay_alu instid0(VALU_DEP_3) | instskip(NEXT) | instid1(VALU_DEP_3)
	v_or3_b32 v6, v6, 0, 0
	v_cmpx_eq_u16_e32 0, v9
	s_cbranch_execz .LBB399_98
.LBB399_96:                             ; =>This Inner Loop Header: Depth=1
	;;#ASMSTART
	global_load_dwordx4 v[6:9], v[14:15] off glc	
s_waitcnt vmcnt(0)
	;;#ASMEND
	v_and_b32_e32 v9, 0xff, v8
	s_delay_alu instid0(VALU_DEP_1) | instskip(SKIP_1) | instid1(SALU_CYCLE_1)
	v_cmp_ne_u16_e32 vcc_lo, 0, v9
	s_or_b32 s26, vcc_lo, s26
	s_and_not1_b32 exec_lo, exec_lo, s26
	s_cbranch_execnz .LBB399_96
; %bb.97:
	s_or_b32 exec_lo, exec_lo, s26
	v_and_b32_e32 v7, 0xffff, v7
.LBB399_98:
	s_or_b32 exec_lo, exec_lo, s14
	v_cmp_ne_u32_e32 vcc_lo, 31, v77
	v_and_b32_e32 v14, 0xff, v8
	v_lshlrev_b32_e64 v22, v77, -1
	v_cmp_eq_u32_e64 s14, 0, v6
	v_add_co_ci_u32_e32 v9, vcc_lo, 0, v77, vcc_lo
	s_delay_alu instid0(VALU_DEP_4) | instskip(NEXT) | instid1(VALU_DEP_4)
	v_cmp_eq_u16_e32 vcc_lo, 2, v14
	v_and_or_b32 v14, vcc_lo, v22, 0x80000000
	v_cmp_gt_u32_e32 vcc_lo, 30, v77
	s_delay_alu instid0(VALU_DEP_2) | instskip(SKIP_1) | instid1(VALU_DEP_2)
	v_ctz_i32_b32_e32 v14, v14
	v_cndmask_b32_e64 v15, 0, 1, vcc_lo
	v_cmp_lt_u32_e32 vcc_lo, v77, v14
	v_lshlrev_b32_e32 v21, 2, v9
	s_delay_alu instid0(VALU_DEP_3)
	v_lshlrev_b32_e32 v15, 1, v15
	ds_bpermute_b32 v16, v21, v6
	v_add_lshl_u32 v23, v15, v77, 2
	s_waitcnt lgkmcnt(0)
	v_cndmask_b32_e32 v16, 0, v16, vcc_lo
	ds_bpermute_b32 v9, v21, v7
	v_add_nc_u32_e32 v6, v16, v6
	ds_bpermute_b32 v26, v23, v6
	s_waitcnt lgkmcnt(1)
	v_cndmask_b32_e64 v9, 0, v9, s14
	s_delay_alu instid0(VALU_DEP_1) | instskip(NEXT) | instid1(VALU_DEP_1)
	v_add_nc_u16 v9, v9, v7
	v_and_b32_e32 v24, 0xffff, v9
	v_cndmask_b32_e32 v9, v7, v9, vcc_lo
	s_delay_alu instid0(VALU_DEP_2)
	v_cndmask_b32_e32 v7, v7, v24, vcc_lo
	v_cmp_eq_u32_e32 vcc_lo, 0, v6
	ds_bpermute_b32 v15, v23, v7
	s_waitcnt lgkmcnt(0)
	v_cndmask_b32_e32 v15, 0, v15, vcc_lo
	v_cmp_gt_u32_e32 vcc_lo, 28, v77
	s_delay_alu instid0(VALU_DEP_2) | instskip(SKIP_1) | instid1(VALU_DEP_2)
	v_add_nc_u16 v15, v15, v9
	v_cndmask_b32_e64 v16, 0, 1, vcc_lo
	v_and_b32_e32 v27, 0xffff, v15
	v_add_nc_u32_e32 v24, 2, v77
	s_delay_alu instid0(VALU_DEP_1) | instskip(NEXT) | instid1(VALU_DEP_4)
	v_cmp_gt_u32_e32 vcc_lo, v24, v14
	v_dual_cndmask_b32 v9, v15, v9 :: v_dual_lshlrev_b32 v16, 2, v16
	s_delay_alu instid0(VALU_DEP_1) | instskip(SKIP_4) | instid1(VALU_DEP_1)
	v_add_lshl_u32 v25, v16, v77, 2
	v_cndmask_b32_e32 v7, v27, v7, vcc_lo
	v_cndmask_b32_e64 v16, v26, 0, vcc_lo
	ds_bpermute_b32 v15, v25, v7
	v_add_nc_u32_e32 v6, v6, v16
	v_cmp_eq_u32_e32 vcc_lo, 0, v6
	s_waitcnt lgkmcnt(0)
	v_cndmask_b32_e32 v15, 0, v15, vcc_lo
	v_cmp_gt_u32_e32 vcc_lo, 24, v77
	ds_bpermute_b32 v27, v25, v6
	v_add_nc_u16 v15, v9, v15
	v_cndmask_b32_e64 v16, 0, 1, vcc_lo
	s_delay_alu instid0(VALU_DEP_2) | instskip(SKIP_1) | instid1(VALU_DEP_1)
	v_and_b32_e32 v29, 0xffff, v15
	v_add_nc_u32_e32 v26, 4, v77
	v_cmp_gt_u32_e32 vcc_lo, v26, v14
	s_delay_alu instid0(VALU_DEP_4) | instskip(NEXT) | instid1(VALU_DEP_1)
	v_dual_cndmask_b32 v9, v15, v9 :: v_dual_lshlrev_b32 v16, 3, v16
	v_add_lshl_u32 v28, v16, v77, 2
	v_cndmask_b32_e32 v7, v29, v7, vcc_lo
	s_waitcnt lgkmcnt(0)
	v_cndmask_b32_e64 v16, v27, 0, vcc_lo
	ds_bpermute_b32 v15, v28, v7
	v_add_nc_u32_e32 v6, v6, v16
	s_delay_alu instid0(VALU_DEP_1)
	v_cmp_eq_u32_e32 vcc_lo, 0, v6
	s_waitcnt lgkmcnt(0)
	v_cndmask_b32_e32 v15, 0, v15, vcc_lo
	ds_bpermute_b32 v16, v28, v6
	v_cmp_gt_u32_e32 vcc_lo, 16, v77
	v_add_nc_u16 v15, v9, v15
	v_cndmask_b32_e64 v27, 0, 1, vcc_lo
	s_delay_alu instid0(VALU_DEP_2) | instskip(SKIP_1) | instid1(VALU_DEP_3)
	v_and_b32_e32 v29, 0xffff, v15
	v_add_nc_u32_e32 v30, 8, v77
	v_lshlrev_b32_e32 v27, 4, v27
	s_delay_alu instid0(VALU_DEP_2) | instskip(NEXT) | instid1(VALU_DEP_2)
	v_cmp_gt_u32_e32 vcc_lo, v30, v14
	v_add_lshl_u32 v31, v27, v77, 2
	v_cndmask_b32_e32 v7, v29, v7, vcc_lo
	v_cndmask_b32_e32 v9, v15, v9, vcc_lo
	s_waitcnt lgkmcnt(0)
	v_cndmask_b32_e64 v15, v16, 0, vcc_lo
	ds_bpermute_b32 v7, v31, v7
	v_add_nc_u32_e32 v6, v6, v15
	ds_bpermute_b32 v15, v31, v6
	v_cmp_eq_u32_e32 vcc_lo, 0, v6
	s_waitcnt lgkmcnt(1)
	v_dual_cndmask_b32 v7, 0, v7 :: v_dual_add_nc_u32 v32, 16, v77
	s_delay_alu instid0(VALU_DEP_1) | instskip(NEXT) | instid1(VALU_DEP_2)
	v_cmp_gt_u32_e32 vcc_lo, v32, v14
	v_cndmask_b32_e64 v7, v7, 0, vcc_lo
	s_waitcnt lgkmcnt(0)
	v_cndmask_b32_e64 v14, v15, 0, vcc_lo
	s_delay_alu instid0(VALU_DEP_2) | instskip(NEXT) | instid1(VALU_DEP_2)
	v_add_nc_u16 v7, v9, v7
	v_add_nc_u32_e32 v6, v14, v6
	v_mov_b32_e32 v14, 0
	s_branch .LBB399_100
.LBB399_99:                             ;   in Loop: Header=BB399_100 Depth=1
	s_or_b32 exec_lo, exec_lo, s14
	ds_bpermute_b32 v9, v21, v7
	v_and_b32_e32 v15, 0xff, v8
	v_cmp_eq_u32_e64 s14, 0, v6
	ds_bpermute_b32 v16, v21, v6
	v_subrev_nc_u32_e32 v13, 32, v13
	v_cmp_eq_u16_e32 vcc_lo, 2, v15
	v_and_or_b32 v15, vcc_lo, v22, 0x80000000
	s_delay_alu instid0(VALU_DEP_1) | instskip(SKIP_2) | instid1(VALU_DEP_2)
	v_ctz_i32_b32_e32 v15, v15
	s_waitcnt lgkmcnt(1)
	v_cndmask_b32_e64 v9, 0, v9, s14
	v_cmp_lt_u32_e32 vcc_lo, v77, v15
	s_delay_alu instid0(VALU_DEP_2) | instskip(SKIP_1) | instid1(VALU_DEP_1)
	v_add_nc_u16 v9, v9, v7
	s_waitcnt lgkmcnt(0)
	v_dual_cndmask_b32 v16, 0, v16 :: v_dual_and_b32 v33, 0xffff, v9
	s_delay_alu instid0(VALU_DEP_1) | instskip(NEXT) | instid1(VALU_DEP_2)
	v_dual_cndmask_b32 v9, v7, v9 :: v_dual_add_nc_u32 v6, v16, v6
	v_cndmask_b32_e32 v7, v7, v33, vcc_lo
	s_delay_alu instid0(VALU_DEP_2)
	v_cmp_eq_u32_e32 vcc_lo, 0, v6
	ds_bpermute_b32 v33, v23, v7
	s_waitcnt lgkmcnt(0)
	v_cndmask_b32_e32 v16, 0, v33, vcc_lo
	ds_bpermute_b32 v33, v23, v6
	v_cmp_gt_u32_e32 vcc_lo, v24, v15
	v_add_nc_u16 v16, v16, v9
	s_delay_alu instid0(VALU_DEP_1) | instskip(NEXT) | instid1(VALU_DEP_1)
	v_dual_cndmask_b32 v9, v16, v9 :: v_dual_and_b32 v34, 0xffff, v16
	v_cndmask_b32_e32 v7, v34, v7, vcc_lo
	ds_bpermute_b32 v16, v25, v7
	s_waitcnt lgkmcnt(1)
	v_cndmask_b32_e64 v33, v33, 0, vcc_lo
	s_delay_alu instid0(VALU_DEP_1) | instskip(NEXT) | instid1(VALU_DEP_1)
	v_add_nc_u32_e32 v6, v6, v33
	v_cmp_eq_u32_e32 vcc_lo, 0, v6
	ds_bpermute_b32 v33, v25, v6
	s_waitcnt lgkmcnt(1)
	v_cndmask_b32_e32 v16, 0, v16, vcc_lo
	v_cmp_gt_u32_e32 vcc_lo, v26, v15
	s_delay_alu instid0(VALU_DEP_2) | instskip(NEXT) | instid1(VALU_DEP_1)
	v_add_nc_u16 v16, v9, v16
	v_dual_cndmask_b32 v9, v16, v9 :: v_dual_and_b32 v34, 0xffff, v16
	s_waitcnt lgkmcnt(0)
	v_cndmask_b32_e64 v33, v33, 0, vcc_lo
	s_delay_alu instid0(VALU_DEP_2) | instskip(NEXT) | instid1(VALU_DEP_2)
	v_cndmask_b32_e32 v7, v34, v7, vcc_lo
	v_add_nc_u32_e32 v6, v6, v33
	ds_bpermute_b32 v16, v28, v7
	v_cmp_eq_u32_e32 vcc_lo, 0, v6
	ds_bpermute_b32 v33, v28, v6
	s_waitcnt lgkmcnt(1)
	v_cndmask_b32_e32 v16, 0, v16, vcc_lo
	v_cmp_gt_u32_e32 vcc_lo, v30, v15
	s_delay_alu instid0(VALU_DEP_2) | instskip(NEXT) | instid1(VALU_DEP_1)
	v_add_nc_u16 v16, v9, v16
	v_dual_cndmask_b32 v9, v16, v9 :: v_dual_and_b32 v34, 0xffff, v16
	s_waitcnt lgkmcnt(0)
	v_cndmask_b32_e64 v16, v33, 0, vcc_lo
	s_delay_alu instid0(VALU_DEP_2) | instskip(NEXT) | instid1(VALU_DEP_2)
	v_cndmask_b32_e32 v7, v34, v7, vcc_lo
	v_add_nc_u32_e32 v6, v6, v16
	ds_bpermute_b32 v7, v31, v7
	ds_bpermute_b32 v16, v31, v6
	v_cmp_eq_u32_e32 vcc_lo, 0, v6
	s_waitcnt lgkmcnt(1)
	v_cndmask_b32_e32 v7, 0, v7, vcc_lo
	v_cmp_gt_u32_e32 vcc_lo, v32, v15
	s_delay_alu instid0(VALU_DEP_2) | instskip(NEXT) | instid1(VALU_DEP_1)
	v_cndmask_b32_e64 v7, v7, 0, vcc_lo
	v_add_nc_u16 v7, v9, v7
	s_waitcnt lgkmcnt(0)
	v_cndmask_b32_e64 v9, v16, 0, vcc_lo
	v_cmp_eq_u32_e32 vcc_lo, 0, v29
	s_delay_alu instid0(VALU_DEP_2) | instskip(SKIP_1) | instid1(VALU_DEP_1)
	v_add3_u32 v6, v6, v29, v9
	v_cndmask_b32_e32 v7, 0, v7, vcc_lo
	v_add_nc_u16 v7, v7, v27
.LBB399_100:                            ; =>This Loop Header: Depth=1
                                        ;     Child Loop BB399_103 Depth 2
	s_delay_alu instid0(VALU_DEP_1) | instskip(NEXT) | instid1(VALU_DEP_3)
	v_dual_mov_b32 v27, v7 :: v_dual_and_b32 v8, 0xff, v8
	v_mov_b32_e32 v29, v6
	s_delay_alu instid0(VALU_DEP_2) | instskip(SKIP_2) | instid1(VALU_DEP_1)
	v_cmp_ne_u16_e32 vcc_lo, 2, v8
	v_cndmask_b32_e64 v8, 0, 1, vcc_lo
	;;#ASMSTART
	;;#ASMEND
	v_cmp_ne_u32_e32 vcc_lo, 0, v8
	s_cmp_lg_u32 vcc_lo, exec_lo
	s_cbranch_scc1 .LBB399_105
; %bb.101:                              ;   in Loop: Header=BB399_100 Depth=1
	v_lshlrev_b64 v[6:7], 4, v[13:14]
	s_mov_b32 s14, exec_lo
	s_delay_alu instid0(VALU_DEP_1) | instskip(NEXT) | instid1(VALU_DEP_2)
	v_add_co_u32 v15, vcc_lo, s24, v6
	v_add_co_ci_u32_e32 v16, vcc_lo, s25, v7, vcc_lo
	;;#ASMSTART
	global_load_dwordx4 v[6:9], v[15:16] off glc	
s_waitcnt vmcnt(0)
	;;#ASMEND
	v_and_b32_e32 v9, 0xffffff, v6
	v_and_b32_e32 v6, 0xff000000, v6
	;; [unrolled: 1-line block ×4, first 2 shown]
	s_delay_alu instid0(VALU_DEP_3) | instskip(SKIP_1) | instid1(VALU_DEP_3)
	v_or_b32_e32 v6, v9, v6
	v_and_b32_e32 v9, 0xff, v8
	v_or3_b32 v7, 0, v33, v7
	s_delay_alu instid0(VALU_DEP_3) | instskip(NEXT) | instid1(VALU_DEP_3)
	v_or3_b32 v6, v6, 0, 0
	v_cmpx_eq_u16_e32 0, v9
	s_cbranch_execz .LBB399_99
; %bb.102:                              ;   in Loop: Header=BB399_100 Depth=1
	s_mov_b32 s26, 0
.LBB399_103:                            ;   Parent Loop BB399_100 Depth=1
                                        ; =>  This Inner Loop Header: Depth=2
	;;#ASMSTART
	global_load_dwordx4 v[6:9], v[15:16] off glc	
s_waitcnt vmcnt(0)
	;;#ASMEND
	v_and_b32_e32 v9, 0xff, v8
	s_delay_alu instid0(VALU_DEP_1) | instskip(SKIP_1) | instid1(SALU_CYCLE_1)
	v_cmp_ne_u16_e32 vcc_lo, 0, v9
	s_or_b32 s26, vcc_lo, s26
	s_and_not1_b32 exec_lo, exec_lo, s26
	s_cbranch_execnz .LBB399_103
; %bb.104:                              ;   in Loop: Header=BB399_100 Depth=1
	s_or_b32 exec_lo, exec_lo, s26
	v_and_b32_e32 v7, 0xffff, v7
	s_branch .LBB399_99
.LBB399_105:                            ;   in Loop: Header=BB399_100 Depth=1
                                        ; implicit-def: $vgpr7
                                        ; implicit-def: $vgpr6
                                        ; implicit-def: $vgpr8
	s_cbranch_execz .LBB399_100
; %bb.106:
	s_and_saveexec_b32 s14, s13
	s_cbranch_execz .LBB399_108
; %bb.107:
	v_cmp_eq_u32_e32 vcc_lo, 0, v5
	s_mov_b32 s27, 0
	s_add_i32 s26, s15, 32
	v_add_nc_u32_e64 v15, 0x400, 0
	s_lshl_b64 s[26:27], s[26:27], 4
	v_dual_cndmask_b32 v6, 0, v27 :: v_dual_mov_b32 v9, 0
	s_add_u32 s26, s24, s26
	s_addc_u32 s27, s25, s27
	v_mov_b32_e32 v16, s21
	s_delay_alu instid0(VALU_DEP_2) | instskip(SKIP_1) | instid1(VALU_DEP_2)
	v_add_nc_u16 v7, v6, s21
	v_add_nc_u32_e32 v6, v29, v5
	v_dual_mov_b32 v8, 2 :: v_dual_and_b32 v13, 0xff00, v7
	v_and_b32_e32 v7, 0xff, v7
	s_delay_alu instid0(VALU_DEP_1)
	v_or_b32_e32 v7, v13, v7
	v_dual_mov_b32 v13, s26 :: v_dual_mov_b32 v14, s27
	;;#ASMSTART
	global_store_dwordx4 v[13:14], v[6:9] off	
s_waitcnt vmcnt(0)
	;;#ASMEND
	ds_store_2addr_b32 v15, v5, v29 offset1:2
	ds_store_b16 v9, v16 offset:1028
	ds_store_b16 v9, v27 offset:1036
.LBB399_108:
	s_or_b32 exec_lo, exec_lo, s14
	v_cmp_eq_u32_e32 vcc_lo, 0, v0
	s_and_b32 exec_lo, exec_lo, vcc_lo
	s_cbranch_execz .LBB399_110
; %bb.109:
	v_mov_b32_e32 v5, 0
	ds_store_b32 v5, v29 offset:1096
	ds_store_b16 v5, v27 offset:1100
.LBB399_110:
	s_or_b32 exec_lo, exec_lo, s17
	v_mov_b32_e32 v7, 0
	s_waitcnt lgkmcnt(0)
	s_barrier
	buffer_gl0_inv
	v_cndmask_b32_e64 v8, v19, v18, s13
	ds_load_b64 v[5:6], v7 offset:1096
	v_cndmask_b32_e64 v9, v20, v17, s13
	v_cmp_eq_u32_e64 s13, 0, v63
	s_waitcnt lgkmcnt(0)
	v_cmp_eq_u32_e32 vcc_lo, 0, v8
	s_barrier
	buffer_gl0_inv
	v_cndmask_b32_e32 v13, 0, v6, vcc_lo
	v_cmp_eq_u32_e32 vcc_lo, 0, v0
	s_delay_alu instid0(VALU_DEP_2) | instskip(NEXT) | instid1(VALU_DEP_1)
	v_add_nc_u16 v9, v13, v9
	v_cndmask_b32_e32 v9, v9, v6, vcc_lo
	s_delay_alu instid0(VALU_DEP_1) | instskip(NEXT) | instid1(VALU_DEP_1)
	v_cndmask_b32_e64 v6, 0, v9, s13
	v_add_nc_u16 v13, v6, v74
	s_delay_alu instid0(VALU_DEP_1) | instskip(SKIP_2) | instid1(VALU_DEP_2)
	v_and_b32_e32 v36, 0xffff, v13
	v_cndmask_b32_e64 v6, 0, v13, s12
	v_and_b32_e32 v42, 0xffff, v9
	v_add_nc_u16 v14, v6, v73
	s_delay_alu instid0(VALU_DEP_1) | instskip(SKIP_1) | instid1(VALU_DEP_2)
	v_cndmask_b32_e64 v6, 0, v14, s11
	v_and_b32_e32 v38, 0xffff, v14
	v_add_nc_u16 v15, v6, v75
	s_delay_alu instid0(VALU_DEP_1) | instskip(SKIP_1) | instid1(VALU_DEP_2)
	v_cndmask_b32_e64 v6, 0, v15, s10
	v_and_b32_e32 v34, 0xffff, v15
	v_add_nc_u16 v16, v6, v71
	s_delay_alu instid0(VALU_DEP_1) | instskip(NEXT) | instid1(VALU_DEP_1)
	v_cndmask_b32_e64 v6, 0, v16, s9
	v_add_nc_u16 v18, v6, v72
	s_delay_alu instid0(VALU_DEP_1) | instskip(SKIP_1) | instid1(VALU_DEP_2)
	v_cndmask_b32_e64 v6, 0, v18, s8
	v_and_b32_e32 v18, 0xffff, v18
	v_add_nc_u16 v20, v6, v69
	v_cndmask_b32_e64 v6, v8, 0, vcc_lo
	s_delay_alu instid0(VALU_DEP_2) | instskip(NEXT) | instid1(VALU_DEP_2)
	v_cndmask_b32_e64 v8, 0, v20, s7
	v_add_nc_u32_e32 v41, v5, v6
	v_and_b32_e32 v20, 0xffff, v20
	s_delay_alu instid0(VALU_DEP_3) | instskip(NEXT) | instid1(VALU_DEP_3)
	v_add_nc_u16 v24, v8, v70
	v_add_nc_u32_e32 v35, v41, v63
	s_delay_alu instid0(VALU_DEP_2) | instskip(NEXT) | instid1(VALU_DEP_2)
	v_cndmask_b32_e64 v5, 0, v24, s6
	v_add_nc_u32_e32 v37, v35, v61
	v_and_b32_e32 v40, 0xffff, v24
	s_delay_alu instid0(VALU_DEP_3) | instskip(NEXT) | instid1(VALU_DEP_3)
	v_add_nc_u16 v26, v5, v67
	v_add_nc_u32_e32 v33, v37, v60
	;; [unrolled: 7-line block ×4, first 2 shown]
	ds_load_b128 v[5:8], v7 offset:1024
	v_cndmask_b32_e64 v22, 0, v30, s3
	v_add_nc_u32_e32 v43, v39, v54
	v_and_b32_e32 v30, 0xffff, v30
	s_delay_alu instid0(VALU_DEP_3) | instskip(NEXT) | instid1(VALU_DEP_3)
	v_add_nc_u16 v62, v22, v65
	v_add_nc_u32_e32 v31, v43, v53
	s_delay_alu instid0(VALU_DEP_2) | instskip(NEXT) | instid1(VALU_DEP_2)
	v_cndmask_b32_e64 v22, 0, v62, s2
	v_add_nc_u32_e32 v29, v31, v51
	v_and_b32_e32 v24, 0xffff, v62
	s_delay_alu instid0(VALU_DEP_3) | instskip(NEXT) | instid1(VALU_DEP_3)
	v_add_nc_u16 v81, v22, v64
	v_add_nc_u32_e32 v23, v29, v50
	s_waitcnt lgkmcnt(0)
	v_cmp_eq_u32_e32 vcc_lo, 0, v5
	v_and_b32_e32 v22, 0xffff, v16
	v_cndmask_b32_e64 v9, 0, v81, s1
	v_dual_cndmask_b32 v8, 0, v8 :: v_dual_add_nc_u32 v27, v23, v49
	v_and_b32_e32 v28, 0xffff, v81
	s_delay_alu instid0(VALU_DEP_3) | instskip(NEXT) | instid1(VALU_DEP_3)
	v_add_nc_u16 v9, v9, v46
	v_add_nc_u32_e32 v25, v27, v48
	s_delay_alu instid0(VALU_DEP_4) | instskip(NEXT) | instid1(VALU_DEP_3)
	v_add_nc_u32_e32 v62, v8, v6
	v_cndmask_b32_e64 v13, 0, v9, s0
	s_delay_alu instid0(VALU_DEP_3) | instskip(SKIP_1) | instid1(VALU_DEP_3)
	v_add_nc_u32_e32 v15, v25, v47
	v_and_b32_e32 v26, 0xffff, v9
	v_add_nc_u16 v13, v13, v45
	s_delay_alu instid0(VALU_DEP_1)
	v_and_b32_e32 v16, 0xffff, v13
	s_branch .LBB399_123
.LBB399_111:
                                        ; implicit-def: $vgpr5
                                        ; implicit-def: $vgpr62
                                        ; implicit-def: $vgpr41_vgpr42
                                        ; implicit-def: $vgpr35_vgpr36
                                        ; implicit-def: $vgpr37_vgpr38
                                        ; implicit-def: $vgpr33_vgpr34
                                        ; implicit-def: $vgpr21_vgpr22
                                        ; implicit-def: $vgpr17_vgpr18
                                        ; implicit-def: $vgpr19_vgpr20
                                        ; implicit-def: $vgpr39_vgpr40
                                        ; implicit-def: $vgpr43_vgpr44
                                        ; implicit-def: $vgpr31_vgpr32
                                        ; implicit-def: $vgpr29_vgpr30
                                        ; implicit-def: $vgpr23_vgpr24
                                        ; implicit-def: $vgpr27_vgpr28
                                        ; implicit-def: $vgpr25_vgpr26
                                        ; implicit-def: $vgpr15_vgpr16
	s_cbranch_execz .LBB399_123
; %bb.112:
	s_and_b32 s0, s16, exec_lo
	v_mov_b32_e32 v6, v74
	s_cselect_b32 s1, 0, s35
	s_cselect_b32 s0, 0, s34
	s_delay_alu instid0(SALU_CYCLE_1)
	s_cmp_eq_u64 s[0:1], 0
	s_cbranch_scc1 .LBB399_114
; %bb.113:
	v_mov_b32_e32 v5, 0
	global_load_u16 v6, v5, s[0:1]
.LBB399_114:
	v_cmp_eq_u32_e64 s11, 0, v61
	v_cmp_eq_u32_e64 s10, 0, v60
	;; [unrolled: 1-line block ×5, first 2 shown]
	v_cndmask_b32_e64 v5, 0, v74, s11
	v_cmp_eq_u32_e64 s7, 0, v56
	v_cmp_eq_u32_e64 s5, 0, v54
	;; [unrolled: 1-line block ×4, first 2 shown]
	v_add_nc_u16 v5, v5, v73
	v_cmp_eq_u32_e64 s2, 0, v50
	v_cmp_eq_u32_e64 s1, 0, v49
	;; [unrolled: 1-line block ×3, first 2 shown]
	v_cmp_eq_u32_e32 vcc_lo, 0, v47
	v_cndmask_b32_e64 v5, 0, v5, s10
	v_add3_u32 v7, v80, v57, v56
	v_cmp_eq_u32_e64 s12, 0, v52
	v_and_b32_e32 v13, 15, v77
	s_delay_alu instid0(VALU_DEP_4) | instskip(NEXT) | instid1(VALU_DEP_4)
	v_add_nc_u16 v5, v5, v75
	v_add3_u32 v7, v7, v54, v53
	s_delay_alu instid0(VALU_DEP_2) | instskip(NEXT) | instid1(VALU_DEP_2)
	v_cndmask_b32_e64 v5, 0, v5, s9
	v_add3_u32 v7, v7, v51, v50
	s_delay_alu instid0(VALU_DEP_2) | instskip(NEXT) | instid1(VALU_DEP_2)
	v_add_nc_u16 v5, v5, v71
	v_add3_u32 v7, v7, v49, v48
	s_delay_alu instid0(VALU_DEP_2) | instskip(NEXT) | instid1(VALU_DEP_2)
	v_cndmask_b32_e64 v5, 0, v5, s8
	v_add3_u32 v7, v7, v47, v52
	s_delay_alu instid0(VALU_DEP_2) | instskip(NEXT) | instid1(VALU_DEP_2)
	v_add_nc_u16 v5, v5, v72
	v_mov_b32_dpp v14, v7 row_shr:1 row_mask:0xf bank_mask:0xf
	s_delay_alu instid0(VALU_DEP_2) | instskip(NEXT) | instid1(VALU_DEP_1)
	v_cndmask_b32_e64 v5, 0, v5, s6
	v_add_nc_u16 v5, v5, v69
	s_delay_alu instid0(VALU_DEP_1) | instskip(NEXT) | instid1(VALU_DEP_1)
	v_cndmask_b32_e64 v5, 0, v5, s7
	v_add_nc_u16 v5, v5, v70
	s_delay_alu instid0(VALU_DEP_1) | instskip(NEXT) | instid1(VALU_DEP_1)
	;; [unrolled: 3-line block ×8, first 2 shown]
	v_cndmask_b32_e32 v5, 0, v5, vcc_lo
	v_add_nc_u16 v5, v5, v45
	s_delay_alu instid0(VALU_DEP_1) | instskip(SKIP_1) | instid1(VALU_DEP_2)
	v_cndmask_b32_e64 v5, 0, v5, s12
	v_cmp_eq_u32_e64 s12, 0, v7
	v_add_nc_u16 v5, v5, v76
	s_delay_alu instid0(VALU_DEP_1) | instskip(NEXT) | instid1(VALU_DEP_1)
	v_and_b32_e32 v8, 0xffff, v5
	v_mov_b32_dpp v9, v8 row_shr:1 row_mask:0xf bank_mask:0xf
	s_delay_alu instid0(VALU_DEP_1) | instskip(SKIP_1) | instid1(VALU_DEP_2)
	v_cndmask_b32_e64 v9, 0, v9, s12
	v_cmp_eq_u32_e64 s12, 0, v13
	v_add_nc_u16 v9, v9, v5
	s_delay_alu instid0(VALU_DEP_2) | instskip(NEXT) | instid1(VALU_DEP_2)
	v_cndmask_b32_e64 v14, v14, 0, s12
	v_and_b32_e32 v15, 0xffff, v9
	s_delay_alu instid0(VALU_DEP_2) | instskip(SKIP_1) | instid1(VALU_DEP_3)
	v_add_nc_u32_e32 v7, v14, v7
	v_cndmask_b32_e64 v5, v9, v5, s12
	v_cndmask_b32_e64 v8, v15, v8, s12
	s_delay_alu instid0(VALU_DEP_3) | instskip(NEXT) | instid1(VALU_DEP_2)
	v_cmp_eq_u32_e64 s12, 0, v7
	v_mov_b32_dpp v14, v8 row_shr:2 row_mask:0xf bank_mask:0xf
	s_delay_alu instid0(VALU_DEP_1) | instskip(SKIP_2) | instid1(VALU_DEP_3)
	v_cndmask_b32_e64 v9, 0, v14, s12
	v_mov_b32_dpp v14, v7 row_shr:2 row_mask:0xf bank_mask:0xf
	v_cmp_lt_u32_e64 s12, 1, v13
	v_add_nc_u16 v9, v9, v5
	s_delay_alu instid0(VALU_DEP_1) | instskip(NEXT) | instid1(VALU_DEP_3)
	v_and_b32_e32 v15, 0xffff, v9
	v_cndmask_b32_e64 v5, v5, v9, s12
	v_cndmask_b32_e64 v9, 0, v14, s12
	s_delay_alu instid0(VALU_DEP_3) | instskip(NEXT) | instid1(VALU_DEP_2)
	v_cndmask_b32_e64 v8, v8, v15, s12
	v_add_nc_u32_e32 v7, v7, v9
	s_delay_alu instid0(VALU_DEP_2) | instskip(NEXT) | instid1(VALU_DEP_2)
	v_mov_b32_dpp v9, v8 row_shr:4 row_mask:0xf bank_mask:0xf
	v_cmp_eq_u32_e64 s12, 0, v7
	v_mov_b32_dpp v14, v7 row_shr:4 row_mask:0xf bank_mask:0xf
	s_delay_alu instid0(VALU_DEP_2) | instskip(SKIP_1) | instid1(VALU_DEP_2)
	v_cndmask_b32_e64 v9, 0, v9, s12
	v_cmp_lt_u32_e64 s12, 3, v13
	v_add_nc_u16 v9, v9, v5
	s_delay_alu instid0(VALU_DEP_1) | instskip(NEXT) | instid1(VALU_DEP_3)
	v_and_b32_e32 v15, 0xffff, v9
	v_cndmask_b32_e64 v5, v5, v9, s12
	v_cndmask_b32_e64 v9, 0, v14, s12
	s_delay_alu instid0(VALU_DEP_3) | instskip(NEXT) | instid1(VALU_DEP_2)
	v_cndmask_b32_e64 v8, v8, v15, s12
	v_add_nc_u32_e32 v7, v9, v7
	s_delay_alu instid0(VALU_DEP_2) | instskip(NEXT) | instid1(VALU_DEP_2)
	v_mov_b32_dpp v9, v8 row_shr:8 row_mask:0xf bank_mask:0xf
	v_cmp_eq_u32_e64 s12, 0, v7
	v_mov_b32_dpp v14, v7 row_shr:8 row_mask:0xf bank_mask:0xf
	s_delay_alu instid0(VALU_DEP_2) | instskip(SKIP_1) | instid1(VALU_DEP_2)
	v_cndmask_b32_e64 v9, 0, v9, s12
	v_cmp_lt_u32_e64 s12, 7, v13
	v_add_nc_u16 v9, v9, v5
	s_delay_alu instid0(VALU_DEP_1) | instskip(SKIP_3) | instid1(VALU_DEP_3)
	v_cndmask_b32_e64 v13, v5, v9, s12
	v_cndmask_b32_e64 v5, 0, v14, s12
	v_and_b32_e32 v9, 0xffff, v9
	v_bfe_i32 v14, v77, 4, 1
	v_add_nc_u32_e32 v5, v5, v7
	s_delay_alu instid0(VALU_DEP_3)
	v_cndmask_b32_e64 v7, v8, v9, s12
	v_and_b32_e32 v9, 16, v77
	ds_swizzle_b32 v8, v5 offset:swizzle(BROADCAST,32,15)
	ds_swizzle_b32 v7, v7 offset:swizzle(BROADCAST,32,15)
	v_cmp_ne_u32_e64 s12, 0, v9
	v_cmp_eq_u32_e64 s13, 0, v5
	v_lshlrev_b32_e32 v9, 3, v78
	s_delay_alu instid0(VALU_DEP_2)
	s_and_b32 s12, s12, s13
	s_mov_b32 s13, exec_lo
	s_waitcnt lgkmcnt(1)
	v_and_b32_e32 v8, v14, v8
	s_waitcnt lgkmcnt(0)
	v_cndmask_b32_e64 v7, 0, v7, s12
	s_delay_alu instid0(VALU_DEP_2) | instskip(NEXT) | instid1(VALU_DEP_2)
	v_add_nc_u32_e32 v5, v8, v5
	v_add_nc_u16 v8, v7, v13
	v_cmpx_eq_u32_e64 v79, v0
	s_cbranch_execz .LBB399_116
; %bb.115:
	ds_store_b32 v9, v5 offset:1040
	ds_store_b16 v9, v8 offset:1044
.LBB399_116:
	s_or_b32 exec_lo, exec_lo, s13
	s_delay_alu instid0(SALU_CYCLE_1)
	s_mov_b32 s14, exec_lo
	s_waitcnt vmcnt(0) lgkmcnt(0)
	s_barrier
	buffer_gl0_inv
	v_cmpx_gt_u32_e32 8, v0
	s_cbranch_execz .LBB399_118
; %bb.117:
	v_lshlrev_b32_e32 v7, 3, v0
	v_and_b32_e32 v18, 7, v77
	ds_load_b64 v[13:14], v7 offset:1040
	v_cmp_lt_u32_e64 s13, 3, v18
	s_waitcnt lgkmcnt(0)
	v_mov_b32_dpp v15, v14 row_shr:1 row_mask:0xf bank_mask:0xf
	v_cmp_eq_u32_e64 s12, 0, v13
	v_and_b32_e32 v16, 0xffff0000, v14
	v_mov_b32_dpp v19, v13 row_shr:1 row_mask:0xf bank_mask:0xf
	s_delay_alu instid0(VALU_DEP_3) | instskip(SKIP_1) | instid1(VALU_DEP_2)
	v_cndmask_b32_e64 v15, 0, v15, s12
	v_cmp_eq_u32_e64 s12, 0, v18
	v_add_nc_u16 v15, v15, v14
	s_delay_alu instid0(VALU_DEP_2) | instskip(NEXT) | instid1(VALU_DEP_2)
	v_cndmask_b32_e64 v19, v19, 0, s12
	v_and_b32_e32 v17, 0xffff, v15
	s_delay_alu instid0(VALU_DEP_2) | instskip(NEXT) | instid1(VALU_DEP_2)
	v_add_nc_u32_e32 v13, v19, v13
	v_or_b32_e32 v17, v16, v17
	s_delay_alu instid0(VALU_DEP_1) | instskip(SKIP_1) | instid1(VALU_DEP_4)
	v_cndmask_b32_e64 v17, v17, v14, s12
	v_cndmask_b32_e64 v14, v15, v14, s12
	v_cmp_eq_u32_e64 s12, 0, v13
	s_delay_alu instid0(VALU_DEP_3) | instskip(NEXT) | instid1(VALU_DEP_1)
	v_mov_b32_dpp v19, v17 row_shr:2 row_mask:0xf bank_mask:0xf
	v_cndmask_b32_e64 v15, 0, v19, s12
	v_mov_b32_dpp v19, v13 row_shr:2 row_mask:0xf bank_mask:0xf
	v_cmp_lt_u32_e64 s12, 1, v18
	s_delay_alu instid0(VALU_DEP_3) | instskip(NEXT) | instid1(VALU_DEP_1)
	v_add_nc_u16 v15, v15, v14
	v_and_b32_e32 v20, 0xffff, v15
	s_delay_alu instid0(VALU_DEP_3) | instskip(SKIP_1) | instid1(VALU_DEP_3)
	v_cndmask_b32_e64 v14, v14, v15, s12
	v_cndmask_b32_e64 v15, 0, v19, s12
	v_or_b32_e32 v16, v16, v20
	s_delay_alu instid0(VALU_DEP_2) | instskip(NEXT) | instid1(VALU_DEP_2)
	v_add_nc_u32_e32 v13, v15, v13
	v_cndmask_b32_e64 v15, v17, v16, s12
	s_delay_alu instid0(VALU_DEP_2) | instskip(SKIP_1) | instid1(VALU_DEP_3)
	v_cmp_eq_u32_e64 s12, 0, v13
	v_mov_b32_dpp v16, v13 row_shr:4 row_mask:0xf bank_mask:0xf
	v_mov_b32_dpp v15, v15 row_shr:4 row_mask:0xf bank_mask:0xf
	s_delay_alu instid0(VALU_DEP_3) | instskip(NEXT) | instid1(VALU_DEP_2)
	s_and_b32 s12, s13, s12
	v_cndmask_b32_e64 v16, 0, v16, s13
	s_delay_alu instid0(VALU_DEP_2) | instskip(NEXT) | instid1(VALU_DEP_2)
	v_cndmask_b32_e64 v15, 0, v15, s12
	v_add_nc_u32_e32 v13, v16, v13
	s_delay_alu instid0(VALU_DEP_2)
	v_add_nc_u16 v14, v14, v15
	ds_store_b32 v7, v13 offset:1040
	ds_store_b16 v7, v14 offset:1044
.LBB399_118:
	s_or_b32 exec_lo, exec_lo, s14
	v_dual_mov_b32 v7, 0 :: v_dual_mov_b32 v14, v6
	v_mov_b32_e32 v13, 0
	s_mov_b32 s13, exec_lo
	s_waitcnt lgkmcnt(0)
	s_barrier
	buffer_gl0_inv
	v_cmpx_lt_u32_e32 31, v0
	s_cbranch_execz .LBB399_120
; %bb.119:
	ds_load_b32 v13, v9 offset:1032
	ds_load_u16 v9, v9 offset:1036
	s_waitcnt lgkmcnt(1)
	v_cmp_eq_u32_e64 s12, 0, v13
	s_delay_alu instid0(VALU_DEP_1) | instskip(SKIP_1) | instid1(VALU_DEP_1)
	v_cndmask_b32_e64 v14, 0, v6, s12
	s_waitcnt lgkmcnt(0)
	v_add_nc_u16 v14, v14, v9
.LBB399_120:
	s_or_b32 exec_lo, exec_lo, s13
	v_add_nc_u32_e32 v9, -1, v77
	v_cmp_eq_u32_e64 s12, 0, v5
	v_add_nc_u32_e32 v5, v13, v5
	v_cmp_eq_u32_e64 s13, 0, v63
	s_delay_alu instid0(VALU_DEP_3) | instskip(SKIP_1) | instid1(VALU_DEP_2)
	v_cndmask_b32_e64 v15, 0, v14, s12
	v_cmp_gt_i32_e64 s12, 0, v9
	v_add_nc_u16 v8, v15, v8
	s_delay_alu instid0(VALU_DEP_2) | instskip(SKIP_1) | instid1(VALU_DEP_3)
	v_cndmask_b32_e64 v9, v9, v77, s12
	v_cmp_eq_u32_e64 s12, 0, v77
	v_and_b32_e32 v8, 0xffff, v8
	s_delay_alu instid0(VALU_DEP_3)
	v_lshlrev_b32_e32 v9, 2, v9
	ds_bpermute_b32 v5, v9, v5
	ds_bpermute_b32 v8, v9, v8
	s_waitcnt lgkmcnt(1)
	v_cndmask_b32_e64 v5, v5, v13, s12
	s_waitcnt lgkmcnt(0)
	v_cndmask_b32_e64 v8, v8, v14, s12
	v_cmp_eq_u32_e64 s12, 0, v0
	s_delay_alu instid0(VALU_DEP_1) | instskip(SKIP_1) | instid1(VALU_DEP_2)
	v_cndmask_b32_e64 v8, v8, v6, s12
	v_cndmask_b32_e64 v41, v5, 0, s12
	;; [unrolled: 1-line block ×3, first 2 shown]
	s_delay_alu instid0(VALU_DEP_2) | instskip(SKIP_1) | instid1(VALU_DEP_3)
	v_add_nc_u32_e32 v35, v41, v63
	v_and_b32_e32 v42, 0xffff, v8
	v_add_nc_u16 v9, v9, v74
	s_delay_alu instid0(VALU_DEP_3) | instskip(NEXT) | instid1(VALU_DEP_2)
	v_add_nc_u32_e32 v37, v35, v61
	v_cndmask_b32_e64 v13, 0, v9, s11
	s_delay_alu instid0(VALU_DEP_2) | instskip(NEXT) | instid1(VALU_DEP_2)
	v_add_nc_u32_e32 v33, v37, v60
	v_add_nc_u16 v13, v13, v73
	s_delay_alu instid0(VALU_DEP_2) | instskip(NEXT) | instid1(VALU_DEP_2)
	v_add_nc_u32_e32 v21, v33, v59
	v_cndmask_b32_e64 v14, 0, v13, s10
	v_and_b32_e32 v38, 0xffff, v13
	s_delay_alu instid0(VALU_DEP_2) | instskip(NEXT) | instid1(VALU_DEP_1)
	v_add_nc_u16 v14, v14, v75
	v_cndmask_b32_e64 v15, 0, v14, s9
	v_and_b32_e32 v34, 0xffff, v14
	s_delay_alu instid0(VALU_DEP_2) | instskip(NEXT) | instid1(VALU_DEP_1)
	v_add_nc_u16 v15, v15, v71
	;; [unrolled: 4-line block ×3, first 2 shown]
	v_cndmask_b32_e64 v17, 0, v16, s6
	s_delay_alu instid0(VALU_DEP_1) | instskip(NEXT) | instid1(VALU_DEP_1)
	v_add_nc_u16 v20, v17, v69
	v_cndmask_b32_e64 v17, 0, v20, s7
	v_and_b32_e32 v20, 0xffff, v20
	s_delay_alu instid0(VALU_DEP_2) | instskip(SKIP_1) | instid1(VALU_DEP_2)
	v_add_nc_u16 v24, v17, v70
	v_add_nc_u32_e32 v17, v21, v58
	v_cndmask_b32_e64 v5, 0, v24, s5
	s_delay_alu instid0(VALU_DEP_2) | instskip(SKIP_1) | instid1(VALU_DEP_3)
	v_add_nc_u32_e32 v19, v17, v57
	v_and_b32_e32 v40, 0xffff, v24
	v_add_nc_u16 v26, v5, v67
	s_delay_alu instid0(VALU_DEP_3) | instskip(NEXT) | instid1(VALU_DEP_2)
	v_add_nc_u32_e32 v39, v19, v56
	v_cndmask_b32_e64 v5, 0, v26, s4
	s_delay_alu instid0(VALU_DEP_2) | instskip(SKIP_1) | instid1(VALU_DEP_3)
	v_add_nc_u32_e32 v43, v39, v54
	v_and_b32_e32 v44, 0xffff, v26
	v_add_nc_u16 v28, v5, v68
	s_delay_alu instid0(VALU_DEP_3) | instskip(NEXT) | instid1(VALU_DEP_2)
	v_add_nc_u32_e32 v31, v43, v53
	v_cndmask_b32_e64 v5, 0, v28, s3
	s_delay_alu instid0(VALU_DEP_2) | instskip(SKIP_1) | instid1(VALU_DEP_3)
	v_add_nc_u32_e32 v29, v31, v51
	v_and_b32_e32 v32, 0xffff, v28
	v_add_nc_u16 v30, v5, v66
	ds_load_b32 v5, v7 offset:1096
	ds_load_u16 v7, v7 offset:1100
	v_add_nc_u32_e32 v23, v29, v50
	v_cndmask_b32_e64 v18, 0, v30, s2
	v_and_b32_e32 v30, 0xffff, v30
	s_delay_alu instid0(VALU_DEP_3) | instskip(NEXT) | instid1(VALU_DEP_3)
	v_add_nc_u32_e32 v27, v23, v49
	v_add_nc_u16 v62, v18, v65
	s_delay_alu instid0(VALU_DEP_2) | instskip(NEXT) | instid1(VALU_DEP_2)
	v_add_nc_u32_e32 v25, v27, v48
	v_cndmask_b32_e64 v18, 0, v62, s1
	v_and_b32_e32 v24, 0xffff, v62
	s_delay_alu instid0(VALU_DEP_3) | instskip(NEXT) | instid1(VALU_DEP_3)
	v_add_nc_u32_e32 v15, v25, v47
	v_add_nc_u16 v64, v18, v64
	s_waitcnt lgkmcnt(1)
	v_cmp_eq_u32_e64 s1, 0, v5
	v_and_b32_e32 v18, 0xffff, v16
	s_delay_alu instid0(VALU_DEP_3) | instskip(NEXT) | instid1(VALU_DEP_3)
	v_cndmask_b32_e64 v8, 0, v64, s0
	v_cndmask_b32_e64 v6, 0, v6, s1
	v_and_b32_e32 v28, 0xffff, v64
	s_delay_alu instid0(VALU_DEP_3) | instskip(SKIP_3) | instid1(VALU_DEP_3)
	v_add_nc_u16 v8, v8, v46
	v_and_b32_e32 v36, 0xffff, v9
	s_waitcnt lgkmcnt(0)
	v_add_nc_u16 v62, v6, v7
	v_cndmask_b32_e32 v9, 0, v8, vcc_lo
	v_and_b32_e32 v26, 0xffff, v8
	s_delay_alu instid0(VALU_DEP_2) | instskip(NEXT) | instid1(VALU_DEP_1)
	v_add_nc_u16 v9, v9, v45
	v_and_b32_e32 v16, 0xffff, v9
	s_and_saveexec_b32 s0, s12
	s_cbranch_execz .LBB399_122
; %bb.121:
	v_and_b32_e32 v6, 0xff00, v62
	v_dual_mov_b32 v8, 0 :: v_dual_and_b32 v7, 0xff, v62
	s_add_u32 s2, s24, 0x200
	s_addc_u32 s3, s25, 0
	s_delay_alu instid0(VALU_DEP_1)
	v_or_b32_e32 v6, v6, v7
	v_dual_mov_b32 v7, 2 :: v_dual_mov_b32 v14, s3
	v_mov_b32_e32 v13, s2
	;;#ASMSTART
	global_store_dwordx4 v[13:14], v[5:8] off	
s_waitcnt vmcnt(0)
	;;#ASMEND
.LBB399_122:
	s_or_b32 exec_lo, exec_lo, s0
	v_mov_b32_e32 v7, 0
.LBB399_123:
	v_mov_b32_e32 v13, 0
	s_and_b32 s0, s16, exec_lo
	v_mov_b32_e32 v14, 0
	s_cselect_b32 s1, 0, s43
	s_cselect_b32 s0, 0, s42
	s_delay_alu instid0(SALU_CYCLE_1)
	s_cmp_eq_u64 s[0:1], 0
	s_barrier
	buffer_gl0_inv
	s_cbranch_scc1 .LBB399_125
; %bb.124:
	v_mov_b32_e32 v6, 0
	global_load_b64 v[13:14], v6, s[0:1]
.LBB399_125:
	v_cmp_eq_u32_e32 vcc_lo, 0, v63
	s_waitcnt vmcnt(0)
	v_lshlrev_b64 v[45:46], 1, v[13:14]
	v_cmp_ne_u32_e64 s14, 0, v63
	v_cmp_ne_u32_e64 s13, 0, v61
	v_cmp_ne_u32_e64 s12, 0, v60
	v_cndmask_b32_e64 v6, 1, 2, vcc_lo
	v_cmp_eq_u32_e32 vcc_lo, 0, v61
	v_cmp_ne_u32_e64 s11, 0, v59
	v_cmp_ne_u32_e64 s10, 0, v58
	;; [unrolled: 1-line block ×4, first 2 shown]
	v_cndmask_b32_e64 v8, 1, 2, vcc_lo
	v_cmp_eq_u32_e32 vcc_lo, 0, v60
	v_cmp_ne_u32_e64 s5, 0, v54
	v_cmp_ne_u32_e64 s8, 0, v53
	;; [unrolled: 1-line block ×3, first 2 shown]
	v_and_b32_e32 v6, v8, v6
	v_cndmask_b32_e64 v9, 1, 2, vcc_lo
	v_cmp_eq_u32_e32 vcc_lo, 0, v59
	v_cmp_ne_u32_e64 s4, 0, v50
	v_cmp_ne_u32_e64 s3, 0, v49
	;; [unrolled: 1-line block ×3, first 2 shown]
	v_and_b32_e32 v6, v6, v9
	v_cndmask_b32_e64 v8, 1, 2, vcc_lo
	v_cmp_eq_u32_e32 vcc_lo, 0, v58
	v_cmp_ne_u32_e64 s1, 0, v47
	v_cmp_ne_u32_e64 s0, 0, v52
	s_mov_b32 s16, -1
	v_and_b32_e32 v6, v6, v8
	v_cndmask_b32_e64 v9, 1, 2, vcc_lo
	v_cmp_eq_u32_e32 vcc_lo, 0, v57
	s_delay_alu instid0(VALU_DEP_2) | instskip(SKIP_2) | instid1(VALU_DEP_2)
	v_and_b32_e32 v6, v6, v9
	v_cndmask_b32_e64 v8, 1, 2, vcc_lo
	v_cmp_eq_u32_e32 vcc_lo, 0, v56
	v_and_b32_e32 v6, v6, v8
	v_cndmask_b32_e64 v9, 1, 2, vcc_lo
	v_cmp_eq_u32_e32 vcc_lo, 0, v54
	s_delay_alu instid0(VALU_DEP_2) | instskip(SKIP_2) | instid1(VALU_DEP_2)
	v_and_b32_e32 v6, v6, v9
	v_cndmask_b32_e64 v64, 1, 2, vcc_lo
	v_cmp_eq_u32_e32 vcc_lo, 0, v53
	;; [unrolled: 7-line block ×4, first 2 shown]
	v_and_b32_e32 v6, v6, v64
	v_cndmask_b32_e64 v65, 1, 2, vcc_lo
	v_mov_b32_e32 v8, 0
	v_cmp_eq_u32_e32 vcc_lo, 0, v47
	s_delay_alu instid0(VALU_DEP_3) | instskip(NEXT) | instid1(VALU_DEP_3)
	v_and_b32_e32 v65, v6, v65
	v_lshlrev_b64 v[8:9], 1, v[7:8]
	v_cndmask_b32_e64 v66, 1, 2, vcc_lo
	v_add_co_u32 v64, vcc_lo, s22, v45
	v_add_co_ci_u32_e32 v67, vcc_lo, s23, v46, vcc_lo
	s_delay_alu instid0(VALU_DEP_3) | instskip(NEXT) | instid1(VALU_DEP_3)
	v_and_b32_e32 v65, v65, v66
	v_add_co_u32 v6, vcc_lo, v64, v8
	s_delay_alu instid0(VALU_DEP_3) | instskip(SKIP_3) | instid1(VALU_DEP_2)
	v_add_co_ci_u32_e32 v64, vcc_lo, v67, v9, vcc_lo
	v_cmp_eq_u32_e32 vcc_lo, 0, v52
	v_cndmask_b32_e64 v66, 1, 2, vcc_lo
	v_cmp_gt_u32_e32 vcc_lo, 0x100, v5
	v_and_b32_e32 v65, v65, v66
	s_delay_alu instid0(VALU_DEP_1)
	v_cmp_gt_i16_e64 s15, 2, v65
	s_cbranch_vccz .LBB399_132
; %bb.126:
	s_delay_alu instid0(VALU_DEP_1)
	s_and_saveexec_b32 s16, s15
	s_cbranch_execz .LBB399_131
; %bb.127:
	s_mov_b32 s17, 0
	s_mov_b32 s15, exec_lo
	v_cmpx_ne_u16_e32 1, v65
	s_xor_b32 s15, exec_lo, s15
	s_cbranch_execnz .LBB399_188
; %bb.128:
	s_and_not1_saveexec_b32 s15, s15
	s_cbranch_execnz .LBB399_204
.LBB399_129:
	s_or_b32 exec_lo, exec_lo, s15
	s_delay_alu instid0(SALU_CYCLE_1)
	s_and_b32 exec_lo, exec_lo, s17
	s_cbranch_execz .LBB399_131
.LBB399_130:
	v_sub_nc_u32_e32 v66, v15, v7
	v_mov_b32_e32 v67, 0
	s_delay_alu instid0(VALU_DEP_1) | instskip(NEXT) | instid1(VALU_DEP_1)
	v_lshlrev_b64 v[66:67], 1, v[66:67]
	v_add_co_u32 v66, vcc_lo, v6, v66
	s_delay_alu instid0(VALU_DEP_2)
	v_add_co_ci_u32_e32 v67, vcc_lo, v64, v67, vcc_lo
	global_store_d16_hi_b16 v[66:67], v12, off
.LBB399_131:
	s_or_b32 exec_lo, exec_lo, s16
	s_mov_b32 s16, 0
.LBB399_132:
	s_delay_alu instid0(SALU_CYCLE_1)
	s_and_b32 vcc_lo, exec_lo, s16
	s_cbranch_vccz .LBB399_154
; %bb.133:
	s_mov_b32 s15, exec_lo
	v_cmpx_gt_i16_e32 2, v65
	s_cbranch_execz .LBB399_138
; %bb.134:
	s_mov_b32 s17, 0
	s_mov_b32 s16, exec_lo
	v_cmpx_ne_u16_e32 1, v65
	s_xor_b32 s16, exec_lo, s16
	s_cbranch_execnz .LBB399_205
; %bb.135:
	s_and_not1_saveexec_b32 s0, s16
	s_cbranch_execnz .LBB399_221
.LBB399_136:
	s_or_b32 exec_lo, exec_lo, s0
	s_delay_alu instid0(SALU_CYCLE_1)
	s_and_b32 exec_lo, exec_lo, s17
	s_cbranch_execz .LBB399_138
.LBB399_137:
	v_sub_nc_u32_e32 v1, v15, v7
	s_delay_alu instid0(VALU_DEP_1)
	v_lshlrev_b32_e32 v1, 1, v1
	ds_store_b16_d16_hi v1, v12
.LBB399_138:
	s_or_b32 exec_lo, exec_lo, s15
	s_delay_alu instid0(SALU_CYCLE_1)
	s_mov_b32 s1, exec_lo
	s_waitcnt lgkmcnt(0)
	s_waitcnt_vscnt null, 0x0
	s_barrier
	buffer_gl0_inv
	v_cmpx_lt_u32_e64 v0, v5
	s_cbranch_execz .LBB399_153
; %bb.139:
	v_xad_u32 v2, v0, -1, v5
	v_mov_b32_e32 v1, v0
	s_mov_b32 s0, -1
	s_mov_b32 s3, exec_lo
	s_delay_alu instid0(VALU_DEP_2)
	v_cmp_gt_u32_e64 s2, 0x1900, v2
	v_cmpx_lt_u32_e32 0x18ff, v2
	s_cbranch_execz .LBB399_150
; %bb.140:
	v_sub_nc_u32_e32 v1, v0, v5
	s_delay_alu instid0(VALU_DEP_1) | instskip(NEXT) | instid1(VALU_DEP_1)
	v_or_b32_e32 v1, 0xff, v1
	v_cmp_ge_u32_e32 vcc_lo, v1, v0
	v_mov_b32_e32 v1, v0
	s_and_saveexec_b32 s4, vcc_lo
	s_cbranch_execz .LBB399_149
; %bb.141:
	v_lshrrev_b32_e32 v4, 8, v2
	v_or_b32_e32 v1, 0x100, v0
	v_mov_b32_e32 v66, 0
	s_delay_alu instid0(VALU_DEP_3) | instskip(NEXT) | instid1(VALU_DEP_1)
	v_add_nc_u32_e32 v2, -1, v4
	v_lshrrev_b32_e32 v3, 1, v2
	v_cmp_lt_u32_e32 vcc_lo, 13, v2
	s_delay_alu instid0(VALU_DEP_2)
	v_dual_mov_b32 v3, v1 :: v_dual_add_nc_u32 v12, 1, v3
	v_mov_b32_e32 v2, v0
	s_and_saveexec_b32 s0, vcc_lo
	s_cbranch_execz .LBB399_145
; %bb.142:
	v_mov_b32_e32 v3, v1
	v_dual_mov_b32 v2, v0 :: v_dual_and_b32 v55, -8, v12
	v_lshlrev_b32_e32 v65, 1, v0
	v_mov_b32_e32 v11, 0
	s_mov_b32 s5, 0
	s_mov_b32 s6, 0
.LBB399_143:                            ; =>This Inner Loop Header: Depth=1
	v_dual_mov_b32 v10, v2 :: v_dual_add_nc_u32 v67, 0x200, v3
	s_add_i32 s6, s6, 16
	s_delay_alu instid0(SALU_CYCLE_1) | instskip(SKIP_1) | instid1(VALU_DEP_3)
	v_dual_mov_b32 v66, s6 :: v_dual_add_nc_u32 v55, -8, v55
	v_dual_mov_b32 v68, v11 :: v_dual_add_nc_u32 v69, 0x400, v3
	v_lshlrev_b64 v[81:82], 1, v[10:11]
	v_dual_mov_b32 v70, v11 :: v_dual_add_nc_u32 v71, 0x600, v3
	s_delay_alu instid0(VALU_DEP_4) | instskip(NEXT) | instid1(VALU_DEP_4)
	v_cmp_eq_u32_e32 vcc_lo, 0, v55
	v_lshlrev_b64 v[67:68], 1, v[67:68]
	v_dual_mov_b32 v72, v11 :: v_dual_add_nc_u32 v73, 0x800, v3
	s_delay_alu instid0(VALU_DEP_4)
	v_lshlrev_b64 v[69:70], 1, v[69:70]
	s_or_b32 s5, vcc_lo, s5
	v_add_co_u32 v81, vcc_lo, v6, v81
	v_dual_mov_b32 v74, v11 :: v_dual_add_nc_u32 v75, 0xa00, v3
	v_add_co_ci_u32_e32 v82, vcc_lo, v64, v82, vcc_lo
	v_lshlrev_b64 v[71:72], 1, v[71:72]
	v_add_co_u32 v67, vcc_lo, v6, v67
	v_dual_mov_b32 v76, v11 :: v_dual_add_nc_u32 v77, 0xc00, v3
	v_add_co_ci_u32_e32 v68, vcc_lo, v64, v68, vcc_lo
	v_lshlrev_b64 v[73:74], 1, v[73:74]
	;; [unrolled: 4-line block ×3, first 2 shown]
	v_add_co_u32 v71, vcc_lo, v6, v71
	v_mov_b32_e32 v80, v11
	v_dual_mov_b32 v10, v3 :: v_dual_add_nc_u32 v3, 0x1000, v3
	v_add_co_ci_u32_e32 v72, vcc_lo, v64, v72, vcc_lo
	v_lshlrev_b64 v[77:78], 1, v[77:78]
	v_add_co_u32 v73, vcc_lo, v6, v73
	ds_load_u16 v1, v65
	ds_load_u16 v87, v65 offset:512
	ds_load_u16 v88, v65 offset:1024
	;; [unrolled: 1-line block ×7, first 2 shown]
	v_add_co_ci_u32_e32 v74, vcc_lo, v64, v74, vcc_lo
	ds_load_u16 v94, v65 offset:4096
	ds_load_u16 v95, v65 offset:4608
	;; [unrolled: 1-line block ×8, first 2 shown]
	v_add_nc_u32_e32 v65, 0x2000, v65
	v_lshlrev_b64 v[79:80], 1, v[79:80]
	v_add_co_u32 v75, vcc_lo, v6, v75
	v_lshlrev_b64 v[83:84], 1, v[10:11]
	v_add_nc_u32_e32 v10, 0x200, v2
	v_add_co_ci_u32_e32 v76, vcc_lo, v64, v76, vcc_lo
	v_add_co_u32 v77, vcc_lo, v6, v77
	v_add_co_ci_u32_e32 v78, vcc_lo, v64, v78, vcc_lo
	v_add_co_u32 v79, vcc_lo, v6, v79
	v_lshlrev_b64 v[85:86], 1, v[10:11]
	v_add_nc_u32_e32 v10, 0x400, v2
	v_add_co_ci_u32_e32 v80, vcc_lo, v64, v80, vcc_lo
	v_add_co_u32 v83, vcc_lo, v6, v83
	v_add_co_ci_u32_e32 v84, vcc_lo, v64, v84, vcc_lo
	s_waitcnt lgkmcnt(15)
	global_store_b16 v[81:82], v1, off
	v_lshlrev_b64 v[81:82], 1, v[10:11]
	v_add_nc_u32_e32 v10, 0x600, v2
	v_add_co_u32 v85, vcc_lo, v6, v85
	v_add_co_ci_u32_e32 v86, vcc_lo, v64, v86, vcc_lo
	s_waitcnt lgkmcnt(14)
	global_store_b16 v[83:84], v87, off
	v_lshlrev_b64 v[83:84], 1, v[10:11]
	v_add_nc_u32_e32 v10, 0x800, v2
	s_waitcnt lgkmcnt(13)
	global_store_b16 v[85:86], v88, off
	s_waitcnt lgkmcnt(12)
	global_store_b16 v[67:68], v89, off
	v_add_co_u32 v67, vcc_lo, v6, v81
	v_add_co_ci_u32_e32 v68, vcc_lo, v64, v82, vcc_lo
	v_lshlrev_b64 v[81:82], 1, v[10:11]
	v_add_nc_u32_e32 v10, 0xa00, v2
	v_add_co_u32 v83, vcc_lo, v6, v83
	v_add_co_ci_u32_e32 v84, vcc_lo, v64, v84, vcc_lo
	s_waitcnt lgkmcnt(11)
	global_store_b16 v[67:68], v90, off
	s_waitcnt lgkmcnt(10)
	global_store_b16 v[69:70], v91, off
	v_lshlrev_b64 v[67:68], 1, v[10:11]
	v_add_nc_u32_e32 v10, 0xc00, v2
	v_add_co_u32 v69, vcc_lo, v6, v81
	s_waitcnt lgkmcnt(9)
	global_store_b16 v[83:84], v92, off
	s_waitcnt lgkmcnt(8)
	global_store_b16 v[71:72], v93, off
	v_add_co_ci_u32_e32 v70, vcc_lo, v64, v82, vcc_lo
	v_lshlrev_b64 v[71:72], 1, v[10:11]
	v_add_nc_u32_e32 v10, 0xe00, v2
	v_add_co_u32 v67, vcc_lo, v6, v67
	v_add_co_ci_u32_e32 v68, vcc_lo, v64, v68, vcc_lo
	s_waitcnt lgkmcnt(7)
	global_store_b16 v[69:70], v94, off
	s_waitcnt lgkmcnt(6)
	global_store_b16 v[73:74], v95, off
	v_lshlrev_b64 v[69:70], 1, v[10:11]
	v_add_nc_u32_e32 v2, 0x1000, v2
	s_waitcnt lgkmcnt(5)
	global_store_b16 v[67:68], v96, off
	v_add_co_u32 v67, vcc_lo, v6, v71
	v_add_co_ci_u32_e32 v68, vcc_lo, v64, v72, vcc_lo
	v_add_co_u32 v69, vcc_lo, v6, v69
	v_add_co_ci_u32_e32 v70, vcc_lo, v64, v70, vcc_lo
	s_waitcnt lgkmcnt(4)
	global_store_b16 v[75:76], v97, off
	s_waitcnt lgkmcnt(3)
	global_store_b16 v[67:68], v98, off
	;; [unrolled: 2-line block ×5, first 2 shown]
	s_and_not1_b32 exec_lo, exec_lo, s5
	s_cbranch_execnz .LBB399_143
; %bb.144:
	s_or_b32 exec_lo, exec_lo, s5
.LBB399_145:
	s_delay_alu instid0(SALU_CYCLE_1) | instskip(SKIP_3) | instid1(VALU_DEP_1)
	s_or_b32 exec_lo, exec_lo, s0
	v_and_b32_e32 v1, 7, v12
	s_mov_b32 s6, 0
	s_mov_b32 s5, exec_lo
	v_cmpx_ne_u32_e32 0, v1
	s_cbranch_execz .LBB399_148
; %bb.146:
	v_dual_mov_b32 v11, 0 :: v_dual_lshlrev_b32 v10, 1, v0
	s_delay_alu instid0(VALU_DEP_1)
	v_lshl_or_b32 v12, v66, 9, v10
	s_set_inst_prefetch_distance 0x1
	.p2align	6
.LBB399_147:                            ; =>This Inner Loop Header: Depth=1
	v_dual_mov_b32 v10, v2 :: v_dual_add_nc_u32 v1, -1, v1
	ds_load_u16 v55, v12
	ds_load_u16 v69, v12 offset:512
	v_add_nc_u32_e32 v2, 0x200, v2
	v_add_nc_u32_e32 v12, 0x400, v12
	v_lshlrev_b64 v[65:66], 1, v[10:11]
	v_dual_mov_b32 v10, v3 :: v_dual_add_nc_u32 v3, 0x200, v3
	v_cmp_eq_u32_e32 vcc_lo, 0, v1
	s_delay_alu instid0(VALU_DEP_2) | instskip(NEXT) | instid1(VALU_DEP_4)
	v_lshlrev_b64 v[67:68], 1, v[10:11]
	v_add_co_u32 v65, s0, v6, v65
	s_delay_alu instid0(VALU_DEP_1) | instskip(SKIP_1) | instid1(VALU_DEP_3)
	v_add_co_ci_u32_e64 v66, s0, v64, v66, s0
	s_or_b32 s6, vcc_lo, s6
	v_add_co_u32 v67, s0, v6, v67
	s_delay_alu instid0(VALU_DEP_1)
	v_add_co_ci_u32_e64 v68, s0, v64, v68, s0
	s_waitcnt lgkmcnt(1)
	global_store_b16 v[65:66], v55, off
	s_waitcnt lgkmcnt(0)
	global_store_b16 v[67:68], v69, off
	s_and_not1_b32 exec_lo, exec_lo, s6
	s_cbranch_execnz .LBB399_147
.LBB399_148:
	s_set_inst_prefetch_distance 0x2
	s_or_b32 exec_lo, exec_lo, s5
	v_add_nc_u32_e32 v1, 1, v4
	s_delay_alu instid0(VALU_DEP_1) | instskip(NEXT) | instid1(VALU_DEP_1)
	v_and_b32_e32 v2, 0x1fffffe, v1
	v_cmp_ne_u32_e32 vcc_lo, v1, v2
	v_lshl_or_b32 v1, v2, 8, v0
	s_or_not1_b32 s0, vcc_lo, exec_lo
.LBB399_149:
	s_or_b32 exec_lo, exec_lo, s4
	s_delay_alu instid0(SALU_CYCLE_1) | instskip(SKIP_1) | instid1(SALU_CYCLE_1)
	s_and_not1_b32 s2, s2, exec_lo
	s_and_b32 s0, s0, exec_lo
	s_or_b32 s2, s2, s0
.LBB399_150:
	s_or_b32 exec_lo, exec_lo, s3
	s_delay_alu instid0(VALU_DEP_2) | instid1(SALU_CYCLE_1)
	s_and_b32 exec_lo, exec_lo, s2
	s_cbranch_execz .LBB399_153
; %bb.151:
	v_dual_mov_b32 v2, 0 :: v_dual_lshlrev_b32 v3, 1, v1
	s_mov_b32 s2, 0
	.p2align	6
.LBB399_152:                            ; =>This Inner Loop Header: Depth=1
	ds_load_u16 v4, v3
	v_lshlrev_b64 v[10:11], 1, v[1:2]
	v_add_nc_u32_e32 v1, 0x100, v1
	v_add_nc_u32_e32 v3, 0x200, v3
	s_delay_alu instid0(VALU_DEP_2) | instskip(NEXT) | instid1(VALU_DEP_4)
	v_cmp_ge_u32_e32 vcc_lo, v1, v5
	v_add_co_u32 v10, s0, v6, v10
	s_delay_alu instid0(VALU_DEP_1)
	v_add_co_ci_u32_e64 v11, s0, v64, v11, s0
	s_or_b32 s2, vcc_lo, s2
	s_waitcnt lgkmcnt(0)
	global_store_b16 v[10:11], v4, off
	s_and_not1_b32 exec_lo, exec_lo, s2
	s_cbranch_execnz .LBB399_152
.LBB399_153:
	s_or_b32 exec_lo, exec_lo, s1
.LBB399_154:
	s_cmpk_lg_i32 s19, 0xf00
	v_cmp_eq_u32_e32 vcc_lo, 0, v0
	s_cselect_b32 s0, -1, 0
	v_cndmask_b32_e64 v2, 0, 1, s20
	s_and_b32 s0, s18, s0
	v_mad_i32_i24 v6, v0, -15, s19
	v_cndmask_b32_e64 v1, 0, 1, s0
	s_mul_hi_u32 s0, s19, 0x88888889
	s_and_b32 s1, vcc_lo, s20
	s_lshr_b32 s0, s0, 3
	v_sub_nc_u32_e32 v3, v5, v2
	v_cndmask_b32_e64 v10, v63, 0, s1
	v_cmp_eq_u32_e32 vcc_lo, s0, v0
	v_cmp_ne_u32_e64 s0, 0, v6
	s_mov_b32 s16, -1
	s_waitcnt_vscnt null, 0x0
	s_barrier
	s_and_b32 vcc_lo, s18, vcc_lo
	v_add_nc_u32_e32 v4, v3, v1
	v_cndmask_b32_e64 v3, 1, v10, s0
	v_cmp_ne_u32_e64 s0, 1, v6
	buffer_gl0_inv
	v_cndmask_b32_e32 v64, v10, v3, vcc_lo
	v_cndmask_b32_e64 v11, 1, v61, s0
	v_cmp_ne_u32_e64 s0, 14, v6
	s_delay_alu instid0(VALU_DEP_2) | instskip(NEXT) | instid1(VALU_DEP_2)
	v_cndmask_b32_e32 v61, v61, v11, vcc_lo
	v_cndmask_b32_e64 v12, 1, v52, s0
	v_cmp_ne_u32_e64 s0, 2, v6
	s_delay_alu instid0(VALU_DEP_3) | instskip(NEXT) | instid1(VALU_DEP_2)
	v_cmp_ne_u32_e64 s13, 0, v61
	v_cndmask_b32_e64 v55, 1, v60, s0
	v_cmp_ne_u32_e64 s0, 3, v6
	s_delay_alu instid0(VALU_DEP_2) | instskip(NEXT) | instid1(VALU_DEP_2)
	v_cndmask_b32_e32 v55, v60, v55, vcc_lo
	v_cndmask_b32_e64 v63, 1, v59, s0
	v_cmp_ne_u32_e64 s0, 4, v6
	s_delay_alu instid0(VALU_DEP_2) | instskip(NEXT) | instid1(VALU_DEP_2)
	v_dual_cndmask_b32 v52, v52, v12 :: v_dual_cndmask_b32 v59, v59, v63
	v_cndmask_b32_e64 v3, 1, v58, s0
	v_cmp_ne_u32_e64 s0, 5, v6
	s_delay_alu instid0(VALU_DEP_3) | instskip(NEXT) | instid1(VALU_DEP_2)
	v_cmp_ne_u32_e64 s11, 0, v59
	v_cndmask_b32_e64 v10, 1, v57, s0
	v_cmp_eq_u32_e64 s0, 0, v64
	s_delay_alu instid0(VALU_DEP_2) | instskip(NEXT) | instid1(VALU_DEP_2)
	v_dual_cndmask_b32 v58, v58, v3 :: v_dual_cndmask_b32 v57, v57, v10
	v_cndmask_b32_e64 v11, 1, 2, s0
	v_cmp_eq_u32_e64 s0, 0, v61
	s_delay_alu instid0(VALU_DEP_3) | instskip(NEXT) | instid1(VALU_DEP_4)
	v_cmp_ne_u32_e64 s10, 0, v58
	v_cmp_ne_u32_e64 s9, 0, v57
	s_delay_alu instid0(VALU_DEP_3) | instskip(SKIP_1) | instid1(VALU_DEP_2)
	v_cndmask_b32_e64 v12, 1, 2, s0
	v_cmp_ne_u32_e64 s0, 6, v6
	v_and_b32_e32 v11, v12, v11
	s_delay_alu instid0(VALU_DEP_2) | instskip(SKIP_1) | instid1(VALU_DEP_1)
	v_cndmask_b32_e64 v60, 1, v56, s0
	v_cmp_eq_u32_e64 s0, 0, v55
	v_cndmask_b32_e64 v12, 1, 2, s0
	v_cmp_ne_u32_e64 s0, 7, v6
	s_delay_alu instid0(VALU_DEP_2) | instskip(NEXT) | instid1(VALU_DEP_2)
	v_and_b32_e32 v11, v11, v12
	v_cndmask_b32_e64 v63, 1, v54, s0
	v_cmp_ne_u32_e64 s0, 8, v6
	v_cmp_ne_u32_e64 s14, 0, v64
	s_delay_alu instid0(VALU_DEP_2) | instskip(SKIP_1) | instid1(VALU_DEP_2)
	v_cndmask_b32_e64 v65, 1, v53, s0
	v_cmp_eq_u32_e64 s0, 0, v59
	v_dual_cndmask_b32 v56, v56, v60 :: v_dual_cndmask_b32 v53, v53, v65
	s_delay_alu instid0(VALU_DEP_2) | instskip(SKIP_1) | instid1(VALU_DEP_3)
	v_cndmask_b32_e64 v12, 1, 2, s0
	v_cmp_ne_u32_e64 s0, 9, v6
	v_cmp_ne_u32_e64 s8, 0, v56
	s_delay_alu instid0(VALU_DEP_4) | instskip(NEXT) | instid1(VALU_DEP_4)
	v_cmp_ne_u32_e64 s6, 0, v53
	v_and_b32_e32 v10, v11, v12
	s_delay_alu instid0(VALU_DEP_4) | instskip(SKIP_2) | instid1(VALU_DEP_3)
	v_cndmask_b32_e64 v3, 1, v51, s0
	v_cmp_eq_u32_e64 s0, 0, v58
	v_cmp_ne_u32_e64 s12, 0, v55
	v_cndmask_b32_e32 v51, v51, v3, vcc_lo
	s_delay_alu instid0(VALU_DEP_3) | instskip(SKIP_1) | instid1(VALU_DEP_3)
	v_cndmask_b32_e64 v11, 1, 2, s0
	v_cmp_ne_u32_e64 s0, 10, v6
	v_cmp_ne_u32_e64 s5, 0, v51
	s_delay_alu instid0(VALU_DEP_3) | instskip(NEXT) | instid1(VALU_DEP_3)
	v_and_b32_e32 v10, v10, v11
	v_cndmask_b32_e64 v12, 1, v50, s0
	v_cmp_ne_u32_e64 s0, 12, v6
	s_delay_alu instid0(VALU_DEP_2) | instskip(NEXT) | instid1(VALU_DEP_2)
	v_cndmask_b32_e32 v50, v50, v12, vcc_lo
	v_cndmask_b32_e64 v66, 1, v48, s0
	v_cmp_eq_u32_e64 s0, 0, v57
	s_delay_alu instid0(VALU_DEP_3) | instskip(NEXT) | instid1(VALU_DEP_3)
	v_cmp_ne_u32_e64 s4, 0, v50
	v_cndmask_b32_e32 v48, v48, v66, vcc_lo
	s_delay_alu instid0(VALU_DEP_3) | instskip(SKIP_1) | instid1(VALU_DEP_3)
	v_cndmask_b32_e64 v11, 1, 2, s0
	v_cmp_ne_u32_e64 s0, 13, v6
	v_cmp_ne_u32_e64 s2, 0, v48
	s_delay_alu instid0(VALU_DEP_2) | instskip(SKIP_1) | instid1(VALU_DEP_2)
	v_cndmask_b32_e64 v60, 1, v47, s0
	v_cmp_eq_u32_e64 s0, 0, v56
	v_dual_cndmask_b32 v47, v47, v60 :: v_dual_and_b32 v10, v10, v11
	s_delay_alu instid0(VALU_DEP_2) | instskip(SKIP_1) | instid1(VALU_DEP_3)
	v_cndmask_b32_e64 v11, 1, 2, s0
	v_cmp_ne_u32_e64 s0, 11, v6
	v_cmp_ne_u32_e64 s1, 0, v47
	s_delay_alu instid0(VALU_DEP_3) | instskip(NEXT) | instid1(VALU_DEP_3)
	v_and_b32_e32 v10, v10, v11
	v_cndmask_b32_e64 v6, 1, v49, s0
	s_delay_alu instid0(VALU_DEP_1) | instskip(NEXT) | instid1(VALU_DEP_1)
	v_dual_cndmask_b32 v54, v54, v63 :: v_dual_cndmask_b32 v49, v49, v6
	v_cmp_eq_u32_e64 s0, 0, v54
	v_cmp_eq_u32_e32 vcc_lo, 0, v53
	v_cmp_ne_u32_e64 s7, 0, v54
	s_delay_alu instid0(VALU_DEP_4) | instskip(NEXT) | instid1(VALU_DEP_4)
	v_cmp_ne_u32_e64 s3, 0, v49
	v_cndmask_b32_e64 v11, 1, 2, s0
	v_cndmask_b32_e64 v6, 1, 2, vcc_lo
	v_cmp_ne_u32_e64 s0, 0, v52
	s_delay_alu instid0(VALU_DEP_3) | instskip(SKIP_3) | instid1(VALU_DEP_4)
	v_and_b32_e32 v3, v10, v11
	v_add_co_u32 v10, vcc_lo, s36, v45
	v_add_co_ci_u32_e32 v11, vcc_lo, s37, v46, vcc_lo
	v_cmp_eq_u32_e32 vcc_lo, 0, v51
	v_and_b32_e32 v3, v3, v6
	v_cndmask_b32_e64 v6, 1, 2, vcc_lo
	v_add_co_u32 v10, vcc_lo, v10, v8
	v_add_co_ci_u32_e32 v11, vcc_lo, v11, v9, vcc_lo
	v_lshlrev_b32_e32 v8, 1, v2
	v_cmp_eq_u32_e32 vcc_lo, 0, v50
	v_and_b32_e32 v3, v3, v6
	v_cndmask_b32_e64 v6, 1, 2, vcc_lo
	s_delay_alu instid0(VALU_DEP_4) | instskip(SKIP_2) | instid1(VALU_DEP_4)
	v_add_co_u32 v8, vcc_lo, v8, v10
	v_add_co_ci_u32_e32 v9, vcc_lo, 0, v11, vcc_lo
	v_cmp_eq_u32_e32 vcc_lo, 0, v49
	v_and_b32_e32 v45, v3, v6
	v_add_nc_u32_e32 v3, v7, v2
	v_cndmask_b32_e64 v46, 1, 2, vcc_lo
	v_add_co_u32 v6, vcc_lo, v8, -2
	v_add_co_ci_u32_e32 v12, vcc_lo, -1, v9, vcc_lo
	v_cmp_eq_u32_e32 vcc_lo, 0, v48
	s_delay_alu instid0(VALU_DEP_4) | instskip(SKIP_2) | instid1(VALU_DEP_2)
	v_and_b32_e32 v8, v45, v46
	v_cndmask_b32_e64 v9, 1, 2, vcc_lo
	v_cmp_eq_u32_e32 vcc_lo, 0, v47
	v_and_b32_e32 v8, v8, v9
	v_cndmask_b32_e64 v9, 1, 2, vcc_lo
	v_cmp_eq_u32_e32 vcc_lo, 0, v52
	s_delay_alu instid0(VALU_DEP_2) | instskip(SKIP_2) | instid1(VALU_DEP_2)
	v_and_b32_e32 v8, v8, v9
	v_cndmask_b32_e64 v9, 1, 2, vcc_lo
	v_cmp_gt_u32_e32 vcc_lo, 0x100, v4
	v_and_b32_e32 v8, v8, v9
	s_delay_alu instid0(VALU_DEP_1)
	v_cmp_gt_i16_e64 s15, 2, v8
	s_cbranch_vccnz .LBB399_158
; %bb.155:
	s_and_b32 vcc_lo, exec_lo, s16
	s_cbranch_vccnz .LBB399_164
.LBB399_156:
	v_cmp_eq_u32_e32 vcc_lo, 0xff, v0
	s_and_b32 s0, vcc_lo, s18
	s_delay_alu instid0(SALU_CYCLE_1)
	s_and_saveexec_b32 s1, s0
	s_cbranch_execnz .LBB399_185
.LBB399_157:
	s_nop 0
	s_sendmsg sendmsg(MSG_DEALLOC_VGPRS)
	s_endpgm
.LBB399_158:
	s_delay_alu instid0(VALU_DEP_1)
	s_and_saveexec_b32 s16, s15
	s_cbranch_execz .LBB399_163
; %bb.159:
	s_mov_b32 s17, 0
	s_mov_b32 s15, exec_lo
	v_cmpx_ne_u16_e32 1, v8
	s_xor_b32 s15, exec_lo, s15
	s_cbranch_execnz .LBB399_222
; %bb.160:
	s_and_not1_saveexec_b32 s15, s15
	s_cbranch_execnz .LBB399_238
.LBB399_161:
	s_or_b32 exec_lo, exec_lo, s15
	s_delay_alu instid0(SALU_CYCLE_1)
	s_and_b32 exec_lo, exec_lo, s17
	s_cbranch_execz .LBB399_163
.LBB399_162:
	v_sub_nc_u32_e32 v45, v15, v3
	v_mov_b32_e32 v46, 0
	s_delay_alu instid0(VALU_DEP_1) | instskip(NEXT) | instid1(VALU_DEP_1)
	v_lshlrev_b64 v[45:46], 1, v[45:46]
	v_add_co_u32 v45, vcc_lo, v6, v45
	s_delay_alu instid0(VALU_DEP_2)
	v_add_co_ci_u32_e32 v46, vcc_lo, v12, v46, vcc_lo
	global_store_b16 v[45:46], v16, off
.LBB399_163:
	s_or_b32 exec_lo, exec_lo, s16
	s_branch .LBB399_156
.LBB399_164:
	s_mov_b32 s15, exec_lo
	v_cmpx_gt_i16_e32 2, v8
	s_cbranch_execz .LBB399_169
; %bb.165:
	s_mov_b32 s17, 0
	s_mov_b32 s16, exec_lo
	v_cmpx_ne_u16_e32 1, v8
	s_xor_b32 s16, exec_lo, s16
	s_cbranch_execnz .LBB399_239
; %bb.166:
	s_and_not1_saveexec_b32 s0, s16
	s_cbranch_execnz .LBB399_255
.LBB399_167:
	s_or_b32 exec_lo, exec_lo, s0
	s_delay_alu instid0(SALU_CYCLE_1)
	s_and_b32 exec_lo, exec_lo, s17
	s_cbranch_execz .LBB399_169
.LBB399_168:
	v_sub_nc_u32_e32 v3, v15, v3
	s_delay_alu instid0(VALU_DEP_1)
	v_lshlrev_b32_e32 v3, 1, v3
	ds_store_b16 v3, v16
.LBB399_169:
	s_or_b32 exec_lo, exec_lo, s15
	s_delay_alu instid0(SALU_CYCLE_1)
	s_mov_b32 s1, exec_lo
	s_waitcnt lgkmcnt(0)
	s_waitcnt_vscnt null, 0x0
	s_barrier
	buffer_gl0_inv
	v_cmpx_lt_u32_e64 v0, v4
	s_cbranch_execz .LBB399_184
; %bb.170:
	v_add_nc_u32_e32 v8, v5, v1
	s_mov_b32 s0, -1
	s_mov_b32 s3, exec_lo
	s_delay_alu instid0(VALU_DEP_1) | instskip(NEXT) | instid1(VALU_DEP_1)
	v_xad_u32 v1, v0, -1, v8
	v_sub_nc_u32_e32 v3, v1, v2
	v_mov_b32_e32 v1, v0
	s_delay_alu instid0(VALU_DEP_2)
	v_cmp_gt_u32_e64 s2, 0x1b00, v3
	v_cmpx_lt_u32_e32 0x1aff, v3
	s_cbranch_execz .LBB399_181
; %bb.171:
	v_sub_nc_u32_e32 v1, v0, v8
	s_delay_alu instid0(VALU_DEP_1) | instskip(NEXT) | instid1(VALU_DEP_1)
	v_add_nc_u32_e32 v1, v1, v2
	v_or_b32_e32 v1, 0xff, v1
	s_delay_alu instid0(VALU_DEP_1)
	v_cmp_ge_u32_e32 vcc_lo, v1, v0
	v_mov_b32_e32 v1, v0
	s_and_saveexec_b32 s4, vcc_lo
	s_cbranch_execz .LBB399_180
; %bb.172:
	v_lshrrev_b32_e32 v15, 8, v3
	v_or_b32_e32 v1, 0x100, v0
	v_lshlrev_b32_e32 v16, 1, v0
	s_delay_alu instid0(VALU_DEP_3) | instskip(NEXT) | instid1(VALU_DEP_1)
	v_add_nc_u32_e32 v2, -1, v15
	v_lshrrev_b32_e32 v3, 1, v2
	v_mov_b32_e32 v20, 0
	v_cmp_lt_u32_e32 vcc_lo, 13, v2
	s_delay_alu instid0(VALU_DEP_3)
	v_add_nc_u32_e32 v17, 1, v3
	v_dual_mov_b32 v3, v1 :: v_dual_mov_b32 v2, v0
	s_and_saveexec_b32 s0, vcc_lo
	s_cbranch_execz .LBB399_176
; %bb.173:
	s_delay_alu instid0(VALU_DEP_2)
	v_dual_mov_b32 v9, 0 :: v_dual_and_b32 v18, -8, v17
	v_mov_b32_e32 v19, v16
	v_dual_mov_b32 v3, v1 :: v_dual_mov_b32 v2, v0
	s_mov_b32 s5, 0
	s_mov_b32 s6, 0
.LBB399_174:                            ; =>This Inner Loop Header: Depth=1
	s_delay_alu instid0(VALU_DEP_1) | instskip(SKIP_2) | instid1(VALU_DEP_3)
	v_dual_mov_b32 v8, v2 :: v_dual_add_nc_u32 v21, 0x200, v3
	v_add_nc_u32_e32 v18, -8, v18
	v_dual_mov_b32 v22, v9 :: v_dual_add_nc_u32 v23, 0x400, v3
	v_lshlrev_b64 v[35:36], 1, v[8:9]
	v_dual_mov_b32 v24, v9 :: v_dual_add_nc_u32 v25, 0x600, v3
	s_delay_alu instid0(VALU_DEP_4) | instskip(NEXT) | instid1(VALU_DEP_4)
	v_cmp_eq_u32_e32 vcc_lo, 0, v18
	v_lshlrev_b64 v[21:22], 1, v[21:22]
	v_dual_mov_b32 v26, v9 :: v_dual_add_nc_u32 v27, 0x800, v3
	s_add_i32 s6, s6, 16
	v_lshlrev_b64 v[23:24], 1, v[23:24]
	s_or_b32 s5, vcc_lo, s5
	v_add_co_u32 v35, vcc_lo, v6, v35
	v_dual_mov_b32 v28, v9 :: v_dual_add_nc_u32 v29, 0xa00, v3
	v_add_co_ci_u32_e32 v36, vcc_lo, v12, v36, vcc_lo
	v_lshlrev_b64 v[25:26], 1, v[25:26]
	v_add_co_u32 v21, vcc_lo, v6, v21
	v_dual_mov_b32 v30, v9 :: v_dual_add_nc_u32 v31, 0xc00, v3
	v_add_co_ci_u32_e32 v22, vcc_lo, v12, v22, vcc_lo
	v_lshlrev_b64 v[27:28], 1, v[27:28]
	;; [unrolled: 4-line block ×3, first 2 shown]
	v_add_co_u32 v25, vcc_lo, v6, v25
	v_mov_b32_e32 v34, v9
	v_mov_b32_e32 v8, v3
	v_add_co_ci_u32_e32 v26, vcc_lo, v12, v26, vcc_lo
	v_lshlrev_b64 v[31:32], 1, v[31:32]
	v_add_co_u32 v27, vcc_lo, v6, v27
	ds_load_u16 v1, v19
	ds_load_u16 v41, v19 offset:512
	ds_load_u16 v42, v19 offset:1024
	;; [unrolled: 1-line block ×7, first 2 shown]
	v_add_co_ci_u32_e32 v28, vcc_lo, v12, v28, vcc_lo
	ds_load_u16 v48, v19 offset:4096
	ds_load_u16 v49, v19 offset:4608
	;; [unrolled: 1-line block ×8, first 2 shown]
	v_add_nc_u32_e32 v19, 0x2000, v19
	v_lshlrev_b64 v[33:34], 1, v[33:34]
	v_add_co_u32 v29, vcc_lo, v6, v29
	v_lshlrev_b64 v[37:38], 1, v[8:9]
	v_add_nc_u32_e32 v8, 0x200, v2
	v_add_co_ci_u32_e32 v30, vcc_lo, v12, v30, vcc_lo
	v_add_co_u32 v31, vcc_lo, v6, v31
	v_add_co_ci_u32_e32 v32, vcc_lo, v12, v32, vcc_lo
	v_add_co_u32 v33, vcc_lo, v6, v33
	v_lshlrev_b64 v[39:40], 1, v[8:9]
	v_add_nc_u32_e32 v8, 0x400, v2
	v_add_co_ci_u32_e32 v34, vcc_lo, v12, v34, vcc_lo
	v_add_co_u32 v37, vcc_lo, v6, v37
	v_add_co_ci_u32_e32 v38, vcc_lo, v12, v38, vcc_lo
	s_waitcnt lgkmcnt(15)
	global_store_b16 v[35:36], v1, off
	v_lshlrev_b64 v[35:36], 1, v[8:9]
	v_add_nc_u32_e32 v8, 0x600, v2
	v_add_co_u32 v39, vcc_lo, v6, v39
	v_add_co_ci_u32_e32 v40, vcc_lo, v12, v40, vcc_lo
	s_waitcnt lgkmcnt(14)
	global_store_b16 v[37:38], v41, off
	v_lshlrev_b64 v[37:38], 1, v[8:9]
	v_add_nc_u32_e32 v8, 0x800, v2
	s_waitcnt lgkmcnt(13)
	global_store_b16 v[39:40], v42, off
	s_waitcnt lgkmcnt(12)
	global_store_b16 v[21:22], v43, off
	v_add_co_u32 v21, vcc_lo, v6, v35
	v_add_co_ci_u32_e32 v22, vcc_lo, v12, v36, vcc_lo
	v_lshlrev_b64 v[35:36], 1, v[8:9]
	v_add_nc_u32_e32 v8, 0xa00, v2
	v_add_co_u32 v37, vcc_lo, v6, v37
	v_add_co_ci_u32_e32 v38, vcc_lo, v12, v38, vcc_lo
	s_waitcnt lgkmcnt(11)
	global_store_b16 v[21:22], v44, off
	s_waitcnt lgkmcnt(10)
	global_store_b16 v[23:24], v45, off
	v_lshlrev_b64 v[21:22], 1, v[8:9]
	v_add_nc_u32_e32 v8, 0xc00, v2
	v_add_co_u32 v23, vcc_lo, v6, v35
	s_waitcnt lgkmcnt(9)
	global_store_b16 v[37:38], v46, off
	s_waitcnt lgkmcnt(8)
	global_store_b16 v[25:26], v47, off
	v_add_co_ci_u32_e32 v24, vcc_lo, v12, v36, vcc_lo
	v_lshlrev_b64 v[25:26], 1, v[8:9]
	v_add_nc_u32_e32 v8, 0xe00, v2
	v_add_co_u32 v21, vcc_lo, v6, v21
	v_add_co_ci_u32_e32 v22, vcc_lo, v12, v22, vcc_lo
	s_waitcnt lgkmcnt(7)
	global_store_b16 v[23:24], v48, off
	s_waitcnt lgkmcnt(6)
	global_store_b16 v[27:28], v49, off
	v_lshlrev_b64 v[23:24], 1, v[8:9]
	v_dual_mov_b32 v20, s6 :: v_dual_add_nc_u32 v3, 0x1000, v3
	s_waitcnt lgkmcnt(5)
	global_store_b16 v[21:22], v50, off
	v_add_co_u32 v21, vcc_lo, v6, v25
	v_add_nc_u32_e32 v2, 0x1000, v2
	v_add_co_ci_u32_e32 v22, vcc_lo, v12, v26, vcc_lo
	v_add_co_u32 v23, vcc_lo, v6, v23
	v_add_co_ci_u32_e32 v24, vcc_lo, v12, v24, vcc_lo
	s_waitcnt lgkmcnt(4)
	global_store_b16 v[29:30], v51, off
	s_waitcnt lgkmcnt(3)
	global_store_b16 v[21:22], v52, off
	;; [unrolled: 2-line block ×5, first 2 shown]
	s_and_not1_b32 exec_lo, exec_lo, s5
	s_cbranch_execnz .LBB399_174
; %bb.175:
	s_or_b32 exec_lo, exec_lo, s5
.LBB399_176:
	s_delay_alu instid0(SALU_CYCLE_1) | instskip(SKIP_3) | instid1(VALU_DEP_1)
	s_or_b32 exec_lo, exec_lo, s0
	v_and_b32_e32 v1, 7, v17
	s_mov_b32 s6, 0
	s_mov_b32 s5, exec_lo
	v_cmpx_ne_u32_e32 0, v1
	s_cbranch_execz .LBB399_179
; %bb.177:
	v_lshl_or_b32 v16, v20, 9, v16
	v_mov_b32_e32 v9, 0
	s_set_inst_prefetch_distance 0x1
	.p2align	6
.LBB399_178:                            ; =>This Inner Loop Header: Depth=1
	v_dual_mov_b32 v8, v2 :: v_dual_add_nc_u32 v1, -1, v1
	ds_load_u16 v21, v16
	ds_load_u16 v22, v16 offset:512
	v_add_nc_u32_e32 v2, 0x200, v2
	v_add_nc_u32_e32 v16, 0x400, v16
	v_lshlrev_b64 v[17:18], 1, v[8:9]
	v_dual_mov_b32 v8, v3 :: v_dual_add_nc_u32 v3, 0x200, v3
	v_cmp_eq_u32_e32 vcc_lo, 0, v1
	s_delay_alu instid0(VALU_DEP_2) | instskip(NEXT) | instid1(VALU_DEP_4)
	v_lshlrev_b64 v[19:20], 1, v[8:9]
	v_add_co_u32 v17, s0, v6, v17
	s_delay_alu instid0(VALU_DEP_1) | instskip(SKIP_1) | instid1(VALU_DEP_3)
	v_add_co_ci_u32_e64 v18, s0, v12, v18, s0
	s_or_b32 s6, vcc_lo, s6
	v_add_co_u32 v19, s0, v6, v19
	s_delay_alu instid0(VALU_DEP_1)
	v_add_co_ci_u32_e64 v20, s0, v12, v20, s0
	s_waitcnt lgkmcnt(1)
	global_store_b16 v[17:18], v21, off
	s_waitcnt lgkmcnt(0)
	global_store_b16 v[19:20], v22, off
	s_and_not1_b32 exec_lo, exec_lo, s6
	s_cbranch_execnz .LBB399_178
.LBB399_179:
	s_set_inst_prefetch_distance 0x2
	s_or_b32 exec_lo, exec_lo, s5
	v_add_nc_u32_e32 v1, 1, v15
	s_delay_alu instid0(VALU_DEP_1) | instskip(NEXT) | instid1(VALU_DEP_1)
	v_and_b32_e32 v2, 0x1fffffe, v1
	v_cmp_ne_u32_e32 vcc_lo, v1, v2
	v_lshl_or_b32 v1, v2, 8, v0
	s_or_not1_b32 s0, vcc_lo, exec_lo
.LBB399_180:
	s_or_b32 exec_lo, exec_lo, s4
	s_delay_alu instid0(SALU_CYCLE_1) | instskip(SKIP_1) | instid1(SALU_CYCLE_1)
	s_and_not1_b32 s2, s2, exec_lo
	s_and_b32 s0, s0, exec_lo
	s_or_b32 s2, s2, s0
.LBB399_181:
	s_or_b32 exec_lo, exec_lo, s3
	s_delay_alu instid0(VALU_DEP_2) | instid1(SALU_CYCLE_1)
	s_and_b32 exec_lo, exec_lo, s2
	s_cbranch_execz .LBB399_184
; %bb.182:
	v_dual_mov_b32 v2, 0 :: v_dual_lshlrev_b32 v3, 1, v1
	s_mov_b32 s2, 0
	.p2align	6
.LBB399_183:                            ; =>This Inner Loop Header: Depth=1
	ds_load_u16 v15, v3
	v_lshlrev_b64 v[8:9], 1, v[1:2]
	v_add_nc_u32_e32 v1, 0x100, v1
	v_add_nc_u32_e32 v3, 0x200, v3
	s_delay_alu instid0(VALU_DEP_2) | instskip(NEXT) | instid1(VALU_DEP_4)
	v_cmp_ge_u32_e32 vcc_lo, v1, v4
	v_add_co_u32 v8, s0, v6, v8
	s_delay_alu instid0(VALU_DEP_1)
	v_add_co_ci_u32_e64 v9, s0, v12, v9, s0
	s_or_b32 s2, vcc_lo, s2
	s_waitcnt lgkmcnt(0)
	global_store_b16 v[8:9], v15, off
	s_and_not1_b32 exec_lo, exec_lo, s2
	s_cbranch_execnz .LBB399_183
.LBB399_184:
	s_or_b32 exec_lo, exec_lo, s1
	v_cmp_eq_u32_e32 vcc_lo, 0xff, v0
	s_and_b32 s0, vcc_lo, s18
	s_delay_alu instid0(SALU_CYCLE_1)
	s_and_saveexec_b32 s1, s0
	s_cbranch_execz .LBB399_157
.LBB399_185:
	v_add_co_u32 v0, s0, v5, v7
	s_delay_alu instid0(VALU_DEP_1) | instskip(SKIP_1) | instid1(VALU_DEP_3)
	v_add_co_ci_u32_e64 v1, null, 0, 0, s0
	v_mov_b32_e32 v6, 0
	v_add_co_u32 v0, vcc_lo, v0, v13
	s_delay_alu instid0(VALU_DEP_3)
	v_add_co_ci_u32_e32 v1, vcc_lo, v1, v14, vcc_lo
	s_cmpk_lg_i32 s19, 0xf00
	global_store_b64 v6, v[0:1], s[38:39]
	s_cbranch_scc1 .LBB399_157
; %bb.186:
	v_lshlrev_b64 v[0:1], 1, v[5:6]
	s_delay_alu instid0(VALU_DEP_1) | instskip(NEXT) | instid1(VALU_DEP_2)
	v_add_co_u32 v0, vcc_lo, v10, v0
	v_add_co_ci_u32_e32 v1, vcc_lo, v11, v1, vcc_lo
	global_store_b16 v[0:1], v62, off offset:-2
	s_nop 0
	s_sendmsg sendmsg(MSG_DEALLOC_VGPRS)
	s_endpgm
.LBB399_187:
	s_or_b32 exec_lo, exec_lo, s1
	v_mov_b32_e32 v63, s5
	s_and_saveexec_b32 s1, s28
	s_cbranch_execnz .LBB399_84
	s_branch .LBB399_85
.LBB399_188:
	s_and_saveexec_b32 s17, s14
	s_cbranch_execnz .LBB399_256
; %bb.189:
	s_or_b32 exec_lo, exec_lo, s17
	s_and_saveexec_b32 s17, s13
	s_cbranch_execnz .LBB399_257
.LBB399_190:
	s_or_b32 exec_lo, exec_lo, s17
	s_and_saveexec_b32 s17, s12
	s_cbranch_execnz .LBB399_258
.LBB399_191:
	s_or_b32 exec_lo, exec_lo, s17
	s_and_saveexec_b32 s17, s11
	s_cbranch_execnz .LBB399_259
.LBB399_192:
	s_or_b32 exec_lo, exec_lo, s17
	s_and_saveexec_b32 s17, s10
	s_cbranch_execnz .LBB399_260
.LBB399_193:
	s_or_b32 exec_lo, exec_lo, s17
	s_and_saveexec_b32 s17, s9
	s_cbranch_execnz .LBB399_261
.LBB399_194:
	s_or_b32 exec_lo, exec_lo, s17
	s_and_saveexec_b32 s17, s7
	s_cbranch_execnz .LBB399_262
.LBB399_195:
	s_or_b32 exec_lo, exec_lo, s17
	s_and_saveexec_b32 s17, s5
	s_cbranch_execnz .LBB399_263
.LBB399_196:
	s_or_b32 exec_lo, exec_lo, s17
	s_and_saveexec_b32 s17, s8
	s_cbranch_execnz .LBB399_264
.LBB399_197:
	s_or_b32 exec_lo, exec_lo, s17
	s_and_saveexec_b32 s17, s6
	s_cbranch_execnz .LBB399_265
.LBB399_198:
	s_or_b32 exec_lo, exec_lo, s17
	s_and_saveexec_b32 s17, s4
	s_cbranch_execnz .LBB399_266
.LBB399_199:
	s_or_b32 exec_lo, exec_lo, s17
	s_and_saveexec_b32 s17, s3
	s_cbranch_execnz .LBB399_267
.LBB399_200:
	s_or_b32 exec_lo, exec_lo, s17
	s_and_saveexec_b32 s17, s2
	s_cbranch_execnz .LBB399_268
.LBB399_201:
	s_or_b32 exec_lo, exec_lo, s17
	s_and_saveexec_b32 s17, s1
	s_cbranch_execz .LBB399_203
.LBB399_202:
	v_sub_nc_u32_e32 v66, v25, v7
	v_mov_b32_e32 v67, 0
	s_delay_alu instid0(VALU_DEP_1) | instskip(NEXT) | instid1(VALU_DEP_1)
	v_lshlrev_b64 v[66:67], 1, v[66:67]
	v_add_co_u32 v66, vcc_lo, v6, v66
	s_delay_alu instid0(VALU_DEP_2)
	v_add_co_ci_u32_e32 v67, vcc_lo, v64, v67, vcc_lo
	global_store_b16 v[66:67], v12, off
.LBB399_203:
	s_or_b32 exec_lo, exec_lo, s17
	s_delay_alu instid0(SALU_CYCLE_1)
	s_and_b32 s17, s0, exec_lo
	s_and_not1_saveexec_b32 s15, s15
	s_cbranch_execz .LBB399_129
.LBB399_204:
	v_sub_nc_u32_e32 v66, v41, v7
	v_mov_b32_e32 v67, 0
	s_or_b32 s17, s17, exec_lo
	s_delay_alu instid0(VALU_DEP_1) | instskip(SKIP_1) | instid1(VALU_DEP_1)
	v_lshlrev_b64 v[68:69], 1, v[66:67]
	v_sub_nc_u32_e32 v66, v35, v7
	v_lshlrev_b64 v[70:71], 1, v[66:67]
	v_sub_nc_u32_e32 v66, v37, v7
	s_delay_alu instid0(VALU_DEP_4) | instskip(SKIP_1) | instid1(VALU_DEP_3)
	v_add_co_u32 v68, vcc_lo, v6, v68
	v_add_co_ci_u32_e32 v69, vcc_lo, v64, v69, vcc_lo
	v_lshlrev_b64 v[72:73], 1, v[66:67]
	v_sub_nc_u32_e32 v66, v33, v7
	v_add_co_u32 v70, vcc_lo, v6, v70
	v_add_co_ci_u32_e32 v71, vcc_lo, v64, v71, vcc_lo
	global_store_b16 v[68:69], v55, off
	v_lshlrev_b64 v[68:69], 1, v[66:67]
	v_sub_nc_u32_e32 v66, v21, v7
	global_store_b16 v[70:71], v1, off
	v_add_co_u32 v70, vcc_lo, v6, v72
	v_add_co_ci_u32_e32 v71, vcc_lo, v64, v73, vcc_lo
	v_lshlrev_b64 v[72:73], 1, v[66:67]
	v_sub_nc_u32_e32 v66, v17, v7
	v_add_co_u32 v68, vcc_lo, v6, v68
	v_add_co_ci_u32_e32 v69, vcc_lo, v64, v69, vcc_lo
	s_delay_alu instid0(VALU_DEP_3) | instskip(SKIP_3) | instid1(VALU_DEP_3)
	v_lshlrev_b64 v[74:75], 1, v[66:67]
	v_sub_nc_u32_e32 v66, v19, v7
	v_add_co_u32 v72, vcc_lo, v6, v72
	v_add_co_ci_u32_e32 v73, vcc_lo, v64, v73, vcc_lo
	v_lshlrev_b64 v[76:77], 1, v[66:67]
	v_sub_nc_u32_e32 v66, v39, v7
	v_add_co_u32 v74, vcc_lo, v6, v74
	v_add_co_ci_u32_e32 v75, vcc_lo, v64, v75, vcc_lo
	s_clause 0x3
	global_store_d16_hi_b16 v[70:71], v1, off
	global_store_b16 v[68:69], v2, off
	global_store_d16_hi_b16 v[72:73], v2, off
	global_store_b16 v[74:75], v3, off
	v_lshlrev_b64 v[68:69], 1, v[66:67]
	v_sub_nc_u32_e32 v66, v43, v7
	v_add_co_u32 v70, vcc_lo, v6, v76
	v_add_co_ci_u32_e32 v71, vcc_lo, v64, v77, vcc_lo
	s_delay_alu instid0(VALU_DEP_3) | instskip(SKIP_3) | instid1(VALU_DEP_3)
	v_lshlrev_b64 v[72:73], 1, v[66:67]
	v_sub_nc_u32_e32 v66, v31, v7
	v_add_co_u32 v68, vcc_lo, v6, v68
	v_add_co_ci_u32_e32 v69, vcc_lo, v64, v69, vcc_lo
	v_lshlrev_b64 v[74:75], 1, v[66:67]
	v_sub_nc_u32_e32 v66, v29, v7
	v_add_co_u32 v72, vcc_lo, v6, v72
	v_add_co_ci_u32_e32 v73, vcc_lo, v64, v73, vcc_lo
	s_delay_alu instid0(VALU_DEP_3)
	v_lshlrev_b64 v[76:77], 1, v[66:67]
	v_sub_nc_u32_e32 v66, v23, v7
	v_add_co_u32 v74, vcc_lo, v6, v74
	v_add_co_ci_u32_e32 v75, vcc_lo, v64, v75, vcc_lo
	s_clause 0x3
	global_store_d16_hi_b16 v[70:71], v3, off
	global_store_b16 v[68:69], v4, off
	global_store_d16_hi_b16 v[72:73], v4, off
	global_store_b16 v[74:75], v10, off
	v_lshlrev_b64 v[68:69], 1, v[66:67]
	v_sub_nc_u32_e32 v66, v27, v7
	v_add_co_u32 v70, vcc_lo, v6, v76
	v_add_co_ci_u32_e32 v71, vcc_lo, v64, v77, vcc_lo
	s_delay_alu instid0(VALU_DEP_3) | instskip(SKIP_3) | instid1(VALU_DEP_3)
	v_lshlrev_b64 v[72:73], 1, v[66:67]
	v_sub_nc_u32_e32 v66, v25, v7
	v_add_co_u32 v68, vcc_lo, v6, v68
	v_add_co_ci_u32_e32 v69, vcc_lo, v64, v69, vcc_lo
	v_lshlrev_b64 v[66:67], 1, v[66:67]
	v_add_co_u32 v72, vcc_lo, v6, v72
	v_add_co_ci_u32_e32 v73, vcc_lo, v64, v73, vcc_lo
	s_clause 0x2
	global_store_d16_hi_b16 v[70:71], v10, off
	global_store_b16 v[68:69], v11, off
	global_store_d16_hi_b16 v[72:73], v11, off
	v_add_co_u32 v66, vcc_lo, v6, v66
	v_add_co_ci_u32_e32 v67, vcc_lo, v64, v67, vcc_lo
	global_store_b16 v[66:67], v12, off
	s_or_b32 exec_lo, exec_lo, s15
	s_delay_alu instid0(SALU_CYCLE_1)
	s_and_b32 exec_lo, exec_lo, s17
	s_cbranch_execnz .LBB399_130
	s_branch .LBB399_131
.LBB399_205:
	s_and_saveexec_b32 s17, s14
	s_cbranch_execnz .LBB399_269
; %bb.206:
	s_or_b32 exec_lo, exec_lo, s17
	s_and_saveexec_b32 s14, s13
	s_cbranch_execnz .LBB399_270
.LBB399_207:
	s_or_b32 exec_lo, exec_lo, s14
	s_and_saveexec_b32 s13, s12
	s_cbranch_execnz .LBB399_271
.LBB399_208:
	s_or_b32 exec_lo, exec_lo, s13
	s_and_saveexec_b32 s12, s11
	s_cbranch_execnz .LBB399_272
.LBB399_209:
	s_or_b32 exec_lo, exec_lo, s12
	s_and_saveexec_b32 s11, s10
	s_cbranch_execnz .LBB399_273
.LBB399_210:
	s_or_b32 exec_lo, exec_lo, s11
	s_and_saveexec_b32 s10, s9
	s_cbranch_execnz .LBB399_274
.LBB399_211:
	s_or_b32 exec_lo, exec_lo, s10
	s_and_saveexec_b32 s9, s7
	s_cbranch_execnz .LBB399_275
.LBB399_212:
	s_or_b32 exec_lo, exec_lo, s9
	s_and_saveexec_b32 s7, s5
	s_cbranch_execnz .LBB399_276
.LBB399_213:
	s_or_b32 exec_lo, exec_lo, s7
	s_and_saveexec_b32 s5, s8
	s_cbranch_execnz .LBB399_277
.LBB399_214:
	s_or_b32 exec_lo, exec_lo, s5
	s_and_saveexec_b32 s5, s6
	s_cbranch_execnz .LBB399_278
.LBB399_215:
	s_or_b32 exec_lo, exec_lo, s5
	s_and_saveexec_b32 s5, s4
	s_cbranch_execnz .LBB399_279
.LBB399_216:
	s_or_b32 exec_lo, exec_lo, s5
	s_and_saveexec_b32 s4, s3
	s_cbranch_execnz .LBB399_280
.LBB399_217:
	s_or_b32 exec_lo, exec_lo, s4
	s_and_saveexec_b32 s3, s2
	s_cbranch_execnz .LBB399_281
.LBB399_218:
	s_or_b32 exec_lo, exec_lo, s3
	s_and_saveexec_b32 s2, s1
	s_cbranch_execz .LBB399_220
.LBB399_219:
	v_sub_nc_u32_e32 v1, v25, v7
	s_delay_alu instid0(VALU_DEP_1)
	v_lshlrev_b32_e32 v1, 1, v1
	ds_store_b16 v1, v12
.LBB399_220:
	s_or_b32 exec_lo, exec_lo, s2
	s_delay_alu instid0(SALU_CYCLE_1)
	s_and_b32 s17, s0, exec_lo
                                        ; implicit-def: $vgpr55
                                        ; implicit-def: $vgpr1
	s_and_not1_saveexec_b32 s0, s16
	s_cbranch_execz .LBB399_136
.LBB399_221:
	v_sub_nc_u32_e32 v65, v41, v7
	v_sub_nc_u32_e32 v66, v35, v7
	;; [unrolled: 1-line block ×4, first 2 shown]
	s_or_b32 s17, s17, exec_lo
	v_lshlrev_b32_e32 v65, 1, v65
	v_lshlrev_b32_e32 v66, 1, v66
	v_lshlrev_b32_e32 v67, 1, v67
	v_lshlrev_b32_e32 v68, 1, v68
	ds_store_b16 v65, v55
	ds_store_b16 v66, v1
	ds_store_b16_d16_hi v67, v1
	v_sub_nc_u32_e32 v1, v21, v7
	v_sub_nc_u32_e32 v55, v17, v7
	;; [unrolled: 1-line block ×5, first 2 shown]
	v_lshlrev_b32_e32 v1, 1, v1
	ds_store_b16 v68, v2
	v_lshlrev_b32_e32 v55, 1, v55
	v_lshlrev_b32_e32 v65, 1, v65
	;; [unrolled: 1-line block ×3, first 2 shown]
	ds_store_b16_d16_hi v1, v2
	v_lshlrev_b32_e32 v1, 1, v67
	v_sub_nc_u32_e32 v2, v31, v7
	ds_store_b16 v55, v3
	ds_store_b16_d16_hi v65, v3
	ds_store_b16 v66, v4
	v_sub_nc_u32_e32 v55, v25, v7
	v_sub_nc_u32_e32 v3, v23, v7
	ds_store_b16_d16_hi v1, v4
	v_sub_nc_u32_e32 v1, v29, v7
	v_lshlrev_b32_e32 v2, 1, v2
	v_sub_nc_u32_e32 v4, v27, v7
	v_lshlrev_b32_e32 v3, 1, v3
	s_delay_alu instid0(VALU_DEP_4)
	v_lshlrev_b32_e32 v1, 1, v1
	ds_store_b16 v2, v10
	v_lshlrev_b32_e32 v2, 1, v55
	v_lshlrev_b32_e32 v4, 1, v4
	ds_store_b16_d16_hi v1, v10
	ds_store_b16 v3, v11
	ds_store_b16_d16_hi v4, v11
	ds_store_b16 v2, v12
	s_or_b32 exec_lo, exec_lo, s0
	s_delay_alu instid0(SALU_CYCLE_1)
	s_and_b32 exec_lo, exec_lo, s17
	s_cbranch_execnz .LBB399_137
	s_branch .LBB399_138
.LBB399_222:
	s_and_saveexec_b32 s17, s14
	s_cbranch_execnz .LBB399_282
; %bb.223:
	s_or_b32 exec_lo, exec_lo, s17
	s_and_saveexec_b32 s17, s13
	s_cbranch_execnz .LBB399_283
.LBB399_224:
	s_or_b32 exec_lo, exec_lo, s17
	s_and_saveexec_b32 s17, s12
	s_cbranch_execnz .LBB399_284
.LBB399_225:
	s_or_b32 exec_lo, exec_lo, s17
	s_and_saveexec_b32 s17, s11
	s_cbranch_execnz .LBB399_285
.LBB399_226:
	s_or_b32 exec_lo, exec_lo, s17
	s_and_saveexec_b32 s17, s10
	s_cbranch_execnz .LBB399_286
.LBB399_227:
	s_or_b32 exec_lo, exec_lo, s17
	s_and_saveexec_b32 s17, s9
	s_cbranch_execnz .LBB399_287
.LBB399_228:
	s_or_b32 exec_lo, exec_lo, s17
	s_and_saveexec_b32 s17, s8
	s_cbranch_execnz .LBB399_288
.LBB399_229:
	s_or_b32 exec_lo, exec_lo, s17
	s_and_saveexec_b32 s17, s7
	s_cbranch_execnz .LBB399_289
.LBB399_230:
	s_or_b32 exec_lo, exec_lo, s17
	s_and_saveexec_b32 s17, s6
	s_cbranch_execnz .LBB399_290
.LBB399_231:
	s_or_b32 exec_lo, exec_lo, s17
	s_and_saveexec_b32 s17, s5
	s_cbranch_execnz .LBB399_291
.LBB399_232:
	s_or_b32 exec_lo, exec_lo, s17
	s_and_saveexec_b32 s17, s4
	s_cbranch_execnz .LBB399_292
.LBB399_233:
	s_or_b32 exec_lo, exec_lo, s17
	s_and_saveexec_b32 s17, s3
	s_cbranch_execnz .LBB399_293
.LBB399_234:
	s_or_b32 exec_lo, exec_lo, s17
	s_and_saveexec_b32 s17, s2
	s_cbranch_execnz .LBB399_294
.LBB399_235:
	s_or_b32 exec_lo, exec_lo, s17
	s_and_saveexec_b32 s17, s1
	s_cbranch_execz .LBB399_237
.LBB399_236:
	v_sub_nc_u32_e32 v45, v25, v3
	v_mov_b32_e32 v46, 0
	s_delay_alu instid0(VALU_DEP_1) | instskip(NEXT) | instid1(VALU_DEP_1)
	v_lshlrev_b64 v[45:46], 1, v[45:46]
	v_add_co_u32 v45, vcc_lo, v6, v45
	s_delay_alu instid0(VALU_DEP_2)
	v_add_co_ci_u32_e32 v46, vcc_lo, v12, v46, vcc_lo
	global_store_b16 v[45:46], v26, off
.LBB399_237:
	s_or_b32 exec_lo, exec_lo, s17
	s_delay_alu instid0(SALU_CYCLE_1)
	s_and_b32 s17, s0, exec_lo
	s_and_not1_saveexec_b32 s15, s15
	s_cbranch_execz .LBB399_161
.LBB399_238:
	v_sub_nc_u32_e32 v45, v41, v3
	v_mov_b32_e32 v46, 0
	s_or_b32 s17, s17, exec_lo
	s_delay_alu instid0(VALU_DEP_1) | instskip(SKIP_1) | instid1(VALU_DEP_1)
	v_lshlrev_b64 v[47:48], 1, v[45:46]
	v_sub_nc_u32_e32 v45, v35, v3
	v_lshlrev_b64 v[49:50], 1, v[45:46]
	v_sub_nc_u32_e32 v45, v37, v3
	s_delay_alu instid0(VALU_DEP_4) | instskip(SKIP_1) | instid1(VALU_DEP_3)
	v_add_co_u32 v47, vcc_lo, v6, v47
	v_add_co_ci_u32_e32 v48, vcc_lo, v12, v48, vcc_lo
	v_lshlrev_b64 v[51:52], 1, v[45:46]
	v_sub_nc_u32_e32 v45, v33, v3
	v_add_co_u32 v49, vcc_lo, v6, v49
	v_add_co_ci_u32_e32 v50, vcc_lo, v12, v50, vcc_lo
	global_store_b16 v[47:48], v42, off
	v_lshlrev_b64 v[47:48], 1, v[45:46]
	v_sub_nc_u32_e32 v45, v21, v3
	global_store_b16 v[49:50], v36, off
	v_add_co_u32 v49, vcc_lo, v6, v51
	v_add_co_ci_u32_e32 v50, vcc_lo, v12, v52, vcc_lo
	v_lshlrev_b64 v[51:52], 1, v[45:46]
	v_sub_nc_u32_e32 v45, v17, v3
	v_add_co_u32 v47, vcc_lo, v6, v47
	v_add_co_ci_u32_e32 v48, vcc_lo, v12, v48, vcc_lo
	s_delay_alu instid0(VALU_DEP_3) | instskip(SKIP_3) | instid1(VALU_DEP_3)
	v_lshlrev_b64 v[53:54], 1, v[45:46]
	v_sub_nc_u32_e32 v45, v19, v3
	v_add_co_u32 v51, vcc_lo, v6, v51
	v_add_co_ci_u32_e32 v52, vcc_lo, v12, v52, vcc_lo
	v_lshlrev_b64 v[55:56], 1, v[45:46]
	v_sub_nc_u32_e32 v45, v39, v3
	v_add_co_u32 v53, vcc_lo, v6, v53
	v_add_co_ci_u32_e32 v54, vcc_lo, v12, v54, vcc_lo
	s_clause 0x3
	global_store_b16 v[49:50], v38, off
	global_store_b16 v[47:48], v34, off
	;; [unrolled: 1-line block ×4, first 2 shown]
	v_lshlrev_b64 v[47:48], 1, v[45:46]
	v_sub_nc_u32_e32 v45, v43, v3
	v_add_co_u32 v49, vcc_lo, v6, v55
	v_add_co_ci_u32_e32 v50, vcc_lo, v12, v56, vcc_lo
	s_delay_alu instid0(VALU_DEP_3) | instskip(SKIP_3) | instid1(VALU_DEP_3)
	v_lshlrev_b64 v[51:52], 1, v[45:46]
	v_sub_nc_u32_e32 v45, v31, v3
	v_add_co_u32 v47, vcc_lo, v6, v47
	v_add_co_ci_u32_e32 v48, vcc_lo, v12, v48, vcc_lo
	v_lshlrev_b64 v[53:54], 1, v[45:46]
	v_sub_nc_u32_e32 v45, v29, v3
	v_add_co_u32 v51, vcc_lo, v6, v51
	v_add_co_ci_u32_e32 v52, vcc_lo, v12, v52, vcc_lo
	s_delay_alu instid0(VALU_DEP_3)
	v_lshlrev_b64 v[55:56], 1, v[45:46]
	v_sub_nc_u32_e32 v45, v23, v3
	v_add_co_u32 v53, vcc_lo, v6, v53
	v_add_co_ci_u32_e32 v54, vcc_lo, v12, v54, vcc_lo
	s_clause 0x3
	global_store_b16 v[49:50], v20, off
	global_store_b16 v[47:48], v40, off
	;; [unrolled: 1-line block ×4, first 2 shown]
	v_lshlrev_b64 v[47:48], 1, v[45:46]
	v_sub_nc_u32_e32 v45, v27, v3
	v_add_co_u32 v49, vcc_lo, v6, v55
	v_add_co_ci_u32_e32 v50, vcc_lo, v12, v56, vcc_lo
	s_delay_alu instid0(VALU_DEP_3) | instskip(SKIP_3) | instid1(VALU_DEP_3)
	v_lshlrev_b64 v[51:52], 1, v[45:46]
	v_sub_nc_u32_e32 v45, v25, v3
	v_add_co_u32 v47, vcc_lo, v6, v47
	v_add_co_ci_u32_e32 v48, vcc_lo, v12, v48, vcc_lo
	v_lshlrev_b64 v[45:46], 1, v[45:46]
	v_add_co_u32 v51, vcc_lo, v6, v51
	v_add_co_ci_u32_e32 v52, vcc_lo, v12, v52, vcc_lo
	s_clause 0x2
	global_store_b16 v[49:50], v30, off
	global_store_b16 v[47:48], v24, off
	;; [unrolled: 1-line block ×3, first 2 shown]
	v_add_co_u32 v45, vcc_lo, v6, v45
	v_add_co_ci_u32_e32 v46, vcc_lo, v12, v46, vcc_lo
	global_store_b16 v[45:46], v26, off
	s_or_b32 exec_lo, exec_lo, s15
	s_delay_alu instid0(SALU_CYCLE_1)
	s_and_b32 exec_lo, exec_lo, s17
	s_cbranch_execnz .LBB399_162
	s_branch .LBB399_163
.LBB399_239:
	s_and_saveexec_b32 s17, s14
	s_cbranch_execnz .LBB399_295
; %bb.240:
	s_or_b32 exec_lo, exec_lo, s17
	s_and_saveexec_b32 s14, s13
	s_cbranch_execnz .LBB399_296
.LBB399_241:
	s_or_b32 exec_lo, exec_lo, s14
	s_and_saveexec_b32 s13, s12
	s_cbranch_execnz .LBB399_297
.LBB399_242:
	s_or_b32 exec_lo, exec_lo, s13
	s_and_saveexec_b32 s12, s11
	s_cbranch_execnz .LBB399_298
.LBB399_243:
	s_or_b32 exec_lo, exec_lo, s12
	s_and_saveexec_b32 s11, s10
	s_cbranch_execnz .LBB399_299
.LBB399_244:
	s_or_b32 exec_lo, exec_lo, s11
	s_and_saveexec_b32 s10, s9
	s_cbranch_execnz .LBB399_300
.LBB399_245:
	s_or_b32 exec_lo, exec_lo, s10
	s_and_saveexec_b32 s9, s8
	s_cbranch_execnz .LBB399_301
.LBB399_246:
	s_or_b32 exec_lo, exec_lo, s9
	s_and_saveexec_b32 s8, s7
	s_cbranch_execnz .LBB399_302
.LBB399_247:
	s_or_b32 exec_lo, exec_lo, s8
	s_and_saveexec_b32 s7, s6
	s_cbranch_execnz .LBB399_303
.LBB399_248:
	s_or_b32 exec_lo, exec_lo, s7
	s_and_saveexec_b32 s6, s5
	s_cbranch_execnz .LBB399_304
.LBB399_249:
	s_or_b32 exec_lo, exec_lo, s6
	s_and_saveexec_b32 s5, s4
	s_cbranch_execnz .LBB399_305
.LBB399_250:
	s_or_b32 exec_lo, exec_lo, s5
	s_and_saveexec_b32 s4, s3
	s_cbranch_execnz .LBB399_306
.LBB399_251:
	s_or_b32 exec_lo, exec_lo, s4
	s_and_saveexec_b32 s3, s2
	s_cbranch_execnz .LBB399_307
.LBB399_252:
	s_or_b32 exec_lo, exec_lo, s3
	s_and_saveexec_b32 s2, s1
	s_cbranch_execz .LBB399_254
.LBB399_253:
	v_sub_nc_u32_e32 v8, v25, v3
	s_delay_alu instid0(VALU_DEP_1)
	v_lshlrev_b32_e32 v8, 1, v8
	ds_store_b16 v8, v26
.LBB399_254:
	s_or_b32 exec_lo, exec_lo, s2
	s_delay_alu instid0(SALU_CYCLE_1)
	s_and_b32 s17, s0, exec_lo
                                        ; implicit-def: $vgpr41_vgpr42
                                        ; implicit-def: $vgpr35_vgpr36
                                        ; implicit-def: $vgpr37_vgpr38
                                        ; implicit-def: $vgpr33_vgpr34
                                        ; implicit-def: $vgpr21_vgpr22
                                        ; implicit-def: $vgpr17_vgpr18
                                        ; implicit-def: $vgpr19_vgpr20
                                        ; implicit-def: $vgpr39_vgpr40
                                        ; implicit-def: $vgpr43_vgpr44
                                        ; implicit-def: $vgpr31_vgpr32
                                        ; implicit-def: $vgpr29_vgpr30
                                        ; implicit-def: $vgpr23_vgpr24
                                        ; implicit-def: $vgpr27_vgpr28
                                        ; implicit-def: $vgpr25_vgpr26
	s_and_not1_saveexec_b32 s0, s16
	s_cbranch_execz .LBB399_167
.LBB399_255:
	v_sub_nc_u32_e32 v8, v41, v3
	v_sub_nc_u32_e32 v9, v35, v3
	;; [unrolled: 1-line block ×4, first 2 shown]
	s_or_b32 s17, s17, exec_lo
	v_lshlrev_b32_e32 v8, 1, v8
	v_lshlrev_b32_e32 v9, 1, v9
	;; [unrolled: 1-line block ×4, first 2 shown]
	ds_store_b16 v8, v42
	ds_store_b16 v9, v36
	;; [unrolled: 1-line block ×3, first 2 shown]
	v_sub_nc_u32_e32 v8, v21, v3
	v_sub_nc_u32_e32 v9, v17, v3
	;; [unrolled: 1-line block ×5, first 2 shown]
	v_lshlrev_b32_e32 v8, 1, v8
	v_lshlrev_b32_e32 v9, 1, v9
	;; [unrolled: 1-line block ×4, first 2 shown]
	ds_store_b16 v33, v34
	ds_store_b16 v8, v22
	v_lshlrev_b32_e32 v8, 1, v21
	ds_store_b16 v9, v18
	ds_store_b16 v17, v20
	;; [unrolled: 1-line block ×3, first 2 shown]
	v_sub_nc_u32_e32 v9, v31, v3
	v_sub_nc_u32_e32 v19, v25, v3
	;; [unrolled: 1-line block ×3, first 2 shown]
	ds_store_b16 v8, v44
	v_sub_nc_u32_e32 v8, v29, v3
	v_lshlrev_b32_e32 v9, 1, v9
	v_sub_nc_u32_e32 v18, v27, v3
	v_lshlrev_b32_e32 v17, 1, v17
	s_delay_alu instid0(VALU_DEP_4)
	v_lshlrev_b32_e32 v8, 1, v8
	ds_store_b16 v9, v32
	v_lshlrev_b32_e32 v9, 1, v19
	v_lshlrev_b32_e32 v18, 1, v18
	ds_store_b16 v8, v30
	ds_store_b16 v17, v24
	;; [unrolled: 1-line block ×4, first 2 shown]
	s_or_b32 exec_lo, exec_lo, s0
	s_delay_alu instid0(SALU_CYCLE_1)
	s_and_b32 exec_lo, exec_lo, s17
	s_cbranch_execnz .LBB399_168
	s_branch .LBB399_169
.LBB399_256:
	v_sub_nc_u32_e32 v66, v41, v7
	v_mov_b32_e32 v67, 0
	s_delay_alu instid0(VALU_DEP_1) | instskip(NEXT) | instid1(VALU_DEP_1)
	v_lshlrev_b64 v[66:67], 1, v[66:67]
	v_add_co_u32 v66, vcc_lo, v6, v66
	s_delay_alu instid0(VALU_DEP_2)
	v_add_co_ci_u32_e32 v67, vcc_lo, v64, v67, vcc_lo
	global_store_b16 v[66:67], v55, off
	s_or_b32 exec_lo, exec_lo, s17
	s_and_saveexec_b32 s17, s13
	s_cbranch_execz .LBB399_190
.LBB399_257:
	v_sub_nc_u32_e32 v66, v35, v7
	v_mov_b32_e32 v67, 0
	s_delay_alu instid0(VALU_DEP_1) | instskip(NEXT) | instid1(VALU_DEP_1)
	v_lshlrev_b64 v[66:67], 1, v[66:67]
	v_add_co_u32 v66, vcc_lo, v6, v66
	s_delay_alu instid0(VALU_DEP_2)
	v_add_co_ci_u32_e32 v67, vcc_lo, v64, v67, vcc_lo
	global_store_b16 v[66:67], v1, off
	s_or_b32 exec_lo, exec_lo, s17
	s_and_saveexec_b32 s17, s12
	s_cbranch_execz .LBB399_191
.LBB399_258:
	v_sub_nc_u32_e32 v66, v37, v7
	v_mov_b32_e32 v67, 0
	s_delay_alu instid0(VALU_DEP_1) | instskip(NEXT) | instid1(VALU_DEP_1)
	v_lshlrev_b64 v[66:67], 1, v[66:67]
	v_add_co_u32 v66, vcc_lo, v6, v66
	s_delay_alu instid0(VALU_DEP_2)
	v_add_co_ci_u32_e32 v67, vcc_lo, v64, v67, vcc_lo
	global_store_d16_hi_b16 v[66:67], v1, off
	s_or_b32 exec_lo, exec_lo, s17
	s_and_saveexec_b32 s17, s11
	s_cbranch_execz .LBB399_192
.LBB399_259:
	v_sub_nc_u32_e32 v66, v33, v7
	v_mov_b32_e32 v67, 0
	s_delay_alu instid0(VALU_DEP_1) | instskip(NEXT) | instid1(VALU_DEP_1)
	v_lshlrev_b64 v[66:67], 1, v[66:67]
	v_add_co_u32 v66, vcc_lo, v6, v66
	s_delay_alu instid0(VALU_DEP_2)
	v_add_co_ci_u32_e32 v67, vcc_lo, v64, v67, vcc_lo
	global_store_b16 v[66:67], v2, off
	s_or_b32 exec_lo, exec_lo, s17
	s_and_saveexec_b32 s17, s10
	s_cbranch_execz .LBB399_193
.LBB399_260:
	v_sub_nc_u32_e32 v66, v21, v7
	v_mov_b32_e32 v67, 0
	s_delay_alu instid0(VALU_DEP_1) | instskip(NEXT) | instid1(VALU_DEP_1)
	v_lshlrev_b64 v[66:67], 1, v[66:67]
	v_add_co_u32 v66, vcc_lo, v6, v66
	s_delay_alu instid0(VALU_DEP_2)
	v_add_co_ci_u32_e32 v67, vcc_lo, v64, v67, vcc_lo
	global_store_d16_hi_b16 v[66:67], v2, off
	s_or_b32 exec_lo, exec_lo, s17
	s_and_saveexec_b32 s17, s9
	s_cbranch_execz .LBB399_194
.LBB399_261:
	v_sub_nc_u32_e32 v66, v17, v7
	v_mov_b32_e32 v67, 0
	s_delay_alu instid0(VALU_DEP_1) | instskip(NEXT) | instid1(VALU_DEP_1)
	v_lshlrev_b64 v[66:67], 1, v[66:67]
	v_add_co_u32 v66, vcc_lo, v6, v66
	s_delay_alu instid0(VALU_DEP_2)
	v_add_co_ci_u32_e32 v67, vcc_lo, v64, v67, vcc_lo
	global_store_b16 v[66:67], v3, off
	s_or_b32 exec_lo, exec_lo, s17
	s_and_saveexec_b32 s17, s7
	s_cbranch_execz .LBB399_195
.LBB399_262:
	v_sub_nc_u32_e32 v66, v19, v7
	v_mov_b32_e32 v67, 0
	s_delay_alu instid0(VALU_DEP_1) | instskip(NEXT) | instid1(VALU_DEP_1)
	v_lshlrev_b64 v[66:67], 1, v[66:67]
	v_add_co_u32 v66, vcc_lo, v6, v66
	s_delay_alu instid0(VALU_DEP_2)
	v_add_co_ci_u32_e32 v67, vcc_lo, v64, v67, vcc_lo
	global_store_d16_hi_b16 v[66:67], v3, off
	s_or_b32 exec_lo, exec_lo, s17
	s_and_saveexec_b32 s17, s5
	s_cbranch_execz .LBB399_196
.LBB399_263:
	v_sub_nc_u32_e32 v66, v39, v7
	v_mov_b32_e32 v67, 0
	s_delay_alu instid0(VALU_DEP_1) | instskip(NEXT) | instid1(VALU_DEP_1)
	v_lshlrev_b64 v[66:67], 1, v[66:67]
	v_add_co_u32 v66, vcc_lo, v6, v66
	s_delay_alu instid0(VALU_DEP_2)
	v_add_co_ci_u32_e32 v67, vcc_lo, v64, v67, vcc_lo
	global_store_b16 v[66:67], v4, off
	s_or_b32 exec_lo, exec_lo, s17
	s_and_saveexec_b32 s17, s8
	s_cbranch_execz .LBB399_197
.LBB399_264:
	v_sub_nc_u32_e32 v66, v43, v7
	v_mov_b32_e32 v67, 0
	s_delay_alu instid0(VALU_DEP_1) | instskip(NEXT) | instid1(VALU_DEP_1)
	v_lshlrev_b64 v[66:67], 1, v[66:67]
	v_add_co_u32 v66, vcc_lo, v6, v66
	s_delay_alu instid0(VALU_DEP_2)
	v_add_co_ci_u32_e32 v67, vcc_lo, v64, v67, vcc_lo
	global_store_d16_hi_b16 v[66:67], v4, off
	s_or_b32 exec_lo, exec_lo, s17
	s_and_saveexec_b32 s17, s6
	s_cbranch_execz .LBB399_198
.LBB399_265:
	v_sub_nc_u32_e32 v66, v31, v7
	v_mov_b32_e32 v67, 0
	s_delay_alu instid0(VALU_DEP_1) | instskip(NEXT) | instid1(VALU_DEP_1)
	v_lshlrev_b64 v[66:67], 1, v[66:67]
	v_add_co_u32 v66, vcc_lo, v6, v66
	s_delay_alu instid0(VALU_DEP_2)
	v_add_co_ci_u32_e32 v67, vcc_lo, v64, v67, vcc_lo
	global_store_b16 v[66:67], v10, off
	s_or_b32 exec_lo, exec_lo, s17
	s_and_saveexec_b32 s17, s4
	s_cbranch_execz .LBB399_199
.LBB399_266:
	v_sub_nc_u32_e32 v66, v29, v7
	v_mov_b32_e32 v67, 0
	s_delay_alu instid0(VALU_DEP_1) | instskip(NEXT) | instid1(VALU_DEP_1)
	v_lshlrev_b64 v[66:67], 1, v[66:67]
	v_add_co_u32 v66, vcc_lo, v6, v66
	s_delay_alu instid0(VALU_DEP_2)
	v_add_co_ci_u32_e32 v67, vcc_lo, v64, v67, vcc_lo
	global_store_d16_hi_b16 v[66:67], v10, off
	s_or_b32 exec_lo, exec_lo, s17
	s_and_saveexec_b32 s17, s3
	s_cbranch_execz .LBB399_200
.LBB399_267:
	v_sub_nc_u32_e32 v66, v23, v7
	v_mov_b32_e32 v67, 0
	s_delay_alu instid0(VALU_DEP_1) | instskip(NEXT) | instid1(VALU_DEP_1)
	v_lshlrev_b64 v[66:67], 1, v[66:67]
	v_add_co_u32 v66, vcc_lo, v6, v66
	s_delay_alu instid0(VALU_DEP_2)
	v_add_co_ci_u32_e32 v67, vcc_lo, v64, v67, vcc_lo
	global_store_b16 v[66:67], v11, off
	s_or_b32 exec_lo, exec_lo, s17
	s_and_saveexec_b32 s17, s2
	s_cbranch_execz .LBB399_201
.LBB399_268:
	v_sub_nc_u32_e32 v66, v27, v7
	v_mov_b32_e32 v67, 0
	s_delay_alu instid0(VALU_DEP_1) | instskip(NEXT) | instid1(VALU_DEP_1)
	v_lshlrev_b64 v[66:67], 1, v[66:67]
	v_add_co_u32 v66, vcc_lo, v6, v66
	s_delay_alu instid0(VALU_DEP_2)
	v_add_co_ci_u32_e32 v67, vcc_lo, v64, v67, vcc_lo
	global_store_d16_hi_b16 v[66:67], v11, off
	s_or_b32 exec_lo, exec_lo, s17
	s_and_saveexec_b32 s17, s1
	s_cbranch_execnz .LBB399_202
	s_branch .LBB399_203
.LBB399_269:
	v_sub_nc_u32_e32 v65, v41, v7
	s_delay_alu instid0(VALU_DEP_1)
	v_lshlrev_b32_e32 v65, 1, v65
	ds_store_b16 v65, v55
	s_or_b32 exec_lo, exec_lo, s17
	s_and_saveexec_b32 s14, s13
	s_cbranch_execz .LBB399_207
.LBB399_270:
	v_sub_nc_u32_e32 v55, v35, v7
	s_delay_alu instid0(VALU_DEP_1)
	v_lshlrev_b32_e32 v55, 1, v55
	ds_store_b16 v55, v1
	s_or_b32 exec_lo, exec_lo, s14
	s_and_saveexec_b32 s13, s12
	s_cbranch_execz .LBB399_208
.LBB399_271:
	v_sub_nc_u32_e32 v55, v37, v7
	s_delay_alu instid0(VALU_DEP_1)
	v_lshlrev_b32_e32 v55, 1, v55
	ds_store_b16_d16_hi v55, v1
	s_or_b32 exec_lo, exec_lo, s13
	s_and_saveexec_b32 s12, s11
	s_cbranch_execz .LBB399_209
.LBB399_272:
	v_sub_nc_u32_e32 v1, v33, v7
	s_delay_alu instid0(VALU_DEP_1)
	v_lshlrev_b32_e32 v1, 1, v1
	ds_store_b16 v1, v2
	s_or_b32 exec_lo, exec_lo, s12
	s_and_saveexec_b32 s11, s10
	s_cbranch_execz .LBB399_210
.LBB399_273:
	v_sub_nc_u32_e32 v1, v21, v7
	s_delay_alu instid0(VALU_DEP_1)
	v_lshlrev_b32_e32 v1, 1, v1
	ds_store_b16_d16_hi v1, v2
	s_or_b32 exec_lo, exec_lo, s11
	s_and_saveexec_b32 s10, s9
	s_cbranch_execz .LBB399_211
.LBB399_274:
	v_sub_nc_u32_e32 v1, v17, v7
	s_delay_alu instid0(VALU_DEP_1)
	v_lshlrev_b32_e32 v1, 1, v1
	ds_store_b16 v1, v3
	s_or_b32 exec_lo, exec_lo, s10
	s_and_saveexec_b32 s9, s7
	s_cbranch_execz .LBB399_212
.LBB399_275:
	v_sub_nc_u32_e32 v1, v19, v7
	s_delay_alu instid0(VALU_DEP_1)
	v_lshlrev_b32_e32 v1, 1, v1
	ds_store_b16_d16_hi v1, v3
	s_or_b32 exec_lo, exec_lo, s9
	s_and_saveexec_b32 s7, s5
	s_cbranch_execz .LBB399_213
.LBB399_276:
	v_sub_nc_u32_e32 v1, v39, v7
	s_delay_alu instid0(VALU_DEP_1)
	v_lshlrev_b32_e32 v1, 1, v1
	ds_store_b16 v1, v4
	s_or_b32 exec_lo, exec_lo, s7
	s_and_saveexec_b32 s5, s8
	s_cbranch_execz .LBB399_214
.LBB399_277:
	v_sub_nc_u32_e32 v1, v43, v7
	s_delay_alu instid0(VALU_DEP_1)
	v_lshlrev_b32_e32 v1, 1, v1
	ds_store_b16_d16_hi v1, v4
	s_or_b32 exec_lo, exec_lo, s5
	s_and_saveexec_b32 s5, s6
	s_cbranch_execz .LBB399_215
.LBB399_278:
	v_sub_nc_u32_e32 v1, v31, v7
	s_delay_alu instid0(VALU_DEP_1)
	v_lshlrev_b32_e32 v1, 1, v1
	ds_store_b16 v1, v10
	s_or_b32 exec_lo, exec_lo, s5
	s_and_saveexec_b32 s5, s4
	s_cbranch_execz .LBB399_216
.LBB399_279:
	v_sub_nc_u32_e32 v1, v29, v7
	s_delay_alu instid0(VALU_DEP_1)
	v_lshlrev_b32_e32 v1, 1, v1
	ds_store_b16_d16_hi v1, v10
	s_or_b32 exec_lo, exec_lo, s5
	s_and_saveexec_b32 s4, s3
	s_cbranch_execz .LBB399_217
.LBB399_280:
	v_sub_nc_u32_e32 v1, v23, v7
	s_delay_alu instid0(VALU_DEP_1)
	v_lshlrev_b32_e32 v1, 1, v1
	ds_store_b16 v1, v11
	s_or_b32 exec_lo, exec_lo, s4
	s_and_saveexec_b32 s3, s2
	s_cbranch_execz .LBB399_218
.LBB399_281:
	v_sub_nc_u32_e32 v1, v27, v7
	s_delay_alu instid0(VALU_DEP_1)
	v_lshlrev_b32_e32 v1, 1, v1
	ds_store_b16_d16_hi v1, v11
	s_or_b32 exec_lo, exec_lo, s3
	s_and_saveexec_b32 s2, s1
	s_cbranch_execnz .LBB399_219
	s_branch .LBB399_220
.LBB399_282:
	v_sub_nc_u32_e32 v45, v41, v3
	v_mov_b32_e32 v46, 0
	s_delay_alu instid0(VALU_DEP_1) | instskip(NEXT) | instid1(VALU_DEP_1)
	v_lshlrev_b64 v[45:46], 1, v[45:46]
	v_add_co_u32 v45, vcc_lo, v6, v45
	s_delay_alu instid0(VALU_DEP_2)
	v_add_co_ci_u32_e32 v46, vcc_lo, v12, v46, vcc_lo
	global_store_b16 v[45:46], v42, off
	s_or_b32 exec_lo, exec_lo, s17
	s_and_saveexec_b32 s17, s13
	s_cbranch_execz .LBB399_224
.LBB399_283:
	v_sub_nc_u32_e32 v45, v35, v3
	v_mov_b32_e32 v46, 0
	s_delay_alu instid0(VALU_DEP_1) | instskip(NEXT) | instid1(VALU_DEP_1)
	v_lshlrev_b64 v[45:46], 1, v[45:46]
	v_add_co_u32 v45, vcc_lo, v6, v45
	s_delay_alu instid0(VALU_DEP_2)
	v_add_co_ci_u32_e32 v46, vcc_lo, v12, v46, vcc_lo
	global_store_b16 v[45:46], v36, off
	s_or_b32 exec_lo, exec_lo, s17
	s_and_saveexec_b32 s17, s12
	s_cbranch_execz .LBB399_225
.LBB399_284:
	v_sub_nc_u32_e32 v45, v37, v3
	v_mov_b32_e32 v46, 0
	s_delay_alu instid0(VALU_DEP_1) | instskip(NEXT) | instid1(VALU_DEP_1)
	v_lshlrev_b64 v[45:46], 1, v[45:46]
	v_add_co_u32 v45, vcc_lo, v6, v45
	s_delay_alu instid0(VALU_DEP_2)
	v_add_co_ci_u32_e32 v46, vcc_lo, v12, v46, vcc_lo
	global_store_b16 v[45:46], v38, off
	s_or_b32 exec_lo, exec_lo, s17
	s_and_saveexec_b32 s17, s11
	s_cbranch_execz .LBB399_226
.LBB399_285:
	v_sub_nc_u32_e32 v45, v33, v3
	v_mov_b32_e32 v46, 0
	s_delay_alu instid0(VALU_DEP_1) | instskip(NEXT) | instid1(VALU_DEP_1)
	v_lshlrev_b64 v[45:46], 1, v[45:46]
	v_add_co_u32 v45, vcc_lo, v6, v45
	s_delay_alu instid0(VALU_DEP_2)
	v_add_co_ci_u32_e32 v46, vcc_lo, v12, v46, vcc_lo
	global_store_b16 v[45:46], v34, off
	s_or_b32 exec_lo, exec_lo, s17
	s_and_saveexec_b32 s17, s10
	s_cbranch_execz .LBB399_227
.LBB399_286:
	v_sub_nc_u32_e32 v45, v21, v3
	v_mov_b32_e32 v46, 0
	s_delay_alu instid0(VALU_DEP_1) | instskip(NEXT) | instid1(VALU_DEP_1)
	v_lshlrev_b64 v[45:46], 1, v[45:46]
	v_add_co_u32 v45, vcc_lo, v6, v45
	s_delay_alu instid0(VALU_DEP_2)
	v_add_co_ci_u32_e32 v46, vcc_lo, v12, v46, vcc_lo
	global_store_b16 v[45:46], v22, off
	s_or_b32 exec_lo, exec_lo, s17
	s_and_saveexec_b32 s17, s9
	s_cbranch_execz .LBB399_228
.LBB399_287:
	v_sub_nc_u32_e32 v45, v17, v3
	v_mov_b32_e32 v46, 0
	s_delay_alu instid0(VALU_DEP_1) | instskip(NEXT) | instid1(VALU_DEP_1)
	v_lshlrev_b64 v[45:46], 1, v[45:46]
	v_add_co_u32 v45, vcc_lo, v6, v45
	s_delay_alu instid0(VALU_DEP_2)
	v_add_co_ci_u32_e32 v46, vcc_lo, v12, v46, vcc_lo
	global_store_b16 v[45:46], v18, off
	s_or_b32 exec_lo, exec_lo, s17
	s_and_saveexec_b32 s17, s8
	s_cbranch_execz .LBB399_229
.LBB399_288:
	v_sub_nc_u32_e32 v45, v19, v3
	v_mov_b32_e32 v46, 0
	s_delay_alu instid0(VALU_DEP_1) | instskip(NEXT) | instid1(VALU_DEP_1)
	v_lshlrev_b64 v[45:46], 1, v[45:46]
	v_add_co_u32 v45, vcc_lo, v6, v45
	s_delay_alu instid0(VALU_DEP_2)
	v_add_co_ci_u32_e32 v46, vcc_lo, v12, v46, vcc_lo
	global_store_b16 v[45:46], v20, off
	s_or_b32 exec_lo, exec_lo, s17
	s_and_saveexec_b32 s17, s7
	s_cbranch_execz .LBB399_230
.LBB399_289:
	v_sub_nc_u32_e32 v45, v39, v3
	v_mov_b32_e32 v46, 0
	s_delay_alu instid0(VALU_DEP_1) | instskip(NEXT) | instid1(VALU_DEP_1)
	v_lshlrev_b64 v[45:46], 1, v[45:46]
	v_add_co_u32 v45, vcc_lo, v6, v45
	s_delay_alu instid0(VALU_DEP_2)
	v_add_co_ci_u32_e32 v46, vcc_lo, v12, v46, vcc_lo
	global_store_b16 v[45:46], v40, off
	s_or_b32 exec_lo, exec_lo, s17
	s_and_saveexec_b32 s17, s6
	s_cbranch_execz .LBB399_231
.LBB399_290:
	v_sub_nc_u32_e32 v45, v43, v3
	v_mov_b32_e32 v46, 0
	s_delay_alu instid0(VALU_DEP_1) | instskip(NEXT) | instid1(VALU_DEP_1)
	v_lshlrev_b64 v[45:46], 1, v[45:46]
	v_add_co_u32 v45, vcc_lo, v6, v45
	s_delay_alu instid0(VALU_DEP_2)
	v_add_co_ci_u32_e32 v46, vcc_lo, v12, v46, vcc_lo
	global_store_b16 v[45:46], v44, off
	s_or_b32 exec_lo, exec_lo, s17
	s_and_saveexec_b32 s17, s5
	s_cbranch_execz .LBB399_232
.LBB399_291:
	v_sub_nc_u32_e32 v45, v31, v3
	v_mov_b32_e32 v46, 0
	s_delay_alu instid0(VALU_DEP_1) | instskip(NEXT) | instid1(VALU_DEP_1)
	v_lshlrev_b64 v[45:46], 1, v[45:46]
	v_add_co_u32 v45, vcc_lo, v6, v45
	s_delay_alu instid0(VALU_DEP_2)
	v_add_co_ci_u32_e32 v46, vcc_lo, v12, v46, vcc_lo
	global_store_b16 v[45:46], v32, off
	s_or_b32 exec_lo, exec_lo, s17
	s_and_saveexec_b32 s17, s4
	s_cbranch_execz .LBB399_233
.LBB399_292:
	v_sub_nc_u32_e32 v45, v29, v3
	v_mov_b32_e32 v46, 0
	s_delay_alu instid0(VALU_DEP_1) | instskip(NEXT) | instid1(VALU_DEP_1)
	v_lshlrev_b64 v[45:46], 1, v[45:46]
	v_add_co_u32 v45, vcc_lo, v6, v45
	s_delay_alu instid0(VALU_DEP_2)
	v_add_co_ci_u32_e32 v46, vcc_lo, v12, v46, vcc_lo
	global_store_b16 v[45:46], v30, off
	s_or_b32 exec_lo, exec_lo, s17
	s_and_saveexec_b32 s17, s3
	s_cbranch_execz .LBB399_234
.LBB399_293:
	v_sub_nc_u32_e32 v45, v23, v3
	v_mov_b32_e32 v46, 0
	s_delay_alu instid0(VALU_DEP_1) | instskip(NEXT) | instid1(VALU_DEP_1)
	v_lshlrev_b64 v[45:46], 1, v[45:46]
	v_add_co_u32 v45, vcc_lo, v6, v45
	s_delay_alu instid0(VALU_DEP_2)
	v_add_co_ci_u32_e32 v46, vcc_lo, v12, v46, vcc_lo
	global_store_b16 v[45:46], v24, off
	s_or_b32 exec_lo, exec_lo, s17
	s_and_saveexec_b32 s17, s2
	s_cbranch_execz .LBB399_235
.LBB399_294:
	v_sub_nc_u32_e32 v45, v27, v3
	v_mov_b32_e32 v46, 0
	s_delay_alu instid0(VALU_DEP_1) | instskip(NEXT) | instid1(VALU_DEP_1)
	v_lshlrev_b64 v[45:46], 1, v[45:46]
	v_add_co_u32 v45, vcc_lo, v6, v45
	s_delay_alu instid0(VALU_DEP_2)
	v_add_co_ci_u32_e32 v46, vcc_lo, v12, v46, vcc_lo
	global_store_b16 v[45:46], v28, off
	s_or_b32 exec_lo, exec_lo, s17
	s_and_saveexec_b32 s17, s1
	s_cbranch_execnz .LBB399_236
	s_branch .LBB399_237
.LBB399_295:
	v_sub_nc_u32_e32 v8, v41, v3
	s_delay_alu instid0(VALU_DEP_1)
	v_lshlrev_b32_e32 v8, 1, v8
	ds_store_b16 v8, v42
	s_or_b32 exec_lo, exec_lo, s17
	s_and_saveexec_b32 s14, s13
	s_cbranch_execz .LBB399_241
.LBB399_296:
	v_sub_nc_u32_e32 v8, v35, v3
	s_delay_alu instid0(VALU_DEP_1)
	v_lshlrev_b32_e32 v8, 1, v8
	ds_store_b16 v8, v36
	s_or_b32 exec_lo, exec_lo, s14
	s_and_saveexec_b32 s13, s12
	s_cbranch_execz .LBB399_242
.LBB399_297:
	v_sub_nc_u32_e32 v8, v37, v3
	s_delay_alu instid0(VALU_DEP_1)
	v_lshlrev_b32_e32 v8, 1, v8
	ds_store_b16 v8, v38
	s_or_b32 exec_lo, exec_lo, s13
	s_and_saveexec_b32 s12, s11
	s_cbranch_execz .LBB399_243
.LBB399_298:
	v_sub_nc_u32_e32 v8, v33, v3
	s_delay_alu instid0(VALU_DEP_1)
	v_lshlrev_b32_e32 v8, 1, v8
	ds_store_b16 v8, v34
	s_or_b32 exec_lo, exec_lo, s12
	s_and_saveexec_b32 s11, s10
	s_cbranch_execz .LBB399_244
.LBB399_299:
	v_sub_nc_u32_e32 v8, v21, v3
	s_delay_alu instid0(VALU_DEP_1)
	v_lshlrev_b32_e32 v8, 1, v8
	ds_store_b16 v8, v22
	s_or_b32 exec_lo, exec_lo, s11
	s_and_saveexec_b32 s10, s9
	s_cbranch_execz .LBB399_245
.LBB399_300:
	v_sub_nc_u32_e32 v8, v17, v3
	s_delay_alu instid0(VALU_DEP_1)
	v_lshlrev_b32_e32 v8, 1, v8
	ds_store_b16 v8, v18
	s_or_b32 exec_lo, exec_lo, s10
	s_and_saveexec_b32 s9, s8
	s_cbranch_execz .LBB399_246
.LBB399_301:
	v_sub_nc_u32_e32 v8, v19, v3
	s_delay_alu instid0(VALU_DEP_1)
	v_lshlrev_b32_e32 v8, 1, v8
	ds_store_b16 v8, v20
	s_or_b32 exec_lo, exec_lo, s9
	s_and_saveexec_b32 s8, s7
	s_cbranch_execz .LBB399_247
.LBB399_302:
	v_sub_nc_u32_e32 v8, v39, v3
	s_delay_alu instid0(VALU_DEP_1)
	v_lshlrev_b32_e32 v8, 1, v8
	ds_store_b16 v8, v40
	s_or_b32 exec_lo, exec_lo, s8
	s_and_saveexec_b32 s7, s6
	s_cbranch_execz .LBB399_248
.LBB399_303:
	v_sub_nc_u32_e32 v8, v43, v3
	s_delay_alu instid0(VALU_DEP_1)
	v_lshlrev_b32_e32 v8, 1, v8
	ds_store_b16 v8, v44
	s_or_b32 exec_lo, exec_lo, s7
	s_and_saveexec_b32 s6, s5
	s_cbranch_execz .LBB399_249
.LBB399_304:
	v_sub_nc_u32_e32 v8, v31, v3
	s_delay_alu instid0(VALU_DEP_1)
	v_lshlrev_b32_e32 v8, 1, v8
	ds_store_b16 v8, v32
	s_or_b32 exec_lo, exec_lo, s6
	s_and_saveexec_b32 s5, s4
	s_cbranch_execz .LBB399_250
.LBB399_305:
	v_sub_nc_u32_e32 v8, v29, v3
	s_delay_alu instid0(VALU_DEP_1)
	v_lshlrev_b32_e32 v8, 1, v8
	ds_store_b16 v8, v30
	s_or_b32 exec_lo, exec_lo, s5
	s_and_saveexec_b32 s4, s3
	s_cbranch_execz .LBB399_251
.LBB399_306:
	v_sub_nc_u32_e32 v8, v23, v3
	s_delay_alu instid0(VALU_DEP_1)
	v_lshlrev_b32_e32 v8, 1, v8
	ds_store_b16 v8, v24
	s_or_b32 exec_lo, exec_lo, s4
	s_and_saveexec_b32 s3, s2
	s_cbranch_execz .LBB399_252
.LBB399_307:
	v_sub_nc_u32_e32 v8, v27, v3
	s_delay_alu instid0(VALU_DEP_1)
	v_lshlrev_b32_e32 v8, 1, v8
	ds_store_b16 v8, v28
	s_or_b32 exec_lo, exec_lo, s3
	s_and_saveexec_b32 s2, s1
	s_cbranch_execnz .LBB399_253
	s_branch .LBB399_254
	.section	.rodata,"a",@progbits
	.p2align	6, 0x0
	.amdhsa_kernel _ZN7rocprim17ROCPRIM_400000_NS6detail17trampoline_kernelINS0_14default_configENS1_29reduce_by_key_config_selectorIttN6thrust23THRUST_200600_302600_NS4plusItEEEEZZNS1_33reduce_by_key_impl_wrapped_configILNS1_25lookback_scan_determinismE0ES3_S9_NS6_6detail15normal_iteratorINS6_10device_ptrItEEEESG_SG_SG_PmS8_NS6_8equal_toItEEEE10hipError_tPvRmT2_T3_mT4_T5_T6_T7_T8_P12ihipStream_tbENKUlT_T0_E_clISt17integral_constantIbLb0EES11_EEDaSW_SX_EUlSW_E_NS1_11comp_targetILNS1_3genE9ELNS1_11target_archE1100ELNS1_3gpuE3ELNS1_3repE0EEENS1_30default_config_static_selectorELNS0_4arch9wavefront6targetE0EEEvT1_
		.amdhsa_group_segment_fixed_size 7680
		.amdhsa_private_segment_fixed_size 0
		.amdhsa_kernarg_size 120
		.amdhsa_user_sgpr_count 15
		.amdhsa_user_sgpr_dispatch_ptr 0
		.amdhsa_user_sgpr_queue_ptr 0
		.amdhsa_user_sgpr_kernarg_segment_ptr 1
		.amdhsa_user_sgpr_dispatch_id 0
		.amdhsa_user_sgpr_private_segment_size 0
		.amdhsa_wavefront_size32 1
		.amdhsa_uses_dynamic_stack 0
		.amdhsa_enable_private_segment 0
		.amdhsa_system_sgpr_workgroup_id_x 1
		.amdhsa_system_sgpr_workgroup_id_y 0
		.amdhsa_system_sgpr_workgroup_id_z 0
		.amdhsa_system_sgpr_workgroup_info 0
		.amdhsa_system_vgpr_workitem_id 0
		.amdhsa_next_free_vgpr 102
		.amdhsa_next_free_sgpr 44
		.amdhsa_reserve_vcc 1
		.amdhsa_float_round_mode_32 0
		.amdhsa_float_round_mode_16_64 0
		.amdhsa_float_denorm_mode_32 3
		.amdhsa_float_denorm_mode_16_64 3
		.amdhsa_dx10_clamp 1
		.amdhsa_ieee_mode 1
		.amdhsa_fp16_overflow 0
		.amdhsa_workgroup_processor_mode 1
		.amdhsa_memory_ordered 1
		.amdhsa_forward_progress 0
		.amdhsa_shared_vgpr_count 0
		.amdhsa_exception_fp_ieee_invalid_op 0
		.amdhsa_exception_fp_denorm_src 0
		.amdhsa_exception_fp_ieee_div_zero 0
		.amdhsa_exception_fp_ieee_overflow 0
		.amdhsa_exception_fp_ieee_underflow 0
		.amdhsa_exception_fp_ieee_inexact 0
		.amdhsa_exception_int_div_zero 0
	.end_amdhsa_kernel
	.section	.text._ZN7rocprim17ROCPRIM_400000_NS6detail17trampoline_kernelINS0_14default_configENS1_29reduce_by_key_config_selectorIttN6thrust23THRUST_200600_302600_NS4plusItEEEEZZNS1_33reduce_by_key_impl_wrapped_configILNS1_25lookback_scan_determinismE0ES3_S9_NS6_6detail15normal_iteratorINS6_10device_ptrItEEEESG_SG_SG_PmS8_NS6_8equal_toItEEEE10hipError_tPvRmT2_T3_mT4_T5_T6_T7_T8_P12ihipStream_tbENKUlT_T0_E_clISt17integral_constantIbLb0EES11_EEDaSW_SX_EUlSW_E_NS1_11comp_targetILNS1_3genE9ELNS1_11target_archE1100ELNS1_3gpuE3ELNS1_3repE0EEENS1_30default_config_static_selectorELNS0_4arch9wavefront6targetE0EEEvT1_,"axG",@progbits,_ZN7rocprim17ROCPRIM_400000_NS6detail17trampoline_kernelINS0_14default_configENS1_29reduce_by_key_config_selectorIttN6thrust23THRUST_200600_302600_NS4plusItEEEEZZNS1_33reduce_by_key_impl_wrapped_configILNS1_25lookback_scan_determinismE0ES3_S9_NS6_6detail15normal_iteratorINS6_10device_ptrItEEEESG_SG_SG_PmS8_NS6_8equal_toItEEEE10hipError_tPvRmT2_T3_mT4_T5_T6_T7_T8_P12ihipStream_tbENKUlT_T0_E_clISt17integral_constantIbLb0EES11_EEDaSW_SX_EUlSW_E_NS1_11comp_targetILNS1_3genE9ELNS1_11target_archE1100ELNS1_3gpuE3ELNS1_3repE0EEENS1_30default_config_static_selectorELNS0_4arch9wavefront6targetE0EEEvT1_,comdat
.Lfunc_end399:
	.size	_ZN7rocprim17ROCPRIM_400000_NS6detail17trampoline_kernelINS0_14default_configENS1_29reduce_by_key_config_selectorIttN6thrust23THRUST_200600_302600_NS4plusItEEEEZZNS1_33reduce_by_key_impl_wrapped_configILNS1_25lookback_scan_determinismE0ES3_S9_NS6_6detail15normal_iteratorINS6_10device_ptrItEEEESG_SG_SG_PmS8_NS6_8equal_toItEEEE10hipError_tPvRmT2_T3_mT4_T5_T6_T7_T8_P12ihipStream_tbENKUlT_T0_E_clISt17integral_constantIbLb0EES11_EEDaSW_SX_EUlSW_E_NS1_11comp_targetILNS1_3genE9ELNS1_11target_archE1100ELNS1_3gpuE3ELNS1_3repE0EEENS1_30default_config_static_selectorELNS0_4arch9wavefront6targetE0EEEvT1_, .Lfunc_end399-_ZN7rocprim17ROCPRIM_400000_NS6detail17trampoline_kernelINS0_14default_configENS1_29reduce_by_key_config_selectorIttN6thrust23THRUST_200600_302600_NS4plusItEEEEZZNS1_33reduce_by_key_impl_wrapped_configILNS1_25lookback_scan_determinismE0ES3_S9_NS6_6detail15normal_iteratorINS6_10device_ptrItEEEESG_SG_SG_PmS8_NS6_8equal_toItEEEE10hipError_tPvRmT2_T3_mT4_T5_T6_T7_T8_P12ihipStream_tbENKUlT_T0_E_clISt17integral_constantIbLb0EES11_EEDaSW_SX_EUlSW_E_NS1_11comp_targetILNS1_3genE9ELNS1_11target_archE1100ELNS1_3gpuE3ELNS1_3repE0EEENS1_30default_config_static_selectorELNS0_4arch9wavefront6targetE0EEEvT1_
                                        ; -- End function
	.section	.AMDGPU.csdata,"",@progbits
; Kernel info:
; codeLenInByte = 21068
; NumSgprs: 46
; NumVgprs: 102
; ScratchSize: 0
; MemoryBound: 0
; FloatMode: 240
; IeeeMode: 1
; LDSByteSize: 7680 bytes/workgroup (compile time only)
; SGPRBlocks: 5
; VGPRBlocks: 12
; NumSGPRsForWavesPerEU: 46
; NumVGPRsForWavesPerEU: 102
; Occupancy: 12
; WaveLimiterHint : 1
; COMPUTE_PGM_RSRC2:SCRATCH_EN: 0
; COMPUTE_PGM_RSRC2:USER_SGPR: 15
; COMPUTE_PGM_RSRC2:TRAP_HANDLER: 0
; COMPUTE_PGM_RSRC2:TGID_X_EN: 1
; COMPUTE_PGM_RSRC2:TGID_Y_EN: 0
; COMPUTE_PGM_RSRC2:TGID_Z_EN: 0
; COMPUTE_PGM_RSRC2:TIDIG_COMP_CNT: 0
	.section	.text._ZN7rocprim17ROCPRIM_400000_NS6detail17trampoline_kernelINS0_14default_configENS1_29reduce_by_key_config_selectorIttN6thrust23THRUST_200600_302600_NS4plusItEEEEZZNS1_33reduce_by_key_impl_wrapped_configILNS1_25lookback_scan_determinismE0ES3_S9_NS6_6detail15normal_iteratorINS6_10device_ptrItEEEESG_SG_SG_PmS8_NS6_8equal_toItEEEE10hipError_tPvRmT2_T3_mT4_T5_T6_T7_T8_P12ihipStream_tbENKUlT_T0_E_clISt17integral_constantIbLb0EES11_EEDaSW_SX_EUlSW_E_NS1_11comp_targetILNS1_3genE8ELNS1_11target_archE1030ELNS1_3gpuE2ELNS1_3repE0EEENS1_30default_config_static_selectorELNS0_4arch9wavefront6targetE0EEEvT1_,"axG",@progbits,_ZN7rocprim17ROCPRIM_400000_NS6detail17trampoline_kernelINS0_14default_configENS1_29reduce_by_key_config_selectorIttN6thrust23THRUST_200600_302600_NS4plusItEEEEZZNS1_33reduce_by_key_impl_wrapped_configILNS1_25lookback_scan_determinismE0ES3_S9_NS6_6detail15normal_iteratorINS6_10device_ptrItEEEESG_SG_SG_PmS8_NS6_8equal_toItEEEE10hipError_tPvRmT2_T3_mT4_T5_T6_T7_T8_P12ihipStream_tbENKUlT_T0_E_clISt17integral_constantIbLb0EES11_EEDaSW_SX_EUlSW_E_NS1_11comp_targetILNS1_3genE8ELNS1_11target_archE1030ELNS1_3gpuE2ELNS1_3repE0EEENS1_30default_config_static_selectorELNS0_4arch9wavefront6targetE0EEEvT1_,comdat
	.protected	_ZN7rocprim17ROCPRIM_400000_NS6detail17trampoline_kernelINS0_14default_configENS1_29reduce_by_key_config_selectorIttN6thrust23THRUST_200600_302600_NS4plusItEEEEZZNS1_33reduce_by_key_impl_wrapped_configILNS1_25lookback_scan_determinismE0ES3_S9_NS6_6detail15normal_iteratorINS6_10device_ptrItEEEESG_SG_SG_PmS8_NS6_8equal_toItEEEE10hipError_tPvRmT2_T3_mT4_T5_T6_T7_T8_P12ihipStream_tbENKUlT_T0_E_clISt17integral_constantIbLb0EES11_EEDaSW_SX_EUlSW_E_NS1_11comp_targetILNS1_3genE8ELNS1_11target_archE1030ELNS1_3gpuE2ELNS1_3repE0EEENS1_30default_config_static_selectorELNS0_4arch9wavefront6targetE0EEEvT1_ ; -- Begin function _ZN7rocprim17ROCPRIM_400000_NS6detail17trampoline_kernelINS0_14default_configENS1_29reduce_by_key_config_selectorIttN6thrust23THRUST_200600_302600_NS4plusItEEEEZZNS1_33reduce_by_key_impl_wrapped_configILNS1_25lookback_scan_determinismE0ES3_S9_NS6_6detail15normal_iteratorINS6_10device_ptrItEEEESG_SG_SG_PmS8_NS6_8equal_toItEEEE10hipError_tPvRmT2_T3_mT4_T5_T6_T7_T8_P12ihipStream_tbENKUlT_T0_E_clISt17integral_constantIbLb0EES11_EEDaSW_SX_EUlSW_E_NS1_11comp_targetILNS1_3genE8ELNS1_11target_archE1030ELNS1_3gpuE2ELNS1_3repE0EEENS1_30default_config_static_selectorELNS0_4arch9wavefront6targetE0EEEvT1_
	.globl	_ZN7rocprim17ROCPRIM_400000_NS6detail17trampoline_kernelINS0_14default_configENS1_29reduce_by_key_config_selectorIttN6thrust23THRUST_200600_302600_NS4plusItEEEEZZNS1_33reduce_by_key_impl_wrapped_configILNS1_25lookback_scan_determinismE0ES3_S9_NS6_6detail15normal_iteratorINS6_10device_ptrItEEEESG_SG_SG_PmS8_NS6_8equal_toItEEEE10hipError_tPvRmT2_T3_mT4_T5_T6_T7_T8_P12ihipStream_tbENKUlT_T0_E_clISt17integral_constantIbLb0EES11_EEDaSW_SX_EUlSW_E_NS1_11comp_targetILNS1_3genE8ELNS1_11target_archE1030ELNS1_3gpuE2ELNS1_3repE0EEENS1_30default_config_static_selectorELNS0_4arch9wavefront6targetE0EEEvT1_
	.p2align	8
	.type	_ZN7rocprim17ROCPRIM_400000_NS6detail17trampoline_kernelINS0_14default_configENS1_29reduce_by_key_config_selectorIttN6thrust23THRUST_200600_302600_NS4plusItEEEEZZNS1_33reduce_by_key_impl_wrapped_configILNS1_25lookback_scan_determinismE0ES3_S9_NS6_6detail15normal_iteratorINS6_10device_ptrItEEEESG_SG_SG_PmS8_NS6_8equal_toItEEEE10hipError_tPvRmT2_T3_mT4_T5_T6_T7_T8_P12ihipStream_tbENKUlT_T0_E_clISt17integral_constantIbLb0EES11_EEDaSW_SX_EUlSW_E_NS1_11comp_targetILNS1_3genE8ELNS1_11target_archE1030ELNS1_3gpuE2ELNS1_3repE0EEENS1_30default_config_static_selectorELNS0_4arch9wavefront6targetE0EEEvT1_,@function
_ZN7rocprim17ROCPRIM_400000_NS6detail17trampoline_kernelINS0_14default_configENS1_29reduce_by_key_config_selectorIttN6thrust23THRUST_200600_302600_NS4plusItEEEEZZNS1_33reduce_by_key_impl_wrapped_configILNS1_25lookback_scan_determinismE0ES3_S9_NS6_6detail15normal_iteratorINS6_10device_ptrItEEEESG_SG_SG_PmS8_NS6_8equal_toItEEEE10hipError_tPvRmT2_T3_mT4_T5_T6_T7_T8_P12ihipStream_tbENKUlT_T0_E_clISt17integral_constantIbLb0EES11_EEDaSW_SX_EUlSW_E_NS1_11comp_targetILNS1_3genE8ELNS1_11target_archE1030ELNS1_3gpuE2ELNS1_3repE0EEENS1_30default_config_static_selectorELNS0_4arch9wavefront6targetE0EEEvT1_: ; @_ZN7rocprim17ROCPRIM_400000_NS6detail17trampoline_kernelINS0_14default_configENS1_29reduce_by_key_config_selectorIttN6thrust23THRUST_200600_302600_NS4plusItEEEEZZNS1_33reduce_by_key_impl_wrapped_configILNS1_25lookback_scan_determinismE0ES3_S9_NS6_6detail15normal_iteratorINS6_10device_ptrItEEEESG_SG_SG_PmS8_NS6_8equal_toItEEEE10hipError_tPvRmT2_T3_mT4_T5_T6_T7_T8_P12ihipStream_tbENKUlT_T0_E_clISt17integral_constantIbLb0EES11_EEDaSW_SX_EUlSW_E_NS1_11comp_targetILNS1_3genE8ELNS1_11target_archE1030ELNS1_3gpuE2ELNS1_3repE0EEENS1_30default_config_static_selectorELNS0_4arch9wavefront6targetE0EEEvT1_
; %bb.0:
	.section	.rodata,"a",@progbits
	.p2align	6, 0x0
	.amdhsa_kernel _ZN7rocprim17ROCPRIM_400000_NS6detail17trampoline_kernelINS0_14default_configENS1_29reduce_by_key_config_selectorIttN6thrust23THRUST_200600_302600_NS4plusItEEEEZZNS1_33reduce_by_key_impl_wrapped_configILNS1_25lookback_scan_determinismE0ES3_S9_NS6_6detail15normal_iteratorINS6_10device_ptrItEEEESG_SG_SG_PmS8_NS6_8equal_toItEEEE10hipError_tPvRmT2_T3_mT4_T5_T6_T7_T8_P12ihipStream_tbENKUlT_T0_E_clISt17integral_constantIbLb0EES11_EEDaSW_SX_EUlSW_E_NS1_11comp_targetILNS1_3genE8ELNS1_11target_archE1030ELNS1_3gpuE2ELNS1_3repE0EEENS1_30default_config_static_selectorELNS0_4arch9wavefront6targetE0EEEvT1_
		.amdhsa_group_segment_fixed_size 0
		.amdhsa_private_segment_fixed_size 0
		.amdhsa_kernarg_size 120
		.amdhsa_user_sgpr_count 15
		.amdhsa_user_sgpr_dispatch_ptr 0
		.amdhsa_user_sgpr_queue_ptr 0
		.amdhsa_user_sgpr_kernarg_segment_ptr 1
		.amdhsa_user_sgpr_dispatch_id 0
		.amdhsa_user_sgpr_private_segment_size 0
		.amdhsa_wavefront_size32 1
		.amdhsa_uses_dynamic_stack 0
		.amdhsa_enable_private_segment 0
		.amdhsa_system_sgpr_workgroup_id_x 1
		.amdhsa_system_sgpr_workgroup_id_y 0
		.amdhsa_system_sgpr_workgroup_id_z 0
		.amdhsa_system_sgpr_workgroup_info 0
		.amdhsa_system_vgpr_workitem_id 0
		.amdhsa_next_free_vgpr 1
		.amdhsa_next_free_sgpr 1
		.amdhsa_reserve_vcc 0
		.amdhsa_float_round_mode_32 0
		.amdhsa_float_round_mode_16_64 0
		.amdhsa_float_denorm_mode_32 3
		.amdhsa_float_denorm_mode_16_64 3
		.amdhsa_dx10_clamp 1
		.amdhsa_ieee_mode 1
		.amdhsa_fp16_overflow 0
		.amdhsa_workgroup_processor_mode 1
		.amdhsa_memory_ordered 1
		.amdhsa_forward_progress 0
		.amdhsa_shared_vgpr_count 0
		.amdhsa_exception_fp_ieee_invalid_op 0
		.amdhsa_exception_fp_denorm_src 0
		.amdhsa_exception_fp_ieee_div_zero 0
		.amdhsa_exception_fp_ieee_overflow 0
		.amdhsa_exception_fp_ieee_underflow 0
		.amdhsa_exception_fp_ieee_inexact 0
		.amdhsa_exception_int_div_zero 0
	.end_amdhsa_kernel
	.section	.text._ZN7rocprim17ROCPRIM_400000_NS6detail17trampoline_kernelINS0_14default_configENS1_29reduce_by_key_config_selectorIttN6thrust23THRUST_200600_302600_NS4plusItEEEEZZNS1_33reduce_by_key_impl_wrapped_configILNS1_25lookback_scan_determinismE0ES3_S9_NS6_6detail15normal_iteratorINS6_10device_ptrItEEEESG_SG_SG_PmS8_NS6_8equal_toItEEEE10hipError_tPvRmT2_T3_mT4_T5_T6_T7_T8_P12ihipStream_tbENKUlT_T0_E_clISt17integral_constantIbLb0EES11_EEDaSW_SX_EUlSW_E_NS1_11comp_targetILNS1_3genE8ELNS1_11target_archE1030ELNS1_3gpuE2ELNS1_3repE0EEENS1_30default_config_static_selectorELNS0_4arch9wavefront6targetE0EEEvT1_,"axG",@progbits,_ZN7rocprim17ROCPRIM_400000_NS6detail17trampoline_kernelINS0_14default_configENS1_29reduce_by_key_config_selectorIttN6thrust23THRUST_200600_302600_NS4plusItEEEEZZNS1_33reduce_by_key_impl_wrapped_configILNS1_25lookback_scan_determinismE0ES3_S9_NS6_6detail15normal_iteratorINS6_10device_ptrItEEEESG_SG_SG_PmS8_NS6_8equal_toItEEEE10hipError_tPvRmT2_T3_mT4_T5_T6_T7_T8_P12ihipStream_tbENKUlT_T0_E_clISt17integral_constantIbLb0EES11_EEDaSW_SX_EUlSW_E_NS1_11comp_targetILNS1_3genE8ELNS1_11target_archE1030ELNS1_3gpuE2ELNS1_3repE0EEENS1_30default_config_static_selectorELNS0_4arch9wavefront6targetE0EEEvT1_,comdat
.Lfunc_end400:
	.size	_ZN7rocprim17ROCPRIM_400000_NS6detail17trampoline_kernelINS0_14default_configENS1_29reduce_by_key_config_selectorIttN6thrust23THRUST_200600_302600_NS4plusItEEEEZZNS1_33reduce_by_key_impl_wrapped_configILNS1_25lookback_scan_determinismE0ES3_S9_NS6_6detail15normal_iteratorINS6_10device_ptrItEEEESG_SG_SG_PmS8_NS6_8equal_toItEEEE10hipError_tPvRmT2_T3_mT4_T5_T6_T7_T8_P12ihipStream_tbENKUlT_T0_E_clISt17integral_constantIbLb0EES11_EEDaSW_SX_EUlSW_E_NS1_11comp_targetILNS1_3genE8ELNS1_11target_archE1030ELNS1_3gpuE2ELNS1_3repE0EEENS1_30default_config_static_selectorELNS0_4arch9wavefront6targetE0EEEvT1_, .Lfunc_end400-_ZN7rocprim17ROCPRIM_400000_NS6detail17trampoline_kernelINS0_14default_configENS1_29reduce_by_key_config_selectorIttN6thrust23THRUST_200600_302600_NS4plusItEEEEZZNS1_33reduce_by_key_impl_wrapped_configILNS1_25lookback_scan_determinismE0ES3_S9_NS6_6detail15normal_iteratorINS6_10device_ptrItEEEESG_SG_SG_PmS8_NS6_8equal_toItEEEE10hipError_tPvRmT2_T3_mT4_T5_T6_T7_T8_P12ihipStream_tbENKUlT_T0_E_clISt17integral_constantIbLb0EES11_EEDaSW_SX_EUlSW_E_NS1_11comp_targetILNS1_3genE8ELNS1_11target_archE1030ELNS1_3gpuE2ELNS1_3repE0EEENS1_30default_config_static_selectorELNS0_4arch9wavefront6targetE0EEEvT1_
                                        ; -- End function
	.section	.AMDGPU.csdata,"",@progbits
; Kernel info:
; codeLenInByte = 0
; NumSgprs: 0
; NumVgprs: 0
; ScratchSize: 0
; MemoryBound: 0
; FloatMode: 240
; IeeeMode: 1
; LDSByteSize: 0 bytes/workgroup (compile time only)
; SGPRBlocks: 0
; VGPRBlocks: 0
; NumSGPRsForWavesPerEU: 1
; NumVGPRsForWavesPerEU: 1
; Occupancy: 16
; WaveLimiterHint : 0
; COMPUTE_PGM_RSRC2:SCRATCH_EN: 0
; COMPUTE_PGM_RSRC2:USER_SGPR: 15
; COMPUTE_PGM_RSRC2:TRAP_HANDLER: 0
; COMPUTE_PGM_RSRC2:TGID_X_EN: 1
; COMPUTE_PGM_RSRC2:TGID_Y_EN: 0
; COMPUTE_PGM_RSRC2:TGID_Z_EN: 0
; COMPUTE_PGM_RSRC2:TIDIG_COMP_CNT: 0
	.section	.text._ZN7rocprim17ROCPRIM_400000_NS6detail25reduce_by_key_init_kernelINS1_19lookback_scan_stateINS0_5tupleIJjtEEELb1ELb1EEEtNS1_16block_id_wrapperIjLb1EEEEEvT_jbjPmPT0_T1_,"axG",@progbits,_ZN7rocprim17ROCPRIM_400000_NS6detail25reduce_by_key_init_kernelINS1_19lookback_scan_stateINS0_5tupleIJjtEEELb1ELb1EEEtNS1_16block_id_wrapperIjLb1EEEEEvT_jbjPmPT0_T1_,comdat
	.protected	_ZN7rocprim17ROCPRIM_400000_NS6detail25reduce_by_key_init_kernelINS1_19lookback_scan_stateINS0_5tupleIJjtEEELb1ELb1EEEtNS1_16block_id_wrapperIjLb1EEEEEvT_jbjPmPT0_T1_ ; -- Begin function _ZN7rocprim17ROCPRIM_400000_NS6detail25reduce_by_key_init_kernelINS1_19lookback_scan_stateINS0_5tupleIJjtEEELb1ELb1EEEtNS1_16block_id_wrapperIjLb1EEEEEvT_jbjPmPT0_T1_
	.globl	_ZN7rocprim17ROCPRIM_400000_NS6detail25reduce_by_key_init_kernelINS1_19lookback_scan_stateINS0_5tupleIJjtEEELb1ELb1EEEtNS1_16block_id_wrapperIjLb1EEEEEvT_jbjPmPT0_T1_
	.p2align	8
	.type	_ZN7rocprim17ROCPRIM_400000_NS6detail25reduce_by_key_init_kernelINS1_19lookback_scan_stateINS0_5tupleIJjtEEELb1ELb1EEEtNS1_16block_id_wrapperIjLb1EEEEEvT_jbjPmPT0_T1_,@function
_ZN7rocprim17ROCPRIM_400000_NS6detail25reduce_by_key_init_kernelINS1_19lookback_scan_stateINS0_5tupleIJjtEEELb1ELb1EEEtNS1_16block_id_wrapperIjLb1EEEEEvT_jbjPmPT0_T1_: ; @_ZN7rocprim17ROCPRIM_400000_NS6detail25reduce_by_key_init_kernelINS1_19lookback_scan_stateINS0_5tupleIJjtEEELb1ELb1EEEtNS1_16block_id_wrapperIjLb1EEEEEvT_jbjPmPT0_T1_
; %bb.0:
	s_clause 0x3
	s_load_b32 s14, s[0:1], 0x3c
	s_load_b256 s[4:11], s[0:1], 0x8
	s_load_b64 s[12:13], s[0:1], 0x28
	s_load_b64 s[2:3], s[0:1], 0x0
	s_mov_b32 s1, -1
	s_waitcnt lgkmcnt(0)
	s_and_b32 s0, s14, 0xffff
	s_delay_alu instid0(SALU_CYCLE_1) | instskip(SKIP_1) | instid1(SALU_CYCLE_1)
	v_mad_u64_u32 v[1:2], null, s15, s0, v[0:1]
	s_and_b32 s0, s5, 1
	s_cmp_eq_u32 s0, 0
	s_cbranch_scc0 .LBB401_10
; %bb.1:
	s_cmp_lt_u32 s6, s4
	s_mov_b32 s5, exec_lo
	s_cselect_b32 s0, s6, 0
	s_delay_alu instid0(VALU_DEP_1) | instid1(SALU_CYCLE_1)
	v_cmpx_eq_u32_e64 s0, v1
	s_cbranch_execz .LBB401_9
; %bb.2:
	s_add_i32 s0, s6, 32
	s_mov_b32 s1, 0
	v_mov_b32_e32 v6, 0
	s_lshl_b64 s[6:7], s[0:1], 4
	s_mov_b32 s0, exec_lo
	s_add_u32 s6, s2, s6
	s_addc_u32 s7, s3, s7
	s_delay_alu instid0(SALU_CYCLE_1) | instskip(SKIP_2) | instid1(VALU_DEP_1)
	v_dual_mov_b32 v2, s6 :: v_dual_mov_b32 v3, s7
	;;#ASMSTART
	global_load_dwordx4 v[2:5], v[2:3] off glc	
s_waitcnt vmcnt(0)
	;;#ASMEND
	v_and_b32_e32 v5, 0xff, v4
	v_cmpx_eq_u64_e32 0, v[5:6]
	s_cbranch_execz .LBB401_8
; %bb.3:
	v_dual_mov_b32 v8, s7 :: v_dual_mov_b32 v7, s6
	s_mov_b32 s6, 1
	.p2align	6
.LBB401_4:                              ; =>This Loop Header: Depth=1
                                        ;     Child Loop BB401_5 Depth 2
	s_delay_alu instid0(SALU_CYCLE_1)
	s_max_u32 s7, s6, 1
.LBB401_5:                              ;   Parent Loop BB401_4 Depth=1
                                        ; =>  This Inner Loop Header: Depth=2
	s_delay_alu instid0(SALU_CYCLE_1)
	s_add_i32 s7, s7, -1
	s_sleep 1
	s_cmp_eq_u32 s7, 0
	s_cbranch_scc0 .LBB401_5
; %bb.6:                                ;   in Loop: Header=BB401_4 Depth=1
	;;#ASMSTART
	global_load_dwordx4 v[2:5], v[7:8] off glc	
s_waitcnt vmcnt(0)
	;;#ASMEND
	v_and_b32_e32 v5, 0xff, v4
	s_cmp_lt_u32 s6, 32
	s_cselect_b32 s7, -1, 0
	s_delay_alu instid0(SALU_CYCLE_1) | instskip(NEXT) | instid1(VALU_DEP_1)
	s_cmp_lg_u32 s7, 0
	v_cmp_ne_u64_e32 vcc_lo, 0, v[5:6]
	s_addc_u32 s6, s6, 0
	s_or_b32 s1, vcc_lo, s1
	s_delay_alu instid0(SALU_CYCLE_1)
	s_and_not1_b32 exec_lo, exec_lo, s1
	s_cbranch_execnz .LBB401_4
; %bb.7:
	s_or_b32 exec_lo, exec_lo, s1
.LBB401_8:
	s_delay_alu instid0(SALU_CYCLE_1)
	s_or_b32 exec_lo, exec_lo, s0
	v_mov_b32_e32 v0, 0
	global_load_b64 v[4:5], v0, s[8:9]
	s_waitcnt vmcnt(0)
	v_add_co_u32 v4, vcc_lo, v4, v2
	v_add_co_ci_u32_e32 v5, vcc_lo, 0, v5, vcc_lo
	s_clause 0x1
	global_store_b64 v0, v[4:5], s[8:9]
	global_store_b16 v0, v3, s[10:11]
.LBB401_9:
	s_or_b32 exec_lo, exec_lo, s5
	s_mov_b32 s1, 0
.LBB401_10:
	s_delay_alu instid0(VALU_DEP_1)
	v_cmp_eq_u32_e64 s0, 0, v1
	s_and_not1_b32 vcc_lo, exec_lo, s1
	s_cbranch_vccnz .LBB401_14
; %bb.11:
	s_cmp_lg_u64 s[8:9], 0
	s_cselect_b32 s1, -1, 0
	s_delay_alu instid0(SALU_CYCLE_1) | instskip(NEXT) | instid1(SALU_CYCLE_1)
	s_and_b32 s1, s1, s0
	s_and_saveexec_b32 s0, s1
	s_cbranch_execz .LBB401_13
; %bb.12:
	v_mov_b32_e32 v2, 0
	s_delay_alu instid0(VALU_DEP_1)
	v_mov_b32_e32 v3, v2
	global_store_b64 v2, v[2:3], s[8:9]
.LBB401_13:
	s_or_b32 exec_lo, exec_lo, s0
.LBB401_14:
	s_delay_alu instid0(SALU_CYCLE_1)
	s_mov_b32 s0, exec_lo
	v_cmpx_eq_u32_e32 0, v1
	s_cbranch_execz .LBB401_16
; %bb.15:
	v_mov_b32_e32 v0, 0
	global_store_b32 v0, v0, s[12:13]
.LBB401_16:
	s_or_b32 exec_lo, exec_lo, s0
	s_delay_alu instid0(SALU_CYCLE_1)
	s_mov_b32 s0, exec_lo
	v_cmpx_gt_u32_e64 s4, v1
	s_cbranch_execz .LBB401_18
; %bb.17:
	v_dual_mov_b32 v3, 0 :: v_dual_add_nc_u32 v2, 32, v1
	s_delay_alu instid0(VALU_DEP_1) | instskip(SKIP_2) | instid1(VALU_DEP_3)
	v_lshlrev_b64 v[5:6], 4, v[2:3]
	v_mov_b32_e32 v2, v3
	v_mov_b32_e32 v4, v3
	v_add_co_u32 v7, vcc_lo, s2, v5
	s_delay_alu instid0(VALU_DEP_4)
	v_add_co_ci_u32_e32 v8, vcc_lo, s3, v6, vcc_lo
	v_mov_b32_e32 v5, v3
	global_store_b128 v[7:8], v[2:5], off
.LBB401_18:
	s_or_b32 exec_lo, exec_lo, s0
	s_delay_alu instid0(SALU_CYCLE_1)
	s_mov_b32 s0, exec_lo
	v_cmpx_gt_u32_e32 32, v1
	s_cbranch_execz .LBB401_20
; %bb.19:
	v_dual_mov_b32 v2, 0 :: v_dual_mov_b32 v3, 0xff
	s_delay_alu instid0(VALU_DEP_1) | instskip(SKIP_1) | instid1(VALU_DEP_2)
	v_lshlrev_b64 v[4:5], 4, v[1:2]
	v_mov_b32_e32 v1, v2
	v_add_co_u32 v6, vcc_lo, s2, v4
	s_delay_alu instid0(VALU_DEP_3)
	v_add_co_ci_u32_e32 v7, vcc_lo, s3, v5, vcc_lo
	v_mov_b32_e32 v4, v2
	global_store_b128 v[6:7], v[1:4], off
.LBB401_20:
	s_nop 0
	s_sendmsg sendmsg(MSG_DEALLOC_VGPRS)
	s_endpgm
	.section	.rodata,"a",@progbits
	.p2align	6, 0x0
	.amdhsa_kernel _ZN7rocprim17ROCPRIM_400000_NS6detail25reduce_by_key_init_kernelINS1_19lookback_scan_stateINS0_5tupleIJjtEEELb1ELb1EEEtNS1_16block_id_wrapperIjLb1EEEEEvT_jbjPmPT0_T1_
		.amdhsa_group_segment_fixed_size 0
		.amdhsa_private_segment_fixed_size 0
		.amdhsa_kernarg_size 304
		.amdhsa_user_sgpr_count 15
		.amdhsa_user_sgpr_dispatch_ptr 0
		.amdhsa_user_sgpr_queue_ptr 0
		.amdhsa_user_sgpr_kernarg_segment_ptr 1
		.amdhsa_user_sgpr_dispatch_id 0
		.amdhsa_user_sgpr_private_segment_size 0
		.amdhsa_wavefront_size32 1
		.amdhsa_uses_dynamic_stack 0
		.amdhsa_enable_private_segment 0
		.amdhsa_system_sgpr_workgroup_id_x 1
		.amdhsa_system_sgpr_workgroup_id_y 0
		.amdhsa_system_sgpr_workgroup_id_z 0
		.amdhsa_system_sgpr_workgroup_info 0
		.amdhsa_system_vgpr_workitem_id 0
		.amdhsa_next_free_vgpr 9
		.amdhsa_next_free_sgpr 16
		.amdhsa_reserve_vcc 1
		.amdhsa_float_round_mode_32 0
		.amdhsa_float_round_mode_16_64 0
		.amdhsa_float_denorm_mode_32 3
		.amdhsa_float_denorm_mode_16_64 3
		.amdhsa_dx10_clamp 1
		.amdhsa_ieee_mode 1
		.amdhsa_fp16_overflow 0
		.amdhsa_workgroup_processor_mode 1
		.amdhsa_memory_ordered 1
		.amdhsa_forward_progress 0
		.amdhsa_shared_vgpr_count 0
		.amdhsa_exception_fp_ieee_invalid_op 0
		.amdhsa_exception_fp_denorm_src 0
		.amdhsa_exception_fp_ieee_div_zero 0
		.amdhsa_exception_fp_ieee_overflow 0
		.amdhsa_exception_fp_ieee_underflow 0
		.amdhsa_exception_fp_ieee_inexact 0
		.amdhsa_exception_int_div_zero 0
	.end_amdhsa_kernel
	.section	.text._ZN7rocprim17ROCPRIM_400000_NS6detail25reduce_by_key_init_kernelINS1_19lookback_scan_stateINS0_5tupleIJjtEEELb1ELb1EEEtNS1_16block_id_wrapperIjLb1EEEEEvT_jbjPmPT0_T1_,"axG",@progbits,_ZN7rocprim17ROCPRIM_400000_NS6detail25reduce_by_key_init_kernelINS1_19lookback_scan_stateINS0_5tupleIJjtEEELb1ELb1EEEtNS1_16block_id_wrapperIjLb1EEEEEvT_jbjPmPT0_T1_,comdat
.Lfunc_end401:
	.size	_ZN7rocprim17ROCPRIM_400000_NS6detail25reduce_by_key_init_kernelINS1_19lookback_scan_stateINS0_5tupleIJjtEEELb1ELb1EEEtNS1_16block_id_wrapperIjLb1EEEEEvT_jbjPmPT0_T1_, .Lfunc_end401-_ZN7rocprim17ROCPRIM_400000_NS6detail25reduce_by_key_init_kernelINS1_19lookback_scan_stateINS0_5tupleIJjtEEELb1ELb1EEEtNS1_16block_id_wrapperIjLb1EEEEEvT_jbjPmPT0_T1_
                                        ; -- End function
	.section	.AMDGPU.csdata,"",@progbits
; Kernel info:
; codeLenInByte = 660
; NumSgprs: 18
; NumVgprs: 9
; ScratchSize: 0
; MemoryBound: 0
; FloatMode: 240
; IeeeMode: 1
; LDSByteSize: 0 bytes/workgroup (compile time only)
; SGPRBlocks: 2
; VGPRBlocks: 1
; NumSGPRsForWavesPerEU: 18
; NumVGPRsForWavesPerEU: 9
; Occupancy: 16
; WaveLimiterHint : 0
; COMPUTE_PGM_RSRC2:SCRATCH_EN: 0
; COMPUTE_PGM_RSRC2:USER_SGPR: 15
; COMPUTE_PGM_RSRC2:TRAP_HANDLER: 0
; COMPUTE_PGM_RSRC2:TGID_X_EN: 1
; COMPUTE_PGM_RSRC2:TGID_Y_EN: 0
; COMPUTE_PGM_RSRC2:TGID_Z_EN: 0
; COMPUTE_PGM_RSRC2:TIDIG_COMP_CNT: 0
	.section	.text._ZN7rocprim17ROCPRIM_400000_NS6detail17trampoline_kernelINS0_14default_configENS1_29reduce_by_key_config_selectorIttN6thrust23THRUST_200600_302600_NS4plusItEEEEZZNS1_33reduce_by_key_impl_wrapped_configILNS1_25lookback_scan_determinismE0ES3_S9_NS6_6detail15normal_iteratorINS6_10device_ptrItEEEESG_SG_SG_PmS8_NS6_8equal_toItEEEE10hipError_tPvRmT2_T3_mT4_T5_T6_T7_T8_P12ihipStream_tbENKUlT_T0_E_clISt17integral_constantIbLb1EES11_EEDaSW_SX_EUlSW_E_NS1_11comp_targetILNS1_3genE0ELNS1_11target_archE4294967295ELNS1_3gpuE0ELNS1_3repE0EEENS1_30default_config_static_selectorELNS0_4arch9wavefront6targetE0EEEvT1_,"axG",@progbits,_ZN7rocprim17ROCPRIM_400000_NS6detail17trampoline_kernelINS0_14default_configENS1_29reduce_by_key_config_selectorIttN6thrust23THRUST_200600_302600_NS4plusItEEEEZZNS1_33reduce_by_key_impl_wrapped_configILNS1_25lookback_scan_determinismE0ES3_S9_NS6_6detail15normal_iteratorINS6_10device_ptrItEEEESG_SG_SG_PmS8_NS6_8equal_toItEEEE10hipError_tPvRmT2_T3_mT4_T5_T6_T7_T8_P12ihipStream_tbENKUlT_T0_E_clISt17integral_constantIbLb1EES11_EEDaSW_SX_EUlSW_E_NS1_11comp_targetILNS1_3genE0ELNS1_11target_archE4294967295ELNS1_3gpuE0ELNS1_3repE0EEENS1_30default_config_static_selectorELNS0_4arch9wavefront6targetE0EEEvT1_,comdat
	.protected	_ZN7rocprim17ROCPRIM_400000_NS6detail17trampoline_kernelINS0_14default_configENS1_29reduce_by_key_config_selectorIttN6thrust23THRUST_200600_302600_NS4plusItEEEEZZNS1_33reduce_by_key_impl_wrapped_configILNS1_25lookback_scan_determinismE0ES3_S9_NS6_6detail15normal_iteratorINS6_10device_ptrItEEEESG_SG_SG_PmS8_NS6_8equal_toItEEEE10hipError_tPvRmT2_T3_mT4_T5_T6_T7_T8_P12ihipStream_tbENKUlT_T0_E_clISt17integral_constantIbLb1EES11_EEDaSW_SX_EUlSW_E_NS1_11comp_targetILNS1_3genE0ELNS1_11target_archE4294967295ELNS1_3gpuE0ELNS1_3repE0EEENS1_30default_config_static_selectorELNS0_4arch9wavefront6targetE0EEEvT1_ ; -- Begin function _ZN7rocprim17ROCPRIM_400000_NS6detail17trampoline_kernelINS0_14default_configENS1_29reduce_by_key_config_selectorIttN6thrust23THRUST_200600_302600_NS4plusItEEEEZZNS1_33reduce_by_key_impl_wrapped_configILNS1_25lookback_scan_determinismE0ES3_S9_NS6_6detail15normal_iteratorINS6_10device_ptrItEEEESG_SG_SG_PmS8_NS6_8equal_toItEEEE10hipError_tPvRmT2_T3_mT4_T5_T6_T7_T8_P12ihipStream_tbENKUlT_T0_E_clISt17integral_constantIbLb1EES11_EEDaSW_SX_EUlSW_E_NS1_11comp_targetILNS1_3genE0ELNS1_11target_archE4294967295ELNS1_3gpuE0ELNS1_3repE0EEENS1_30default_config_static_selectorELNS0_4arch9wavefront6targetE0EEEvT1_
	.globl	_ZN7rocprim17ROCPRIM_400000_NS6detail17trampoline_kernelINS0_14default_configENS1_29reduce_by_key_config_selectorIttN6thrust23THRUST_200600_302600_NS4plusItEEEEZZNS1_33reduce_by_key_impl_wrapped_configILNS1_25lookback_scan_determinismE0ES3_S9_NS6_6detail15normal_iteratorINS6_10device_ptrItEEEESG_SG_SG_PmS8_NS6_8equal_toItEEEE10hipError_tPvRmT2_T3_mT4_T5_T6_T7_T8_P12ihipStream_tbENKUlT_T0_E_clISt17integral_constantIbLb1EES11_EEDaSW_SX_EUlSW_E_NS1_11comp_targetILNS1_3genE0ELNS1_11target_archE4294967295ELNS1_3gpuE0ELNS1_3repE0EEENS1_30default_config_static_selectorELNS0_4arch9wavefront6targetE0EEEvT1_
	.p2align	8
	.type	_ZN7rocprim17ROCPRIM_400000_NS6detail17trampoline_kernelINS0_14default_configENS1_29reduce_by_key_config_selectorIttN6thrust23THRUST_200600_302600_NS4plusItEEEEZZNS1_33reduce_by_key_impl_wrapped_configILNS1_25lookback_scan_determinismE0ES3_S9_NS6_6detail15normal_iteratorINS6_10device_ptrItEEEESG_SG_SG_PmS8_NS6_8equal_toItEEEE10hipError_tPvRmT2_T3_mT4_T5_T6_T7_T8_P12ihipStream_tbENKUlT_T0_E_clISt17integral_constantIbLb1EES11_EEDaSW_SX_EUlSW_E_NS1_11comp_targetILNS1_3genE0ELNS1_11target_archE4294967295ELNS1_3gpuE0ELNS1_3repE0EEENS1_30default_config_static_selectorELNS0_4arch9wavefront6targetE0EEEvT1_,@function
_ZN7rocprim17ROCPRIM_400000_NS6detail17trampoline_kernelINS0_14default_configENS1_29reduce_by_key_config_selectorIttN6thrust23THRUST_200600_302600_NS4plusItEEEEZZNS1_33reduce_by_key_impl_wrapped_configILNS1_25lookback_scan_determinismE0ES3_S9_NS6_6detail15normal_iteratorINS6_10device_ptrItEEEESG_SG_SG_PmS8_NS6_8equal_toItEEEE10hipError_tPvRmT2_T3_mT4_T5_T6_T7_T8_P12ihipStream_tbENKUlT_T0_E_clISt17integral_constantIbLb1EES11_EEDaSW_SX_EUlSW_E_NS1_11comp_targetILNS1_3genE0ELNS1_11target_archE4294967295ELNS1_3gpuE0ELNS1_3repE0EEENS1_30default_config_static_selectorELNS0_4arch9wavefront6targetE0EEEvT1_: ; @_ZN7rocprim17ROCPRIM_400000_NS6detail17trampoline_kernelINS0_14default_configENS1_29reduce_by_key_config_selectorIttN6thrust23THRUST_200600_302600_NS4plusItEEEEZZNS1_33reduce_by_key_impl_wrapped_configILNS1_25lookback_scan_determinismE0ES3_S9_NS6_6detail15normal_iteratorINS6_10device_ptrItEEEESG_SG_SG_PmS8_NS6_8equal_toItEEEE10hipError_tPvRmT2_T3_mT4_T5_T6_T7_T8_P12ihipStream_tbENKUlT_T0_E_clISt17integral_constantIbLb1EES11_EEDaSW_SX_EUlSW_E_NS1_11comp_targetILNS1_3genE0ELNS1_11target_archE4294967295ELNS1_3gpuE0ELNS1_3repE0EEENS1_30default_config_static_selectorELNS0_4arch9wavefront6targetE0EEEvT1_
; %bb.0:
	.section	.rodata,"a",@progbits
	.p2align	6, 0x0
	.amdhsa_kernel _ZN7rocprim17ROCPRIM_400000_NS6detail17trampoline_kernelINS0_14default_configENS1_29reduce_by_key_config_selectorIttN6thrust23THRUST_200600_302600_NS4plusItEEEEZZNS1_33reduce_by_key_impl_wrapped_configILNS1_25lookback_scan_determinismE0ES3_S9_NS6_6detail15normal_iteratorINS6_10device_ptrItEEEESG_SG_SG_PmS8_NS6_8equal_toItEEEE10hipError_tPvRmT2_T3_mT4_T5_T6_T7_T8_P12ihipStream_tbENKUlT_T0_E_clISt17integral_constantIbLb1EES11_EEDaSW_SX_EUlSW_E_NS1_11comp_targetILNS1_3genE0ELNS1_11target_archE4294967295ELNS1_3gpuE0ELNS1_3repE0EEENS1_30default_config_static_selectorELNS0_4arch9wavefront6targetE0EEEvT1_
		.amdhsa_group_segment_fixed_size 0
		.amdhsa_private_segment_fixed_size 0
		.amdhsa_kernarg_size 120
		.amdhsa_user_sgpr_count 15
		.amdhsa_user_sgpr_dispatch_ptr 0
		.amdhsa_user_sgpr_queue_ptr 0
		.amdhsa_user_sgpr_kernarg_segment_ptr 1
		.amdhsa_user_sgpr_dispatch_id 0
		.amdhsa_user_sgpr_private_segment_size 0
		.amdhsa_wavefront_size32 1
		.amdhsa_uses_dynamic_stack 0
		.amdhsa_enable_private_segment 0
		.amdhsa_system_sgpr_workgroup_id_x 1
		.amdhsa_system_sgpr_workgroup_id_y 0
		.amdhsa_system_sgpr_workgroup_id_z 0
		.amdhsa_system_sgpr_workgroup_info 0
		.amdhsa_system_vgpr_workitem_id 0
		.amdhsa_next_free_vgpr 1
		.amdhsa_next_free_sgpr 1
		.amdhsa_reserve_vcc 0
		.amdhsa_float_round_mode_32 0
		.amdhsa_float_round_mode_16_64 0
		.amdhsa_float_denorm_mode_32 3
		.amdhsa_float_denorm_mode_16_64 3
		.amdhsa_dx10_clamp 1
		.amdhsa_ieee_mode 1
		.amdhsa_fp16_overflow 0
		.amdhsa_workgroup_processor_mode 1
		.amdhsa_memory_ordered 1
		.amdhsa_forward_progress 0
		.amdhsa_shared_vgpr_count 0
		.amdhsa_exception_fp_ieee_invalid_op 0
		.amdhsa_exception_fp_denorm_src 0
		.amdhsa_exception_fp_ieee_div_zero 0
		.amdhsa_exception_fp_ieee_overflow 0
		.amdhsa_exception_fp_ieee_underflow 0
		.amdhsa_exception_fp_ieee_inexact 0
		.amdhsa_exception_int_div_zero 0
	.end_amdhsa_kernel
	.section	.text._ZN7rocprim17ROCPRIM_400000_NS6detail17trampoline_kernelINS0_14default_configENS1_29reduce_by_key_config_selectorIttN6thrust23THRUST_200600_302600_NS4plusItEEEEZZNS1_33reduce_by_key_impl_wrapped_configILNS1_25lookback_scan_determinismE0ES3_S9_NS6_6detail15normal_iteratorINS6_10device_ptrItEEEESG_SG_SG_PmS8_NS6_8equal_toItEEEE10hipError_tPvRmT2_T3_mT4_T5_T6_T7_T8_P12ihipStream_tbENKUlT_T0_E_clISt17integral_constantIbLb1EES11_EEDaSW_SX_EUlSW_E_NS1_11comp_targetILNS1_3genE0ELNS1_11target_archE4294967295ELNS1_3gpuE0ELNS1_3repE0EEENS1_30default_config_static_selectorELNS0_4arch9wavefront6targetE0EEEvT1_,"axG",@progbits,_ZN7rocprim17ROCPRIM_400000_NS6detail17trampoline_kernelINS0_14default_configENS1_29reduce_by_key_config_selectorIttN6thrust23THRUST_200600_302600_NS4plusItEEEEZZNS1_33reduce_by_key_impl_wrapped_configILNS1_25lookback_scan_determinismE0ES3_S9_NS6_6detail15normal_iteratorINS6_10device_ptrItEEEESG_SG_SG_PmS8_NS6_8equal_toItEEEE10hipError_tPvRmT2_T3_mT4_T5_T6_T7_T8_P12ihipStream_tbENKUlT_T0_E_clISt17integral_constantIbLb1EES11_EEDaSW_SX_EUlSW_E_NS1_11comp_targetILNS1_3genE0ELNS1_11target_archE4294967295ELNS1_3gpuE0ELNS1_3repE0EEENS1_30default_config_static_selectorELNS0_4arch9wavefront6targetE0EEEvT1_,comdat
.Lfunc_end402:
	.size	_ZN7rocprim17ROCPRIM_400000_NS6detail17trampoline_kernelINS0_14default_configENS1_29reduce_by_key_config_selectorIttN6thrust23THRUST_200600_302600_NS4plusItEEEEZZNS1_33reduce_by_key_impl_wrapped_configILNS1_25lookback_scan_determinismE0ES3_S9_NS6_6detail15normal_iteratorINS6_10device_ptrItEEEESG_SG_SG_PmS8_NS6_8equal_toItEEEE10hipError_tPvRmT2_T3_mT4_T5_T6_T7_T8_P12ihipStream_tbENKUlT_T0_E_clISt17integral_constantIbLb1EES11_EEDaSW_SX_EUlSW_E_NS1_11comp_targetILNS1_3genE0ELNS1_11target_archE4294967295ELNS1_3gpuE0ELNS1_3repE0EEENS1_30default_config_static_selectorELNS0_4arch9wavefront6targetE0EEEvT1_, .Lfunc_end402-_ZN7rocprim17ROCPRIM_400000_NS6detail17trampoline_kernelINS0_14default_configENS1_29reduce_by_key_config_selectorIttN6thrust23THRUST_200600_302600_NS4plusItEEEEZZNS1_33reduce_by_key_impl_wrapped_configILNS1_25lookback_scan_determinismE0ES3_S9_NS6_6detail15normal_iteratorINS6_10device_ptrItEEEESG_SG_SG_PmS8_NS6_8equal_toItEEEE10hipError_tPvRmT2_T3_mT4_T5_T6_T7_T8_P12ihipStream_tbENKUlT_T0_E_clISt17integral_constantIbLb1EES11_EEDaSW_SX_EUlSW_E_NS1_11comp_targetILNS1_3genE0ELNS1_11target_archE4294967295ELNS1_3gpuE0ELNS1_3repE0EEENS1_30default_config_static_selectorELNS0_4arch9wavefront6targetE0EEEvT1_
                                        ; -- End function
	.section	.AMDGPU.csdata,"",@progbits
; Kernel info:
; codeLenInByte = 0
; NumSgprs: 0
; NumVgprs: 0
; ScratchSize: 0
; MemoryBound: 0
; FloatMode: 240
; IeeeMode: 1
; LDSByteSize: 0 bytes/workgroup (compile time only)
; SGPRBlocks: 0
; VGPRBlocks: 0
; NumSGPRsForWavesPerEU: 1
; NumVGPRsForWavesPerEU: 1
; Occupancy: 16
; WaveLimiterHint : 0
; COMPUTE_PGM_RSRC2:SCRATCH_EN: 0
; COMPUTE_PGM_RSRC2:USER_SGPR: 15
; COMPUTE_PGM_RSRC2:TRAP_HANDLER: 0
; COMPUTE_PGM_RSRC2:TGID_X_EN: 1
; COMPUTE_PGM_RSRC2:TGID_Y_EN: 0
; COMPUTE_PGM_RSRC2:TGID_Z_EN: 0
; COMPUTE_PGM_RSRC2:TIDIG_COMP_CNT: 0
	.section	.text._ZN7rocprim17ROCPRIM_400000_NS6detail17trampoline_kernelINS0_14default_configENS1_29reduce_by_key_config_selectorIttN6thrust23THRUST_200600_302600_NS4plusItEEEEZZNS1_33reduce_by_key_impl_wrapped_configILNS1_25lookback_scan_determinismE0ES3_S9_NS6_6detail15normal_iteratorINS6_10device_ptrItEEEESG_SG_SG_PmS8_NS6_8equal_toItEEEE10hipError_tPvRmT2_T3_mT4_T5_T6_T7_T8_P12ihipStream_tbENKUlT_T0_E_clISt17integral_constantIbLb1EES11_EEDaSW_SX_EUlSW_E_NS1_11comp_targetILNS1_3genE5ELNS1_11target_archE942ELNS1_3gpuE9ELNS1_3repE0EEENS1_30default_config_static_selectorELNS0_4arch9wavefront6targetE0EEEvT1_,"axG",@progbits,_ZN7rocprim17ROCPRIM_400000_NS6detail17trampoline_kernelINS0_14default_configENS1_29reduce_by_key_config_selectorIttN6thrust23THRUST_200600_302600_NS4plusItEEEEZZNS1_33reduce_by_key_impl_wrapped_configILNS1_25lookback_scan_determinismE0ES3_S9_NS6_6detail15normal_iteratorINS6_10device_ptrItEEEESG_SG_SG_PmS8_NS6_8equal_toItEEEE10hipError_tPvRmT2_T3_mT4_T5_T6_T7_T8_P12ihipStream_tbENKUlT_T0_E_clISt17integral_constantIbLb1EES11_EEDaSW_SX_EUlSW_E_NS1_11comp_targetILNS1_3genE5ELNS1_11target_archE942ELNS1_3gpuE9ELNS1_3repE0EEENS1_30default_config_static_selectorELNS0_4arch9wavefront6targetE0EEEvT1_,comdat
	.protected	_ZN7rocprim17ROCPRIM_400000_NS6detail17trampoline_kernelINS0_14default_configENS1_29reduce_by_key_config_selectorIttN6thrust23THRUST_200600_302600_NS4plusItEEEEZZNS1_33reduce_by_key_impl_wrapped_configILNS1_25lookback_scan_determinismE0ES3_S9_NS6_6detail15normal_iteratorINS6_10device_ptrItEEEESG_SG_SG_PmS8_NS6_8equal_toItEEEE10hipError_tPvRmT2_T3_mT4_T5_T6_T7_T8_P12ihipStream_tbENKUlT_T0_E_clISt17integral_constantIbLb1EES11_EEDaSW_SX_EUlSW_E_NS1_11comp_targetILNS1_3genE5ELNS1_11target_archE942ELNS1_3gpuE9ELNS1_3repE0EEENS1_30default_config_static_selectorELNS0_4arch9wavefront6targetE0EEEvT1_ ; -- Begin function _ZN7rocprim17ROCPRIM_400000_NS6detail17trampoline_kernelINS0_14default_configENS1_29reduce_by_key_config_selectorIttN6thrust23THRUST_200600_302600_NS4plusItEEEEZZNS1_33reduce_by_key_impl_wrapped_configILNS1_25lookback_scan_determinismE0ES3_S9_NS6_6detail15normal_iteratorINS6_10device_ptrItEEEESG_SG_SG_PmS8_NS6_8equal_toItEEEE10hipError_tPvRmT2_T3_mT4_T5_T6_T7_T8_P12ihipStream_tbENKUlT_T0_E_clISt17integral_constantIbLb1EES11_EEDaSW_SX_EUlSW_E_NS1_11comp_targetILNS1_3genE5ELNS1_11target_archE942ELNS1_3gpuE9ELNS1_3repE0EEENS1_30default_config_static_selectorELNS0_4arch9wavefront6targetE0EEEvT1_
	.globl	_ZN7rocprim17ROCPRIM_400000_NS6detail17trampoline_kernelINS0_14default_configENS1_29reduce_by_key_config_selectorIttN6thrust23THRUST_200600_302600_NS4plusItEEEEZZNS1_33reduce_by_key_impl_wrapped_configILNS1_25lookback_scan_determinismE0ES3_S9_NS6_6detail15normal_iteratorINS6_10device_ptrItEEEESG_SG_SG_PmS8_NS6_8equal_toItEEEE10hipError_tPvRmT2_T3_mT4_T5_T6_T7_T8_P12ihipStream_tbENKUlT_T0_E_clISt17integral_constantIbLb1EES11_EEDaSW_SX_EUlSW_E_NS1_11comp_targetILNS1_3genE5ELNS1_11target_archE942ELNS1_3gpuE9ELNS1_3repE0EEENS1_30default_config_static_selectorELNS0_4arch9wavefront6targetE0EEEvT1_
	.p2align	8
	.type	_ZN7rocprim17ROCPRIM_400000_NS6detail17trampoline_kernelINS0_14default_configENS1_29reduce_by_key_config_selectorIttN6thrust23THRUST_200600_302600_NS4plusItEEEEZZNS1_33reduce_by_key_impl_wrapped_configILNS1_25lookback_scan_determinismE0ES3_S9_NS6_6detail15normal_iteratorINS6_10device_ptrItEEEESG_SG_SG_PmS8_NS6_8equal_toItEEEE10hipError_tPvRmT2_T3_mT4_T5_T6_T7_T8_P12ihipStream_tbENKUlT_T0_E_clISt17integral_constantIbLb1EES11_EEDaSW_SX_EUlSW_E_NS1_11comp_targetILNS1_3genE5ELNS1_11target_archE942ELNS1_3gpuE9ELNS1_3repE0EEENS1_30default_config_static_selectorELNS0_4arch9wavefront6targetE0EEEvT1_,@function
_ZN7rocprim17ROCPRIM_400000_NS6detail17trampoline_kernelINS0_14default_configENS1_29reduce_by_key_config_selectorIttN6thrust23THRUST_200600_302600_NS4plusItEEEEZZNS1_33reduce_by_key_impl_wrapped_configILNS1_25lookback_scan_determinismE0ES3_S9_NS6_6detail15normal_iteratorINS6_10device_ptrItEEEESG_SG_SG_PmS8_NS6_8equal_toItEEEE10hipError_tPvRmT2_T3_mT4_T5_T6_T7_T8_P12ihipStream_tbENKUlT_T0_E_clISt17integral_constantIbLb1EES11_EEDaSW_SX_EUlSW_E_NS1_11comp_targetILNS1_3genE5ELNS1_11target_archE942ELNS1_3gpuE9ELNS1_3repE0EEENS1_30default_config_static_selectorELNS0_4arch9wavefront6targetE0EEEvT1_: ; @_ZN7rocprim17ROCPRIM_400000_NS6detail17trampoline_kernelINS0_14default_configENS1_29reduce_by_key_config_selectorIttN6thrust23THRUST_200600_302600_NS4plusItEEEEZZNS1_33reduce_by_key_impl_wrapped_configILNS1_25lookback_scan_determinismE0ES3_S9_NS6_6detail15normal_iteratorINS6_10device_ptrItEEEESG_SG_SG_PmS8_NS6_8equal_toItEEEE10hipError_tPvRmT2_T3_mT4_T5_T6_T7_T8_P12ihipStream_tbENKUlT_T0_E_clISt17integral_constantIbLb1EES11_EEDaSW_SX_EUlSW_E_NS1_11comp_targetILNS1_3genE5ELNS1_11target_archE942ELNS1_3gpuE9ELNS1_3repE0EEENS1_30default_config_static_selectorELNS0_4arch9wavefront6targetE0EEEvT1_
; %bb.0:
	.section	.rodata,"a",@progbits
	.p2align	6, 0x0
	.amdhsa_kernel _ZN7rocprim17ROCPRIM_400000_NS6detail17trampoline_kernelINS0_14default_configENS1_29reduce_by_key_config_selectorIttN6thrust23THRUST_200600_302600_NS4plusItEEEEZZNS1_33reduce_by_key_impl_wrapped_configILNS1_25lookback_scan_determinismE0ES3_S9_NS6_6detail15normal_iteratorINS6_10device_ptrItEEEESG_SG_SG_PmS8_NS6_8equal_toItEEEE10hipError_tPvRmT2_T3_mT4_T5_T6_T7_T8_P12ihipStream_tbENKUlT_T0_E_clISt17integral_constantIbLb1EES11_EEDaSW_SX_EUlSW_E_NS1_11comp_targetILNS1_3genE5ELNS1_11target_archE942ELNS1_3gpuE9ELNS1_3repE0EEENS1_30default_config_static_selectorELNS0_4arch9wavefront6targetE0EEEvT1_
		.amdhsa_group_segment_fixed_size 0
		.amdhsa_private_segment_fixed_size 0
		.amdhsa_kernarg_size 120
		.amdhsa_user_sgpr_count 15
		.amdhsa_user_sgpr_dispatch_ptr 0
		.amdhsa_user_sgpr_queue_ptr 0
		.amdhsa_user_sgpr_kernarg_segment_ptr 1
		.amdhsa_user_sgpr_dispatch_id 0
		.amdhsa_user_sgpr_private_segment_size 0
		.amdhsa_wavefront_size32 1
		.amdhsa_uses_dynamic_stack 0
		.amdhsa_enable_private_segment 0
		.amdhsa_system_sgpr_workgroup_id_x 1
		.amdhsa_system_sgpr_workgroup_id_y 0
		.amdhsa_system_sgpr_workgroup_id_z 0
		.amdhsa_system_sgpr_workgroup_info 0
		.amdhsa_system_vgpr_workitem_id 0
		.amdhsa_next_free_vgpr 1
		.amdhsa_next_free_sgpr 1
		.amdhsa_reserve_vcc 0
		.amdhsa_float_round_mode_32 0
		.amdhsa_float_round_mode_16_64 0
		.amdhsa_float_denorm_mode_32 3
		.amdhsa_float_denorm_mode_16_64 3
		.amdhsa_dx10_clamp 1
		.amdhsa_ieee_mode 1
		.amdhsa_fp16_overflow 0
		.amdhsa_workgroup_processor_mode 1
		.amdhsa_memory_ordered 1
		.amdhsa_forward_progress 0
		.amdhsa_shared_vgpr_count 0
		.amdhsa_exception_fp_ieee_invalid_op 0
		.amdhsa_exception_fp_denorm_src 0
		.amdhsa_exception_fp_ieee_div_zero 0
		.amdhsa_exception_fp_ieee_overflow 0
		.amdhsa_exception_fp_ieee_underflow 0
		.amdhsa_exception_fp_ieee_inexact 0
		.amdhsa_exception_int_div_zero 0
	.end_amdhsa_kernel
	.section	.text._ZN7rocprim17ROCPRIM_400000_NS6detail17trampoline_kernelINS0_14default_configENS1_29reduce_by_key_config_selectorIttN6thrust23THRUST_200600_302600_NS4plusItEEEEZZNS1_33reduce_by_key_impl_wrapped_configILNS1_25lookback_scan_determinismE0ES3_S9_NS6_6detail15normal_iteratorINS6_10device_ptrItEEEESG_SG_SG_PmS8_NS6_8equal_toItEEEE10hipError_tPvRmT2_T3_mT4_T5_T6_T7_T8_P12ihipStream_tbENKUlT_T0_E_clISt17integral_constantIbLb1EES11_EEDaSW_SX_EUlSW_E_NS1_11comp_targetILNS1_3genE5ELNS1_11target_archE942ELNS1_3gpuE9ELNS1_3repE0EEENS1_30default_config_static_selectorELNS0_4arch9wavefront6targetE0EEEvT1_,"axG",@progbits,_ZN7rocprim17ROCPRIM_400000_NS6detail17trampoline_kernelINS0_14default_configENS1_29reduce_by_key_config_selectorIttN6thrust23THRUST_200600_302600_NS4plusItEEEEZZNS1_33reduce_by_key_impl_wrapped_configILNS1_25lookback_scan_determinismE0ES3_S9_NS6_6detail15normal_iteratorINS6_10device_ptrItEEEESG_SG_SG_PmS8_NS6_8equal_toItEEEE10hipError_tPvRmT2_T3_mT4_T5_T6_T7_T8_P12ihipStream_tbENKUlT_T0_E_clISt17integral_constantIbLb1EES11_EEDaSW_SX_EUlSW_E_NS1_11comp_targetILNS1_3genE5ELNS1_11target_archE942ELNS1_3gpuE9ELNS1_3repE0EEENS1_30default_config_static_selectorELNS0_4arch9wavefront6targetE0EEEvT1_,comdat
.Lfunc_end403:
	.size	_ZN7rocprim17ROCPRIM_400000_NS6detail17trampoline_kernelINS0_14default_configENS1_29reduce_by_key_config_selectorIttN6thrust23THRUST_200600_302600_NS4plusItEEEEZZNS1_33reduce_by_key_impl_wrapped_configILNS1_25lookback_scan_determinismE0ES3_S9_NS6_6detail15normal_iteratorINS6_10device_ptrItEEEESG_SG_SG_PmS8_NS6_8equal_toItEEEE10hipError_tPvRmT2_T3_mT4_T5_T6_T7_T8_P12ihipStream_tbENKUlT_T0_E_clISt17integral_constantIbLb1EES11_EEDaSW_SX_EUlSW_E_NS1_11comp_targetILNS1_3genE5ELNS1_11target_archE942ELNS1_3gpuE9ELNS1_3repE0EEENS1_30default_config_static_selectorELNS0_4arch9wavefront6targetE0EEEvT1_, .Lfunc_end403-_ZN7rocprim17ROCPRIM_400000_NS6detail17trampoline_kernelINS0_14default_configENS1_29reduce_by_key_config_selectorIttN6thrust23THRUST_200600_302600_NS4plusItEEEEZZNS1_33reduce_by_key_impl_wrapped_configILNS1_25lookback_scan_determinismE0ES3_S9_NS6_6detail15normal_iteratorINS6_10device_ptrItEEEESG_SG_SG_PmS8_NS6_8equal_toItEEEE10hipError_tPvRmT2_T3_mT4_T5_T6_T7_T8_P12ihipStream_tbENKUlT_T0_E_clISt17integral_constantIbLb1EES11_EEDaSW_SX_EUlSW_E_NS1_11comp_targetILNS1_3genE5ELNS1_11target_archE942ELNS1_3gpuE9ELNS1_3repE0EEENS1_30default_config_static_selectorELNS0_4arch9wavefront6targetE0EEEvT1_
                                        ; -- End function
	.section	.AMDGPU.csdata,"",@progbits
; Kernel info:
; codeLenInByte = 0
; NumSgprs: 0
; NumVgprs: 0
; ScratchSize: 0
; MemoryBound: 0
; FloatMode: 240
; IeeeMode: 1
; LDSByteSize: 0 bytes/workgroup (compile time only)
; SGPRBlocks: 0
; VGPRBlocks: 0
; NumSGPRsForWavesPerEU: 1
; NumVGPRsForWavesPerEU: 1
; Occupancy: 16
; WaveLimiterHint : 0
; COMPUTE_PGM_RSRC2:SCRATCH_EN: 0
; COMPUTE_PGM_RSRC2:USER_SGPR: 15
; COMPUTE_PGM_RSRC2:TRAP_HANDLER: 0
; COMPUTE_PGM_RSRC2:TGID_X_EN: 1
; COMPUTE_PGM_RSRC2:TGID_Y_EN: 0
; COMPUTE_PGM_RSRC2:TGID_Z_EN: 0
; COMPUTE_PGM_RSRC2:TIDIG_COMP_CNT: 0
	.section	.text._ZN7rocprim17ROCPRIM_400000_NS6detail17trampoline_kernelINS0_14default_configENS1_29reduce_by_key_config_selectorIttN6thrust23THRUST_200600_302600_NS4plusItEEEEZZNS1_33reduce_by_key_impl_wrapped_configILNS1_25lookback_scan_determinismE0ES3_S9_NS6_6detail15normal_iteratorINS6_10device_ptrItEEEESG_SG_SG_PmS8_NS6_8equal_toItEEEE10hipError_tPvRmT2_T3_mT4_T5_T6_T7_T8_P12ihipStream_tbENKUlT_T0_E_clISt17integral_constantIbLb1EES11_EEDaSW_SX_EUlSW_E_NS1_11comp_targetILNS1_3genE4ELNS1_11target_archE910ELNS1_3gpuE8ELNS1_3repE0EEENS1_30default_config_static_selectorELNS0_4arch9wavefront6targetE0EEEvT1_,"axG",@progbits,_ZN7rocprim17ROCPRIM_400000_NS6detail17trampoline_kernelINS0_14default_configENS1_29reduce_by_key_config_selectorIttN6thrust23THRUST_200600_302600_NS4plusItEEEEZZNS1_33reduce_by_key_impl_wrapped_configILNS1_25lookback_scan_determinismE0ES3_S9_NS6_6detail15normal_iteratorINS6_10device_ptrItEEEESG_SG_SG_PmS8_NS6_8equal_toItEEEE10hipError_tPvRmT2_T3_mT4_T5_T6_T7_T8_P12ihipStream_tbENKUlT_T0_E_clISt17integral_constantIbLb1EES11_EEDaSW_SX_EUlSW_E_NS1_11comp_targetILNS1_3genE4ELNS1_11target_archE910ELNS1_3gpuE8ELNS1_3repE0EEENS1_30default_config_static_selectorELNS0_4arch9wavefront6targetE0EEEvT1_,comdat
	.protected	_ZN7rocprim17ROCPRIM_400000_NS6detail17trampoline_kernelINS0_14default_configENS1_29reduce_by_key_config_selectorIttN6thrust23THRUST_200600_302600_NS4plusItEEEEZZNS1_33reduce_by_key_impl_wrapped_configILNS1_25lookback_scan_determinismE0ES3_S9_NS6_6detail15normal_iteratorINS6_10device_ptrItEEEESG_SG_SG_PmS8_NS6_8equal_toItEEEE10hipError_tPvRmT2_T3_mT4_T5_T6_T7_T8_P12ihipStream_tbENKUlT_T0_E_clISt17integral_constantIbLb1EES11_EEDaSW_SX_EUlSW_E_NS1_11comp_targetILNS1_3genE4ELNS1_11target_archE910ELNS1_3gpuE8ELNS1_3repE0EEENS1_30default_config_static_selectorELNS0_4arch9wavefront6targetE0EEEvT1_ ; -- Begin function _ZN7rocprim17ROCPRIM_400000_NS6detail17trampoline_kernelINS0_14default_configENS1_29reduce_by_key_config_selectorIttN6thrust23THRUST_200600_302600_NS4plusItEEEEZZNS1_33reduce_by_key_impl_wrapped_configILNS1_25lookback_scan_determinismE0ES3_S9_NS6_6detail15normal_iteratorINS6_10device_ptrItEEEESG_SG_SG_PmS8_NS6_8equal_toItEEEE10hipError_tPvRmT2_T3_mT4_T5_T6_T7_T8_P12ihipStream_tbENKUlT_T0_E_clISt17integral_constantIbLb1EES11_EEDaSW_SX_EUlSW_E_NS1_11comp_targetILNS1_3genE4ELNS1_11target_archE910ELNS1_3gpuE8ELNS1_3repE0EEENS1_30default_config_static_selectorELNS0_4arch9wavefront6targetE0EEEvT1_
	.globl	_ZN7rocprim17ROCPRIM_400000_NS6detail17trampoline_kernelINS0_14default_configENS1_29reduce_by_key_config_selectorIttN6thrust23THRUST_200600_302600_NS4plusItEEEEZZNS1_33reduce_by_key_impl_wrapped_configILNS1_25lookback_scan_determinismE0ES3_S9_NS6_6detail15normal_iteratorINS6_10device_ptrItEEEESG_SG_SG_PmS8_NS6_8equal_toItEEEE10hipError_tPvRmT2_T3_mT4_T5_T6_T7_T8_P12ihipStream_tbENKUlT_T0_E_clISt17integral_constantIbLb1EES11_EEDaSW_SX_EUlSW_E_NS1_11comp_targetILNS1_3genE4ELNS1_11target_archE910ELNS1_3gpuE8ELNS1_3repE0EEENS1_30default_config_static_selectorELNS0_4arch9wavefront6targetE0EEEvT1_
	.p2align	8
	.type	_ZN7rocprim17ROCPRIM_400000_NS6detail17trampoline_kernelINS0_14default_configENS1_29reduce_by_key_config_selectorIttN6thrust23THRUST_200600_302600_NS4plusItEEEEZZNS1_33reduce_by_key_impl_wrapped_configILNS1_25lookback_scan_determinismE0ES3_S9_NS6_6detail15normal_iteratorINS6_10device_ptrItEEEESG_SG_SG_PmS8_NS6_8equal_toItEEEE10hipError_tPvRmT2_T3_mT4_T5_T6_T7_T8_P12ihipStream_tbENKUlT_T0_E_clISt17integral_constantIbLb1EES11_EEDaSW_SX_EUlSW_E_NS1_11comp_targetILNS1_3genE4ELNS1_11target_archE910ELNS1_3gpuE8ELNS1_3repE0EEENS1_30default_config_static_selectorELNS0_4arch9wavefront6targetE0EEEvT1_,@function
_ZN7rocprim17ROCPRIM_400000_NS6detail17trampoline_kernelINS0_14default_configENS1_29reduce_by_key_config_selectorIttN6thrust23THRUST_200600_302600_NS4plusItEEEEZZNS1_33reduce_by_key_impl_wrapped_configILNS1_25lookback_scan_determinismE0ES3_S9_NS6_6detail15normal_iteratorINS6_10device_ptrItEEEESG_SG_SG_PmS8_NS6_8equal_toItEEEE10hipError_tPvRmT2_T3_mT4_T5_T6_T7_T8_P12ihipStream_tbENKUlT_T0_E_clISt17integral_constantIbLb1EES11_EEDaSW_SX_EUlSW_E_NS1_11comp_targetILNS1_3genE4ELNS1_11target_archE910ELNS1_3gpuE8ELNS1_3repE0EEENS1_30default_config_static_selectorELNS0_4arch9wavefront6targetE0EEEvT1_: ; @_ZN7rocprim17ROCPRIM_400000_NS6detail17trampoline_kernelINS0_14default_configENS1_29reduce_by_key_config_selectorIttN6thrust23THRUST_200600_302600_NS4plusItEEEEZZNS1_33reduce_by_key_impl_wrapped_configILNS1_25lookback_scan_determinismE0ES3_S9_NS6_6detail15normal_iteratorINS6_10device_ptrItEEEESG_SG_SG_PmS8_NS6_8equal_toItEEEE10hipError_tPvRmT2_T3_mT4_T5_T6_T7_T8_P12ihipStream_tbENKUlT_T0_E_clISt17integral_constantIbLb1EES11_EEDaSW_SX_EUlSW_E_NS1_11comp_targetILNS1_3genE4ELNS1_11target_archE910ELNS1_3gpuE8ELNS1_3repE0EEENS1_30default_config_static_selectorELNS0_4arch9wavefront6targetE0EEEvT1_
; %bb.0:
	.section	.rodata,"a",@progbits
	.p2align	6, 0x0
	.amdhsa_kernel _ZN7rocprim17ROCPRIM_400000_NS6detail17trampoline_kernelINS0_14default_configENS1_29reduce_by_key_config_selectorIttN6thrust23THRUST_200600_302600_NS4plusItEEEEZZNS1_33reduce_by_key_impl_wrapped_configILNS1_25lookback_scan_determinismE0ES3_S9_NS6_6detail15normal_iteratorINS6_10device_ptrItEEEESG_SG_SG_PmS8_NS6_8equal_toItEEEE10hipError_tPvRmT2_T3_mT4_T5_T6_T7_T8_P12ihipStream_tbENKUlT_T0_E_clISt17integral_constantIbLb1EES11_EEDaSW_SX_EUlSW_E_NS1_11comp_targetILNS1_3genE4ELNS1_11target_archE910ELNS1_3gpuE8ELNS1_3repE0EEENS1_30default_config_static_selectorELNS0_4arch9wavefront6targetE0EEEvT1_
		.amdhsa_group_segment_fixed_size 0
		.amdhsa_private_segment_fixed_size 0
		.amdhsa_kernarg_size 120
		.amdhsa_user_sgpr_count 15
		.amdhsa_user_sgpr_dispatch_ptr 0
		.amdhsa_user_sgpr_queue_ptr 0
		.amdhsa_user_sgpr_kernarg_segment_ptr 1
		.amdhsa_user_sgpr_dispatch_id 0
		.amdhsa_user_sgpr_private_segment_size 0
		.amdhsa_wavefront_size32 1
		.amdhsa_uses_dynamic_stack 0
		.amdhsa_enable_private_segment 0
		.amdhsa_system_sgpr_workgroup_id_x 1
		.amdhsa_system_sgpr_workgroup_id_y 0
		.amdhsa_system_sgpr_workgroup_id_z 0
		.amdhsa_system_sgpr_workgroup_info 0
		.amdhsa_system_vgpr_workitem_id 0
		.amdhsa_next_free_vgpr 1
		.amdhsa_next_free_sgpr 1
		.amdhsa_reserve_vcc 0
		.amdhsa_float_round_mode_32 0
		.amdhsa_float_round_mode_16_64 0
		.amdhsa_float_denorm_mode_32 3
		.amdhsa_float_denorm_mode_16_64 3
		.amdhsa_dx10_clamp 1
		.amdhsa_ieee_mode 1
		.amdhsa_fp16_overflow 0
		.amdhsa_workgroup_processor_mode 1
		.amdhsa_memory_ordered 1
		.amdhsa_forward_progress 0
		.amdhsa_shared_vgpr_count 0
		.amdhsa_exception_fp_ieee_invalid_op 0
		.amdhsa_exception_fp_denorm_src 0
		.amdhsa_exception_fp_ieee_div_zero 0
		.amdhsa_exception_fp_ieee_overflow 0
		.amdhsa_exception_fp_ieee_underflow 0
		.amdhsa_exception_fp_ieee_inexact 0
		.amdhsa_exception_int_div_zero 0
	.end_amdhsa_kernel
	.section	.text._ZN7rocprim17ROCPRIM_400000_NS6detail17trampoline_kernelINS0_14default_configENS1_29reduce_by_key_config_selectorIttN6thrust23THRUST_200600_302600_NS4plusItEEEEZZNS1_33reduce_by_key_impl_wrapped_configILNS1_25lookback_scan_determinismE0ES3_S9_NS6_6detail15normal_iteratorINS6_10device_ptrItEEEESG_SG_SG_PmS8_NS6_8equal_toItEEEE10hipError_tPvRmT2_T3_mT4_T5_T6_T7_T8_P12ihipStream_tbENKUlT_T0_E_clISt17integral_constantIbLb1EES11_EEDaSW_SX_EUlSW_E_NS1_11comp_targetILNS1_3genE4ELNS1_11target_archE910ELNS1_3gpuE8ELNS1_3repE0EEENS1_30default_config_static_selectorELNS0_4arch9wavefront6targetE0EEEvT1_,"axG",@progbits,_ZN7rocprim17ROCPRIM_400000_NS6detail17trampoline_kernelINS0_14default_configENS1_29reduce_by_key_config_selectorIttN6thrust23THRUST_200600_302600_NS4plusItEEEEZZNS1_33reduce_by_key_impl_wrapped_configILNS1_25lookback_scan_determinismE0ES3_S9_NS6_6detail15normal_iteratorINS6_10device_ptrItEEEESG_SG_SG_PmS8_NS6_8equal_toItEEEE10hipError_tPvRmT2_T3_mT4_T5_T6_T7_T8_P12ihipStream_tbENKUlT_T0_E_clISt17integral_constantIbLb1EES11_EEDaSW_SX_EUlSW_E_NS1_11comp_targetILNS1_3genE4ELNS1_11target_archE910ELNS1_3gpuE8ELNS1_3repE0EEENS1_30default_config_static_selectorELNS0_4arch9wavefront6targetE0EEEvT1_,comdat
.Lfunc_end404:
	.size	_ZN7rocprim17ROCPRIM_400000_NS6detail17trampoline_kernelINS0_14default_configENS1_29reduce_by_key_config_selectorIttN6thrust23THRUST_200600_302600_NS4plusItEEEEZZNS1_33reduce_by_key_impl_wrapped_configILNS1_25lookback_scan_determinismE0ES3_S9_NS6_6detail15normal_iteratorINS6_10device_ptrItEEEESG_SG_SG_PmS8_NS6_8equal_toItEEEE10hipError_tPvRmT2_T3_mT4_T5_T6_T7_T8_P12ihipStream_tbENKUlT_T0_E_clISt17integral_constantIbLb1EES11_EEDaSW_SX_EUlSW_E_NS1_11comp_targetILNS1_3genE4ELNS1_11target_archE910ELNS1_3gpuE8ELNS1_3repE0EEENS1_30default_config_static_selectorELNS0_4arch9wavefront6targetE0EEEvT1_, .Lfunc_end404-_ZN7rocprim17ROCPRIM_400000_NS6detail17trampoline_kernelINS0_14default_configENS1_29reduce_by_key_config_selectorIttN6thrust23THRUST_200600_302600_NS4plusItEEEEZZNS1_33reduce_by_key_impl_wrapped_configILNS1_25lookback_scan_determinismE0ES3_S9_NS6_6detail15normal_iteratorINS6_10device_ptrItEEEESG_SG_SG_PmS8_NS6_8equal_toItEEEE10hipError_tPvRmT2_T3_mT4_T5_T6_T7_T8_P12ihipStream_tbENKUlT_T0_E_clISt17integral_constantIbLb1EES11_EEDaSW_SX_EUlSW_E_NS1_11comp_targetILNS1_3genE4ELNS1_11target_archE910ELNS1_3gpuE8ELNS1_3repE0EEENS1_30default_config_static_selectorELNS0_4arch9wavefront6targetE0EEEvT1_
                                        ; -- End function
	.section	.AMDGPU.csdata,"",@progbits
; Kernel info:
; codeLenInByte = 0
; NumSgprs: 0
; NumVgprs: 0
; ScratchSize: 0
; MemoryBound: 0
; FloatMode: 240
; IeeeMode: 1
; LDSByteSize: 0 bytes/workgroup (compile time only)
; SGPRBlocks: 0
; VGPRBlocks: 0
; NumSGPRsForWavesPerEU: 1
; NumVGPRsForWavesPerEU: 1
; Occupancy: 16
; WaveLimiterHint : 0
; COMPUTE_PGM_RSRC2:SCRATCH_EN: 0
; COMPUTE_PGM_RSRC2:USER_SGPR: 15
; COMPUTE_PGM_RSRC2:TRAP_HANDLER: 0
; COMPUTE_PGM_RSRC2:TGID_X_EN: 1
; COMPUTE_PGM_RSRC2:TGID_Y_EN: 0
; COMPUTE_PGM_RSRC2:TGID_Z_EN: 0
; COMPUTE_PGM_RSRC2:TIDIG_COMP_CNT: 0
	.section	.text._ZN7rocprim17ROCPRIM_400000_NS6detail17trampoline_kernelINS0_14default_configENS1_29reduce_by_key_config_selectorIttN6thrust23THRUST_200600_302600_NS4plusItEEEEZZNS1_33reduce_by_key_impl_wrapped_configILNS1_25lookback_scan_determinismE0ES3_S9_NS6_6detail15normal_iteratorINS6_10device_ptrItEEEESG_SG_SG_PmS8_NS6_8equal_toItEEEE10hipError_tPvRmT2_T3_mT4_T5_T6_T7_T8_P12ihipStream_tbENKUlT_T0_E_clISt17integral_constantIbLb1EES11_EEDaSW_SX_EUlSW_E_NS1_11comp_targetILNS1_3genE3ELNS1_11target_archE908ELNS1_3gpuE7ELNS1_3repE0EEENS1_30default_config_static_selectorELNS0_4arch9wavefront6targetE0EEEvT1_,"axG",@progbits,_ZN7rocprim17ROCPRIM_400000_NS6detail17trampoline_kernelINS0_14default_configENS1_29reduce_by_key_config_selectorIttN6thrust23THRUST_200600_302600_NS4plusItEEEEZZNS1_33reduce_by_key_impl_wrapped_configILNS1_25lookback_scan_determinismE0ES3_S9_NS6_6detail15normal_iteratorINS6_10device_ptrItEEEESG_SG_SG_PmS8_NS6_8equal_toItEEEE10hipError_tPvRmT2_T3_mT4_T5_T6_T7_T8_P12ihipStream_tbENKUlT_T0_E_clISt17integral_constantIbLb1EES11_EEDaSW_SX_EUlSW_E_NS1_11comp_targetILNS1_3genE3ELNS1_11target_archE908ELNS1_3gpuE7ELNS1_3repE0EEENS1_30default_config_static_selectorELNS0_4arch9wavefront6targetE0EEEvT1_,comdat
	.protected	_ZN7rocprim17ROCPRIM_400000_NS6detail17trampoline_kernelINS0_14default_configENS1_29reduce_by_key_config_selectorIttN6thrust23THRUST_200600_302600_NS4plusItEEEEZZNS1_33reduce_by_key_impl_wrapped_configILNS1_25lookback_scan_determinismE0ES3_S9_NS6_6detail15normal_iteratorINS6_10device_ptrItEEEESG_SG_SG_PmS8_NS6_8equal_toItEEEE10hipError_tPvRmT2_T3_mT4_T5_T6_T7_T8_P12ihipStream_tbENKUlT_T0_E_clISt17integral_constantIbLb1EES11_EEDaSW_SX_EUlSW_E_NS1_11comp_targetILNS1_3genE3ELNS1_11target_archE908ELNS1_3gpuE7ELNS1_3repE0EEENS1_30default_config_static_selectorELNS0_4arch9wavefront6targetE0EEEvT1_ ; -- Begin function _ZN7rocprim17ROCPRIM_400000_NS6detail17trampoline_kernelINS0_14default_configENS1_29reduce_by_key_config_selectorIttN6thrust23THRUST_200600_302600_NS4plusItEEEEZZNS1_33reduce_by_key_impl_wrapped_configILNS1_25lookback_scan_determinismE0ES3_S9_NS6_6detail15normal_iteratorINS6_10device_ptrItEEEESG_SG_SG_PmS8_NS6_8equal_toItEEEE10hipError_tPvRmT2_T3_mT4_T5_T6_T7_T8_P12ihipStream_tbENKUlT_T0_E_clISt17integral_constantIbLb1EES11_EEDaSW_SX_EUlSW_E_NS1_11comp_targetILNS1_3genE3ELNS1_11target_archE908ELNS1_3gpuE7ELNS1_3repE0EEENS1_30default_config_static_selectorELNS0_4arch9wavefront6targetE0EEEvT1_
	.globl	_ZN7rocprim17ROCPRIM_400000_NS6detail17trampoline_kernelINS0_14default_configENS1_29reduce_by_key_config_selectorIttN6thrust23THRUST_200600_302600_NS4plusItEEEEZZNS1_33reduce_by_key_impl_wrapped_configILNS1_25lookback_scan_determinismE0ES3_S9_NS6_6detail15normal_iteratorINS6_10device_ptrItEEEESG_SG_SG_PmS8_NS6_8equal_toItEEEE10hipError_tPvRmT2_T3_mT4_T5_T6_T7_T8_P12ihipStream_tbENKUlT_T0_E_clISt17integral_constantIbLb1EES11_EEDaSW_SX_EUlSW_E_NS1_11comp_targetILNS1_3genE3ELNS1_11target_archE908ELNS1_3gpuE7ELNS1_3repE0EEENS1_30default_config_static_selectorELNS0_4arch9wavefront6targetE0EEEvT1_
	.p2align	8
	.type	_ZN7rocprim17ROCPRIM_400000_NS6detail17trampoline_kernelINS0_14default_configENS1_29reduce_by_key_config_selectorIttN6thrust23THRUST_200600_302600_NS4plusItEEEEZZNS1_33reduce_by_key_impl_wrapped_configILNS1_25lookback_scan_determinismE0ES3_S9_NS6_6detail15normal_iteratorINS6_10device_ptrItEEEESG_SG_SG_PmS8_NS6_8equal_toItEEEE10hipError_tPvRmT2_T3_mT4_T5_T6_T7_T8_P12ihipStream_tbENKUlT_T0_E_clISt17integral_constantIbLb1EES11_EEDaSW_SX_EUlSW_E_NS1_11comp_targetILNS1_3genE3ELNS1_11target_archE908ELNS1_3gpuE7ELNS1_3repE0EEENS1_30default_config_static_selectorELNS0_4arch9wavefront6targetE0EEEvT1_,@function
_ZN7rocprim17ROCPRIM_400000_NS6detail17trampoline_kernelINS0_14default_configENS1_29reduce_by_key_config_selectorIttN6thrust23THRUST_200600_302600_NS4plusItEEEEZZNS1_33reduce_by_key_impl_wrapped_configILNS1_25lookback_scan_determinismE0ES3_S9_NS6_6detail15normal_iteratorINS6_10device_ptrItEEEESG_SG_SG_PmS8_NS6_8equal_toItEEEE10hipError_tPvRmT2_T3_mT4_T5_T6_T7_T8_P12ihipStream_tbENKUlT_T0_E_clISt17integral_constantIbLb1EES11_EEDaSW_SX_EUlSW_E_NS1_11comp_targetILNS1_3genE3ELNS1_11target_archE908ELNS1_3gpuE7ELNS1_3repE0EEENS1_30default_config_static_selectorELNS0_4arch9wavefront6targetE0EEEvT1_: ; @_ZN7rocprim17ROCPRIM_400000_NS6detail17trampoline_kernelINS0_14default_configENS1_29reduce_by_key_config_selectorIttN6thrust23THRUST_200600_302600_NS4plusItEEEEZZNS1_33reduce_by_key_impl_wrapped_configILNS1_25lookback_scan_determinismE0ES3_S9_NS6_6detail15normal_iteratorINS6_10device_ptrItEEEESG_SG_SG_PmS8_NS6_8equal_toItEEEE10hipError_tPvRmT2_T3_mT4_T5_T6_T7_T8_P12ihipStream_tbENKUlT_T0_E_clISt17integral_constantIbLb1EES11_EEDaSW_SX_EUlSW_E_NS1_11comp_targetILNS1_3genE3ELNS1_11target_archE908ELNS1_3gpuE7ELNS1_3repE0EEENS1_30default_config_static_selectorELNS0_4arch9wavefront6targetE0EEEvT1_
; %bb.0:
	.section	.rodata,"a",@progbits
	.p2align	6, 0x0
	.amdhsa_kernel _ZN7rocprim17ROCPRIM_400000_NS6detail17trampoline_kernelINS0_14default_configENS1_29reduce_by_key_config_selectorIttN6thrust23THRUST_200600_302600_NS4plusItEEEEZZNS1_33reduce_by_key_impl_wrapped_configILNS1_25lookback_scan_determinismE0ES3_S9_NS6_6detail15normal_iteratorINS6_10device_ptrItEEEESG_SG_SG_PmS8_NS6_8equal_toItEEEE10hipError_tPvRmT2_T3_mT4_T5_T6_T7_T8_P12ihipStream_tbENKUlT_T0_E_clISt17integral_constantIbLb1EES11_EEDaSW_SX_EUlSW_E_NS1_11comp_targetILNS1_3genE3ELNS1_11target_archE908ELNS1_3gpuE7ELNS1_3repE0EEENS1_30default_config_static_selectorELNS0_4arch9wavefront6targetE0EEEvT1_
		.amdhsa_group_segment_fixed_size 0
		.amdhsa_private_segment_fixed_size 0
		.amdhsa_kernarg_size 120
		.amdhsa_user_sgpr_count 15
		.amdhsa_user_sgpr_dispatch_ptr 0
		.amdhsa_user_sgpr_queue_ptr 0
		.amdhsa_user_sgpr_kernarg_segment_ptr 1
		.amdhsa_user_sgpr_dispatch_id 0
		.amdhsa_user_sgpr_private_segment_size 0
		.amdhsa_wavefront_size32 1
		.amdhsa_uses_dynamic_stack 0
		.amdhsa_enable_private_segment 0
		.amdhsa_system_sgpr_workgroup_id_x 1
		.amdhsa_system_sgpr_workgroup_id_y 0
		.amdhsa_system_sgpr_workgroup_id_z 0
		.amdhsa_system_sgpr_workgroup_info 0
		.amdhsa_system_vgpr_workitem_id 0
		.amdhsa_next_free_vgpr 1
		.amdhsa_next_free_sgpr 1
		.amdhsa_reserve_vcc 0
		.amdhsa_float_round_mode_32 0
		.amdhsa_float_round_mode_16_64 0
		.amdhsa_float_denorm_mode_32 3
		.amdhsa_float_denorm_mode_16_64 3
		.amdhsa_dx10_clamp 1
		.amdhsa_ieee_mode 1
		.amdhsa_fp16_overflow 0
		.amdhsa_workgroup_processor_mode 1
		.amdhsa_memory_ordered 1
		.amdhsa_forward_progress 0
		.amdhsa_shared_vgpr_count 0
		.amdhsa_exception_fp_ieee_invalid_op 0
		.amdhsa_exception_fp_denorm_src 0
		.amdhsa_exception_fp_ieee_div_zero 0
		.amdhsa_exception_fp_ieee_overflow 0
		.amdhsa_exception_fp_ieee_underflow 0
		.amdhsa_exception_fp_ieee_inexact 0
		.amdhsa_exception_int_div_zero 0
	.end_amdhsa_kernel
	.section	.text._ZN7rocprim17ROCPRIM_400000_NS6detail17trampoline_kernelINS0_14default_configENS1_29reduce_by_key_config_selectorIttN6thrust23THRUST_200600_302600_NS4plusItEEEEZZNS1_33reduce_by_key_impl_wrapped_configILNS1_25lookback_scan_determinismE0ES3_S9_NS6_6detail15normal_iteratorINS6_10device_ptrItEEEESG_SG_SG_PmS8_NS6_8equal_toItEEEE10hipError_tPvRmT2_T3_mT4_T5_T6_T7_T8_P12ihipStream_tbENKUlT_T0_E_clISt17integral_constantIbLb1EES11_EEDaSW_SX_EUlSW_E_NS1_11comp_targetILNS1_3genE3ELNS1_11target_archE908ELNS1_3gpuE7ELNS1_3repE0EEENS1_30default_config_static_selectorELNS0_4arch9wavefront6targetE0EEEvT1_,"axG",@progbits,_ZN7rocprim17ROCPRIM_400000_NS6detail17trampoline_kernelINS0_14default_configENS1_29reduce_by_key_config_selectorIttN6thrust23THRUST_200600_302600_NS4plusItEEEEZZNS1_33reduce_by_key_impl_wrapped_configILNS1_25lookback_scan_determinismE0ES3_S9_NS6_6detail15normal_iteratorINS6_10device_ptrItEEEESG_SG_SG_PmS8_NS6_8equal_toItEEEE10hipError_tPvRmT2_T3_mT4_T5_T6_T7_T8_P12ihipStream_tbENKUlT_T0_E_clISt17integral_constantIbLb1EES11_EEDaSW_SX_EUlSW_E_NS1_11comp_targetILNS1_3genE3ELNS1_11target_archE908ELNS1_3gpuE7ELNS1_3repE0EEENS1_30default_config_static_selectorELNS0_4arch9wavefront6targetE0EEEvT1_,comdat
.Lfunc_end405:
	.size	_ZN7rocprim17ROCPRIM_400000_NS6detail17trampoline_kernelINS0_14default_configENS1_29reduce_by_key_config_selectorIttN6thrust23THRUST_200600_302600_NS4plusItEEEEZZNS1_33reduce_by_key_impl_wrapped_configILNS1_25lookback_scan_determinismE0ES3_S9_NS6_6detail15normal_iteratorINS6_10device_ptrItEEEESG_SG_SG_PmS8_NS6_8equal_toItEEEE10hipError_tPvRmT2_T3_mT4_T5_T6_T7_T8_P12ihipStream_tbENKUlT_T0_E_clISt17integral_constantIbLb1EES11_EEDaSW_SX_EUlSW_E_NS1_11comp_targetILNS1_3genE3ELNS1_11target_archE908ELNS1_3gpuE7ELNS1_3repE0EEENS1_30default_config_static_selectorELNS0_4arch9wavefront6targetE0EEEvT1_, .Lfunc_end405-_ZN7rocprim17ROCPRIM_400000_NS6detail17trampoline_kernelINS0_14default_configENS1_29reduce_by_key_config_selectorIttN6thrust23THRUST_200600_302600_NS4plusItEEEEZZNS1_33reduce_by_key_impl_wrapped_configILNS1_25lookback_scan_determinismE0ES3_S9_NS6_6detail15normal_iteratorINS6_10device_ptrItEEEESG_SG_SG_PmS8_NS6_8equal_toItEEEE10hipError_tPvRmT2_T3_mT4_T5_T6_T7_T8_P12ihipStream_tbENKUlT_T0_E_clISt17integral_constantIbLb1EES11_EEDaSW_SX_EUlSW_E_NS1_11comp_targetILNS1_3genE3ELNS1_11target_archE908ELNS1_3gpuE7ELNS1_3repE0EEENS1_30default_config_static_selectorELNS0_4arch9wavefront6targetE0EEEvT1_
                                        ; -- End function
	.section	.AMDGPU.csdata,"",@progbits
; Kernel info:
; codeLenInByte = 0
; NumSgprs: 0
; NumVgprs: 0
; ScratchSize: 0
; MemoryBound: 0
; FloatMode: 240
; IeeeMode: 1
; LDSByteSize: 0 bytes/workgroup (compile time only)
; SGPRBlocks: 0
; VGPRBlocks: 0
; NumSGPRsForWavesPerEU: 1
; NumVGPRsForWavesPerEU: 1
; Occupancy: 16
; WaveLimiterHint : 0
; COMPUTE_PGM_RSRC2:SCRATCH_EN: 0
; COMPUTE_PGM_RSRC2:USER_SGPR: 15
; COMPUTE_PGM_RSRC2:TRAP_HANDLER: 0
; COMPUTE_PGM_RSRC2:TGID_X_EN: 1
; COMPUTE_PGM_RSRC2:TGID_Y_EN: 0
; COMPUTE_PGM_RSRC2:TGID_Z_EN: 0
; COMPUTE_PGM_RSRC2:TIDIG_COMP_CNT: 0
	.section	.text._ZN7rocprim17ROCPRIM_400000_NS6detail17trampoline_kernelINS0_14default_configENS1_29reduce_by_key_config_selectorIttN6thrust23THRUST_200600_302600_NS4plusItEEEEZZNS1_33reduce_by_key_impl_wrapped_configILNS1_25lookback_scan_determinismE0ES3_S9_NS6_6detail15normal_iteratorINS6_10device_ptrItEEEESG_SG_SG_PmS8_NS6_8equal_toItEEEE10hipError_tPvRmT2_T3_mT4_T5_T6_T7_T8_P12ihipStream_tbENKUlT_T0_E_clISt17integral_constantIbLb1EES11_EEDaSW_SX_EUlSW_E_NS1_11comp_targetILNS1_3genE2ELNS1_11target_archE906ELNS1_3gpuE6ELNS1_3repE0EEENS1_30default_config_static_selectorELNS0_4arch9wavefront6targetE0EEEvT1_,"axG",@progbits,_ZN7rocprim17ROCPRIM_400000_NS6detail17trampoline_kernelINS0_14default_configENS1_29reduce_by_key_config_selectorIttN6thrust23THRUST_200600_302600_NS4plusItEEEEZZNS1_33reduce_by_key_impl_wrapped_configILNS1_25lookback_scan_determinismE0ES3_S9_NS6_6detail15normal_iteratorINS6_10device_ptrItEEEESG_SG_SG_PmS8_NS6_8equal_toItEEEE10hipError_tPvRmT2_T3_mT4_T5_T6_T7_T8_P12ihipStream_tbENKUlT_T0_E_clISt17integral_constantIbLb1EES11_EEDaSW_SX_EUlSW_E_NS1_11comp_targetILNS1_3genE2ELNS1_11target_archE906ELNS1_3gpuE6ELNS1_3repE0EEENS1_30default_config_static_selectorELNS0_4arch9wavefront6targetE0EEEvT1_,comdat
	.protected	_ZN7rocprim17ROCPRIM_400000_NS6detail17trampoline_kernelINS0_14default_configENS1_29reduce_by_key_config_selectorIttN6thrust23THRUST_200600_302600_NS4plusItEEEEZZNS1_33reduce_by_key_impl_wrapped_configILNS1_25lookback_scan_determinismE0ES3_S9_NS6_6detail15normal_iteratorINS6_10device_ptrItEEEESG_SG_SG_PmS8_NS6_8equal_toItEEEE10hipError_tPvRmT2_T3_mT4_T5_T6_T7_T8_P12ihipStream_tbENKUlT_T0_E_clISt17integral_constantIbLb1EES11_EEDaSW_SX_EUlSW_E_NS1_11comp_targetILNS1_3genE2ELNS1_11target_archE906ELNS1_3gpuE6ELNS1_3repE0EEENS1_30default_config_static_selectorELNS0_4arch9wavefront6targetE0EEEvT1_ ; -- Begin function _ZN7rocprim17ROCPRIM_400000_NS6detail17trampoline_kernelINS0_14default_configENS1_29reduce_by_key_config_selectorIttN6thrust23THRUST_200600_302600_NS4plusItEEEEZZNS1_33reduce_by_key_impl_wrapped_configILNS1_25lookback_scan_determinismE0ES3_S9_NS6_6detail15normal_iteratorINS6_10device_ptrItEEEESG_SG_SG_PmS8_NS6_8equal_toItEEEE10hipError_tPvRmT2_T3_mT4_T5_T6_T7_T8_P12ihipStream_tbENKUlT_T0_E_clISt17integral_constantIbLb1EES11_EEDaSW_SX_EUlSW_E_NS1_11comp_targetILNS1_3genE2ELNS1_11target_archE906ELNS1_3gpuE6ELNS1_3repE0EEENS1_30default_config_static_selectorELNS0_4arch9wavefront6targetE0EEEvT1_
	.globl	_ZN7rocprim17ROCPRIM_400000_NS6detail17trampoline_kernelINS0_14default_configENS1_29reduce_by_key_config_selectorIttN6thrust23THRUST_200600_302600_NS4plusItEEEEZZNS1_33reduce_by_key_impl_wrapped_configILNS1_25lookback_scan_determinismE0ES3_S9_NS6_6detail15normal_iteratorINS6_10device_ptrItEEEESG_SG_SG_PmS8_NS6_8equal_toItEEEE10hipError_tPvRmT2_T3_mT4_T5_T6_T7_T8_P12ihipStream_tbENKUlT_T0_E_clISt17integral_constantIbLb1EES11_EEDaSW_SX_EUlSW_E_NS1_11comp_targetILNS1_3genE2ELNS1_11target_archE906ELNS1_3gpuE6ELNS1_3repE0EEENS1_30default_config_static_selectorELNS0_4arch9wavefront6targetE0EEEvT1_
	.p2align	8
	.type	_ZN7rocprim17ROCPRIM_400000_NS6detail17trampoline_kernelINS0_14default_configENS1_29reduce_by_key_config_selectorIttN6thrust23THRUST_200600_302600_NS4plusItEEEEZZNS1_33reduce_by_key_impl_wrapped_configILNS1_25lookback_scan_determinismE0ES3_S9_NS6_6detail15normal_iteratorINS6_10device_ptrItEEEESG_SG_SG_PmS8_NS6_8equal_toItEEEE10hipError_tPvRmT2_T3_mT4_T5_T6_T7_T8_P12ihipStream_tbENKUlT_T0_E_clISt17integral_constantIbLb1EES11_EEDaSW_SX_EUlSW_E_NS1_11comp_targetILNS1_3genE2ELNS1_11target_archE906ELNS1_3gpuE6ELNS1_3repE0EEENS1_30default_config_static_selectorELNS0_4arch9wavefront6targetE0EEEvT1_,@function
_ZN7rocprim17ROCPRIM_400000_NS6detail17trampoline_kernelINS0_14default_configENS1_29reduce_by_key_config_selectorIttN6thrust23THRUST_200600_302600_NS4plusItEEEEZZNS1_33reduce_by_key_impl_wrapped_configILNS1_25lookback_scan_determinismE0ES3_S9_NS6_6detail15normal_iteratorINS6_10device_ptrItEEEESG_SG_SG_PmS8_NS6_8equal_toItEEEE10hipError_tPvRmT2_T3_mT4_T5_T6_T7_T8_P12ihipStream_tbENKUlT_T0_E_clISt17integral_constantIbLb1EES11_EEDaSW_SX_EUlSW_E_NS1_11comp_targetILNS1_3genE2ELNS1_11target_archE906ELNS1_3gpuE6ELNS1_3repE0EEENS1_30default_config_static_selectorELNS0_4arch9wavefront6targetE0EEEvT1_: ; @_ZN7rocprim17ROCPRIM_400000_NS6detail17trampoline_kernelINS0_14default_configENS1_29reduce_by_key_config_selectorIttN6thrust23THRUST_200600_302600_NS4plusItEEEEZZNS1_33reduce_by_key_impl_wrapped_configILNS1_25lookback_scan_determinismE0ES3_S9_NS6_6detail15normal_iteratorINS6_10device_ptrItEEEESG_SG_SG_PmS8_NS6_8equal_toItEEEE10hipError_tPvRmT2_T3_mT4_T5_T6_T7_T8_P12ihipStream_tbENKUlT_T0_E_clISt17integral_constantIbLb1EES11_EEDaSW_SX_EUlSW_E_NS1_11comp_targetILNS1_3genE2ELNS1_11target_archE906ELNS1_3gpuE6ELNS1_3repE0EEENS1_30default_config_static_selectorELNS0_4arch9wavefront6targetE0EEEvT1_
; %bb.0:
	.section	.rodata,"a",@progbits
	.p2align	6, 0x0
	.amdhsa_kernel _ZN7rocprim17ROCPRIM_400000_NS6detail17trampoline_kernelINS0_14default_configENS1_29reduce_by_key_config_selectorIttN6thrust23THRUST_200600_302600_NS4plusItEEEEZZNS1_33reduce_by_key_impl_wrapped_configILNS1_25lookback_scan_determinismE0ES3_S9_NS6_6detail15normal_iteratorINS6_10device_ptrItEEEESG_SG_SG_PmS8_NS6_8equal_toItEEEE10hipError_tPvRmT2_T3_mT4_T5_T6_T7_T8_P12ihipStream_tbENKUlT_T0_E_clISt17integral_constantIbLb1EES11_EEDaSW_SX_EUlSW_E_NS1_11comp_targetILNS1_3genE2ELNS1_11target_archE906ELNS1_3gpuE6ELNS1_3repE0EEENS1_30default_config_static_selectorELNS0_4arch9wavefront6targetE0EEEvT1_
		.amdhsa_group_segment_fixed_size 0
		.amdhsa_private_segment_fixed_size 0
		.amdhsa_kernarg_size 120
		.amdhsa_user_sgpr_count 15
		.amdhsa_user_sgpr_dispatch_ptr 0
		.amdhsa_user_sgpr_queue_ptr 0
		.amdhsa_user_sgpr_kernarg_segment_ptr 1
		.amdhsa_user_sgpr_dispatch_id 0
		.amdhsa_user_sgpr_private_segment_size 0
		.amdhsa_wavefront_size32 1
		.amdhsa_uses_dynamic_stack 0
		.amdhsa_enable_private_segment 0
		.amdhsa_system_sgpr_workgroup_id_x 1
		.amdhsa_system_sgpr_workgroup_id_y 0
		.amdhsa_system_sgpr_workgroup_id_z 0
		.amdhsa_system_sgpr_workgroup_info 0
		.amdhsa_system_vgpr_workitem_id 0
		.amdhsa_next_free_vgpr 1
		.amdhsa_next_free_sgpr 1
		.amdhsa_reserve_vcc 0
		.amdhsa_float_round_mode_32 0
		.amdhsa_float_round_mode_16_64 0
		.amdhsa_float_denorm_mode_32 3
		.amdhsa_float_denorm_mode_16_64 3
		.amdhsa_dx10_clamp 1
		.amdhsa_ieee_mode 1
		.amdhsa_fp16_overflow 0
		.amdhsa_workgroup_processor_mode 1
		.amdhsa_memory_ordered 1
		.amdhsa_forward_progress 0
		.amdhsa_shared_vgpr_count 0
		.amdhsa_exception_fp_ieee_invalid_op 0
		.amdhsa_exception_fp_denorm_src 0
		.amdhsa_exception_fp_ieee_div_zero 0
		.amdhsa_exception_fp_ieee_overflow 0
		.amdhsa_exception_fp_ieee_underflow 0
		.amdhsa_exception_fp_ieee_inexact 0
		.amdhsa_exception_int_div_zero 0
	.end_amdhsa_kernel
	.section	.text._ZN7rocprim17ROCPRIM_400000_NS6detail17trampoline_kernelINS0_14default_configENS1_29reduce_by_key_config_selectorIttN6thrust23THRUST_200600_302600_NS4plusItEEEEZZNS1_33reduce_by_key_impl_wrapped_configILNS1_25lookback_scan_determinismE0ES3_S9_NS6_6detail15normal_iteratorINS6_10device_ptrItEEEESG_SG_SG_PmS8_NS6_8equal_toItEEEE10hipError_tPvRmT2_T3_mT4_T5_T6_T7_T8_P12ihipStream_tbENKUlT_T0_E_clISt17integral_constantIbLb1EES11_EEDaSW_SX_EUlSW_E_NS1_11comp_targetILNS1_3genE2ELNS1_11target_archE906ELNS1_3gpuE6ELNS1_3repE0EEENS1_30default_config_static_selectorELNS0_4arch9wavefront6targetE0EEEvT1_,"axG",@progbits,_ZN7rocprim17ROCPRIM_400000_NS6detail17trampoline_kernelINS0_14default_configENS1_29reduce_by_key_config_selectorIttN6thrust23THRUST_200600_302600_NS4plusItEEEEZZNS1_33reduce_by_key_impl_wrapped_configILNS1_25lookback_scan_determinismE0ES3_S9_NS6_6detail15normal_iteratorINS6_10device_ptrItEEEESG_SG_SG_PmS8_NS6_8equal_toItEEEE10hipError_tPvRmT2_T3_mT4_T5_T6_T7_T8_P12ihipStream_tbENKUlT_T0_E_clISt17integral_constantIbLb1EES11_EEDaSW_SX_EUlSW_E_NS1_11comp_targetILNS1_3genE2ELNS1_11target_archE906ELNS1_3gpuE6ELNS1_3repE0EEENS1_30default_config_static_selectorELNS0_4arch9wavefront6targetE0EEEvT1_,comdat
.Lfunc_end406:
	.size	_ZN7rocprim17ROCPRIM_400000_NS6detail17trampoline_kernelINS0_14default_configENS1_29reduce_by_key_config_selectorIttN6thrust23THRUST_200600_302600_NS4plusItEEEEZZNS1_33reduce_by_key_impl_wrapped_configILNS1_25lookback_scan_determinismE0ES3_S9_NS6_6detail15normal_iteratorINS6_10device_ptrItEEEESG_SG_SG_PmS8_NS6_8equal_toItEEEE10hipError_tPvRmT2_T3_mT4_T5_T6_T7_T8_P12ihipStream_tbENKUlT_T0_E_clISt17integral_constantIbLb1EES11_EEDaSW_SX_EUlSW_E_NS1_11comp_targetILNS1_3genE2ELNS1_11target_archE906ELNS1_3gpuE6ELNS1_3repE0EEENS1_30default_config_static_selectorELNS0_4arch9wavefront6targetE0EEEvT1_, .Lfunc_end406-_ZN7rocprim17ROCPRIM_400000_NS6detail17trampoline_kernelINS0_14default_configENS1_29reduce_by_key_config_selectorIttN6thrust23THRUST_200600_302600_NS4plusItEEEEZZNS1_33reduce_by_key_impl_wrapped_configILNS1_25lookback_scan_determinismE0ES3_S9_NS6_6detail15normal_iteratorINS6_10device_ptrItEEEESG_SG_SG_PmS8_NS6_8equal_toItEEEE10hipError_tPvRmT2_T3_mT4_T5_T6_T7_T8_P12ihipStream_tbENKUlT_T0_E_clISt17integral_constantIbLb1EES11_EEDaSW_SX_EUlSW_E_NS1_11comp_targetILNS1_3genE2ELNS1_11target_archE906ELNS1_3gpuE6ELNS1_3repE0EEENS1_30default_config_static_selectorELNS0_4arch9wavefront6targetE0EEEvT1_
                                        ; -- End function
	.section	.AMDGPU.csdata,"",@progbits
; Kernel info:
; codeLenInByte = 0
; NumSgprs: 0
; NumVgprs: 0
; ScratchSize: 0
; MemoryBound: 0
; FloatMode: 240
; IeeeMode: 1
; LDSByteSize: 0 bytes/workgroup (compile time only)
; SGPRBlocks: 0
; VGPRBlocks: 0
; NumSGPRsForWavesPerEU: 1
; NumVGPRsForWavesPerEU: 1
; Occupancy: 16
; WaveLimiterHint : 0
; COMPUTE_PGM_RSRC2:SCRATCH_EN: 0
; COMPUTE_PGM_RSRC2:USER_SGPR: 15
; COMPUTE_PGM_RSRC2:TRAP_HANDLER: 0
; COMPUTE_PGM_RSRC2:TGID_X_EN: 1
; COMPUTE_PGM_RSRC2:TGID_Y_EN: 0
; COMPUTE_PGM_RSRC2:TGID_Z_EN: 0
; COMPUTE_PGM_RSRC2:TIDIG_COMP_CNT: 0
	.section	.text._ZN7rocprim17ROCPRIM_400000_NS6detail17trampoline_kernelINS0_14default_configENS1_29reduce_by_key_config_selectorIttN6thrust23THRUST_200600_302600_NS4plusItEEEEZZNS1_33reduce_by_key_impl_wrapped_configILNS1_25lookback_scan_determinismE0ES3_S9_NS6_6detail15normal_iteratorINS6_10device_ptrItEEEESG_SG_SG_PmS8_NS6_8equal_toItEEEE10hipError_tPvRmT2_T3_mT4_T5_T6_T7_T8_P12ihipStream_tbENKUlT_T0_E_clISt17integral_constantIbLb1EES11_EEDaSW_SX_EUlSW_E_NS1_11comp_targetILNS1_3genE10ELNS1_11target_archE1201ELNS1_3gpuE5ELNS1_3repE0EEENS1_30default_config_static_selectorELNS0_4arch9wavefront6targetE0EEEvT1_,"axG",@progbits,_ZN7rocprim17ROCPRIM_400000_NS6detail17trampoline_kernelINS0_14default_configENS1_29reduce_by_key_config_selectorIttN6thrust23THRUST_200600_302600_NS4plusItEEEEZZNS1_33reduce_by_key_impl_wrapped_configILNS1_25lookback_scan_determinismE0ES3_S9_NS6_6detail15normal_iteratorINS6_10device_ptrItEEEESG_SG_SG_PmS8_NS6_8equal_toItEEEE10hipError_tPvRmT2_T3_mT4_T5_T6_T7_T8_P12ihipStream_tbENKUlT_T0_E_clISt17integral_constantIbLb1EES11_EEDaSW_SX_EUlSW_E_NS1_11comp_targetILNS1_3genE10ELNS1_11target_archE1201ELNS1_3gpuE5ELNS1_3repE0EEENS1_30default_config_static_selectorELNS0_4arch9wavefront6targetE0EEEvT1_,comdat
	.protected	_ZN7rocprim17ROCPRIM_400000_NS6detail17trampoline_kernelINS0_14default_configENS1_29reduce_by_key_config_selectorIttN6thrust23THRUST_200600_302600_NS4plusItEEEEZZNS1_33reduce_by_key_impl_wrapped_configILNS1_25lookback_scan_determinismE0ES3_S9_NS6_6detail15normal_iteratorINS6_10device_ptrItEEEESG_SG_SG_PmS8_NS6_8equal_toItEEEE10hipError_tPvRmT2_T3_mT4_T5_T6_T7_T8_P12ihipStream_tbENKUlT_T0_E_clISt17integral_constantIbLb1EES11_EEDaSW_SX_EUlSW_E_NS1_11comp_targetILNS1_3genE10ELNS1_11target_archE1201ELNS1_3gpuE5ELNS1_3repE0EEENS1_30default_config_static_selectorELNS0_4arch9wavefront6targetE0EEEvT1_ ; -- Begin function _ZN7rocprim17ROCPRIM_400000_NS6detail17trampoline_kernelINS0_14default_configENS1_29reduce_by_key_config_selectorIttN6thrust23THRUST_200600_302600_NS4plusItEEEEZZNS1_33reduce_by_key_impl_wrapped_configILNS1_25lookback_scan_determinismE0ES3_S9_NS6_6detail15normal_iteratorINS6_10device_ptrItEEEESG_SG_SG_PmS8_NS6_8equal_toItEEEE10hipError_tPvRmT2_T3_mT4_T5_T6_T7_T8_P12ihipStream_tbENKUlT_T0_E_clISt17integral_constantIbLb1EES11_EEDaSW_SX_EUlSW_E_NS1_11comp_targetILNS1_3genE10ELNS1_11target_archE1201ELNS1_3gpuE5ELNS1_3repE0EEENS1_30default_config_static_selectorELNS0_4arch9wavefront6targetE0EEEvT1_
	.globl	_ZN7rocprim17ROCPRIM_400000_NS6detail17trampoline_kernelINS0_14default_configENS1_29reduce_by_key_config_selectorIttN6thrust23THRUST_200600_302600_NS4plusItEEEEZZNS1_33reduce_by_key_impl_wrapped_configILNS1_25lookback_scan_determinismE0ES3_S9_NS6_6detail15normal_iteratorINS6_10device_ptrItEEEESG_SG_SG_PmS8_NS6_8equal_toItEEEE10hipError_tPvRmT2_T3_mT4_T5_T6_T7_T8_P12ihipStream_tbENKUlT_T0_E_clISt17integral_constantIbLb1EES11_EEDaSW_SX_EUlSW_E_NS1_11comp_targetILNS1_3genE10ELNS1_11target_archE1201ELNS1_3gpuE5ELNS1_3repE0EEENS1_30default_config_static_selectorELNS0_4arch9wavefront6targetE0EEEvT1_
	.p2align	8
	.type	_ZN7rocprim17ROCPRIM_400000_NS6detail17trampoline_kernelINS0_14default_configENS1_29reduce_by_key_config_selectorIttN6thrust23THRUST_200600_302600_NS4plusItEEEEZZNS1_33reduce_by_key_impl_wrapped_configILNS1_25lookback_scan_determinismE0ES3_S9_NS6_6detail15normal_iteratorINS6_10device_ptrItEEEESG_SG_SG_PmS8_NS6_8equal_toItEEEE10hipError_tPvRmT2_T3_mT4_T5_T6_T7_T8_P12ihipStream_tbENKUlT_T0_E_clISt17integral_constantIbLb1EES11_EEDaSW_SX_EUlSW_E_NS1_11comp_targetILNS1_3genE10ELNS1_11target_archE1201ELNS1_3gpuE5ELNS1_3repE0EEENS1_30default_config_static_selectorELNS0_4arch9wavefront6targetE0EEEvT1_,@function
_ZN7rocprim17ROCPRIM_400000_NS6detail17trampoline_kernelINS0_14default_configENS1_29reduce_by_key_config_selectorIttN6thrust23THRUST_200600_302600_NS4plusItEEEEZZNS1_33reduce_by_key_impl_wrapped_configILNS1_25lookback_scan_determinismE0ES3_S9_NS6_6detail15normal_iteratorINS6_10device_ptrItEEEESG_SG_SG_PmS8_NS6_8equal_toItEEEE10hipError_tPvRmT2_T3_mT4_T5_T6_T7_T8_P12ihipStream_tbENKUlT_T0_E_clISt17integral_constantIbLb1EES11_EEDaSW_SX_EUlSW_E_NS1_11comp_targetILNS1_3genE10ELNS1_11target_archE1201ELNS1_3gpuE5ELNS1_3repE0EEENS1_30default_config_static_selectorELNS0_4arch9wavefront6targetE0EEEvT1_: ; @_ZN7rocprim17ROCPRIM_400000_NS6detail17trampoline_kernelINS0_14default_configENS1_29reduce_by_key_config_selectorIttN6thrust23THRUST_200600_302600_NS4plusItEEEEZZNS1_33reduce_by_key_impl_wrapped_configILNS1_25lookback_scan_determinismE0ES3_S9_NS6_6detail15normal_iteratorINS6_10device_ptrItEEEESG_SG_SG_PmS8_NS6_8equal_toItEEEE10hipError_tPvRmT2_T3_mT4_T5_T6_T7_T8_P12ihipStream_tbENKUlT_T0_E_clISt17integral_constantIbLb1EES11_EEDaSW_SX_EUlSW_E_NS1_11comp_targetILNS1_3genE10ELNS1_11target_archE1201ELNS1_3gpuE5ELNS1_3repE0EEENS1_30default_config_static_selectorELNS0_4arch9wavefront6targetE0EEEvT1_
; %bb.0:
	.section	.rodata,"a",@progbits
	.p2align	6, 0x0
	.amdhsa_kernel _ZN7rocprim17ROCPRIM_400000_NS6detail17trampoline_kernelINS0_14default_configENS1_29reduce_by_key_config_selectorIttN6thrust23THRUST_200600_302600_NS4plusItEEEEZZNS1_33reduce_by_key_impl_wrapped_configILNS1_25lookback_scan_determinismE0ES3_S9_NS6_6detail15normal_iteratorINS6_10device_ptrItEEEESG_SG_SG_PmS8_NS6_8equal_toItEEEE10hipError_tPvRmT2_T3_mT4_T5_T6_T7_T8_P12ihipStream_tbENKUlT_T0_E_clISt17integral_constantIbLb1EES11_EEDaSW_SX_EUlSW_E_NS1_11comp_targetILNS1_3genE10ELNS1_11target_archE1201ELNS1_3gpuE5ELNS1_3repE0EEENS1_30default_config_static_selectorELNS0_4arch9wavefront6targetE0EEEvT1_
		.amdhsa_group_segment_fixed_size 0
		.amdhsa_private_segment_fixed_size 0
		.amdhsa_kernarg_size 120
		.amdhsa_user_sgpr_count 15
		.amdhsa_user_sgpr_dispatch_ptr 0
		.amdhsa_user_sgpr_queue_ptr 0
		.amdhsa_user_sgpr_kernarg_segment_ptr 1
		.amdhsa_user_sgpr_dispatch_id 0
		.amdhsa_user_sgpr_private_segment_size 0
		.amdhsa_wavefront_size32 1
		.amdhsa_uses_dynamic_stack 0
		.amdhsa_enable_private_segment 0
		.amdhsa_system_sgpr_workgroup_id_x 1
		.amdhsa_system_sgpr_workgroup_id_y 0
		.amdhsa_system_sgpr_workgroup_id_z 0
		.amdhsa_system_sgpr_workgroup_info 0
		.amdhsa_system_vgpr_workitem_id 0
		.amdhsa_next_free_vgpr 1
		.amdhsa_next_free_sgpr 1
		.amdhsa_reserve_vcc 0
		.amdhsa_float_round_mode_32 0
		.amdhsa_float_round_mode_16_64 0
		.amdhsa_float_denorm_mode_32 3
		.amdhsa_float_denorm_mode_16_64 3
		.amdhsa_dx10_clamp 1
		.amdhsa_ieee_mode 1
		.amdhsa_fp16_overflow 0
		.amdhsa_workgroup_processor_mode 1
		.amdhsa_memory_ordered 1
		.amdhsa_forward_progress 0
		.amdhsa_shared_vgpr_count 0
		.amdhsa_exception_fp_ieee_invalid_op 0
		.amdhsa_exception_fp_denorm_src 0
		.amdhsa_exception_fp_ieee_div_zero 0
		.amdhsa_exception_fp_ieee_overflow 0
		.amdhsa_exception_fp_ieee_underflow 0
		.amdhsa_exception_fp_ieee_inexact 0
		.amdhsa_exception_int_div_zero 0
	.end_amdhsa_kernel
	.section	.text._ZN7rocprim17ROCPRIM_400000_NS6detail17trampoline_kernelINS0_14default_configENS1_29reduce_by_key_config_selectorIttN6thrust23THRUST_200600_302600_NS4plusItEEEEZZNS1_33reduce_by_key_impl_wrapped_configILNS1_25lookback_scan_determinismE0ES3_S9_NS6_6detail15normal_iteratorINS6_10device_ptrItEEEESG_SG_SG_PmS8_NS6_8equal_toItEEEE10hipError_tPvRmT2_T3_mT4_T5_T6_T7_T8_P12ihipStream_tbENKUlT_T0_E_clISt17integral_constantIbLb1EES11_EEDaSW_SX_EUlSW_E_NS1_11comp_targetILNS1_3genE10ELNS1_11target_archE1201ELNS1_3gpuE5ELNS1_3repE0EEENS1_30default_config_static_selectorELNS0_4arch9wavefront6targetE0EEEvT1_,"axG",@progbits,_ZN7rocprim17ROCPRIM_400000_NS6detail17trampoline_kernelINS0_14default_configENS1_29reduce_by_key_config_selectorIttN6thrust23THRUST_200600_302600_NS4plusItEEEEZZNS1_33reduce_by_key_impl_wrapped_configILNS1_25lookback_scan_determinismE0ES3_S9_NS6_6detail15normal_iteratorINS6_10device_ptrItEEEESG_SG_SG_PmS8_NS6_8equal_toItEEEE10hipError_tPvRmT2_T3_mT4_T5_T6_T7_T8_P12ihipStream_tbENKUlT_T0_E_clISt17integral_constantIbLb1EES11_EEDaSW_SX_EUlSW_E_NS1_11comp_targetILNS1_3genE10ELNS1_11target_archE1201ELNS1_3gpuE5ELNS1_3repE0EEENS1_30default_config_static_selectorELNS0_4arch9wavefront6targetE0EEEvT1_,comdat
.Lfunc_end407:
	.size	_ZN7rocprim17ROCPRIM_400000_NS6detail17trampoline_kernelINS0_14default_configENS1_29reduce_by_key_config_selectorIttN6thrust23THRUST_200600_302600_NS4plusItEEEEZZNS1_33reduce_by_key_impl_wrapped_configILNS1_25lookback_scan_determinismE0ES3_S9_NS6_6detail15normal_iteratorINS6_10device_ptrItEEEESG_SG_SG_PmS8_NS6_8equal_toItEEEE10hipError_tPvRmT2_T3_mT4_T5_T6_T7_T8_P12ihipStream_tbENKUlT_T0_E_clISt17integral_constantIbLb1EES11_EEDaSW_SX_EUlSW_E_NS1_11comp_targetILNS1_3genE10ELNS1_11target_archE1201ELNS1_3gpuE5ELNS1_3repE0EEENS1_30default_config_static_selectorELNS0_4arch9wavefront6targetE0EEEvT1_, .Lfunc_end407-_ZN7rocprim17ROCPRIM_400000_NS6detail17trampoline_kernelINS0_14default_configENS1_29reduce_by_key_config_selectorIttN6thrust23THRUST_200600_302600_NS4plusItEEEEZZNS1_33reduce_by_key_impl_wrapped_configILNS1_25lookback_scan_determinismE0ES3_S9_NS6_6detail15normal_iteratorINS6_10device_ptrItEEEESG_SG_SG_PmS8_NS6_8equal_toItEEEE10hipError_tPvRmT2_T3_mT4_T5_T6_T7_T8_P12ihipStream_tbENKUlT_T0_E_clISt17integral_constantIbLb1EES11_EEDaSW_SX_EUlSW_E_NS1_11comp_targetILNS1_3genE10ELNS1_11target_archE1201ELNS1_3gpuE5ELNS1_3repE0EEENS1_30default_config_static_selectorELNS0_4arch9wavefront6targetE0EEEvT1_
                                        ; -- End function
	.section	.AMDGPU.csdata,"",@progbits
; Kernel info:
; codeLenInByte = 0
; NumSgprs: 0
; NumVgprs: 0
; ScratchSize: 0
; MemoryBound: 0
; FloatMode: 240
; IeeeMode: 1
; LDSByteSize: 0 bytes/workgroup (compile time only)
; SGPRBlocks: 0
; VGPRBlocks: 0
; NumSGPRsForWavesPerEU: 1
; NumVGPRsForWavesPerEU: 1
; Occupancy: 16
; WaveLimiterHint : 0
; COMPUTE_PGM_RSRC2:SCRATCH_EN: 0
; COMPUTE_PGM_RSRC2:USER_SGPR: 15
; COMPUTE_PGM_RSRC2:TRAP_HANDLER: 0
; COMPUTE_PGM_RSRC2:TGID_X_EN: 1
; COMPUTE_PGM_RSRC2:TGID_Y_EN: 0
; COMPUTE_PGM_RSRC2:TGID_Z_EN: 0
; COMPUTE_PGM_RSRC2:TIDIG_COMP_CNT: 0
	.section	.text._ZN7rocprim17ROCPRIM_400000_NS6detail17trampoline_kernelINS0_14default_configENS1_29reduce_by_key_config_selectorIttN6thrust23THRUST_200600_302600_NS4plusItEEEEZZNS1_33reduce_by_key_impl_wrapped_configILNS1_25lookback_scan_determinismE0ES3_S9_NS6_6detail15normal_iteratorINS6_10device_ptrItEEEESG_SG_SG_PmS8_NS6_8equal_toItEEEE10hipError_tPvRmT2_T3_mT4_T5_T6_T7_T8_P12ihipStream_tbENKUlT_T0_E_clISt17integral_constantIbLb1EES11_EEDaSW_SX_EUlSW_E_NS1_11comp_targetILNS1_3genE10ELNS1_11target_archE1200ELNS1_3gpuE4ELNS1_3repE0EEENS1_30default_config_static_selectorELNS0_4arch9wavefront6targetE0EEEvT1_,"axG",@progbits,_ZN7rocprim17ROCPRIM_400000_NS6detail17trampoline_kernelINS0_14default_configENS1_29reduce_by_key_config_selectorIttN6thrust23THRUST_200600_302600_NS4plusItEEEEZZNS1_33reduce_by_key_impl_wrapped_configILNS1_25lookback_scan_determinismE0ES3_S9_NS6_6detail15normal_iteratorINS6_10device_ptrItEEEESG_SG_SG_PmS8_NS6_8equal_toItEEEE10hipError_tPvRmT2_T3_mT4_T5_T6_T7_T8_P12ihipStream_tbENKUlT_T0_E_clISt17integral_constantIbLb1EES11_EEDaSW_SX_EUlSW_E_NS1_11comp_targetILNS1_3genE10ELNS1_11target_archE1200ELNS1_3gpuE4ELNS1_3repE0EEENS1_30default_config_static_selectorELNS0_4arch9wavefront6targetE0EEEvT1_,comdat
	.protected	_ZN7rocprim17ROCPRIM_400000_NS6detail17trampoline_kernelINS0_14default_configENS1_29reduce_by_key_config_selectorIttN6thrust23THRUST_200600_302600_NS4plusItEEEEZZNS1_33reduce_by_key_impl_wrapped_configILNS1_25lookback_scan_determinismE0ES3_S9_NS6_6detail15normal_iteratorINS6_10device_ptrItEEEESG_SG_SG_PmS8_NS6_8equal_toItEEEE10hipError_tPvRmT2_T3_mT4_T5_T6_T7_T8_P12ihipStream_tbENKUlT_T0_E_clISt17integral_constantIbLb1EES11_EEDaSW_SX_EUlSW_E_NS1_11comp_targetILNS1_3genE10ELNS1_11target_archE1200ELNS1_3gpuE4ELNS1_3repE0EEENS1_30default_config_static_selectorELNS0_4arch9wavefront6targetE0EEEvT1_ ; -- Begin function _ZN7rocprim17ROCPRIM_400000_NS6detail17trampoline_kernelINS0_14default_configENS1_29reduce_by_key_config_selectorIttN6thrust23THRUST_200600_302600_NS4plusItEEEEZZNS1_33reduce_by_key_impl_wrapped_configILNS1_25lookback_scan_determinismE0ES3_S9_NS6_6detail15normal_iteratorINS6_10device_ptrItEEEESG_SG_SG_PmS8_NS6_8equal_toItEEEE10hipError_tPvRmT2_T3_mT4_T5_T6_T7_T8_P12ihipStream_tbENKUlT_T0_E_clISt17integral_constantIbLb1EES11_EEDaSW_SX_EUlSW_E_NS1_11comp_targetILNS1_3genE10ELNS1_11target_archE1200ELNS1_3gpuE4ELNS1_3repE0EEENS1_30default_config_static_selectorELNS0_4arch9wavefront6targetE0EEEvT1_
	.globl	_ZN7rocprim17ROCPRIM_400000_NS6detail17trampoline_kernelINS0_14default_configENS1_29reduce_by_key_config_selectorIttN6thrust23THRUST_200600_302600_NS4plusItEEEEZZNS1_33reduce_by_key_impl_wrapped_configILNS1_25lookback_scan_determinismE0ES3_S9_NS6_6detail15normal_iteratorINS6_10device_ptrItEEEESG_SG_SG_PmS8_NS6_8equal_toItEEEE10hipError_tPvRmT2_T3_mT4_T5_T6_T7_T8_P12ihipStream_tbENKUlT_T0_E_clISt17integral_constantIbLb1EES11_EEDaSW_SX_EUlSW_E_NS1_11comp_targetILNS1_3genE10ELNS1_11target_archE1200ELNS1_3gpuE4ELNS1_3repE0EEENS1_30default_config_static_selectorELNS0_4arch9wavefront6targetE0EEEvT1_
	.p2align	8
	.type	_ZN7rocprim17ROCPRIM_400000_NS6detail17trampoline_kernelINS0_14default_configENS1_29reduce_by_key_config_selectorIttN6thrust23THRUST_200600_302600_NS4plusItEEEEZZNS1_33reduce_by_key_impl_wrapped_configILNS1_25lookback_scan_determinismE0ES3_S9_NS6_6detail15normal_iteratorINS6_10device_ptrItEEEESG_SG_SG_PmS8_NS6_8equal_toItEEEE10hipError_tPvRmT2_T3_mT4_T5_T6_T7_T8_P12ihipStream_tbENKUlT_T0_E_clISt17integral_constantIbLb1EES11_EEDaSW_SX_EUlSW_E_NS1_11comp_targetILNS1_3genE10ELNS1_11target_archE1200ELNS1_3gpuE4ELNS1_3repE0EEENS1_30default_config_static_selectorELNS0_4arch9wavefront6targetE0EEEvT1_,@function
_ZN7rocprim17ROCPRIM_400000_NS6detail17trampoline_kernelINS0_14default_configENS1_29reduce_by_key_config_selectorIttN6thrust23THRUST_200600_302600_NS4plusItEEEEZZNS1_33reduce_by_key_impl_wrapped_configILNS1_25lookback_scan_determinismE0ES3_S9_NS6_6detail15normal_iteratorINS6_10device_ptrItEEEESG_SG_SG_PmS8_NS6_8equal_toItEEEE10hipError_tPvRmT2_T3_mT4_T5_T6_T7_T8_P12ihipStream_tbENKUlT_T0_E_clISt17integral_constantIbLb1EES11_EEDaSW_SX_EUlSW_E_NS1_11comp_targetILNS1_3genE10ELNS1_11target_archE1200ELNS1_3gpuE4ELNS1_3repE0EEENS1_30default_config_static_selectorELNS0_4arch9wavefront6targetE0EEEvT1_: ; @_ZN7rocprim17ROCPRIM_400000_NS6detail17trampoline_kernelINS0_14default_configENS1_29reduce_by_key_config_selectorIttN6thrust23THRUST_200600_302600_NS4plusItEEEEZZNS1_33reduce_by_key_impl_wrapped_configILNS1_25lookback_scan_determinismE0ES3_S9_NS6_6detail15normal_iteratorINS6_10device_ptrItEEEESG_SG_SG_PmS8_NS6_8equal_toItEEEE10hipError_tPvRmT2_T3_mT4_T5_T6_T7_T8_P12ihipStream_tbENKUlT_T0_E_clISt17integral_constantIbLb1EES11_EEDaSW_SX_EUlSW_E_NS1_11comp_targetILNS1_3genE10ELNS1_11target_archE1200ELNS1_3gpuE4ELNS1_3repE0EEENS1_30default_config_static_selectorELNS0_4arch9wavefront6targetE0EEEvT1_
; %bb.0:
	.section	.rodata,"a",@progbits
	.p2align	6, 0x0
	.amdhsa_kernel _ZN7rocprim17ROCPRIM_400000_NS6detail17trampoline_kernelINS0_14default_configENS1_29reduce_by_key_config_selectorIttN6thrust23THRUST_200600_302600_NS4plusItEEEEZZNS1_33reduce_by_key_impl_wrapped_configILNS1_25lookback_scan_determinismE0ES3_S9_NS6_6detail15normal_iteratorINS6_10device_ptrItEEEESG_SG_SG_PmS8_NS6_8equal_toItEEEE10hipError_tPvRmT2_T3_mT4_T5_T6_T7_T8_P12ihipStream_tbENKUlT_T0_E_clISt17integral_constantIbLb1EES11_EEDaSW_SX_EUlSW_E_NS1_11comp_targetILNS1_3genE10ELNS1_11target_archE1200ELNS1_3gpuE4ELNS1_3repE0EEENS1_30default_config_static_selectorELNS0_4arch9wavefront6targetE0EEEvT1_
		.amdhsa_group_segment_fixed_size 0
		.amdhsa_private_segment_fixed_size 0
		.amdhsa_kernarg_size 120
		.amdhsa_user_sgpr_count 15
		.amdhsa_user_sgpr_dispatch_ptr 0
		.amdhsa_user_sgpr_queue_ptr 0
		.amdhsa_user_sgpr_kernarg_segment_ptr 1
		.amdhsa_user_sgpr_dispatch_id 0
		.amdhsa_user_sgpr_private_segment_size 0
		.amdhsa_wavefront_size32 1
		.amdhsa_uses_dynamic_stack 0
		.amdhsa_enable_private_segment 0
		.amdhsa_system_sgpr_workgroup_id_x 1
		.amdhsa_system_sgpr_workgroup_id_y 0
		.amdhsa_system_sgpr_workgroup_id_z 0
		.amdhsa_system_sgpr_workgroup_info 0
		.amdhsa_system_vgpr_workitem_id 0
		.amdhsa_next_free_vgpr 1
		.amdhsa_next_free_sgpr 1
		.amdhsa_reserve_vcc 0
		.amdhsa_float_round_mode_32 0
		.amdhsa_float_round_mode_16_64 0
		.amdhsa_float_denorm_mode_32 3
		.amdhsa_float_denorm_mode_16_64 3
		.amdhsa_dx10_clamp 1
		.amdhsa_ieee_mode 1
		.amdhsa_fp16_overflow 0
		.amdhsa_workgroup_processor_mode 1
		.amdhsa_memory_ordered 1
		.amdhsa_forward_progress 0
		.amdhsa_shared_vgpr_count 0
		.amdhsa_exception_fp_ieee_invalid_op 0
		.amdhsa_exception_fp_denorm_src 0
		.amdhsa_exception_fp_ieee_div_zero 0
		.amdhsa_exception_fp_ieee_overflow 0
		.amdhsa_exception_fp_ieee_underflow 0
		.amdhsa_exception_fp_ieee_inexact 0
		.amdhsa_exception_int_div_zero 0
	.end_amdhsa_kernel
	.section	.text._ZN7rocprim17ROCPRIM_400000_NS6detail17trampoline_kernelINS0_14default_configENS1_29reduce_by_key_config_selectorIttN6thrust23THRUST_200600_302600_NS4plusItEEEEZZNS1_33reduce_by_key_impl_wrapped_configILNS1_25lookback_scan_determinismE0ES3_S9_NS6_6detail15normal_iteratorINS6_10device_ptrItEEEESG_SG_SG_PmS8_NS6_8equal_toItEEEE10hipError_tPvRmT2_T3_mT4_T5_T6_T7_T8_P12ihipStream_tbENKUlT_T0_E_clISt17integral_constantIbLb1EES11_EEDaSW_SX_EUlSW_E_NS1_11comp_targetILNS1_3genE10ELNS1_11target_archE1200ELNS1_3gpuE4ELNS1_3repE0EEENS1_30default_config_static_selectorELNS0_4arch9wavefront6targetE0EEEvT1_,"axG",@progbits,_ZN7rocprim17ROCPRIM_400000_NS6detail17trampoline_kernelINS0_14default_configENS1_29reduce_by_key_config_selectorIttN6thrust23THRUST_200600_302600_NS4plusItEEEEZZNS1_33reduce_by_key_impl_wrapped_configILNS1_25lookback_scan_determinismE0ES3_S9_NS6_6detail15normal_iteratorINS6_10device_ptrItEEEESG_SG_SG_PmS8_NS6_8equal_toItEEEE10hipError_tPvRmT2_T3_mT4_T5_T6_T7_T8_P12ihipStream_tbENKUlT_T0_E_clISt17integral_constantIbLb1EES11_EEDaSW_SX_EUlSW_E_NS1_11comp_targetILNS1_3genE10ELNS1_11target_archE1200ELNS1_3gpuE4ELNS1_3repE0EEENS1_30default_config_static_selectorELNS0_4arch9wavefront6targetE0EEEvT1_,comdat
.Lfunc_end408:
	.size	_ZN7rocprim17ROCPRIM_400000_NS6detail17trampoline_kernelINS0_14default_configENS1_29reduce_by_key_config_selectorIttN6thrust23THRUST_200600_302600_NS4plusItEEEEZZNS1_33reduce_by_key_impl_wrapped_configILNS1_25lookback_scan_determinismE0ES3_S9_NS6_6detail15normal_iteratorINS6_10device_ptrItEEEESG_SG_SG_PmS8_NS6_8equal_toItEEEE10hipError_tPvRmT2_T3_mT4_T5_T6_T7_T8_P12ihipStream_tbENKUlT_T0_E_clISt17integral_constantIbLb1EES11_EEDaSW_SX_EUlSW_E_NS1_11comp_targetILNS1_3genE10ELNS1_11target_archE1200ELNS1_3gpuE4ELNS1_3repE0EEENS1_30default_config_static_selectorELNS0_4arch9wavefront6targetE0EEEvT1_, .Lfunc_end408-_ZN7rocprim17ROCPRIM_400000_NS6detail17trampoline_kernelINS0_14default_configENS1_29reduce_by_key_config_selectorIttN6thrust23THRUST_200600_302600_NS4plusItEEEEZZNS1_33reduce_by_key_impl_wrapped_configILNS1_25lookback_scan_determinismE0ES3_S9_NS6_6detail15normal_iteratorINS6_10device_ptrItEEEESG_SG_SG_PmS8_NS6_8equal_toItEEEE10hipError_tPvRmT2_T3_mT4_T5_T6_T7_T8_P12ihipStream_tbENKUlT_T0_E_clISt17integral_constantIbLb1EES11_EEDaSW_SX_EUlSW_E_NS1_11comp_targetILNS1_3genE10ELNS1_11target_archE1200ELNS1_3gpuE4ELNS1_3repE0EEENS1_30default_config_static_selectorELNS0_4arch9wavefront6targetE0EEEvT1_
                                        ; -- End function
	.section	.AMDGPU.csdata,"",@progbits
; Kernel info:
; codeLenInByte = 0
; NumSgprs: 0
; NumVgprs: 0
; ScratchSize: 0
; MemoryBound: 0
; FloatMode: 240
; IeeeMode: 1
; LDSByteSize: 0 bytes/workgroup (compile time only)
; SGPRBlocks: 0
; VGPRBlocks: 0
; NumSGPRsForWavesPerEU: 1
; NumVGPRsForWavesPerEU: 1
; Occupancy: 16
; WaveLimiterHint : 0
; COMPUTE_PGM_RSRC2:SCRATCH_EN: 0
; COMPUTE_PGM_RSRC2:USER_SGPR: 15
; COMPUTE_PGM_RSRC2:TRAP_HANDLER: 0
; COMPUTE_PGM_RSRC2:TGID_X_EN: 1
; COMPUTE_PGM_RSRC2:TGID_Y_EN: 0
; COMPUTE_PGM_RSRC2:TGID_Z_EN: 0
; COMPUTE_PGM_RSRC2:TIDIG_COMP_CNT: 0
	.section	.text._ZN7rocprim17ROCPRIM_400000_NS6detail17trampoline_kernelINS0_14default_configENS1_29reduce_by_key_config_selectorIttN6thrust23THRUST_200600_302600_NS4plusItEEEEZZNS1_33reduce_by_key_impl_wrapped_configILNS1_25lookback_scan_determinismE0ES3_S9_NS6_6detail15normal_iteratorINS6_10device_ptrItEEEESG_SG_SG_PmS8_NS6_8equal_toItEEEE10hipError_tPvRmT2_T3_mT4_T5_T6_T7_T8_P12ihipStream_tbENKUlT_T0_E_clISt17integral_constantIbLb1EES11_EEDaSW_SX_EUlSW_E_NS1_11comp_targetILNS1_3genE9ELNS1_11target_archE1100ELNS1_3gpuE3ELNS1_3repE0EEENS1_30default_config_static_selectorELNS0_4arch9wavefront6targetE0EEEvT1_,"axG",@progbits,_ZN7rocprim17ROCPRIM_400000_NS6detail17trampoline_kernelINS0_14default_configENS1_29reduce_by_key_config_selectorIttN6thrust23THRUST_200600_302600_NS4plusItEEEEZZNS1_33reduce_by_key_impl_wrapped_configILNS1_25lookback_scan_determinismE0ES3_S9_NS6_6detail15normal_iteratorINS6_10device_ptrItEEEESG_SG_SG_PmS8_NS6_8equal_toItEEEE10hipError_tPvRmT2_T3_mT4_T5_T6_T7_T8_P12ihipStream_tbENKUlT_T0_E_clISt17integral_constantIbLb1EES11_EEDaSW_SX_EUlSW_E_NS1_11comp_targetILNS1_3genE9ELNS1_11target_archE1100ELNS1_3gpuE3ELNS1_3repE0EEENS1_30default_config_static_selectorELNS0_4arch9wavefront6targetE0EEEvT1_,comdat
	.protected	_ZN7rocprim17ROCPRIM_400000_NS6detail17trampoline_kernelINS0_14default_configENS1_29reduce_by_key_config_selectorIttN6thrust23THRUST_200600_302600_NS4plusItEEEEZZNS1_33reduce_by_key_impl_wrapped_configILNS1_25lookback_scan_determinismE0ES3_S9_NS6_6detail15normal_iteratorINS6_10device_ptrItEEEESG_SG_SG_PmS8_NS6_8equal_toItEEEE10hipError_tPvRmT2_T3_mT4_T5_T6_T7_T8_P12ihipStream_tbENKUlT_T0_E_clISt17integral_constantIbLb1EES11_EEDaSW_SX_EUlSW_E_NS1_11comp_targetILNS1_3genE9ELNS1_11target_archE1100ELNS1_3gpuE3ELNS1_3repE0EEENS1_30default_config_static_selectorELNS0_4arch9wavefront6targetE0EEEvT1_ ; -- Begin function _ZN7rocprim17ROCPRIM_400000_NS6detail17trampoline_kernelINS0_14default_configENS1_29reduce_by_key_config_selectorIttN6thrust23THRUST_200600_302600_NS4plusItEEEEZZNS1_33reduce_by_key_impl_wrapped_configILNS1_25lookback_scan_determinismE0ES3_S9_NS6_6detail15normal_iteratorINS6_10device_ptrItEEEESG_SG_SG_PmS8_NS6_8equal_toItEEEE10hipError_tPvRmT2_T3_mT4_T5_T6_T7_T8_P12ihipStream_tbENKUlT_T0_E_clISt17integral_constantIbLb1EES11_EEDaSW_SX_EUlSW_E_NS1_11comp_targetILNS1_3genE9ELNS1_11target_archE1100ELNS1_3gpuE3ELNS1_3repE0EEENS1_30default_config_static_selectorELNS0_4arch9wavefront6targetE0EEEvT1_
	.globl	_ZN7rocprim17ROCPRIM_400000_NS6detail17trampoline_kernelINS0_14default_configENS1_29reduce_by_key_config_selectorIttN6thrust23THRUST_200600_302600_NS4plusItEEEEZZNS1_33reduce_by_key_impl_wrapped_configILNS1_25lookback_scan_determinismE0ES3_S9_NS6_6detail15normal_iteratorINS6_10device_ptrItEEEESG_SG_SG_PmS8_NS6_8equal_toItEEEE10hipError_tPvRmT2_T3_mT4_T5_T6_T7_T8_P12ihipStream_tbENKUlT_T0_E_clISt17integral_constantIbLb1EES11_EEDaSW_SX_EUlSW_E_NS1_11comp_targetILNS1_3genE9ELNS1_11target_archE1100ELNS1_3gpuE3ELNS1_3repE0EEENS1_30default_config_static_selectorELNS0_4arch9wavefront6targetE0EEEvT1_
	.p2align	8
	.type	_ZN7rocprim17ROCPRIM_400000_NS6detail17trampoline_kernelINS0_14default_configENS1_29reduce_by_key_config_selectorIttN6thrust23THRUST_200600_302600_NS4plusItEEEEZZNS1_33reduce_by_key_impl_wrapped_configILNS1_25lookback_scan_determinismE0ES3_S9_NS6_6detail15normal_iteratorINS6_10device_ptrItEEEESG_SG_SG_PmS8_NS6_8equal_toItEEEE10hipError_tPvRmT2_T3_mT4_T5_T6_T7_T8_P12ihipStream_tbENKUlT_T0_E_clISt17integral_constantIbLb1EES11_EEDaSW_SX_EUlSW_E_NS1_11comp_targetILNS1_3genE9ELNS1_11target_archE1100ELNS1_3gpuE3ELNS1_3repE0EEENS1_30default_config_static_selectorELNS0_4arch9wavefront6targetE0EEEvT1_,@function
_ZN7rocprim17ROCPRIM_400000_NS6detail17trampoline_kernelINS0_14default_configENS1_29reduce_by_key_config_selectorIttN6thrust23THRUST_200600_302600_NS4plusItEEEEZZNS1_33reduce_by_key_impl_wrapped_configILNS1_25lookback_scan_determinismE0ES3_S9_NS6_6detail15normal_iteratorINS6_10device_ptrItEEEESG_SG_SG_PmS8_NS6_8equal_toItEEEE10hipError_tPvRmT2_T3_mT4_T5_T6_T7_T8_P12ihipStream_tbENKUlT_T0_E_clISt17integral_constantIbLb1EES11_EEDaSW_SX_EUlSW_E_NS1_11comp_targetILNS1_3genE9ELNS1_11target_archE1100ELNS1_3gpuE3ELNS1_3repE0EEENS1_30default_config_static_selectorELNS0_4arch9wavefront6targetE0EEEvT1_: ; @_ZN7rocprim17ROCPRIM_400000_NS6detail17trampoline_kernelINS0_14default_configENS1_29reduce_by_key_config_selectorIttN6thrust23THRUST_200600_302600_NS4plusItEEEEZZNS1_33reduce_by_key_impl_wrapped_configILNS1_25lookback_scan_determinismE0ES3_S9_NS6_6detail15normal_iteratorINS6_10device_ptrItEEEESG_SG_SG_PmS8_NS6_8equal_toItEEEE10hipError_tPvRmT2_T3_mT4_T5_T6_T7_T8_P12ihipStream_tbENKUlT_T0_E_clISt17integral_constantIbLb1EES11_EEDaSW_SX_EUlSW_E_NS1_11comp_targetILNS1_3genE9ELNS1_11target_archE1100ELNS1_3gpuE3ELNS1_3repE0EEENS1_30default_config_static_selectorELNS0_4arch9wavefront6targetE0EEEvT1_
; %bb.0:
	s_clause 0x4
	s_load_b256 s[12:19], s[0:1], 0x0
	s_load_b128 s[28:31], s[0:1], 0x20
	s_load_b256 s[20:27], s[0:1], 0x38
	s_load_b64 s[34:35], s[0:1], 0x68
	s_load_b128 s[36:39], s[0:1], 0x58
	v_cmp_ne_u32_e64 s3, 0, v0
	v_cmp_eq_u32_e64 s2, 0, v0
	s_delay_alu instid0(VALU_DEP_1)
	s_and_saveexec_b32 s4, s2
	s_cbranch_execz .LBB409_4
; %bb.1:
	s_mov_b32 s6, exec_lo
	s_mov_b32 s5, exec_lo
	v_mbcnt_lo_u32_b32 v1, s6, 0
                                        ; implicit-def: $vgpr2
	s_delay_alu instid0(VALU_DEP_1)
	v_cmpx_eq_u32_e32 0, v1
	s_cbranch_execz .LBB409_3
; %bb.2:
	s_load_b64 s[0:1], s[0:1], 0x70
	s_bcnt1_i32_b32 s6, s6
	s_delay_alu instid0(SALU_CYCLE_1)
	v_dual_mov_b32 v2, 0 :: v_dual_mov_b32 v3, s6
	s_waitcnt lgkmcnt(0)
	global_atomic_add_u32 v2, v2, v3, s[0:1] glc
.LBB409_3:
	s_or_b32 exec_lo, exec_lo, s5
	s_waitcnt vmcnt(0)
	v_readfirstlane_b32 s0, v2
	s_delay_alu instid0(VALU_DEP_1)
	v_dual_mov_b32 v2, 0 :: v_dual_add_nc_u32 v1, s0, v1
	ds_store_b32 v2, v1
.LBB409_4:
	s_or_b32 exec_lo, exec_lo, s4
	v_mov_b32_e32 v2, 0
	s_waitcnt lgkmcnt(0)
	s_barrier
	buffer_gl0_inv
	s_lshl_b64 s[4:5], s[14:15], 1
	ds_load_b32 v1, v2
	s_add_u32 s9, s12, s4
	s_mul_i32 s1, s24, s23
	s_mul_hi_u32 s6, s24, s22
	s_addc_u32 s10, s13, s5
	s_add_u32 s11, s16, s4
	s_mul_i32 s7, s25, s22
	s_addc_u32 s12, s17, s5
	s_add_i32 s1, s6, s1
	s_mul_i32 s8, s24, s22
	s_add_i32 s1, s1, s7
	s_mov_b32 s0, 0
	s_waitcnt lgkmcnt(0)
	s_barrier
	buffer_gl0_inv
	v_readfirstlane_b32 s40, v1
	v_mul_lo_u32 v1, 0xf00, v1
	s_delay_alu instid0(VALU_DEP_2) | instskip(SKIP_3) | instid1(VALU_DEP_1)
	s_add_u32 s24, s8, s40
	s_addc_u32 s25, s1, 0
	s_add_u32 s4, s26, -1
	s_addc_u32 s5, s27, -1
	v_lshlrev_b64 v[1:2], 1, v[1:2]
	s_cmp_eq_u64 s[24:25], s[4:5]
	s_mul_i32 s27, s4, 0xfffff100
	s_cselect_b32 s26, -1, 0
	s_cmp_lg_u64 s[24:25], s[4:5]
	s_delay_alu instid0(VALU_DEP_1)
	v_add_co_u32 v6, vcc_lo, s9, v1
	v_add_co_ci_u32_e32 v5, vcc_lo, s10, v2, vcc_lo
	v_add_co_u32 v7, vcc_lo, s11, v1
	v_add_co_ci_u32_e32 v8, vcc_lo, s12, v2, vcc_lo
	s_cselect_b32 s17, -1, 0
	s_and_b32 vcc_lo, exec_lo, s26
	s_cbranch_vccnz .LBB409_6
; %bb.5:
	v_lshlrev_b32_e32 v17, 1, v0
	s_delay_alu instid0(VALU_DEP_1) | instskip(SKIP_2) | instid1(VALU_DEP_3)
	v_add_co_u32 v1, vcc_lo, v6, v17
	v_add_co_ci_u32_e32 v2, vcc_lo, 0, v5, vcc_lo
	v_mad_u32_u24 v9, v0, 28, v17
	v_add_co_u32 v3, vcc_lo, 0x1000, v1
	s_delay_alu instid0(VALU_DEP_3)
	v_add_co_ci_u32_e32 v4, vcc_lo, 0, v2, vcc_lo
	s_clause 0xe
	flat_load_u16 v10, v[1:2]
	flat_load_u16 v11, v[1:2] offset:512
	flat_load_u16 v12, v[1:2] offset:1024
	;; [unrolled: 1-line block ×7, first 2 shown]
	flat_load_u16 v2, v[3:4]
	flat_load_u16 v22, v[3:4] offset:512
	flat_load_u16 v23, v[3:4] offset:1024
	;; [unrolled: 1-line block ×6, first 2 shown]
	v_add_co_u32 v13, vcc_lo, v7, v17
	v_add_co_ci_u32_e32 v14, vcc_lo, 0, v8, vcc_lo
	s_waitcnt vmcnt(14) lgkmcnt(14)
	ds_store_b16 v17, v10
	s_waitcnt vmcnt(13) lgkmcnt(14)
	ds_store_b16 v17, v11 offset:512
	s_waitcnt vmcnt(12) lgkmcnt(14)
	ds_store_b16 v17, v12 offset:1024
	;; [unrolled: 2-line block ×14, first 2 shown]
	v_add_co_u32 v15, vcc_lo, 0x1000, v13
	v_add_co_ci_u32_e32 v16, vcc_lo, 0, v14, vcc_lo
	s_waitcnt lgkmcnt(0)
	s_barrier
	buffer_gl0_inv
	ds_load_u16 v52, v9
	ds_load_b128 v[1:4], v9 offset:2
	ds_load_b96 v[10:12], v9 offset:18
	s_waitcnt lgkmcnt(0)
	s_barrier
	buffer_gl0_inv
	s_clause 0xe
	flat_load_u16 v18, v[13:14]
	flat_load_u16 v19, v[13:14] offset:512
	flat_load_u16 v20, v[13:14] offset:1024
	;; [unrolled: 1-line block ×7, first 2 shown]
	flat_load_u16 v25, v[15:16]
	flat_load_u16 v26, v[15:16] offset:512
	flat_load_u16 v27, v[15:16] offset:1024
	;; [unrolled: 1-line block ×6, first 2 shown]
	v_mul_u32_u24_e32 v14, 15, v0
	s_waitcnt vmcnt(14) lgkmcnt(14)
	ds_store_b16 v17, v18
	s_waitcnt vmcnt(13) lgkmcnt(14)
	ds_store_b16 v17, v19 offset:512
	s_waitcnt vmcnt(12) lgkmcnt(14)
	ds_store_b16 v17, v20 offset:1024
	;; [unrolled: 2-line block ×14, first 2 shown]
	s_waitcnt lgkmcnt(0)
	s_barrier
	s_and_not1_b32 vcc_lo, exec_lo, s0
	s_add_i32 s27, s27, s36
	s_cbranch_vccz .LBB409_7
	s_branch .LBB409_54
.LBB409_6:
                                        ; implicit-def: $vgpr1
                                        ; implicit-def: $vgpr10
                                        ; implicit-def: $vgpr14
                                        ; implicit-def: $vgpr9
                                        ; implicit-def: $vgpr52
	s_add_i32 s27, s27, s36
.LBB409_7:
	s_delay_alu instid0(SALU_CYCLE_1)
	v_cmp_gt_u32_e32 vcc_lo, s27, v0
                                        ; implicit-def: $vgpr1
	s_and_saveexec_b32 s1, vcc_lo
	s_cbranch_execz .LBB409_9
; %bb.8:
	v_lshlrev_b32_e32 v1, 1, v0
	s_delay_alu instid0(VALU_DEP_1) | instskip(NEXT) | instid1(VALU_DEP_1)
	v_add_co_u32 v1, s0, v6, v1
	v_add_co_ci_u32_e64 v2, s0, 0, v5, s0
	flat_load_u16 v1, v[1:2]
.LBB409_9:
	s_or_b32 exec_lo, exec_lo, s1
	v_or_b32_e32 v2, 0x100, v0
	s_delay_alu instid0(VALU_DEP_1) | instskip(NEXT) | instid1(VALU_DEP_1)
	v_cmp_gt_u32_e64 s0, s27, v2
                                        ; implicit-def: $vgpr2
	s_and_saveexec_b32 s4, s0
	s_cbranch_execz .LBB409_11
; %bb.10:
	v_lshlrev_b32_e32 v2, 1, v0
	s_delay_alu instid0(VALU_DEP_1) | instskip(NEXT) | instid1(VALU_DEP_1)
	v_add_co_u32 v2, s1, v6, v2
	v_add_co_ci_u32_e64 v3, s1, 0, v5, s1
	flat_load_u16 v2, v[2:3] offset:512
.LBB409_11:
	s_or_b32 exec_lo, exec_lo, s4
	v_or_b32_e32 v3, 0x200, v0
	s_delay_alu instid0(VALU_DEP_1) | instskip(NEXT) | instid1(VALU_DEP_1)
	v_cmp_gt_u32_e64 s1, s27, v3
                                        ; implicit-def: $vgpr3
	s_and_saveexec_b32 s5, s1
	s_cbranch_execz .LBB409_13
; %bb.12:
	v_lshlrev_b32_e32 v3, 1, v0
	s_delay_alu instid0(VALU_DEP_1) | instskip(NEXT) | instid1(VALU_DEP_1)
	v_add_co_u32 v3, s4, v6, v3
	v_add_co_ci_u32_e64 v4, s4, 0, v5, s4
	flat_load_u16 v3, v[3:4] offset:1024
.LBB409_13:
	s_or_b32 exec_lo, exec_lo, s5
	v_or_b32_e32 v4, 0x300, v0
	s_delay_alu instid0(VALU_DEP_1) | instskip(NEXT) | instid1(VALU_DEP_1)
	v_cmp_gt_u32_e64 s4, s27, v4
                                        ; implicit-def: $vgpr4
	s_and_saveexec_b32 s6, s4
	s_cbranch_execz .LBB409_15
; %bb.14:
	v_lshlrev_b32_e32 v4, 1, v0
	s_delay_alu instid0(VALU_DEP_1) | instskip(NEXT) | instid1(VALU_DEP_1)
	v_add_co_u32 v9, s5, v6, v4
	v_add_co_ci_u32_e64 v10, s5, 0, v5, s5
	flat_load_u16 v4, v[9:10] offset:1536
.LBB409_15:
	s_or_b32 exec_lo, exec_lo, s6
	v_or_b32_e32 v9, 0x400, v0
	s_delay_alu instid0(VALU_DEP_1) | instskip(NEXT) | instid1(VALU_DEP_1)
	v_cmp_gt_u32_e64 s5, s27, v9
                                        ; implicit-def: $vgpr9
	s_and_saveexec_b32 s7, s5
	s_cbranch_execz .LBB409_17
; %bb.16:
	v_lshlrev_b32_e32 v9, 1, v0
	s_delay_alu instid0(VALU_DEP_1) | instskip(NEXT) | instid1(VALU_DEP_1)
	v_add_co_u32 v9, s6, v6, v9
	v_add_co_ci_u32_e64 v10, s6, 0, v5, s6
	flat_load_u16 v9, v[9:10] offset:2048
.LBB409_17:
	s_or_b32 exec_lo, exec_lo, s7
	v_or_b32_e32 v10, 0x500, v0
	s_delay_alu instid0(VALU_DEP_1) | instskip(NEXT) | instid1(VALU_DEP_1)
	v_cmp_gt_u32_e64 s6, s27, v10
                                        ; implicit-def: $vgpr10
	s_and_saveexec_b32 s8, s6
	s_cbranch_execz .LBB409_19
; %bb.18:
	v_lshlrev_b32_e32 v10, 1, v0
	s_delay_alu instid0(VALU_DEP_1) | instskip(NEXT) | instid1(VALU_DEP_1)
	v_add_co_u32 v10, s7, v6, v10
	v_add_co_ci_u32_e64 v11, s7, 0, v5, s7
	flat_load_u16 v10, v[10:11] offset:2560
.LBB409_19:
	s_or_b32 exec_lo, exec_lo, s8
	v_or_b32_e32 v11, 0x600, v0
	s_delay_alu instid0(VALU_DEP_1) | instskip(NEXT) | instid1(VALU_DEP_1)
	v_cmp_gt_u32_e64 s7, s27, v11
                                        ; implicit-def: $vgpr11
	s_and_saveexec_b32 s9, s7
	s_cbranch_execz .LBB409_21
; %bb.20:
	v_lshlrev_b32_e32 v11, 1, v0
	s_delay_alu instid0(VALU_DEP_1) | instskip(NEXT) | instid1(VALU_DEP_1)
	v_add_co_u32 v11, s8, v6, v11
	v_add_co_ci_u32_e64 v12, s8, 0, v5, s8
	flat_load_u16 v11, v[11:12] offset:3072
.LBB409_21:
	s_or_b32 exec_lo, exec_lo, s9
	v_or_b32_e32 v12, 0x700, v0
	s_delay_alu instid0(VALU_DEP_1) | instskip(NEXT) | instid1(VALU_DEP_1)
	v_cmp_gt_u32_e64 s8, s27, v12
                                        ; implicit-def: $vgpr12
	s_and_saveexec_b32 s10, s8
	s_cbranch_execz .LBB409_23
; %bb.22:
	v_lshlrev_b32_e32 v12, 1, v0
	s_delay_alu instid0(VALU_DEP_1) | instskip(NEXT) | instid1(VALU_DEP_1)
	v_add_co_u32 v12, s9, v6, v12
	v_add_co_ci_u32_e64 v13, s9, 0, v5, s9
	flat_load_u16 v12, v[12:13] offset:3584
.LBB409_23:
	s_or_b32 exec_lo, exec_lo, s10
	v_or_b32_e32 v14, 0x800, v0
                                        ; implicit-def: $vgpr21
	s_delay_alu instid0(VALU_DEP_1) | instskip(NEXT) | instid1(VALU_DEP_1)
	v_cmp_gt_u32_e64 s9, s27, v14
	s_and_saveexec_b32 s11, s9
	s_cbranch_execz .LBB409_25
; %bb.24:
	v_lshlrev_b32_e32 v13, 1, v14
	s_delay_alu instid0(VALU_DEP_1) | instskip(NEXT) | instid1(VALU_DEP_1)
	v_add_co_u32 v15, s10, v6, v13
	v_add_co_ci_u32_e64 v16, s10, 0, v5, s10
	flat_load_u16 v21, v[15:16]
.LBB409_25:
	s_or_b32 exec_lo, exec_lo, s11
	v_or_b32_e32 v15, 0x900, v0
                                        ; implicit-def: $vgpr22
	s_delay_alu instid0(VALU_DEP_1) | instskip(NEXT) | instid1(VALU_DEP_1)
	v_cmp_gt_u32_e64 s10, s27, v15
	s_and_saveexec_b32 s12, s10
	s_cbranch_execz .LBB409_27
; %bb.26:
	v_lshlrev_b32_e32 v13, 1, v15
	s_delay_alu instid0(VALU_DEP_1) | instskip(NEXT) | instid1(VALU_DEP_1)
	v_add_co_u32 v16, s11, v6, v13
	v_add_co_ci_u32_e64 v17, s11, 0, v5, s11
	flat_load_u16 v22, v[16:17]
.LBB409_27:
	s_or_b32 exec_lo, exec_lo, s12
	v_or_b32_e32 v16, 0xa00, v0
                                        ; implicit-def: $vgpr23
	s_delay_alu instid0(VALU_DEP_1) | instskip(NEXT) | instid1(VALU_DEP_1)
	v_cmp_gt_u32_e64 s11, s27, v16
	s_and_saveexec_b32 s13, s11
	s_cbranch_execz .LBB409_29
; %bb.28:
	v_lshlrev_b32_e32 v13, 1, v16
	s_delay_alu instid0(VALU_DEP_1) | instskip(NEXT) | instid1(VALU_DEP_1)
	v_add_co_u32 v17, s12, v6, v13
	v_add_co_ci_u32_e64 v18, s12, 0, v5, s12
	flat_load_u16 v23, v[17:18]
.LBB409_29:
	s_or_b32 exec_lo, exec_lo, s13
	v_or_b32_e32 v17, 0xb00, v0
                                        ; implicit-def: $vgpr24
	s_delay_alu instid0(VALU_DEP_1) | instskip(NEXT) | instid1(VALU_DEP_1)
	v_cmp_gt_u32_e64 s12, s27, v17
	s_and_saveexec_b32 s14, s12
	s_cbranch_execz .LBB409_31
; %bb.30:
	v_lshlrev_b32_e32 v13, 1, v17
	s_delay_alu instid0(VALU_DEP_1) | instskip(NEXT) | instid1(VALU_DEP_1)
	v_add_co_u32 v18, s13, v6, v13
	v_add_co_ci_u32_e64 v19, s13, 0, v5, s13
	flat_load_u16 v24, v[18:19]
.LBB409_31:
	s_or_b32 exec_lo, exec_lo, s14
	v_or_b32_e32 v18, 0xc00, v0
                                        ; implicit-def: $vgpr25
	s_delay_alu instid0(VALU_DEP_1) | instskip(NEXT) | instid1(VALU_DEP_1)
	v_cmp_gt_u32_e64 s13, s27, v18
	s_and_saveexec_b32 s15, s13
	s_cbranch_execz .LBB409_33
; %bb.32:
	v_lshlrev_b32_e32 v13, 1, v18
	s_delay_alu instid0(VALU_DEP_1) | instskip(NEXT) | instid1(VALU_DEP_1)
	v_add_co_u32 v19, s14, v6, v13
	v_add_co_ci_u32_e64 v20, s14, 0, v5, s14
	flat_load_u16 v25, v[19:20]
.LBB409_33:
	s_or_b32 exec_lo, exec_lo, s15
	v_or_b32_e32 v19, 0xd00, v0
                                        ; implicit-def: $vgpr26
	s_delay_alu instid0(VALU_DEP_1) | instskip(NEXT) | instid1(VALU_DEP_1)
	v_cmp_gt_u32_e64 s14, s27, v19
	s_and_saveexec_b32 s16, s14
	s_cbranch_execz .LBB409_35
; %bb.34:
	v_lshlrev_b32_e32 v13, 1, v19
	s_delay_alu instid0(VALU_DEP_1) | instskip(NEXT) | instid1(VALU_DEP_1)
	v_add_co_u32 v26, s15, v6, v13
	v_add_co_ci_u32_e64 v27, s15, 0, v5, s15
	flat_load_u16 v26, v[26:27]
.LBB409_35:
	s_or_b32 exec_lo, exec_lo, s16
	v_or_b32_e32 v20, 0xe00, v0
                                        ; implicit-def: $vgpr27
	s_delay_alu instid0(VALU_DEP_1) | instskip(NEXT) | instid1(VALU_DEP_1)
	v_cmp_gt_u32_e64 s15, s27, v20
	s_and_saveexec_b32 s33, s15
	s_cbranch_execz .LBB409_37
; %bb.36:
	v_lshlrev_b32_e32 v13, 1, v20
	s_delay_alu instid0(VALU_DEP_1) | instskip(NEXT) | instid1(VALU_DEP_1)
	v_add_co_u32 v27, s16, v6, v13
	v_add_co_ci_u32_e64 v28, s16, 0, v5, s16
	flat_load_u16 v27, v[27:28]
.LBB409_37:
	s_or_b32 exec_lo, exec_lo, s33
	v_lshlrev_b32_e32 v13, 1, v0
	s_waitcnt vmcnt(0) lgkmcnt(0)
	ds_store_b16 v13, v1
	ds_store_b16 v13, v2 offset:512
	ds_store_b16 v13, v3 offset:1024
	ds_store_b16 v13, v4 offset:1536
	ds_store_b16 v13, v9 offset:2048
	ds_store_b16 v13, v10 offset:2560
	ds_store_b16 v13, v11 offset:3072
	ds_store_b16 v13, v12 offset:3584
	v_mad_u32_u24 v9, v0, 28, v13
	ds_store_b16 v13, v21 offset:4096
	ds_store_b16 v13, v22 offset:4608
	;; [unrolled: 1-line block ×7, first 2 shown]
	s_waitcnt lgkmcnt(0)
	s_barrier
	buffer_gl0_inv
	ds_load_u16 v52, v9
	ds_load_b128 v[1:4], v9 offset:2
	ds_load_b96 v[10:12], v9 offset:18
	s_waitcnt lgkmcnt(0)
	s_barrier
	buffer_gl0_inv
                                        ; implicit-def: $vgpr21
	s_and_saveexec_b32 s16, vcc_lo
	s_cbranch_execnz .LBB409_61
; %bb.38:
	s_or_b32 exec_lo, exec_lo, s16
                                        ; implicit-def: $vgpr22
	s_and_saveexec_b32 s16, s0
	s_cbranch_execnz .LBB409_62
.LBB409_39:
	s_or_b32 exec_lo, exec_lo, s16
                                        ; implicit-def: $vgpr23
	s_and_saveexec_b32 s0, s1
	s_cbranch_execnz .LBB409_63
.LBB409_40:
	s_or_b32 exec_lo, exec_lo, s0
                                        ; implicit-def: $vgpr24
	s_and_saveexec_b32 s0, s4
	s_cbranch_execnz .LBB409_64
.LBB409_41:
	s_or_b32 exec_lo, exec_lo, s0
                                        ; implicit-def: $vgpr25
	s_and_saveexec_b32 s0, s5
	s_cbranch_execnz .LBB409_65
.LBB409_42:
	s_or_b32 exec_lo, exec_lo, s0
                                        ; implicit-def: $vgpr26
	s_and_saveexec_b32 s0, s6
	s_cbranch_execnz .LBB409_66
.LBB409_43:
	s_or_b32 exec_lo, exec_lo, s0
                                        ; implicit-def: $vgpr27
	s_and_saveexec_b32 s0, s7
	s_cbranch_execnz .LBB409_67
.LBB409_44:
	s_or_b32 exec_lo, exec_lo, s0
                                        ; implicit-def: $vgpr28
	s_and_saveexec_b32 s0, s8
	s_cbranch_execnz .LBB409_68
.LBB409_45:
	s_or_b32 exec_lo, exec_lo, s0
                                        ; implicit-def: $vgpr29
	s_and_saveexec_b32 s0, s9
	s_cbranch_execnz .LBB409_69
.LBB409_46:
	s_or_b32 exec_lo, exec_lo, s0
                                        ; implicit-def: $vgpr30
	s_and_saveexec_b32 s0, s10
	s_cbranch_execnz .LBB409_70
.LBB409_47:
	s_or_b32 exec_lo, exec_lo, s0
                                        ; implicit-def: $vgpr15
	s_and_saveexec_b32 s0, s11
	s_cbranch_execnz .LBB409_71
.LBB409_48:
	s_or_b32 exec_lo, exec_lo, s0
                                        ; implicit-def: $vgpr16
	s_and_saveexec_b32 s0, s12
	s_cbranch_execnz .LBB409_72
.LBB409_49:
	s_or_b32 exec_lo, exec_lo, s0
                                        ; implicit-def: $vgpr17
	s_and_saveexec_b32 s0, s13
	s_cbranch_execnz .LBB409_73
.LBB409_50:
	s_or_b32 exec_lo, exec_lo, s0
                                        ; implicit-def: $vgpr18
	s_and_saveexec_b32 s0, s14
	s_cbranch_execnz .LBB409_74
.LBB409_51:
	s_or_b32 exec_lo, exec_lo, s0
                                        ; implicit-def: $vgpr19
	s_and_saveexec_b32 s0, s15
	s_cbranch_execz .LBB409_53
.LBB409_52:
	v_lshlrev_b32_e32 v14, 1, v20
	s_delay_alu instid0(VALU_DEP_1)
	v_add_co_u32 v7, vcc_lo, v7, v14
	v_add_co_ci_u32_e32 v8, vcc_lo, 0, v8, vcc_lo
	flat_load_u16 v19, v[7:8]
.LBB409_53:
	s_or_b32 exec_lo, exec_lo, s0
	v_mul_u32_u24_e32 v14, 15, v0
	s_waitcnt vmcnt(0) lgkmcnt(0)
	ds_store_b16 v13, v21
	ds_store_b16 v13, v22 offset:512
	ds_store_b16 v13, v23 offset:1024
	;; [unrolled: 1-line block ×14, first 2 shown]
	s_waitcnt lgkmcnt(0)
	s_barrier
.LBB409_54:
	v_lshlrev_b32_e32 v7, 1, v14
	buffer_gl0_inv
	ds_load_u16 v74, v9
	ds_load_u16 v73, v9 offset:2
	ds_load_u16 v71, v9 offset:6
	;; [unrolled: 1-line block ×14, first 2 shown]
	s_cmp_eq_u64 s[24:25], 0
	s_waitcnt lgkmcnt(0)
	s_cselect_b32 s33, -1, 0
	s_cmp_lg_u64 s[24:25], 0
	s_barrier
	s_cselect_b32 s15, -1, 0
	s_and_b32 vcc_lo, exec_lo, s17
	buffer_gl0_inv
	s_cbranch_vccz .LBB409_60
; %bb.55:
	s_and_b32 vcc_lo, exec_lo, s15
	s_cbranch_vccz .LBB409_75
; %bb.56:
	v_add_co_u32 v7, vcc_lo, -2, v6
	v_add_co_ci_u32_e32 v8, vcc_lo, -1, v5, vcc_lo
	v_lshrrev_b32_e32 v13, 16, v11
	v_lshrrev_b32_e32 v14, 16, v10
	;; [unrolled: 1-line block ×3, first 2 shown]
	flat_load_u16 v7, v[7:8]
	v_lshrrev_b32_e32 v9, 16, v12
	v_cmp_ne_u16_e64 s0, v13, v12
	v_cmp_ne_u16_e64 s1, v11, v13
	;; [unrolled: 1-line block ×4, first 2 shown]
	v_lshrrev_b32_e32 v13, 16, v3
	v_cmp_ne_u16_e64 s6, v15, v10
	v_lshrrev_b32_e32 v14, 16, v2
	v_cmp_ne_u16_e64 s7, v4, v15
	v_lshrrev_b32_e32 v15, 16, v1
	v_lshlrev_b32_e32 v8, 1, v0
	v_cmp_ne_u16_e32 vcc_lo, v12, v9
	v_cmp_ne_u16_e64 s8, v13, v4
	v_cmp_ne_u16_e64 s9, v3, v13
	v_cmp_ne_u16_e64 s10, v14, v3
	v_cmp_ne_u16_e64 s11, v2, v14
	v_cmp_ne_u16_e64 s12, v15, v2
	v_cmp_ne_u16_e64 s13, v1, v15
	v_cmp_ne_u16_e64 s14, v52, v1
	s_mov_b32 s41, -1
	ds_store_b16 v8, v9
	s_waitcnt vmcnt(0) lgkmcnt(0)
	s_barrier
	buffer_gl0_inv
	s_and_saveexec_b32 s16, s3
	s_cbranch_execz .LBB409_58
; %bb.57:
	v_add_nc_u32_e32 v7, -2, v8
	ds_load_u16 v7, v7
.LBB409_58:
	s_or_b32 exec_lo, exec_lo, s16
	v_cndmask_b32_e64 v54, 0, 1, vcc_lo
	v_cndmask_b32_e64 v47, 0, 1, s0
	v_cndmask_b32_e64 v48, 0, 1, s1
	;; [unrolled: 1-line block ×13, first 2 shown]
	s_waitcnt lgkmcnt(0)
	v_cmp_ne_u16_e64 s0, v7, v52
.LBB409_59:
                                        ; implicit-def: $sgpr42
	s_branch .LBB409_87
.LBB409_60:
	s_mov_b32 s41, 0
                                        ; implicit-def: $sgpr0
                                        ; implicit-def: $vgpr54
                                        ; implicit-def: $vgpr47
                                        ; implicit-def: $vgpr48
                                        ; implicit-def: $vgpr49
                                        ; implicit-def: $vgpr50
                                        ; implicit-def: $vgpr51
                                        ; implicit-def: $vgpr53
                                        ; implicit-def: $vgpr55
                                        ; implicit-def: $vgpr56
                                        ; implicit-def: $vgpr57
                                        ; implicit-def: $vgpr58
                                        ; implicit-def: $vgpr59
                                        ; implicit-def: $vgpr60
                                        ; implicit-def: $vgpr61
                                        ; implicit-def: $sgpr42
	s_cbranch_execnz .LBB409_79
	s_branch .LBB409_87
.LBB409_61:
	v_add_co_u32 v21, vcc_lo, v7, v13
	v_add_co_ci_u32_e32 v22, vcc_lo, 0, v8, vcc_lo
	flat_load_u16 v21, v[21:22]
	s_or_b32 exec_lo, exec_lo, s16
                                        ; implicit-def: $vgpr22
	s_and_saveexec_b32 s16, s0
	s_cbranch_execz .LBB409_39
.LBB409_62:
	v_add_co_u32 v22, vcc_lo, v7, v13
	v_add_co_ci_u32_e32 v23, vcc_lo, 0, v8, vcc_lo
	flat_load_u16 v22, v[22:23] offset:512
	s_or_b32 exec_lo, exec_lo, s16
                                        ; implicit-def: $vgpr23
	s_and_saveexec_b32 s0, s1
	s_cbranch_execz .LBB409_40
.LBB409_63:
	v_add_co_u32 v23, vcc_lo, v7, v13
	v_add_co_ci_u32_e32 v24, vcc_lo, 0, v8, vcc_lo
	flat_load_u16 v23, v[23:24] offset:1024
	s_or_b32 exec_lo, exec_lo, s0
                                        ; implicit-def: $vgpr24
	s_and_saveexec_b32 s0, s4
	s_cbranch_execz .LBB409_41
.LBB409_64:
	v_add_co_u32 v24, vcc_lo, v7, v13
	v_add_co_ci_u32_e32 v25, vcc_lo, 0, v8, vcc_lo
	flat_load_u16 v24, v[24:25] offset:1536
	s_or_b32 exec_lo, exec_lo, s0
                                        ; implicit-def: $vgpr25
	s_and_saveexec_b32 s0, s5
	s_cbranch_execz .LBB409_42
.LBB409_65:
	v_add_co_u32 v25, vcc_lo, v7, v13
	v_add_co_ci_u32_e32 v26, vcc_lo, 0, v8, vcc_lo
	flat_load_u16 v25, v[25:26] offset:2048
	s_or_b32 exec_lo, exec_lo, s0
                                        ; implicit-def: $vgpr26
	s_and_saveexec_b32 s0, s6
	s_cbranch_execz .LBB409_43
.LBB409_66:
	v_add_co_u32 v26, vcc_lo, v7, v13
	v_add_co_ci_u32_e32 v27, vcc_lo, 0, v8, vcc_lo
	flat_load_u16 v26, v[26:27] offset:2560
	s_or_b32 exec_lo, exec_lo, s0
                                        ; implicit-def: $vgpr27
	s_and_saveexec_b32 s0, s7
	s_cbranch_execz .LBB409_44
.LBB409_67:
	v_add_co_u32 v27, vcc_lo, v7, v13
	v_add_co_ci_u32_e32 v28, vcc_lo, 0, v8, vcc_lo
	flat_load_u16 v27, v[27:28] offset:3072
	s_or_b32 exec_lo, exec_lo, s0
                                        ; implicit-def: $vgpr28
	s_and_saveexec_b32 s0, s8
	s_cbranch_execz .LBB409_45
.LBB409_68:
	v_add_co_u32 v28, vcc_lo, v7, v13
	v_add_co_ci_u32_e32 v29, vcc_lo, 0, v8, vcc_lo
	flat_load_u16 v28, v[28:29] offset:3584
	s_or_b32 exec_lo, exec_lo, s0
                                        ; implicit-def: $vgpr29
	s_and_saveexec_b32 s0, s9
	s_cbranch_execz .LBB409_46
.LBB409_69:
	v_lshlrev_b32_e32 v14, 1, v14
	s_delay_alu instid0(VALU_DEP_1)
	v_add_co_u32 v29, vcc_lo, v7, v14
	v_add_co_ci_u32_e32 v30, vcc_lo, 0, v8, vcc_lo
	flat_load_u16 v29, v[29:30]
	s_or_b32 exec_lo, exec_lo, s0
                                        ; implicit-def: $vgpr30
	s_and_saveexec_b32 s0, s10
	s_cbranch_execz .LBB409_47
.LBB409_70:
	v_lshlrev_b32_e32 v14, 1, v15
	s_delay_alu instid0(VALU_DEP_1)
	v_add_co_u32 v14, vcc_lo, v7, v14
	v_add_co_ci_u32_e32 v15, vcc_lo, 0, v8, vcc_lo
	flat_load_u16 v30, v[14:15]
	s_or_b32 exec_lo, exec_lo, s0
                                        ; implicit-def: $vgpr15
	s_and_saveexec_b32 s0, s11
	s_cbranch_execz .LBB409_48
.LBB409_71:
	v_lshlrev_b32_e32 v14, 1, v16
	s_delay_alu instid0(VALU_DEP_1)
	v_add_co_u32 v14, vcc_lo, v7, v14
	v_add_co_ci_u32_e32 v15, vcc_lo, 0, v8, vcc_lo
	flat_load_u16 v15, v[14:15]
	s_or_b32 exec_lo, exec_lo, s0
                                        ; implicit-def: $vgpr16
	s_and_saveexec_b32 s0, s12
	s_cbranch_execz .LBB409_49
.LBB409_72:
	v_lshlrev_b32_e32 v14, 1, v17
	s_delay_alu instid0(VALU_DEP_1)
	v_add_co_u32 v16, vcc_lo, v7, v14
	v_add_co_ci_u32_e32 v17, vcc_lo, 0, v8, vcc_lo
	flat_load_u16 v16, v[16:17]
	s_or_b32 exec_lo, exec_lo, s0
                                        ; implicit-def: $vgpr17
	s_and_saveexec_b32 s0, s13
	s_cbranch_execz .LBB409_50
.LBB409_73:
	v_lshlrev_b32_e32 v14, 1, v18
	s_delay_alu instid0(VALU_DEP_1)
	v_add_co_u32 v17, vcc_lo, v7, v14
	v_add_co_ci_u32_e32 v18, vcc_lo, 0, v8, vcc_lo
	flat_load_u16 v17, v[17:18]
	s_or_b32 exec_lo, exec_lo, s0
                                        ; implicit-def: $vgpr18
	s_and_saveexec_b32 s0, s14
	s_cbranch_execz .LBB409_51
.LBB409_74:
	v_lshlrev_b32_e32 v14, 1, v19
	s_delay_alu instid0(VALU_DEP_1)
	v_add_co_u32 v18, vcc_lo, v7, v14
	v_add_co_ci_u32_e32 v19, vcc_lo, 0, v8, vcc_lo
	flat_load_u16 v18, v[18:19]
	s_or_b32 exec_lo, exec_lo, s0
                                        ; implicit-def: $vgpr19
	s_and_saveexec_b32 s0, s15
	s_cbranch_execnz .LBB409_52
	s_branch .LBB409_53
.LBB409_75:
	s_mov_b32 s41, 0
                                        ; implicit-def: $sgpr0
                                        ; implicit-def: $vgpr54
                                        ; implicit-def: $vgpr47
                                        ; implicit-def: $vgpr48
                                        ; implicit-def: $vgpr49
                                        ; implicit-def: $vgpr50
                                        ; implicit-def: $vgpr51
                                        ; implicit-def: $vgpr53
                                        ; implicit-def: $vgpr55
                                        ; implicit-def: $vgpr56
                                        ; implicit-def: $vgpr57
                                        ; implicit-def: $vgpr58
                                        ; implicit-def: $vgpr59
                                        ; implicit-def: $vgpr60
                                        ; implicit-def: $vgpr61
	s_cbranch_execz .LBB409_59
; %bb.76:
	v_lshrrev_b32_e32 v8, 16, v12
	v_lshrrev_b32_e32 v9, 16, v11
	;; [unrolled: 1-line block ×3, first 2 shown]
	v_lshlrev_b32_e32 v7, 1, v0
	s_mov_b32 s42, 1
	v_cmp_ne_u16_e32 vcc_lo, v12, v8
                                        ; implicit-def: $sgpr0
	ds_store_b16 v7, v8
	s_waitcnt lgkmcnt(0)
	v_cndmask_b32_e64 v54, 0, 1, vcc_lo
	v_cmp_ne_u16_e32 vcc_lo, v9, v12
	s_barrier
	buffer_gl0_inv
	v_cndmask_b32_e64 v47, 0, 1, vcc_lo
	v_cmp_ne_u16_e32 vcc_lo, v11, v9
	v_lshrrev_b32_e32 v9, 16, v4
	v_cndmask_b32_e64 v48, 0, 1, vcc_lo
	v_cmp_ne_u16_e32 vcc_lo, v13, v11
	v_cndmask_b32_e64 v49, 0, 1, vcc_lo
	v_cmp_ne_u16_e32 vcc_lo, v10, v13
	v_lshrrev_b32_e32 v13, 16, v3
	v_cndmask_b32_e64 v50, 0, 1, vcc_lo
	v_cmp_ne_u16_e32 vcc_lo, v9, v10
	;; [unrolled: 5-line block ×4, first 2 shown]
	v_cndmask_b32_e64 v57, 0, 1, vcc_lo
	v_cmp_ne_u16_e32 vcc_lo, v2, v9
	v_cndmask_b32_e64 v58, 0, 1, vcc_lo
	v_cmp_ne_u16_e32 vcc_lo, v13, v2
	;; [unrolled: 2-line block ×4, first 2 shown]
	v_cndmask_b32_e64 v61, 0, 1, vcc_lo
	s_and_saveexec_b32 s1, s3
	s_delay_alu instid0(SALU_CYCLE_1)
	s_xor_b32 s1, exec_lo, s1
	s_cbranch_execz .LBB409_78
; %bb.77:
	v_add_nc_u32_e32 v7, -2, v7
	s_or_b32 s41, s41, exec_lo
	ds_load_u16 v7, v7
	s_waitcnt lgkmcnt(0)
	v_cmp_ne_u16_e32 vcc_lo, v7, v52
	s_and_b32 s0, vcc_lo, exec_lo
.LBB409_78:
	s_or_b32 exec_lo, exec_lo, s1
	s_branch .LBB409_87
.LBB409_79:
	s_mul_hi_u32 s0, s24, 0xfffff100
	s_mul_i32 s1, s25, 0xfffff100
	s_sub_i32 s0, s0, s24
	s_mul_i32 s4, s24, 0xfffff100
	s_add_i32 s0, s0, s1
	s_add_u32 s24, s4, s36
	s_addc_u32 s25, s0, s37
	s_and_b32 vcc_lo, exec_lo, s15
	s_cbranch_vccz .LBB409_84
; %bb.80:
	v_add_co_u32 v6, vcc_lo, -2, v6
	v_add_co_ci_u32_e32 v7, vcc_lo, -1, v5, vcc_lo
	v_mad_u32_u24 v5, v0, 15, 14
	v_lshlrev_b32_e32 v8, 1, v0
	v_lshrrev_b32_e32 v13, 16, v12
	flat_load_u16 v9, v[6:7]
	v_mov_b32_e32 v6, 0
	v_lshrrev_b32_e32 v14, 16, v11
	v_mul_u32_u24_e32 v7, 15, v0
	ds_store_b16 v8, v13
	v_cmp_ne_u16_e64 s8, v12, v13
	v_cmp_gt_u64_e32 vcc_lo, s[24:25], v[5:6]
	v_mad_u32_u24 v5, v0, 15, 13
	v_cmp_ne_u16_e64 s9, v14, v12
	v_lshrrev_b32_e32 v13, 16, v10
	s_mov_b32 s41, -1
	s_mov_b32 s11, 0
	v_cmp_gt_u64_e64 s0, s[24:25], v[5:6]
	v_mad_u32_u24 v5, v0, 15, 12
	s_and_b32 s12, vcc_lo, s8
	v_cmp_ne_u16_e32 vcc_lo, v11, v14
	v_lshrrev_b32_e32 v14, 16, v3
	s_waitcnt vmcnt(0) lgkmcnt(0)
	v_cmp_gt_u64_e64 s1, s[24:25], v[5:6]
	v_mad_u32_u24 v5, v0, 15, 11
	s_and_b32 s13, s0, s9
	v_cmp_ne_u16_e64 s0, v13, v11
	s_barrier
	buffer_gl0_inv
	v_cmp_gt_u64_e64 s4, s[24:25], v[5:6]
	v_mad_u32_u24 v5, v0, 15, 10
	s_and_b32 s14, s1, vcc_lo
	v_cmp_ne_u16_e32 vcc_lo, v10, v13
	v_lshrrev_b32_e32 v13, 16, v4
	s_delay_alu instid0(VALU_DEP_3) | instskip(SKIP_2) | instid1(VALU_DEP_3)
	v_cmp_gt_u64_e64 s5, s[24:25], v[5:6]
	v_mad_u32_u24 v5, v0, 15, 9
	s_and_b32 s15, s4, s0
	v_cmp_ne_u16_e64 s1, v4, v13
	s_delay_alu instid0(VALU_DEP_2) | instskip(SKIP_4) | instid1(VALU_DEP_3)
	v_cmp_gt_u64_e64 s6, s[24:25], v[5:6]
	v_mad_u32_u24 v5, v0, 15, 8
	s_and_b32 s16, s5, vcc_lo
	v_cmp_ne_u16_e32 vcc_lo, v13, v10
	v_lshrrev_b32_e32 v13, 16, v2
	v_cmp_gt_u64_e64 s7, s[24:25], v[5:6]
	v_mad_u32_u24 v5, v0, 15, 7
	s_and_b32 s17, s6, vcc_lo
	v_cmp_ne_u16_e32 vcc_lo, v14, v4
	v_cmp_ne_u16_e64 s6, v2, v13
	s_delay_alu instid0(VALU_DEP_3) | instskip(SKIP_4) | instid1(VALU_DEP_3)
	v_cmp_gt_u64_e64 s10, s[24:25], v[5:6]
	v_mad_u32_u24 v5, v0, 15, 6
	s_and_b32 s36, s7, s1
	v_cmp_ne_u16_e64 s1, v3, v14
	v_lshrrev_b32_e32 v14, 16, v1
	v_cmp_gt_u64_e64 s8, s[24:25], v[5:6]
	v_mad_u32_u24 v5, v0, 15, 5
	s_and_b32 s42, s10, vcc_lo
	s_delay_alu instid0(VALU_DEP_3) | instskip(SKIP_1) | instid1(VALU_DEP_3)
	v_cmp_ne_u16_e64 s7, v14, v2
	v_cmp_ne_u16_e64 s10, v52, v1
	v_cmp_gt_u64_e64 s0, s[24:25], v[5:6]
	v_mad_u32_u24 v5, v0, 15, 4
	s_and_b32 s37, s8, s1
	v_cmp_ne_u16_e64 s1, v13, v3
	v_cmp_ne_u16_e64 s8, v1, v14
	s_delay_alu instid0(VALU_DEP_3) | instskip(SKIP_1) | instid1(VALU_DEP_4)
	v_cmp_gt_u64_e64 s4, s[24:25], v[5:6]
	v_mad_u32_u24 v5, v0, 15, 3
	s_and_b32 s0, s0, s1
	s_delay_alu instid0(VALU_DEP_1) | instskip(SKIP_1) | instid1(VALU_DEP_4)
	v_cmp_gt_u64_e64 s5, s[24:25], v[5:6]
	v_mad_u32_u24 v5, v0, 15, 2
	s_and_b32 s6, s4, s6
	s_delay_alu instid0(VALU_DEP_1) | instskip(SKIP_1) | instid1(VALU_DEP_4)
	v_cmp_gt_u64_e32 vcc_lo, s[24:25], v[5:6]
	v_mad_u32_u24 v5, v0, 15, 1
	s_and_b32 s5, s5, s7
	s_delay_alu instid0(VALU_DEP_1) | instskip(SKIP_1) | instid1(VALU_DEP_1)
	v_cmp_gt_u64_e64 s9, s[24:25], v[5:6]
	s_and_b32 s1, vcc_lo, s8
	s_and_b32 s4, s9, s10
	s_and_saveexec_b32 s7, s3
	s_cbranch_execz .LBB409_82
; %bb.81:
	v_add_nc_u32_e32 v5, -2, v8
	ds_load_u16 v9, v5
.LBB409_82:
	s_or_b32 exec_lo, exec_lo, s7
	v_mov_b32_e32 v8, v6
	v_cndmask_b32_e64 v57, 0, 1, s0
	s_waitcnt lgkmcnt(0)
	v_cmp_ne_u16_e64 s0, v9, v52
	v_cndmask_b32_e64 v54, 0, 1, s12
	v_cndmask_b32_e64 v47, 0, 1, s13
	v_cmp_gt_u64_e32 vcc_lo, s[24:25], v[7:8]
	v_cndmask_b32_e64 v48, 0, 1, s14
	v_cndmask_b32_e64 v49, 0, 1, s15
	;; [unrolled: 1-line block ×11, first 2 shown]
	s_and_b32 s0, vcc_lo, s0
	s_and_b32 vcc_lo, exec_lo, s11
	s_cbranch_vccnz .LBB409_85
.LBB409_83:
                                        ; implicit-def: $sgpr42
	v_mov_b32_e32 v63, s42
	s_and_saveexec_b32 s1, s41
	s_cbranch_execnz .LBB409_88
	s_branch .LBB409_89
.LBB409_84:
                                        ; implicit-def: $sgpr0
                                        ; implicit-def: $vgpr54
                                        ; implicit-def: $vgpr47
                                        ; implicit-def: $vgpr48
                                        ; implicit-def: $vgpr49
                                        ; implicit-def: $vgpr50
                                        ; implicit-def: $vgpr51
                                        ; implicit-def: $vgpr53
                                        ; implicit-def: $vgpr55
                                        ; implicit-def: $vgpr56
                                        ; implicit-def: $vgpr57
                                        ; implicit-def: $vgpr58
                                        ; implicit-def: $vgpr59
                                        ; implicit-def: $vgpr60
                                        ; implicit-def: $vgpr61
	s_cbranch_execz .LBB409_83
.LBB409_85:
	v_mad_u32_u24 v5, v0, 15, 14
	v_dual_mov_b32 v6, 0 :: v_dual_lshlrev_b32 v7, 1, v0
	v_lshrrev_b32_e32 v8, 16, v12
	v_lshrrev_b32_e32 v9, 16, v11
	;; [unrolled: 1-line block ×3, first 2 shown]
	s_delay_alu instid0(VALU_DEP_4)
	v_cmp_gt_u64_e32 vcc_lo, s[24:25], v[5:6]
	v_mad_u32_u24 v5, v0, 15, 13
	v_cmp_ne_u16_e64 s6, v12, v8
	v_cmp_ne_u16_e64 s7, v9, v12
	;; [unrolled: 1-line block ×3, first 2 shown]
	v_lshrrev_b32_e32 v14, 16, v4
	v_cmp_gt_u64_e64 s0, s[24:25], v[5:6]
	v_mad_u32_u24 v5, v0, 15, 12
	s_and_b32 s6, vcc_lo, s6
	v_cmp_ne_u16_e64 s9, v13, v11
	v_cmp_ne_u16_e64 s11, v10, v13
	v_cmp_ne_u16_e64 s12, v14, v10
	v_cmp_gt_u64_e64 s1, s[24:25], v[5:6]
	v_mad_u32_u24 v5, v0, 15, 11
	s_and_b32 s0, s0, s7
	v_cmp_ne_u16_e64 s13, v4, v14
	v_cndmask_b32_e64 v47, 0, 1, s0
	v_lshrrev_b32_e32 v15, 16, v3
	v_cmp_gt_u64_e64 s4, s[24:25], v[5:6]
	v_mad_u32_u24 v5, v0, 15, 10
	s_and_b32 s0, s1, s8
	v_lshrrev_b32_e32 v16, 16, v2
	v_cndmask_b32_e64 v48, 0, 1, s0
	v_cmp_ne_u16_e64 s14, v15, v4
	v_cmp_gt_u64_e64 s5, s[24:25], v[5:6]
	v_mad_u32_u24 v5, v0, 15, 9
	s_and_b32 s1, s4, s9
	v_cmp_ne_u16_e64 s16, v3, v15
	v_cndmask_b32_e64 v49, 0, 1, s1
	v_cmp_ne_u16_e64 s17, v16, v3
	v_cmp_gt_u64_e64 s10, s[24:25], v[5:6]
	v_mad_u32_u24 v5, v0, 15, 8
	s_and_b32 s1, s5, s11
	v_lshrrev_b32_e32 v9, 16, v1
	v_cndmask_b32_e64 v50, 0, 1, s1
	v_cndmask_b32_e64 v54, 0, 1, s6
	v_cmp_gt_u64_e64 s15, s[24:25], v[5:6]
	v_mad_u32_u24 v5, v0, 15, 7
	s_and_b32 s4, s10, s12
	v_cmp_ne_u16_e64 s6, v52, v1
	v_cndmask_b32_e64 v51, 0, 1, s4
	s_mov_b32 s42, 1
	v_cmp_gt_u64_e32 vcc_lo, s[24:25], v[5:6]
	v_mad_u32_u24 v5, v0, 15, 6
	s_and_b32 s4, s15, s13
	ds_store_b16 v7, v8
	v_cndmask_b32_e64 v53, 0, 1, s4
	s_waitcnt lgkmcnt(0)
	v_cmp_gt_u64_e64 s0, s[24:25], v[5:6]
	v_mad_u32_u24 v5, v0, 15, 5
	s_and_b32 s5, vcc_lo, s14
	s_barrier
	v_cndmask_b32_e64 v55, 0, 1, s5
	v_cmp_ne_u16_e64 s5, v9, v2
	v_cmp_gt_u64_e64 s1, s[24:25], v[5:6]
	v_mad_u32_u24 v5, v0, 15, 4
	s_and_b32 s0, s0, s16
	buffer_gl0_inv
	v_cndmask_b32_e64 v56, 0, 1, s0
	v_cmp_ne_u16_e64 s0, v2, v16
	v_cmp_gt_u64_e64 s4, s[24:25], v[5:6]
	v_mad_u32_u24 v5, v0, 15, 3
	s_and_b32 s1, s1, s17
	s_delay_alu instid0(SALU_CYCLE_1) | instskip(NEXT) | instid1(VALU_DEP_2)
	v_cndmask_b32_e64 v57, 0, 1, s1
	v_cmp_gt_u64_e32 vcc_lo, s[24:25], v[5:6]
	v_mad_u32_u24 v5, v0, 15, 2
	s_and_b32 s0, s4, s0
	s_delay_alu instid0(SALU_CYCLE_1) | instskip(SKIP_1) | instid1(VALU_DEP_3)
	v_cndmask_b32_e64 v58, 0, 1, s0
	v_cmp_ne_u16_e64 s0, v1, v9
	v_cmp_gt_u64_e64 s1, s[24:25], v[5:6]
	v_mad_u32_u24 v5, v0, 15, 1
	s_and_b32 s5, vcc_lo, s5
	s_delay_alu instid0(SALU_CYCLE_1) | instskip(NEXT) | instid1(VALU_DEP_2)
	v_cndmask_b32_e64 v59, 0, 1, s5
	v_cmp_gt_u64_e64 s4, s[24:25], v[5:6]
	s_delay_alu instid0(VALU_DEP_4) | instskip(NEXT) | instid1(SALU_CYCLE_1)
	s_and_b32 s0, s1, s0
	v_cndmask_b32_e64 v60, 0, 1, s0
	s_delay_alu instid0(VALU_DEP_2) | instskip(NEXT) | instid1(SALU_CYCLE_1)
	s_and_b32 s0, s4, s6
	v_cndmask_b32_e64 v61, 0, 1, s0
                                        ; implicit-def: $sgpr0
	s_and_saveexec_b32 s1, s3
	s_cbranch_execz .LBB409_196
; %bb.86:
	v_add_nc_u32_e32 v5, -2, v7
	s_or_b32 s41, s41, exec_lo
	ds_load_u16 v7, v5
	v_mul_u32_u24_e32 v5, 15, v0
	s_delay_alu instid0(VALU_DEP_1) | instskip(SKIP_2) | instid1(VALU_DEP_1)
	v_cmp_gt_u64_e32 vcc_lo, s[24:25], v[5:6]
	s_waitcnt lgkmcnt(0)
	v_cmp_ne_u16_e64 s0, v7, v52
	s_and_b32 s0, vcc_lo, s0
	s_delay_alu instid0(SALU_CYCLE_1)
	s_and_b32 s0, s0, exec_lo
	s_or_b32 exec_lo, exec_lo, s1
.LBB409_87:
	v_mov_b32_e32 v63, s42
	s_and_saveexec_b32 s1, s41
.LBB409_88:
	s_delay_alu instid0(VALU_DEP_2)
	v_cndmask_b32_e64 v63, 0, 1, s0
.LBB409_89:
	s_or_b32 exec_lo, exec_lo, s1
	s_delay_alu instid0(VALU_DEP_1)
	v_add3_u32 v5, v61, v63, v60
	v_cmp_eq_u32_e64 s13, 0, v61
	v_cmp_eq_u32_e64 s12, 0, v60
	;; [unrolled: 1-line block ×4, first 2 shown]
	v_add3_u32 v80, v5, v59, v58
	v_cmp_eq_u32_e64 s9, 0, v57
	v_cmp_eq_u32_e64 s8, 0, v56
	;; [unrolled: 1-line block ×9, first 2 shown]
	v_cmp_eq_u32_e32 vcc_lo, 0, v54
	v_mbcnt_lo_u32_b32 v77, -1, 0
	v_lshrrev_b32_e32 v78, 5, v0
	v_or_b32_e32 v79, 31, v0
	s_cmp_eq_u64 s[22:23], 0
	s_cselect_b32 s16, -1, 0
	s_cmp_lg_u32 s40, 0
	s_cbranch_scc0 .LBB409_120
; %bb.90:
	v_cndmask_b32_e64 v5, 0, v74, s13
	v_add3_u32 v6, v80, v57, v56
	v_and_b32_e32 v9, 15, v77
	s_delay_alu instid0(VALU_DEP_3) | instskip(NEXT) | instid1(VALU_DEP_3)
	v_add_nc_u16 v5, v5, v73
	v_add3_u32 v6, v6, v55, v53
	s_delay_alu instid0(VALU_DEP_2) | instskip(NEXT) | instid1(VALU_DEP_2)
	v_cndmask_b32_e64 v5, 0, v5, s12
	v_add3_u32 v6, v6, v51, v50
	s_delay_alu instid0(VALU_DEP_2) | instskip(NEXT) | instid1(VALU_DEP_2)
	v_add_nc_u16 v5, v5, v75
	v_add3_u32 v6, v6, v49, v48
	s_delay_alu instid0(VALU_DEP_2) | instskip(NEXT) | instid1(VALU_DEP_2)
	v_cndmask_b32_e64 v5, 0, v5, s11
	v_add3_u32 v6, v6, v47, v54
	s_delay_alu instid0(VALU_DEP_2) | instskip(NEXT) | instid1(VALU_DEP_2)
	v_add_nc_u16 v5, v5, v71
	v_mov_b32_dpp v13, v6 row_shr:1 row_mask:0xf bank_mask:0xf
	s_delay_alu instid0(VALU_DEP_2) | instskip(NEXT) | instid1(VALU_DEP_1)
	v_cndmask_b32_e64 v5, 0, v5, s10
	v_add_nc_u16 v5, v5, v72
	s_delay_alu instid0(VALU_DEP_1) | instskip(NEXT) | instid1(VALU_DEP_1)
	v_cndmask_b32_e64 v5, 0, v5, s9
	v_add_nc_u16 v5, v5, v69
	s_delay_alu instid0(VALU_DEP_1) | instskip(NEXT) | instid1(VALU_DEP_1)
	;; [unrolled: 3-line block ×9, first 2 shown]
	v_cndmask_b32_e64 v5, 0, v5, s0
	v_add_nc_u16 v5, v5, v45
	s_delay_alu instid0(VALU_DEP_1) | instskip(SKIP_1) | instid1(VALU_DEP_2)
	v_cndmask_b32_e32 v5, 0, v5, vcc_lo
	v_cmp_eq_u32_e32 vcc_lo, 0, v6
	v_add_nc_u16 v5, v5, v76
	s_delay_alu instid0(VALU_DEP_1) | instskip(NEXT) | instid1(VALU_DEP_1)
	v_and_b32_e32 v7, 0xffff, v5
	v_mov_b32_dpp v8, v7 row_shr:1 row_mask:0xf bank_mask:0xf
	s_delay_alu instid0(VALU_DEP_1) | instskip(SKIP_1) | instid1(VALU_DEP_2)
	v_cndmask_b32_e32 v8, 0, v8, vcc_lo
	v_cmp_eq_u32_e32 vcc_lo, 0, v9
	v_add_nc_u16 v8, v8, v5
	v_cndmask_b32_e64 v13, v13, 0, vcc_lo
	s_delay_alu instid0(VALU_DEP_2) | instskip(NEXT) | instid1(VALU_DEP_1)
	v_dual_cndmask_b32 v5, v8, v5 :: v_dual_and_b32 v14, 0xffff, v8
	v_dual_cndmask_b32 v7, v14, v7 :: v_dual_add_nc_u32 v6, v13, v6
	s_delay_alu instid0(VALU_DEP_1) | instskip(NEXT) | instid1(VALU_DEP_2)
	v_cmp_eq_u32_e32 vcc_lo, 0, v6
	v_mov_b32_dpp v13, v7 row_shr:2 row_mask:0xf bank_mask:0xf
	s_delay_alu instid0(VALU_DEP_1) | instskip(SKIP_2) | instid1(VALU_DEP_3)
	v_cndmask_b32_e32 v8, 0, v13, vcc_lo
	v_mov_b32_dpp v13, v6 row_shr:2 row_mask:0xf bank_mask:0xf
	v_cmp_lt_u32_e32 vcc_lo, 1, v9
	v_add_nc_u16 v8, v8, v5
	s_delay_alu instid0(VALU_DEP_1) | instskip(NEXT) | instid1(VALU_DEP_4)
	v_and_b32_e32 v14, 0xffff, v8
	v_dual_cndmask_b32 v5, v5, v8 :: v_dual_cndmask_b32 v8, 0, v13
	s_delay_alu instid0(VALU_DEP_1) | instskip(NEXT) | instid1(VALU_DEP_1)
	v_dual_cndmask_b32 v7, v7, v14 :: v_dual_add_nc_u32 v6, v6, v8
	v_mov_b32_dpp v8, v7 row_shr:4 row_mask:0xf bank_mask:0xf
	s_delay_alu instid0(VALU_DEP_2) | instskip(NEXT) | instid1(VALU_DEP_2)
	v_cmp_eq_u32_e32 vcc_lo, 0, v6
	v_cndmask_b32_e32 v8, 0, v8, vcc_lo
	v_cmp_lt_u32_e32 vcc_lo, 3, v9
	s_delay_alu instid0(VALU_DEP_2) | instskip(NEXT) | instid1(VALU_DEP_1)
	v_add_nc_u16 v8, v8, v5
	v_and_b32_e32 v14, 0xffff, v8
	s_delay_alu instid0(VALU_DEP_1) | instskip(SKIP_1) | instid1(VALU_DEP_1)
	v_cndmask_b32_e32 v7, v7, v14, vcc_lo
	v_mov_b32_dpp v13, v6 row_shr:4 row_mask:0xf bank_mask:0xf
	v_dual_cndmask_b32 v5, v5, v8 :: v_dual_cndmask_b32 v8, 0, v13
	s_delay_alu instid0(VALU_DEP_1) | instskip(NEXT) | instid1(VALU_DEP_4)
	v_add_nc_u32_e32 v6, v8, v6
	v_mov_b32_dpp v8, v7 row_shr:8 row_mask:0xf bank_mask:0xf
	s_delay_alu instid0(VALU_DEP_2) | instskip(NEXT) | instid1(VALU_DEP_2)
	v_cmp_eq_u32_e32 vcc_lo, 0, v6
	v_cndmask_b32_e32 v8, 0, v8, vcc_lo
	v_cmp_lt_u32_e32 vcc_lo, 7, v9
	s_delay_alu instid0(VALU_DEP_2) | instskip(NEXT) | instid1(VALU_DEP_1)
	v_add_nc_u16 v8, v8, v5
	v_cndmask_b32_e32 v5, v5, v8, vcc_lo
	v_mov_b32_dpp v13, v6 row_shr:8 row_mask:0xf bank_mask:0xf
	s_delay_alu instid0(VALU_DEP_1) | instskip(NEXT) | instid1(VALU_DEP_1)
	v_dual_cndmask_b32 v9, 0, v13 :: v_dual_and_b32 v8, 0xffff, v8
	v_cndmask_b32_e32 v7, v7, v8, vcc_lo
	v_bfe_i32 v13, v77, 4, 1
	s_delay_alu instid0(VALU_DEP_3)
	v_add_nc_u32_e32 v6, v9, v6
	ds_swizzle_b32 v7, v7 offset:swizzle(BROADCAST,32,15)
	v_and_b32_e32 v9, 16, v77
	ds_swizzle_b32 v8, v6 offset:swizzle(BROADCAST,32,15)
	v_cmp_eq_u32_e64 s14, 0, v6
	v_cmp_ne_u32_e32 vcc_lo, 0, v9
	s_delay_alu instid0(VALU_DEP_2) | instskip(SKIP_3) | instid1(VALU_DEP_1)
	s_and_b32 vcc_lo, vcc_lo, s14
	s_mov_b32 s14, exec_lo
	s_waitcnt lgkmcnt(0)
	v_dual_cndmask_b32 v7, 0, v7 :: v_dual_and_b32 v8, v13, v8
	v_add_nc_u16 v5, v7, v5
	v_lshlrev_b32_e32 v7, 3, v78
	s_delay_alu instid0(VALU_DEP_3)
	v_add_nc_u32_e32 v6, v8, v6
	v_cmpx_eq_u32_e64 v79, v0
	s_cbranch_execz .LBB409_92
; %bb.91:
	ds_store_b32 v7, v6 offset:1040
	ds_store_b16 v7, v5 offset:1044
.LBB409_92:
	s_or_b32 exec_lo, exec_lo, s14
	s_delay_alu instid0(SALU_CYCLE_1)
	s_mov_b32 s15, exec_lo
	s_waitcnt lgkmcnt(0)
	s_barrier
	buffer_gl0_inv
	v_cmpx_gt_u32_e32 8, v0
	s_cbranch_execz .LBB409_94
; %bb.93:
	v_lshlrev_b32_e32 v13, 3, v0
	v_and_b32_e32 v17, 7, v77
	ds_load_b64 v[8:9], v13 offset:1040
	s_waitcnt lgkmcnt(0)
	v_mov_b32_dpp v14, v9 row_shr:1 row_mask:0xf bank_mask:0xf
	v_cmp_eq_u32_e32 vcc_lo, 0, v8
	v_and_b32_e32 v15, 0xffff0000, v9
	v_mov_b32_dpp v18, v8 row_shr:1 row_mask:0xf bank_mask:0xf
	s_delay_alu instid0(VALU_DEP_4) | instskip(SKIP_1) | instid1(VALU_DEP_2)
	v_cndmask_b32_e32 v14, 0, v14, vcc_lo
	v_cmp_eq_u32_e32 vcc_lo, 0, v17
	v_add_nc_u16 v14, v14, v9
	s_delay_alu instid0(VALU_DEP_4) | instskip(NEXT) | instid1(VALU_DEP_2)
	v_cndmask_b32_e64 v18, v18, 0, vcc_lo
	v_and_b32_e32 v16, 0xffff, v14
	s_delay_alu instid0(VALU_DEP_1) | instskip(NEXT) | instid1(VALU_DEP_1)
	v_or_b32_e32 v16, v15, v16
	v_cndmask_b32_e32 v16, v16, v9, vcc_lo
	v_cndmask_b32_e32 v9, v14, v9, vcc_lo
	v_add_nc_u32_e32 v8, v18, v8
	s_delay_alu instid0(VALU_DEP_3) | instskip(NEXT) | instid1(VALU_DEP_2)
	v_mov_b32_dpp v18, v16 row_shr:2 row_mask:0xf bank_mask:0xf
	v_cmp_eq_u32_e32 vcc_lo, 0, v8
	s_delay_alu instid0(VALU_DEP_2) | instskip(SKIP_1) | instid1(VALU_DEP_2)
	v_cndmask_b32_e32 v14, 0, v18, vcc_lo
	v_cmp_lt_u32_e32 vcc_lo, 1, v17
	v_add_nc_u16 v14, v14, v9
	s_delay_alu instid0(VALU_DEP_1) | instskip(SKIP_2) | instid1(VALU_DEP_2)
	v_cndmask_b32_e32 v9, v9, v14, vcc_lo
	v_mov_b32_dpp v18, v8 row_shr:2 row_mask:0xf bank_mask:0xf
	v_and_b32_e32 v19, 0xffff, v14
	v_cndmask_b32_e32 v14, 0, v18, vcc_lo
	s_delay_alu instid0(VALU_DEP_2) | instskip(SKIP_1) | instid1(VALU_DEP_3)
	v_or_b32_e32 v15, v15, v19
	v_cmp_lt_u32_e64 s14, 3, v17
	v_add_nc_u32_e32 v8, v14, v8
	s_delay_alu instid0(VALU_DEP_3) | instskip(NEXT) | instid1(VALU_DEP_2)
	v_cndmask_b32_e32 v14, v16, v15, vcc_lo
	v_cmp_eq_u32_e32 vcc_lo, 0, v8
	v_mov_b32_dpp v15, v8 row_shr:4 row_mask:0xf bank_mask:0xf
	s_delay_alu instid0(VALU_DEP_3) | instskip(SKIP_1) | instid1(VALU_DEP_2)
	v_mov_b32_dpp v14, v14 row_shr:4 row_mask:0xf bank_mask:0xf
	s_and_b32 vcc_lo, s14, vcc_lo
	v_cndmask_b32_e64 v15, 0, v15, s14
	s_delay_alu instid0(VALU_DEP_2) | instskip(NEXT) | instid1(VALU_DEP_2)
	v_cndmask_b32_e32 v14, 0, v14, vcc_lo
	v_add_nc_u32_e32 v8, v15, v8
	s_delay_alu instid0(VALU_DEP_2)
	v_add_nc_u16 v9, v9, v14
	ds_store_b32 v13, v8 offset:1040
	ds_store_b16 v13, v9 offset:1044
.LBB409_94:
	s_or_b32 exec_lo, exec_lo, s15
	v_cmp_gt_u32_e32 vcc_lo, 32, v0
	v_dual_mov_b32 v18, 0 :: v_dual_mov_b32 v17, 0
	s_mov_b32 s15, exec_lo
	s_waitcnt lgkmcnt(0)
	s_barrier
	buffer_gl0_inv
	v_cmpx_lt_u32_e32 31, v0
	s_cbranch_execz .LBB409_96
; %bb.95:
	ds_load_u16 v17, v7 offset:1036
	ds_load_b32 v18, v7 offset:1032
	v_cmp_eq_u32_e64 s14, 0, v6
	s_waitcnt lgkmcnt(1)
	s_delay_alu instid0(VALU_DEP_1) | instskip(SKIP_2) | instid1(VALU_DEP_2)
	v_cndmask_b32_e64 v7, 0, v17, s14
	s_waitcnt lgkmcnt(0)
	v_add_nc_u32_e32 v6, v18, v6
	v_add_nc_u16 v5, v7, v5
.LBB409_96:
	s_or_b32 exec_lo, exec_lo, s15
	v_add_nc_u32_e32 v7, -1, v77
	s_delay_alu instid0(VALU_DEP_2) | instskip(NEXT) | instid1(VALU_DEP_2)
	v_and_b32_e32 v5, 0xffff, v5
	v_cmp_gt_i32_e64 s14, 0, v7
	s_delay_alu instid0(VALU_DEP_1) | instskip(SKIP_1) | instid1(VALU_DEP_2)
	v_cndmask_b32_e64 v7, v7, v77, s14
	v_cmp_eq_u32_e64 s14, 0, v77
	v_lshlrev_b32_e32 v7, 2, v7
	ds_bpermute_b32 v19, v7, v6
	ds_bpermute_b32 v20, v7, v5
	s_and_saveexec_b32 s17, vcc_lo
	s_cbranch_execz .LBB409_119
; %bb.97:
	v_mov_b32_e32 v8, 0
	ds_load_b64 v[5:6], v8 offset:1096
	s_waitcnt lgkmcnt(0)
	v_readfirstlane_b32 s22, v6
	s_and_saveexec_b32 s15, s14
	s_cbranch_execz .LBB409_99
; %bb.98:
	s_add_i32 s24, s40, 32
	s_mov_b32 s25, 0
	v_mov_b32_e32 v7, 1
	s_lshl_b64 s[36:37], s[24:25], 4
	s_mov_b32 s42, s25
	s_add_u32 s36, s20, s36
	s_addc_u32 s37, s21, s37
	s_and_b32 s43, s22, 0xff000000
	s_and_b32 s45, s22, 0xff0000
	s_mov_b32 s44, s25
	v_dual_mov_b32 v13, s36 :: v_dual_mov_b32 v14, s37
	s_or_b64 s[42:43], s[44:45], s[42:43]
	s_and_b32 s45, s22, 0xff00
	s_delay_alu instid0(SALU_CYCLE_1) | instskip(SKIP_1) | instid1(SALU_CYCLE_1)
	s_or_b64 s[42:43], s[42:43], s[44:45]
	s_and_b32 s45, s22, 0xff
	s_or_b64 s[24:25], s[42:43], s[44:45]
	s_delay_alu instid0(SALU_CYCLE_1)
	v_mov_b32_e32 v6, s25
	;;#ASMSTART
	global_store_dwordx4 v[13:14], v[5:8] off	
s_waitcnt vmcnt(0)
	;;#ASMEND
.LBB409_99:
	s_or_b32 exec_lo, exec_lo, s15
	v_xad_u32 v13, v77, -1, s40
	s_mov_b32 s23, 0
	s_mov_b32 s15, exec_lo
	s_delay_alu instid0(VALU_DEP_1) | instskip(NEXT) | instid1(VALU_DEP_1)
	v_add_nc_u32_e32 v7, 32, v13
	v_lshlrev_b64 v[6:7], 4, v[7:8]
	s_delay_alu instid0(VALU_DEP_1) | instskip(NEXT) | instid1(VALU_DEP_2)
	v_add_co_u32 v14, vcc_lo, s20, v6
	v_add_co_ci_u32_e32 v15, vcc_lo, s21, v7, vcc_lo
	;;#ASMSTART
	global_load_dwordx4 v[6:9], v[14:15] off glc	
s_waitcnt vmcnt(0)
	;;#ASMEND
	v_and_b32_e32 v9, 0xffffff, v6
	v_and_b32_e32 v6, 0xff000000, v6
	v_and_b32_e32 v16, 0xff, v7
	v_and_b32_e32 v7, 0xff00, v7
	s_delay_alu instid0(VALU_DEP_3) | instskip(SKIP_1) | instid1(VALU_DEP_3)
	v_or_b32_e32 v6, v9, v6
	v_and_b32_e32 v9, 0xff, v8
	v_or3_b32 v7, 0, v16, v7
	s_delay_alu instid0(VALU_DEP_3) | instskip(NEXT) | instid1(VALU_DEP_3)
	v_or3_b32 v6, v6, 0, 0
	v_cmpx_eq_u16_e32 0, v9
	s_cbranch_execz .LBB409_105
; %bb.100:
	s_mov_b32 s24, 1
	.p2align	6
.LBB409_101:                            ; =>This Loop Header: Depth=1
                                        ;     Child Loop BB409_102 Depth 2
	s_delay_alu instid0(SALU_CYCLE_1)
	s_max_u32 s25, s24, 1
.LBB409_102:                            ;   Parent Loop BB409_101 Depth=1
                                        ; =>  This Inner Loop Header: Depth=2
	s_delay_alu instid0(SALU_CYCLE_1)
	s_add_i32 s25, s25, -1
	s_sleep 1
	s_cmp_eq_u32 s25, 0
	s_cbranch_scc0 .LBB409_102
; %bb.103:                              ;   in Loop: Header=BB409_101 Depth=1
	;;#ASMSTART
	global_load_dwordx4 v[6:9], v[14:15] off glc	
s_waitcnt vmcnt(0)
	;;#ASMEND
	v_and_b32_e32 v9, 0xff, v8
	s_cmp_lt_u32 s24, 32
	s_cselect_b32 s25, -1, 0
	s_delay_alu instid0(SALU_CYCLE_1) | instskip(NEXT) | instid1(VALU_DEP_1)
	s_cmp_lg_u32 s25, 0
	v_cmp_ne_u16_e32 vcc_lo, 0, v9
	s_addc_u32 s24, s24, 0
	s_or_b32 s23, vcc_lo, s23
	s_delay_alu instid0(SALU_CYCLE_1)
	s_and_not1_b32 exec_lo, exec_lo, s23
	s_cbranch_execnz .LBB409_101
; %bb.104:
	s_or_b32 exec_lo, exec_lo, s23
	v_and_b32_e32 v7, 0xffff, v7
.LBB409_105:
	s_or_b32 exec_lo, exec_lo, s15
	v_cmp_ne_u32_e32 vcc_lo, 31, v77
	v_and_b32_e32 v14, 0xff, v8
	v_lshlrev_b32_e64 v22, v77, -1
	v_cmp_eq_u32_e64 s15, 0, v6
	v_add_co_ci_u32_e32 v9, vcc_lo, 0, v77, vcc_lo
	s_delay_alu instid0(VALU_DEP_4) | instskip(NEXT) | instid1(VALU_DEP_4)
	v_cmp_eq_u16_e32 vcc_lo, 2, v14
	v_and_or_b32 v14, vcc_lo, v22, 0x80000000
	v_cmp_gt_u32_e32 vcc_lo, 30, v77
	s_delay_alu instid0(VALU_DEP_2) | instskip(SKIP_1) | instid1(VALU_DEP_2)
	v_ctz_i32_b32_e32 v14, v14
	v_cndmask_b32_e64 v15, 0, 1, vcc_lo
	v_cmp_lt_u32_e32 vcc_lo, v77, v14
	v_lshlrev_b32_e32 v21, 2, v9
	s_delay_alu instid0(VALU_DEP_3)
	v_lshlrev_b32_e32 v15, 1, v15
	ds_bpermute_b32 v16, v21, v6
	v_add_lshl_u32 v23, v15, v77, 2
	s_waitcnt lgkmcnt(0)
	v_cndmask_b32_e32 v16, 0, v16, vcc_lo
	ds_bpermute_b32 v9, v21, v7
	v_add_nc_u32_e32 v6, v16, v6
	ds_bpermute_b32 v26, v23, v6
	s_waitcnt lgkmcnt(1)
	v_cndmask_b32_e64 v9, 0, v9, s15
	s_delay_alu instid0(VALU_DEP_1) | instskip(NEXT) | instid1(VALU_DEP_1)
	v_add_nc_u16 v9, v9, v7
	v_and_b32_e32 v24, 0xffff, v9
	v_cndmask_b32_e32 v9, v7, v9, vcc_lo
	s_delay_alu instid0(VALU_DEP_2)
	v_cndmask_b32_e32 v7, v7, v24, vcc_lo
	v_cmp_eq_u32_e32 vcc_lo, 0, v6
	ds_bpermute_b32 v15, v23, v7
	s_waitcnt lgkmcnt(0)
	v_cndmask_b32_e32 v15, 0, v15, vcc_lo
	v_cmp_gt_u32_e32 vcc_lo, 28, v77
	s_delay_alu instid0(VALU_DEP_2) | instskip(SKIP_1) | instid1(VALU_DEP_2)
	v_add_nc_u16 v15, v15, v9
	v_cndmask_b32_e64 v16, 0, 1, vcc_lo
	v_and_b32_e32 v27, 0xffff, v15
	v_add_nc_u32_e32 v24, 2, v77
	s_delay_alu instid0(VALU_DEP_1) | instskip(NEXT) | instid1(VALU_DEP_4)
	v_cmp_gt_u32_e32 vcc_lo, v24, v14
	v_dual_cndmask_b32 v9, v15, v9 :: v_dual_lshlrev_b32 v16, 2, v16
	s_delay_alu instid0(VALU_DEP_1) | instskip(SKIP_4) | instid1(VALU_DEP_1)
	v_add_lshl_u32 v25, v16, v77, 2
	v_cndmask_b32_e32 v7, v27, v7, vcc_lo
	v_cndmask_b32_e64 v16, v26, 0, vcc_lo
	ds_bpermute_b32 v15, v25, v7
	v_add_nc_u32_e32 v6, v6, v16
	v_cmp_eq_u32_e32 vcc_lo, 0, v6
	s_waitcnt lgkmcnt(0)
	v_cndmask_b32_e32 v15, 0, v15, vcc_lo
	v_cmp_gt_u32_e32 vcc_lo, 24, v77
	ds_bpermute_b32 v28, v25, v6
	v_add_nc_u16 v15, v9, v15
	v_cndmask_b32_e64 v16, 0, 1, vcc_lo
	s_delay_alu instid0(VALU_DEP_2) | instskip(SKIP_1) | instid1(VALU_DEP_1)
	v_and_b32_e32 v29, 0xffff, v15
	v_add_nc_u32_e32 v26, 4, v77
	v_cmp_gt_u32_e32 vcc_lo, v26, v14
	s_delay_alu instid0(VALU_DEP_4) | instskip(NEXT) | instid1(VALU_DEP_1)
	v_dual_cndmask_b32 v9, v15, v9 :: v_dual_lshlrev_b32 v16, 3, v16
	v_add_lshl_u32 v27, v16, v77, 2
	v_cndmask_b32_e32 v7, v29, v7, vcc_lo
	s_waitcnt lgkmcnt(0)
	v_cndmask_b32_e64 v16, v28, 0, vcc_lo
	ds_bpermute_b32 v15, v27, v7
	v_add_nc_u32_e32 v6, v6, v16
	s_delay_alu instid0(VALU_DEP_1)
	v_cmp_eq_u32_e32 vcc_lo, 0, v6
	s_waitcnt lgkmcnt(0)
	v_cndmask_b32_e32 v15, 0, v15, vcc_lo
	ds_bpermute_b32 v16, v27, v6
	v_cmp_gt_u32_e32 vcc_lo, 16, v77
	v_add_nc_u16 v15, v9, v15
	v_cndmask_b32_e64 v28, 0, 1, vcc_lo
	s_delay_alu instid0(VALU_DEP_2) | instskip(SKIP_1) | instid1(VALU_DEP_1)
	v_and_b32_e32 v29, 0xffff, v15
	v_add_nc_u32_e32 v30, 8, v77
	v_cmp_gt_u32_e32 vcc_lo, v30, v14
	s_delay_alu instid0(VALU_DEP_4) | instskip(NEXT) | instid1(VALU_DEP_1)
	v_dual_cndmask_b32 v9, v15, v9 :: v_dual_lshlrev_b32 v28, 4, v28
	v_add_lshl_u32 v31, v28, v77, 2
	v_cndmask_b32_e32 v7, v29, v7, vcc_lo
	s_waitcnt lgkmcnt(0)
	v_cndmask_b32_e64 v15, v16, 0, vcc_lo
	ds_bpermute_b32 v7, v31, v7
	v_add_nc_u32_e32 v6, v6, v15
	ds_bpermute_b32 v15, v31, v6
	v_cmp_eq_u32_e32 vcc_lo, 0, v6
	s_waitcnt lgkmcnt(1)
	v_dual_cndmask_b32 v7, 0, v7 :: v_dual_add_nc_u32 v32, 16, v77
	s_delay_alu instid0(VALU_DEP_1) | instskip(NEXT) | instid1(VALU_DEP_2)
	v_cmp_gt_u32_e32 vcc_lo, v32, v14
	v_cndmask_b32_e64 v7, v7, 0, vcc_lo
	s_waitcnt lgkmcnt(0)
	v_cndmask_b32_e64 v14, v15, 0, vcc_lo
	s_delay_alu instid0(VALU_DEP_2) | instskip(NEXT) | instid1(VALU_DEP_2)
	v_add_nc_u16 v7, v9, v7
	v_add_nc_u32_e32 v6, v14, v6
	v_mov_b32_e32 v14, 0
	s_branch .LBB409_107
.LBB409_106:                            ;   in Loop: Header=BB409_107 Depth=1
	s_or_b32 exec_lo, exec_lo, s15
	ds_bpermute_b32 v9, v21, v7
	v_and_b32_e32 v15, 0xff, v8
	v_cmp_eq_u32_e64 s15, 0, v6
	ds_bpermute_b32 v16, v21, v6
	v_subrev_nc_u32_e32 v13, 32, v13
	v_cmp_eq_u16_e32 vcc_lo, 2, v15
	v_and_or_b32 v15, vcc_lo, v22, 0x80000000
	s_delay_alu instid0(VALU_DEP_1) | instskip(SKIP_2) | instid1(VALU_DEP_2)
	v_ctz_i32_b32_e32 v15, v15
	s_waitcnt lgkmcnt(1)
	v_cndmask_b32_e64 v9, 0, v9, s15
	v_cmp_lt_u32_e32 vcc_lo, v77, v15
	s_delay_alu instid0(VALU_DEP_2) | instskip(SKIP_1) | instid1(VALU_DEP_1)
	v_add_nc_u16 v9, v9, v7
	s_waitcnt lgkmcnt(0)
	v_dual_cndmask_b32 v16, 0, v16 :: v_dual_and_b32 v33, 0xffff, v9
	s_delay_alu instid0(VALU_DEP_1) | instskip(NEXT) | instid1(VALU_DEP_2)
	v_dual_cndmask_b32 v9, v7, v9 :: v_dual_add_nc_u32 v6, v16, v6
	v_cndmask_b32_e32 v7, v7, v33, vcc_lo
	s_delay_alu instid0(VALU_DEP_2)
	v_cmp_eq_u32_e32 vcc_lo, 0, v6
	ds_bpermute_b32 v33, v23, v7
	s_waitcnt lgkmcnt(0)
	v_cndmask_b32_e32 v16, 0, v33, vcc_lo
	ds_bpermute_b32 v33, v23, v6
	v_cmp_gt_u32_e32 vcc_lo, v24, v15
	v_add_nc_u16 v16, v16, v9
	s_delay_alu instid0(VALU_DEP_1) | instskip(NEXT) | instid1(VALU_DEP_1)
	v_dual_cndmask_b32 v9, v16, v9 :: v_dual_and_b32 v34, 0xffff, v16
	v_cndmask_b32_e32 v7, v34, v7, vcc_lo
	ds_bpermute_b32 v16, v25, v7
	s_waitcnt lgkmcnt(1)
	v_cndmask_b32_e64 v33, v33, 0, vcc_lo
	s_delay_alu instid0(VALU_DEP_1) | instskip(NEXT) | instid1(VALU_DEP_1)
	v_add_nc_u32_e32 v6, v6, v33
	v_cmp_eq_u32_e32 vcc_lo, 0, v6
	ds_bpermute_b32 v33, v25, v6
	s_waitcnt lgkmcnt(1)
	v_cndmask_b32_e32 v16, 0, v16, vcc_lo
	v_cmp_gt_u32_e32 vcc_lo, v26, v15
	s_delay_alu instid0(VALU_DEP_2) | instskip(NEXT) | instid1(VALU_DEP_1)
	v_add_nc_u16 v16, v9, v16
	v_dual_cndmask_b32 v9, v16, v9 :: v_dual_and_b32 v34, 0xffff, v16
	s_waitcnt lgkmcnt(0)
	v_cndmask_b32_e64 v33, v33, 0, vcc_lo
	s_delay_alu instid0(VALU_DEP_2) | instskip(NEXT) | instid1(VALU_DEP_2)
	v_cndmask_b32_e32 v7, v34, v7, vcc_lo
	v_add_nc_u32_e32 v6, v6, v33
	ds_bpermute_b32 v16, v27, v7
	v_cmp_eq_u32_e32 vcc_lo, 0, v6
	ds_bpermute_b32 v33, v27, v6
	s_waitcnt lgkmcnt(1)
	v_cndmask_b32_e32 v16, 0, v16, vcc_lo
	v_cmp_gt_u32_e32 vcc_lo, v30, v15
	s_delay_alu instid0(VALU_DEP_2) | instskip(NEXT) | instid1(VALU_DEP_1)
	v_add_nc_u16 v16, v9, v16
	v_dual_cndmask_b32 v9, v16, v9 :: v_dual_and_b32 v34, 0xffff, v16
	s_waitcnt lgkmcnt(0)
	v_cndmask_b32_e64 v16, v33, 0, vcc_lo
	s_delay_alu instid0(VALU_DEP_2) | instskip(NEXT) | instid1(VALU_DEP_2)
	v_cndmask_b32_e32 v7, v34, v7, vcc_lo
	v_add_nc_u32_e32 v6, v6, v16
	ds_bpermute_b32 v7, v31, v7
	ds_bpermute_b32 v16, v31, v6
	v_cmp_eq_u32_e32 vcc_lo, 0, v6
	s_waitcnt lgkmcnt(1)
	v_cndmask_b32_e32 v7, 0, v7, vcc_lo
	v_cmp_gt_u32_e32 vcc_lo, v32, v15
	s_delay_alu instid0(VALU_DEP_2) | instskip(NEXT) | instid1(VALU_DEP_1)
	v_cndmask_b32_e64 v7, v7, 0, vcc_lo
	v_add_nc_u16 v7, v9, v7
	s_waitcnt lgkmcnt(0)
	v_cndmask_b32_e64 v9, v16, 0, vcc_lo
	v_cmp_eq_u32_e32 vcc_lo, 0, v29
	s_delay_alu instid0(VALU_DEP_2) | instskip(SKIP_1) | instid1(VALU_DEP_1)
	v_add3_u32 v6, v6, v29, v9
	v_cndmask_b32_e32 v7, 0, v7, vcc_lo
	v_add_nc_u16 v7, v7, v28
.LBB409_107:                            ; =>This Loop Header: Depth=1
                                        ;     Child Loop BB409_110 Depth 2
                                        ;       Child Loop BB409_111 Depth 3
	s_delay_alu instid0(VALU_DEP_2) | instskip(NEXT) | instid1(VALU_DEP_2)
	v_dual_mov_b32 v29, v6 :: v_dual_and_b32 v8, 0xff, v8
	v_mov_b32_e32 v28, v7
	s_delay_alu instid0(VALU_DEP_2) | instskip(SKIP_2) | instid1(VALU_DEP_1)
	v_cmp_ne_u16_e32 vcc_lo, 2, v8
	v_cndmask_b32_e64 v8, 0, 1, vcc_lo
	;;#ASMSTART
	;;#ASMEND
	v_cmp_ne_u32_e32 vcc_lo, 0, v8
	s_cmp_lg_u32 vcc_lo, exec_lo
	s_cbranch_scc1 .LBB409_114
; %bb.108:                              ;   in Loop: Header=BB409_107 Depth=1
	v_lshlrev_b64 v[6:7], 4, v[13:14]
	s_mov_b32 s15, exec_lo
	s_delay_alu instid0(VALU_DEP_1) | instskip(NEXT) | instid1(VALU_DEP_2)
	v_add_co_u32 v15, vcc_lo, s20, v6
	v_add_co_ci_u32_e32 v16, vcc_lo, s21, v7, vcc_lo
	;;#ASMSTART
	global_load_dwordx4 v[6:9], v[15:16] off glc	
s_waitcnt vmcnt(0)
	;;#ASMEND
	v_and_b32_e32 v9, 0xffffff, v6
	v_and_b32_e32 v6, 0xff000000, v6
	;; [unrolled: 1-line block ×4, first 2 shown]
	s_delay_alu instid0(VALU_DEP_3) | instskip(SKIP_1) | instid1(VALU_DEP_3)
	v_or_b32_e32 v6, v9, v6
	v_and_b32_e32 v9, 0xff, v8
	v_or3_b32 v7, 0, v33, v7
	s_delay_alu instid0(VALU_DEP_3) | instskip(NEXT) | instid1(VALU_DEP_3)
	v_or3_b32 v6, v6, 0, 0
	v_cmpx_eq_u16_e32 0, v9
	s_cbranch_execz .LBB409_106
; %bb.109:                              ;   in Loop: Header=BB409_107 Depth=1
	s_mov_b32 s24, 1
	s_mov_b32 s23, 0
	.p2align	6
.LBB409_110:                            ;   Parent Loop BB409_107 Depth=1
                                        ; =>  This Loop Header: Depth=2
                                        ;       Child Loop BB409_111 Depth 3
	s_max_u32 s25, s24, 1
.LBB409_111:                            ;   Parent Loop BB409_107 Depth=1
                                        ;     Parent Loop BB409_110 Depth=2
                                        ; =>    This Inner Loop Header: Depth=3
	s_delay_alu instid0(SALU_CYCLE_1)
	s_add_i32 s25, s25, -1
	s_sleep 1
	s_cmp_eq_u32 s25, 0
	s_cbranch_scc0 .LBB409_111
; %bb.112:                              ;   in Loop: Header=BB409_110 Depth=2
	;;#ASMSTART
	global_load_dwordx4 v[6:9], v[15:16] off glc	
s_waitcnt vmcnt(0)
	;;#ASMEND
	v_and_b32_e32 v9, 0xff, v8
	s_cmp_lt_u32 s24, 32
	s_cselect_b32 s25, -1, 0
	s_delay_alu instid0(SALU_CYCLE_1) | instskip(NEXT) | instid1(VALU_DEP_1)
	s_cmp_lg_u32 s25, 0
	v_cmp_ne_u16_e32 vcc_lo, 0, v9
	s_addc_u32 s24, s24, 0
	s_or_b32 s23, vcc_lo, s23
	s_delay_alu instid0(SALU_CYCLE_1)
	s_and_not1_b32 exec_lo, exec_lo, s23
	s_cbranch_execnz .LBB409_110
; %bb.113:                              ;   in Loop: Header=BB409_107 Depth=1
	s_or_b32 exec_lo, exec_lo, s23
	v_and_b32_e32 v7, 0xffff, v7
	s_branch .LBB409_106
.LBB409_114:                            ;   in Loop: Header=BB409_107 Depth=1
                                        ; implicit-def: $vgpr7
                                        ; implicit-def: $vgpr6
                                        ; implicit-def: $vgpr8
	s_cbranch_execz .LBB409_107
; %bb.115:
	s_and_saveexec_b32 s15, s14
	s_cbranch_execz .LBB409_117
; %bb.116:
	v_cmp_eq_u32_e32 vcc_lo, 0, v5
	s_mov_b32 s25, 0
	s_add_i32 s24, s40, 32
	v_add_nc_u32_e64 v15, 0x400, 0
	s_lshl_b64 s[24:25], s[24:25], 4
	v_dual_cndmask_b32 v6, 0, v28 :: v_dual_mov_b32 v9, 0
	s_add_u32 s24, s20, s24
	s_addc_u32 s25, s21, s25
	v_mov_b32_e32 v16, s22
	s_delay_alu instid0(VALU_DEP_2) | instskip(SKIP_1) | instid1(VALU_DEP_2)
	v_add_nc_u16 v7, v6, s22
	v_add_nc_u32_e32 v6, v29, v5
	v_dual_mov_b32 v8, 2 :: v_dual_and_b32 v13, 0xff00, v7
	v_and_b32_e32 v7, 0xff, v7
	s_delay_alu instid0(VALU_DEP_1)
	v_or_b32_e32 v7, v13, v7
	v_dual_mov_b32 v13, s24 :: v_dual_mov_b32 v14, s25
	;;#ASMSTART
	global_store_dwordx4 v[13:14], v[6:9] off	
s_waitcnt vmcnt(0)
	;;#ASMEND
	ds_store_2addr_b32 v15, v5, v29 offset1:2
	ds_store_b16 v9, v16 offset:1028
	ds_store_b16 v9, v28 offset:1036
.LBB409_117:
	s_or_b32 exec_lo, exec_lo, s15
	s_delay_alu instid0(SALU_CYCLE_1)
	s_and_b32 exec_lo, exec_lo, s2
	s_cbranch_execz .LBB409_119
; %bb.118:
	v_mov_b32_e32 v5, 0
	ds_store_b32 v5, v29 offset:1096
	ds_store_b16 v5, v28 offset:1100
.LBB409_119:
	s_or_b32 exec_lo, exec_lo, s17
	v_mov_b32_e32 v7, 0
	s_waitcnt lgkmcnt(0)
	s_barrier
	buffer_gl0_inv
	v_cndmask_b32_e64 v8, v19, v18, s14
	ds_load_b64 v[5:6], v7 offset:1096
	v_cndmask_b32_e64 v9, v20, v17, s14
	s_waitcnt lgkmcnt(0)
	s_barrier
	v_cmp_eq_u32_e32 vcc_lo, 0, v8
	v_cndmask_b32_e64 v8, v8, 0, s2
	buffer_gl0_inv
	v_cndmask_b32_e32 v13, 0, v6, vcc_lo
	v_cmp_eq_u32_e32 vcc_lo, 0, v63
	v_add_nc_u32_e32 v41, v5, v8
	s_delay_alu instid0(VALU_DEP_3) | instskip(NEXT) | instid1(VALU_DEP_2)
	v_add_nc_u16 v9, v13, v9
	v_add_nc_u32_e32 v37, v41, v63
	s_delay_alu instid0(VALU_DEP_2) | instskip(NEXT) | instid1(VALU_DEP_2)
	v_cndmask_b32_e64 v9, v9, v6, s2
	v_add_nc_u32_e32 v35, v37, v61
	s_delay_alu instid0(VALU_DEP_2) | instskip(SKIP_1) | instid1(VALU_DEP_3)
	v_cndmask_b32_e32 v6, 0, v9, vcc_lo
	v_and_b32_e32 v42, 0xffff, v9
	v_add_nc_u32_e32 v33, v35, v60
	s_delay_alu instid0(VALU_DEP_3) | instskip(NEXT) | instid1(VALU_DEP_2)
	v_add_nc_u16 v13, v6, v74
	v_add_nc_u32_e32 v21, v33, v59
	s_delay_alu instid0(VALU_DEP_2) | instskip(SKIP_1) | instid1(VALU_DEP_3)
	v_cndmask_b32_e64 v6, 0, v13, s13
	v_and_b32_e32 v38, 0xffff, v13
	v_add_nc_u32_e32 v19, v21, v58
	s_delay_alu instid0(VALU_DEP_3) | instskip(NEXT) | instid1(VALU_DEP_2)
	v_add_nc_u16 v14, v6, v73
	v_add_nc_u32_e32 v17, v19, v57
	s_delay_alu instid0(VALU_DEP_2) | instskip(SKIP_1) | instid1(VALU_DEP_3)
	v_cndmask_b32_e64 v6, 0, v14, s12
	;; [unrolled: 7-line block ×4, first 2 shown]
	v_and_b32_e32 v22, 0xffff, v16
	v_add_nc_u32_e32 v25, v29, v50
	s_delay_alu instid0(VALU_DEP_3) | instskip(NEXT) | instid1(VALU_DEP_2)
	v_add_nc_u16 v18, v6, v72
	v_add_nc_u32_e32 v27, v25, v49
	s_delay_alu instid0(VALU_DEP_2) | instskip(NEXT) | instid1(VALU_DEP_2)
	v_cndmask_b32_e64 v6, 0, v18, s9
	v_add_nc_u32_e32 v23, v27, v48
	s_delay_alu instid0(VALU_DEP_2) | instskip(NEXT) | instid1(VALU_DEP_2)
	v_add_nc_u16 v24, v6, v69
	v_add_nc_u32_e32 v15, v23, v47
	s_delay_alu instid0(VALU_DEP_2) | instskip(NEXT) | instid1(VALU_DEP_1)
	v_cndmask_b32_e64 v5, 0, v24, s8
	v_add_nc_u16 v26, v5, v70
	s_delay_alu instid0(VALU_DEP_1) | instskip(SKIP_1) | instid1(VALU_DEP_2)
	v_cndmask_b32_e64 v5, 0, v26, s7
	v_and_b32_e32 v40, 0xffff, v26
	v_add_nc_u16 v28, v5, v67
	s_delay_alu instid0(VALU_DEP_1) | instskip(SKIP_1) | instid1(VALU_DEP_2)
	v_cndmask_b32_e64 v5, 0, v28, s6
	v_and_b32_e32 v44, 0xffff, v28
	;; [unrolled: 4-line block ×3, first 2 shown]
	v_add_nc_u16 v62, v5, v66
	ds_load_b128 v[5:8], v7 offset:1024
	v_cndmask_b32_e64 v20, 0, v62, s4
	v_and_b32_e32 v30, 0xffff, v62
	s_delay_alu instid0(VALU_DEP_2) | instskip(NEXT) | instid1(VALU_DEP_1)
	v_add_nc_u16 v81, v20, v65
	v_cndmask_b32_e64 v20, 0, v81, s3
	v_and_b32_e32 v26, 0xffff, v81
	s_delay_alu instid0(VALU_DEP_2) | instskip(SKIP_2) | instid1(VALU_DEP_2)
	v_add_nc_u16 v82, v20, v64
	s_waitcnt lgkmcnt(0)
	v_cmp_eq_u32_e32 vcc_lo, 0, v5
	v_cndmask_b32_e64 v20, 0, v82, s1
	v_cndmask_b32_e32 v8, 0, v8, vcc_lo
	v_and_b32_e32 v28, 0xffff, v82
	s_delay_alu instid0(VALU_DEP_3) | instskip(SKIP_3) | instid1(VALU_DEP_4)
	v_add_nc_u16 v9, v20, v46
	v_and_b32_e32 v20, 0xffff, v18
	v_and_b32_e32 v18, 0xffff, v24
	v_add_nc_u32_e32 v62, v8, v6
	v_cndmask_b32_e64 v13, 0, v9, s0
	v_and_b32_e32 v24, 0xffff, v9
	s_delay_alu instid0(VALU_DEP_2) | instskip(NEXT) | instid1(VALU_DEP_1)
	v_add_nc_u16 v13, v13, v45
	v_and_b32_e32 v16, 0xffff, v13
	s_branch .LBB409_132
.LBB409_120:
                                        ; implicit-def: $vgpr5
                                        ; implicit-def: $vgpr62
                                        ; implicit-def: $vgpr41_vgpr42
                                        ; implicit-def: $vgpr37_vgpr38
                                        ; implicit-def: $vgpr35_vgpr36
                                        ; implicit-def: $vgpr33_vgpr34
                                        ; implicit-def: $vgpr21_vgpr22
                                        ; implicit-def: $vgpr19_vgpr20
                                        ; implicit-def: $vgpr17_vgpr18
                                        ; implicit-def: $vgpr39_vgpr40
                                        ; implicit-def: $vgpr43_vgpr44
                                        ; implicit-def: $vgpr31_vgpr32
                                        ; implicit-def: $vgpr29_vgpr30
                                        ; implicit-def: $vgpr25_vgpr26
                                        ; implicit-def: $vgpr27_vgpr28
                                        ; implicit-def: $vgpr23_vgpr24
                                        ; implicit-def: $vgpr15_vgpr16
	s_cbranch_execz .LBB409_132
; %bb.121:
	s_and_b32 s0, s16, exec_lo
	v_mov_b32_e32 v6, v74
	s_cselect_b32 s1, 0, s35
	s_cselect_b32 s0, 0, s34
	s_delay_alu instid0(SALU_CYCLE_1)
	s_cmp_eq_u64 s[0:1], 0
	s_cbranch_scc1 .LBB409_123
; %bb.122:
	v_mov_b32_e32 v5, 0
	global_load_u16 v6, v5, s[0:1]
.LBB409_123:
	v_cmp_eq_u32_e64 s12, 0, v61
	v_cmp_eq_u32_e64 s11, 0, v60
	;; [unrolled: 1-line block ×5, first 2 shown]
	v_cndmask_b32_e64 v5, 0, v74, s12
	v_cmp_eq_u32_e64 s8, 0, v56
	v_cmp_eq_u32_e64 s6, 0, v55
	;; [unrolled: 1-line block ×4, first 2 shown]
	v_add_nc_u16 v5, v5, v73
	v_cmp_eq_u32_e64 s3, 0, v50
	v_cmp_eq_u32_e64 s1, 0, v49
	;; [unrolled: 1-line block ×3, first 2 shown]
	v_cmp_eq_u32_e32 vcc_lo, 0, v47
	v_cndmask_b32_e64 v5, 0, v5, s11
	v_add3_u32 v7, v80, v57, v56
	v_cmp_eq_u32_e64 s13, 0, v54
	v_and_b32_e32 v13, 15, v77
	s_delay_alu instid0(VALU_DEP_4) | instskip(NEXT) | instid1(VALU_DEP_4)
	v_add_nc_u16 v5, v5, v75
	v_add3_u32 v7, v7, v55, v53
	s_delay_alu instid0(VALU_DEP_2) | instskip(NEXT) | instid1(VALU_DEP_2)
	v_cndmask_b32_e64 v5, 0, v5, s10
	v_add3_u32 v7, v7, v51, v50
	s_delay_alu instid0(VALU_DEP_2) | instskip(NEXT) | instid1(VALU_DEP_2)
	v_add_nc_u16 v5, v5, v71
	v_add3_u32 v7, v7, v49, v48
	s_delay_alu instid0(VALU_DEP_2) | instskip(NEXT) | instid1(VALU_DEP_2)
	v_cndmask_b32_e64 v5, 0, v5, s9
	v_add3_u32 v7, v7, v47, v54
	s_delay_alu instid0(VALU_DEP_2) | instskip(NEXT) | instid1(VALU_DEP_2)
	v_add_nc_u16 v5, v5, v72
	v_mov_b32_dpp v14, v7 row_shr:1 row_mask:0xf bank_mask:0xf
	s_delay_alu instid0(VALU_DEP_2) | instskip(NEXT) | instid1(VALU_DEP_1)
	v_cndmask_b32_e64 v5, 0, v5, s7
	v_add_nc_u16 v5, v5, v69
	s_delay_alu instid0(VALU_DEP_1) | instskip(NEXT) | instid1(VALU_DEP_1)
	v_cndmask_b32_e64 v5, 0, v5, s8
	v_add_nc_u16 v5, v5, v70
	s_delay_alu instid0(VALU_DEP_1) | instskip(NEXT) | instid1(VALU_DEP_1)
	;; [unrolled: 3-line block ×8, first 2 shown]
	v_cndmask_b32_e32 v5, 0, v5, vcc_lo
	v_add_nc_u16 v5, v5, v45
	s_delay_alu instid0(VALU_DEP_1) | instskip(SKIP_1) | instid1(VALU_DEP_2)
	v_cndmask_b32_e64 v5, 0, v5, s13
	v_cmp_eq_u32_e64 s13, 0, v7
	v_add_nc_u16 v5, v5, v76
	s_delay_alu instid0(VALU_DEP_1) | instskip(NEXT) | instid1(VALU_DEP_1)
	v_and_b32_e32 v8, 0xffff, v5
	v_mov_b32_dpp v9, v8 row_shr:1 row_mask:0xf bank_mask:0xf
	s_delay_alu instid0(VALU_DEP_1) | instskip(SKIP_1) | instid1(VALU_DEP_2)
	v_cndmask_b32_e64 v9, 0, v9, s13
	v_cmp_eq_u32_e64 s13, 0, v13
	v_add_nc_u16 v9, v9, v5
	s_delay_alu instid0(VALU_DEP_2) | instskip(NEXT) | instid1(VALU_DEP_2)
	v_cndmask_b32_e64 v14, v14, 0, s13
	v_and_b32_e32 v15, 0xffff, v9
	s_delay_alu instid0(VALU_DEP_2) | instskip(SKIP_1) | instid1(VALU_DEP_3)
	v_add_nc_u32_e32 v7, v14, v7
	v_cndmask_b32_e64 v5, v9, v5, s13
	v_cndmask_b32_e64 v8, v15, v8, s13
	s_delay_alu instid0(VALU_DEP_3) | instskip(NEXT) | instid1(VALU_DEP_2)
	v_cmp_eq_u32_e64 s13, 0, v7
	v_mov_b32_dpp v14, v8 row_shr:2 row_mask:0xf bank_mask:0xf
	s_delay_alu instid0(VALU_DEP_1) | instskip(SKIP_2) | instid1(VALU_DEP_3)
	v_cndmask_b32_e64 v9, 0, v14, s13
	v_mov_b32_dpp v14, v7 row_shr:2 row_mask:0xf bank_mask:0xf
	v_cmp_lt_u32_e64 s13, 1, v13
	v_add_nc_u16 v9, v9, v5
	s_delay_alu instid0(VALU_DEP_1) | instskip(NEXT) | instid1(VALU_DEP_3)
	v_and_b32_e32 v15, 0xffff, v9
	v_cndmask_b32_e64 v5, v5, v9, s13
	v_cndmask_b32_e64 v9, 0, v14, s13
	s_delay_alu instid0(VALU_DEP_3) | instskip(NEXT) | instid1(VALU_DEP_2)
	v_cndmask_b32_e64 v8, v8, v15, s13
	v_add_nc_u32_e32 v7, v7, v9
	s_delay_alu instid0(VALU_DEP_2) | instskip(NEXT) | instid1(VALU_DEP_2)
	v_mov_b32_dpp v9, v8 row_shr:4 row_mask:0xf bank_mask:0xf
	v_cmp_eq_u32_e64 s13, 0, v7
	v_mov_b32_dpp v14, v7 row_shr:4 row_mask:0xf bank_mask:0xf
	s_delay_alu instid0(VALU_DEP_2) | instskip(SKIP_1) | instid1(VALU_DEP_2)
	v_cndmask_b32_e64 v9, 0, v9, s13
	v_cmp_lt_u32_e64 s13, 3, v13
	v_add_nc_u16 v9, v9, v5
	s_delay_alu instid0(VALU_DEP_1) | instskip(NEXT) | instid1(VALU_DEP_3)
	v_and_b32_e32 v15, 0xffff, v9
	v_cndmask_b32_e64 v5, v5, v9, s13
	v_cndmask_b32_e64 v9, 0, v14, s13
	s_delay_alu instid0(VALU_DEP_3) | instskip(NEXT) | instid1(VALU_DEP_2)
	v_cndmask_b32_e64 v8, v8, v15, s13
	v_add_nc_u32_e32 v7, v9, v7
	s_delay_alu instid0(VALU_DEP_2) | instskip(NEXT) | instid1(VALU_DEP_2)
	v_mov_b32_dpp v9, v8 row_shr:8 row_mask:0xf bank_mask:0xf
	v_cmp_eq_u32_e64 s13, 0, v7
	v_mov_b32_dpp v14, v7 row_shr:8 row_mask:0xf bank_mask:0xf
	s_delay_alu instid0(VALU_DEP_2) | instskip(SKIP_1) | instid1(VALU_DEP_2)
	v_cndmask_b32_e64 v9, 0, v9, s13
	v_cmp_lt_u32_e64 s13, 7, v13
	v_add_nc_u16 v9, v9, v5
	s_delay_alu instid0(VALU_DEP_1) | instskip(SKIP_3) | instid1(VALU_DEP_3)
	v_cndmask_b32_e64 v13, v5, v9, s13
	v_cndmask_b32_e64 v5, 0, v14, s13
	v_and_b32_e32 v9, 0xffff, v9
	v_bfe_i32 v14, v77, 4, 1
	v_add_nc_u32_e32 v5, v5, v7
	s_delay_alu instid0(VALU_DEP_3)
	v_cndmask_b32_e64 v7, v8, v9, s13
	v_and_b32_e32 v9, 16, v77
	ds_swizzle_b32 v8, v5 offset:swizzle(BROADCAST,32,15)
	ds_swizzle_b32 v7, v7 offset:swizzle(BROADCAST,32,15)
	v_cmp_ne_u32_e64 s13, 0, v9
	v_cmp_eq_u32_e64 s14, 0, v5
	s_delay_alu instid0(VALU_DEP_1)
	s_and_b32 s13, s13, s14
	s_mov_b32 s14, exec_lo
	s_waitcnt lgkmcnt(1)
	v_and_b32_e32 v8, v14, v8
	s_waitcnt lgkmcnt(0)
	v_cndmask_b32_e64 v7, 0, v7, s13
	s_delay_alu instid0(VALU_DEP_2) | instskip(NEXT) | instid1(VALU_DEP_2)
	v_add_nc_u32_e32 v5, v8, v5
	v_add_nc_u16 v7, v7, v13
	v_cmpx_eq_u32_e64 v79, v0
	s_cbranch_execz .LBB409_125
; %bb.124:
	v_lshlrev_b32_e32 v8, 3, v78
	ds_store_b32 v8, v5 offset:1040
	ds_store_b16 v8, v7 offset:1044
.LBB409_125:
	s_or_b32 exec_lo, exec_lo, s14
	s_delay_alu instid0(SALU_CYCLE_1)
	s_mov_b32 s15, exec_lo
	s_waitcnt vmcnt(0) lgkmcnt(0)
	s_barrier
	buffer_gl0_inv
	v_cmpx_gt_u32_e32 8, v0
	s_cbranch_execz .LBB409_127
; %bb.126:
	v_lshlrev_b32_e32 v13, 3, v0
	v_and_b32_e32 v17, 7, v77
	ds_load_b64 v[8:9], v13 offset:1040
	v_cmp_lt_u32_e64 s14, 3, v17
	s_waitcnt lgkmcnt(0)
	v_mov_b32_dpp v14, v9 row_shr:1 row_mask:0xf bank_mask:0xf
	v_cmp_eq_u32_e64 s13, 0, v8
	v_and_b32_e32 v15, 0xffff0000, v9
	v_mov_b32_dpp v18, v8 row_shr:1 row_mask:0xf bank_mask:0xf
	s_delay_alu instid0(VALU_DEP_3) | instskip(SKIP_1) | instid1(VALU_DEP_2)
	v_cndmask_b32_e64 v14, 0, v14, s13
	v_cmp_eq_u32_e64 s13, 0, v17
	v_add_nc_u16 v14, v14, v9
	s_delay_alu instid0(VALU_DEP_2) | instskip(NEXT) | instid1(VALU_DEP_2)
	v_cndmask_b32_e64 v18, v18, 0, s13
	v_and_b32_e32 v16, 0xffff, v14
	s_delay_alu instid0(VALU_DEP_2) | instskip(NEXT) | instid1(VALU_DEP_2)
	v_add_nc_u32_e32 v8, v18, v8
	v_or_b32_e32 v16, v15, v16
	s_delay_alu instid0(VALU_DEP_1) | instskip(SKIP_1) | instid1(VALU_DEP_4)
	v_cndmask_b32_e64 v16, v16, v9, s13
	v_cndmask_b32_e64 v9, v14, v9, s13
	v_cmp_eq_u32_e64 s13, 0, v8
	s_delay_alu instid0(VALU_DEP_3) | instskip(NEXT) | instid1(VALU_DEP_1)
	v_mov_b32_dpp v18, v16 row_shr:2 row_mask:0xf bank_mask:0xf
	v_cndmask_b32_e64 v14, 0, v18, s13
	v_mov_b32_dpp v18, v8 row_shr:2 row_mask:0xf bank_mask:0xf
	v_cmp_lt_u32_e64 s13, 1, v17
	s_delay_alu instid0(VALU_DEP_3) | instskip(NEXT) | instid1(VALU_DEP_1)
	v_add_nc_u16 v14, v14, v9
	v_and_b32_e32 v19, 0xffff, v14
	s_delay_alu instid0(VALU_DEP_3) | instskip(SKIP_1) | instid1(VALU_DEP_3)
	v_cndmask_b32_e64 v9, v9, v14, s13
	v_cndmask_b32_e64 v14, 0, v18, s13
	v_or_b32_e32 v15, v15, v19
	s_delay_alu instid0(VALU_DEP_2) | instskip(NEXT) | instid1(VALU_DEP_2)
	v_add_nc_u32_e32 v8, v14, v8
	v_cndmask_b32_e64 v14, v16, v15, s13
	s_delay_alu instid0(VALU_DEP_2) | instskip(SKIP_1) | instid1(VALU_DEP_3)
	v_cmp_eq_u32_e64 s13, 0, v8
	v_mov_b32_dpp v15, v8 row_shr:4 row_mask:0xf bank_mask:0xf
	v_mov_b32_dpp v14, v14 row_shr:4 row_mask:0xf bank_mask:0xf
	s_delay_alu instid0(VALU_DEP_3) | instskip(NEXT) | instid1(VALU_DEP_2)
	s_and_b32 s13, s14, s13
	v_cndmask_b32_e64 v15, 0, v15, s14
	s_delay_alu instid0(VALU_DEP_2) | instskip(NEXT) | instid1(VALU_DEP_2)
	v_cndmask_b32_e64 v14, 0, v14, s13
	v_add_nc_u32_e32 v8, v15, v8
	s_delay_alu instid0(VALU_DEP_2)
	v_add_nc_u16 v9, v9, v14
	ds_store_b32 v13, v8 offset:1040
	ds_store_b16 v13, v9 offset:1044
.LBB409_127:
	s_or_b32 exec_lo, exec_lo, s15
	v_dual_mov_b32 v8, 0 :: v_dual_mov_b32 v9, 0
	v_mov_b32_e32 v13, v6
	s_mov_b32 s14, exec_lo
	s_waitcnt lgkmcnt(0)
	s_barrier
	buffer_gl0_inv
	v_cmpx_lt_u32_e32 31, v0
	s_cbranch_execz .LBB409_129
; %bb.128:
	v_lshlrev_b32_e32 v13, 3, v78
	ds_load_b32 v9, v13 offset:1032
	ds_load_u16 v13, v13 offset:1036
	s_waitcnt lgkmcnt(1)
	v_cmp_eq_u32_e64 s13, 0, v9
	s_delay_alu instid0(VALU_DEP_1) | instskip(SKIP_1) | instid1(VALU_DEP_1)
	v_cndmask_b32_e64 v14, 0, v6, s13
	s_waitcnt lgkmcnt(0)
	v_add_nc_u16 v13, v14, v13
.LBB409_129:
	s_or_b32 exec_lo, exec_lo, s14
	v_add_nc_u32_e32 v14, -1, v77
	v_cmp_eq_u32_e64 s13, 0, v5
	v_add_nc_u32_e32 v5, v9, v5
	s_delay_alu instid0(VALU_DEP_2) | instskip(NEXT) | instid1(VALU_DEP_4)
	v_cndmask_b32_e64 v15, 0, v13, s13
	v_cmp_gt_i32_e64 s13, 0, v14
	s_delay_alu instid0(VALU_DEP_2) | instskip(NEXT) | instid1(VALU_DEP_2)
	v_add_nc_u16 v7, v15, v7
	v_cndmask_b32_e64 v14, v14, v77, s13
	v_cmp_eq_u32_e64 s13, 0, v77
	s_delay_alu instid0(VALU_DEP_3) | instskip(NEXT) | instid1(VALU_DEP_3)
	v_and_b32_e32 v7, 0xffff, v7
	v_lshlrev_b32_e32 v14, 2, v14
	ds_bpermute_b32 v7, v14, v7
	ds_bpermute_b32 v5, v14, v5
	s_waitcnt lgkmcnt(1)
	v_cndmask_b32_e64 v7, v7, v13, s13
	s_waitcnt lgkmcnt(0)
	v_cndmask_b32_e64 v5, v5, v9, s13
	v_cmp_eq_u32_e64 s13, 0, v63
	s_delay_alu instid0(VALU_DEP_3) | instskip(NEXT) | instid1(VALU_DEP_3)
	v_cndmask_b32_e64 v7, v7, v6, s2
	v_cndmask_b32_e64 v41, v5, 0, s2
	s_delay_alu instid0(VALU_DEP_2) | instskip(NEXT) | instid1(VALU_DEP_2)
	v_cndmask_b32_e64 v9, 0, v7, s13
	v_add_nc_u32_e32 v37, v41, v63
	v_and_b32_e32 v42, 0xffff, v7
	s_delay_alu instid0(VALU_DEP_3) | instskip(NEXT) | instid1(VALU_DEP_3)
	v_add_nc_u16 v9, v9, v74
	v_add_nc_u32_e32 v35, v37, v61
	s_delay_alu instid0(VALU_DEP_2) | instskip(NEXT) | instid1(VALU_DEP_2)
	v_cndmask_b32_e64 v13, 0, v9, s12
	v_add_nc_u32_e32 v33, v35, v60
	v_and_b32_e32 v38, 0xffff, v9
	s_delay_alu instid0(VALU_DEP_3) | instskip(NEXT) | instid1(VALU_DEP_3)
	v_add_nc_u16 v13, v13, v73
	v_add_nc_u32_e32 v21, v33, v59
	s_delay_alu instid0(VALU_DEP_2) | instskip(NEXT) | instid1(VALU_DEP_2)
	v_cndmask_b32_e64 v14, 0, v13, s11
	v_add_nc_u32_e32 v19, v21, v58
	v_and_b32_e32 v36, 0xffff, v13
	s_delay_alu instid0(VALU_DEP_3) | instskip(NEXT) | instid1(VALU_DEP_1)
	v_add_nc_u16 v14, v14, v75
	v_cndmask_b32_e64 v15, 0, v14, s10
	v_and_b32_e32 v34, 0xffff, v14
	s_delay_alu instid0(VALU_DEP_2) | instskip(NEXT) | instid1(VALU_DEP_1)
	v_add_nc_u16 v15, v15, v71
	v_cndmask_b32_e64 v16, 0, v15, s9
	v_and_b32_e32 v22, 0xffff, v15
	s_delay_alu instid0(VALU_DEP_2) | instskip(NEXT) | instid1(VALU_DEP_1)
	v_add_nc_u16 v16, v16, v72
	v_cndmask_b32_e64 v17, 0, v16, s7
	s_delay_alu instid0(VALU_DEP_1) | instskip(NEXT) | instid1(VALU_DEP_1)
	v_add_nc_u16 v18, v17, v69
	v_cndmask_b32_e64 v17, 0, v18, s8
	v_and_b32_e32 v18, 0xffff, v18
	s_delay_alu instid0(VALU_DEP_2) | instskip(SKIP_1) | instid1(VALU_DEP_2)
	v_add_nc_u16 v24, v17, v70
	v_add_nc_u32_e32 v17, v19, v57
	v_cndmask_b32_e64 v5, 0, v24, s6
	s_delay_alu instid0(VALU_DEP_2) | instskip(SKIP_1) | instid1(VALU_DEP_3)
	v_add_nc_u32_e32 v39, v17, v56
	v_and_b32_e32 v40, 0xffff, v24
	v_add_nc_u16 v26, v5, v67
	s_delay_alu instid0(VALU_DEP_3) | instskip(NEXT) | instid1(VALU_DEP_2)
	v_add_nc_u32_e32 v43, v39, v55
	v_cndmask_b32_e64 v5, 0, v26, s5
	s_delay_alu instid0(VALU_DEP_2) | instskip(SKIP_1) | instid1(VALU_DEP_3)
	v_add_nc_u32_e32 v31, v43, v53
	v_and_b32_e32 v44, 0xffff, v26
	v_add_nc_u16 v28, v5, v68
	s_delay_alu instid0(VALU_DEP_3) | instskip(NEXT) | instid1(VALU_DEP_2)
	v_add_nc_u32_e32 v29, v31, v51
	v_cndmask_b32_e64 v5, 0, v28, s4
	s_delay_alu instid0(VALU_DEP_2) | instskip(SKIP_1) | instid1(VALU_DEP_3)
	v_add_nc_u32_e32 v25, v29, v50
	v_and_b32_e32 v32, 0xffff, v28
	v_add_nc_u16 v30, v5, v66
	ds_load_b32 v5, v8 offset:1096
	ds_load_u16 v8, v8 offset:1100
	v_add_nc_u32_e32 v27, v25, v49
	v_cndmask_b32_e64 v20, 0, v30, s3
	v_and_b32_e32 v30, 0xffff, v30
	s_delay_alu instid0(VALU_DEP_3) | instskip(NEXT) | instid1(VALU_DEP_3)
	v_add_nc_u32_e32 v23, v27, v48
	v_add_nc_u16 v62, v20, v65
	s_delay_alu instid0(VALU_DEP_2) | instskip(NEXT) | instid1(VALU_DEP_2)
	v_add_nc_u32_e32 v15, v23, v47
	v_cndmask_b32_e64 v20, 0, v62, s1
	v_and_b32_e32 v26, 0xffff, v62
	s_delay_alu instid0(VALU_DEP_2) | instskip(SKIP_3) | instid1(VALU_DEP_3)
	v_add_nc_u16 v64, v20, v64
	s_waitcnt lgkmcnt(1)
	v_cmp_eq_u32_e64 s1, 0, v5
	v_and_b32_e32 v20, 0xffff, v16
	v_cndmask_b32_e64 v7, 0, v64, s0
	s_delay_alu instid0(VALU_DEP_3) | instskip(SKIP_1) | instid1(VALU_DEP_3)
	v_cndmask_b32_e64 v6, 0, v6, s1
	v_and_b32_e32 v28, 0xffff, v64
	v_add_nc_u16 v7, v7, v46
	s_waitcnt lgkmcnt(0)
	s_delay_alu instid0(VALU_DEP_3) | instskip(NEXT) | instid1(VALU_DEP_2)
	v_add_nc_u16 v62, v6, v8
	v_cndmask_b32_e32 v9, 0, v7, vcc_lo
	v_and_b32_e32 v24, 0xffff, v7
	s_delay_alu instid0(VALU_DEP_2) | instskip(NEXT) | instid1(VALU_DEP_1)
	v_add_nc_u16 v9, v9, v45
	v_and_b32_e32 v16, 0xffff, v9
	s_and_saveexec_b32 s0, s2
	s_cbranch_execz .LBB409_131
; %bb.130:
	v_and_b32_e32 v6, 0xff00, v62
	v_dual_mov_b32 v8, 0 :: v_dual_and_b32 v7, 0xff, v62
	s_add_u32 s4, s20, 0x200
	s_addc_u32 s5, s21, 0
	s_delay_alu instid0(VALU_DEP_1)
	v_or_b32_e32 v6, v6, v7
	v_dual_mov_b32 v7, 2 :: v_dual_mov_b32 v14, s5
	v_mov_b32_e32 v13, s4
	;;#ASMSTART
	global_store_dwordx4 v[13:14], v[5:8] off	
s_waitcnt vmcnt(0)
	;;#ASMEND
.LBB409_131:
	s_or_b32 exec_lo, exec_lo, s0
	v_mov_b32_e32 v7, 0
.LBB409_132:
	v_mov_b32_e32 v13, 0
	s_and_b32 s0, s16, exec_lo
	v_mov_b32_e32 v14, 0
	s_cselect_b32 s1, 0, s39
	s_cselect_b32 s0, 0, s38
	s_delay_alu instid0(SALU_CYCLE_1)
	s_cmp_eq_u64 s[0:1], 0
	s_barrier
	buffer_gl0_inv
	s_cbranch_scc1 .LBB409_134
; %bb.133:
	v_mov_b32_e32 v6, 0
	global_load_b64 v[13:14], v6, s[0:1]
.LBB409_134:
	v_cmp_eq_u32_e32 vcc_lo, 0, v63
	s_waitcnt vmcnt(0)
	v_lshlrev_b64 v[45:46], 1, v[13:14]
	v_cmp_ne_u32_e64 s15, 0, v63
	v_cmp_ne_u32_e64 s14, 0, v61
	;; [unrolled: 1-line block ×3, first 2 shown]
	v_cndmask_b32_e64 v6, 1, 2, vcc_lo
	v_cmp_eq_u32_e32 vcc_lo, 0, v61
	v_cmp_ne_u32_e64 s12, 0, v59
	v_cmp_ne_u32_e64 s11, 0, v58
	;; [unrolled: 1-line block ×4, first 2 shown]
	v_cndmask_b32_e64 v8, 1, 2, vcc_lo
	v_cmp_eq_u32_e32 vcc_lo, 0, v60
	v_cmp_ne_u32_e64 s6, 0, v55
	v_cmp_ne_u32_e64 s9, 0, v53
	;; [unrolled: 1-line block ×3, first 2 shown]
	v_and_b32_e32 v6, v8, v6
	v_cndmask_b32_e64 v9, 1, 2, vcc_lo
	v_cmp_eq_u32_e32 vcc_lo, 0, v59
	v_cmp_ne_u32_e64 s5, 0, v50
	v_cmp_ne_u32_e64 s4, 0, v49
	;; [unrolled: 1-line block ×3, first 2 shown]
	v_and_b32_e32 v6, v6, v9
	v_cndmask_b32_e64 v8, 1, 2, vcc_lo
	v_cmp_eq_u32_e32 vcc_lo, 0, v58
	v_cmp_ne_u32_e64 s1, 0, v47
	v_cmp_ne_u32_e64 s0, 0, v54
	s_mov_b32 s17, -1
	v_and_b32_e32 v6, v6, v8
	v_cndmask_b32_e64 v9, 1, 2, vcc_lo
	v_cmp_eq_u32_e32 vcc_lo, 0, v57
	s_delay_alu instid0(VALU_DEP_2) | instskip(SKIP_2) | instid1(VALU_DEP_2)
	v_and_b32_e32 v6, v6, v9
	v_cndmask_b32_e64 v8, 1, 2, vcc_lo
	v_cmp_eq_u32_e32 vcc_lo, 0, v56
	v_and_b32_e32 v6, v6, v8
	v_cndmask_b32_e64 v9, 1, 2, vcc_lo
	v_cmp_eq_u32_e32 vcc_lo, 0, v55
	s_delay_alu instid0(VALU_DEP_2) | instskip(SKIP_2) | instid1(VALU_DEP_2)
	v_and_b32_e32 v6, v6, v9
	v_cndmask_b32_e64 v64, 1, 2, vcc_lo
	v_cmp_eq_u32_e32 vcc_lo, 0, v53
	;; [unrolled: 7-line block ×4, first 2 shown]
	v_and_b32_e32 v6, v6, v64
	v_cndmask_b32_e64 v65, 1, 2, vcc_lo
	v_mov_b32_e32 v8, 0
	v_cmp_eq_u32_e32 vcc_lo, 0, v47
	s_delay_alu instid0(VALU_DEP_3) | instskip(NEXT) | instid1(VALU_DEP_3)
	v_and_b32_e32 v65, v6, v65
	v_lshlrev_b64 v[8:9], 1, v[7:8]
	v_cndmask_b32_e64 v66, 1, 2, vcc_lo
	v_add_co_u32 v64, vcc_lo, s18, v45
	v_add_co_ci_u32_e32 v67, vcc_lo, s19, v46, vcc_lo
	s_delay_alu instid0(VALU_DEP_3) | instskip(NEXT) | instid1(VALU_DEP_3)
	v_and_b32_e32 v65, v65, v66
	v_add_co_u32 v6, vcc_lo, v64, v8
	s_delay_alu instid0(VALU_DEP_3) | instskip(SKIP_3) | instid1(VALU_DEP_2)
	v_add_co_ci_u32_e32 v64, vcc_lo, v67, v9, vcc_lo
	v_cmp_eq_u32_e32 vcc_lo, 0, v54
	v_cndmask_b32_e64 v66, 1, 2, vcc_lo
	v_cmp_gt_u32_e32 vcc_lo, 0x100, v5
	v_and_b32_e32 v65, v65, v66
	s_delay_alu instid0(VALU_DEP_1)
	v_cmp_gt_i16_e64 s16, 2, v65
	s_cbranch_vccz .LBB409_141
; %bb.135:
	s_delay_alu instid0(VALU_DEP_1)
	s_and_saveexec_b32 s17, s16
	s_cbranch_execz .LBB409_140
; %bb.136:
	s_mov_b32 s18, 0
	s_mov_b32 s16, exec_lo
	v_cmpx_ne_u16_e32 1, v65
	s_xor_b32 s16, exec_lo, s16
	s_cbranch_execnz .LBB409_197
; %bb.137:
	s_and_not1_saveexec_b32 s16, s16
	s_cbranch_execnz .LBB409_213
.LBB409_138:
	s_or_b32 exec_lo, exec_lo, s16
	s_delay_alu instid0(SALU_CYCLE_1)
	s_and_b32 exec_lo, exec_lo, s18
	s_cbranch_execz .LBB409_140
.LBB409_139:
	v_sub_nc_u32_e32 v66, v15, v7
	v_mov_b32_e32 v67, 0
	s_delay_alu instid0(VALU_DEP_1) | instskip(NEXT) | instid1(VALU_DEP_1)
	v_lshlrev_b64 v[66:67], 1, v[66:67]
	v_add_co_u32 v66, vcc_lo, v6, v66
	s_delay_alu instid0(VALU_DEP_2)
	v_add_co_ci_u32_e32 v67, vcc_lo, v64, v67, vcc_lo
	global_store_d16_hi_b16 v[66:67], v12, off
.LBB409_140:
	s_or_b32 exec_lo, exec_lo, s17
	s_mov_b32 s17, 0
.LBB409_141:
	s_delay_alu instid0(SALU_CYCLE_1)
	s_and_b32 vcc_lo, exec_lo, s17
	s_cbranch_vccz .LBB409_163
; %bb.142:
	s_mov_b32 s16, exec_lo
	v_cmpx_gt_i16_e32 2, v65
	s_cbranch_execz .LBB409_147
; %bb.143:
	s_mov_b32 s18, 0
	s_mov_b32 s17, exec_lo
	v_cmpx_ne_u16_e32 1, v65
	s_xor_b32 s17, exec_lo, s17
	s_cbranch_execnz .LBB409_214
; %bb.144:
	s_and_not1_saveexec_b32 s0, s17
	s_cbranch_execnz .LBB409_230
.LBB409_145:
	s_or_b32 exec_lo, exec_lo, s0
	s_delay_alu instid0(SALU_CYCLE_1)
	s_and_b32 exec_lo, exec_lo, s18
	s_cbranch_execz .LBB409_147
.LBB409_146:
	v_sub_nc_u32_e32 v1, v15, v7
	s_delay_alu instid0(VALU_DEP_1)
	v_lshlrev_b32_e32 v1, 1, v1
	ds_store_b16_d16_hi v1, v12
.LBB409_147:
	s_or_b32 exec_lo, exec_lo, s16
	s_delay_alu instid0(SALU_CYCLE_1)
	s_mov_b32 s1, exec_lo
	s_waitcnt lgkmcnt(0)
	s_waitcnt_vscnt null, 0x0
	s_barrier
	buffer_gl0_inv
	v_cmpx_lt_u32_e64 v0, v5
	s_cbranch_execz .LBB409_162
; %bb.148:
	v_xad_u32 v2, v0, -1, v5
	v_mov_b32_e32 v1, v0
	s_mov_b32 s0, -1
	s_mov_b32 s4, exec_lo
	s_delay_alu instid0(VALU_DEP_2)
	v_cmp_gt_u32_e64 s3, 0x1900, v2
	v_cmpx_lt_u32_e32 0x18ff, v2
	s_cbranch_execz .LBB409_159
; %bb.149:
	v_sub_nc_u32_e32 v1, v0, v5
	s_delay_alu instid0(VALU_DEP_1) | instskip(NEXT) | instid1(VALU_DEP_1)
	v_or_b32_e32 v1, 0xff, v1
	v_cmp_ge_u32_e32 vcc_lo, v1, v0
	v_mov_b32_e32 v1, v0
	s_and_saveexec_b32 s5, vcc_lo
	s_cbranch_execz .LBB409_158
; %bb.150:
	v_lshrrev_b32_e32 v4, 8, v2
	v_or_b32_e32 v1, 0x100, v0
	v_mov_b32_e32 v66, 0
	s_delay_alu instid0(VALU_DEP_3) | instskip(NEXT) | instid1(VALU_DEP_1)
	v_add_nc_u32_e32 v2, -1, v4
	v_lshrrev_b32_e32 v3, 1, v2
	v_cmp_lt_u32_e32 vcc_lo, 13, v2
	s_delay_alu instid0(VALU_DEP_2)
	v_dual_mov_b32 v3, v1 :: v_dual_add_nc_u32 v12, 1, v3
	v_mov_b32_e32 v2, v0
	s_and_saveexec_b32 s0, vcc_lo
	s_cbranch_execz .LBB409_154
; %bb.151:
	s_delay_alu instid0(VALU_DEP_2)
	v_dual_mov_b32 v3, v1 :: v_dual_and_b32 v52, -8, v12
	v_mov_b32_e32 v11, 0
	v_dual_mov_b32 v2, v0 :: v_dual_lshlrev_b32 v65, 1, v0
	s_mov_b32 s6, 0
	s_mov_b32 s7, 0
.LBB409_152:                            ; =>This Inner Loop Header: Depth=1
	s_delay_alu instid0(VALU_DEP_1) | instskip(SKIP_2) | instid1(VALU_DEP_3)
	v_dual_mov_b32 v10, v2 :: v_dual_add_nc_u32 v67, 0x200, v3
	v_add_nc_u32_e32 v52, -8, v52
	v_dual_mov_b32 v68, v11 :: v_dual_add_nc_u32 v69, 0x400, v3
	v_lshlrev_b64 v[81:82], 1, v[10:11]
	v_dual_mov_b32 v70, v11 :: v_dual_add_nc_u32 v71, 0x600, v3
	s_delay_alu instid0(VALU_DEP_4) | instskip(NEXT) | instid1(VALU_DEP_4)
	v_cmp_eq_u32_e32 vcc_lo, 0, v52
	v_lshlrev_b64 v[67:68], 1, v[67:68]
	v_dual_mov_b32 v72, v11 :: v_dual_add_nc_u32 v73, 0x800, v3
	s_add_i32 s7, s7, 16
	v_lshlrev_b64 v[69:70], 1, v[69:70]
	s_or_b32 s6, vcc_lo, s6
	v_add_co_u32 v81, vcc_lo, v6, v81
	v_dual_mov_b32 v74, v11 :: v_dual_add_nc_u32 v75, 0xa00, v3
	v_add_co_ci_u32_e32 v82, vcc_lo, v64, v82, vcc_lo
	v_lshlrev_b64 v[71:72], 1, v[71:72]
	v_add_co_u32 v67, vcc_lo, v6, v67
	v_dual_mov_b32 v76, v11 :: v_dual_add_nc_u32 v77, 0xc00, v3
	v_add_co_ci_u32_e32 v68, vcc_lo, v64, v68, vcc_lo
	v_lshlrev_b64 v[73:74], 1, v[73:74]
	;; [unrolled: 4-line block ×3, first 2 shown]
	v_add_co_u32 v71, vcc_lo, v6, v71
	v_mov_b32_e32 v80, v11
	v_mov_b32_e32 v10, v3
	v_add_co_ci_u32_e32 v72, vcc_lo, v64, v72, vcc_lo
	v_lshlrev_b64 v[77:78], 1, v[77:78]
	v_add_co_u32 v73, vcc_lo, v6, v73
	ds_load_u16 v1, v65
	ds_load_u16 v87, v65 offset:512
	ds_load_u16 v88, v65 offset:1024
	;; [unrolled: 1-line block ×7, first 2 shown]
	v_add_co_ci_u32_e32 v74, vcc_lo, v64, v74, vcc_lo
	ds_load_u16 v94, v65 offset:4096
	ds_load_u16 v95, v65 offset:4608
	ds_load_u16 v96, v65 offset:5120
	ds_load_u16 v97, v65 offset:5632
	ds_load_u16 v98, v65 offset:6144
	ds_load_u16 v99, v65 offset:6656
	ds_load_u16 v100, v65 offset:7168
	ds_load_u16 v101, v65 offset:7680
	v_add_nc_u32_e32 v65, 0x2000, v65
	v_lshlrev_b64 v[79:80], 1, v[79:80]
	v_add_co_u32 v75, vcc_lo, v6, v75
	v_lshlrev_b64 v[83:84], 1, v[10:11]
	v_add_nc_u32_e32 v10, 0x200, v2
	v_add_co_ci_u32_e32 v76, vcc_lo, v64, v76, vcc_lo
	v_add_co_u32 v77, vcc_lo, v6, v77
	v_add_co_ci_u32_e32 v78, vcc_lo, v64, v78, vcc_lo
	v_add_co_u32 v79, vcc_lo, v6, v79
	v_lshlrev_b64 v[85:86], 1, v[10:11]
	v_add_nc_u32_e32 v10, 0x400, v2
	v_add_co_ci_u32_e32 v80, vcc_lo, v64, v80, vcc_lo
	v_add_co_u32 v83, vcc_lo, v6, v83
	v_add_co_ci_u32_e32 v84, vcc_lo, v64, v84, vcc_lo
	s_waitcnt lgkmcnt(15)
	global_store_b16 v[81:82], v1, off
	v_lshlrev_b64 v[81:82], 1, v[10:11]
	v_add_nc_u32_e32 v10, 0x600, v2
	v_add_co_u32 v85, vcc_lo, v6, v85
	v_add_co_ci_u32_e32 v86, vcc_lo, v64, v86, vcc_lo
	s_waitcnt lgkmcnt(14)
	global_store_b16 v[83:84], v87, off
	v_lshlrev_b64 v[83:84], 1, v[10:11]
	v_add_nc_u32_e32 v10, 0x800, v2
	s_waitcnt lgkmcnt(13)
	global_store_b16 v[85:86], v88, off
	s_waitcnt lgkmcnt(12)
	global_store_b16 v[67:68], v89, off
	v_add_co_u32 v67, vcc_lo, v6, v81
	v_add_co_ci_u32_e32 v68, vcc_lo, v64, v82, vcc_lo
	v_lshlrev_b64 v[81:82], 1, v[10:11]
	v_add_nc_u32_e32 v10, 0xa00, v2
	v_add_co_u32 v83, vcc_lo, v6, v83
	v_add_co_ci_u32_e32 v84, vcc_lo, v64, v84, vcc_lo
	s_waitcnt lgkmcnt(11)
	global_store_b16 v[67:68], v90, off
	s_waitcnt lgkmcnt(10)
	global_store_b16 v[69:70], v91, off
	v_lshlrev_b64 v[67:68], 1, v[10:11]
	v_add_nc_u32_e32 v10, 0xc00, v2
	v_add_co_u32 v69, vcc_lo, v6, v81
	s_waitcnt lgkmcnt(9)
	global_store_b16 v[83:84], v92, off
	s_waitcnt lgkmcnt(8)
	global_store_b16 v[71:72], v93, off
	v_add_co_ci_u32_e32 v70, vcc_lo, v64, v82, vcc_lo
	v_lshlrev_b64 v[71:72], 1, v[10:11]
	v_add_nc_u32_e32 v10, 0xe00, v2
	v_add_co_u32 v67, vcc_lo, v6, v67
	v_add_co_ci_u32_e32 v68, vcc_lo, v64, v68, vcc_lo
	s_waitcnt lgkmcnt(7)
	global_store_b16 v[69:70], v94, off
	s_waitcnt lgkmcnt(6)
	global_store_b16 v[73:74], v95, off
	v_lshlrev_b64 v[69:70], 1, v[10:11]
	v_dual_mov_b32 v66, s7 :: v_dual_add_nc_u32 v3, 0x1000, v3
	s_waitcnt lgkmcnt(5)
	global_store_b16 v[67:68], v96, off
	v_add_co_u32 v67, vcc_lo, v6, v71
	v_add_nc_u32_e32 v2, 0x1000, v2
	v_add_co_ci_u32_e32 v68, vcc_lo, v64, v72, vcc_lo
	v_add_co_u32 v69, vcc_lo, v6, v69
	v_add_co_ci_u32_e32 v70, vcc_lo, v64, v70, vcc_lo
	s_waitcnt lgkmcnt(4)
	global_store_b16 v[75:76], v97, off
	s_waitcnt lgkmcnt(3)
	global_store_b16 v[67:68], v98, off
	;; [unrolled: 2-line block ×5, first 2 shown]
	s_and_not1_b32 exec_lo, exec_lo, s6
	s_cbranch_execnz .LBB409_152
; %bb.153:
	s_or_b32 exec_lo, exec_lo, s6
.LBB409_154:
	s_delay_alu instid0(SALU_CYCLE_1) | instskip(SKIP_3) | instid1(VALU_DEP_1)
	s_or_b32 exec_lo, exec_lo, s0
	v_and_b32_e32 v1, 7, v12
	s_mov_b32 s7, 0
	s_mov_b32 s6, exec_lo
	v_cmpx_ne_u32_e32 0, v1
	s_cbranch_execz .LBB409_157
; %bb.155:
	v_dual_mov_b32 v11, 0 :: v_dual_lshlrev_b32 v10, 1, v0
	s_delay_alu instid0(VALU_DEP_1)
	v_lshl_or_b32 v12, v66, 9, v10
	s_set_inst_prefetch_distance 0x1
	.p2align	6
.LBB409_156:                            ; =>This Inner Loop Header: Depth=1
	v_dual_mov_b32 v10, v2 :: v_dual_add_nc_u32 v1, -1, v1
	ds_load_u16 v52, v12
	ds_load_u16 v69, v12 offset:512
	v_add_nc_u32_e32 v2, 0x200, v2
	v_add_nc_u32_e32 v12, 0x400, v12
	v_lshlrev_b64 v[65:66], 1, v[10:11]
	v_dual_mov_b32 v10, v3 :: v_dual_add_nc_u32 v3, 0x200, v3
	v_cmp_eq_u32_e32 vcc_lo, 0, v1
	s_delay_alu instid0(VALU_DEP_2) | instskip(NEXT) | instid1(VALU_DEP_4)
	v_lshlrev_b64 v[67:68], 1, v[10:11]
	v_add_co_u32 v65, s0, v6, v65
	s_delay_alu instid0(VALU_DEP_1) | instskip(SKIP_1) | instid1(VALU_DEP_3)
	v_add_co_ci_u32_e64 v66, s0, v64, v66, s0
	s_or_b32 s7, vcc_lo, s7
	v_add_co_u32 v67, s0, v6, v67
	s_delay_alu instid0(VALU_DEP_1)
	v_add_co_ci_u32_e64 v68, s0, v64, v68, s0
	s_waitcnt lgkmcnt(1)
	global_store_b16 v[65:66], v52, off
	s_waitcnt lgkmcnt(0)
	global_store_b16 v[67:68], v69, off
	s_and_not1_b32 exec_lo, exec_lo, s7
	s_cbranch_execnz .LBB409_156
.LBB409_157:
	s_set_inst_prefetch_distance 0x2
	s_or_b32 exec_lo, exec_lo, s6
	v_add_nc_u32_e32 v1, 1, v4
	s_delay_alu instid0(VALU_DEP_1) | instskip(NEXT) | instid1(VALU_DEP_1)
	v_and_b32_e32 v2, 0x1fffffe, v1
	v_cmp_ne_u32_e32 vcc_lo, v1, v2
	v_lshl_or_b32 v1, v2, 8, v0
	s_or_not1_b32 s0, vcc_lo, exec_lo
.LBB409_158:
	s_or_b32 exec_lo, exec_lo, s5
	s_delay_alu instid0(SALU_CYCLE_1) | instskip(SKIP_1) | instid1(SALU_CYCLE_1)
	s_and_not1_b32 s3, s3, exec_lo
	s_and_b32 s0, s0, exec_lo
	s_or_b32 s3, s3, s0
.LBB409_159:
	s_or_b32 exec_lo, exec_lo, s4
	s_delay_alu instid0(VALU_DEP_2) | instid1(SALU_CYCLE_1)
	s_and_b32 exec_lo, exec_lo, s3
	s_cbranch_execz .LBB409_162
; %bb.160:
	v_dual_mov_b32 v2, 0 :: v_dual_lshlrev_b32 v3, 1, v1
	s_mov_b32 s3, 0
	.p2align	6
.LBB409_161:                            ; =>This Inner Loop Header: Depth=1
	ds_load_u16 v4, v3
	v_lshlrev_b64 v[10:11], 1, v[1:2]
	v_add_nc_u32_e32 v1, 0x100, v1
	v_add_nc_u32_e32 v3, 0x200, v3
	s_delay_alu instid0(VALU_DEP_2) | instskip(NEXT) | instid1(VALU_DEP_4)
	v_cmp_ge_u32_e32 vcc_lo, v1, v5
	v_add_co_u32 v10, s0, v6, v10
	s_delay_alu instid0(VALU_DEP_1)
	v_add_co_ci_u32_e64 v11, s0, v64, v11, s0
	s_or_b32 s3, vcc_lo, s3
	s_waitcnt lgkmcnt(0)
	global_store_b16 v[10:11], v4, off
	s_and_not1_b32 exec_lo, exec_lo, s3
	s_cbranch_execnz .LBB409_161
.LBB409_162:
	s_or_b32 exec_lo, exec_lo, s1
.LBB409_163:
	s_cmpk_lg_i32 s27, 0xf00
	v_cndmask_b32_e64 v2, 0, 1, s33
	s_cselect_b32 s0, -1, 0
	v_mad_i32_i24 v6, v0, -15, s27
	s_and_b32 s0, s0, s26
	s_and_b32 s1, s2, s33
	v_cndmask_b32_e64 v1, 0, 1, s0
	s_mul_hi_u32 s0, s27, 0x88888889
	v_sub_nc_u32_e32 v3, v5, v2
	s_lshr_b32 s0, s0, 3
	v_cndmask_b32_e64 v10, v63, 0, s1
	v_cmp_eq_u32_e32 vcc_lo, s0, v0
	v_cmp_ne_u32_e64 s0, 0, v6
	s_mov_b32 s16, -1
	s_waitcnt_vscnt null, 0x0
	s_barrier
	s_and_b32 vcc_lo, vcc_lo, s26
	v_add_nc_u32_e32 v4, v3, v1
	v_cndmask_b32_e64 v3, 1, v10, s0
	v_cmp_ne_u32_e64 s0, 1, v6
	buffer_gl0_inv
	v_cndmask_b32_e32 v64, v10, v3, vcc_lo
	v_cndmask_b32_e64 v11, 1, v61, s0
	v_cmp_ne_u32_e64 s0, 14, v6
	s_delay_alu instid0(VALU_DEP_2) | instskip(NEXT) | instid1(VALU_DEP_2)
	v_cndmask_b32_e32 v61, v61, v11, vcc_lo
	v_cndmask_b32_e64 v12, 1, v54, s0
	v_cmp_ne_u32_e64 s0, 2, v6
	s_delay_alu instid0(VALU_DEP_3) | instskip(NEXT) | instid1(VALU_DEP_2)
	v_cmp_ne_u32_e64 s13, 0, v61
	v_cndmask_b32_e64 v52, 1, v60, s0
	v_cmp_ne_u32_e64 s0, 3, v6
	s_delay_alu instid0(VALU_DEP_1) | instskip(SKIP_1) | instid1(VALU_DEP_2)
	v_cndmask_b32_e64 v63, 1, v59, s0
	v_cmp_ne_u32_e64 s0, 4, v6
	v_dual_cndmask_b32 v54, v54, v12 :: v_dual_cndmask_b32 v59, v59, v63
	s_delay_alu instid0(VALU_DEP_2) | instskip(SKIP_1) | instid1(VALU_DEP_3)
	v_cndmask_b32_e64 v3, 1, v58, s0
	v_cmp_ne_u32_e64 s0, 5, v6
	v_cmp_ne_u32_e64 s11, 0, v59
	s_delay_alu instid0(VALU_DEP_3) | instskip(NEXT) | instid1(VALU_DEP_3)
	v_cndmask_b32_e32 v58, v58, v3, vcc_lo
	v_cndmask_b32_e64 v10, 1, v57, s0
	v_cmp_eq_u32_e64 s0, 0, v64
	s_delay_alu instid0(VALU_DEP_2) | instskip(NEXT) | instid1(VALU_DEP_2)
	v_dual_cndmask_b32 v52, v60, v52 :: v_dual_cndmask_b32 v57, v57, v10
	v_cndmask_b32_e64 v11, 1, 2, s0
	v_cmp_eq_u32_e64 s0, 0, v61
	s_delay_alu instid0(VALU_DEP_3) | instskip(NEXT) | instid1(VALU_DEP_4)
	v_cmp_ne_u32_e64 s12, 0, v52
	v_cmp_ne_u32_e64 s9, 0, v57
	s_delay_alu instid0(VALU_DEP_3) | instskip(SKIP_1) | instid1(VALU_DEP_2)
	v_cndmask_b32_e64 v12, 1, 2, s0
	v_cmp_ne_u32_e64 s0, 6, v6
	v_and_b32_e32 v11, v12, v11
	s_delay_alu instid0(VALU_DEP_2) | instskip(SKIP_1) | instid1(VALU_DEP_1)
	v_cndmask_b32_e64 v60, 1, v56, s0
	v_cmp_eq_u32_e64 s0, 0, v52
	v_cndmask_b32_e64 v12, 1, 2, s0
	v_cmp_ne_u32_e64 s0, 7, v6
	s_delay_alu instid0(VALU_DEP_2) | instskip(NEXT) | instid1(VALU_DEP_2)
	v_and_b32_e32 v11, v11, v12
	v_cndmask_b32_e64 v63, 1, v55, s0
	v_cmp_ne_u32_e64 s0, 8, v6
	v_cndmask_b32_e32 v56, v56, v60, vcc_lo
	v_cmp_ne_u32_e64 s14, 0, v64
	s_delay_alu instid0(VALU_DEP_4) | instskip(NEXT) | instid1(VALU_DEP_4)
	v_cndmask_b32_e32 v55, v55, v63, vcc_lo
	v_cndmask_b32_e64 v65, 1, v53, s0
	v_cmp_eq_u32_e64 s0, 0, v59
	v_cmp_ne_u32_e64 s8, 0, v56
	s_delay_alu instid0(VALU_DEP_4) | instskip(NEXT) | instid1(VALU_DEP_4)
	v_cmp_ne_u32_e64 s7, 0, v55
	v_cndmask_b32_e32 v53, v53, v65, vcc_lo
	s_delay_alu instid0(VALU_DEP_4) | instskip(SKIP_1) | instid1(VALU_DEP_3)
	v_cndmask_b32_e64 v12, 1, 2, s0
	v_cmp_ne_u32_e64 s0, 9, v6
	v_cmp_ne_u32_e64 s6, 0, v53
	s_delay_alu instid0(VALU_DEP_3) | instskip(NEXT) | instid1(VALU_DEP_3)
	v_and_b32_e32 v10, v11, v12
	v_cndmask_b32_e64 v3, 1, v51, s0
	v_cmp_eq_u32_e64 s0, 0, v58
	s_delay_alu instid0(VALU_DEP_2) | instskip(NEXT) | instid1(VALU_DEP_2)
	v_cndmask_b32_e32 v51, v51, v3, vcc_lo
	v_cndmask_b32_e64 v11, 1, 2, s0
	v_cmp_ne_u32_e64 s0, 10, v6
	s_delay_alu instid0(VALU_DEP_3) | instskip(NEXT) | instid1(VALU_DEP_3)
	v_cmp_ne_u32_e64 s5, 0, v51
	v_and_b32_e32 v10, v10, v11
	s_delay_alu instid0(VALU_DEP_3) | instskip(SKIP_1) | instid1(VALU_DEP_2)
	v_cndmask_b32_e64 v12, 1, v50, s0
	v_cmp_ne_u32_e64 s0, 12, v6
	v_cndmask_b32_e32 v50, v50, v12, vcc_lo
	s_delay_alu instid0(VALU_DEP_2) | instskip(SKIP_1) | instid1(VALU_DEP_3)
	v_cndmask_b32_e64 v66, 1, v48, s0
	v_cmp_eq_u32_e64 s0, 0, v57
	v_cmp_ne_u32_e64 s4, 0, v50
	s_delay_alu instid0(VALU_DEP_3) | instskip(NEXT) | instid1(VALU_DEP_3)
	v_cndmask_b32_e32 v48, v48, v66, vcc_lo
	v_cndmask_b32_e64 v11, 1, 2, s0
	v_cmp_ne_u32_e64 s0, 13, v6
	s_delay_alu instid0(VALU_DEP_3) | instskip(NEXT) | instid1(VALU_DEP_3)
	v_cmp_ne_u32_e64 s2, 0, v48
	v_and_b32_e32 v10, v10, v11
	s_delay_alu instid0(VALU_DEP_3) | instskip(SKIP_1) | instid1(VALU_DEP_2)
	v_cndmask_b32_e64 v60, 1, v47, s0
	v_cmp_eq_u32_e64 s0, 0, v56
	v_cndmask_b32_e32 v47, v47, v60, vcc_lo
	s_delay_alu instid0(VALU_DEP_2) | instskip(SKIP_2) | instid1(VALU_DEP_4)
	v_cndmask_b32_e64 v11, 1, 2, s0
	v_cmp_ne_u32_e64 s0, 11, v6
	v_cmp_ne_u32_e64 s10, 0, v58
	;; [unrolled: 1-line block ×3, first 2 shown]
	s_delay_alu instid0(VALU_DEP_4) | instskip(NEXT) | instid1(VALU_DEP_4)
	v_and_b32_e32 v10, v10, v11
	v_cndmask_b32_e64 v6, 1, v49, s0
	v_cmp_eq_u32_e64 s0, 0, v55
	s_delay_alu instid0(VALU_DEP_2) | instskip(NEXT) | instid1(VALU_DEP_2)
	v_cndmask_b32_e32 v49, v49, v6, vcc_lo
	v_cndmask_b32_e64 v11, 1, 2, s0
	v_cmp_eq_u32_e32 vcc_lo, 0, v53
	v_cmp_ne_u32_e64 s0, 0, v54
	s_delay_alu instid0(VALU_DEP_4) | instskip(NEXT) | instid1(VALU_DEP_4)
	v_cmp_ne_u32_e64 s3, 0, v49
	v_and_b32_e32 v3, v10, v11
	v_cndmask_b32_e64 v6, 1, 2, vcc_lo
	v_add_co_u32 v10, vcc_lo, s28, v45
	v_add_co_ci_u32_e32 v11, vcc_lo, s29, v46, vcc_lo
	v_cmp_eq_u32_e32 vcc_lo, 0, v51
	s_delay_alu instid0(VALU_DEP_4)
	v_and_b32_e32 v3, v3, v6
	v_cndmask_b32_e64 v6, 1, 2, vcc_lo
	v_add_co_u32 v10, vcc_lo, v10, v8
	v_add_co_ci_u32_e32 v11, vcc_lo, v11, v9, vcc_lo
	v_lshlrev_b32_e32 v8, 1, v2
	v_cmp_eq_u32_e32 vcc_lo, 0, v50
	v_and_b32_e32 v3, v3, v6
	v_cndmask_b32_e64 v6, 1, 2, vcc_lo
	s_delay_alu instid0(VALU_DEP_4) | instskip(SKIP_2) | instid1(VALU_DEP_4)
	v_add_co_u32 v8, vcc_lo, v8, v10
	v_add_co_ci_u32_e32 v9, vcc_lo, 0, v11, vcc_lo
	v_cmp_eq_u32_e32 vcc_lo, 0, v49
	v_and_b32_e32 v45, v3, v6
	v_add_nc_u32_e32 v3, v7, v2
	v_cndmask_b32_e64 v46, 1, 2, vcc_lo
	v_add_co_u32 v6, vcc_lo, v8, -2
	v_add_co_ci_u32_e32 v12, vcc_lo, -1, v9, vcc_lo
	v_cmp_eq_u32_e32 vcc_lo, 0, v48
	s_delay_alu instid0(VALU_DEP_4) | instskip(SKIP_2) | instid1(VALU_DEP_2)
	v_and_b32_e32 v8, v45, v46
	v_cndmask_b32_e64 v9, 1, 2, vcc_lo
	v_cmp_eq_u32_e32 vcc_lo, 0, v47
	v_and_b32_e32 v8, v8, v9
	v_cndmask_b32_e64 v9, 1, 2, vcc_lo
	v_cmp_eq_u32_e32 vcc_lo, 0, v54
	s_delay_alu instid0(VALU_DEP_2) | instskip(SKIP_2) | instid1(VALU_DEP_2)
	v_and_b32_e32 v8, v8, v9
	v_cndmask_b32_e64 v9, 1, 2, vcc_lo
	v_cmp_gt_u32_e32 vcc_lo, 0x100, v4
	v_and_b32_e32 v8, v8, v9
	s_delay_alu instid0(VALU_DEP_1)
	v_cmp_gt_i16_e64 s15, 2, v8
	s_cbranch_vccnz .LBB409_167
; %bb.164:
	s_and_b32 vcc_lo, exec_lo, s16
	s_cbranch_vccnz .LBB409_173
.LBB409_165:
	v_cmp_eq_u32_e32 vcc_lo, 0xff, v0
	s_and_b32 s0, vcc_lo, s26
	s_delay_alu instid0(SALU_CYCLE_1)
	s_and_saveexec_b32 s1, s0
	s_cbranch_execnz .LBB409_194
.LBB409_166:
	s_nop 0
	s_sendmsg sendmsg(MSG_DEALLOC_VGPRS)
	s_endpgm
.LBB409_167:
	s_delay_alu instid0(VALU_DEP_1)
	s_and_saveexec_b32 s16, s15
	s_cbranch_execz .LBB409_172
; %bb.168:
	s_mov_b32 s17, 0
	s_mov_b32 s15, exec_lo
	v_cmpx_ne_u16_e32 1, v8
	s_xor_b32 s15, exec_lo, s15
	s_cbranch_execnz .LBB409_231
; %bb.169:
	s_and_not1_saveexec_b32 s15, s15
	s_cbranch_execnz .LBB409_247
.LBB409_170:
	s_or_b32 exec_lo, exec_lo, s15
	s_delay_alu instid0(SALU_CYCLE_1)
	s_and_b32 exec_lo, exec_lo, s17
	s_cbranch_execz .LBB409_172
.LBB409_171:
	v_sub_nc_u32_e32 v45, v15, v3
	v_mov_b32_e32 v46, 0
	s_delay_alu instid0(VALU_DEP_1) | instskip(NEXT) | instid1(VALU_DEP_1)
	v_lshlrev_b64 v[45:46], 1, v[45:46]
	v_add_co_u32 v45, vcc_lo, v6, v45
	s_delay_alu instid0(VALU_DEP_2)
	v_add_co_ci_u32_e32 v46, vcc_lo, v12, v46, vcc_lo
	global_store_b16 v[45:46], v16, off
.LBB409_172:
	s_or_b32 exec_lo, exec_lo, s16
	s_branch .LBB409_165
.LBB409_173:
	s_mov_b32 s15, exec_lo
	v_cmpx_gt_i16_e32 2, v8
	s_cbranch_execz .LBB409_178
; %bb.174:
	s_mov_b32 s17, 0
	s_mov_b32 s16, exec_lo
	v_cmpx_ne_u16_e32 1, v8
	s_xor_b32 s16, exec_lo, s16
	s_cbranch_execnz .LBB409_248
; %bb.175:
	s_and_not1_saveexec_b32 s0, s16
	s_cbranch_execnz .LBB409_264
.LBB409_176:
	s_or_b32 exec_lo, exec_lo, s0
	s_delay_alu instid0(SALU_CYCLE_1)
	s_and_b32 exec_lo, exec_lo, s17
	s_cbranch_execz .LBB409_178
.LBB409_177:
	v_sub_nc_u32_e32 v3, v15, v3
	s_delay_alu instid0(VALU_DEP_1)
	v_lshlrev_b32_e32 v3, 1, v3
	ds_store_b16 v3, v16
.LBB409_178:
	s_or_b32 exec_lo, exec_lo, s15
	s_delay_alu instid0(SALU_CYCLE_1)
	s_mov_b32 s1, exec_lo
	s_waitcnt lgkmcnt(0)
	s_waitcnt_vscnt null, 0x0
	s_barrier
	buffer_gl0_inv
	v_cmpx_lt_u32_e64 v0, v4
	s_cbranch_execz .LBB409_193
; %bb.179:
	v_add_nc_u32_e32 v8, v5, v1
	s_mov_b32 s0, -1
	s_mov_b32 s3, exec_lo
	s_delay_alu instid0(VALU_DEP_1) | instskip(NEXT) | instid1(VALU_DEP_1)
	v_xad_u32 v1, v0, -1, v8
	v_sub_nc_u32_e32 v3, v1, v2
	v_mov_b32_e32 v1, v0
	s_delay_alu instid0(VALU_DEP_2)
	v_cmp_gt_u32_e64 s2, 0x1b00, v3
	v_cmpx_lt_u32_e32 0x1aff, v3
	s_cbranch_execz .LBB409_190
; %bb.180:
	v_sub_nc_u32_e32 v1, v0, v8
	s_delay_alu instid0(VALU_DEP_1) | instskip(NEXT) | instid1(VALU_DEP_1)
	v_add_nc_u32_e32 v1, v1, v2
	v_or_b32_e32 v1, 0xff, v1
	s_delay_alu instid0(VALU_DEP_1)
	v_cmp_ge_u32_e32 vcc_lo, v1, v0
	v_mov_b32_e32 v1, v0
	s_and_saveexec_b32 s4, vcc_lo
	s_cbranch_execz .LBB409_189
; %bb.181:
	v_lshrrev_b32_e32 v15, 8, v3
	v_or_b32_e32 v1, 0x100, v0
	v_lshlrev_b32_e32 v16, 1, v0
	s_delay_alu instid0(VALU_DEP_3) | instskip(NEXT) | instid1(VALU_DEP_1)
	v_add_nc_u32_e32 v2, -1, v15
	v_lshrrev_b32_e32 v3, 1, v2
	v_mov_b32_e32 v20, 0
	v_cmp_lt_u32_e32 vcc_lo, 13, v2
	s_delay_alu instid0(VALU_DEP_3)
	v_add_nc_u32_e32 v17, 1, v3
	v_dual_mov_b32 v3, v1 :: v_dual_mov_b32 v2, v0
	s_and_saveexec_b32 s0, vcc_lo
	s_cbranch_execz .LBB409_185
; %bb.182:
	s_delay_alu instid0(VALU_DEP_2)
	v_dual_mov_b32 v9, 0 :: v_dual_and_b32 v18, -8, v17
	v_mov_b32_e32 v19, v16
	v_dual_mov_b32 v3, v1 :: v_dual_mov_b32 v2, v0
	s_mov_b32 s5, 0
	s_mov_b32 s6, 0
.LBB409_183:                            ; =>This Inner Loop Header: Depth=1
	s_delay_alu instid0(VALU_DEP_1) | instskip(SKIP_2) | instid1(VALU_DEP_3)
	v_dual_mov_b32 v8, v2 :: v_dual_add_nc_u32 v21, 0x200, v3
	v_add_nc_u32_e32 v18, -8, v18
	v_dual_mov_b32 v22, v9 :: v_dual_add_nc_u32 v23, 0x400, v3
	v_lshlrev_b64 v[35:36], 1, v[8:9]
	v_dual_mov_b32 v24, v9 :: v_dual_add_nc_u32 v25, 0x600, v3
	s_delay_alu instid0(VALU_DEP_4) | instskip(NEXT) | instid1(VALU_DEP_4)
	v_cmp_eq_u32_e32 vcc_lo, 0, v18
	v_lshlrev_b64 v[21:22], 1, v[21:22]
	v_dual_mov_b32 v26, v9 :: v_dual_add_nc_u32 v27, 0x800, v3
	s_add_i32 s6, s6, 16
	v_lshlrev_b64 v[23:24], 1, v[23:24]
	s_or_b32 s5, vcc_lo, s5
	v_add_co_u32 v35, vcc_lo, v6, v35
	v_dual_mov_b32 v28, v9 :: v_dual_add_nc_u32 v29, 0xa00, v3
	v_add_co_ci_u32_e32 v36, vcc_lo, v12, v36, vcc_lo
	v_lshlrev_b64 v[25:26], 1, v[25:26]
	v_add_co_u32 v21, vcc_lo, v6, v21
	v_dual_mov_b32 v30, v9 :: v_dual_add_nc_u32 v31, 0xc00, v3
	v_add_co_ci_u32_e32 v22, vcc_lo, v12, v22, vcc_lo
	v_lshlrev_b64 v[27:28], 1, v[27:28]
	;; [unrolled: 4-line block ×3, first 2 shown]
	v_add_co_u32 v25, vcc_lo, v6, v25
	v_mov_b32_e32 v34, v9
	v_mov_b32_e32 v8, v3
	v_add_co_ci_u32_e32 v26, vcc_lo, v12, v26, vcc_lo
	v_lshlrev_b64 v[31:32], 1, v[31:32]
	v_add_co_u32 v27, vcc_lo, v6, v27
	ds_load_u16 v1, v19
	ds_load_u16 v41, v19 offset:512
	ds_load_u16 v42, v19 offset:1024
	;; [unrolled: 1-line block ×7, first 2 shown]
	v_add_co_ci_u32_e32 v28, vcc_lo, v12, v28, vcc_lo
	ds_load_u16 v48, v19 offset:4096
	ds_load_u16 v49, v19 offset:4608
	;; [unrolled: 1-line block ×8, first 2 shown]
	v_add_nc_u32_e32 v19, 0x2000, v19
	v_lshlrev_b64 v[33:34], 1, v[33:34]
	v_add_co_u32 v29, vcc_lo, v6, v29
	v_lshlrev_b64 v[37:38], 1, v[8:9]
	v_add_nc_u32_e32 v8, 0x200, v2
	v_add_co_ci_u32_e32 v30, vcc_lo, v12, v30, vcc_lo
	v_add_co_u32 v31, vcc_lo, v6, v31
	v_add_co_ci_u32_e32 v32, vcc_lo, v12, v32, vcc_lo
	v_add_co_u32 v33, vcc_lo, v6, v33
	v_lshlrev_b64 v[39:40], 1, v[8:9]
	v_add_nc_u32_e32 v8, 0x400, v2
	v_add_co_ci_u32_e32 v34, vcc_lo, v12, v34, vcc_lo
	v_add_co_u32 v37, vcc_lo, v6, v37
	v_add_co_ci_u32_e32 v38, vcc_lo, v12, v38, vcc_lo
	s_waitcnt lgkmcnt(15)
	global_store_b16 v[35:36], v1, off
	v_lshlrev_b64 v[35:36], 1, v[8:9]
	v_add_nc_u32_e32 v8, 0x600, v2
	v_add_co_u32 v39, vcc_lo, v6, v39
	v_add_co_ci_u32_e32 v40, vcc_lo, v12, v40, vcc_lo
	s_waitcnt lgkmcnt(14)
	global_store_b16 v[37:38], v41, off
	v_lshlrev_b64 v[37:38], 1, v[8:9]
	v_add_nc_u32_e32 v8, 0x800, v2
	s_waitcnt lgkmcnt(13)
	global_store_b16 v[39:40], v42, off
	s_waitcnt lgkmcnt(12)
	global_store_b16 v[21:22], v43, off
	v_add_co_u32 v21, vcc_lo, v6, v35
	v_add_co_ci_u32_e32 v22, vcc_lo, v12, v36, vcc_lo
	v_lshlrev_b64 v[35:36], 1, v[8:9]
	v_add_nc_u32_e32 v8, 0xa00, v2
	v_add_co_u32 v37, vcc_lo, v6, v37
	v_add_co_ci_u32_e32 v38, vcc_lo, v12, v38, vcc_lo
	s_waitcnt lgkmcnt(11)
	global_store_b16 v[21:22], v44, off
	s_waitcnt lgkmcnt(10)
	global_store_b16 v[23:24], v45, off
	v_lshlrev_b64 v[21:22], 1, v[8:9]
	v_add_nc_u32_e32 v8, 0xc00, v2
	v_add_co_u32 v23, vcc_lo, v6, v35
	s_waitcnt lgkmcnt(9)
	global_store_b16 v[37:38], v46, off
	s_waitcnt lgkmcnt(8)
	global_store_b16 v[25:26], v47, off
	v_add_co_ci_u32_e32 v24, vcc_lo, v12, v36, vcc_lo
	v_lshlrev_b64 v[25:26], 1, v[8:9]
	v_add_nc_u32_e32 v8, 0xe00, v2
	v_add_co_u32 v21, vcc_lo, v6, v21
	v_add_co_ci_u32_e32 v22, vcc_lo, v12, v22, vcc_lo
	s_waitcnt lgkmcnt(7)
	global_store_b16 v[23:24], v48, off
	s_waitcnt lgkmcnt(6)
	global_store_b16 v[27:28], v49, off
	v_lshlrev_b64 v[23:24], 1, v[8:9]
	v_dual_mov_b32 v20, s6 :: v_dual_add_nc_u32 v3, 0x1000, v3
	s_waitcnt lgkmcnt(5)
	global_store_b16 v[21:22], v50, off
	v_add_co_u32 v21, vcc_lo, v6, v25
	v_add_nc_u32_e32 v2, 0x1000, v2
	v_add_co_ci_u32_e32 v22, vcc_lo, v12, v26, vcc_lo
	v_add_co_u32 v23, vcc_lo, v6, v23
	v_add_co_ci_u32_e32 v24, vcc_lo, v12, v24, vcc_lo
	s_waitcnt lgkmcnt(4)
	global_store_b16 v[29:30], v51, off
	s_waitcnt lgkmcnt(3)
	global_store_b16 v[21:22], v52, off
	;; [unrolled: 2-line block ×5, first 2 shown]
	s_and_not1_b32 exec_lo, exec_lo, s5
	s_cbranch_execnz .LBB409_183
; %bb.184:
	s_or_b32 exec_lo, exec_lo, s5
.LBB409_185:
	s_delay_alu instid0(SALU_CYCLE_1) | instskip(SKIP_3) | instid1(VALU_DEP_1)
	s_or_b32 exec_lo, exec_lo, s0
	v_and_b32_e32 v1, 7, v17
	s_mov_b32 s6, 0
	s_mov_b32 s5, exec_lo
	v_cmpx_ne_u32_e32 0, v1
	s_cbranch_execz .LBB409_188
; %bb.186:
	v_lshl_or_b32 v16, v20, 9, v16
	v_mov_b32_e32 v9, 0
	s_set_inst_prefetch_distance 0x1
	.p2align	6
.LBB409_187:                            ; =>This Inner Loop Header: Depth=1
	v_dual_mov_b32 v8, v2 :: v_dual_add_nc_u32 v1, -1, v1
	ds_load_u16 v21, v16
	ds_load_u16 v22, v16 offset:512
	v_add_nc_u32_e32 v2, 0x200, v2
	v_add_nc_u32_e32 v16, 0x400, v16
	v_lshlrev_b64 v[17:18], 1, v[8:9]
	v_dual_mov_b32 v8, v3 :: v_dual_add_nc_u32 v3, 0x200, v3
	v_cmp_eq_u32_e32 vcc_lo, 0, v1
	s_delay_alu instid0(VALU_DEP_2) | instskip(NEXT) | instid1(VALU_DEP_4)
	v_lshlrev_b64 v[19:20], 1, v[8:9]
	v_add_co_u32 v17, s0, v6, v17
	s_delay_alu instid0(VALU_DEP_1) | instskip(SKIP_1) | instid1(VALU_DEP_3)
	v_add_co_ci_u32_e64 v18, s0, v12, v18, s0
	s_or_b32 s6, vcc_lo, s6
	v_add_co_u32 v19, s0, v6, v19
	s_delay_alu instid0(VALU_DEP_1)
	v_add_co_ci_u32_e64 v20, s0, v12, v20, s0
	s_waitcnt lgkmcnt(1)
	global_store_b16 v[17:18], v21, off
	s_waitcnt lgkmcnt(0)
	global_store_b16 v[19:20], v22, off
	s_and_not1_b32 exec_lo, exec_lo, s6
	s_cbranch_execnz .LBB409_187
.LBB409_188:
	s_set_inst_prefetch_distance 0x2
	s_or_b32 exec_lo, exec_lo, s5
	v_add_nc_u32_e32 v1, 1, v15
	s_delay_alu instid0(VALU_DEP_1) | instskip(NEXT) | instid1(VALU_DEP_1)
	v_and_b32_e32 v2, 0x1fffffe, v1
	v_cmp_ne_u32_e32 vcc_lo, v1, v2
	v_lshl_or_b32 v1, v2, 8, v0
	s_or_not1_b32 s0, vcc_lo, exec_lo
.LBB409_189:
	s_or_b32 exec_lo, exec_lo, s4
	s_delay_alu instid0(SALU_CYCLE_1) | instskip(SKIP_1) | instid1(SALU_CYCLE_1)
	s_and_not1_b32 s2, s2, exec_lo
	s_and_b32 s0, s0, exec_lo
	s_or_b32 s2, s2, s0
.LBB409_190:
	s_or_b32 exec_lo, exec_lo, s3
	s_delay_alu instid0(VALU_DEP_2) | instid1(SALU_CYCLE_1)
	s_and_b32 exec_lo, exec_lo, s2
	s_cbranch_execz .LBB409_193
; %bb.191:
	v_dual_mov_b32 v2, 0 :: v_dual_lshlrev_b32 v3, 1, v1
	s_mov_b32 s2, 0
	.p2align	6
.LBB409_192:                            ; =>This Inner Loop Header: Depth=1
	ds_load_u16 v15, v3
	v_lshlrev_b64 v[8:9], 1, v[1:2]
	v_add_nc_u32_e32 v1, 0x100, v1
	v_add_nc_u32_e32 v3, 0x200, v3
	s_delay_alu instid0(VALU_DEP_2) | instskip(NEXT) | instid1(VALU_DEP_4)
	v_cmp_ge_u32_e32 vcc_lo, v1, v4
	v_add_co_u32 v8, s0, v6, v8
	s_delay_alu instid0(VALU_DEP_1)
	v_add_co_ci_u32_e64 v9, s0, v12, v9, s0
	s_or_b32 s2, vcc_lo, s2
	s_waitcnt lgkmcnt(0)
	global_store_b16 v[8:9], v15, off
	s_and_not1_b32 exec_lo, exec_lo, s2
	s_cbranch_execnz .LBB409_192
.LBB409_193:
	s_or_b32 exec_lo, exec_lo, s1
	v_cmp_eq_u32_e32 vcc_lo, 0xff, v0
	s_and_b32 s0, vcc_lo, s26
	s_delay_alu instid0(SALU_CYCLE_1)
	s_and_saveexec_b32 s1, s0
	s_cbranch_execz .LBB409_166
.LBB409_194:
	v_add_co_u32 v0, s0, v5, v7
	s_delay_alu instid0(VALU_DEP_1) | instskip(SKIP_1) | instid1(VALU_DEP_3)
	v_add_co_ci_u32_e64 v1, null, 0, 0, s0
	v_mov_b32_e32 v6, 0
	v_add_co_u32 v0, vcc_lo, v0, v13
	s_delay_alu instid0(VALU_DEP_3)
	v_add_co_ci_u32_e32 v1, vcc_lo, v1, v14, vcc_lo
	s_cmpk_lg_i32 s27, 0xf00
	global_store_b64 v6, v[0:1], s[30:31]
	s_cbranch_scc1 .LBB409_166
; %bb.195:
	v_lshlrev_b64 v[0:1], 1, v[5:6]
	s_delay_alu instid0(VALU_DEP_1) | instskip(NEXT) | instid1(VALU_DEP_2)
	v_add_co_u32 v0, vcc_lo, v10, v0
	v_add_co_ci_u32_e32 v1, vcc_lo, v11, v1, vcc_lo
	global_store_b16 v[0:1], v62, off offset:-2
	s_nop 0
	s_sendmsg sendmsg(MSG_DEALLOC_VGPRS)
	s_endpgm
.LBB409_196:
	s_or_b32 exec_lo, exec_lo, s1
	v_mov_b32_e32 v63, s42
	s_and_saveexec_b32 s1, s41
	s_cbranch_execnz .LBB409_88
	s_branch .LBB409_89
.LBB409_197:
	s_and_saveexec_b32 s18, s15
	s_cbranch_execnz .LBB409_265
; %bb.198:
	s_or_b32 exec_lo, exec_lo, s18
	s_and_saveexec_b32 s18, s14
	s_cbranch_execnz .LBB409_266
.LBB409_199:
	s_or_b32 exec_lo, exec_lo, s18
	s_and_saveexec_b32 s18, s13
	s_cbranch_execnz .LBB409_267
.LBB409_200:
	s_or_b32 exec_lo, exec_lo, s18
	s_and_saveexec_b32 s18, s12
	s_cbranch_execnz .LBB409_268
.LBB409_201:
	s_or_b32 exec_lo, exec_lo, s18
	s_and_saveexec_b32 s18, s11
	s_cbranch_execnz .LBB409_269
.LBB409_202:
	s_or_b32 exec_lo, exec_lo, s18
	s_and_saveexec_b32 s18, s10
	s_cbranch_execnz .LBB409_270
.LBB409_203:
	s_or_b32 exec_lo, exec_lo, s18
	s_and_saveexec_b32 s18, s8
	s_cbranch_execnz .LBB409_271
.LBB409_204:
	s_or_b32 exec_lo, exec_lo, s18
	s_and_saveexec_b32 s18, s6
	s_cbranch_execnz .LBB409_272
.LBB409_205:
	s_or_b32 exec_lo, exec_lo, s18
	s_and_saveexec_b32 s18, s9
	s_cbranch_execnz .LBB409_273
.LBB409_206:
	s_or_b32 exec_lo, exec_lo, s18
	s_and_saveexec_b32 s18, s7
	s_cbranch_execnz .LBB409_274
.LBB409_207:
	s_or_b32 exec_lo, exec_lo, s18
	s_and_saveexec_b32 s18, s5
	s_cbranch_execnz .LBB409_275
.LBB409_208:
	s_or_b32 exec_lo, exec_lo, s18
	s_and_saveexec_b32 s18, s4
	s_cbranch_execnz .LBB409_276
.LBB409_209:
	s_or_b32 exec_lo, exec_lo, s18
	s_and_saveexec_b32 s18, s3
	s_cbranch_execnz .LBB409_277
.LBB409_210:
	s_or_b32 exec_lo, exec_lo, s18
	s_and_saveexec_b32 s18, s1
	s_cbranch_execz .LBB409_212
.LBB409_211:
	v_sub_nc_u32_e32 v66, v23, v7
	v_mov_b32_e32 v67, 0
	s_delay_alu instid0(VALU_DEP_1) | instskip(NEXT) | instid1(VALU_DEP_1)
	v_lshlrev_b64 v[66:67], 1, v[66:67]
	v_add_co_u32 v66, vcc_lo, v6, v66
	s_delay_alu instid0(VALU_DEP_2)
	v_add_co_ci_u32_e32 v67, vcc_lo, v64, v67, vcc_lo
	global_store_b16 v[66:67], v12, off
.LBB409_212:
	s_or_b32 exec_lo, exec_lo, s18
	s_delay_alu instid0(SALU_CYCLE_1)
	s_and_b32 s18, s0, exec_lo
	s_and_not1_saveexec_b32 s16, s16
	s_cbranch_execz .LBB409_138
.LBB409_213:
	v_sub_nc_u32_e32 v66, v41, v7
	v_mov_b32_e32 v67, 0
	s_or_b32 s18, s18, exec_lo
	s_delay_alu instid0(VALU_DEP_1) | instskip(SKIP_1) | instid1(VALU_DEP_1)
	v_lshlrev_b64 v[68:69], 1, v[66:67]
	v_sub_nc_u32_e32 v66, v37, v7
	v_lshlrev_b64 v[70:71], 1, v[66:67]
	v_sub_nc_u32_e32 v66, v35, v7
	s_delay_alu instid0(VALU_DEP_4) | instskip(SKIP_1) | instid1(VALU_DEP_3)
	v_add_co_u32 v68, vcc_lo, v6, v68
	v_add_co_ci_u32_e32 v69, vcc_lo, v64, v69, vcc_lo
	v_lshlrev_b64 v[72:73], 1, v[66:67]
	v_sub_nc_u32_e32 v66, v33, v7
	v_add_co_u32 v70, vcc_lo, v6, v70
	v_add_co_ci_u32_e32 v71, vcc_lo, v64, v71, vcc_lo
	global_store_b16 v[68:69], v52, off
	v_lshlrev_b64 v[68:69], 1, v[66:67]
	v_sub_nc_u32_e32 v66, v21, v7
	global_store_b16 v[70:71], v1, off
	v_add_co_u32 v70, vcc_lo, v6, v72
	v_add_co_ci_u32_e32 v71, vcc_lo, v64, v73, vcc_lo
	v_lshlrev_b64 v[72:73], 1, v[66:67]
	v_sub_nc_u32_e32 v66, v19, v7
	v_add_co_u32 v68, vcc_lo, v6, v68
	v_add_co_ci_u32_e32 v69, vcc_lo, v64, v69, vcc_lo
	s_delay_alu instid0(VALU_DEP_3) | instskip(SKIP_3) | instid1(VALU_DEP_3)
	v_lshlrev_b64 v[74:75], 1, v[66:67]
	v_sub_nc_u32_e32 v66, v17, v7
	v_add_co_u32 v72, vcc_lo, v6, v72
	v_add_co_ci_u32_e32 v73, vcc_lo, v64, v73, vcc_lo
	v_lshlrev_b64 v[76:77], 1, v[66:67]
	v_sub_nc_u32_e32 v66, v39, v7
	v_add_co_u32 v74, vcc_lo, v6, v74
	v_add_co_ci_u32_e32 v75, vcc_lo, v64, v75, vcc_lo
	s_clause 0x3
	global_store_d16_hi_b16 v[70:71], v1, off
	global_store_b16 v[68:69], v2, off
	global_store_d16_hi_b16 v[72:73], v2, off
	global_store_b16 v[74:75], v3, off
	v_lshlrev_b64 v[68:69], 1, v[66:67]
	v_sub_nc_u32_e32 v66, v43, v7
	v_add_co_u32 v70, vcc_lo, v6, v76
	v_add_co_ci_u32_e32 v71, vcc_lo, v64, v77, vcc_lo
	s_delay_alu instid0(VALU_DEP_3) | instskip(SKIP_3) | instid1(VALU_DEP_3)
	v_lshlrev_b64 v[72:73], 1, v[66:67]
	v_sub_nc_u32_e32 v66, v31, v7
	v_add_co_u32 v68, vcc_lo, v6, v68
	v_add_co_ci_u32_e32 v69, vcc_lo, v64, v69, vcc_lo
	v_lshlrev_b64 v[74:75], 1, v[66:67]
	v_sub_nc_u32_e32 v66, v29, v7
	v_add_co_u32 v72, vcc_lo, v6, v72
	v_add_co_ci_u32_e32 v73, vcc_lo, v64, v73, vcc_lo
	s_delay_alu instid0(VALU_DEP_3)
	v_lshlrev_b64 v[76:77], 1, v[66:67]
	v_sub_nc_u32_e32 v66, v25, v7
	v_add_co_u32 v74, vcc_lo, v6, v74
	v_add_co_ci_u32_e32 v75, vcc_lo, v64, v75, vcc_lo
	s_clause 0x3
	global_store_d16_hi_b16 v[70:71], v3, off
	global_store_b16 v[68:69], v4, off
	global_store_d16_hi_b16 v[72:73], v4, off
	global_store_b16 v[74:75], v10, off
	v_lshlrev_b64 v[68:69], 1, v[66:67]
	v_sub_nc_u32_e32 v66, v27, v7
	v_add_co_u32 v70, vcc_lo, v6, v76
	v_add_co_ci_u32_e32 v71, vcc_lo, v64, v77, vcc_lo
	s_delay_alu instid0(VALU_DEP_3) | instskip(SKIP_3) | instid1(VALU_DEP_3)
	v_lshlrev_b64 v[72:73], 1, v[66:67]
	v_sub_nc_u32_e32 v66, v23, v7
	v_add_co_u32 v68, vcc_lo, v6, v68
	v_add_co_ci_u32_e32 v69, vcc_lo, v64, v69, vcc_lo
	v_lshlrev_b64 v[66:67], 1, v[66:67]
	v_add_co_u32 v72, vcc_lo, v6, v72
	v_add_co_ci_u32_e32 v73, vcc_lo, v64, v73, vcc_lo
	s_clause 0x2
	global_store_d16_hi_b16 v[70:71], v10, off
	global_store_b16 v[68:69], v11, off
	global_store_d16_hi_b16 v[72:73], v11, off
	v_add_co_u32 v66, vcc_lo, v6, v66
	v_add_co_ci_u32_e32 v67, vcc_lo, v64, v67, vcc_lo
	global_store_b16 v[66:67], v12, off
	s_or_b32 exec_lo, exec_lo, s16
	s_delay_alu instid0(SALU_CYCLE_1)
	s_and_b32 exec_lo, exec_lo, s18
	s_cbranch_execnz .LBB409_139
	s_branch .LBB409_140
.LBB409_214:
	s_and_saveexec_b32 s18, s15
	s_cbranch_execnz .LBB409_278
; %bb.215:
	s_or_b32 exec_lo, exec_lo, s18
	s_and_saveexec_b32 s15, s14
	s_cbranch_execnz .LBB409_279
.LBB409_216:
	s_or_b32 exec_lo, exec_lo, s15
	s_and_saveexec_b32 s14, s13
	s_cbranch_execnz .LBB409_280
.LBB409_217:
	s_or_b32 exec_lo, exec_lo, s14
	s_and_saveexec_b32 s13, s12
	s_cbranch_execnz .LBB409_281
.LBB409_218:
	s_or_b32 exec_lo, exec_lo, s13
	s_and_saveexec_b32 s12, s11
	s_cbranch_execnz .LBB409_282
.LBB409_219:
	s_or_b32 exec_lo, exec_lo, s12
	s_and_saveexec_b32 s11, s10
	s_cbranch_execnz .LBB409_283
.LBB409_220:
	s_or_b32 exec_lo, exec_lo, s11
	s_and_saveexec_b32 s10, s8
	s_cbranch_execnz .LBB409_284
.LBB409_221:
	s_or_b32 exec_lo, exec_lo, s10
	s_and_saveexec_b32 s8, s6
	s_cbranch_execnz .LBB409_285
.LBB409_222:
	s_or_b32 exec_lo, exec_lo, s8
	s_and_saveexec_b32 s6, s9
	s_cbranch_execnz .LBB409_286
.LBB409_223:
	s_or_b32 exec_lo, exec_lo, s6
	s_and_saveexec_b32 s6, s7
	s_cbranch_execnz .LBB409_287
.LBB409_224:
	s_or_b32 exec_lo, exec_lo, s6
	s_and_saveexec_b32 s6, s5
	s_cbranch_execnz .LBB409_288
.LBB409_225:
	s_or_b32 exec_lo, exec_lo, s6
	s_and_saveexec_b32 s5, s4
	s_cbranch_execnz .LBB409_289
.LBB409_226:
	s_or_b32 exec_lo, exec_lo, s5
	s_and_saveexec_b32 s4, s3
	s_cbranch_execnz .LBB409_290
.LBB409_227:
	s_or_b32 exec_lo, exec_lo, s4
	s_and_saveexec_b32 s3, s1
	s_cbranch_execz .LBB409_229
.LBB409_228:
	v_sub_nc_u32_e32 v1, v23, v7
	s_delay_alu instid0(VALU_DEP_1)
	v_lshlrev_b32_e32 v1, 1, v1
	ds_store_b16 v1, v12
.LBB409_229:
	s_or_b32 exec_lo, exec_lo, s3
	s_delay_alu instid0(SALU_CYCLE_1)
	s_and_b32 s18, s0, exec_lo
                                        ; implicit-def: $vgpr52
                                        ; implicit-def: $vgpr1
	s_and_not1_saveexec_b32 s0, s17
	s_cbranch_execz .LBB409_145
.LBB409_230:
	v_sub_nc_u32_e32 v65, v41, v7
	v_sub_nc_u32_e32 v66, v37, v7
	;; [unrolled: 1-line block ×4, first 2 shown]
	s_or_b32 s18, s18, exec_lo
	v_lshlrev_b32_e32 v65, 1, v65
	v_lshlrev_b32_e32 v66, 1, v66
	;; [unrolled: 1-line block ×4, first 2 shown]
	ds_store_b16 v65, v52
	ds_store_b16 v66, v1
	ds_store_b16_d16_hi v67, v1
	v_sub_nc_u32_e32 v1, v21, v7
	v_sub_nc_u32_e32 v52, v19, v7
	;; [unrolled: 1-line block ×5, first 2 shown]
	v_lshlrev_b32_e32 v1, 1, v1
	ds_store_b16 v68, v2
	v_lshlrev_b32_e32 v52, 1, v52
	v_lshlrev_b32_e32 v65, 1, v65
	;; [unrolled: 1-line block ×3, first 2 shown]
	ds_store_b16_d16_hi v1, v2
	v_lshlrev_b32_e32 v1, 1, v67
	v_sub_nc_u32_e32 v2, v31, v7
	ds_store_b16 v52, v3
	ds_store_b16_d16_hi v65, v3
	ds_store_b16 v66, v4
	v_sub_nc_u32_e32 v52, v23, v7
	v_sub_nc_u32_e32 v3, v25, v7
	ds_store_b16_d16_hi v1, v4
	v_sub_nc_u32_e32 v1, v29, v7
	v_lshlrev_b32_e32 v2, 1, v2
	v_sub_nc_u32_e32 v4, v27, v7
	v_lshlrev_b32_e32 v3, 1, v3
	s_delay_alu instid0(VALU_DEP_4)
	v_lshlrev_b32_e32 v1, 1, v1
	ds_store_b16 v2, v10
	v_lshlrev_b32_e32 v2, 1, v52
	v_lshlrev_b32_e32 v4, 1, v4
	ds_store_b16_d16_hi v1, v10
	ds_store_b16 v3, v11
	ds_store_b16_d16_hi v4, v11
	ds_store_b16 v2, v12
	s_or_b32 exec_lo, exec_lo, s0
	s_delay_alu instid0(SALU_CYCLE_1)
	s_and_b32 exec_lo, exec_lo, s18
	s_cbranch_execnz .LBB409_146
	s_branch .LBB409_147
.LBB409_231:
	s_and_saveexec_b32 s17, s14
	s_cbranch_execnz .LBB409_291
; %bb.232:
	s_or_b32 exec_lo, exec_lo, s17
	s_and_saveexec_b32 s17, s13
	s_cbranch_execnz .LBB409_292
.LBB409_233:
	s_or_b32 exec_lo, exec_lo, s17
	s_and_saveexec_b32 s17, s12
	s_cbranch_execnz .LBB409_293
.LBB409_234:
	s_or_b32 exec_lo, exec_lo, s17
	s_and_saveexec_b32 s17, s11
	s_cbranch_execnz .LBB409_294
.LBB409_235:
	s_or_b32 exec_lo, exec_lo, s17
	s_and_saveexec_b32 s17, s10
	s_cbranch_execnz .LBB409_295
.LBB409_236:
	s_or_b32 exec_lo, exec_lo, s17
	s_and_saveexec_b32 s17, s9
	s_cbranch_execnz .LBB409_296
.LBB409_237:
	s_or_b32 exec_lo, exec_lo, s17
	s_and_saveexec_b32 s17, s8
	s_cbranch_execnz .LBB409_297
.LBB409_238:
	s_or_b32 exec_lo, exec_lo, s17
	s_and_saveexec_b32 s17, s7
	s_cbranch_execnz .LBB409_298
.LBB409_239:
	s_or_b32 exec_lo, exec_lo, s17
	s_and_saveexec_b32 s17, s6
	s_cbranch_execnz .LBB409_299
.LBB409_240:
	s_or_b32 exec_lo, exec_lo, s17
	s_and_saveexec_b32 s17, s5
	s_cbranch_execnz .LBB409_300
.LBB409_241:
	s_or_b32 exec_lo, exec_lo, s17
	s_and_saveexec_b32 s17, s4
	s_cbranch_execnz .LBB409_301
.LBB409_242:
	s_or_b32 exec_lo, exec_lo, s17
	s_and_saveexec_b32 s17, s3
	s_cbranch_execnz .LBB409_302
.LBB409_243:
	s_or_b32 exec_lo, exec_lo, s17
	s_and_saveexec_b32 s17, s2
	s_cbranch_execnz .LBB409_303
.LBB409_244:
	s_or_b32 exec_lo, exec_lo, s17
	s_and_saveexec_b32 s17, s1
	s_cbranch_execz .LBB409_246
.LBB409_245:
	v_sub_nc_u32_e32 v45, v23, v3
	v_mov_b32_e32 v46, 0
	s_delay_alu instid0(VALU_DEP_1) | instskip(NEXT) | instid1(VALU_DEP_1)
	v_lshlrev_b64 v[45:46], 1, v[45:46]
	v_add_co_u32 v45, vcc_lo, v6, v45
	s_delay_alu instid0(VALU_DEP_2)
	v_add_co_ci_u32_e32 v46, vcc_lo, v12, v46, vcc_lo
	global_store_b16 v[45:46], v24, off
.LBB409_246:
	s_or_b32 exec_lo, exec_lo, s17
	s_delay_alu instid0(SALU_CYCLE_1)
	s_and_b32 s17, s0, exec_lo
	s_and_not1_saveexec_b32 s15, s15
	s_cbranch_execz .LBB409_170
.LBB409_247:
	v_sub_nc_u32_e32 v45, v41, v3
	v_mov_b32_e32 v46, 0
	s_or_b32 s17, s17, exec_lo
	s_delay_alu instid0(VALU_DEP_1) | instskip(SKIP_1) | instid1(VALU_DEP_1)
	v_lshlrev_b64 v[47:48], 1, v[45:46]
	v_sub_nc_u32_e32 v45, v37, v3
	v_lshlrev_b64 v[49:50], 1, v[45:46]
	v_sub_nc_u32_e32 v45, v35, v3
	s_delay_alu instid0(VALU_DEP_4) | instskip(SKIP_1) | instid1(VALU_DEP_3)
	v_add_co_u32 v47, vcc_lo, v6, v47
	v_add_co_ci_u32_e32 v48, vcc_lo, v12, v48, vcc_lo
	v_lshlrev_b64 v[51:52], 1, v[45:46]
	v_sub_nc_u32_e32 v45, v33, v3
	v_add_co_u32 v49, vcc_lo, v6, v49
	v_add_co_ci_u32_e32 v50, vcc_lo, v12, v50, vcc_lo
	global_store_b16 v[47:48], v42, off
	v_lshlrev_b64 v[47:48], 1, v[45:46]
	v_sub_nc_u32_e32 v45, v21, v3
	global_store_b16 v[49:50], v38, off
	v_add_co_u32 v49, vcc_lo, v6, v51
	v_add_co_ci_u32_e32 v50, vcc_lo, v12, v52, vcc_lo
	v_lshlrev_b64 v[51:52], 1, v[45:46]
	v_sub_nc_u32_e32 v45, v19, v3
	v_add_co_u32 v47, vcc_lo, v6, v47
	v_add_co_ci_u32_e32 v48, vcc_lo, v12, v48, vcc_lo
	s_delay_alu instid0(VALU_DEP_3) | instskip(SKIP_3) | instid1(VALU_DEP_3)
	v_lshlrev_b64 v[53:54], 1, v[45:46]
	v_sub_nc_u32_e32 v45, v17, v3
	v_add_co_u32 v51, vcc_lo, v6, v51
	v_add_co_ci_u32_e32 v52, vcc_lo, v12, v52, vcc_lo
	v_lshlrev_b64 v[55:56], 1, v[45:46]
	v_sub_nc_u32_e32 v45, v39, v3
	v_add_co_u32 v53, vcc_lo, v6, v53
	v_add_co_ci_u32_e32 v54, vcc_lo, v12, v54, vcc_lo
	s_clause 0x3
	global_store_b16 v[49:50], v36, off
	global_store_b16 v[47:48], v34, off
	;; [unrolled: 1-line block ×4, first 2 shown]
	v_lshlrev_b64 v[47:48], 1, v[45:46]
	v_sub_nc_u32_e32 v45, v43, v3
	v_add_co_u32 v49, vcc_lo, v6, v55
	v_add_co_ci_u32_e32 v50, vcc_lo, v12, v56, vcc_lo
	s_delay_alu instid0(VALU_DEP_3) | instskip(SKIP_3) | instid1(VALU_DEP_3)
	v_lshlrev_b64 v[51:52], 1, v[45:46]
	v_sub_nc_u32_e32 v45, v31, v3
	v_add_co_u32 v47, vcc_lo, v6, v47
	v_add_co_ci_u32_e32 v48, vcc_lo, v12, v48, vcc_lo
	v_lshlrev_b64 v[53:54], 1, v[45:46]
	v_sub_nc_u32_e32 v45, v29, v3
	v_add_co_u32 v51, vcc_lo, v6, v51
	v_add_co_ci_u32_e32 v52, vcc_lo, v12, v52, vcc_lo
	s_delay_alu instid0(VALU_DEP_3)
	v_lshlrev_b64 v[55:56], 1, v[45:46]
	v_sub_nc_u32_e32 v45, v25, v3
	v_add_co_u32 v53, vcc_lo, v6, v53
	v_add_co_ci_u32_e32 v54, vcc_lo, v12, v54, vcc_lo
	s_clause 0x3
	global_store_b16 v[49:50], v18, off
	global_store_b16 v[47:48], v40, off
	;; [unrolled: 1-line block ×4, first 2 shown]
	v_lshlrev_b64 v[47:48], 1, v[45:46]
	v_sub_nc_u32_e32 v45, v27, v3
	v_add_co_u32 v49, vcc_lo, v6, v55
	v_add_co_ci_u32_e32 v50, vcc_lo, v12, v56, vcc_lo
	s_delay_alu instid0(VALU_DEP_3) | instskip(SKIP_3) | instid1(VALU_DEP_3)
	v_lshlrev_b64 v[51:52], 1, v[45:46]
	v_sub_nc_u32_e32 v45, v23, v3
	v_add_co_u32 v47, vcc_lo, v6, v47
	v_add_co_ci_u32_e32 v48, vcc_lo, v12, v48, vcc_lo
	v_lshlrev_b64 v[45:46], 1, v[45:46]
	v_add_co_u32 v51, vcc_lo, v6, v51
	v_add_co_ci_u32_e32 v52, vcc_lo, v12, v52, vcc_lo
	s_clause 0x2
	global_store_b16 v[49:50], v30, off
	global_store_b16 v[47:48], v26, off
	;; [unrolled: 1-line block ×3, first 2 shown]
	v_add_co_u32 v45, vcc_lo, v6, v45
	v_add_co_ci_u32_e32 v46, vcc_lo, v12, v46, vcc_lo
	global_store_b16 v[45:46], v24, off
	s_or_b32 exec_lo, exec_lo, s15
	s_delay_alu instid0(SALU_CYCLE_1)
	s_and_b32 exec_lo, exec_lo, s17
	s_cbranch_execnz .LBB409_171
	s_branch .LBB409_172
.LBB409_248:
	s_and_saveexec_b32 s17, s14
	s_cbranch_execnz .LBB409_304
; %bb.249:
	s_or_b32 exec_lo, exec_lo, s17
	s_and_saveexec_b32 s14, s13
	s_cbranch_execnz .LBB409_305
.LBB409_250:
	s_or_b32 exec_lo, exec_lo, s14
	s_and_saveexec_b32 s13, s12
	s_cbranch_execnz .LBB409_306
.LBB409_251:
	s_or_b32 exec_lo, exec_lo, s13
	s_and_saveexec_b32 s12, s11
	s_cbranch_execnz .LBB409_307
.LBB409_252:
	s_or_b32 exec_lo, exec_lo, s12
	s_and_saveexec_b32 s11, s10
	s_cbranch_execnz .LBB409_308
.LBB409_253:
	s_or_b32 exec_lo, exec_lo, s11
	s_and_saveexec_b32 s10, s9
	s_cbranch_execnz .LBB409_309
.LBB409_254:
	s_or_b32 exec_lo, exec_lo, s10
	s_and_saveexec_b32 s9, s8
	s_cbranch_execnz .LBB409_310
.LBB409_255:
	s_or_b32 exec_lo, exec_lo, s9
	s_and_saveexec_b32 s8, s7
	s_cbranch_execnz .LBB409_311
.LBB409_256:
	s_or_b32 exec_lo, exec_lo, s8
	s_and_saveexec_b32 s7, s6
	s_cbranch_execnz .LBB409_312
.LBB409_257:
	s_or_b32 exec_lo, exec_lo, s7
	s_and_saveexec_b32 s6, s5
	s_cbranch_execnz .LBB409_313
.LBB409_258:
	s_or_b32 exec_lo, exec_lo, s6
	s_and_saveexec_b32 s5, s4
	s_cbranch_execnz .LBB409_314
.LBB409_259:
	s_or_b32 exec_lo, exec_lo, s5
	s_and_saveexec_b32 s4, s3
	s_cbranch_execnz .LBB409_315
.LBB409_260:
	s_or_b32 exec_lo, exec_lo, s4
	s_and_saveexec_b32 s3, s2
	s_cbranch_execnz .LBB409_316
.LBB409_261:
	s_or_b32 exec_lo, exec_lo, s3
	s_and_saveexec_b32 s2, s1
	s_cbranch_execz .LBB409_263
.LBB409_262:
	v_sub_nc_u32_e32 v8, v23, v3
	s_delay_alu instid0(VALU_DEP_1)
	v_lshlrev_b32_e32 v8, 1, v8
	ds_store_b16 v8, v24
.LBB409_263:
	s_or_b32 exec_lo, exec_lo, s2
	s_delay_alu instid0(SALU_CYCLE_1)
	s_and_b32 s17, s0, exec_lo
                                        ; implicit-def: $vgpr41_vgpr42
                                        ; implicit-def: $vgpr37_vgpr38
                                        ; implicit-def: $vgpr35_vgpr36
                                        ; implicit-def: $vgpr33_vgpr34
                                        ; implicit-def: $vgpr21_vgpr22
                                        ; implicit-def: $vgpr19_vgpr20
                                        ; implicit-def: $vgpr17_vgpr18
                                        ; implicit-def: $vgpr39_vgpr40
                                        ; implicit-def: $vgpr43_vgpr44
                                        ; implicit-def: $vgpr31_vgpr32
                                        ; implicit-def: $vgpr29_vgpr30
                                        ; implicit-def: $vgpr25_vgpr26
                                        ; implicit-def: $vgpr27_vgpr28
                                        ; implicit-def: $vgpr23_vgpr24
	s_and_not1_saveexec_b32 s0, s16
	s_cbranch_execz .LBB409_176
.LBB409_264:
	v_sub_nc_u32_e32 v8, v41, v3
	v_sub_nc_u32_e32 v9, v37, v3
	v_sub_nc_u32_e32 v35, v35, v3
	v_sub_nc_u32_e32 v33, v33, v3
	v_sub_nc_u32_e32 v17, v17, v3
	v_lshlrev_b32_e32 v8, 1, v8
	v_lshlrev_b32_e32 v9, 1, v9
	;; [unrolled: 1-line block ×5, first 2 shown]
	ds_store_b16 v8, v42
	ds_store_b16 v9, v38
	;; [unrolled: 1-line block ×3, first 2 shown]
	v_sub_nc_u32_e32 v8, v21, v3
	v_sub_nc_u32_e32 v9, v19, v3
	;; [unrolled: 1-line block ×4, first 2 shown]
	ds_store_b16 v33, v34
	v_lshlrev_b32_e32 v8, 1, v8
	v_lshlrev_b32_e32 v9, 1, v9
	;; [unrolled: 1-line block ×3, first 2 shown]
	s_or_b32 s17, s17, exec_lo
	ds_store_b16 v8, v22
	v_lshlrev_b32_e32 v8, 1, v21
	ds_store_b16 v9, v20
	ds_store_b16 v17, v18
	;; [unrolled: 1-line block ×3, first 2 shown]
	v_sub_nc_u32_e32 v9, v31, v3
	v_sub_nc_u32_e32 v19, v23, v3
	;; [unrolled: 1-line block ×3, first 2 shown]
	ds_store_b16 v8, v44
	v_sub_nc_u32_e32 v8, v29, v3
	v_lshlrev_b32_e32 v9, 1, v9
	v_sub_nc_u32_e32 v18, v27, v3
	v_lshlrev_b32_e32 v17, 1, v17
	s_delay_alu instid0(VALU_DEP_4)
	v_lshlrev_b32_e32 v8, 1, v8
	ds_store_b16 v9, v32
	v_lshlrev_b32_e32 v9, 1, v19
	v_lshlrev_b32_e32 v18, 1, v18
	ds_store_b16 v8, v30
	ds_store_b16 v17, v26
	;; [unrolled: 1-line block ×4, first 2 shown]
	s_or_b32 exec_lo, exec_lo, s0
	s_delay_alu instid0(SALU_CYCLE_1)
	s_and_b32 exec_lo, exec_lo, s17
	s_cbranch_execnz .LBB409_177
	s_branch .LBB409_178
.LBB409_265:
	v_sub_nc_u32_e32 v66, v41, v7
	v_mov_b32_e32 v67, 0
	s_delay_alu instid0(VALU_DEP_1) | instskip(NEXT) | instid1(VALU_DEP_1)
	v_lshlrev_b64 v[66:67], 1, v[66:67]
	v_add_co_u32 v66, vcc_lo, v6, v66
	s_delay_alu instid0(VALU_DEP_2)
	v_add_co_ci_u32_e32 v67, vcc_lo, v64, v67, vcc_lo
	global_store_b16 v[66:67], v52, off
	s_or_b32 exec_lo, exec_lo, s18
	s_and_saveexec_b32 s18, s14
	s_cbranch_execz .LBB409_199
.LBB409_266:
	v_sub_nc_u32_e32 v66, v37, v7
	v_mov_b32_e32 v67, 0
	s_delay_alu instid0(VALU_DEP_1) | instskip(NEXT) | instid1(VALU_DEP_1)
	v_lshlrev_b64 v[66:67], 1, v[66:67]
	v_add_co_u32 v66, vcc_lo, v6, v66
	s_delay_alu instid0(VALU_DEP_2)
	v_add_co_ci_u32_e32 v67, vcc_lo, v64, v67, vcc_lo
	global_store_b16 v[66:67], v1, off
	s_or_b32 exec_lo, exec_lo, s18
	s_and_saveexec_b32 s18, s13
	s_cbranch_execz .LBB409_200
.LBB409_267:
	v_sub_nc_u32_e32 v66, v35, v7
	v_mov_b32_e32 v67, 0
	s_delay_alu instid0(VALU_DEP_1) | instskip(NEXT) | instid1(VALU_DEP_1)
	v_lshlrev_b64 v[66:67], 1, v[66:67]
	v_add_co_u32 v66, vcc_lo, v6, v66
	s_delay_alu instid0(VALU_DEP_2)
	v_add_co_ci_u32_e32 v67, vcc_lo, v64, v67, vcc_lo
	global_store_d16_hi_b16 v[66:67], v1, off
	s_or_b32 exec_lo, exec_lo, s18
	s_and_saveexec_b32 s18, s12
	s_cbranch_execz .LBB409_201
.LBB409_268:
	v_sub_nc_u32_e32 v66, v33, v7
	v_mov_b32_e32 v67, 0
	s_delay_alu instid0(VALU_DEP_1) | instskip(NEXT) | instid1(VALU_DEP_1)
	v_lshlrev_b64 v[66:67], 1, v[66:67]
	v_add_co_u32 v66, vcc_lo, v6, v66
	s_delay_alu instid0(VALU_DEP_2)
	v_add_co_ci_u32_e32 v67, vcc_lo, v64, v67, vcc_lo
	global_store_b16 v[66:67], v2, off
	s_or_b32 exec_lo, exec_lo, s18
	s_and_saveexec_b32 s18, s11
	s_cbranch_execz .LBB409_202
.LBB409_269:
	v_sub_nc_u32_e32 v66, v21, v7
	v_mov_b32_e32 v67, 0
	s_delay_alu instid0(VALU_DEP_1) | instskip(NEXT) | instid1(VALU_DEP_1)
	v_lshlrev_b64 v[66:67], 1, v[66:67]
	v_add_co_u32 v66, vcc_lo, v6, v66
	s_delay_alu instid0(VALU_DEP_2)
	v_add_co_ci_u32_e32 v67, vcc_lo, v64, v67, vcc_lo
	global_store_d16_hi_b16 v[66:67], v2, off
	s_or_b32 exec_lo, exec_lo, s18
	s_and_saveexec_b32 s18, s10
	s_cbranch_execz .LBB409_203
.LBB409_270:
	v_sub_nc_u32_e32 v66, v19, v7
	v_mov_b32_e32 v67, 0
	s_delay_alu instid0(VALU_DEP_1) | instskip(NEXT) | instid1(VALU_DEP_1)
	v_lshlrev_b64 v[66:67], 1, v[66:67]
	v_add_co_u32 v66, vcc_lo, v6, v66
	s_delay_alu instid0(VALU_DEP_2)
	v_add_co_ci_u32_e32 v67, vcc_lo, v64, v67, vcc_lo
	global_store_b16 v[66:67], v3, off
	s_or_b32 exec_lo, exec_lo, s18
	s_and_saveexec_b32 s18, s8
	s_cbranch_execz .LBB409_204
.LBB409_271:
	v_sub_nc_u32_e32 v66, v17, v7
	v_mov_b32_e32 v67, 0
	s_delay_alu instid0(VALU_DEP_1) | instskip(NEXT) | instid1(VALU_DEP_1)
	v_lshlrev_b64 v[66:67], 1, v[66:67]
	v_add_co_u32 v66, vcc_lo, v6, v66
	s_delay_alu instid0(VALU_DEP_2)
	v_add_co_ci_u32_e32 v67, vcc_lo, v64, v67, vcc_lo
	global_store_d16_hi_b16 v[66:67], v3, off
	s_or_b32 exec_lo, exec_lo, s18
	s_and_saveexec_b32 s18, s6
	s_cbranch_execz .LBB409_205
.LBB409_272:
	v_sub_nc_u32_e32 v66, v39, v7
	v_mov_b32_e32 v67, 0
	s_delay_alu instid0(VALU_DEP_1) | instskip(NEXT) | instid1(VALU_DEP_1)
	v_lshlrev_b64 v[66:67], 1, v[66:67]
	v_add_co_u32 v66, vcc_lo, v6, v66
	s_delay_alu instid0(VALU_DEP_2)
	v_add_co_ci_u32_e32 v67, vcc_lo, v64, v67, vcc_lo
	global_store_b16 v[66:67], v4, off
	s_or_b32 exec_lo, exec_lo, s18
	s_and_saveexec_b32 s18, s9
	s_cbranch_execz .LBB409_206
.LBB409_273:
	v_sub_nc_u32_e32 v66, v43, v7
	v_mov_b32_e32 v67, 0
	s_delay_alu instid0(VALU_DEP_1) | instskip(NEXT) | instid1(VALU_DEP_1)
	v_lshlrev_b64 v[66:67], 1, v[66:67]
	v_add_co_u32 v66, vcc_lo, v6, v66
	s_delay_alu instid0(VALU_DEP_2)
	v_add_co_ci_u32_e32 v67, vcc_lo, v64, v67, vcc_lo
	global_store_d16_hi_b16 v[66:67], v4, off
	s_or_b32 exec_lo, exec_lo, s18
	s_and_saveexec_b32 s18, s7
	s_cbranch_execz .LBB409_207
.LBB409_274:
	v_sub_nc_u32_e32 v66, v31, v7
	v_mov_b32_e32 v67, 0
	s_delay_alu instid0(VALU_DEP_1) | instskip(NEXT) | instid1(VALU_DEP_1)
	v_lshlrev_b64 v[66:67], 1, v[66:67]
	v_add_co_u32 v66, vcc_lo, v6, v66
	s_delay_alu instid0(VALU_DEP_2)
	v_add_co_ci_u32_e32 v67, vcc_lo, v64, v67, vcc_lo
	global_store_b16 v[66:67], v10, off
	s_or_b32 exec_lo, exec_lo, s18
	s_and_saveexec_b32 s18, s5
	s_cbranch_execz .LBB409_208
.LBB409_275:
	v_sub_nc_u32_e32 v66, v29, v7
	v_mov_b32_e32 v67, 0
	s_delay_alu instid0(VALU_DEP_1) | instskip(NEXT) | instid1(VALU_DEP_1)
	v_lshlrev_b64 v[66:67], 1, v[66:67]
	v_add_co_u32 v66, vcc_lo, v6, v66
	s_delay_alu instid0(VALU_DEP_2)
	v_add_co_ci_u32_e32 v67, vcc_lo, v64, v67, vcc_lo
	global_store_d16_hi_b16 v[66:67], v10, off
	s_or_b32 exec_lo, exec_lo, s18
	s_and_saveexec_b32 s18, s4
	s_cbranch_execz .LBB409_209
.LBB409_276:
	v_sub_nc_u32_e32 v66, v25, v7
	v_mov_b32_e32 v67, 0
	s_delay_alu instid0(VALU_DEP_1) | instskip(NEXT) | instid1(VALU_DEP_1)
	v_lshlrev_b64 v[66:67], 1, v[66:67]
	v_add_co_u32 v66, vcc_lo, v6, v66
	s_delay_alu instid0(VALU_DEP_2)
	v_add_co_ci_u32_e32 v67, vcc_lo, v64, v67, vcc_lo
	global_store_b16 v[66:67], v11, off
	s_or_b32 exec_lo, exec_lo, s18
	s_and_saveexec_b32 s18, s3
	s_cbranch_execz .LBB409_210
.LBB409_277:
	v_sub_nc_u32_e32 v66, v27, v7
	v_mov_b32_e32 v67, 0
	s_delay_alu instid0(VALU_DEP_1) | instskip(NEXT) | instid1(VALU_DEP_1)
	v_lshlrev_b64 v[66:67], 1, v[66:67]
	v_add_co_u32 v66, vcc_lo, v6, v66
	s_delay_alu instid0(VALU_DEP_2)
	v_add_co_ci_u32_e32 v67, vcc_lo, v64, v67, vcc_lo
	global_store_d16_hi_b16 v[66:67], v11, off
	s_or_b32 exec_lo, exec_lo, s18
	s_and_saveexec_b32 s18, s1
	s_cbranch_execnz .LBB409_211
	s_branch .LBB409_212
.LBB409_278:
	v_sub_nc_u32_e32 v65, v41, v7
	s_delay_alu instid0(VALU_DEP_1)
	v_lshlrev_b32_e32 v65, 1, v65
	ds_store_b16 v65, v52
	s_or_b32 exec_lo, exec_lo, s18
	s_and_saveexec_b32 s15, s14
	s_cbranch_execz .LBB409_216
.LBB409_279:
	v_sub_nc_u32_e32 v52, v37, v7
	s_delay_alu instid0(VALU_DEP_1)
	v_lshlrev_b32_e32 v52, 1, v52
	ds_store_b16 v52, v1
	s_or_b32 exec_lo, exec_lo, s15
	s_and_saveexec_b32 s14, s13
	s_cbranch_execz .LBB409_217
.LBB409_280:
	v_sub_nc_u32_e32 v52, v35, v7
	s_delay_alu instid0(VALU_DEP_1)
	v_lshlrev_b32_e32 v52, 1, v52
	ds_store_b16_d16_hi v52, v1
	s_or_b32 exec_lo, exec_lo, s14
	s_and_saveexec_b32 s13, s12
	s_cbranch_execz .LBB409_218
.LBB409_281:
	v_sub_nc_u32_e32 v1, v33, v7
	s_delay_alu instid0(VALU_DEP_1)
	v_lshlrev_b32_e32 v1, 1, v1
	ds_store_b16 v1, v2
	s_or_b32 exec_lo, exec_lo, s13
	s_and_saveexec_b32 s12, s11
	s_cbranch_execz .LBB409_219
.LBB409_282:
	v_sub_nc_u32_e32 v1, v21, v7
	s_delay_alu instid0(VALU_DEP_1)
	v_lshlrev_b32_e32 v1, 1, v1
	ds_store_b16_d16_hi v1, v2
	s_or_b32 exec_lo, exec_lo, s12
	s_and_saveexec_b32 s11, s10
	s_cbranch_execz .LBB409_220
.LBB409_283:
	v_sub_nc_u32_e32 v1, v19, v7
	s_delay_alu instid0(VALU_DEP_1)
	v_lshlrev_b32_e32 v1, 1, v1
	ds_store_b16 v1, v3
	s_or_b32 exec_lo, exec_lo, s11
	s_and_saveexec_b32 s10, s8
	s_cbranch_execz .LBB409_221
.LBB409_284:
	v_sub_nc_u32_e32 v1, v17, v7
	s_delay_alu instid0(VALU_DEP_1)
	v_lshlrev_b32_e32 v1, 1, v1
	ds_store_b16_d16_hi v1, v3
	s_or_b32 exec_lo, exec_lo, s10
	s_and_saveexec_b32 s8, s6
	s_cbranch_execz .LBB409_222
.LBB409_285:
	v_sub_nc_u32_e32 v1, v39, v7
	s_delay_alu instid0(VALU_DEP_1)
	v_lshlrev_b32_e32 v1, 1, v1
	ds_store_b16 v1, v4
	s_or_b32 exec_lo, exec_lo, s8
	s_and_saveexec_b32 s6, s9
	s_cbranch_execz .LBB409_223
.LBB409_286:
	v_sub_nc_u32_e32 v1, v43, v7
	s_delay_alu instid0(VALU_DEP_1)
	v_lshlrev_b32_e32 v1, 1, v1
	ds_store_b16_d16_hi v1, v4
	s_or_b32 exec_lo, exec_lo, s6
	s_and_saveexec_b32 s6, s7
	s_cbranch_execz .LBB409_224
.LBB409_287:
	v_sub_nc_u32_e32 v1, v31, v7
	s_delay_alu instid0(VALU_DEP_1)
	v_lshlrev_b32_e32 v1, 1, v1
	ds_store_b16 v1, v10
	s_or_b32 exec_lo, exec_lo, s6
	s_and_saveexec_b32 s6, s5
	s_cbranch_execz .LBB409_225
.LBB409_288:
	v_sub_nc_u32_e32 v1, v29, v7
	s_delay_alu instid0(VALU_DEP_1)
	v_lshlrev_b32_e32 v1, 1, v1
	ds_store_b16_d16_hi v1, v10
	s_or_b32 exec_lo, exec_lo, s6
	s_and_saveexec_b32 s5, s4
	s_cbranch_execz .LBB409_226
.LBB409_289:
	v_sub_nc_u32_e32 v1, v25, v7
	s_delay_alu instid0(VALU_DEP_1)
	v_lshlrev_b32_e32 v1, 1, v1
	ds_store_b16 v1, v11
	s_or_b32 exec_lo, exec_lo, s5
	s_and_saveexec_b32 s4, s3
	s_cbranch_execz .LBB409_227
.LBB409_290:
	v_sub_nc_u32_e32 v1, v27, v7
	s_delay_alu instid0(VALU_DEP_1)
	v_lshlrev_b32_e32 v1, 1, v1
	ds_store_b16_d16_hi v1, v11
	s_or_b32 exec_lo, exec_lo, s4
	s_and_saveexec_b32 s3, s1
	s_cbranch_execnz .LBB409_228
	s_branch .LBB409_229
.LBB409_291:
	v_sub_nc_u32_e32 v45, v41, v3
	v_mov_b32_e32 v46, 0
	s_delay_alu instid0(VALU_DEP_1) | instskip(NEXT) | instid1(VALU_DEP_1)
	v_lshlrev_b64 v[45:46], 1, v[45:46]
	v_add_co_u32 v45, vcc_lo, v6, v45
	s_delay_alu instid0(VALU_DEP_2)
	v_add_co_ci_u32_e32 v46, vcc_lo, v12, v46, vcc_lo
	global_store_b16 v[45:46], v42, off
	s_or_b32 exec_lo, exec_lo, s17
	s_and_saveexec_b32 s17, s13
	s_cbranch_execz .LBB409_233
.LBB409_292:
	v_sub_nc_u32_e32 v45, v37, v3
	v_mov_b32_e32 v46, 0
	s_delay_alu instid0(VALU_DEP_1) | instskip(NEXT) | instid1(VALU_DEP_1)
	v_lshlrev_b64 v[45:46], 1, v[45:46]
	v_add_co_u32 v45, vcc_lo, v6, v45
	s_delay_alu instid0(VALU_DEP_2)
	v_add_co_ci_u32_e32 v46, vcc_lo, v12, v46, vcc_lo
	global_store_b16 v[45:46], v38, off
	s_or_b32 exec_lo, exec_lo, s17
	s_and_saveexec_b32 s17, s12
	s_cbranch_execz .LBB409_234
.LBB409_293:
	v_sub_nc_u32_e32 v45, v35, v3
	v_mov_b32_e32 v46, 0
	s_delay_alu instid0(VALU_DEP_1) | instskip(NEXT) | instid1(VALU_DEP_1)
	v_lshlrev_b64 v[45:46], 1, v[45:46]
	v_add_co_u32 v45, vcc_lo, v6, v45
	s_delay_alu instid0(VALU_DEP_2)
	v_add_co_ci_u32_e32 v46, vcc_lo, v12, v46, vcc_lo
	global_store_b16 v[45:46], v36, off
	s_or_b32 exec_lo, exec_lo, s17
	s_and_saveexec_b32 s17, s11
	s_cbranch_execz .LBB409_235
.LBB409_294:
	v_sub_nc_u32_e32 v45, v33, v3
	v_mov_b32_e32 v46, 0
	s_delay_alu instid0(VALU_DEP_1) | instskip(NEXT) | instid1(VALU_DEP_1)
	v_lshlrev_b64 v[45:46], 1, v[45:46]
	v_add_co_u32 v45, vcc_lo, v6, v45
	s_delay_alu instid0(VALU_DEP_2)
	v_add_co_ci_u32_e32 v46, vcc_lo, v12, v46, vcc_lo
	global_store_b16 v[45:46], v34, off
	s_or_b32 exec_lo, exec_lo, s17
	s_and_saveexec_b32 s17, s10
	s_cbranch_execz .LBB409_236
.LBB409_295:
	v_sub_nc_u32_e32 v45, v21, v3
	v_mov_b32_e32 v46, 0
	s_delay_alu instid0(VALU_DEP_1) | instskip(NEXT) | instid1(VALU_DEP_1)
	v_lshlrev_b64 v[45:46], 1, v[45:46]
	v_add_co_u32 v45, vcc_lo, v6, v45
	s_delay_alu instid0(VALU_DEP_2)
	v_add_co_ci_u32_e32 v46, vcc_lo, v12, v46, vcc_lo
	global_store_b16 v[45:46], v22, off
	s_or_b32 exec_lo, exec_lo, s17
	s_and_saveexec_b32 s17, s9
	s_cbranch_execz .LBB409_237
.LBB409_296:
	v_sub_nc_u32_e32 v45, v19, v3
	v_mov_b32_e32 v46, 0
	s_delay_alu instid0(VALU_DEP_1) | instskip(NEXT) | instid1(VALU_DEP_1)
	v_lshlrev_b64 v[45:46], 1, v[45:46]
	v_add_co_u32 v45, vcc_lo, v6, v45
	s_delay_alu instid0(VALU_DEP_2)
	v_add_co_ci_u32_e32 v46, vcc_lo, v12, v46, vcc_lo
	global_store_b16 v[45:46], v20, off
	s_or_b32 exec_lo, exec_lo, s17
	s_and_saveexec_b32 s17, s8
	s_cbranch_execz .LBB409_238
.LBB409_297:
	v_sub_nc_u32_e32 v45, v17, v3
	v_mov_b32_e32 v46, 0
	s_delay_alu instid0(VALU_DEP_1) | instskip(NEXT) | instid1(VALU_DEP_1)
	v_lshlrev_b64 v[45:46], 1, v[45:46]
	v_add_co_u32 v45, vcc_lo, v6, v45
	s_delay_alu instid0(VALU_DEP_2)
	v_add_co_ci_u32_e32 v46, vcc_lo, v12, v46, vcc_lo
	global_store_b16 v[45:46], v18, off
	s_or_b32 exec_lo, exec_lo, s17
	s_and_saveexec_b32 s17, s7
	s_cbranch_execz .LBB409_239
.LBB409_298:
	v_sub_nc_u32_e32 v45, v39, v3
	v_mov_b32_e32 v46, 0
	s_delay_alu instid0(VALU_DEP_1) | instskip(NEXT) | instid1(VALU_DEP_1)
	v_lshlrev_b64 v[45:46], 1, v[45:46]
	v_add_co_u32 v45, vcc_lo, v6, v45
	s_delay_alu instid0(VALU_DEP_2)
	v_add_co_ci_u32_e32 v46, vcc_lo, v12, v46, vcc_lo
	global_store_b16 v[45:46], v40, off
	s_or_b32 exec_lo, exec_lo, s17
	s_and_saveexec_b32 s17, s6
	s_cbranch_execz .LBB409_240
.LBB409_299:
	v_sub_nc_u32_e32 v45, v43, v3
	v_mov_b32_e32 v46, 0
	s_delay_alu instid0(VALU_DEP_1) | instskip(NEXT) | instid1(VALU_DEP_1)
	v_lshlrev_b64 v[45:46], 1, v[45:46]
	v_add_co_u32 v45, vcc_lo, v6, v45
	s_delay_alu instid0(VALU_DEP_2)
	v_add_co_ci_u32_e32 v46, vcc_lo, v12, v46, vcc_lo
	global_store_b16 v[45:46], v44, off
	s_or_b32 exec_lo, exec_lo, s17
	s_and_saveexec_b32 s17, s5
	s_cbranch_execz .LBB409_241
.LBB409_300:
	v_sub_nc_u32_e32 v45, v31, v3
	v_mov_b32_e32 v46, 0
	s_delay_alu instid0(VALU_DEP_1) | instskip(NEXT) | instid1(VALU_DEP_1)
	v_lshlrev_b64 v[45:46], 1, v[45:46]
	v_add_co_u32 v45, vcc_lo, v6, v45
	s_delay_alu instid0(VALU_DEP_2)
	v_add_co_ci_u32_e32 v46, vcc_lo, v12, v46, vcc_lo
	global_store_b16 v[45:46], v32, off
	s_or_b32 exec_lo, exec_lo, s17
	s_and_saveexec_b32 s17, s4
	s_cbranch_execz .LBB409_242
.LBB409_301:
	v_sub_nc_u32_e32 v45, v29, v3
	v_mov_b32_e32 v46, 0
	s_delay_alu instid0(VALU_DEP_1) | instskip(NEXT) | instid1(VALU_DEP_1)
	v_lshlrev_b64 v[45:46], 1, v[45:46]
	v_add_co_u32 v45, vcc_lo, v6, v45
	s_delay_alu instid0(VALU_DEP_2)
	v_add_co_ci_u32_e32 v46, vcc_lo, v12, v46, vcc_lo
	global_store_b16 v[45:46], v30, off
	s_or_b32 exec_lo, exec_lo, s17
	s_and_saveexec_b32 s17, s3
	s_cbranch_execz .LBB409_243
.LBB409_302:
	v_sub_nc_u32_e32 v45, v25, v3
	v_mov_b32_e32 v46, 0
	s_delay_alu instid0(VALU_DEP_1) | instskip(NEXT) | instid1(VALU_DEP_1)
	v_lshlrev_b64 v[45:46], 1, v[45:46]
	v_add_co_u32 v45, vcc_lo, v6, v45
	s_delay_alu instid0(VALU_DEP_2)
	v_add_co_ci_u32_e32 v46, vcc_lo, v12, v46, vcc_lo
	global_store_b16 v[45:46], v26, off
	s_or_b32 exec_lo, exec_lo, s17
	s_and_saveexec_b32 s17, s2
	s_cbranch_execz .LBB409_244
.LBB409_303:
	v_sub_nc_u32_e32 v45, v27, v3
	v_mov_b32_e32 v46, 0
	s_delay_alu instid0(VALU_DEP_1) | instskip(NEXT) | instid1(VALU_DEP_1)
	v_lshlrev_b64 v[45:46], 1, v[45:46]
	v_add_co_u32 v45, vcc_lo, v6, v45
	s_delay_alu instid0(VALU_DEP_2)
	v_add_co_ci_u32_e32 v46, vcc_lo, v12, v46, vcc_lo
	global_store_b16 v[45:46], v28, off
	s_or_b32 exec_lo, exec_lo, s17
	s_and_saveexec_b32 s17, s1
	s_cbranch_execnz .LBB409_245
	s_branch .LBB409_246
.LBB409_304:
	v_sub_nc_u32_e32 v8, v41, v3
	s_delay_alu instid0(VALU_DEP_1)
	v_lshlrev_b32_e32 v8, 1, v8
	ds_store_b16 v8, v42
	s_or_b32 exec_lo, exec_lo, s17
	s_and_saveexec_b32 s14, s13
	s_cbranch_execz .LBB409_250
.LBB409_305:
	v_sub_nc_u32_e32 v8, v37, v3
	s_delay_alu instid0(VALU_DEP_1)
	v_lshlrev_b32_e32 v8, 1, v8
	ds_store_b16 v8, v38
	s_or_b32 exec_lo, exec_lo, s14
	s_and_saveexec_b32 s13, s12
	s_cbranch_execz .LBB409_251
.LBB409_306:
	v_sub_nc_u32_e32 v8, v35, v3
	s_delay_alu instid0(VALU_DEP_1)
	v_lshlrev_b32_e32 v8, 1, v8
	ds_store_b16 v8, v36
	s_or_b32 exec_lo, exec_lo, s13
	s_and_saveexec_b32 s12, s11
	s_cbranch_execz .LBB409_252
.LBB409_307:
	v_sub_nc_u32_e32 v8, v33, v3
	s_delay_alu instid0(VALU_DEP_1)
	v_lshlrev_b32_e32 v8, 1, v8
	ds_store_b16 v8, v34
	s_or_b32 exec_lo, exec_lo, s12
	s_and_saveexec_b32 s11, s10
	s_cbranch_execz .LBB409_253
.LBB409_308:
	v_sub_nc_u32_e32 v8, v21, v3
	s_delay_alu instid0(VALU_DEP_1)
	v_lshlrev_b32_e32 v8, 1, v8
	ds_store_b16 v8, v22
	s_or_b32 exec_lo, exec_lo, s11
	s_and_saveexec_b32 s10, s9
	s_cbranch_execz .LBB409_254
.LBB409_309:
	v_sub_nc_u32_e32 v8, v19, v3
	s_delay_alu instid0(VALU_DEP_1)
	v_lshlrev_b32_e32 v8, 1, v8
	ds_store_b16 v8, v20
	s_or_b32 exec_lo, exec_lo, s10
	s_and_saveexec_b32 s9, s8
	s_cbranch_execz .LBB409_255
.LBB409_310:
	v_sub_nc_u32_e32 v8, v17, v3
	s_delay_alu instid0(VALU_DEP_1)
	v_lshlrev_b32_e32 v8, 1, v8
	ds_store_b16 v8, v18
	s_or_b32 exec_lo, exec_lo, s9
	s_and_saveexec_b32 s8, s7
	s_cbranch_execz .LBB409_256
.LBB409_311:
	v_sub_nc_u32_e32 v8, v39, v3
	s_delay_alu instid0(VALU_DEP_1)
	v_lshlrev_b32_e32 v8, 1, v8
	ds_store_b16 v8, v40
	s_or_b32 exec_lo, exec_lo, s8
	s_and_saveexec_b32 s7, s6
	s_cbranch_execz .LBB409_257
.LBB409_312:
	v_sub_nc_u32_e32 v8, v43, v3
	s_delay_alu instid0(VALU_DEP_1)
	v_lshlrev_b32_e32 v8, 1, v8
	ds_store_b16 v8, v44
	s_or_b32 exec_lo, exec_lo, s7
	s_and_saveexec_b32 s6, s5
	s_cbranch_execz .LBB409_258
.LBB409_313:
	v_sub_nc_u32_e32 v8, v31, v3
	s_delay_alu instid0(VALU_DEP_1)
	v_lshlrev_b32_e32 v8, 1, v8
	ds_store_b16 v8, v32
	s_or_b32 exec_lo, exec_lo, s6
	s_and_saveexec_b32 s5, s4
	s_cbranch_execz .LBB409_259
.LBB409_314:
	v_sub_nc_u32_e32 v8, v29, v3
	s_delay_alu instid0(VALU_DEP_1)
	v_lshlrev_b32_e32 v8, 1, v8
	ds_store_b16 v8, v30
	s_or_b32 exec_lo, exec_lo, s5
	s_and_saveexec_b32 s4, s3
	s_cbranch_execz .LBB409_260
.LBB409_315:
	v_sub_nc_u32_e32 v8, v25, v3
	s_delay_alu instid0(VALU_DEP_1)
	v_lshlrev_b32_e32 v8, 1, v8
	ds_store_b16 v8, v26
	s_or_b32 exec_lo, exec_lo, s4
	s_and_saveexec_b32 s3, s2
	s_cbranch_execz .LBB409_261
.LBB409_316:
	v_sub_nc_u32_e32 v8, v27, v3
	s_delay_alu instid0(VALU_DEP_1)
	v_lshlrev_b32_e32 v8, 1, v8
	ds_store_b16 v8, v28
	s_or_b32 exec_lo, exec_lo, s3
	s_and_saveexec_b32 s2, s1
	s_cbranch_execnz .LBB409_262
	s_branch .LBB409_263
	.section	.rodata,"a",@progbits
	.p2align	6, 0x0
	.amdhsa_kernel _ZN7rocprim17ROCPRIM_400000_NS6detail17trampoline_kernelINS0_14default_configENS1_29reduce_by_key_config_selectorIttN6thrust23THRUST_200600_302600_NS4plusItEEEEZZNS1_33reduce_by_key_impl_wrapped_configILNS1_25lookback_scan_determinismE0ES3_S9_NS6_6detail15normal_iteratorINS6_10device_ptrItEEEESG_SG_SG_PmS8_NS6_8equal_toItEEEE10hipError_tPvRmT2_T3_mT4_T5_T6_T7_T8_P12ihipStream_tbENKUlT_T0_E_clISt17integral_constantIbLb1EES11_EEDaSW_SX_EUlSW_E_NS1_11comp_targetILNS1_3genE9ELNS1_11target_archE1100ELNS1_3gpuE3ELNS1_3repE0EEENS1_30default_config_static_selectorELNS0_4arch9wavefront6targetE0EEEvT1_
		.amdhsa_group_segment_fixed_size 7680
		.amdhsa_private_segment_fixed_size 0
		.amdhsa_kernarg_size 120
		.amdhsa_user_sgpr_count 15
		.amdhsa_user_sgpr_dispatch_ptr 0
		.amdhsa_user_sgpr_queue_ptr 0
		.amdhsa_user_sgpr_kernarg_segment_ptr 1
		.amdhsa_user_sgpr_dispatch_id 0
		.amdhsa_user_sgpr_private_segment_size 0
		.amdhsa_wavefront_size32 1
		.amdhsa_uses_dynamic_stack 0
		.amdhsa_enable_private_segment 0
		.amdhsa_system_sgpr_workgroup_id_x 1
		.amdhsa_system_sgpr_workgroup_id_y 0
		.amdhsa_system_sgpr_workgroup_id_z 0
		.amdhsa_system_sgpr_workgroup_info 0
		.amdhsa_system_vgpr_workitem_id 0
		.amdhsa_next_free_vgpr 102
		.amdhsa_next_free_sgpr 46
		.amdhsa_reserve_vcc 1
		.amdhsa_float_round_mode_32 0
		.amdhsa_float_round_mode_16_64 0
		.amdhsa_float_denorm_mode_32 3
		.amdhsa_float_denorm_mode_16_64 3
		.amdhsa_dx10_clamp 1
		.amdhsa_ieee_mode 1
		.amdhsa_fp16_overflow 0
		.amdhsa_workgroup_processor_mode 1
		.amdhsa_memory_ordered 1
		.amdhsa_forward_progress 0
		.amdhsa_shared_vgpr_count 0
		.amdhsa_exception_fp_ieee_invalid_op 0
		.amdhsa_exception_fp_denorm_src 0
		.amdhsa_exception_fp_ieee_div_zero 0
		.amdhsa_exception_fp_ieee_overflow 0
		.amdhsa_exception_fp_ieee_underflow 0
		.amdhsa_exception_fp_ieee_inexact 0
		.amdhsa_exception_int_div_zero 0
	.end_amdhsa_kernel
	.section	.text._ZN7rocprim17ROCPRIM_400000_NS6detail17trampoline_kernelINS0_14default_configENS1_29reduce_by_key_config_selectorIttN6thrust23THRUST_200600_302600_NS4plusItEEEEZZNS1_33reduce_by_key_impl_wrapped_configILNS1_25lookback_scan_determinismE0ES3_S9_NS6_6detail15normal_iteratorINS6_10device_ptrItEEEESG_SG_SG_PmS8_NS6_8equal_toItEEEE10hipError_tPvRmT2_T3_mT4_T5_T6_T7_T8_P12ihipStream_tbENKUlT_T0_E_clISt17integral_constantIbLb1EES11_EEDaSW_SX_EUlSW_E_NS1_11comp_targetILNS1_3genE9ELNS1_11target_archE1100ELNS1_3gpuE3ELNS1_3repE0EEENS1_30default_config_static_selectorELNS0_4arch9wavefront6targetE0EEEvT1_,"axG",@progbits,_ZN7rocprim17ROCPRIM_400000_NS6detail17trampoline_kernelINS0_14default_configENS1_29reduce_by_key_config_selectorIttN6thrust23THRUST_200600_302600_NS4plusItEEEEZZNS1_33reduce_by_key_impl_wrapped_configILNS1_25lookback_scan_determinismE0ES3_S9_NS6_6detail15normal_iteratorINS6_10device_ptrItEEEESG_SG_SG_PmS8_NS6_8equal_toItEEEE10hipError_tPvRmT2_T3_mT4_T5_T6_T7_T8_P12ihipStream_tbENKUlT_T0_E_clISt17integral_constantIbLb1EES11_EEDaSW_SX_EUlSW_E_NS1_11comp_targetILNS1_3genE9ELNS1_11target_archE1100ELNS1_3gpuE3ELNS1_3repE0EEENS1_30default_config_static_selectorELNS0_4arch9wavefront6targetE0EEEvT1_,comdat
.Lfunc_end409:
	.size	_ZN7rocprim17ROCPRIM_400000_NS6detail17trampoline_kernelINS0_14default_configENS1_29reduce_by_key_config_selectorIttN6thrust23THRUST_200600_302600_NS4plusItEEEEZZNS1_33reduce_by_key_impl_wrapped_configILNS1_25lookback_scan_determinismE0ES3_S9_NS6_6detail15normal_iteratorINS6_10device_ptrItEEEESG_SG_SG_PmS8_NS6_8equal_toItEEEE10hipError_tPvRmT2_T3_mT4_T5_T6_T7_T8_P12ihipStream_tbENKUlT_T0_E_clISt17integral_constantIbLb1EES11_EEDaSW_SX_EUlSW_E_NS1_11comp_targetILNS1_3genE9ELNS1_11target_archE1100ELNS1_3gpuE3ELNS1_3repE0EEENS1_30default_config_static_selectorELNS0_4arch9wavefront6targetE0EEEvT1_, .Lfunc_end409-_ZN7rocprim17ROCPRIM_400000_NS6detail17trampoline_kernelINS0_14default_configENS1_29reduce_by_key_config_selectorIttN6thrust23THRUST_200600_302600_NS4plusItEEEEZZNS1_33reduce_by_key_impl_wrapped_configILNS1_25lookback_scan_determinismE0ES3_S9_NS6_6detail15normal_iteratorINS6_10device_ptrItEEEESG_SG_SG_PmS8_NS6_8equal_toItEEEE10hipError_tPvRmT2_T3_mT4_T5_T6_T7_T8_P12ihipStream_tbENKUlT_T0_E_clISt17integral_constantIbLb1EES11_EEDaSW_SX_EUlSW_E_NS1_11comp_targetILNS1_3genE9ELNS1_11target_archE1100ELNS1_3gpuE3ELNS1_3repE0EEENS1_30default_config_static_selectorELNS0_4arch9wavefront6targetE0EEEvT1_
                                        ; -- End function
	.section	.AMDGPU.csdata,"",@progbits
; Kernel info:
; codeLenInByte = 21332
; NumSgprs: 48
; NumVgprs: 102
; ScratchSize: 0
; MemoryBound: 0
; FloatMode: 240
; IeeeMode: 1
; LDSByteSize: 7680 bytes/workgroup (compile time only)
; SGPRBlocks: 5
; VGPRBlocks: 12
; NumSGPRsForWavesPerEU: 48
; NumVGPRsForWavesPerEU: 102
; Occupancy: 12
; WaveLimiterHint : 1
; COMPUTE_PGM_RSRC2:SCRATCH_EN: 0
; COMPUTE_PGM_RSRC2:USER_SGPR: 15
; COMPUTE_PGM_RSRC2:TRAP_HANDLER: 0
; COMPUTE_PGM_RSRC2:TGID_X_EN: 1
; COMPUTE_PGM_RSRC2:TGID_Y_EN: 0
; COMPUTE_PGM_RSRC2:TGID_Z_EN: 0
; COMPUTE_PGM_RSRC2:TIDIG_COMP_CNT: 0
	.section	.text._ZN7rocprim17ROCPRIM_400000_NS6detail17trampoline_kernelINS0_14default_configENS1_29reduce_by_key_config_selectorIttN6thrust23THRUST_200600_302600_NS4plusItEEEEZZNS1_33reduce_by_key_impl_wrapped_configILNS1_25lookback_scan_determinismE0ES3_S9_NS6_6detail15normal_iteratorINS6_10device_ptrItEEEESG_SG_SG_PmS8_NS6_8equal_toItEEEE10hipError_tPvRmT2_T3_mT4_T5_T6_T7_T8_P12ihipStream_tbENKUlT_T0_E_clISt17integral_constantIbLb1EES11_EEDaSW_SX_EUlSW_E_NS1_11comp_targetILNS1_3genE8ELNS1_11target_archE1030ELNS1_3gpuE2ELNS1_3repE0EEENS1_30default_config_static_selectorELNS0_4arch9wavefront6targetE0EEEvT1_,"axG",@progbits,_ZN7rocprim17ROCPRIM_400000_NS6detail17trampoline_kernelINS0_14default_configENS1_29reduce_by_key_config_selectorIttN6thrust23THRUST_200600_302600_NS4plusItEEEEZZNS1_33reduce_by_key_impl_wrapped_configILNS1_25lookback_scan_determinismE0ES3_S9_NS6_6detail15normal_iteratorINS6_10device_ptrItEEEESG_SG_SG_PmS8_NS6_8equal_toItEEEE10hipError_tPvRmT2_T3_mT4_T5_T6_T7_T8_P12ihipStream_tbENKUlT_T0_E_clISt17integral_constantIbLb1EES11_EEDaSW_SX_EUlSW_E_NS1_11comp_targetILNS1_3genE8ELNS1_11target_archE1030ELNS1_3gpuE2ELNS1_3repE0EEENS1_30default_config_static_selectorELNS0_4arch9wavefront6targetE0EEEvT1_,comdat
	.protected	_ZN7rocprim17ROCPRIM_400000_NS6detail17trampoline_kernelINS0_14default_configENS1_29reduce_by_key_config_selectorIttN6thrust23THRUST_200600_302600_NS4plusItEEEEZZNS1_33reduce_by_key_impl_wrapped_configILNS1_25lookback_scan_determinismE0ES3_S9_NS6_6detail15normal_iteratorINS6_10device_ptrItEEEESG_SG_SG_PmS8_NS6_8equal_toItEEEE10hipError_tPvRmT2_T3_mT4_T5_T6_T7_T8_P12ihipStream_tbENKUlT_T0_E_clISt17integral_constantIbLb1EES11_EEDaSW_SX_EUlSW_E_NS1_11comp_targetILNS1_3genE8ELNS1_11target_archE1030ELNS1_3gpuE2ELNS1_3repE0EEENS1_30default_config_static_selectorELNS0_4arch9wavefront6targetE0EEEvT1_ ; -- Begin function _ZN7rocprim17ROCPRIM_400000_NS6detail17trampoline_kernelINS0_14default_configENS1_29reduce_by_key_config_selectorIttN6thrust23THRUST_200600_302600_NS4plusItEEEEZZNS1_33reduce_by_key_impl_wrapped_configILNS1_25lookback_scan_determinismE0ES3_S9_NS6_6detail15normal_iteratorINS6_10device_ptrItEEEESG_SG_SG_PmS8_NS6_8equal_toItEEEE10hipError_tPvRmT2_T3_mT4_T5_T6_T7_T8_P12ihipStream_tbENKUlT_T0_E_clISt17integral_constantIbLb1EES11_EEDaSW_SX_EUlSW_E_NS1_11comp_targetILNS1_3genE8ELNS1_11target_archE1030ELNS1_3gpuE2ELNS1_3repE0EEENS1_30default_config_static_selectorELNS0_4arch9wavefront6targetE0EEEvT1_
	.globl	_ZN7rocprim17ROCPRIM_400000_NS6detail17trampoline_kernelINS0_14default_configENS1_29reduce_by_key_config_selectorIttN6thrust23THRUST_200600_302600_NS4plusItEEEEZZNS1_33reduce_by_key_impl_wrapped_configILNS1_25lookback_scan_determinismE0ES3_S9_NS6_6detail15normal_iteratorINS6_10device_ptrItEEEESG_SG_SG_PmS8_NS6_8equal_toItEEEE10hipError_tPvRmT2_T3_mT4_T5_T6_T7_T8_P12ihipStream_tbENKUlT_T0_E_clISt17integral_constantIbLb1EES11_EEDaSW_SX_EUlSW_E_NS1_11comp_targetILNS1_3genE8ELNS1_11target_archE1030ELNS1_3gpuE2ELNS1_3repE0EEENS1_30default_config_static_selectorELNS0_4arch9wavefront6targetE0EEEvT1_
	.p2align	8
	.type	_ZN7rocprim17ROCPRIM_400000_NS6detail17trampoline_kernelINS0_14default_configENS1_29reduce_by_key_config_selectorIttN6thrust23THRUST_200600_302600_NS4plusItEEEEZZNS1_33reduce_by_key_impl_wrapped_configILNS1_25lookback_scan_determinismE0ES3_S9_NS6_6detail15normal_iteratorINS6_10device_ptrItEEEESG_SG_SG_PmS8_NS6_8equal_toItEEEE10hipError_tPvRmT2_T3_mT4_T5_T6_T7_T8_P12ihipStream_tbENKUlT_T0_E_clISt17integral_constantIbLb1EES11_EEDaSW_SX_EUlSW_E_NS1_11comp_targetILNS1_3genE8ELNS1_11target_archE1030ELNS1_3gpuE2ELNS1_3repE0EEENS1_30default_config_static_selectorELNS0_4arch9wavefront6targetE0EEEvT1_,@function
_ZN7rocprim17ROCPRIM_400000_NS6detail17trampoline_kernelINS0_14default_configENS1_29reduce_by_key_config_selectorIttN6thrust23THRUST_200600_302600_NS4plusItEEEEZZNS1_33reduce_by_key_impl_wrapped_configILNS1_25lookback_scan_determinismE0ES3_S9_NS6_6detail15normal_iteratorINS6_10device_ptrItEEEESG_SG_SG_PmS8_NS6_8equal_toItEEEE10hipError_tPvRmT2_T3_mT4_T5_T6_T7_T8_P12ihipStream_tbENKUlT_T0_E_clISt17integral_constantIbLb1EES11_EEDaSW_SX_EUlSW_E_NS1_11comp_targetILNS1_3genE8ELNS1_11target_archE1030ELNS1_3gpuE2ELNS1_3repE0EEENS1_30default_config_static_selectorELNS0_4arch9wavefront6targetE0EEEvT1_: ; @_ZN7rocprim17ROCPRIM_400000_NS6detail17trampoline_kernelINS0_14default_configENS1_29reduce_by_key_config_selectorIttN6thrust23THRUST_200600_302600_NS4plusItEEEEZZNS1_33reduce_by_key_impl_wrapped_configILNS1_25lookback_scan_determinismE0ES3_S9_NS6_6detail15normal_iteratorINS6_10device_ptrItEEEESG_SG_SG_PmS8_NS6_8equal_toItEEEE10hipError_tPvRmT2_T3_mT4_T5_T6_T7_T8_P12ihipStream_tbENKUlT_T0_E_clISt17integral_constantIbLb1EES11_EEDaSW_SX_EUlSW_E_NS1_11comp_targetILNS1_3genE8ELNS1_11target_archE1030ELNS1_3gpuE2ELNS1_3repE0EEENS1_30default_config_static_selectorELNS0_4arch9wavefront6targetE0EEEvT1_
; %bb.0:
	.section	.rodata,"a",@progbits
	.p2align	6, 0x0
	.amdhsa_kernel _ZN7rocprim17ROCPRIM_400000_NS6detail17trampoline_kernelINS0_14default_configENS1_29reduce_by_key_config_selectorIttN6thrust23THRUST_200600_302600_NS4plusItEEEEZZNS1_33reduce_by_key_impl_wrapped_configILNS1_25lookback_scan_determinismE0ES3_S9_NS6_6detail15normal_iteratorINS6_10device_ptrItEEEESG_SG_SG_PmS8_NS6_8equal_toItEEEE10hipError_tPvRmT2_T3_mT4_T5_T6_T7_T8_P12ihipStream_tbENKUlT_T0_E_clISt17integral_constantIbLb1EES11_EEDaSW_SX_EUlSW_E_NS1_11comp_targetILNS1_3genE8ELNS1_11target_archE1030ELNS1_3gpuE2ELNS1_3repE0EEENS1_30default_config_static_selectorELNS0_4arch9wavefront6targetE0EEEvT1_
		.amdhsa_group_segment_fixed_size 0
		.amdhsa_private_segment_fixed_size 0
		.amdhsa_kernarg_size 120
		.amdhsa_user_sgpr_count 15
		.amdhsa_user_sgpr_dispatch_ptr 0
		.amdhsa_user_sgpr_queue_ptr 0
		.amdhsa_user_sgpr_kernarg_segment_ptr 1
		.amdhsa_user_sgpr_dispatch_id 0
		.amdhsa_user_sgpr_private_segment_size 0
		.amdhsa_wavefront_size32 1
		.amdhsa_uses_dynamic_stack 0
		.amdhsa_enable_private_segment 0
		.amdhsa_system_sgpr_workgroup_id_x 1
		.amdhsa_system_sgpr_workgroup_id_y 0
		.amdhsa_system_sgpr_workgroup_id_z 0
		.amdhsa_system_sgpr_workgroup_info 0
		.amdhsa_system_vgpr_workitem_id 0
		.amdhsa_next_free_vgpr 1
		.amdhsa_next_free_sgpr 1
		.amdhsa_reserve_vcc 0
		.amdhsa_float_round_mode_32 0
		.amdhsa_float_round_mode_16_64 0
		.amdhsa_float_denorm_mode_32 3
		.amdhsa_float_denorm_mode_16_64 3
		.amdhsa_dx10_clamp 1
		.amdhsa_ieee_mode 1
		.amdhsa_fp16_overflow 0
		.amdhsa_workgroup_processor_mode 1
		.amdhsa_memory_ordered 1
		.amdhsa_forward_progress 0
		.amdhsa_shared_vgpr_count 0
		.amdhsa_exception_fp_ieee_invalid_op 0
		.amdhsa_exception_fp_denorm_src 0
		.amdhsa_exception_fp_ieee_div_zero 0
		.amdhsa_exception_fp_ieee_overflow 0
		.amdhsa_exception_fp_ieee_underflow 0
		.amdhsa_exception_fp_ieee_inexact 0
		.amdhsa_exception_int_div_zero 0
	.end_amdhsa_kernel
	.section	.text._ZN7rocprim17ROCPRIM_400000_NS6detail17trampoline_kernelINS0_14default_configENS1_29reduce_by_key_config_selectorIttN6thrust23THRUST_200600_302600_NS4plusItEEEEZZNS1_33reduce_by_key_impl_wrapped_configILNS1_25lookback_scan_determinismE0ES3_S9_NS6_6detail15normal_iteratorINS6_10device_ptrItEEEESG_SG_SG_PmS8_NS6_8equal_toItEEEE10hipError_tPvRmT2_T3_mT4_T5_T6_T7_T8_P12ihipStream_tbENKUlT_T0_E_clISt17integral_constantIbLb1EES11_EEDaSW_SX_EUlSW_E_NS1_11comp_targetILNS1_3genE8ELNS1_11target_archE1030ELNS1_3gpuE2ELNS1_3repE0EEENS1_30default_config_static_selectorELNS0_4arch9wavefront6targetE0EEEvT1_,"axG",@progbits,_ZN7rocprim17ROCPRIM_400000_NS6detail17trampoline_kernelINS0_14default_configENS1_29reduce_by_key_config_selectorIttN6thrust23THRUST_200600_302600_NS4plusItEEEEZZNS1_33reduce_by_key_impl_wrapped_configILNS1_25lookback_scan_determinismE0ES3_S9_NS6_6detail15normal_iteratorINS6_10device_ptrItEEEESG_SG_SG_PmS8_NS6_8equal_toItEEEE10hipError_tPvRmT2_T3_mT4_T5_T6_T7_T8_P12ihipStream_tbENKUlT_T0_E_clISt17integral_constantIbLb1EES11_EEDaSW_SX_EUlSW_E_NS1_11comp_targetILNS1_3genE8ELNS1_11target_archE1030ELNS1_3gpuE2ELNS1_3repE0EEENS1_30default_config_static_selectorELNS0_4arch9wavefront6targetE0EEEvT1_,comdat
.Lfunc_end410:
	.size	_ZN7rocprim17ROCPRIM_400000_NS6detail17trampoline_kernelINS0_14default_configENS1_29reduce_by_key_config_selectorIttN6thrust23THRUST_200600_302600_NS4plusItEEEEZZNS1_33reduce_by_key_impl_wrapped_configILNS1_25lookback_scan_determinismE0ES3_S9_NS6_6detail15normal_iteratorINS6_10device_ptrItEEEESG_SG_SG_PmS8_NS6_8equal_toItEEEE10hipError_tPvRmT2_T3_mT4_T5_T6_T7_T8_P12ihipStream_tbENKUlT_T0_E_clISt17integral_constantIbLb1EES11_EEDaSW_SX_EUlSW_E_NS1_11comp_targetILNS1_3genE8ELNS1_11target_archE1030ELNS1_3gpuE2ELNS1_3repE0EEENS1_30default_config_static_selectorELNS0_4arch9wavefront6targetE0EEEvT1_, .Lfunc_end410-_ZN7rocprim17ROCPRIM_400000_NS6detail17trampoline_kernelINS0_14default_configENS1_29reduce_by_key_config_selectorIttN6thrust23THRUST_200600_302600_NS4plusItEEEEZZNS1_33reduce_by_key_impl_wrapped_configILNS1_25lookback_scan_determinismE0ES3_S9_NS6_6detail15normal_iteratorINS6_10device_ptrItEEEESG_SG_SG_PmS8_NS6_8equal_toItEEEE10hipError_tPvRmT2_T3_mT4_T5_T6_T7_T8_P12ihipStream_tbENKUlT_T0_E_clISt17integral_constantIbLb1EES11_EEDaSW_SX_EUlSW_E_NS1_11comp_targetILNS1_3genE8ELNS1_11target_archE1030ELNS1_3gpuE2ELNS1_3repE0EEENS1_30default_config_static_selectorELNS0_4arch9wavefront6targetE0EEEvT1_
                                        ; -- End function
	.section	.AMDGPU.csdata,"",@progbits
; Kernel info:
; codeLenInByte = 0
; NumSgprs: 0
; NumVgprs: 0
; ScratchSize: 0
; MemoryBound: 0
; FloatMode: 240
; IeeeMode: 1
; LDSByteSize: 0 bytes/workgroup (compile time only)
; SGPRBlocks: 0
; VGPRBlocks: 0
; NumSGPRsForWavesPerEU: 1
; NumVGPRsForWavesPerEU: 1
; Occupancy: 16
; WaveLimiterHint : 0
; COMPUTE_PGM_RSRC2:SCRATCH_EN: 0
; COMPUTE_PGM_RSRC2:USER_SGPR: 15
; COMPUTE_PGM_RSRC2:TRAP_HANDLER: 0
; COMPUTE_PGM_RSRC2:TGID_X_EN: 1
; COMPUTE_PGM_RSRC2:TGID_Y_EN: 0
; COMPUTE_PGM_RSRC2:TGID_Z_EN: 0
; COMPUTE_PGM_RSRC2:TIDIG_COMP_CNT: 0
	.section	.text._ZN7rocprim17ROCPRIM_400000_NS6detail25reduce_by_key_init_kernelINS1_19lookback_scan_stateINS0_5tupleIJjtEEELb1ELb1EEEtNS1_16block_id_wrapperIjLb0EEEEEvT_jbjPmPT0_T1_,"axG",@progbits,_ZN7rocprim17ROCPRIM_400000_NS6detail25reduce_by_key_init_kernelINS1_19lookback_scan_stateINS0_5tupleIJjtEEELb1ELb1EEEtNS1_16block_id_wrapperIjLb0EEEEEvT_jbjPmPT0_T1_,comdat
	.protected	_ZN7rocprim17ROCPRIM_400000_NS6detail25reduce_by_key_init_kernelINS1_19lookback_scan_stateINS0_5tupleIJjtEEELb1ELb1EEEtNS1_16block_id_wrapperIjLb0EEEEEvT_jbjPmPT0_T1_ ; -- Begin function _ZN7rocprim17ROCPRIM_400000_NS6detail25reduce_by_key_init_kernelINS1_19lookback_scan_stateINS0_5tupleIJjtEEELb1ELb1EEEtNS1_16block_id_wrapperIjLb0EEEEEvT_jbjPmPT0_T1_
	.globl	_ZN7rocprim17ROCPRIM_400000_NS6detail25reduce_by_key_init_kernelINS1_19lookback_scan_stateINS0_5tupleIJjtEEELb1ELb1EEEtNS1_16block_id_wrapperIjLb0EEEEEvT_jbjPmPT0_T1_
	.p2align	8
	.type	_ZN7rocprim17ROCPRIM_400000_NS6detail25reduce_by_key_init_kernelINS1_19lookback_scan_stateINS0_5tupleIJjtEEELb1ELb1EEEtNS1_16block_id_wrapperIjLb0EEEEEvT_jbjPmPT0_T1_,@function
_ZN7rocprim17ROCPRIM_400000_NS6detail25reduce_by_key_init_kernelINS1_19lookback_scan_stateINS0_5tupleIJjtEEELb1ELb1EEEtNS1_16block_id_wrapperIjLb0EEEEEvT_jbjPmPT0_T1_: ; @_ZN7rocprim17ROCPRIM_400000_NS6detail25reduce_by_key_init_kernelINS1_19lookback_scan_stateINS0_5tupleIJjtEEELb1ELb1EEEtNS1_16block_id_wrapperIjLb0EEEEEvT_jbjPmPT0_T1_
; %bb.0:
	s_clause 0x2
	s_load_b32 s2, s[0:1], 0x3c
	s_load_b256 s[4:11], s[0:1], 0x8
	s_load_b64 s[0:1], s[0:1], 0x0
	s_waitcnt lgkmcnt(0)
	s_and_b32 s2, s2, 0xffff
	s_delay_alu instid0(SALU_CYCLE_1) | instskip(SKIP_1) | instid1(SALU_CYCLE_1)
	v_mad_u64_u32 v[1:2], null, s15, s2, v[0:1]
	s_and_b32 s2, s5, 1
	s_cmp_eq_u32 s2, 0
	s_mov_b32 s2, -1
	s_cbranch_scc1 .LBB411_7
; %bb.1:
	s_and_not1_b32 vcc_lo, exec_lo, s2
	s_cbranch_vccz .LBB411_16
.LBB411_2:
	s_mov_b32 s2, exec_lo
	v_cmpx_gt_u32_e64 s4, v1
	s_cbranch_execz .LBB411_4
.LBB411_3:
	v_dual_mov_b32 v3, 0 :: v_dual_add_nc_u32 v2, 32, v1
	s_delay_alu instid0(VALU_DEP_1) | instskip(SKIP_2) | instid1(VALU_DEP_3)
	v_lshlrev_b64 v[5:6], 4, v[2:3]
	v_mov_b32_e32 v2, v3
	v_mov_b32_e32 v4, v3
	v_add_co_u32 v7, vcc_lo, s0, v5
	s_delay_alu instid0(VALU_DEP_4)
	v_add_co_ci_u32_e32 v8, vcc_lo, s1, v6, vcc_lo
	v_mov_b32_e32 v5, v3
	global_store_b128 v[7:8], v[2:5], off
.LBB411_4:
	s_or_b32 exec_lo, exec_lo, s2
	s_delay_alu instid0(SALU_CYCLE_1)
	s_mov_b32 s2, exec_lo
	v_cmpx_gt_u32_e32 32, v1
	s_cbranch_execz .LBB411_6
; %bb.5:
	v_dual_mov_b32 v2, 0 :: v_dual_mov_b32 v3, 0xff
	s_delay_alu instid0(VALU_DEP_1) | instskip(SKIP_1) | instid1(VALU_DEP_2)
	v_lshlrev_b64 v[4:5], 4, v[1:2]
	v_mov_b32_e32 v1, v2
	v_add_co_u32 v6, vcc_lo, s0, v4
	s_delay_alu instid0(VALU_DEP_3)
	v_add_co_ci_u32_e32 v7, vcc_lo, s1, v5, vcc_lo
	v_mov_b32_e32 v4, v2
	global_store_b128 v[6:7], v[1:4], off
.LBB411_6:
	s_nop 0
	s_sendmsg sendmsg(MSG_DEALLOC_VGPRS)
	s_endpgm
.LBB411_7:
	s_cmp_lt_u32 s6, s4
	s_mov_b32 s5, exec_lo
	s_cselect_b32 s2, s6, 0
	s_delay_alu instid0(SALU_CYCLE_1)
	v_cmpx_eq_u32_e64 s2, v1
	s_cbranch_execz .LBB411_15
; %bb.8:
	s_add_i32 s2, s6, 32
	s_mov_b32 s3, 0
	v_mov_b32_e32 v6, 0
	s_lshl_b64 s[6:7], s[2:3], 4
	s_mov_b32 s2, exec_lo
	s_add_u32 s6, s0, s6
	s_addc_u32 s7, s1, s7
	s_delay_alu instid0(SALU_CYCLE_1) | instskip(SKIP_2) | instid1(VALU_DEP_1)
	v_dual_mov_b32 v2, s6 :: v_dual_mov_b32 v3, s7
	;;#ASMSTART
	global_load_dwordx4 v[2:5], v[2:3] off glc	
s_waitcnt vmcnt(0)
	;;#ASMEND
	v_and_b32_e32 v5, 0xff, v4
	v_cmpx_eq_u64_e32 0, v[5:6]
	s_cbranch_execz .LBB411_14
; %bb.9:
	v_dual_mov_b32 v8, s7 :: v_dual_mov_b32 v7, s6
	s_mov_b32 s6, 1
	.p2align	6
.LBB411_10:                             ; =>This Loop Header: Depth=1
                                        ;     Child Loop BB411_11 Depth 2
	s_delay_alu instid0(SALU_CYCLE_1)
	s_max_u32 s7, s6, 1
.LBB411_11:                             ;   Parent Loop BB411_10 Depth=1
                                        ; =>  This Inner Loop Header: Depth=2
	s_delay_alu instid0(SALU_CYCLE_1)
	s_add_i32 s7, s7, -1
	s_sleep 1
	s_cmp_eq_u32 s7, 0
	s_cbranch_scc0 .LBB411_11
; %bb.12:                               ;   in Loop: Header=BB411_10 Depth=1
	;;#ASMSTART
	global_load_dwordx4 v[2:5], v[7:8] off glc	
s_waitcnt vmcnt(0)
	;;#ASMEND
	v_and_b32_e32 v5, 0xff, v4
	s_cmp_lt_u32 s6, 32
	s_cselect_b32 s7, -1, 0
	s_delay_alu instid0(SALU_CYCLE_1) | instskip(NEXT) | instid1(VALU_DEP_1)
	s_cmp_lg_u32 s7, 0
	v_cmp_ne_u64_e32 vcc_lo, 0, v[5:6]
	s_addc_u32 s6, s6, 0
	s_or_b32 s3, vcc_lo, s3
	s_delay_alu instid0(SALU_CYCLE_1)
	s_and_not1_b32 exec_lo, exec_lo, s3
	s_cbranch_execnz .LBB411_10
; %bb.13:
	s_or_b32 exec_lo, exec_lo, s3
.LBB411_14:
	s_delay_alu instid0(SALU_CYCLE_1)
	s_or_b32 exec_lo, exec_lo, s2
	v_mov_b32_e32 v0, 0
	global_load_b64 v[4:5], v0, s[8:9]
	s_waitcnt vmcnt(0)
	v_add_co_u32 v4, vcc_lo, v4, v2
	v_add_co_ci_u32_e32 v5, vcc_lo, 0, v5, vcc_lo
	s_clause 0x1
	global_store_b64 v0, v[4:5], s[8:9]
	global_store_b16 v0, v3, s[10:11]
.LBB411_15:
	s_or_b32 exec_lo, exec_lo, s5
	s_cbranch_execnz .LBB411_2
.LBB411_16:
	s_delay_alu instid0(VALU_DEP_1) | instskip(SKIP_2) | instid1(SALU_CYCLE_1)
	v_cmp_eq_u32_e32 vcc_lo, 0, v1
	s_cmp_lg_u64 s[8:9], 0
	s_cselect_b32 s2, -1, 0
	s_and_b32 s3, s2, vcc_lo
	s_delay_alu instid0(SALU_CYCLE_1)
	s_and_saveexec_b32 s2, s3
	s_cbranch_execz .LBB411_18
; %bb.17:
	v_mov_b32_e32 v2, 0
	s_delay_alu instid0(VALU_DEP_1)
	v_mov_b32_e32 v3, v2
	global_store_b64 v2, v[2:3], s[8:9]
.LBB411_18:
	s_or_b32 exec_lo, exec_lo, s2
	s_delay_alu instid0(SALU_CYCLE_1)
	s_mov_b32 s2, exec_lo
	v_cmpx_gt_u32_e64 s4, v1
	s_cbranch_execnz .LBB411_3
	s_branch .LBB411_4
	.section	.rodata,"a",@progbits
	.p2align	6, 0x0
	.amdhsa_kernel _ZN7rocprim17ROCPRIM_400000_NS6detail25reduce_by_key_init_kernelINS1_19lookback_scan_stateINS0_5tupleIJjtEEELb1ELb1EEEtNS1_16block_id_wrapperIjLb0EEEEEvT_jbjPmPT0_T1_
		.amdhsa_group_segment_fixed_size 0
		.amdhsa_private_segment_fixed_size 0
		.amdhsa_kernarg_size 304
		.amdhsa_user_sgpr_count 15
		.amdhsa_user_sgpr_dispatch_ptr 0
		.amdhsa_user_sgpr_queue_ptr 0
		.amdhsa_user_sgpr_kernarg_segment_ptr 1
		.amdhsa_user_sgpr_dispatch_id 0
		.amdhsa_user_sgpr_private_segment_size 0
		.amdhsa_wavefront_size32 1
		.amdhsa_uses_dynamic_stack 0
		.amdhsa_enable_private_segment 0
		.amdhsa_system_sgpr_workgroup_id_x 1
		.amdhsa_system_sgpr_workgroup_id_y 0
		.amdhsa_system_sgpr_workgroup_id_z 0
		.amdhsa_system_sgpr_workgroup_info 0
		.amdhsa_system_vgpr_workitem_id 0
		.amdhsa_next_free_vgpr 9
		.amdhsa_next_free_sgpr 16
		.amdhsa_reserve_vcc 1
		.amdhsa_float_round_mode_32 0
		.amdhsa_float_round_mode_16_64 0
		.amdhsa_float_denorm_mode_32 3
		.amdhsa_float_denorm_mode_16_64 3
		.amdhsa_dx10_clamp 1
		.amdhsa_ieee_mode 1
		.amdhsa_fp16_overflow 0
		.amdhsa_workgroup_processor_mode 1
		.amdhsa_memory_ordered 1
		.amdhsa_forward_progress 0
		.amdhsa_shared_vgpr_count 0
		.amdhsa_exception_fp_ieee_invalid_op 0
		.amdhsa_exception_fp_denorm_src 0
		.amdhsa_exception_fp_ieee_div_zero 0
		.amdhsa_exception_fp_ieee_overflow 0
		.amdhsa_exception_fp_ieee_underflow 0
		.amdhsa_exception_fp_ieee_inexact 0
		.amdhsa_exception_int_div_zero 0
	.end_amdhsa_kernel
	.section	.text._ZN7rocprim17ROCPRIM_400000_NS6detail25reduce_by_key_init_kernelINS1_19lookback_scan_stateINS0_5tupleIJjtEEELb1ELb1EEEtNS1_16block_id_wrapperIjLb0EEEEEvT_jbjPmPT0_T1_,"axG",@progbits,_ZN7rocprim17ROCPRIM_400000_NS6detail25reduce_by_key_init_kernelINS1_19lookback_scan_stateINS0_5tupleIJjtEEELb1ELb1EEEtNS1_16block_id_wrapperIjLb0EEEEEvT_jbjPmPT0_T1_,comdat
.Lfunc_end411:
	.size	_ZN7rocprim17ROCPRIM_400000_NS6detail25reduce_by_key_init_kernelINS1_19lookback_scan_stateINS0_5tupleIJjtEEELb1ELb1EEEtNS1_16block_id_wrapperIjLb0EEEEEvT_jbjPmPT0_T1_, .Lfunc_end411-_ZN7rocprim17ROCPRIM_400000_NS6detail25reduce_by_key_init_kernelINS1_19lookback_scan_stateINS0_5tupleIJjtEEELb1ELb1EEEtNS1_16block_id_wrapperIjLb0EEEEEvT_jbjPmPT0_T1_
                                        ; -- End function
	.section	.AMDGPU.csdata,"",@progbits
; Kernel info:
; codeLenInByte = 636
; NumSgprs: 18
; NumVgprs: 9
; ScratchSize: 0
; MemoryBound: 0
; FloatMode: 240
; IeeeMode: 1
; LDSByteSize: 0 bytes/workgroup (compile time only)
; SGPRBlocks: 2
; VGPRBlocks: 1
; NumSGPRsForWavesPerEU: 18
; NumVGPRsForWavesPerEU: 9
; Occupancy: 16
; WaveLimiterHint : 0
; COMPUTE_PGM_RSRC2:SCRATCH_EN: 0
; COMPUTE_PGM_RSRC2:USER_SGPR: 15
; COMPUTE_PGM_RSRC2:TRAP_HANDLER: 0
; COMPUTE_PGM_RSRC2:TGID_X_EN: 1
; COMPUTE_PGM_RSRC2:TGID_Y_EN: 0
; COMPUTE_PGM_RSRC2:TGID_Z_EN: 0
; COMPUTE_PGM_RSRC2:TIDIG_COMP_CNT: 0
	.section	.text._ZN7rocprim17ROCPRIM_400000_NS6detail17trampoline_kernelINS0_14default_configENS1_29reduce_by_key_config_selectorIttN6thrust23THRUST_200600_302600_NS4plusItEEEEZZNS1_33reduce_by_key_impl_wrapped_configILNS1_25lookback_scan_determinismE0ES3_S9_NS6_6detail15normal_iteratorINS6_10device_ptrItEEEESG_SG_SG_PmS8_NS6_8equal_toItEEEE10hipError_tPvRmT2_T3_mT4_T5_T6_T7_T8_P12ihipStream_tbENKUlT_T0_E_clISt17integral_constantIbLb1EES10_IbLb0EEEEDaSW_SX_EUlSW_E_NS1_11comp_targetILNS1_3genE0ELNS1_11target_archE4294967295ELNS1_3gpuE0ELNS1_3repE0EEENS1_30default_config_static_selectorELNS0_4arch9wavefront6targetE0EEEvT1_,"axG",@progbits,_ZN7rocprim17ROCPRIM_400000_NS6detail17trampoline_kernelINS0_14default_configENS1_29reduce_by_key_config_selectorIttN6thrust23THRUST_200600_302600_NS4plusItEEEEZZNS1_33reduce_by_key_impl_wrapped_configILNS1_25lookback_scan_determinismE0ES3_S9_NS6_6detail15normal_iteratorINS6_10device_ptrItEEEESG_SG_SG_PmS8_NS6_8equal_toItEEEE10hipError_tPvRmT2_T3_mT4_T5_T6_T7_T8_P12ihipStream_tbENKUlT_T0_E_clISt17integral_constantIbLb1EES10_IbLb0EEEEDaSW_SX_EUlSW_E_NS1_11comp_targetILNS1_3genE0ELNS1_11target_archE4294967295ELNS1_3gpuE0ELNS1_3repE0EEENS1_30default_config_static_selectorELNS0_4arch9wavefront6targetE0EEEvT1_,comdat
	.protected	_ZN7rocprim17ROCPRIM_400000_NS6detail17trampoline_kernelINS0_14default_configENS1_29reduce_by_key_config_selectorIttN6thrust23THRUST_200600_302600_NS4plusItEEEEZZNS1_33reduce_by_key_impl_wrapped_configILNS1_25lookback_scan_determinismE0ES3_S9_NS6_6detail15normal_iteratorINS6_10device_ptrItEEEESG_SG_SG_PmS8_NS6_8equal_toItEEEE10hipError_tPvRmT2_T3_mT4_T5_T6_T7_T8_P12ihipStream_tbENKUlT_T0_E_clISt17integral_constantIbLb1EES10_IbLb0EEEEDaSW_SX_EUlSW_E_NS1_11comp_targetILNS1_3genE0ELNS1_11target_archE4294967295ELNS1_3gpuE0ELNS1_3repE0EEENS1_30default_config_static_selectorELNS0_4arch9wavefront6targetE0EEEvT1_ ; -- Begin function _ZN7rocprim17ROCPRIM_400000_NS6detail17trampoline_kernelINS0_14default_configENS1_29reduce_by_key_config_selectorIttN6thrust23THRUST_200600_302600_NS4plusItEEEEZZNS1_33reduce_by_key_impl_wrapped_configILNS1_25lookback_scan_determinismE0ES3_S9_NS6_6detail15normal_iteratorINS6_10device_ptrItEEEESG_SG_SG_PmS8_NS6_8equal_toItEEEE10hipError_tPvRmT2_T3_mT4_T5_T6_T7_T8_P12ihipStream_tbENKUlT_T0_E_clISt17integral_constantIbLb1EES10_IbLb0EEEEDaSW_SX_EUlSW_E_NS1_11comp_targetILNS1_3genE0ELNS1_11target_archE4294967295ELNS1_3gpuE0ELNS1_3repE0EEENS1_30default_config_static_selectorELNS0_4arch9wavefront6targetE0EEEvT1_
	.globl	_ZN7rocprim17ROCPRIM_400000_NS6detail17trampoline_kernelINS0_14default_configENS1_29reduce_by_key_config_selectorIttN6thrust23THRUST_200600_302600_NS4plusItEEEEZZNS1_33reduce_by_key_impl_wrapped_configILNS1_25lookback_scan_determinismE0ES3_S9_NS6_6detail15normal_iteratorINS6_10device_ptrItEEEESG_SG_SG_PmS8_NS6_8equal_toItEEEE10hipError_tPvRmT2_T3_mT4_T5_T6_T7_T8_P12ihipStream_tbENKUlT_T0_E_clISt17integral_constantIbLb1EES10_IbLb0EEEEDaSW_SX_EUlSW_E_NS1_11comp_targetILNS1_3genE0ELNS1_11target_archE4294967295ELNS1_3gpuE0ELNS1_3repE0EEENS1_30default_config_static_selectorELNS0_4arch9wavefront6targetE0EEEvT1_
	.p2align	8
	.type	_ZN7rocprim17ROCPRIM_400000_NS6detail17trampoline_kernelINS0_14default_configENS1_29reduce_by_key_config_selectorIttN6thrust23THRUST_200600_302600_NS4plusItEEEEZZNS1_33reduce_by_key_impl_wrapped_configILNS1_25lookback_scan_determinismE0ES3_S9_NS6_6detail15normal_iteratorINS6_10device_ptrItEEEESG_SG_SG_PmS8_NS6_8equal_toItEEEE10hipError_tPvRmT2_T3_mT4_T5_T6_T7_T8_P12ihipStream_tbENKUlT_T0_E_clISt17integral_constantIbLb1EES10_IbLb0EEEEDaSW_SX_EUlSW_E_NS1_11comp_targetILNS1_3genE0ELNS1_11target_archE4294967295ELNS1_3gpuE0ELNS1_3repE0EEENS1_30default_config_static_selectorELNS0_4arch9wavefront6targetE0EEEvT1_,@function
_ZN7rocprim17ROCPRIM_400000_NS6detail17trampoline_kernelINS0_14default_configENS1_29reduce_by_key_config_selectorIttN6thrust23THRUST_200600_302600_NS4plusItEEEEZZNS1_33reduce_by_key_impl_wrapped_configILNS1_25lookback_scan_determinismE0ES3_S9_NS6_6detail15normal_iteratorINS6_10device_ptrItEEEESG_SG_SG_PmS8_NS6_8equal_toItEEEE10hipError_tPvRmT2_T3_mT4_T5_T6_T7_T8_P12ihipStream_tbENKUlT_T0_E_clISt17integral_constantIbLb1EES10_IbLb0EEEEDaSW_SX_EUlSW_E_NS1_11comp_targetILNS1_3genE0ELNS1_11target_archE4294967295ELNS1_3gpuE0ELNS1_3repE0EEENS1_30default_config_static_selectorELNS0_4arch9wavefront6targetE0EEEvT1_: ; @_ZN7rocprim17ROCPRIM_400000_NS6detail17trampoline_kernelINS0_14default_configENS1_29reduce_by_key_config_selectorIttN6thrust23THRUST_200600_302600_NS4plusItEEEEZZNS1_33reduce_by_key_impl_wrapped_configILNS1_25lookback_scan_determinismE0ES3_S9_NS6_6detail15normal_iteratorINS6_10device_ptrItEEEESG_SG_SG_PmS8_NS6_8equal_toItEEEE10hipError_tPvRmT2_T3_mT4_T5_T6_T7_T8_P12ihipStream_tbENKUlT_T0_E_clISt17integral_constantIbLb1EES10_IbLb0EEEEDaSW_SX_EUlSW_E_NS1_11comp_targetILNS1_3genE0ELNS1_11target_archE4294967295ELNS1_3gpuE0ELNS1_3repE0EEENS1_30default_config_static_selectorELNS0_4arch9wavefront6targetE0EEEvT1_
; %bb.0:
	.section	.rodata,"a",@progbits
	.p2align	6, 0x0
	.amdhsa_kernel _ZN7rocprim17ROCPRIM_400000_NS6detail17trampoline_kernelINS0_14default_configENS1_29reduce_by_key_config_selectorIttN6thrust23THRUST_200600_302600_NS4plusItEEEEZZNS1_33reduce_by_key_impl_wrapped_configILNS1_25lookback_scan_determinismE0ES3_S9_NS6_6detail15normal_iteratorINS6_10device_ptrItEEEESG_SG_SG_PmS8_NS6_8equal_toItEEEE10hipError_tPvRmT2_T3_mT4_T5_T6_T7_T8_P12ihipStream_tbENKUlT_T0_E_clISt17integral_constantIbLb1EES10_IbLb0EEEEDaSW_SX_EUlSW_E_NS1_11comp_targetILNS1_3genE0ELNS1_11target_archE4294967295ELNS1_3gpuE0ELNS1_3repE0EEENS1_30default_config_static_selectorELNS0_4arch9wavefront6targetE0EEEvT1_
		.amdhsa_group_segment_fixed_size 0
		.amdhsa_private_segment_fixed_size 0
		.amdhsa_kernarg_size 120
		.amdhsa_user_sgpr_count 15
		.amdhsa_user_sgpr_dispatch_ptr 0
		.amdhsa_user_sgpr_queue_ptr 0
		.amdhsa_user_sgpr_kernarg_segment_ptr 1
		.amdhsa_user_sgpr_dispatch_id 0
		.amdhsa_user_sgpr_private_segment_size 0
		.amdhsa_wavefront_size32 1
		.amdhsa_uses_dynamic_stack 0
		.amdhsa_enable_private_segment 0
		.amdhsa_system_sgpr_workgroup_id_x 1
		.amdhsa_system_sgpr_workgroup_id_y 0
		.amdhsa_system_sgpr_workgroup_id_z 0
		.amdhsa_system_sgpr_workgroup_info 0
		.amdhsa_system_vgpr_workitem_id 0
		.amdhsa_next_free_vgpr 1
		.amdhsa_next_free_sgpr 1
		.amdhsa_reserve_vcc 0
		.amdhsa_float_round_mode_32 0
		.amdhsa_float_round_mode_16_64 0
		.amdhsa_float_denorm_mode_32 3
		.amdhsa_float_denorm_mode_16_64 3
		.amdhsa_dx10_clamp 1
		.amdhsa_ieee_mode 1
		.amdhsa_fp16_overflow 0
		.amdhsa_workgroup_processor_mode 1
		.amdhsa_memory_ordered 1
		.amdhsa_forward_progress 0
		.amdhsa_shared_vgpr_count 0
		.amdhsa_exception_fp_ieee_invalid_op 0
		.amdhsa_exception_fp_denorm_src 0
		.amdhsa_exception_fp_ieee_div_zero 0
		.amdhsa_exception_fp_ieee_overflow 0
		.amdhsa_exception_fp_ieee_underflow 0
		.amdhsa_exception_fp_ieee_inexact 0
		.amdhsa_exception_int_div_zero 0
	.end_amdhsa_kernel
	.section	.text._ZN7rocprim17ROCPRIM_400000_NS6detail17trampoline_kernelINS0_14default_configENS1_29reduce_by_key_config_selectorIttN6thrust23THRUST_200600_302600_NS4plusItEEEEZZNS1_33reduce_by_key_impl_wrapped_configILNS1_25lookback_scan_determinismE0ES3_S9_NS6_6detail15normal_iteratorINS6_10device_ptrItEEEESG_SG_SG_PmS8_NS6_8equal_toItEEEE10hipError_tPvRmT2_T3_mT4_T5_T6_T7_T8_P12ihipStream_tbENKUlT_T0_E_clISt17integral_constantIbLb1EES10_IbLb0EEEEDaSW_SX_EUlSW_E_NS1_11comp_targetILNS1_3genE0ELNS1_11target_archE4294967295ELNS1_3gpuE0ELNS1_3repE0EEENS1_30default_config_static_selectorELNS0_4arch9wavefront6targetE0EEEvT1_,"axG",@progbits,_ZN7rocprim17ROCPRIM_400000_NS6detail17trampoline_kernelINS0_14default_configENS1_29reduce_by_key_config_selectorIttN6thrust23THRUST_200600_302600_NS4plusItEEEEZZNS1_33reduce_by_key_impl_wrapped_configILNS1_25lookback_scan_determinismE0ES3_S9_NS6_6detail15normal_iteratorINS6_10device_ptrItEEEESG_SG_SG_PmS8_NS6_8equal_toItEEEE10hipError_tPvRmT2_T3_mT4_T5_T6_T7_T8_P12ihipStream_tbENKUlT_T0_E_clISt17integral_constantIbLb1EES10_IbLb0EEEEDaSW_SX_EUlSW_E_NS1_11comp_targetILNS1_3genE0ELNS1_11target_archE4294967295ELNS1_3gpuE0ELNS1_3repE0EEENS1_30default_config_static_selectorELNS0_4arch9wavefront6targetE0EEEvT1_,comdat
.Lfunc_end412:
	.size	_ZN7rocprim17ROCPRIM_400000_NS6detail17trampoline_kernelINS0_14default_configENS1_29reduce_by_key_config_selectorIttN6thrust23THRUST_200600_302600_NS4plusItEEEEZZNS1_33reduce_by_key_impl_wrapped_configILNS1_25lookback_scan_determinismE0ES3_S9_NS6_6detail15normal_iteratorINS6_10device_ptrItEEEESG_SG_SG_PmS8_NS6_8equal_toItEEEE10hipError_tPvRmT2_T3_mT4_T5_T6_T7_T8_P12ihipStream_tbENKUlT_T0_E_clISt17integral_constantIbLb1EES10_IbLb0EEEEDaSW_SX_EUlSW_E_NS1_11comp_targetILNS1_3genE0ELNS1_11target_archE4294967295ELNS1_3gpuE0ELNS1_3repE0EEENS1_30default_config_static_selectorELNS0_4arch9wavefront6targetE0EEEvT1_, .Lfunc_end412-_ZN7rocprim17ROCPRIM_400000_NS6detail17trampoline_kernelINS0_14default_configENS1_29reduce_by_key_config_selectorIttN6thrust23THRUST_200600_302600_NS4plusItEEEEZZNS1_33reduce_by_key_impl_wrapped_configILNS1_25lookback_scan_determinismE0ES3_S9_NS6_6detail15normal_iteratorINS6_10device_ptrItEEEESG_SG_SG_PmS8_NS6_8equal_toItEEEE10hipError_tPvRmT2_T3_mT4_T5_T6_T7_T8_P12ihipStream_tbENKUlT_T0_E_clISt17integral_constantIbLb1EES10_IbLb0EEEEDaSW_SX_EUlSW_E_NS1_11comp_targetILNS1_3genE0ELNS1_11target_archE4294967295ELNS1_3gpuE0ELNS1_3repE0EEENS1_30default_config_static_selectorELNS0_4arch9wavefront6targetE0EEEvT1_
                                        ; -- End function
	.section	.AMDGPU.csdata,"",@progbits
; Kernel info:
; codeLenInByte = 0
; NumSgprs: 0
; NumVgprs: 0
; ScratchSize: 0
; MemoryBound: 0
; FloatMode: 240
; IeeeMode: 1
; LDSByteSize: 0 bytes/workgroup (compile time only)
; SGPRBlocks: 0
; VGPRBlocks: 0
; NumSGPRsForWavesPerEU: 1
; NumVGPRsForWavesPerEU: 1
; Occupancy: 16
; WaveLimiterHint : 0
; COMPUTE_PGM_RSRC2:SCRATCH_EN: 0
; COMPUTE_PGM_RSRC2:USER_SGPR: 15
; COMPUTE_PGM_RSRC2:TRAP_HANDLER: 0
; COMPUTE_PGM_RSRC2:TGID_X_EN: 1
; COMPUTE_PGM_RSRC2:TGID_Y_EN: 0
; COMPUTE_PGM_RSRC2:TGID_Z_EN: 0
; COMPUTE_PGM_RSRC2:TIDIG_COMP_CNT: 0
	.section	.text._ZN7rocprim17ROCPRIM_400000_NS6detail17trampoline_kernelINS0_14default_configENS1_29reduce_by_key_config_selectorIttN6thrust23THRUST_200600_302600_NS4plusItEEEEZZNS1_33reduce_by_key_impl_wrapped_configILNS1_25lookback_scan_determinismE0ES3_S9_NS6_6detail15normal_iteratorINS6_10device_ptrItEEEESG_SG_SG_PmS8_NS6_8equal_toItEEEE10hipError_tPvRmT2_T3_mT4_T5_T6_T7_T8_P12ihipStream_tbENKUlT_T0_E_clISt17integral_constantIbLb1EES10_IbLb0EEEEDaSW_SX_EUlSW_E_NS1_11comp_targetILNS1_3genE5ELNS1_11target_archE942ELNS1_3gpuE9ELNS1_3repE0EEENS1_30default_config_static_selectorELNS0_4arch9wavefront6targetE0EEEvT1_,"axG",@progbits,_ZN7rocprim17ROCPRIM_400000_NS6detail17trampoline_kernelINS0_14default_configENS1_29reduce_by_key_config_selectorIttN6thrust23THRUST_200600_302600_NS4plusItEEEEZZNS1_33reduce_by_key_impl_wrapped_configILNS1_25lookback_scan_determinismE0ES3_S9_NS6_6detail15normal_iteratorINS6_10device_ptrItEEEESG_SG_SG_PmS8_NS6_8equal_toItEEEE10hipError_tPvRmT2_T3_mT4_T5_T6_T7_T8_P12ihipStream_tbENKUlT_T0_E_clISt17integral_constantIbLb1EES10_IbLb0EEEEDaSW_SX_EUlSW_E_NS1_11comp_targetILNS1_3genE5ELNS1_11target_archE942ELNS1_3gpuE9ELNS1_3repE0EEENS1_30default_config_static_selectorELNS0_4arch9wavefront6targetE0EEEvT1_,comdat
	.protected	_ZN7rocprim17ROCPRIM_400000_NS6detail17trampoline_kernelINS0_14default_configENS1_29reduce_by_key_config_selectorIttN6thrust23THRUST_200600_302600_NS4plusItEEEEZZNS1_33reduce_by_key_impl_wrapped_configILNS1_25lookback_scan_determinismE0ES3_S9_NS6_6detail15normal_iteratorINS6_10device_ptrItEEEESG_SG_SG_PmS8_NS6_8equal_toItEEEE10hipError_tPvRmT2_T3_mT4_T5_T6_T7_T8_P12ihipStream_tbENKUlT_T0_E_clISt17integral_constantIbLb1EES10_IbLb0EEEEDaSW_SX_EUlSW_E_NS1_11comp_targetILNS1_3genE5ELNS1_11target_archE942ELNS1_3gpuE9ELNS1_3repE0EEENS1_30default_config_static_selectorELNS0_4arch9wavefront6targetE0EEEvT1_ ; -- Begin function _ZN7rocprim17ROCPRIM_400000_NS6detail17trampoline_kernelINS0_14default_configENS1_29reduce_by_key_config_selectorIttN6thrust23THRUST_200600_302600_NS4plusItEEEEZZNS1_33reduce_by_key_impl_wrapped_configILNS1_25lookback_scan_determinismE0ES3_S9_NS6_6detail15normal_iteratorINS6_10device_ptrItEEEESG_SG_SG_PmS8_NS6_8equal_toItEEEE10hipError_tPvRmT2_T3_mT4_T5_T6_T7_T8_P12ihipStream_tbENKUlT_T0_E_clISt17integral_constantIbLb1EES10_IbLb0EEEEDaSW_SX_EUlSW_E_NS1_11comp_targetILNS1_3genE5ELNS1_11target_archE942ELNS1_3gpuE9ELNS1_3repE0EEENS1_30default_config_static_selectorELNS0_4arch9wavefront6targetE0EEEvT1_
	.globl	_ZN7rocprim17ROCPRIM_400000_NS6detail17trampoline_kernelINS0_14default_configENS1_29reduce_by_key_config_selectorIttN6thrust23THRUST_200600_302600_NS4plusItEEEEZZNS1_33reduce_by_key_impl_wrapped_configILNS1_25lookback_scan_determinismE0ES3_S9_NS6_6detail15normal_iteratorINS6_10device_ptrItEEEESG_SG_SG_PmS8_NS6_8equal_toItEEEE10hipError_tPvRmT2_T3_mT4_T5_T6_T7_T8_P12ihipStream_tbENKUlT_T0_E_clISt17integral_constantIbLb1EES10_IbLb0EEEEDaSW_SX_EUlSW_E_NS1_11comp_targetILNS1_3genE5ELNS1_11target_archE942ELNS1_3gpuE9ELNS1_3repE0EEENS1_30default_config_static_selectorELNS0_4arch9wavefront6targetE0EEEvT1_
	.p2align	8
	.type	_ZN7rocprim17ROCPRIM_400000_NS6detail17trampoline_kernelINS0_14default_configENS1_29reduce_by_key_config_selectorIttN6thrust23THRUST_200600_302600_NS4plusItEEEEZZNS1_33reduce_by_key_impl_wrapped_configILNS1_25lookback_scan_determinismE0ES3_S9_NS6_6detail15normal_iteratorINS6_10device_ptrItEEEESG_SG_SG_PmS8_NS6_8equal_toItEEEE10hipError_tPvRmT2_T3_mT4_T5_T6_T7_T8_P12ihipStream_tbENKUlT_T0_E_clISt17integral_constantIbLb1EES10_IbLb0EEEEDaSW_SX_EUlSW_E_NS1_11comp_targetILNS1_3genE5ELNS1_11target_archE942ELNS1_3gpuE9ELNS1_3repE0EEENS1_30default_config_static_selectorELNS0_4arch9wavefront6targetE0EEEvT1_,@function
_ZN7rocprim17ROCPRIM_400000_NS6detail17trampoline_kernelINS0_14default_configENS1_29reduce_by_key_config_selectorIttN6thrust23THRUST_200600_302600_NS4plusItEEEEZZNS1_33reduce_by_key_impl_wrapped_configILNS1_25lookback_scan_determinismE0ES3_S9_NS6_6detail15normal_iteratorINS6_10device_ptrItEEEESG_SG_SG_PmS8_NS6_8equal_toItEEEE10hipError_tPvRmT2_T3_mT4_T5_T6_T7_T8_P12ihipStream_tbENKUlT_T0_E_clISt17integral_constantIbLb1EES10_IbLb0EEEEDaSW_SX_EUlSW_E_NS1_11comp_targetILNS1_3genE5ELNS1_11target_archE942ELNS1_3gpuE9ELNS1_3repE0EEENS1_30default_config_static_selectorELNS0_4arch9wavefront6targetE0EEEvT1_: ; @_ZN7rocprim17ROCPRIM_400000_NS6detail17trampoline_kernelINS0_14default_configENS1_29reduce_by_key_config_selectorIttN6thrust23THRUST_200600_302600_NS4plusItEEEEZZNS1_33reduce_by_key_impl_wrapped_configILNS1_25lookback_scan_determinismE0ES3_S9_NS6_6detail15normal_iteratorINS6_10device_ptrItEEEESG_SG_SG_PmS8_NS6_8equal_toItEEEE10hipError_tPvRmT2_T3_mT4_T5_T6_T7_T8_P12ihipStream_tbENKUlT_T0_E_clISt17integral_constantIbLb1EES10_IbLb0EEEEDaSW_SX_EUlSW_E_NS1_11comp_targetILNS1_3genE5ELNS1_11target_archE942ELNS1_3gpuE9ELNS1_3repE0EEENS1_30default_config_static_selectorELNS0_4arch9wavefront6targetE0EEEvT1_
; %bb.0:
	.section	.rodata,"a",@progbits
	.p2align	6, 0x0
	.amdhsa_kernel _ZN7rocprim17ROCPRIM_400000_NS6detail17trampoline_kernelINS0_14default_configENS1_29reduce_by_key_config_selectorIttN6thrust23THRUST_200600_302600_NS4plusItEEEEZZNS1_33reduce_by_key_impl_wrapped_configILNS1_25lookback_scan_determinismE0ES3_S9_NS6_6detail15normal_iteratorINS6_10device_ptrItEEEESG_SG_SG_PmS8_NS6_8equal_toItEEEE10hipError_tPvRmT2_T3_mT4_T5_T6_T7_T8_P12ihipStream_tbENKUlT_T0_E_clISt17integral_constantIbLb1EES10_IbLb0EEEEDaSW_SX_EUlSW_E_NS1_11comp_targetILNS1_3genE5ELNS1_11target_archE942ELNS1_3gpuE9ELNS1_3repE0EEENS1_30default_config_static_selectorELNS0_4arch9wavefront6targetE0EEEvT1_
		.amdhsa_group_segment_fixed_size 0
		.amdhsa_private_segment_fixed_size 0
		.amdhsa_kernarg_size 120
		.amdhsa_user_sgpr_count 15
		.amdhsa_user_sgpr_dispatch_ptr 0
		.amdhsa_user_sgpr_queue_ptr 0
		.amdhsa_user_sgpr_kernarg_segment_ptr 1
		.amdhsa_user_sgpr_dispatch_id 0
		.amdhsa_user_sgpr_private_segment_size 0
		.amdhsa_wavefront_size32 1
		.amdhsa_uses_dynamic_stack 0
		.amdhsa_enable_private_segment 0
		.amdhsa_system_sgpr_workgroup_id_x 1
		.amdhsa_system_sgpr_workgroup_id_y 0
		.amdhsa_system_sgpr_workgroup_id_z 0
		.amdhsa_system_sgpr_workgroup_info 0
		.amdhsa_system_vgpr_workitem_id 0
		.amdhsa_next_free_vgpr 1
		.amdhsa_next_free_sgpr 1
		.amdhsa_reserve_vcc 0
		.amdhsa_float_round_mode_32 0
		.amdhsa_float_round_mode_16_64 0
		.amdhsa_float_denorm_mode_32 3
		.amdhsa_float_denorm_mode_16_64 3
		.amdhsa_dx10_clamp 1
		.amdhsa_ieee_mode 1
		.amdhsa_fp16_overflow 0
		.amdhsa_workgroup_processor_mode 1
		.amdhsa_memory_ordered 1
		.amdhsa_forward_progress 0
		.amdhsa_shared_vgpr_count 0
		.amdhsa_exception_fp_ieee_invalid_op 0
		.amdhsa_exception_fp_denorm_src 0
		.amdhsa_exception_fp_ieee_div_zero 0
		.amdhsa_exception_fp_ieee_overflow 0
		.amdhsa_exception_fp_ieee_underflow 0
		.amdhsa_exception_fp_ieee_inexact 0
		.amdhsa_exception_int_div_zero 0
	.end_amdhsa_kernel
	.section	.text._ZN7rocprim17ROCPRIM_400000_NS6detail17trampoline_kernelINS0_14default_configENS1_29reduce_by_key_config_selectorIttN6thrust23THRUST_200600_302600_NS4plusItEEEEZZNS1_33reduce_by_key_impl_wrapped_configILNS1_25lookback_scan_determinismE0ES3_S9_NS6_6detail15normal_iteratorINS6_10device_ptrItEEEESG_SG_SG_PmS8_NS6_8equal_toItEEEE10hipError_tPvRmT2_T3_mT4_T5_T6_T7_T8_P12ihipStream_tbENKUlT_T0_E_clISt17integral_constantIbLb1EES10_IbLb0EEEEDaSW_SX_EUlSW_E_NS1_11comp_targetILNS1_3genE5ELNS1_11target_archE942ELNS1_3gpuE9ELNS1_3repE0EEENS1_30default_config_static_selectorELNS0_4arch9wavefront6targetE0EEEvT1_,"axG",@progbits,_ZN7rocprim17ROCPRIM_400000_NS6detail17trampoline_kernelINS0_14default_configENS1_29reduce_by_key_config_selectorIttN6thrust23THRUST_200600_302600_NS4plusItEEEEZZNS1_33reduce_by_key_impl_wrapped_configILNS1_25lookback_scan_determinismE0ES3_S9_NS6_6detail15normal_iteratorINS6_10device_ptrItEEEESG_SG_SG_PmS8_NS6_8equal_toItEEEE10hipError_tPvRmT2_T3_mT4_T5_T6_T7_T8_P12ihipStream_tbENKUlT_T0_E_clISt17integral_constantIbLb1EES10_IbLb0EEEEDaSW_SX_EUlSW_E_NS1_11comp_targetILNS1_3genE5ELNS1_11target_archE942ELNS1_3gpuE9ELNS1_3repE0EEENS1_30default_config_static_selectorELNS0_4arch9wavefront6targetE0EEEvT1_,comdat
.Lfunc_end413:
	.size	_ZN7rocprim17ROCPRIM_400000_NS6detail17trampoline_kernelINS0_14default_configENS1_29reduce_by_key_config_selectorIttN6thrust23THRUST_200600_302600_NS4plusItEEEEZZNS1_33reduce_by_key_impl_wrapped_configILNS1_25lookback_scan_determinismE0ES3_S9_NS6_6detail15normal_iteratorINS6_10device_ptrItEEEESG_SG_SG_PmS8_NS6_8equal_toItEEEE10hipError_tPvRmT2_T3_mT4_T5_T6_T7_T8_P12ihipStream_tbENKUlT_T0_E_clISt17integral_constantIbLb1EES10_IbLb0EEEEDaSW_SX_EUlSW_E_NS1_11comp_targetILNS1_3genE5ELNS1_11target_archE942ELNS1_3gpuE9ELNS1_3repE0EEENS1_30default_config_static_selectorELNS0_4arch9wavefront6targetE0EEEvT1_, .Lfunc_end413-_ZN7rocprim17ROCPRIM_400000_NS6detail17trampoline_kernelINS0_14default_configENS1_29reduce_by_key_config_selectorIttN6thrust23THRUST_200600_302600_NS4plusItEEEEZZNS1_33reduce_by_key_impl_wrapped_configILNS1_25lookback_scan_determinismE0ES3_S9_NS6_6detail15normal_iteratorINS6_10device_ptrItEEEESG_SG_SG_PmS8_NS6_8equal_toItEEEE10hipError_tPvRmT2_T3_mT4_T5_T6_T7_T8_P12ihipStream_tbENKUlT_T0_E_clISt17integral_constantIbLb1EES10_IbLb0EEEEDaSW_SX_EUlSW_E_NS1_11comp_targetILNS1_3genE5ELNS1_11target_archE942ELNS1_3gpuE9ELNS1_3repE0EEENS1_30default_config_static_selectorELNS0_4arch9wavefront6targetE0EEEvT1_
                                        ; -- End function
	.section	.AMDGPU.csdata,"",@progbits
; Kernel info:
; codeLenInByte = 0
; NumSgprs: 0
; NumVgprs: 0
; ScratchSize: 0
; MemoryBound: 0
; FloatMode: 240
; IeeeMode: 1
; LDSByteSize: 0 bytes/workgroup (compile time only)
; SGPRBlocks: 0
; VGPRBlocks: 0
; NumSGPRsForWavesPerEU: 1
; NumVGPRsForWavesPerEU: 1
; Occupancy: 16
; WaveLimiterHint : 0
; COMPUTE_PGM_RSRC2:SCRATCH_EN: 0
; COMPUTE_PGM_RSRC2:USER_SGPR: 15
; COMPUTE_PGM_RSRC2:TRAP_HANDLER: 0
; COMPUTE_PGM_RSRC2:TGID_X_EN: 1
; COMPUTE_PGM_RSRC2:TGID_Y_EN: 0
; COMPUTE_PGM_RSRC2:TGID_Z_EN: 0
; COMPUTE_PGM_RSRC2:TIDIG_COMP_CNT: 0
	.section	.text._ZN7rocprim17ROCPRIM_400000_NS6detail17trampoline_kernelINS0_14default_configENS1_29reduce_by_key_config_selectorIttN6thrust23THRUST_200600_302600_NS4plusItEEEEZZNS1_33reduce_by_key_impl_wrapped_configILNS1_25lookback_scan_determinismE0ES3_S9_NS6_6detail15normal_iteratorINS6_10device_ptrItEEEESG_SG_SG_PmS8_NS6_8equal_toItEEEE10hipError_tPvRmT2_T3_mT4_T5_T6_T7_T8_P12ihipStream_tbENKUlT_T0_E_clISt17integral_constantIbLb1EES10_IbLb0EEEEDaSW_SX_EUlSW_E_NS1_11comp_targetILNS1_3genE4ELNS1_11target_archE910ELNS1_3gpuE8ELNS1_3repE0EEENS1_30default_config_static_selectorELNS0_4arch9wavefront6targetE0EEEvT1_,"axG",@progbits,_ZN7rocprim17ROCPRIM_400000_NS6detail17trampoline_kernelINS0_14default_configENS1_29reduce_by_key_config_selectorIttN6thrust23THRUST_200600_302600_NS4plusItEEEEZZNS1_33reduce_by_key_impl_wrapped_configILNS1_25lookback_scan_determinismE0ES3_S9_NS6_6detail15normal_iteratorINS6_10device_ptrItEEEESG_SG_SG_PmS8_NS6_8equal_toItEEEE10hipError_tPvRmT2_T3_mT4_T5_T6_T7_T8_P12ihipStream_tbENKUlT_T0_E_clISt17integral_constantIbLb1EES10_IbLb0EEEEDaSW_SX_EUlSW_E_NS1_11comp_targetILNS1_3genE4ELNS1_11target_archE910ELNS1_3gpuE8ELNS1_3repE0EEENS1_30default_config_static_selectorELNS0_4arch9wavefront6targetE0EEEvT1_,comdat
	.protected	_ZN7rocprim17ROCPRIM_400000_NS6detail17trampoline_kernelINS0_14default_configENS1_29reduce_by_key_config_selectorIttN6thrust23THRUST_200600_302600_NS4plusItEEEEZZNS1_33reduce_by_key_impl_wrapped_configILNS1_25lookback_scan_determinismE0ES3_S9_NS6_6detail15normal_iteratorINS6_10device_ptrItEEEESG_SG_SG_PmS8_NS6_8equal_toItEEEE10hipError_tPvRmT2_T3_mT4_T5_T6_T7_T8_P12ihipStream_tbENKUlT_T0_E_clISt17integral_constantIbLb1EES10_IbLb0EEEEDaSW_SX_EUlSW_E_NS1_11comp_targetILNS1_3genE4ELNS1_11target_archE910ELNS1_3gpuE8ELNS1_3repE0EEENS1_30default_config_static_selectorELNS0_4arch9wavefront6targetE0EEEvT1_ ; -- Begin function _ZN7rocprim17ROCPRIM_400000_NS6detail17trampoline_kernelINS0_14default_configENS1_29reduce_by_key_config_selectorIttN6thrust23THRUST_200600_302600_NS4plusItEEEEZZNS1_33reduce_by_key_impl_wrapped_configILNS1_25lookback_scan_determinismE0ES3_S9_NS6_6detail15normal_iteratorINS6_10device_ptrItEEEESG_SG_SG_PmS8_NS6_8equal_toItEEEE10hipError_tPvRmT2_T3_mT4_T5_T6_T7_T8_P12ihipStream_tbENKUlT_T0_E_clISt17integral_constantIbLb1EES10_IbLb0EEEEDaSW_SX_EUlSW_E_NS1_11comp_targetILNS1_3genE4ELNS1_11target_archE910ELNS1_3gpuE8ELNS1_3repE0EEENS1_30default_config_static_selectorELNS0_4arch9wavefront6targetE0EEEvT1_
	.globl	_ZN7rocprim17ROCPRIM_400000_NS6detail17trampoline_kernelINS0_14default_configENS1_29reduce_by_key_config_selectorIttN6thrust23THRUST_200600_302600_NS4plusItEEEEZZNS1_33reduce_by_key_impl_wrapped_configILNS1_25lookback_scan_determinismE0ES3_S9_NS6_6detail15normal_iteratorINS6_10device_ptrItEEEESG_SG_SG_PmS8_NS6_8equal_toItEEEE10hipError_tPvRmT2_T3_mT4_T5_T6_T7_T8_P12ihipStream_tbENKUlT_T0_E_clISt17integral_constantIbLb1EES10_IbLb0EEEEDaSW_SX_EUlSW_E_NS1_11comp_targetILNS1_3genE4ELNS1_11target_archE910ELNS1_3gpuE8ELNS1_3repE0EEENS1_30default_config_static_selectorELNS0_4arch9wavefront6targetE0EEEvT1_
	.p2align	8
	.type	_ZN7rocprim17ROCPRIM_400000_NS6detail17trampoline_kernelINS0_14default_configENS1_29reduce_by_key_config_selectorIttN6thrust23THRUST_200600_302600_NS4plusItEEEEZZNS1_33reduce_by_key_impl_wrapped_configILNS1_25lookback_scan_determinismE0ES3_S9_NS6_6detail15normal_iteratorINS6_10device_ptrItEEEESG_SG_SG_PmS8_NS6_8equal_toItEEEE10hipError_tPvRmT2_T3_mT4_T5_T6_T7_T8_P12ihipStream_tbENKUlT_T0_E_clISt17integral_constantIbLb1EES10_IbLb0EEEEDaSW_SX_EUlSW_E_NS1_11comp_targetILNS1_3genE4ELNS1_11target_archE910ELNS1_3gpuE8ELNS1_3repE0EEENS1_30default_config_static_selectorELNS0_4arch9wavefront6targetE0EEEvT1_,@function
_ZN7rocprim17ROCPRIM_400000_NS6detail17trampoline_kernelINS0_14default_configENS1_29reduce_by_key_config_selectorIttN6thrust23THRUST_200600_302600_NS4plusItEEEEZZNS1_33reduce_by_key_impl_wrapped_configILNS1_25lookback_scan_determinismE0ES3_S9_NS6_6detail15normal_iteratorINS6_10device_ptrItEEEESG_SG_SG_PmS8_NS6_8equal_toItEEEE10hipError_tPvRmT2_T3_mT4_T5_T6_T7_T8_P12ihipStream_tbENKUlT_T0_E_clISt17integral_constantIbLb1EES10_IbLb0EEEEDaSW_SX_EUlSW_E_NS1_11comp_targetILNS1_3genE4ELNS1_11target_archE910ELNS1_3gpuE8ELNS1_3repE0EEENS1_30default_config_static_selectorELNS0_4arch9wavefront6targetE0EEEvT1_: ; @_ZN7rocprim17ROCPRIM_400000_NS6detail17trampoline_kernelINS0_14default_configENS1_29reduce_by_key_config_selectorIttN6thrust23THRUST_200600_302600_NS4plusItEEEEZZNS1_33reduce_by_key_impl_wrapped_configILNS1_25lookback_scan_determinismE0ES3_S9_NS6_6detail15normal_iteratorINS6_10device_ptrItEEEESG_SG_SG_PmS8_NS6_8equal_toItEEEE10hipError_tPvRmT2_T3_mT4_T5_T6_T7_T8_P12ihipStream_tbENKUlT_T0_E_clISt17integral_constantIbLb1EES10_IbLb0EEEEDaSW_SX_EUlSW_E_NS1_11comp_targetILNS1_3genE4ELNS1_11target_archE910ELNS1_3gpuE8ELNS1_3repE0EEENS1_30default_config_static_selectorELNS0_4arch9wavefront6targetE0EEEvT1_
; %bb.0:
	.section	.rodata,"a",@progbits
	.p2align	6, 0x0
	.amdhsa_kernel _ZN7rocprim17ROCPRIM_400000_NS6detail17trampoline_kernelINS0_14default_configENS1_29reduce_by_key_config_selectorIttN6thrust23THRUST_200600_302600_NS4plusItEEEEZZNS1_33reduce_by_key_impl_wrapped_configILNS1_25lookback_scan_determinismE0ES3_S9_NS6_6detail15normal_iteratorINS6_10device_ptrItEEEESG_SG_SG_PmS8_NS6_8equal_toItEEEE10hipError_tPvRmT2_T3_mT4_T5_T6_T7_T8_P12ihipStream_tbENKUlT_T0_E_clISt17integral_constantIbLb1EES10_IbLb0EEEEDaSW_SX_EUlSW_E_NS1_11comp_targetILNS1_3genE4ELNS1_11target_archE910ELNS1_3gpuE8ELNS1_3repE0EEENS1_30default_config_static_selectorELNS0_4arch9wavefront6targetE0EEEvT1_
		.amdhsa_group_segment_fixed_size 0
		.amdhsa_private_segment_fixed_size 0
		.amdhsa_kernarg_size 120
		.amdhsa_user_sgpr_count 15
		.amdhsa_user_sgpr_dispatch_ptr 0
		.amdhsa_user_sgpr_queue_ptr 0
		.amdhsa_user_sgpr_kernarg_segment_ptr 1
		.amdhsa_user_sgpr_dispatch_id 0
		.amdhsa_user_sgpr_private_segment_size 0
		.amdhsa_wavefront_size32 1
		.amdhsa_uses_dynamic_stack 0
		.amdhsa_enable_private_segment 0
		.amdhsa_system_sgpr_workgroup_id_x 1
		.amdhsa_system_sgpr_workgroup_id_y 0
		.amdhsa_system_sgpr_workgroup_id_z 0
		.amdhsa_system_sgpr_workgroup_info 0
		.amdhsa_system_vgpr_workitem_id 0
		.amdhsa_next_free_vgpr 1
		.amdhsa_next_free_sgpr 1
		.amdhsa_reserve_vcc 0
		.amdhsa_float_round_mode_32 0
		.amdhsa_float_round_mode_16_64 0
		.amdhsa_float_denorm_mode_32 3
		.amdhsa_float_denorm_mode_16_64 3
		.amdhsa_dx10_clamp 1
		.amdhsa_ieee_mode 1
		.amdhsa_fp16_overflow 0
		.amdhsa_workgroup_processor_mode 1
		.amdhsa_memory_ordered 1
		.amdhsa_forward_progress 0
		.amdhsa_shared_vgpr_count 0
		.amdhsa_exception_fp_ieee_invalid_op 0
		.amdhsa_exception_fp_denorm_src 0
		.amdhsa_exception_fp_ieee_div_zero 0
		.amdhsa_exception_fp_ieee_overflow 0
		.amdhsa_exception_fp_ieee_underflow 0
		.amdhsa_exception_fp_ieee_inexact 0
		.amdhsa_exception_int_div_zero 0
	.end_amdhsa_kernel
	.section	.text._ZN7rocprim17ROCPRIM_400000_NS6detail17trampoline_kernelINS0_14default_configENS1_29reduce_by_key_config_selectorIttN6thrust23THRUST_200600_302600_NS4plusItEEEEZZNS1_33reduce_by_key_impl_wrapped_configILNS1_25lookback_scan_determinismE0ES3_S9_NS6_6detail15normal_iteratorINS6_10device_ptrItEEEESG_SG_SG_PmS8_NS6_8equal_toItEEEE10hipError_tPvRmT2_T3_mT4_T5_T6_T7_T8_P12ihipStream_tbENKUlT_T0_E_clISt17integral_constantIbLb1EES10_IbLb0EEEEDaSW_SX_EUlSW_E_NS1_11comp_targetILNS1_3genE4ELNS1_11target_archE910ELNS1_3gpuE8ELNS1_3repE0EEENS1_30default_config_static_selectorELNS0_4arch9wavefront6targetE0EEEvT1_,"axG",@progbits,_ZN7rocprim17ROCPRIM_400000_NS6detail17trampoline_kernelINS0_14default_configENS1_29reduce_by_key_config_selectorIttN6thrust23THRUST_200600_302600_NS4plusItEEEEZZNS1_33reduce_by_key_impl_wrapped_configILNS1_25lookback_scan_determinismE0ES3_S9_NS6_6detail15normal_iteratorINS6_10device_ptrItEEEESG_SG_SG_PmS8_NS6_8equal_toItEEEE10hipError_tPvRmT2_T3_mT4_T5_T6_T7_T8_P12ihipStream_tbENKUlT_T0_E_clISt17integral_constantIbLb1EES10_IbLb0EEEEDaSW_SX_EUlSW_E_NS1_11comp_targetILNS1_3genE4ELNS1_11target_archE910ELNS1_3gpuE8ELNS1_3repE0EEENS1_30default_config_static_selectorELNS0_4arch9wavefront6targetE0EEEvT1_,comdat
.Lfunc_end414:
	.size	_ZN7rocprim17ROCPRIM_400000_NS6detail17trampoline_kernelINS0_14default_configENS1_29reduce_by_key_config_selectorIttN6thrust23THRUST_200600_302600_NS4plusItEEEEZZNS1_33reduce_by_key_impl_wrapped_configILNS1_25lookback_scan_determinismE0ES3_S9_NS6_6detail15normal_iteratorINS6_10device_ptrItEEEESG_SG_SG_PmS8_NS6_8equal_toItEEEE10hipError_tPvRmT2_T3_mT4_T5_T6_T7_T8_P12ihipStream_tbENKUlT_T0_E_clISt17integral_constantIbLb1EES10_IbLb0EEEEDaSW_SX_EUlSW_E_NS1_11comp_targetILNS1_3genE4ELNS1_11target_archE910ELNS1_3gpuE8ELNS1_3repE0EEENS1_30default_config_static_selectorELNS0_4arch9wavefront6targetE0EEEvT1_, .Lfunc_end414-_ZN7rocprim17ROCPRIM_400000_NS6detail17trampoline_kernelINS0_14default_configENS1_29reduce_by_key_config_selectorIttN6thrust23THRUST_200600_302600_NS4plusItEEEEZZNS1_33reduce_by_key_impl_wrapped_configILNS1_25lookback_scan_determinismE0ES3_S9_NS6_6detail15normal_iteratorINS6_10device_ptrItEEEESG_SG_SG_PmS8_NS6_8equal_toItEEEE10hipError_tPvRmT2_T3_mT4_T5_T6_T7_T8_P12ihipStream_tbENKUlT_T0_E_clISt17integral_constantIbLb1EES10_IbLb0EEEEDaSW_SX_EUlSW_E_NS1_11comp_targetILNS1_3genE4ELNS1_11target_archE910ELNS1_3gpuE8ELNS1_3repE0EEENS1_30default_config_static_selectorELNS0_4arch9wavefront6targetE0EEEvT1_
                                        ; -- End function
	.section	.AMDGPU.csdata,"",@progbits
; Kernel info:
; codeLenInByte = 0
; NumSgprs: 0
; NumVgprs: 0
; ScratchSize: 0
; MemoryBound: 0
; FloatMode: 240
; IeeeMode: 1
; LDSByteSize: 0 bytes/workgroup (compile time only)
; SGPRBlocks: 0
; VGPRBlocks: 0
; NumSGPRsForWavesPerEU: 1
; NumVGPRsForWavesPerEU: 1
; Occupancy: 16
; WaveLimiterHint : 0
; COMPUTE_PGM_RSRC2:SCRATCH_EN: 0
; COMPUTE_PGM_RSRC2:USER_SGPR: 15
; COMPUTE_PGM_RSRC2:TRAP_HANDLER: 0
; COMPUTE_PGM_RSRC2:TGID_X_EN: 1
; COMPUTE_PGM_RSRC2:TGID_Y_EN: 0
; COMPUTE_PGM_RSRC2:TGID_Z_EN: 0
; COMPUTE_PGM_RSRC2:TIDIG_COMP_CNT: 0
	.section	.text._ZN7rocprim17ROCPRIM_400000_NS6detail17trampoline_kernelINS0_14default_configENS1_29reduce_by_key_config_selectorIttN6thrust23THRUST_200600_302600_NS4plusItEEEEZZNS1_33reduce_by_key_impl_wrapped_configILNS1_25lookback_scan_determinismE0ES3_S9_NS6_6detail15normal_iteratorINS6_10device_ptrItEEEESG_SG_SG_PmS8_NS6_8equal_toItEEEE10hipError_tPvRmT2_T3_mT4_T5_T6_T7_T8_P12ihipStream_tbENKUlT_T0_E_clISt17integral_constantIbLb1EES10_IbLb0EEEEDaSW_SX_EUlSW_E_NS1_11comp_targetILNS1_3genE3ELNS1_11target_archE908ELNS1_3gpuE7ELNS1_3repE0EEENS1_30default_config_static_selectorELNS0_4arch9wavefront6targetE0EEEvT1_,"axG",@progbits,_ZN7rocprim17ROCPRIM_400000_NS6detail17trampoline_kernelINS0_14default_configENS1_29reduce_by_key_config_selectorIttN6thrust23THRUST_200600_302600_NS4plusItEEEEZZNS1_33reduce_by_key_impl_wrapped_configILNS1_25lookback_scan_determinismE0ES3_S9_NS6_6detail15normal_iteratorINS6_10device_ptrItEEEESG_SG_SG_PmS8_NS6_8equal_toItEEEE10hipError_tPvRmT2_T3_mT4_T5_T6_T7_T8_P12ihipStream_tbENKUlT_T0_E_clISt17integral_constantIbLb1EES10_IbLb0EEEEDaSW_SX_EUlSW_E_NS1_11comp_targetILNS1_3genE3ELNS1_11target_archE908ELNS1_3gpuE7ELNS1_3repE0EEENS1_30default_config_static_selectorELNS0_4arch9wavefront6targetE0EEEvT1_,comdat
	.protected	_ZN7rocprim17ROCPRIM_400000_NS6detail17trampoline_kernelINS0_14default_configENS1_29reduce_by_key_config_selectorIttN6thrust23THRUST_200600_302600_NS4plusItEEEEZZNS1_33reduce_by_key_impl_wrapped_configILNS1_25lookback_scan_determinismE0ES3_S9_NS6_6detail15normal_iteratorINS6_10device_ptrItEEEESG_SG_SG_PmS8_NS6_8equal_toItEEEE10hipError_tPvRmT2_T3_mT4_T5_T6_T7_T8_P12ihipStream_tbENKUlT_T0_E_clISt17integral_constantIbLb1EES10_IbLb0EEEEDaSW_SX_EUlSW_E_NS1_11comp_targetILNS1_3genE3ELNS1_11target_archE908ELNS1_3gpuE7ELNS1_3repE0EEENS1_30default_config_static_selectorELNS0_4arch9wavefront6targetE0EEEvT1_ ; -- Begin function _ZN7rocprim17ROCPRIM_400000_NS6detail17trampoline_kernelINS0_14default_configENS1_29reduce_by_key_config_selectorIttN6thrust23THRUST_200600_302600_NS4plusItEEEEZZNS1_33reduce_by_key_impl_wrapped_configILNS1_25lookback_scan_determinismE0ES3_S9_NS6_6detail15normal_iteratorINS6_10device_ptrItEEEESG_SG_SG_PmS8_NS6_8equal_toItEEEE10hipError_tPvRmT2_T3_mT4_T5_T6_T7_T8_P12ihipStream_tbENKUlT_T0_E_clISt17integral_constantIbLb1EES10_IbLb0EEEEDaSW_SX_EUlSW_E_NS1_11comp_targetILNS1_3genE3ELNS1_11target_archE908ELNS1_3gpuE7ELNS1_3repE0EEENS1_30default_config_static_selectorELNS0_4arch9wavefront6targetE0EEEvT1_
	.globl	_ZN7rocprim17ROCPRIM_400000_NS6detail17trampoline_kernelINS0_14default_configENS1_29reduce_by_key_config_selectorIttN6thrust23THRUST_200600_302600_NS4plusItEEEEZZNS1_33reduce_by_key_impl_wrapped_configILNS1_25lookback_scan_determinismE0ES3_S9_NS6_6detail15normal_iteratorINS6_10device_ptrItEEEESG_SG_SG_PmS8_NS6_8equal_toItEEEE10hipError_tPvRmT2_T3_mT4_T5_T6_T7_T8_P12ihipStream_tbENKUlT_T0_E_clISt17integral_constantIbLb1EES10_IbLb0EEEEDaSW_SX_EUlSW_E_NS1_11comp_targetILNS1_3genE3ELNS1_11target_archE908ELNS1_3gpuE7ELNS1_3repE0EEENS1_30default_config_static_selectorELNS0_4arch9wavefront6targetE0EEEvT1_
	.p2align	8
	.type	_ZN7rocprim17ROCPRIM_400000_NS6detail17trampoline_kernelINS0_14default_configENS1_29reduce_by_key_config_selectorIttN6thrust23THRUST_200600_302600_NS4plusItEEEEZZNS1_33reduce_by_key_impl_wrapped_configILNS1_25lookback_scan_determinismE0ES3_S9_NS6_6detail15normal_iteratorINS6_10device_ptrItEEEESG_SG_SG_PmS8_NS6_8equal_toItEEEE10hipError_tPvRmT2_T3_mT4_T5_T6_T7_T8_P12ihipStream_tbENKUlT_T0_E_clISt17integral_constantIbLb1EES10_IbLb0EEEEDaSW_SX_EUlSW_E_NS1_11comp_targetILNS1_3genE3ELNS1_11target_archE908ELNS1_3gpuE7ELNS1_3repE0EEENS1_30default_config_static_selectorELNS0_4arch9wavefront6targetE0EEEvT1_,@function
_ZN7rocprim17ROCPRIM_400000_NS6detail17trampoline_kernelINS0_14default_configENS1_29reduce_by_key_config_selectorIttN6thrust23THRUST_200600_302600_NS4plusItEEEEZZNS1_33reduce_by_key_impl_wrapped_configILNS1_25lookback_scan_determinismE0ES3_S9_NS6_6detail15normal_iteratorINS6_10device_ptrItEEEESG_SG_SG_PmS8_NS6_8equal_toItEEEE10hipError_tPvRmT2_T3_mT4_T5_T6_T7_T8_P12ihipStream_tbENKUlT_T0_E_clISt17integral_constantIbLb1EES10_IbLb0EEEEDaSW_SX_EUlSW_E_NS1_11comp_targetILNS1_3genE3ELNS1_11target_archE908ELNS1_3gpuE7ELNS1_3repE0EEENS1_30default_config_static_selectorELNS0_4arch9wavefront6targetE0EEEvT1_: ; @_ZN7rocprim17ROCPRIM_400000_NS6detail17trampoline_kernelINS0_14default_configENS1_29reduce_by_key_config_selectorIttN6thrust23THRUST_200600_302600_NS4plusItEEEEZZNS1_33reduce_by_key_impl_wrapped_configILNS1_25lookback_scan_determinismE0ES3_S9_NS6_6detail15normal_iteratorINS6_10device_ptrItEEEESG_SG_SG_PmS8_NS6_8equal_toItEEEE10hipError_tPvRmT2_T3_mT4_T5_T6_T7_T8_P12ihipStream_tbENKUlT_T0_E_clISt17integral_constantIbLb1EES10_IbLb0EEEEDaSW_SX_EUlSW_E_NS1_11comp_targetILNS1_3genE3ELNS1_11target_archE908ELNS1_3gpuE7ELNS1_3repE0EEENS1_30default_config_static_selectorELNS0_4arch9wavefront6targetE0EEEvT1_
; %bb.0:
	.section	.rodata,"a",@progbits
	.p2align	6, 0x0
	.amdhsa_kernel _ZN7rocprim17ROCPRIM_400000_NS6detail17trampoline_kernelINS0_14default_configENS1_29reduce_by_key_config_selectorIttN6thrust23THRUST_200600_302600_NS4plusItEEEEZZNS1_33reduce_by_key_impl_wrapped_configILNS1_25lookback_scan_determinismE0ES3_S9_NS6_6detail15normal_iteratorINS6_10device_ptrItEEEESG_SG_SG_PmS8_NS6_8equal_toItEEEE10hipError_tPvRmT2_T3_mT4_T5_T6_T7_T8_P12ihipStream_tbENKUlT_T0_E_clISt17integral_constantIbLb1EES10_IbLb0EEEEDaSW_SX_EUlSW_E_NS1_11comp_targetILNS1_3genE3ELNS1_11target_archE908ELNS1_3gpuE7ELNS1_3repE0EEENS1_30default_config_static_selectorELNS0_4arch9wavefront6targetE0EEEvT1_
		.amdhsa_group_segment_fixed_size 0
		.amdhsa_private_segment_fixed_size 0
		.amdhsa_kernarg_size 120
		.amdhsa_user_sgpr_count 15
		.amdhsa_user_sgpr_dispatch_ptr 0
		.amdhsa_user_sgpr_queue_ptr 0
		.amdhsa_user_sgpr_kernarg_segment_ptr 1
		.amdhsa_user_sgpr_dispatch_id 0
		.amdhsa_user_sgpr_private_segment_size 0
		.amdhsa_wavefront_size32 1
		.amdhsa_uses_dynamic_stack 0
		.amdhsa_enable_private_segment 0
		.amdhsa_system_sgpr_workgroup_id_x 1
		.amdhsa_system_sgpr_workgroup_id_y 0
		.amdhsa_system_sgpr_workgroup_id_z 0
		.amdhsa_system_sgpr_workgroup_info 0
		.amdhsa_system_vgpr_workitem_id 0
		.amdhsa_next_free_vgpr 1
		.amdhsa_next_free_sgpr 1
		.amdhsa_reserve_vcc 0
		.amdhsa_float_round_mode_32 0
		.amdhsa_float_round_mode_16_64 0
		.amdhsa_float_denorm_mode_32 3
		.amdhsa_float_denorm_mode_16_64 3
		.amdhsa_dx10_clamp 1
		.amdhsa_ieee_mode 1
		.amdhsa_fp16_overflow 0
		.amdhsa_workgroup_processor_mode 1
		.amdhsa_memory_ordered 1
		.amdhsa_forward_progress 0
		.amdhsa_shared_vgpr_count 0
		.amdhsa_exception_fp_ieee_invalid_op 0
		.amdhsa_exception_fp_denorm_src 0
		.amdhsa_exception_fp_ieee_div_zero 0
		.amdhsa_exception_fp_ieee_overflow 0
		.amdhsa_exception_fp_ieee_underflow 0
		.amdhsa_exception_fp_ieee_inexact 0
		.amdhsa_exception_int_div_zero 0
	.end_amdhsa_kernel
	.section	.text._ZN7rocprim17ROCPRIM_400000_NS6detail17trampoline_kernelINS0_14default_configENS1_29reduce_by_key_config_selectorIttN6thrust23THRUST_200600_302600_NS4plusItEEEEZZNS1_33reduce_by_key_impl_wrapped_configILNS1_25lookback_scan_determinismE0ES3_S9_NS6_6detail15normal_iteratorINS6_10device_ptrItEEEESG_SG_SG_PmS8_NS6_8equal_toItEEEE10hipError_tPvRmT2_T3_mT4_T5_T6_T7_T8_P12ihipStream_tbENKUlT_T0_E_clISt17integral_constantIbLb1EES10_IbLb0EEEEDaSW_SX_EUlSW_E_NS1_11comp_targetILNS1_3genE3ELNS1_11target_archE908ELNS1_3gpuE7ELNS1_3repE0EEENS1_30default_config_static_selectorELNS0_4arch9wavefront6targetE0EEEvT1_,"axG",@progbits,_ZN7rocprim17ROCPRIM_400000_NS6detail17trampoline_kernelINS0_14default_configENS1_29reduce_by_key_config_selectorIttN6thrust23THRUST_200600_302600_NS4plusItEEEEZZNS1_33reduce_by_key_impl_wrapped_configILNS1_25lookback_scan_determinismE0ES3_S9_NS6_6detail15normal_iteratorINS6_10device_ptrItEEEESG_SG_SG_PmS8_NS6_8equal_toItEEEE10hipError_tPvRmT2_T3_mT4_T5_T6_T7_T8_P12ihipStream_tbENKUlT_T0_E_clISt17integral_constantIbLb1EES10_IbLb0EEEEDaSW_SX_EUlSW_E_NS1_11comp_targetILNS1_3genE3ELNS1_11target_archE908ELNS1_3gpuE7ELNS1_3repE0EEENS1_30default_config_static_selectorELNS0_4arch9wavefront6targetE0EEEvT1_,comdat
.Lfunc_end415:
	.size	_ZN7rocprim17ROCPRIM_400000_NS6detail17trampoline_kernelINS0_14default_configENS1_29reduce_by_key_config_selectorIttN6thrust23THRUST_200600_302600_NS4plusItEEEEZZNS1_33reduce_by_key_impl_wrapped_configILNS1_25lookback_scan_determinismE0ES3_S9_NS6_6detail15normal_iteratorINS6_10device_ptrItEEEESG_SG_SG_PmS8_NS6_8equal_toItEEEE10hipError_tPvRmT2_T3_mT4_T5_T6_T7_T8_P12ihipStream_tbENKUlT_T0_E_clISt17integral_constantIbLb1EES10_IbLb0EEEEDaSW_SX_EUlSW_E_NS1_11comp_targetILNS1_3genE3ELNS1_11target_archE908ELNS1_3gpuE7ELNS1_3repE0EEENS1_30default_config_static_selectorELNS0_4arch9wavefront6targetE0EEEvT1_, .Lfunc_end415-_ZN7rocprim17ROCPRIM_400000_NS6detail17trampoline_kernelINS0_14default_configENS1_29reduce_by_key_config_selectorIttN6thrust23THRUST_200600_302600_NS4plusItEEEEZZNS1_33reduce_by_key_impl_wrapped_configILNS1_25lookback_scan_determinismE0ES3_S9_NS6_6detail15normal_iteratorINS6_10device_ptrItEEEESG_SG_SG_PmS8_NS6_8equal_toItEEEE10hipError_tPvRmT2_T3_mT4_T5_T6_T7_T8_P12ihipStream_tbENKUlT_T0_E_clISt17integral_constantIbLb1EES10_IbLb0EEEEDaSW_SX_EUlSW_E_NS1_11comp_targetILNS1_3genE3ELNS1_11target_archE908ELNS1_3gpuE7ELNS1_3repE0EEENS1_30default_config_static_selectorELNS0_4arch9wavefront6targetE0EEEvT1_
                                        ; -- End function
	.section	.AMDGPU.csdata,"",@progbits
; Kernel info:
; codeLenInByte = 0
; NumSgprs: 0
; NumVgprs: 0
; ScratchSize: 0
; MemoryBound: 0
; FloatMode: 240
; IeeeMode: 1
; LDSByteSize: 0 bytes/workgroup (compile time only)
; SGPRBlocks: 0
; VGPRBlocks: 0
; NumSGPRsForWavesPerEU: 1
; NumVGPRsForWavesPerEU: 1
; Occupancy: 16
; WaveLimiterHint : 0
; COMPUTE_PGM_RSRC2:SCRATCH_EN: 0
; COMPUTE_PGM_RSRC2:USER_SGPR: 15
; COMPUTE_PGM_RSRC2:TRAP_HANDLER: 0
; COMPUTE_PGM_RSRC2:TGID_X_EN: 1
; COMPUTE_PGM_RSRC2:TGID_Y_EN: 0
; COMPUTE_PGM_RSRC2:TGID_Z_EN: 0
; COMPUTE_PGM_RSRC2:TIDIG_COMP_CNT: 0
	.section	.text._ZN7rocprim17ROCPRIM_400000_NS6detail17trampoline_kernelINS0_14default_configENS1_29reduce_by_key_config_selectorIttN6thrust23THRUST_200600_302600_NS4plusItEEEEZZNS1_33reduce_by_key_impl_wrapped_configILNS1_25lookback_scan_determinismE0ES3_S9_NS6_6detail15normal_iteratorINS6_10device_ptrItEEEESG_SG_SG_PmS8_NS6_8equal_toItEEEE10hipError_tPvRmT2_T3_mT4_T5_T6_T7_T8_P12ihipStream_tbENKUlT_T0_E_clISt17integral_constantIbLb1EES10_IbLb0EEEEDaSW_SX_EUlSW_E_NS1_11comp_targetILNS1_3genE2ELNS1_11target_archE906ELNS1_3gpuE6ELNS1_3repE0EEENS1_30default_config_static_selectorELNS0_4arch9wavefront6targetE0EEEvT1_,"axG",@progbits,_ZN7rocprim17ROCPRIM_400000_NS6detail17trampoline_kernelINS0_14default_configENS1_29reduce_by_key_config_selectorIttN6thrust23THRUST_200600_302600_NS4plusItEEEEZZNS1_33reduce_by_key_impl_wrapped_configILNS1_25lookback_scan_determinismE0ES3_S9_NS6_6detail15normal_iteratorINS6_10device_ptrItEEEESG_SG_SG_PmS8_NS6_8equal_toItEEEE10hipError_tPvRmT2_T3_mT4_T5_T6_T7_T8_P12ihipStream_tbENKUlT_T0_E_clISt17integral_constantIbLb1EES10_IbLb0EEEEDaSW_SX_EUlSW_E_NS1_11comp_targetILNS1_3genE2ELNS1_11target_archE906ELNS1_3gpuE6ELNS1_3repE0EEENS1_30default_config_static_selectorELNS0_4arch9wavefront6targetE0EEEvT1_,comdat
	.protected	_ZN7rocprim17ROCPRIM_400000_NS6detail17trampoline_kernelINS0_14default_configENS1_29reduce_by_key_config_selectorIttN6thrust23THRUST_200600_302600_NS4plusItEEEEZZNS1_33reduce_by_key_impl_wrapped_configILNS1_25lookback_scan_determinismE0ES3_S9_NS6_6detail15normal_iteratorINS6_10device_ptrItEEEESG_SG_SG_PmS8_NS6_8equal_toItEEEE10hipError_tPvRmT2_T3_mT4_T5_T6_T7_T8_P12ihipStream_tbENKUlT_T0_E_clISt17integral_constantIbLb1EES10_IbLb0EEEEDaSW_SX_EUlSW_E_NS1_11comp_targetILNS1_3genE2ELNS1_11target_archE906ELNS1_3gpuE6ELNS1_3repE0EEENS1_30default_config_static_selectorELNS0_4arch9wavefront6targetE0EEEvT1_ ; -- Begin function _ZN7rocprim17ROCPRIM_400000_NS6detail17trampoline_kernelINS0_14default_configENS1_29reduce_by_key_config_selectorIttN6thrust23THRUST_200600_302600_NS4plusItEEEEZZNS1_33reduce_by_key_impl_wrapped_configILNS1_25lookback_scan_determinismE0ES3_S9_NS6_6detail15normal_iteratorINS6_10device_ptrItEEEESG_SG_SG_PmS8_NS6_8equal_toItEEEE10hipError_tPvRmT2_T3_mT4_T5_T6_T7_T8_P12ihipStream_tbENKUlT_T0_E_clISt17integral_constantIbLb1EES10_IbLb0EEEEDaSW_SX_EUlSW_E_NS1_11comp_targetILNS1_3genE2ELNS1_11target_archE906ELNS1_3gpuE6ELNS1_3repE0EEENS1_30default_config_static_selectorELNS0_4arch9wavefront6targetE0EEEvT1_
	.globl	_ZN7rocprim17ROCPRIM_400000_NS6detail17trampoline_kernelINS0_14default_configENS1_29reduce_by_key_config_selectorIttN6thrust23THRUST_200600_302600_NS4plusItEEEEZZNS1_33reduce_by_key_impl_wrapped_configILNS1_25lookback_scan_determinismE0ES3_S9_NS6_6detail15normal_iteratorINS6_10device_ptrItEEEESG_SG_SG_PmS8_NS6_8equal_toItEEEE10hipError_tPvRmT2_T3_mT4_T5_T6_T7_T8_P12ihipStream_tbENKUlT_T0_E_clISt17integral_constantIbLb1EES10_IbLb0EEEEDaSW_SX_EUlSW_E_NS1_11comp_targetILNS1_3genE2ELNS1_11target_archE906ELNS1_3gpuE6ELNS1_3repE0EEENS1_30default_config_static_selectorELNS0_4arch9wavefront6targetE0EEEvT1_
	.p2align	8
	.type	_ZN7rocprim17ROCPRIM_400000_NS6detail17trampoline_kernelINS0_14default_configENS1_29reduce_by_key_config_selectorIttN6thrust23THRUST_200600_302600_NS4plusItEEEEZZNS1_33reduce_by_key_impl_wrapped_configILNS1_25lookback_scan_determinismE0ES3_S9_NS6_6detail15normal_iteratorINS6_10device_ptrItEEEESG_SG_SG_PmS8_NS6_8equal_toItEEEE10hipError_tPvRmT2_T3_mT4_T5_T6_T7_T8_P12ihipStream_tbENKUlT_T0_E_clISt17integral_constantIbLb1EES10_IbLb0EEEEDaSW_SX_EUlSW_E_NS1_11comp_targetILNS1_3genE2ELNS1_11target_archE906ELNS1_3gpuE6ELNS1_3repE0EEENS1_30default_config_static_selectorELNS0_4arch9wavefront6targetE0EEEvT1_,@function
_ZN7rocprim17ROCPRIM_400000_NS6detail17trampoline_kernelINS0_14default_configENS1_29reduce_by_key_config_selectorIttN6thrust23THRUST_200600_302600_NS4plusItEEEEZZNS1_33reduce_by_key_impl_wrapped_configILNS1_25lookback_scan_determinismE0ES3_S9_NS6_6detail15normal_iteratorINS6_10device_ptrItEEEESG_SG_SG_PmS8_NS6_8equal_toItEEEE10hipError_tPvRmT2_T3_mT4_T5_T6_T7_T8_P12ihipStream_tbENKUlT_T0_E_clISt17integral_constantIbLb1EES10_IbLb0EEEEDaSW_SX_EUlSW_E_NS1_11comp_targetILNS1_3genE2ELNS1_11target_archE906ELNS1_3gpuE6ELNS1_3repE0EEENS1_30default_config_static_selectorELNS0_4arch9wavefront6targetE0EEEvT1_: ; @_ZN7rocprim17ROCPRIM_400000_NS6detail17trampoline_kernelINS0_14default_configENS1_29reduce_by_key_config_selectorIttN6thrust23THRUST_200600_302600_NS4plusItEEEEZZNS1_33reduce_by_key_impl_wrapped_configILNS1_25lookback_scan_determinismE0ES3_S9_NS6_6detail15normal_iteratorINS6_10device_ptrItEEEESG_SG_SG_PmS8_NS6_8equal_toItEEEE10hipError_tPvRmT2_T3_mT4_T5_T6_T7_T8_P12ihipStream_tbENKUlT_T0_E_clISt17integral_constantIbLb1EES10_IbLb0EEEEDaSW_SX_EUlSW_E_NS1_11comp_targetILNS1_3genE2ELNS1_11target_archE906ELNS1_3gpuE6ELNS1_3repE0EEENS1_30default_config_static_selectorELNS0_4arch9wavefront6targetE0EEEvT1_
; %bb.0:
	.section	.rodata,"a",@progbits
	.p2align	6, 0x0
	.amdhsa_kernel _ZN7rocprim17ROCPRIM_400000_NS6detail17trampoline_kernelINS0_14default_configENS1_29reduce_by_key_config_selectorIttN6thrust23THRUST_200600_302600_NS4plusItEEEEZZNS1_33reduce_by_key_impl_wrapped_configILNS1_25lookback_scan_determinismE0ES3_S9_NS6_6detail15normal_iteratorINS6_10device_ptrItEEEESG_SG_SG_PmS8_NS6_8equal_toItEEEE10hipError_tPvRmT2_T3_mT4_T5_T6_T7_T8_P12ihipStream_tbENKUlT_T0_E_clISt17integral_constantIbLb1EES10_IbLb0EEEEDaSW_SX_EUlSW_E_NS1_11comp_targetILNS1_3genE2ELNS1_11target_archE906ELNS1_3gpuE6ELNS1_3repE0EEENS1_30default_config_static_selectorELNS0_4arch9wavefront6targetE0EEEvT1_
		.amdhsa_group_segment_fixed_size 0
		.amdhsa_private_segment_fixed_size 0
		.amdhsa_kernarg_size 120
		.amdhsa_user_sgpr_count 15
		.amdhsa_user_sgpr_dispatch_ptr 0
		.amdhsa_user_sgpr_queue_ptr 0
		.amdhsa_user_sgpr_kernarg_segment_ptr 1
		.amdhsa_user_sgpr_dispatch_id 0
		.amdhsa_user_sgpr_private_segment_size 0
		.amdhsa_wavefront_size32 1
		.amdhsa_uses_dynamic_stack 0
		.amdhsa_enable_private_segment 0
		.amdhsa_system_sgpr_workgroup_id_x 1
		.amdhsa_system_sgpr_workgroup_id_y 0
		.amdhsa_system_sgpr_workgroup_id_z 0
		.amdhsa_system_sgpr_workgroup_info 0
		.amdhsa_system_vgpr_workitem_id 0
		.amdhsa_next_free_vgpr 1
		.amdhsa_next_free_sgpr 1
		.amdhsa_reserve_vcc 0
		.amdhsa_float_round_mode_32 0
		.amdhsa_float_round_mode_16_64 0
		.amdhsa_float_denorm_mode_32 3
		.amdhsa_float_denorm_mode_16_64 3
		.amdhsa_dx10_clamp 1
		.amdhsa_ieee_mode 1
		.amdhsa_fp16_overflow 0
		.amdhsa_workgroup_processor_mode 1
		.amdhsa_memory_ordered 1
		.amdhsa_forward_progress 0
		.amdhsa_shared_vgpr_count 0
		.amdhsa_exception_fp_ieee_invalid_op 0
		.amdhsa_exception_fp_denorm_src 0
		.amdhsa_exception_fp_ieee_div_zero 0
		.amdhsa_exception_fp_ieee_overflow 0
		.amdhsa_exception_fp_ieee_underflow 0
		.amdhsa_exception_fp_ieee_inexact 0
		.amdhsa_exception_int_div_zero 0
	.end_amdhsa_kernel
	.section	.text._ZN7rocprim17ROCPRIM_400000_NS6detail17trampoline_kernelINS0_14default_configENS1_29reduce_by_key_config_selectorIttN6thrust23THRUST_200600_302600_NS4plusItEEEEZZNS1_33reduce_by_key_impl_wrapped_configILNS1_25lookback_scan_determinismE0ES3_S9_NS6_6detail15normal_iteratorINS6_10device_ptrItEEEESG_SG_SG_PmS8_NS6_8equal_toItEEEE10hipError_tPvRmT2_T3_mT4_T5_T6_T7_T8_P12ihipStream_tbENKUlT_T0_E_clISt17integral_constantIbLb1EES10_IbLb0EEEEDaSW_SX_EUlSW_E_NS1_11comp_targetILNS1_3genE2ELNS1_11target_archE906ELNS1_3gpuE6ELNS1_3repE0EEENS1_30default_config_static_selectorELNS0_4arch9wavefront6targetE0EEEvT1_,"axG",@progbits,_ZN7rocprim17ROCPRIM_400000_NS6detail17trampoline_kernelINS0_14default_configENS1_29reduce_by_key_config_selectorIttN6thrust23THRUST_200600_302600_NS4plusItEEEEZZNS1_33reduce_by_key_impl_wrapped_configILNS1_25lookback_scan_determinismE0ES3_S9_NS6_6detail15normal_iteratorINS6_10device_ptrItEEEESG_SG_SG_PmS8_NS6_8equal_toItEEEE10hipError_tPvRmT2_T3_mT4_T5_T6_T7_T8_P12ihipStream_tbENKUlT_T0_E_clISt17integral_constantIbLb1EES10_IbLb0EEEEDaSW_SX_EUlSW_E_NS1_11comp_targetILNS1_3genE2ELNS1_11target_archE906ELNS1_3gpuE6ELNS1_3repE0EEENS1_30default_config_static_selectorELNS0_4arch9wavefront6targetE0EEEvT1_,comdat
.Lfunc_end416:
	.size	_ZN7rocprim17ROCPRIM_400000_NS6detail17trampoline_kernelINS0_14default_configENS1_29reduce_by_key_config_selectorIttN6thrust23THRUST_200600_302600_NS4plusItEEEEZZNS1_33reduce_by_key_impl_wrapped_configILNS1_25lookback_scan_determinismE0ES3_S9_NS6_6detail15normal_iteratorINS6_10device_ptrItEEEESG_SG_SG_PmS8_NS6_8equal_toItEEEE10hipError_tPvRmT2_T3_mT4_T5_T6_T7_T8_P12ihipStream_tbENKUlT_T0_E_clISt17integral_constantIbLb1EES10_IbLb0EEEEDaSW_SX_EUlSW_E_NS1_11comp_targetILNS1_3genE2ELNS1_11target_archE906ELNS1_3gpuE6ELNS1_3repE0EEENS1_30default_config_static_selectorELNS0_4arch9wavefront6targetE0EEEvT1_, .Lfunc_end416-_ZN7rocprim17ROCPRIM_400000_NS6detail17trampoline_kernelINS0_14default_configENS1_29reduce_by_key_config_selectorIttN6thrust23THRUST_200600_302600_NS4plusItEEEEZZNS1_33reduce_by_key_impl_wrapped_configILNS1_25lookback_scan_determinismE0ES3_S9_NS6_6detail15normal_iteratorINS6_10device_ptrItEEEESG_SG_SG_PmS8_NS6_8equal_toItEEEE10hipError_tPvRmT2_T3_mT4_T5_T6_T7_T8_P12ihipStream_tbENKUlT_T0_E_clISt17integral_constantIbLb1EES10_IbLb0EEEEDaSW_SX_EUlSW_E_NS1_11comp_targetILNS1_3genE2ELNS1_11target_archE906ELNS1_3gpuE6ELNS1_3repE0EEENS1_30default_config_static_selectorELNS0_4arch9wavefront6targetE0EEEvT1_
                                        ; -- End function
	.section	.AMDGPU.csdata,"",@progbits
; Kernel info:
; codeLenInByte = 0
; NumSgprs: 0
; NumVgprs: 0
; ScratchSize: 0
; MemoryBound: 0
; FloatMode: 240
; IeeeMode: 1
; LDSByteSize: 0 bytes/workgroup (compile time only)
; SGPRBlocks: 0
; VGPRBlocks: 0
; NumSGPRsForWavesPerEU: 1
; NumVGPRsForWavesPerEU: 1
; Occupancy: 16
; WaveLimiterHint : 0
; COMPUTE_PGM_RSRC2:SCRATCH_EN: 0
; COMPUTE_PGM_RSRC2:USER_SGPR: 15
; COMPUTE_PGM_RSRC2:TRAP_HANDLER: 0
; COMPUTE_PGM_RSRC2:TGID_X_EN: 1
; COMPUTE_PGM_RSRC2:TGID_Y_EN: 0
; COMPUTE_PGM_RSRC2:TGID_Z_EN: 0
; COMPUTE_PGM_RSRC2:TIDIG_COMP_CNT: 0
	.section	.text._ZN7rocprim17ROCPRIM_400000_NS6detail17trampoline_kernelINS0_14default_configENS1_29reduce_by_key_config_selectorIttN6thrust23THRUST_200600_302600_NS4plusItEEEEZZNS1_33reduce_by_key_impl_wrapped_configILNS1_25lookback_scan_determinismE0ES3_S9_NS6_6detail15normal_iteratorINS6_10device_ptrItEEEESG_SG_SG_PmS8_NS6_8equal_toItEEEE10hipError_tPvRmT2_T3_mT4_T5_T6_T7_T8_P12ihipStream_tbENKUlT_T0_E_clISt17integral_constantIbLb1EES10_IbLb0EEEEDaSW_SX_EUlSW_E_NS1_11comp_targetILNS1_3genE10ELNS1_11target_archE1201ELNS1_3gpuE5ELNS1_3repE0EEENS1_30default_config_static_selectorELNS0_4arch9wavefront6targetE0EEEvT1_,"axG",@progbits,_ZN7rocprim17ROCPRIM_400000_NS6detail17trampoline_kernelINS0_14default_configENS1_29reduce_by_key_config_selectorIttN6thrust23THRUST_200600_302600_NS4plusItEEEEZZNS1_33reduce_by_key_impl_wrapped_configILNS1_25lookback_scan_determinismE0ES3_S9_NS6_6detail15normal_iteratorINS6_10device_ptrItEEEESG_SG_SG_PmS8_NS6_8equal_toItEEEE10hipError_tPvRmT2_T3_mT4_T5_T6_T7_T8_P12ihipStream_tbENKUlT_T0_E_clISt17integral_constantIbLb1EES10_IbLb0EEEEDaSW_SX_EUlSW_E_NS1_11comp_targetILNS1_3genE10ELNS1_11target_archE1201ELNS1_3gpuE5ELNS1_3repE0EEENS1_30default_config_static_selectorELNS0_4arch9wavefront6targetE0EEEvT1_,comdat
	.protected	_ZN7rocprim17ROCPRIM_400000_NS6detail17trampoline_kernelINS0_14default_configENS1_29reduce_by_key_config_selectorIttN6thrust23THRUST_200600_302600_NS4plusItEEEEZZNS1_33reduce_by_key_impl_wrapped_configILNS1_25lookback_scan_determinismE0ES3_S9_NS6_6detail15normal_iteratorINS6_10device_ptrItEEEESG_SG_SG_PmS8_NS6_8equal_toItEEEE10hipError_tPvRmT2_T3_mT4_T5_T6_T7_T8_P12ihipStream_tbENKUlT_T0_E_clISt17integral_constantIbLb1EES10_IbLb0EEEEDaSW_SX_EUlSW_E_NS1_11comp_targetILNS1_3genE10ELNS1_11target_archE1201ELNS1_3gpuE5ELNS1_3repE0EEENS1_30default_config_static_selectorELNS0_4arch9wavefront6targetE0EEEvT1_ ; -- Begin function _ZN7rocprim17ROCPRIM_400000_NS6detail17trampoline_kernelINS0_14default_configENS1_29reduce_by_key_config_selectorIttN6thrust23THRUST_200600_302600_NS4plusItEEEEZZNS1_33reduce_by_key_impl_wrapped_configILNS1_25lookback_scan_determinismE0ES3_S9_NS6_6detail15normal_iteratorINS6_10device_ptrItEEEESG_SG_SG_PmS8_NS6_8equal_toItEEEE10hipError_tPvRmT2_T3_mT4_T5_T6_T7_T8_P12ihipStream_tbENKUlT_T0_E_clISt17integral_constantIbLb1EES10_IbLb0EEEEDaSW_SX_EUlSW_E_NS1_11comp_targetILNS1_3genE10ELNS1_11target_archE1201ELNS1_3gpuE5ELNS1_3repE0EEENS1_30default_config_static_selectorELNS0_4arch9wavefront6targetE0EEEvT1_
	.globl	_ZN7rocprim17ROCPRIM_400000_NS6detail17trampoline_kernelINS0_14default_configENS1_29reduce_by_key_config_selectorIttN6thrust23THRUST_200600_302600_NS4plusItEEEEZZNS1_33reduce_by_key_impl_wrapped_configILNS1_25lookback_scan_determinismE0ES3_S9_NS6_6detail15normal_iteratorINS6_10device_ptrItEEEESG_SG_SG_PmS8_NS6_8equal_toItEEEE10hipError_tPvRmT2_T3_mT4_T5_T6_T7_T8_P12ihipStream_tbENKUlT_T0_E_clISt17integral_constantIbLb1EES10_IbLb0EEEEDaSW_SX_EUlSW_E_NS1_11comp_targetILNS1_3genE10ELNS1_11target_archE1201ELNS1_3gpuE5ELNS1_3repE0EEENS1_30default_config_static_selectorELNS0_4arch9wavefront6targetE0EEEvT1_
	.p2align	8
	.type	_ZN7rocprim17ROCPRIM_400000_NS6detail17trampoline_kernelINS0_14default_configENS1_29reduce_by_key_config_selectorIttN6thrust23THRUST_200600_302600_NS4plusItEEEEZZNS1_33reduce_by_key_impl_wrapped_configILNS1_25lookback_scan_determinismE0ES3_S9_NS6_6detail15normal_iteratorINS6_10device_ptrItEEEESG_SG_SG_PmS8_NS6_8equal_toItEEEE10hipError_tPvRmT2_T3_mT4_T5_T6_T7_T8_P12ihipStream_tbENKUlT_T0_E_clISt17integral_constantIbLb1EES10_IbLb0EEEEDaSW_SX_EUlSW_E_NS1_11comp_targetILNS1_3genE10ELNS1_11target_archE1201ELNS1_3gpuE5ELNS1_3repE0EEENS1_30default_config_static_selectorELNS0_4arch9wavefront6targetE0EEEvT1_,@function
_ZN7rocprim17ROCPRIM_400000_NS6detail17trampoline_kernelINS0_14default_configENS1_29reduce_by_key_config_selectorIttN6thrust23THRUST_200600_302600_NS4plusItEEEEZZNS1_33reduce_by_key_impl_wrapped_configILNS1_25lookback_scan_determinismE0ES3_S9_NS6_6detail15normal_iteratorINS6_10device_ptrItEEEESG_SG_SG_PmS8_NS6_8equal_toItEEEE10hipError_tPvRmT2_T3_mT4_T5_T6_T7_T8_P12ihipStream_tbENKUlT_T0_E_clISt17integral_constantIbLb1EES10_IbLb0EEEEDaSW_SX_EUlSW_E_NS1_11comp_targetILNS1_3genE10ELNS1_11target_archE1201ELNS1_3gpuE5ELNS1_3repE0EEENS1_30default_config_static_selectorELNS0_4arch9wavefront6targetE0EEEvT1_: ; @_ZN7rocprim17ROCPRIM_400000_NS6detail17trampoline_kernelINS0_14default_configENS1_29reduce_by_key_config_selectorIttN6thrust23THRUST_200600_302600_NS4plusItEEEEZZNS1_33reduce_by_key_impl_wrapped_configILNS1_25lookback_scan_determinismE0ES3_S9_NS6_6detail15normal_iteratorINS6_10device_ptrItEEEESG_SG_SG_PmS8_NS6_8equal_toItEEEE10hipError_tPvRmT2_T3_mT4_T5_T6_T7_T8_P12ihipStream_tbENKUlT_T0_E_clISt17integral_constantIbLb1EES10_IbLb0EEEEDaSW_SX_EUlSW_E_NS1_11comp_targetILNS1_3genE10ELNS1_11target_archE1201ELNS1_3gpuE5ELNS1_3repE0EEENS1_30default_config_static_selectorELNS0_4arch9wavefront6targetE0EEEvT1_
; %bb.0:
	.section	.rodata,"a",@progbits
	.p2align	6, 0x0
	.amdhsa_kernel _ZN7rocprim17ROCPRIM_400000_NS6detail17trampoline_kernelINS0_14default_configENS1_29reduce_by_key_config_selectorIttN6thrust23THRUST_200600_302600_NS4plusItEEEEZZNS1_33reduce_by_key_impl_wrapped_configILNS1_25lookback_scan_determinismE0ES3_S9_NS6_6detail15normal_iteratorINS6_10device_ptrItEEEESG_SG_SG_PmS8_NS6_8equal_toItEEEE10hipError_tPvRmT2_T3_mT4_T5_T6_T7_T8_P12ihipStream_tbENKUlT_T0_E_clISt17integral_constantIbLb1EES10_IbLb0EEEEDaSW_SX_EUlSW_E_NS1_11comp_targetILNS1_3genE10ELNS1_11target_archE1201ELNS1_3gpuE5ELNS1_3repE0EEENS1_30default_config_static_selectorELNS0_4arch9wavefront6targetE0EEEvT1_
		.amdhsa_group_segment_fixed_size 0
		.amdhsa_private_segment_fixed_size 0
		.amdhsa_kernarg_size 120
		.amdhsa_user_sgpr_count 15
		.amdhsa_user_sgpr_dispatch_ptr 0
		.amdhsa_user_sgpr_queue_ptr 0
		.amdhsa_user_sgpr_kernarg_segment_ptr 1
		.amdhsa_user_sgpr_dispatch_id 0
		.amdhsa_user_sgpr_private_segment_size 0
		.amdhsa_wavefront_size32 1
		.amdhsa_uses_dynamic_stack 0
		.amdhsa_enable_private_segment 0
		.amdhsa_system_sgpr_workgroup_id_x 1
		.amdhsa_system_sgpr_workgroup_id_y 0
		.amdhsa_system_sgpr_workgroup_id_z 0
		.amdhsa_system_sgpr_workgroup_info 0
		.amdhsa_system_vgpr_workitem_id 0
		.amdhsa_next_free_vgpr 1
		.amdhsa_next_free_sgpr 1
		.amdhsa_reserve_vcc 0
		.amdhsa_float_round_mode_32 0
		.amdhsa_float_round_mode_16_64 0
		.amdhsa_float_denorm_mode_32 3
		.amdhsa_float_denorm_mode_16_64 3
		.amdhsa_dx10_clamp 1
		.amdhsa_ieee_mode 1
		.amdhsa_fp16_overflow 0
		.amdhsa_workgroup_processor_mode 1
		.amdhsa_memory_ordered 1
		.amdhsa_forward_progress 0
		.amdhsa_shared_vgpr_count 0
		.amdhsa_exception_fp_ieee_invalid_op 0
		.amdhsa_exception_fp_denorm_src 0
		.amdhsa_exception_fp_ieee_div_zero 0
		.amdhsa_exception_fp_ieee_overflow 0
		.amdhsa_exception_fp_ieee_underflow 0
		.amdhsa_exception_fp_ieee_inexact 0
		.amdhsa_exception_int_div_zero 0
	.end_amdhsa_kernel
	.section	.text._ZN7rocprim17ROCPRIM_400000_NS6detail17trampoline_kernelINS0_14default_configENS1_29reduce_by_key_config_selectorIttN6thrust23THRUST_200600_302600_NS4plusItEEEEZZNS1_33reduce_by_key_impl_wrapped_configILNS1_25lookback_scan_determinismE0ES3_S9_NS6_6detail15normal_iteratorINS6_10device_ptrItEEEESG_SG_SG_PmS8_NS6_8equal_toItEEEE10hipError_tPvRmT2_T3_mT4_T5_T6_T7_T8_P12ihipStream_tbENKUlT_T0_E_clISt17integral_constantIbLb1EES10_IbLb0EEEEDaSW_SX_EUlSW_E_NS1_11comp_targetILNS1_3genE10ELNS1_11target_archE1201ELNS1_3gpuE5ELNS1_3repE0EEENS1_30default_config_static_selectorELNS0_4arch9wavefront6targetE0EEEvT1_,"axG",@progbits,_ZN7rocprim17ROCPRIM_400000_NS6detail17trampoline_kernelINS0_14default_configENS1_29reduce_by_key_config_selectorIttN6thrust23THRUST_200600_302600_NS4plusItEEEEZZNS1_33reduce_by_key_impl_wrapped_configILNS1_25lookback_scan_determinismE0ES3_S9_NS6_6detail15normal_iteratorINS6_10device_ptrItEEEESG_SG_SG_PmS8_NS6_8equal_toItEEEE10hipError_tPvRmT2_T3_mT4_T5_T6_T7_T8_P12ihipStream_tbENKUlT_T0_E_clISt17integral_constantIbLb1EES10_IbLb0EEEEDaSW_SX_EUlSW_E_NS1_11comp_targetILNS1_3genE10ELNS1_11target_archE1201ELNS1_3gpuE5ELNS1_3repE0EEENS1_30default_config_static_selectorELNS0_4arch9wavefront6targetE0EEEvT1_,comdat
.Lfunc_end417:
	.size	_ZN7rocprim17ROCPRIM_400000_NS6detail17trampoline_kernelINS0_14default_configENS1_29reduce_by_key_config_selectorIttN6thrust23THRUST_200600_302600_NS4plusItEEEEZZNS1_33reduce_by_key_impl_wrapped_configILNS1_25lookback_scan_determinismE0ES3_S9_NS6_6detail15normal_iteratorINS6_10device_ptrItEEEESG_SG_SG_PmS8_NS6_8equal_toItEEEE10hipError_tPvRmT2_T3_mT4_T5_T6_T7_T8_P12ihipStream_tbENKUlT_T0_E_clISt17integral_constantIbLb1EES10_IbLb0EEEEDaSW_SX_EUlSW_E_NS1_11comp_targetILNS1_3genE10ELNS1_11target_archE1201ELNS1_3gpuE5ELNS1_3repE0EEENS1_30default_config_static_selectorELNS0_4arch9wavefront6targetE0EEEvT1_, .Lfunc_end417-_ZN7rocprim17ROCPRIM_400000_NS6detail17trampoline_kernelINS0_14default_configENS1_29reduce_by_key_config_selectorIttN6thrust23THRUST_200600_302600_NS4plusItEEEEZZNS1_33reduce_by_key_impl_wrapped_configILNS1_25lookback_scan_determinismE0ES3_S9_NS6_6detail15normal_iteratorINS6_10device_ptrItEEEESG_SG_SG_PmS8_NS6_8equal_toItEEEE10hipError_tPvRmT2_T3_mT4_T5_T6_T7_T8_P12ihipStream_tbENKUlT_T0_E_clISt17integral_constantIbLb1EES10_IbLb0EEEEDaSW_SX_EUlSW_E_NS1_11comp_targetILNS1_3genE10ELNS1_11target_archE1201ELNS1_3gpuE5ELNS1_3repE0EEENS1_30default_config_static_selectorELNS0_4arch9wavefront6targetE0EEEvT1_
                                        ; -- End function
	.section	.AMDGPU.csdata,"",@progbits
; Kernel info:
; codeLenInByte = 0
; NumSgprs: 0
; NumVgprs: 0
; ScratchSize: 0
; MemoryBound: 0
; FloatMode: 240
; IeeeMode: 1
; LDSByteSize: 0 bytes/workgroup (compile time only)
; SGPRBlocks: 0
; VGPRBlocks: 0
; NumSGPRsForWavesPerEU: 1
; NumVGPRsForWavesPerEU: 1
; Occupancy: 16
; WaveLimiterHint : 0
; COMPUTE_PGM_RSRC2:SCRATCH_EN: 0
; COMPUTE_PGM_RSRC2:USER_SGPR: 15
; COMPUTE_PGM_RSRC2:TRAP_HANDLER: 0
; COMPUTE_PGM_RSRC2:TGID_X_EN: 1
; COMPUTE_PGM_RSRC2:TGID_Y_EN: 0
; COMPUTE_PGM_RSRC2:TGID_Z_EN: 0
; COMPUTE_PGM_RSRC2:TIDIG_COMP_CNT: 0
	.section	.text._ZN7rocprim17ROCPRIM_400000_NS6detail17trampoline_kernelINS0_14default_configENS1_29reduce_by_key_config_selectorIttN6thrust23THRUST_200600_302600_NS4plusItEEEEZZNS1_33reduce_by_key_impl_wrapped_configILNS1_25lookback_scan_determinismE0ES3_S9_NS6_6detail15normal_iteratorINS6_10device_ptrItEEEESG_SG_SG_PmS8_NS6_8equal_toItEEEE10hipError_tPvRmT2_T3_mT4_T5_T6_T7_T8_P12ihipStream_tbENKUlT_T0_E_clISt17integral_constantIbLb1EES10_IbLb0EEEEDaSW_SX_EUlSW_E_NS1_11comp_targetILNS1_3genE10ELNS1_11target_archE1200ELNS1_3gpuE4ELNS1_3repE0EEENS1_30default_config_static_selectorELNS0_4arch9wavefront6targetE0EEEvT1_,"axG",@progbits,_ZN7rocprim17ROCPRIM_400000_NS6detail17trampoline_kernelINS0_14default_configENS1_29reduce_by_key_config_selectorIttN6thrust23THRUST_200600_302600_NS4plusItEEEEZZNS1_33reduce_by_key_impl_wrapped_configILNS1_25lookback_scan_determinismE0ES3_S9_NS6_6detail15normal_iteratorINS6_10device_ptrItEEEESG_SG_SG_PmS8_NS6_8equal_toItEEEE10hipError_tPvRmT2_T3_mT4_T5_T6_T7_T8_P12ihipStream_tbENKUlT_T0_E_clISt17integral_constantIbLb1EES10_IbLb0EEEEDaSW_SX_EUlSW_E_NS1_11comp_targetILNS1_3genE10ELNS1_11target_archE1200ELNS1_3gpuE4ELNS1_3repE0EEENS1_30default_config_static_selectorELNS0_4arch9wavefront6targetE0EEEvT1_,comdat
	.protected	_ZN7rocprim17ROCPRIM_400000_NS6detail17trampoline_kernelINS0_14default_configENS1_29reduce_by_key_config_selectorIttN6thrust23THRUST_200600_302600_NS4plusItEEEEZZNS1_33reduce_by_key_impl_wrapped_configILNS1_25lookback_scan_determinismE0ES3_S9_NS6_6detail15normal_iteratorINS6_10device_ptrItEEEESG_SG_SG_PmS8_NS6_8equal_toItEEEE10hipError_tPvRmT2_T3_mT4_T5_T6_T7_T8_P12ihipStream_tbENKUlT_T0_E_clISt17integral_constantIbLb1EES10_IbLb0EEEEDaSW_SX_EUlSW_E_NS1_11comp_targetILNS1_3genE10ELNS1_11target_archE1200ELNS1_3gpuE4ELNS1_3repE0EEENS1_30default_config_static_selectorELNS0_4arch9wavefront6targetE0EEEvT1_ ; -- Begin function _ZN7rocprim17ROCPRIM_400000_NS6detail17trampoline_kernelINS0_14default_configENS1_29reduce_by_key_config_selectorIttN6thrust23THRUST_200600_302600_NS4plusItEEEEZZNS1_33reduce_by_key_impl_wrapped_configILNS1_25lookback_scan_determinismE0ES3_S9_NS6_6detail15normal_iteratorINS6_10device_ptrItEEEESG_SG_SG_PmS8_NS6_8equal_toItEEEE10hipError_tPvRmT2_T3_mT4_T5_T6_T7_T8_P12ihipStream_tbENKUlT_T0_E_clISt17integral_constantIbLb1EES10_IbLb0EEEEDaSW_SX_EUlSW_E_NS1_11comp_targetILNS1_3genE10ELNS1_11target_archE1200ELNS1_3gpuE4ELNS1_3repE0EEENS1_30default_config_static_selectorELNS0_4arch9wavefront6targetE0EEEvT1_
	.globl	_ZN7rocprim17ROCPRIM_400000_NS6detail17trampoline_kernelINS0_14default_configENS1_29reduce_by_key_config_selectorIttN6thrust23THRUST_200600_302600_NS4plusItEEEEZZNS1_33reduce_by_key_impl_wrapped_configILNS1_25lookback_scan_determinismE0ES3_S9_NS6_6detail15normal_iteratorINS6_10device_ptrItEEEESG_SG_SG_PmS8_NS6_8equal_toItEEEE10hipError_tPvRmT2_T3_mT4_T5_T6_T7_T8_P12ihipStream_tbENKUlT_T0_E_clISt17integral_constantIbLb1EES10_IbLb0EEEEDaSW_SX_EUlSW_E_NS1_11comp_targetILNS1_3genE10ELNS1_11target_archE1200ELNS1_3gpuE4ELNS1_3repE0EEENS1_30default_config_static_selectorELNS0_4arch9wavefront6targetE0EEEvT1_
	.p2align	8
	.type	_ZN7rocprim17ROCPRIM_400000_NS6detail17trampoline_kernelINS0_14default_configENS1_29reduce_by_key_config_selectorIttN6thrust23THRUST_200600_302600_NS4plusItEEEEZZNS1_33reduce_by_key_impl_wrapped_configILNS1_25lookback_scan_determinismE0ES3_S9_NS6_6detail15normal_iteratorINS6_10device_ptrItEEEESG_SG_SG_PmS8_NS6_8equal_toItEEEE10hipError_tPvRmT2_T3_mT4_T5_T6_T7_T8_P12ihipStream_tbENKUlT_T0_E_clISt17integral_constantIbLb1EES10_IbLb0EEEEDaSW_SX_EUlSW_E_NS1_11comp_targetILNS1_3genE10ELNS1_11target_archE1200ELNS1_3gpuE4ELNS1_3repE0EEENS1_30default_config_static_selectorELNS0_4arch9wavefront6targetE0EEEvT1_,@function
_ZN7rocprim17ROCPRIM_400000_NS6detail17trampoline_kernelINS0_14default_configENS1_29reduce_by_key_config_selectorIttN6thrust23THRUST_200600_302600_NS4plusItEEEEZZNS1_33reduce_by_key_impl_wrapped_configILNS1_25lookback_scan_determinismE0ES3_S9_NS6_6detail15normal_iteratorINS6_10device_ptrItEEEESG_SG_SG_PmS8_NS6_8equal_toItEEEE10hipError_tPvRmT2_T3_mT4_T5_T6_T7_T8_P12ihipStream_tbENKUlT_T0_E_clISt17integral_constantIbLb1EES10_IbLb0EEEEDaSW_SX_EUlSW_E_NS1_11comp_targetILNS1_3genE10ELNS1_11target_archE1200ELNS1_3gpuE4ELNS1_3repE0EEENS1_30default_config_static_selectorELNS0_4arch9wavefront6targetE0EEEvT1_: ; @_ZN7rocprim17ROCPRIM_400000_NS6detail17trampoline_kernelINS0_14default_configENS1_29reduce_by_key_config_selectorIttN6thrust23THRUST_200600_302600_NS4plusItEEEEZZNS1_33reduce_by_key_impl_wrapped_configILNS1_25lookback_scan_determinismE0ES3_S9_NS6_6detail15normal_iteratorINS6_10device_ptrItEEEESG_SG_SG_PmS8_NS6_8equal_toItEEEE10hipError_tPvRmT2_T3_mT4_T5_T6_T7_T8_P12ihipStream_tbENKUlT_T0_E_clISt17integral_constantIbLb1EES10_IbLb0EEEEDaSW_SX_EUlSW_E_NS1_11comp_targetILNS1_3genE10ELNS1_11target_archE1200ELNS1_3gpuE4ELNS1_3repE0EEENS1_30default_config_static_selectorELNS0_4arch9wavefront6targetE0EEEvT1_
; %bb.0:
	.section	.rodata,"a",@progbits
	.p2align	6, 0x0
	.amdhsa_kernel _ZN7rocprim17ROCPRIM_400000_NS6detail17trampoline_kernelINS0_14default_configENS1_29reduce_by_key_config_selectorIttN6thrust23THRUST_200600_302600_NS4plusItEEEEZZNS1_33reduce_by_key_impl_wrapped_configILNS1_25lookback_scan_determinismE0ES3_S9_NS6_6detail15normal_iteratorINS6_10device_ptrItEEEESG_SG_SG_PmS8_NS6_8equal_toItEEEE10hipError_tPvRmT2_T3_mT4_T5_T6_T7_T8_P12ihipStream_tbENKUlT_T0_E_clISt17integral_constantIbLb1EES10_IbLb0EEEEDaSW_SX_EUlSW_E_NS1_11comp_targetILNS1_3genE10ELNS1_11target_archE1200ELNS1_3gpuE4ELNS1_3repE0EEENS1_30default_config_static_selectorELNS0_4arch9wavefront6targetE0EEEvT1_
		.amdhsa_group_segment_fixed_size 0
		.amdhsa_private_segment_fixed_size 0
		.amdhsa_kernarg_size 120
		.amdhsa_user_sgpr_count 15
		.amdhsa_user_sgpr_dispatch_ptr 0
		.amdhsa_user_sgpr_queue_ptr 0
		.amdhsa_user_sgpr_kernarg_segment_ptr 1
		.amdhsa_user_sgpr_dispatch_id 0
		.amdhsa_user_sgpr_private_segment_size 0
		.amdhsa_wavefront_size32 1
		.amdhsa_uses_dynamic_stack 0
		.amdhsa_enable_private_segment 0
		.amdhsa_system_sgpr_workgroup_id_x 1
		.amdhsa_system_sgpr_workgroup_id_y 0
		.amdhsa_system_sgpr_workgroup_id_z 0
		.amdhsa_system_sgpr_workgroup_info 0
		.amdhsa_system_vgpr_workitem_id 0
		.amdhsa_next_free_vgpr 1
		.amdhsa_next_free_sgpr 1
		.amdhsa_reserve_vcc 0
		.amdhsa_float_round_mode_32 0
		.amdhsa_float_round_mode_16_64 0
		.amdhsa_float_denorm_mode_32 3
		.amdhsa_float_denorm_mode_16_64 3
		.amdhsa_dx10_clamp 1
		.amdhsa_ieee_mode 1
		.amdhsa_fp16_overflow 0
		.amdhsa_workgroup_processor_mode 1
		.amdhsa_memory_ordered 1
		.amdhsa_forward_progress 0
		.amdhsa_shared_vgpr_count 0
		.amdhsa_exception_fp_ieee_invalid_op 0
		.amdhsa_exception_fp_denorm_src 0
		.amdhsa_exception_fp_ieee_div_zero 0
		.amdhsa_exception_fp_ieee_overflow 0
		.amdhsa_exception_fp_ieee_underflow 0
		.amdhsa_exception_fp_ieee_inexact 0
		.amdhsa_exception_int_div_zero 0
	.end_amdhsa_kernel
	.section	.text._ZN7rocprim17ROCPRIM_400000_NS6detail17trampoline_kernelINS0_14default_configENS1_29reduce_by_key_config_selectorIttN6thrust23THRUST_200600_302600_NS4plusItEEEEZZNS1_33reduce_by_key_impl_wrapped_configILNS1_25lookback_scan_determinismE0ES3_S9_NS6_6detail15normal_iteratorINS6_10device_ptrItEEEESG_SG_SG_PmS8_NS6_8equal_toItEEEE10hipError_tPvRmT2_T3_mT4_T5_T6_T7_T8_P12ihipStream_tbENKUlT_T0_E_clISt17integral_constantIbLb1EES10_IbLb0EEEEDaSW_SX_EUlSW_E_NS1_11comp_targetILNS1_3genE10ELNS1_11target_archE1200ELNS1_3gpuE4ELNS1_3repE0EEENS1_30default_config_static_selectorELNS0_4arch9wavefront6targetE0EEEvT1_,"axG",@progbits,_ZN7rocprim17ROCPRIM_400000_NS6detail17trampoline_kernelINS0_14default_configENS1_29reduce_by_key_config_selectorIttN6thrust23THRUST_200600_302600_NS4plusItEEEEZZNS1_33reduce_by_key_impl_wrapped_configILNS1_25lookback_scan_determinismE0ES3_S9_NS6_6detail15normal_iteratorINS6_10device_ptrItEEEESG_SG_SG_PmS8_NS6_8equal_toItEEEE10hipError_tPvRmT2_T3_mT4_T5_T6_T7_T8_P12ihipStream_tbENKUlT_T0_E_clISt17integral_constantIbLb1EES10_IbLb0EEEEDaSW_SX_EUlSW_E_NS1_11comp_targetILNS1_3genE10ELNS1_11target_archE1200ELNS1_3gpuE4ELNS1_3repE0EEENS1_30default_config_static_selectorELNS0_4arch9wavefront6targetE0EEEvT1_,comdat
.Lfunc_end418:
	.size	_ZN7rocprim17ROCPRIM_400000_NS6detail17trampoline_kernelINS0_14default_configENS1_29reduce_by_key_config_selectorIttN6thrust23THRUST_200600_302600_NS4plusItEEEEZZNS1_33reduce_by_key_impl_wrapped_configILNS1_25lookback_scan_determinismE0ES3_S9_NS6_6detail15normal_iteratorINS6_10device_ptrItEEEESG_SG_SG_PmS8_NS6_8equal_toItEEEE10hipError_tPvRmT2_T3_mT4_T5_T6_T7_T8_P12ihipStream_tbENKUlT_T0_E_clISt17integral_constantIbLb1EES10_IbLb0EEEEDaSW_SX_EUlSW_E_NS1_11comp_targetILNS1_3genE10ELNS1_11target_archE1200ELNS1_3gpuE4ELNS1_3repE0EEENS1_30default_config_static_selectorELNS0_4arch9wavefront6targetE0EEEvT1_, .Lfunc_end418-_ZN7rocprim17ROCPRIM_400000_NS6detail17trampoline_kernelINS0_14default_configENS1_29reduce_by_key_config_selectorIttN6thrust23THRUST_200600_302600_NS4plusItEEEEZZNS1_33reduce_by_key_impl_wrapped_configILNS1_25lookback_scan_determinismE0ES3_S9_NS6_6detail15normal_iteratorINS6_10device_ptrItEEEESG_SG_SG_PmS8_NS6_8equal_toItEEEE10hipError_tPvRmT2_T3_mT4_T5_T6_T7_T8_P12ihipStream_tbENKUlT_T0_E_clISt17integral_constantIbLb1EES10_IbLb0EEEEDaSW_SX_EUlSW_E_NS1_11comp_targetILNS1_3genE10ELNS1_11target_archE1200ELNS1_3gpuE4ELNS1_3repE0EEENS1_30default_config_static_selectorELNS0_4arch9wavefront6targetE0EEEvT1_
                                        ; -- End function
	.section	.AMDGPU.csdata,"",@progbits
; Kernel info:
; codeLenInByte = 0
; NumSgprs: 0
; NumVgprs: 0
; ScratchSize: 0
; MemoryBound: 0
; FloatMode: 240
; IeeeMode: 1
; LDSByteSize: 0 bytes/workgroup (compile time only)
; SGPRBlocks: 0
; VGPRBlocks: 0
; NumSGPRsForWavesPerEU: 1
; NumVGPRsForWavesPerEU: 1
; Occupancy: 16
; WaveLimiterHint : 0
; COMPUTE_PGM_RSRC2:SCRATCH_EN: 0
; COMPUTE_PGM_RSRC2:USER_SGPR: 15
; COMPUTE_PGM_RSRC2:TRAP_HANDLER: 0
; COMPUTE_PGM_RSRC2:TGID_X_EN: 1
; COMPUTE_PGM_RSRC2:TGID_Y_EN: 0
; COMPUTE_PGM_RSRC2:TGID_Z_EN: 0
; COMPUTE_PGM_RSRC2:TIDIG_COMP_CNT: 0
	.section	.text._ZN7rocprim17ROCPRIM_400000_NS6detail17trampoline_kernelINS0_14default_configENS1_29reduce_by_key_config_selectorIttN6thrust23THRUST_200600_302600_NS4plusItEEEEZZNS1_33reduce_by_key_impl_wrapped_configILNS1_25lookback_scan_determinismE0ES3_S9_NS6_6detail15normal_iteratorINS6_10device_ptrItEEEESG_SG_SG_PmS8_NS6_8equal_toItEEEE10hipError_tPvRmT2_T3_mT4_T5_T6_T7_T8_P12ihipStream_tbENKUlT_T0_E_clISt17integral_constantIbLb1EES10_IbLb0EEEEDaSW_SX_EUlSW_E_NS1_11comp_targetILNS1_3genE9ELNS1_11target_archE1100ELNS1_3gpuE3ELNS1_3repE0EEENS1_30default_config_static_selectorELNS0_4arch9wavefront6targetE0EEEvT1_,"axG",@progbits,_ZN7rocprim17ROCPRIM_400000_NS6detail17trampoline_kernelINS0_14default_configENS1_29reduce_by_key_config_selectorIttN6thrust23THRUST_200600_302600_NS4plusItEEEEZZNS1_33reduce_by_key_impl_wrapped_configILNS1_25lookback_scan_determinismE0ES3_S9_NS6_6detail15normal_iteratorINS6_10device_ptrItEEEESG_SG_SG_PmS8_NS6_8equal_toItEEEE10hipError_tPvRmT2_T3_mT4_T5_T6_T7_T8_P12ihipStream_tbENKUlT_T0_E_clISt17integral_constantIbLb1EES10_IbLb0EEEEDaSW_SX_EUlSW_E_NS1_11comp_targetILNS1_3genE9ELNS1_11target_archE1100ELNS1_3gpuE3ELNS1_3repE0EEENS1_30default_config_static_selectorELNS0_4arch9wavefront6targetE0EEEvT1_,comdat
	.protected	_ZN7rocprim17ROCPRIM_400000_NS6detail17trampoline_kernelINS0_14default_configENS1_29reduce_by_key_config_selectorIttN6thrust23THRUST_200600_302600_NS4plusItEEEEZZNS1_33reduce_by_key_impl_wrapped_configILNS1_25lookback_scan_determinismE0ES3_S9_NS6_6detail15normal_iteratorINS6_10device_ptrItEEEESG_SG_SG_PmS8_NS6_8equal_toItEEEE10hipError_tPvRmT2_T3_mT4_T5_T6_T7_T8_P12ihipStream_tbENKUlT_T0_E_clISt17integral_constantIbLb1EES10_IbLb0EEEEDaSW_SX_EUlSW_E_NS1_11comp_targetILNS1_3genE9ELNS1_11target_archE1100ELNS1_3gpuE3ELNS1_3repE0EEENS1_30default_config_static_selectorELNS0_4arch9wavefront6targetE0EEEvT1_ ; -- Begin function _ZN7rocprim17ROCPRIM_400000_NS6detail17trampoline_kernelINS0_14default_configENS1_29reduce_by_key_config_selectorIttN6thrust23THRUST_200600_302600_NS4plusItEEEEZZNS1_33reduce_by_key_impl_wrapped_configILNS1_25lookback_scan_determinismE0ES3_S9_NS6_6detail15normal_iteratorINS6_10device_ptrItEEEESG_SG_SG_PmS8_NS6_8equal_toItEEEE10hipError_tPvRmT2_T3_mT4_T5_T6_T7_T8_P12ihipStream_tbENKUlT_T0_E_clISt17integral_constantIbLb1EES10_IbLb0EEEEDaSW_SX_EUlSW_E_NS1_11comp_targetILNS1_3genE9ELNS1_11target_archE1100ELNS1_3gpuE3ELNS1_3repE0EEENS1_30default_config_static_selectorELNS0_4arch9wavefront6targetE0EEEvT1_
	.globl	_ZN7rocprim17ROCPRIM_400000_NS6detail17trampoline_kernelINS0_14default_configENS1_29reduce_by_key_config_selectorIttN6thrust23THRUST_200600_302600_NS4plusItEEEEZZNS1_33reduce_by_key_impl_wrapped_configILNS1_25lookback_scan_determinismE0ES3_S9_NS6_6detail15normal_iteratorINS6_10device_ptrItEEEESG_SG_SG_PmS8_NS6_8equal_toItEEEE10hipError_tPvRmT2_T3_mT4_T5_T6_T7_T8_P12ihipStream_tbENKUlT_T0_E_clISt17integral_constantIbLb1EES10_IbLb0EEEEDaSW_SX_EUlSW_E_NS1_11comp_targetILNS1_3genE9ELNS1_11target_archE1100ELNS1_3gpuE3ELNS1_3repE0EEENS1_30default_config_static_selectorELNS0_4arch9wavefront6targetE0EEEvT1_
	.p2align	8
	.type	_ZN7rocprim17ROCPRIM_400000_NS6detail17trampoline_kernelINS0_14default_configENS1_29reduce_by_key_config_selectorIttN6thrust23THRUST_200600_302600_NS4plusItEEEEZZNS1_33reduce_by_key_impl_wrapped_configILNS1_25lookback_scan_determinismE0ES3_S9_NS6_6detail15normal_iteratorINS6_10device_ptrItEEEESG_SG_SG_PmS8_NS6_8equal_toItEEEE10hipError_tPvRmT2_T3_mT4_T5_T6_T7_T8_P12ihipStream_tbENKUlT_T0_E_clISt17integral_constantIbLb1EES10_IbLb0EEEEDaSW_SX_EUlSW_E_NS1_11comp_targetILNS1_3genE9ELNS1_11target_archE1100ELNS1_3gpuE3ELNS1_3repE0EEENS1_30default_config_static_selectorELNS0_4arch9wavefront6targetE0EEEvT1_,@function
_ZN7rocprim17ROCPRIM_400000_NS6detail17trampoline_kernelINS0_14default_configENS1_29reduce_by_key_config_selectorIttN6thrust23THRUST_200600_302600_NS4plusItEEEEZZNS1_33reduce_by_key_impl_wrapped_configILNS1_25lookback_scan_determinismE0ES3_S9_NS6_6detail15normal_iteratorINS6_10device_ptrItEEEESG_SG_SG_PmS8_NS6_8equal_toItEEEE10hipError_tPvRmT2_T3_mT4_T5_T6_T7_T8_P12ihipStream_tbENKUlT_T0_E_clISt17integral_constantIbLb1EES10_IbLb0EEEEDaSW_SX_EUlSW_E_NS1_11comp_targetILNS1_3genE9ELNS1_11target_archE1100ELNS1_3gpuE3ELNS1_3repE0EEENS1_30default_config_static_selectorELNS0_4arch9wavefront6targetE0EEEvT1_: ; @_ZN7rocprim17ROCPRIM_400000_NS6detail17trampoline_kernelINS0_14default_configENS1_29reduce_by_key_config_selectorIttN6thrust23THRUST_200600_302600_NS4plusItEEEEZZNS1_33reduce_by_key_impl_wrapped_configILNS1_25lookback_scan_determinismE0ES3_S9_NS6_6detail15normal_iteratorINS6_10device_ptrItEEEESG_SG_SG_PmS8_NS6_8equal_toItEEEE10hipError_tPvRmT2_T3_mT4_T5_T6_T7_T8_P12ihipStream_tbENKUlT_T0_E_clISt17integral_constantIbLb1EES10_IbLb0EEEEDaSW_SX_EUlSW_E_NS1_11comp_targetILNS1_3genE9ELNS1_11target_archE1100ELNS1_3gpuE3ELNS1_3repE0EEENS1_30default_config_static_selectorELNS0_4arch9wavefront6targetE0EEEvT1_
; %bb.0:
	s_clause 0x4
	s_load_b256 s[16:23], s[0:1], 0x0
	s_load_b256 s[24:31], s[0:1], 0x38
	s_load_b128 s[36:39], s[0:1], 0x20
	s_load_b64 s[34:35], s[0:1], 0x68
	s_load_b128 s[40:43], s[0:1], 0x58
	s_mov_b32 s3, 0
	s_mul_i32 s2, s15, 0xf00
	s_waitcnt lgkmcnt(0)
	s_lshl_b64 s[0:1], s[18:19], 1
	s_mul_i32 s4, s28, s27
	s_add_u32 s8, s16, s0
	s_mul_hi_u32 s5, s28, s26
	s_addc_u32 s9, s17, s1
	s_add_u32 s10, s20, s0
	s_mul_i32 s6, s29, s26
	s_addc_u32 s11, s21, s1
	s_add_i32 s4, s5, s4
	s_lshl_b64 s[0:1], s[2:3], 1
	s_add_i32 s4, s4, s6
	s_add_u32 s29, s8, s0
	s_addc_u32 s14, s9, s1
	s_mul_i32 s7, s28, s26
	s_add_u32 s19, s10, s0
	s_addc_u32 s28, s11, s1
	s_add_u32 s16, s7, s15
	s_addc_u32 s17, s4, 0
	s_add_u32 s0, s30, -1
	s_addc_u32 s1, s31, -1
	s_mul_i32 s21, s0, 0xfffff100
	s_cmp_eq_u64 s[16:17], s[0:1]
	s_cselect_b32 s20, -1, 0
	s_cmp_lg_u64 s[16:17], s[0:1]
	s_cselect_b32 s18, -1, 0
	s_and_b32 vcc_lo, exec_lo, s20
	s_cbranch_vccnz .LBB419_2
; %bb.1:
	v_lshlrev_b32_e32 v13, 1, v0
	s_delay_alu instid0(VALU_DEP_1) | instskip(NEXT) | instid1(VALU_DEP_1)
	v_add_co_u32 v1, s0, s29, v13
	v_add_co_ci_u32_e64 v2, null, s14, 0, s0
	v_add_co_u32 v6, s0, s19, v13
	s_delay_alu instid0(VALU_DEP_3) | instskip(NEXT) | instid1(VALU_DEP_3)
	v_add_co_u32 v3, vcc_lo, 0x1000, v1
	v_add_co_ci_u32_e32 v4, vcc_lo, 0, v2, vcc_lo
	s_clause 0xe
	flat_load_u16 v10, v[1:2]
	flat_load_u16 v11, v[1:2] offset:512
	flat_load_u16 v12, v[1:2] offset:1024
	;; [unrolled: 1-line block ×7, first 2 shown]
	flat_load_u16 v2, v[3:4]
	flat_load_u16 v18, v[3:4] offset:512
	flat_load_u16 v19, v[3:4] offset:1024
	;; [unrolled: 1-line block ×6, first 2 shown]
	v_add_co_ci_u32_e64 v7, null, s28, 0, s0
	v_mad_u32_u24 v5, v0, 28, v13
	v_add_co_u32 v8, vcc_lo, 0x1000, v6
	s_delay_alu instid0(VALU_DEP_3)
	v_add_co_ci_u32_e32 v9, vcc_lo, 0, v7, vcc_lo
	s_waitcnt vmcnt(14) lgkmcnt(14)
	ds_store_b16 v13, v10
	s_waitcnt vmcnt(13) lgkmcnt(14)
	ds_store_b16 v13, v11 offset:512
	s_waitcnt vmcnt(12) lgkmcnt(14)
	ds_store_b16 v13, v12 offset:1024
	;; [unrolled: 2-line block ×14, first 2 shown]
	s_waitcnt lgkmcnt(0)
	s_barrier
	buffer_gl0_inv
	ds_load_u16 v51, v5
	ds_load_b128 v[1:4], v5 offset:2
	ds_load_b96 v[10:12], v5 offset:18
	s_waitcnt lgkmcnt(0)
	s_barrier
	buffer_gl0_inv
	s_clause 0xe
	flat_load_u16 v14, v[6:7]
	flat_load_u16 v15, v[6:7] offset:512
	flat_load_u16 v16, v[6:7] offset:1024
	;; [unrolled: 1-line block ×7, first 2 shown]
	flat_load_u16 v21, v[8:9]
	flat_load_u16 v22, v[8:9] offset:512
	flat_load_u16 v23, v[8:9] offset:1024
	;; [unrolled: 1-line block ×6, first 2 shown]
	v_mul_u32_u24_e32 v7, 15, v0
	s_waitcnt vmcnt(14) lgkmcnt(14)
	ds_store_b16 v13, v14
	s_waitcnt vmcnt(13) lgkmcnt(14)
	ds_store_b16 v13, v15 offset:512
	s_waitcnt vmcnt(12) lgkmcnt(14)
	ds_store_b16 v13, v16 offset:1024
	;; [unrolled: 2-line block ×14, first 2 shown]
	s_waitcnt lgkmcnt(0)
	s_barrier
	s_and_not1_b32 vcc_lo, exec_lo, s3
	s_add_i32 s21, s21, s40
	s_cbranch_vccz .LBB419_3
	s_branch .LBB419_50
.LBB419_2:
                                        ; implicit-def: $vgpr1
                                        ; implicit-def: $vgpr10
                                        ; implicit-def: $vgpr7
                                        ; implicit-def: $vgpr5
                                        ; implicit-def: $vgpr51
	s_add_i32 s21, s21, s40
.LBB419_3:
	s_delay_alu instid0(SALU_CYCLE_1)
	v_cmp_gt_u32_e32 vcc_lo, s21, v0
                                        ; implicit-def: $vgpr1
	s_and_saveexec_b32 s0, vcc_lo
	s_cbranch_execz .LBB419_5
; %bb.4:
	v_lshlrev_b32_e32 v1, 1, v0
	s_delay_alu instid0(VALU_DEP_1) | instskip(NEXT) | instid1(VALU_DEP_1)
	v_add_co_u32 v1, s1, s29, v1
	v_add_co_ci_u32_e64 v2, null, s14, 0, s1
	flat_load_u16 v1, v[1:2]
.LBB419_5:
	s_or_b32 exec_lo, exec_lo, s0
	v_or_b32_e32 v2, 0x100, v0
	s_delay_alu instid0(VALU_DEP_1) | instskip(NEXT) | instid1(VALU_DEP_1)
	v_cmp_gt_u32_e64 s0, s21, v2
                                        ; implicit-def: $vgpr2
	s_and_saveexec_b32 s1, s0
	s_cbranch_execz .LBB419_7
; %bb.6:
	v_lshlrev_b32_e32 v2, 1, v0
	s_delay_alu instid0(VALU_DEP_1) | instskip(NEXT) | instid1(VALU_DEP_1)
	v_add_co_u32 v2, s2, s29, v2
	v_add_co_ci_u32_e64 v3, null, s14, 0, s2
	flat_load_u16 v2, v[2:3] offset:512
.LBB419_7:
	s_or_b32 exec_lo, exec_lo, s1
	v_or_b32_e32 v3, 0x200, v0
	s_delay_alu instid0(VALU_DEP_1) | instskip(NEXT) | instid1(VALU_DEP_1)
	v_cmp_gt_u32_e64 s1, s21, v3
                                        ; implicit-def: $vgpr3
	s_and_saveexec_b32 s2, s1
	s_cbranch_execz .LBB419_9
; %bb.8:
	v_lshlrev_b32_e32 v3, 1, v0
	s_delay_alu instid0(VALU_DEP_1) | instskip(NEXT) | instid1(VALU_DEP_1)
	v_add_co_u32 v3, s3, s29, v3
	v_add_co_ci_u32_e64 v4, null, s14, 0, s3
	flat_load_u16 v3, v[3:4] offset:1024
.LBB419_9:
	s_or_b32 exec_lo, exec_lo, s2
	v_or_b32_e32 v4, 0x300, v0
	s_delay_alu instid0(VALU_DEP_1) | instskip(NEXT) | instid1(VALU_DEP_1)
	v_cmp_gt_u32_e64 s2, s21, v4
                                        ; implicit-def: $vgpr4
	s_and_saveexec_b32 s3, s2
	s_cbranch_execz .LBB419_11
; %bb.10:
	v_lshlrev_b32_e32 v4, 1, v0
	s_delay_alu instid0(VALU_DEP_1) | instskip(NEXT) | instid1(VALU_DEP_1)
	v_add_co_u32 v4, s4, s29, v4
	v_add_co_ci_u32_e64 v5, null, s14, 0, s4
	flat_load_u16 v4, v[4:5] offset:1536
.LBB419_11:
	s_or_b32 exec_lo, exec_lo, s3
	v_or_b32_e32 v5, 0x400, v0
	s_delay_alu instid0(VALU_DEP_1) | instskip(NEXT) | instid1(VALU_DEP_1)
	v_cmp_gt_u32_e64 s3, s21, v5
                                        ; implicit-def: $vgpr5
	s_and_saveexec_b32 s4, s3
	s_cbranch_execz .LBB419_13
; %bb.12:
	v_lshlrev_b32_e32 v5, 1, v0
	s_delay_alu instid0(VALU_DEP_1) | instskip(NEXT) | instid1(VALU_DEP_1)
	v_add_co_u32 v5, s5, s29, v5
	v_add_co_ci_u32_e64 v6, null, s14, 0, s5
	flat_load_u16 v5, v[5:6] offset:2048
.LBB419_13:
	s_or_b32 exec_lo, exec_lo, s4
	v_or_b32_e32 v6, 0x500, v0
                                        ; implicit-def: $vgpr10
	s_delay_alu instid0(VALU_DEP_1) | instskip(NEXT) | instid1(VALU_DEP_1)
	v_cmp_gt_u32_e64 s4, s21, v6
	s_and_saveexec_b32 s5, s4
	s_cbranch_execz .LBB419_15
; %bb.14:
	v_lshlrev_b32_e32 v6, 1, v0
	s_delay_alu instid0(VALU_DEP_1) | instskip(NEXT) | instid1(VALU_DEP_1)
	v_add_co_u32 v6, s6, s29, v6
	v_add_co_ci_u32_e64 v7, null, s14, 0, s6
	flat_load_u16 v10, v[6:7] offset:2560
.LBB419_15:
	s_or_b32 exec_lo, exec_lo, s5
	v_or_b32_e32 v6, 0x600, v0
                                        ; implicit-def: $vgpr11
	s_delay_alu instid0(VALU_DEP_1) | instskip(NEXT) | instid1(VALU_DEP_1)
	v_cmp_gt_u32_e64 s5, s21, v6
	s_and_saveexec_b32 s6, s5
	s_cbranch_execz .LBB419_17
; %bb.16:
	v_lshlrev_b32_e32 v6, 1, v0
	s_delay_alu instid0(VALU_DEP_1) | instskip(NEXT) | instid1(VALU_DEP_1)
	v_add_co_u32 v6, s7, s29, v6
	v_add_co_ci_u32_e64 v7, null, s14, 0, s7
	flat_load_u16 v11, v[6:7] offset:3072
.LBB419_17:
	s_or_b32 exec_lo, exec_lo, s6
	v_or_b32_e32 v6, 0x700, v0
                                        ; implicit-def: $vgpr12
	s_delay_alu instid0(VALU_DEP_1) | instskip(NEXT) | instid1(VALU_DEP_1)
	v_cmp_gt_u32_e64 s6, s21, v6
	s_and_saveexec_b32 s7, s6
	s_cbranch_execz .LBB419_19
; %bb.18:
	v_lshlrev_b32_e32 v6, 1, v0
	s_delay_alu instid0(VALU_DEP_1) | instskip(NEXT) | instid1(VALU_DEP_1)
	v_add_co_u32 v6, s8, s29, v6
	v_add_co_ci_u32_e64 v7, null, s14, 0, s8
	flat_load_u16 v12, v[6:7] offset:3584
.LBB419_19:
	s_or_b32 exec_lo, exec_lo, s7
	v_or_b32_e32 v7, 0x800, v0
                                        ; implicit-def: $vgpr17
	s_delay_alu instid0(VALU_DEP_1) | instskip(NEXT) | instid1(VALU_DEP_1)
	v_cmp_gt_u32_e64 s7, s21, v7
	s_and_saveexec_b32 s8, s7
	s_cbranch_execz .LBB419_21
; %bb.20:
	v_lshlrev_b32_e32 v6, 1, v7
	s_delay_alu instid0(VALU_DEP_1) | instskip(NEXT) | instid1(VALU_DEP_1)
	v_add_co_u32 v8, s9, s29, v6
	v_add_co_ci_u32_e64 v9, null, s14, 0, s9
	flat_load_u16 v17, v[8:9]
.LBB419_21:
	s_or_b32 exec_lo, exec_lo, s8
	v_or_b32_e32 v8, 0x900, v0
                                        ; implicit-def: $vgpr18
	s_delay_alu instid0(VALU_DEP_1) | instskip(NEXT) | instid1(VALU_DEP_1)
	v_cmp_gt_u32_e64 s8, s21, v8
	s_and_saveexec_b32 s9, s8
	s_cbranch_execz .LBB419_23
; %bb.22:
	v_lshlrev_b32_e32 v6, 1, v8
	s_delay_alu instid0(VALU_DEP_1) | instskip(NEXT) | instid1(VALU_DEP_1)
	v_add_co_u32 v13, s10, s29, v6
	v_add_co_ci_u32_e64 v14, null, s14, 0, s10
	flat_load_u16 v18, v[13:14]
.LBB419_23:
	s_or_b32 exec_lo, exec_lo, s9
	v_or_b32_e32 v9, 0xa00, v0
                                        ; implicit-def: $vgpr19
	s_delay_alu instid0(VALU_DEP_1) | instskip(NEXT) | instid1(VALU_DEP_1)
	v_cmp_gt_u32_e64 s9, s21, v9
	s_and_saveexec_b32 s10, s9
	s_cbranch_execz .LBB419_25
; %bb.24:
	v_lshlrev_b32_e32 v6, 1, v9
	s_delay_alu instid0(VALU_DEP_1) | instskip(NEXT) | instid1(VALU_DEP_1)
	v_add_co_u32 v13, s11, s29, v6
	v_add_co_ci_u32_e64 v14, null, s14, 0, s11
	flat_load_u16 v19, v[13:14]
.LBB419_25:
	s_or_b32 exec_lo, exec_lo, s10
	v_or_b32_e32 v13, 0xb00, v0
                                        ; implicit-def: $vgpr20
	s_delay_alu instid0(VALU_DEP_1) | instskip(NEXT) | instid1(VALU_DEP_1)
	v_cmp_gt_u32_e64 s10, s21, v13
	s_and_saveexec_b32 s11, s10
	s_cbranch_execz .LBB419_27
; %bb.26:
	v_lshlrev_b32_e32 v6, 1, v13
	s_delay_alu instid0(VALU_DEP_1) | instskip(NEXT) | instid1(VALU_DEP_1)
	v_add_co_u32 v14, s12, s29, v6
	v_add_co_ci_u32_e64 v15, null, s14, 0, s12
	flat_load_u16 v20, v[14:15]
.LBB419_27:
	s_or_b32 exec_lo, exec_lo, s11
	v_or_b32_e32 v14, 0xc00, v0
                                        ; implicit-def: $vgpr21
	s_delay_alu instid0(VALU_DEP_1) | instskip(NEXT) | instid1(VALU_DEP_1)
	v_cmp_gt_u32_e64 s11, s21, v14
	s_and_saveexec_b32 s12, s11
	s_cbranch_execz .LBB419_29
; %bb.28:
	v_lshlrev_b32_e32 v6, 1, v14
	s_delay_alu instid0(VALU_DEP_1) | instskip(NEXT) | instid1(VALU_DEP_1)
	v_add_co_u32 v15, s13, s29, v6
	v_add_co_ci_u32_e64 v16, null, s14, 0, s13
	flat_load_u16 v21, v[15:16]
.LBB419_29:
	s_or_b32 exec_lo, exec_lo, s12
	v_or_b32_e32 v15, 0xd00, v0
                                        ; implicit-def: $vgpr22
	s_delay_alu instid0(VALU_DEP_1) | instskip(NEXT) | instid1(VALU_DEP_1)
	v_cmp_gt_u32_e64 s12, s21, v15
	s_and_saveexec_b32 s13, s12
	s_cbranch_execz .LBB419_31
; %bb.30:
	v_lshlrev_b32_e32 v6, 1, v15
	s_delay_alu instid0(VALU_DEP_1) | instskip(NEXT) | instid1(VALU_DEP_1)
	v_add_co_u32 v22, s30, s29, v6
	v_add_co_ci_u32_e64 v23, null, s14, 0, s30
	flat_load_u16 v22, v[22:23]
.LBB419_31:
	s_or_b32 exec_lo, exec_lo, s13
	v_or_b32_e32 v16, 0xe00, v0
                                        ; implicit-def: $vgpr23
	s_delay_alu instid0(VALU_DEP_1) | instskip(NEXT) | instid1(VALU_DEP_1)
	v_cmp_gt_u32_e64 s13, s21, v16
	s_and_saveexec_b32 s30, s13
	s_cbranch_execz .LBB419_33
; %bb.32:
	v_lshlrev_b32_e32 v6, 1, v16
	s_delay_alu instid0(VALU_DEP_1) | instskip(NEXT) | instid1(VALU_DEP_1)
	v_add_co_u32 v23, s31, s29, v6
	v_add_co_ci_u32_e64 v24, null, s14, 0, s31
	flat_load_u16 v23, v[23:24]
.LBB419_33:
	s_or_b32 exec_lo, exec_lo, s30
	v_lshlrev_b32_e32 v6, 1, v0
	s_waitcnt vmcnt(0) lgkmcnt(0)
	ds_store_b16 v6, v1
	ds_store_b16 v6, v2 offset:512
	ds_store_b16 v6, v3 offset:1024
	ds_store_b16 v6, v4 offset:1536
	ds_store_b16 v6, v5 offset:2048
	ds_store_b16 v6, v10 offset:2560
	ds_store_b16 v6, v11 offset:3072
	ds_store_b16 v6, v12 offset:3584
	v_mad_u32_u24 v5, v0, 28, v6
	ds_store_b16 v6, v17 offset:4096
	ds_store_b16 v6, v18 offset:4608
	ds_store_b16 v6, v19 offset:5120
	ds_store_b16 v6, v20 offset:5632
	ds_store_b16 v6, v21 offset:6144
	ds_store_b16 v6, v22 offset:6656
	ds_store_b16 v6, v23 offset:7168
	s_waitcnt lgkmcnt(0)
	s_barrier
	buffer_gl0_inv
	ds_load_u16 v51, v5
	ds_load_b128 v[1:4], v5 offset:2
	ds_load_b96 v[10:12], v5 offset:18
	s_waitcnt lgkmcnt(0)
	s_barrier
	buffer_gl0_inv
                                        ; implicit-def: $vgpr17
	s_and_saveexec_b32 s30, vcc_lo
	s_cbranch_execnz .LBB419_57
; %bb.34:
	s_or_b32 exec_lo, exec_lo, s30
                                        ; implicit-def: $vgpr18
	s_and_saveexec_b32 s30, s0
	s_cbranch_execnz .LBB419_58
.LBB419_35:
	s_or_b32 exec_lo, exec_lo, s30
                                        ; implicit-def: $vgpr19
	s_and_saveexec_b32 s0, s1
	s_cbranch_execnz .LBB419_59
.LBB419_36:
	s_or_b32 exec_lo, exec_lo, s0
                                        ; implicit-def: $vgpr20
	s_and_saveexec_b32 s0, s2
	s_cbranch_execnz .LBB419_60
.LBB419_37:
	s_or_b32 exec_lo, exec_lo, s0
                                        ; implicit-def: $vgpr21
	s_and_saveexec_b32 s0, s3
	s_cbranch_execnz .LBB419_61
.LBB419_38:
	s_or_b32 exec_lo, exec_lo, s0
                                        ; implicit-def: $vgpr22
	s_and_saveexec_b32 s0, s4
	s_cbranch_execnz .LBB419_62
.LBB419_39:
	s_or_b32 exec_lo, exec_lo, s0
                                        ; implicit-def: $vgpr23
	s_and_saveexec_b32 s0, s5
	s_cbranch_execnz .LBB419_63
.LBB419_40:
	s_or_b32 exec_lo, exec_lo, s0
                                        ; implicit-def: $vgpr24
	s_and_saveexec_b32 s0, s6
	s_cbranch_execnz .LBB419_64
.LBB419_41:
	s_or_b32 exec_lo, exec_lo, s0
                                        ; implicit-def: $vgpr25
	s_and_saveexec_b32 s0, s7
	s_cbranch_execnz .LBB419_65
.LBB419_42:
	s_or_b32 exec_lo, exec_lo, s0
                                        ; implicit-def: $vgpr26
	s_and_saveexec_b32 s0, s8
	s_cbranch_execnz .LBB419_66
.LBB419_43:
	s_or_b32 exec_lo, exec_lo, s0
                                        ; implicit-def: $vgpr8
	s_and_saveexec_b32 s0, s9
	s_cbranch_execnz .LBB419_67
.LBB419_44:
	s_or_b32 exec_lo, exec_lo, s0
                                        ; implicit-def: $vgpr9
	s_and_saveexec_b32 s0, s10
	s_cbranch_execnz .LBB419_68
.LBB419_45:
	s_or_b32 exec_lo, exec_lo, s0
                                        ; implicit-def: $vgpr13
	s_and_saveexec_b32 s0, s11
	s_cbranch_execnz .LBB419_69
.LBB419_46:
	s_or_b32 exec_lo, exec_lo, s0
                                        ; implicit-def: $vgpr14
	s_and_saveexec_b32 s0, s12
	s_cbranch_execnz .LBB419_70
.LBB419_47:
	s_or_b32 exec_lo, exec_lo, s0
                                        ; implicit-def: $vgpr15
	s_and_saveexec_b32 s0, s13
	s_cbranch_execz .LBB419_49
.LBB419_48:
	v_lshlrev_b32_e32 v7, 1, v16
	s_delay_alu instid0(VALU_DEP_1) | instskip(NEXT) | instid1(VALU_DEP_1)
	v_add_co_u32 v15, s1, s19, v7
	v_add_co_ci_u32_e64 v16, null, s28, 0, s1
	flat_load_u16 v15, v[15:16]
.LBB419_49:
	s_or_b32 exec_lo, exec_lo, s0
	v_mul_u32_u24_e32 v7, 15, v0
	s_waitcnt vmcnt(0) lgkmcnt(0)
	ds_store_b16 v6, v17
	ds_store_b16 v6, v18 offset:512
	ds_store_b16 v6, v19 offset:1024
	;; [unrolled: 1-line block ×14, first 2 shown]
	s_waitcnt lgkmcnt(0)
	s_barrier
.LBB419_50:
	v_lshlrev_b32_e32 v6, 1, v7
	buffer_gl0_inv
	ds_load_u16 v74, v5
	ds_load_u16 v73, v5 offset:2
	ds_load_u16 v71, v5 offset:6
	;; [unrolled: 1-line block ×14, first 2 shown]
	s_cmp_eq_u64 s[16:17], 0
	s_waitcnt lgkmcnt(0)
	s_cselect_b32 s28, -1, 0
	s_cmp_lg_u64 s[16:17], 0
	s_barrier
	s_cselect_b32 s33, -1, 0
	s_and_b32 vcc_lo, exec_lo, s18
	buffer_gl0_inv
	s_cbranch_vccz .LBB419_56
; %bb.51:
	s_and_b32 vcc_lo, exec_lo, s33
	s_cbranch_vccz .LBB419_71
; %bb.52:
	v_add_co_u32 v5, s0, -2, s29
	s_delay_alu instid0(VALU_DEP_1)
	v_add_co_ci_u32_e64 v6, null, -1, s14, s0
	v_lshrrev_b32_e32 v7, 16, v12
	v_lshrrev_b32_e32 v8, 16, v11
	;; [unrolled: 1-line block ×3, first 2 shown]
	flat_load_u16 v5, v[5:6]
	v_lshlrev_b32_e32 v6, 1, v0
	v_cmp_ne_u16_e32 vcc_lo, v12, v7
	v_cmp_ne_u16_e64 s0, v8, v12
	v_cmp_ne_u16_e64 s1, v11, v8
	;; [unrolled: 1-line block ×3, first 2 shown]
	ds_store_b16 v6, v7
	v_lshrrev_b32_e32 v7, 16, v4
	v_cmp_ne_u16_e64 s3, v10, v9
	v_lshrrev_b32_e32 v8, 16, v3
	v_lshrrev_b32_e32 v9, 16, v2
	v_cmp_ne_u16_e64 s12, v51, v1
	v_cmp_ne_u16_e64 s4, v7, v10
	;; [unrolled: 1-line block ×3, first 2 shown]
	v_lshrrev_b32_e32 v7, 16, v1
	v_cmp_ne_u16_e64 s6, v8, v4
	v_cmp_ne_u16_e64 s7, v3, v8
	;; [unrolled: 1-line block ×6, first 2 shown]
	s_mov_b32 s30, -1
	s_mov_b32 s18, 0
	s_mov_b32 s19, exec_lo
	s_waitcnt vmcnt(0) lgkmcnt(0)
	s_barrier
	buffer_gl0_inv
	v_cmpx_ne_u32_e32 0, v0
	s_cbranch_execz .LBB419_54
; %bb.53:
	v_add_nc_u32_e32 v5, -2, v6
	ds_load_u16 v5, v5
.LBB419_54:
	s_or_b32 exec_lo, exec_lo, s19
	v_cndmask_b32_e64 v54, 0, 1, vcc_lo
	v_cndmask_b32_e64 v47, 0, 1, s0
	v_cndmask_b32_e64 v48, 0, 1, s1
	;; [unrolled: 1-line block ×13, first 2 shown]
	s_waitcnt lgkmcnt(0)
	v_cmp_ne_u16_e64 s0, v5, v51
	s_and_b32 vcc_lo, exec_lo, s18
	s_cbranch_vccnz .LBB419_72
.LBB419_55:
                                        ; implicit-def: $sgpr31
	s_branch .LBB419_83
.LBB419_56:
	s_mov_b32 s30, 0
                                        ; implicit-def: $sgpr0
                                        ; implicit-def: $vgpr54
                                        ; implicit-def: $vgpr47
                                        ; implicit-def: $vgpr48
                                        ; implicit-def: $vgpr49
                                        ; implicit-def: $vgpr50
                                        ; implicit-def: $vgpr52
                                        ; implicit-def: $vgpr53
                                        ; implicit-def: $vgpr55
                                        ; implicit-def: $vgpr56
                                        ; implicit-def: $vgpr57
                                        ; implicit-def: $vgpr58
                                        ; implicit-def: $vgpr59
                                        ; implicit-def: $vgpr60
                                        ; implicit-def: $vgpr61
                                        ; implicit-def: $sgpr31
	s_cbranch_execnz .LBB419_75
	s_branch .LBB419_83
.LBB419_57:
	v_add_co_u32 v17, s31, s19, v6
	s_delay_alu instid0(VALU_DEP_1)
	v_add_co_ci_u32_e64 v18, null, s28, 0, s31
	flat_load_u16 v17, v[17:18]
	s_or_b32 exec_lo, exec_lo, s30
                                        ; implicit-def: $vgpr18
	s_and_saveexec_b32 s30, s0
	s_cbranch_execz .LBB419_35
.LBB419_58:
	v_add_co_u32 v18, s0, s19, v6
	s_delay_alu instid0(VALU_DEP_1)
	v_add_co_ci_u32_e64 v19, null, s28, 0, s0
	flat_load_u16 v18, v[18:19] offset:512
	s_or_b32 exec_lo, exec_lo, s30
                                        ; implicit-def: $vgpr19
	s_and_saveexec_b32 s0, s1
	s_cbranch_execz .LBB419_36
.LBB419_59:
	v_add_co_u32 v19, s1, s19, v6
	s_delay_alu instid0(VALU_DEP_1)
	v_add_co_ci_u32_e64 v20, null, s28, 0, s1
	flat_load_u16 v19, v[19:20] offset:1024
	s_or_b32 exec_lo, exec_lo, s0
                                        ; implicit-def: $vgpr20
	s_and_saveexec_b32 s0, s2
	s_cbranch_execz .LBB419_37
.LBB419_60:
	v_add_co_u32 v20, s1, s19, v6
	s_delay_alu instid0(VALU_DEP_1)
	v_add_co_ci_u32_e64 v21, null, s28, 0, s1
	flat_load_u16 v20, v[20:21] offset:1536
	s_or_b32 exec_lo, exec_lo, s0
                                        ; implicit-def: $vgpr21
	s_and_saveexec_b32 s0, s3
	s_cbranch_execz .LBB419_38
.LBB419_61:
	v_add_co_u32 v21, s1, s19, v6
	s_delay_alu instid0(VALU_DEP_1)
	v_add_co_ci_u32_e64 v22, null, s28, 0, s1
	flat_load_u16 v21, v[21:22] offset:2048
	s_or_b32 exec_lo, exec_lo, s0
                                        ; implicit-def: $vgpr22
	s_and_saveexec_b32 s0, s4
	s_cbranch_execz .LBB419_39
.LBB419_62:
	v_add_co_u32 v22, s1, s19, v6
	s_delay_alu instid0(VALU_DEP_1)
	v_add_co_ci_u32_e64 v23, null, s28, 0, s1
	flat_load_u16 v22, v[22:23] offset:2560
	s_or_b32 exec_lo, exec_lo, s0
                                        ; implicit-def: $vgpr23
	s_and_saveexec_b32 s0, s5
	s_cbranch_execz .LBB419_40
.LBB419_63:
	v_add_co_u32 v23, s1, s19, v6
	s_delay_alu instid0(VALU_DEP_1)
	v_add_co_ci_u32_e64 v24, null, s28, 0, s1
	flat_load_u16 v23, v[23:24] offset:3072
	s_or_b32 exec_lo, exec_lo, s0
                                        ; implicit-def: $vgpr24
	s_and_saveexec_b32 s0, s6
	s_cbranch_execz .LBB419_41
.LBB419_64:
	v_add_co_u32 v24, s1, s19, v6
	s_delay_alu instid0(VALU_DEP_1)
	v_add_co_ci_u32_e64 v25, null, s28, 0, s1
	flat_load_u16 v24, v[24:25] offset:3584
	s_or_b32 exec_lo, exec_lo, s0
                                        ; implicit-def: $vgpr25
	s_and_saveexec_b32 s0, s7
	s_cbranch_execz .LBB419_42
.LBB419_65:
	v_lshlrev_b32_e32 v7, 1, v7
	s_delay_alu instid0(VALU_DEP_1) | instskip(NEXT) | instid1(VALU_DEP_1)
	v_add_co_u32 v25, s1, s19, v7
	v_add_co_ci_u32_e64 v26, null, s28, 0, s1
	flat_load_u16 v25, v[25:26]
	s_or_b32 exec_lo, exec_lo, s0
                                        ; implicit-def: $vgpr26
	s_and_saveexec_b32 s0, s8
	s_cbranch_execz .LBB419_43
.LBB419_66:
	v_lshlrev_b32_e32 v7, 1, v8
	s_delay_alu instid0(VALU_DEP_1) | instskip(NEXT) | instid1(VALU_DEP_1)
	v_add_co_u32 v7, s1, s19, v7
	v_add_co_ci_u32_e64 v8, null, s28, 0, s1
	flat_load_u16 v26, v[7:8]
	s_or_b32 exec_lo, exec_lo, s0
                                        ; implicit-def: $vgpr8
	s_and_saveexec_b32 s0, s9
	s_cbranch_execz .LBB419_44
.LBB419_67:
	v_lshlrev_b32_e32 v7, 1, v9
	s_delay_alu instid0(VALU_DEP_1) | instskip(NEXT) | instid1(VALU_DEP_1)
	v_add_co_u32 v7, s1, s19, v7
	v_add_co_ci_u32_e64 v8, null, s28, 0, s1
	flat_load_u16 v8, v[7:8]
	s_or_b32 exec_lo, exec_lo, s0
                                        ; implicit-def: $vgpr9
	s_and_saveexec_b32 s0, s10
	s_cbranch_execz .LBB419_45
.LBB419_68:
	v_lshlrev_b32_e32 v7, 1, v13
	s_delay_alu instid0(VALU_DEP_1) | instskip(NEXT) | instid1(VALU_DEP_1)
	v_add_co_u32 v27, s1, s19, v7
	v_add_co_ci_u32_e64 v28, null, s28, 0, s1
	flat_load_u16 v9, v[27:28]
	s_or_b32 exec_lo, exec_lo, s0
                                        ; implicit-def: $vgpr13
	s_and_saveexec_b32 s0, s11
	s_cbranch_execz .LBB419_46
.LBB419_69:
	v_lshlrev_b32_e32 v7, 1, v14
	s_delay_alu instid0(VALU_DEP_1) | instskip(NEXT) | instid1(VALU_DEP_1)
	v_add_co_u32 v13, s1, s19, v7
	v_add_co_ci_u32_e64 v14, null, s28, 0, s1
	flat_load_u16 v13, v[13:14]
	s_or_b32 exec_lo, exec_lo, s0
                                        ; implicit-def: $vgpr14
	s_and_saveexec_b32 s0, s12
	s_cbranch_execz .LBB419_47
.LBB419_70:
	v_lshlrev_b32_e32 v7, 1, v15
	s_delay_alu instid0(VALU_DEP_1) | instskip(NEXT) | instid1(VALU_DEP_1)
	v_add_co_u32 v14, s1, s19, v7
	v_add_co_ci_u32_e64 v15, null, s28, 0, s1
	flat_load_u16 v14, v[14:15]
	s_or_b32 exec_lo, exec_lo, s0
                                        ; implicit-def: $vgpr15
	s_and_saveexec_b32 s0, s13
	s_cbranch_execnz .LBB419_48
	s_branch .LBB419_49
.LBB419_71:
	s_mov_b32 s30, 0
                                        ; implicit-def: $sgpr0
                                        ; implicit-def: $vgpr54
                                        ; implicit-def: $vgpr47
                                        ; implicit-def: $vgpr48
                                        ; implicit-def: $vgpr49
                                        ; implicit-def: $vgpr50
                                        ; implicit-def: $vgpr52
                                        ; implicit-def: $vgpr53
                                        ; implicit-def: $vgpr55
                                        ; implicit-def: $vgpr56
                                        ; implicit-def: $vgpr57
                                        ; implicit-def: $vgpr58
                                        ; implicit-def: $vgpr59
                                        ; implicit-def: $vgpr60
                                        ; implicit-def: $vgpr61
	s_cbranch_execz .LBB419_55
.LBB419_72:
	v_lshrrev_b32_e32 v6, 16, v12
	v_lshrrev_b32_e32 v7, 16, v11
	;; [unrolled: 1-line block ×3, first 2 shown]
	v_lshlrev_b32_e32 v5, 1, v0
	s_mov_b32 s31, 1
	v_cmp_ne_u16_e32 vcc_lo, v12, v6
	s_mov_b32 s1, exec_lo
                                        ; implicit-def: $sgpr0
	ds_store_b16 v5, v6
	s_waitcnt lgkmcnt(0)
	v_cndmask_b32_e64 v54, 0, 1, vcc_lo
	v_cmp_ne_u16_e32 vcc_lo, v7, v12
	s_barrier
	buffer_gl0_inv
	v_cndmask_b32_e64 v47, 0, 1, vcc_lo
	v_cmp_ne_u16_e32 vcc_lo, v11, v7
	v_lshrrev_b32_e32 v7, 16, v4
	v_cndmask_b32_e64 v48, 0, 1, vcc_lo
	v_cmp_ne_u16_e32 vcc_lo, v8, v11
	v_cndmask_b32_e64 v49, 0, 1, vcc_lo
	v_cmp_ne_u16_e32 vcc_lo, v10, v8
	v_lshrrev_b32_e32 v8, 16, v3
	v_cndmask_b32_e64 v50, 0, 1, vcc_lo
	v_cmp_ne_u16_e32 vcc_lo, v7, v10
	;; [unrolled: 5-line block ×4, first 2 shown]
	v_cndmask_b32_e64 v57, 0, 1, vcc_lo
	v_cmp_ne_u16_e32 vcc_lo, v2, v7
	v_cndmask_b32_e64 v58, 0, 1, vcc_lo
	v_cmp_ne_u16_e32 vcc_lo, v8, v2
	;; [unrolled: 2-line block ×4, first 2 shown]
	v_cndmask_b32_e64 v61, 0, 1, vcc_lo
	v_cmpx_ne_u32_e32 0, v0
	s_xor_b32 s1, exec_lo, s1
	s_cbranch_execz .LBB419_74
; %bb.73:
	v_add_nc_u32_e32 v5, -2, v5
	s_or_b32 s30, s30, exec_lo
	ds_load_u16 v5, v5
	s_waitcnt lgkmcnt(0)
	v_cmp_ne_u16_e32 vcc_lo, v5, v51
	s_and_b32 s0, vcc_lo, exec_lo
.LBB419_74:
	s_or_b32 exec_lo, exec_lo, s1
	s_branch .LBB419_83
.LBB419_75:
	s_mul_hi_u32 s0, s16, 0xfffff100
	s_mul_i32 s1, s17, 0xfffff100
	s_sub_i32 s0, s0, s16
	s_mul_i32 s2, s16, 0xfffff100
	s_add_i32 s0, s0, s1
	s_add_u32 s18, s2, s40
	s_addc_u32 s19, s0, s41
	s_and_b32 vcc_lo, exec_lo, s33
	s_cbranch_vccz .LBB419_80
; %bb.76:
	v_add_co_u32 v5, s0, -2, s29
	s_delay_alu instid0(VALU_DEP_1)
	v_add_co_ci_u32_e64 v6, null, -1, s14, s0
	v_lshrrev_b32_e32 v13, 16, v12
	v_lshlrev_b32_e32 v8, 1, v0
	v_lshrrev_b32_e32 v14, 16, v11
	flat_load_u16 v9, v[5:6]
	v_mad_u32_u24 v5, v0, 15, 14
	v_mov_b32_e32 v6, 0
	v_cmp_ne_u16_e64 s5, v12, v13
	ds_store_b16 v8, v13
	v_cmp_ne_u16_e64 s7, v14, v12
	v_lshrrev_b32_e32 v13, 16, v10
	v_cmp_gt_u64_e32 vcc_lo, s[18:19], v[5:6]
	v_mad_u32_u24 v5, v0, 15, 13
	v_mul_u32_u24_e32 v7, 15, v0
	s_mov_b32 s30, -1
	s_mov_b32 s8, 0
	s_waitcnt vmcnt(0) lgkmcnt(0)
	v_cmp_gt_u64_e64 s0, s[18:19], v[5:6]
	v_mad_u32_u24 v5, v0, 15, 12
	s_and_b32 s9, vcc_lo, s5
	v_cmp_ne_u16_e64 s5, v13, v11
	s_barrier
	buffer_gl0_inv
	v_cmp_gt_u64_e64 s1, s[18:19], v[5:6]
	v_mad_u32_u24 v5, v0, 15, 11
	s_and_b32 s10, s0, s7
	v_cmp_ne_u16_e64 s0, v11, v14
	v_lshrrev_b32_e32 v14, 16, v4
	s_delay_alu instid0(VALU_DEP_3) | instskip(SKIP_1) | instid1(VALU_DEP_4)
	v_cmp_gt_u64_e64 s2, s[18:19], v[5:6]
	v_mad_u32_u24 v5, v0, 15, 10
	s_and_b32 s11, s1, s0
	v_cmp_ne_u16_e64 s0, v10, v13
	v_cmp_ne_u16_e64 s1, v14, v10
	v_lshrrev_b32_e32 v13, 16, v3
	v_cmp_gt_u64_e64 s3, s[18:19], v[5:6]
	v_mad_u32_u24 v5, v0, 15, 9
	s_and_b32 s12, s2, s5
	s_delay_alu instid0(VALU_DEP_1) | instskip(SKIP_1) | instid1(VALU_DEP_4)
	v_cmp_gt_u64_e64 s4, s[18:19], v[5:6]
	v_mad_u32_u24 v5, v0, 15, 8
	s_and_b32 s13, s3, s0
	v_cmp_ne_u16_e64 s0, v4, v14
	v_lshrrev_b32_e32 v14, 16, v2
	v_cmp_ne_u16_e64 s3, v3, v13
	v_cmp_gt_u64_e64 s6, s[18:19], v[5:6]
	v_mad_u32_u24 v5, v0, 15, 7
	s_and_b32 s14, s4, s1
	s_delay_alu instid0(VALU_DEP_1) | instskip(SKIP_1) | instid1(VALU_DEP_4)
	v_cmp_gt_u64_e32 vcc_lo, s[18:19], v[5:6]
	v_mad_u32_u24 v5, v0, 15, 6
	s_and_b32 s16, s6, s0
	v_cmp_ne_u16_e64 s0, v13, v4
	v_lshrrev_b32_e32 v13, 16, v1
	v_cmp_ne_u16_e64 s6, v51, v1
	v_cmp_gt_u64_e64 s7, s[18:19], v[5:6]
	v_mad_u32_u24 v5, v0, 15, 5
	s_and_b32 s17, vcc_lo, s0
	v_cmp_ne_u16_e32 vcc_lo, v14, v3
	s_delay_alu instid0(VALU_DEP_2) | instskip(SKIP_3) | instid1(VALU_DEP_2)
	v_cmp_gt_u64_e64 s2, s[18:19], v[5:6]
	v_mad_u32_u24 v5, v0, 15, 4
	s_and_b32 s7, s7, s3
	v_cmp_ne_u16_e64 s3, v1, v13
	v_cmp_gt_u64_e64 s1, s[18:19], v[5:6]
	v_mad_u32_u24 v5, v0, 15, 3
	s_and_b32 s29, s2, vcc_lo
	v_cmp_ne_u16_e32 vcc_lo, v2, v14
	v_cmp_ne_u16_e64 s2, v13, v2
	s_delay_alu instid0(VALU_DEP_3) | instskip(SKIP_2) | instid1(VALU_DEP_1)
	v_cmp_gt_u64_e64 s4, s[18:19], v[5:6]
	v_mad_u32_u24 v5, v0, 15, 2
	s_and_b32 s31, s1, vcc_lo
	v_cmp_gt_u64_e64 s0, s[18:19], v[5:6]
	v_mad_u32_u24 v5, v0, 15, 1
	s_delay_alu instid0(VALU_DEP_4) | instskip(NEXT) | instid1(VALU_DEP_1)
	s_and_b32 s2, s4, s2
	v_cmp_gt_u64_e64 s5, s[18:19], v[5:6]
	s_delay_alu instid0(VALU_DEP_3) | instskip(SKIP_1) | instid1(VALU_DEP_1)
	s_and_b32 s1, s0, s3
	s_mov_b32 s0, exec_lo
	s_and_b32 s3, s5, s6
	v_cmpx_ne_u32_e32 0, v0
	s_cbranch_execz .LBB419_78
; %bb.77:
	v_add_nc_u32_e32 v5, -2, v8
	ds_load_u16 v9, v5
.LBB419_78:
	s_or_b32 exec_lo, exec_lo, s0
	v_mov_b32_e32 v8, v6
	s_waitcnt lgkmcnt(0)
	v_cmp_ne_u16_e64 s0, v9, v51
	v_cndmask_b32_e64 v54, 0, 1, s9
	v_cndmask_b32_e64 v47, 0, 1, s10
	;; [unrolled: 1-line block ×3, first 2 shown]
	v_cmp_gt_u64_e32 vcc_lo, s[18:19], v[7:8]
	v_cndmask_b32_e64 v49, 0, 1, s12
	v_cndmask_b32_e64 v50, 0, 1, s13
	;; [unrolled: 1-line block ×11, first 2 shown]
	s_and_b32 s0, vcc_lo, s0
	s_and_b32 vcc_lo, exec_lo, s8
	s_cbranch_vccnz .LBB419_81
.LBB419_79:
                                        ; implicit-def: $sgpr31
	v_mov_b32_e32 v63, s31
	s_and_saveexec_b32 s1, s30
	s_cbranch_execnz .LBB419_84
	s_branch .LBB419_85
.LBB419_80:
                                        ; implicit-def: $sgpr0
                                        ; implicit-def: $vgpr54
                                        ; implicit-def: $vgpr47
                                        ; implicit-def: $vgpr48
                                        ; implicit-def: $vgpr49
                                        ; implicit-def: $vgpr50
                                        ; implicit-def: $vgpr52
                                        ; implicit-def: $vgpr53
                                        ; implicit-def: $vgpr55
                                        ; implicit-def: $vgpr56
                                        ; implicit-def: $vgpr57
                                        ; implicit-def: $vgpr58
                                        ; implicit-def: $vgpr59
                                        ; implicit-def: $vgpr60
                                        ; implicit-def: $vgpr61
	s_cbranch_execz .LBB419_79
.LBB419_81:
	v_mad_u32_u24 v5, v0, 15, 14
	v_dual_mov_b32 v6, 0 :: v_dual_lshlrev_b32 v7, 1, v0
	v_lshrrev_b32_e32 v8, 16, v12
	v_lshrrev_b32_e32 v9, 16, v11
	;; [unrolled: 1-line block ×3, first 2 shown]
	s_delay_alu instid0(VALU_DEP_4)
	v_cmp_gt_u64_e32 vcc_lo, s[18:19], v[5:6]
	v_mad_u32_u24 v5, v0, 15, 13
	v_cmp_ne_u16_e64 s4, v12, v8
	v_cmp_ne_u16_e64 s5, v9, v12
	;; [unrolled: 1-line block ×3, first 2 shown]
	v_lshrrev_b32_e32 v14, 16, v4
	v_cmp_gt_u64_e64 s0, s[18:19], v[5:6]
	v_mad_u32_u24 v5, v0, 15, 12
	s_and_b32 s4, vcc_lo, s4
	v_cmp_ne_u16_e64 s7, v13, v11
	v_cmp_ne_u16_e64 s9, v10, v13
	;; [unrolled: 1-line block ×3, first 2 shown]
	v_cmp_gt_u64_e64 s1, s[18:19], v[5:6]
	v_mad_u32_u24 v5, v0, 15, 11
	s_and_b32 s0, s0, s5
	v_cmp_ne_u16_e64 s11, v4, v14
	v_cndmask_b32_e64 v47, 0, 1, s0
	v_lshrrev_b32_e32 v15, 16, v3
	v_cmp_gt_u64_e64 s2, s[18:19], v[5:6]
	v_mad_u32_u24 v5, v0, 15, 10
	s_and_b32 s0, s1, s6
	v_lshrrev_b32_e32 v16, 16, v2
	v_cndmask_b32_e64 v48, 0, 1, s0
	v_cmp_ne_u16_e64 s12, v15, v4
	v_cmp_gt_u64_e64 s3, s[18:19], v[5:6]
	v_mad_u32_u24 v5, v0, 15, 9
	s_and_b32 s1, s2, s7
	v_cmp_ne_u16_e64 s14, v3, v15
	v_cndmask_b32_e64 v49, 0, 1, s1
	v_cmp_ne_u16_e64 s16, v16, v3
	v_cmp_gt_u64_e64 s8, s[18:19], v[5:6]
	v_mad_u32_u24 v5, v0, 15, 8
	s_and_b32 s1, s3, s9
	v_lshrrev_b32_e32 v9, 16, v1
	v_cndmask_b32_e64 v50, 0, 1, s1
	v_cndmask_b32_e64 v54, 0, 1, s4
	v_cmp_gt_u64_e64 s13, s[18:19], v[5:6]
	v_mad_u32_u24 v5, v0, 15, 7
	s_and_b32 s2, s8, s10
	v_cmp_ne_u16_e64 s4, v51, v1
	v_cndmask_b32_e64 v52, 0, 1, s2
	s_mov_b32 s31, 1
	v_cmp_gt_u64_e32 vcc_lo, s[18:19], v[5:6]
	v_mad_u32_u24 v5, v0, 15, 6
	s_and_b32 s2, s13, s11
	ds_store_b16 v7, v8
	v_cndmask_b32_e64 v53, 0, 1, s2
	s_waitcnt lgkmcnt(0)
	v_cmp_gt_u64_e64 s0, s[18:19], v[5:6]
	v_mad_u32_u24 v5, v0, 15, 5
	s_and_b32 s3, vcc_lo, s12
	s_barrier
	v_cndmask_b32_e64 v55, 0, 1, s3
	v_cmp_ne_u16_e64 s3, v9, v2
	v_cmp_gt_u64_e64 s1, s[18:19], v[5:6]
	v_mad_u32_u24 v5, v0, 15, 4
	s_and_b32 s0, s0, s14
	buffer_gl0_inv
	v_cndmask_b32_e64 v56, 0, 1, s0
	v_cmp_ne_u16_e64 s0, v2, v16
	v_cmp_gt_u64_e64 s2, s[18:19], v[5:6]
	v_mad_u32_u24 v5, v0, 15, 3
	s_and_b32 s1, s1, s16
	s_delay_alu instid0(SALU_CYCLE_1) | instskip(NEXT) | instid1(VALU_DEP_2)
	v_cndmask_b32_e64 v57, 0, 1, s1
	v_cmp_gt_u64_e32 vcc_lo, s[18:19], v[5:6]
	v_mad_u32_u24 v5, v0, 15, 2
	s_and_b32 s0, s2, s0
	s_delay_alu instid0(SALU_CYCLE_1) | instskip(SKIP_1) | instid1(VALU_DEP_3)
	v_cndmask_b32_e64 v58, 0, 1, s0
	v_cmp_ne_u16_e64 s0, v1, v9
	v_cmp_gt_u64_e64 s1, s[18:19], v[5:6]
	v_mad_u32_u24 v5, v0, 15, 1
	s_and_b32 s3, vcc_lo, s3
	s_delay_alu instid0(SALU_CYCLE_1) | instskip(NEXT) | instid1(VALU_DEP_2)
	v_cndmask_b32_e64 v59, 0, 1, s3
	v_cmp_gt_u64_e64 s2, s[18:19], v[5:6]
	s_delay_alu instid0(VALU_DEP_4) | instskip(SKIP_2) | instid1(VALU_DEP_2)
	s_and_b32 s0, s1, s0
	s_mov_b32 s1, exec_lo
	v_cndmask_b32_e64 v60, 0, 1, s0
	s_and_b32 s0, s2, s4
	s_delay_alu instid0(SALU_CYCLE_1)
	v_cndmask_b32_e64 v61, 0, 1, s0
                                        ; implicit-def: $sgpr0
	v_cmpx_ne_u32_e32 0, v0
	s_cbranch_execz .LBB419_192
; %bb.82:
	v_add_nc_u32_e32 v5, -2, v7
	s_or_b32 s30, s30, exec_lo
	ds_load_u16 v7, v5
	v_mul_u32_u24_e32 v5, 15, v0
	s_delay_alu instid0(VALU_DEP_1) | instskip(SKIP_2) | instid1(VALU_DEP_1)
	v_cmp_gt_u64_e32 vcc_lo, s[18:19], v[5:6]
	s_waitcnt lgkmcnt(0)
	v_cmp_ne_u16_e64 s0, v7, v51
	s_and_b32 s0, vcc_lo, s0
	s_delay_alu instid0(SALU_CYCLE_1)
	s_and_b32 s0, s0, exec_lo
	s_or_b32 exec_lo, exec_lo, s1
.LBB419_83:
	v_mov_b32_e32 v63, s31
	s_and_saveexec_b32 s1, s30
.LBB419_84:
	v_cndmask_b32_e64 v63, 0, 1, s0
.LBB419_85:
	s_or_b32 exec_lo, exec_lo, s1
	s_delay_alu instid0(VALU_DEP_1)
	v_add3_u32 v5, v61, v63, v60
	v_cmp_eq_u32_e64 s12, 0, v61
	v_cmp_eq_u32_e64 s11, 0, v60
	;; [unrolled: 1-line block ×4, first 2 shown]
	v_add3_u32 v80, v5, v59, v58
	v_cmp_eq_u32_e64 s8, 0, v57
	v_cmp_eq_u32_e64 s7, 0, v56
	;; [unrolled: 1-line block ×9, first 2 shown]
	v_cmp_eq_u32_e32 vcc_lo, 0, v54
	v_mbcnt_lo_u32_b32 v77, -1, 0
	v_lshrrev_b32_e32 v78, 5, v0
	v_or_b32_e32 v79, 31, v0
	s_cmp_eq_u64 s[26:27], 0
	s_cselect_b32 s16, -1, 0
	s_cmp_lg_u32 s15, 0
	s_cbranch_scc0 .LBB419_116
; %bb.86:
	v_cndmask_b32_e64 v5, 0, v74, s12
	v_add3_u32 v6, v80, v57, v56
	v_and_b32_e32 v9, 15, v77
	s_delay_alu instid0(VALU_DEP_3) | instskip(NEXT) | instid1(VALU_DEP_3)
	v_add_nc_u16 v5, v5, v73
	v_add3_u32 v6, v6, v55, v53
	s_delay_alu instid0(VALU_DEP_2) | instskip(NEXT) | instid1(VALU_DEP_2)
	v_cndmask_b32_e64 v5, 0, v5, s11
	v_add3_u32 v6, v6, v52, v50
	s_delay_alu instid0(VALU_DEP_2) | instskip(NEXT) | instid1(VALU_DEP_2)
	v_add_nc_u16 v5, v5, v75
	v_add3_u32 v6, v6, v49, v48
	s_delay_alu instid0(VALU_DEP_2) | instskip(NEXT) | instid1(VALU_DEP_2)
	v_cndmask_b32_e64 v5, 0, v5, s10
	v_add3_u32 v6, v6, v47, v54
	s_delay_alu instid0(VALU_DEP_2) | instskip(NEXT) | instid1(VALU_DEP_2)
	v_add_nc_u16 v5, v5, v71
	v_mov_b32_dpp v13, v6 row_shr:1 row_mask:0xf bank_mask:0xf
	s_delay_alu instid0(VALU_DEP_2) | instskip(NEXT) | instid1(VALU_DEP_1)
	v_cndmask_b32_e64 v5, 0, v5, s9
	v_add_nc_u16 v5, v5, v72
	s_delay_alu instid0(VALU_DEP_1) | instskip(NEXT) | instid1(VALU_DEP_1)
	v_cndmask_b32_e64 v5, 0, v5, s8
	v_add_nc_u16 v5, v5, v69
	s_delay_alu instid0(VALU_DEP_1) | instskip(NEXT) | instid1(VALU_DEP_1)
	;; [unrolled: 3-line block ×9, first 2 shown]
	v_cndmask_b32_e64 v5, 0, v5, s0
	v_add_nc_u16 v5, v5, v45
	s_delay_alu instid0(VALU_DEP_1) | instskip(SKIP_1) | instid1(VALU_DEP_2)
	v_cndmask_b32_e32 v5, 0, v5, vcc_lo
	v_cmp_eq_u32_e32 vcc_lo, 0, v6
	v_add_nc_u16 v5, v5, v76
	s_delay_alu instid0(VALU_DEP_1) | instskip(NEXT) | instid1(VALU_DEP_1)
	v_and_b32_e32 v7, 0xffff, v5
	v_mov_b32_dpp v8, v7 row_shr:1 row_mask:0xf bank_mask:0xf
	s_delay_alu instid0(VALU_DEP_1) | instskip(SKIP_1) | instid1(VALU_DEP_2)
	v_cndmask_b32_e32 v8, 0, v8, vcc_lo
	v_cmp_eq_u32_e32 vcc_lo, 0, v9
	v_add_nc_u16 v8, v8, v5
	v_cndmask_b32_e64 v13, v13, 0, vcc_lo
	s_delay_alu instid0(VALU_DEP_2) | instskip(NEXT) | instid1(VALU_DEP_1)
	v_dual_cndmask_b32 v5, v8, v5 :: v_dual_and_b32 v14, 0xffff, v8
	v_dual_cndmask_b32 v7, v14, v7 :: v_dual_add_nc_u32 v6, v13, v6
	s_delay_alu instid0(VALU_DEP_1) | instskip(NEXT) | instid1(VALU_DEP_2)
	v_cmp_eq_u32_e32 vcc_lo, 0, v6
	v_mov_b32_dpp v13, v7 row_shr:2 row_mask:0xf bank_mask:0xf
	s_delay_alu instid0(VALU_DEP_1) | instskip(SKIP_2) | instid1(VALU_DEP_3)
	v_cndmask_b32_e32 v8, 0, v13, vcc_lo
	v_mov_b32_dpp v13, v6 row_shr:2 row_mask:0xf bank_mask:0xf
	v_cmp_lt_u32_e32 vcc_lo, 1, v9
	v_add_nc_u16 v8, v8, v5
	s_delay_alu instid0(VALU_DEP_1) | instskip(NEXT) | instid1(VALU_DEP_4)
	v_and_b32_e32 v14, 0xffff, v8
	v_dual_cndmask_b32 v5, v5, v8 :: v_dual_cndmask_b32 v8, 0, v13
	s_delay_alu instid0(VALU_DEP_1) | instskip(NEXT) | instid1(VALU_DEP_1)
	v_dual_cndmask_b32 v7, v7, v14 :: v_dual_add_nc_u32 v6, v6, v8
	v_mov_b32_dpp v8, v7 row_shr:4 row_mask:0xf bank_mask:0xf
	s_delay_alu instid0(VALU_DEP_2) | instskip(NEXT) | instid1(VALU_DEP_2)
	v_cmp_eq_u32_e32 vcc_lo, 0, v6
	v_cndmask_b32_e32 v8, 0, v8, vcc_lo
	v_cmp_lt_u32_e32 vcc_lo, 3, v9
	s_delay_alu instid0(VALU_DEP_2) | instskip(NEXT) | instid1(VALU_DEP_1)
	v_add_nc_u16 v8, v8, v5
	v_and_b32_e32 v14, 0xffff, v8
	s_delay_alu instid0(VALU_DEP_1) | instskip(SKIP_1) | instid1(VALU_DEP_1)
	v_cndmask_b32_e32 v7, v7, v14, vcc_lo
	v_mov_b32_dpp v13, v6 row_shr:4 row_mask:0xf bank_mask:0xf
	v_dual_cndmask_b32 v5, v5, v8 :: v_dual_cndmask_b32 v8, 0, v13
	s_delay_alu instid0(VALU_DEP_1) | instskip(NEXT) | instid1(VALU_DEP_4)
	v_add_nc_u32_e32 v6, v8, v6
	v_mov_b32_dpp v8, v7 row_shr:8 row_mask:0xf bank_mask:0xf
	s_delay_alu instid0(VALU_DEP_2) | instskip(NEXT) | instid1(VALU_DEP_2)
	v_cmp_eq_u32_e32 vcc_lo, 0, v6
	v_cndmask_b32_e32 v8, 0, v8, vcc_lo
	v_cmp_lt_u32_e32 vcc_lo, 7, v9
	s_delay_alu instid0(VALU_DEP_2) | instskip(NEXT) | instid1(VALU_DEP_1)
	v_add_nc_u16 v8, v8, v5
	v_cndmask_b32_e32 v5, v5, v8, vcc_lo
	v_mov_b32_dpp v13, v6 row_shr:8 row_mask:0xf bank_mask:0xf
	s_delay_alu instid0(VALU_DEP_1) | instskip(NEXT) | instid1(VALU_DEP_1)
	v_dual_cndmask_b32 v9, 0, v13 :: v_dual_and_b32 v8, 0xffff, v8
	v_cndmask_b32_e32 v7, v7, v8, vcc_lo
	v_bfe_i32 v13, v77, 4, 1
	s_delay_alu instid0(VALU_DEP_3)
	v_add_nc_u32_e32 v6, v9, v6
	ds_swizzle_b32 v7, v7 offset:swizzle(BROADCAST,32,15)
	v_and_b32_e32 v9, 16, v77
	ds_swizzle_b32 v8, v6 offset:swizzle(BROADCAST,32,15)
	v_cmp_eq_u32_e64 s13, 0, v6
	v_cmp_ne_u32_e32 vcc_lo, 0, v9
	s_delay_alu instid0(VALU_DEP_2) | instskip(SKIP_3) | instid1(VALU_DEP_1)
	s_and_b32 vcc_lo, vcc_lo, s13
	s_mov_b32 s13, exec_lo
	s_waitcnt lgkmcnt(0)
	v_dual_cndmask_b32 v7, 0, v7 :: v_dual_and_b32 v8, v13, v8
	v_add_nc_u16 v5, v7, v5
	v_lshlrev_b32_e32 v7, 3, v78
	s_delay_alu instid0(VALU_DEP_3)
	v_add_nc_u32_e32 v6, v8, v6
	v_cmpx_eq_u32_e64 v79, v0
	s_cbranch_execz .LBB419_88
; %bb.87:
	ds_store_b32 v7, v6 offset:1040
	ds_store_b16 v7, v5 offset:1044
.LBB419_88:
	s_or_b32 exec_lo, exec_lo, s13
	s_delay_alu instid0(SALU_CYCLE_1)
	s_mov_b32 s14, exec_lo
	s_waitcnt lgkmcnt(0)
	s_barrier
	buffer_gl0_inv
	v_cmpx_gt_u32_e32 8, v0
	s_cbranch_execz .LBB419_90
; %bb.89:
	v_lshlrev_b32_e32 v13, 3, v0
	v_and_b32_e32 v17, 7, v77
	ds_load_b64 v[8:9], v13 offset:1040
	s_waitcnt lgkmcnt(0)
	v_mov_b32_dpp v14, v9 row_shr:1 row_mask:0xf bank_mask:0xf
	v_cmp_eq_u32_e32 vcc_lo, 0, v8
	v_and_b32_e32 v15, 0xffff0000, v9
	v_mov_b32_dpp v18, v8 row_shr:1 row_mask:0xf bank_mask:0xf
	s_delay_alu instid0(VALU_DEP_4) | instskip(SKIP_1) | instid1(VALU_DEP_2)
	v_cndmask_b32_e32 v14, 0, v14, vcc_lo
	v_cmp_eq_u32_e32 vcc_lo, 0, v17
	v_add_nc_u16 v14, v14, v9
	s_delay_alu instid0(VALU_DEP_4) | instskip(NEXT) | instid1(VALU_DEP_2)
	v_cndmask_b32_e64 v18, v18, 0, vcc_lo
	v_and_b32_e32 v16, 0xffff, v14
	s_delay_alu instid0(VALU_DEP_1) | instskip(NEXT) | instid1(VALU_DEP_1)
	v_or_b32_e32 v16, v15, v16
	v_cndmask_b32_e32 v16, v16, v9, vcc_lo
	v_cndmask_b32_e32 v9, v14, v9, vcc_lo
	v_add_nc_u32_e32 v8, v18, v8
	s_delay_alu instid0(VALU_DEP_3) | instskip(NEXT) | instid1(VALU_DEP_2)
	v_mov_b32_dpp v18, v16 row_shr:2 row_mask:0xf bank_mask:0xf
	v_cmp_eq_u32_e32 vcc_lo, 0, v8
	s_delay_alu instid0(VALU_DEP_2) | instskip(SKIP_1) | instid1(VALU_DEP_2)
	v_cndmask_b32_e32 v14, 0, v18, vcc_lo
	v_cmp_lt_u32_e32 vcc_lo, 1, v17
	v_add_nc_u16 v14, v14, v9
	s_delay_alu instid0(VALU_DEP_1) | instskip(SKIP_2) | instid1(VALU_DEP_2)
	v_cndmask_b32_e32 v9, v9, v14, vcc_lo
	v_mov_b32_dpp v18, v8 row_shr:2 row_mask:0xf bank_mask:0xf
	v_and_b32_e32 v19, 0xffff, v14
	v_cndmask_b32_e32 v14, 0, v18, vcc_lo
	s_delay_alu instid0(VALU_DEP_2) | instskip(SKIP_1) | instid1(VALU_DEP_3)
	v_or_b32_e32 v15, v15, v19
	v_cmp_lt_u32_e64 s13, 3, v17
	v_add_nc_u32_e32 v8, v14, v8
	s_delay_alu instid0(VALU_DEP_3) | instskip(NEXT) | instid1(VALU_DEP_2)
	v_cndmask_b32_e32 v14, v16, v15, vcc_lo
	v_cmp_eq_u32_e32 vcc_lo, 0, v8
	v_mov_b32_dpp v15, v8 row_shr:4 row_mask:0xf bank_mask:0xf
	s_delay_alu instid0(VALU_DEP_3) | instskip(SKIP_1) | instid1(VALU_DEP_2)
	v_mov_b32_dpp v14, v14 row_shr:4 row_mask:0xf bank_mask:0xf
	s_and_b32 vcc_lo, s13, vcc_lo
	v_cndmask_b32_e64 v15, 0, v15, s13
	s_delay_alu instid0(VALU_DEP_2) | instskip(NEXT) | instid1(VALU_DEP_2)
	v_cndmask_b32_e32 v14, 0, v14, vcc_lo
	v_add_nc_u32_e32 v8, v15, v8
	s_delay_alu instid0(VALU_DEP_2)
	v_add_nc_u16 v9, v9, v14
	ds_store_b32 v13, v8 offset:1040
	ds_store_b16 v13, v9 offset:1044
.LBB419_90:
	s_or_b32 exec_lo, exec_lo, s14
	v_cmp_gt_u32_e32 vcc_lo, 32, v0
	v_dual_mov_b32 v18, 0 :: v_dual_mov_b32 v17, 0
	s_mov_b32 s14, exec_lo
	s_waitcnt lgkmcnt(0)
	s_barrier
	buffer_gl0_inv
	v_cmpx_lt_u32_e32 31, v0
	s_cbranch_execz .LBB419_92
; %bb.91:
	ds_load_u16 v17, v7 offset:1036
	ds_load_b32 v18, v7 offset:1032
	v_cmp_eq_u32_e64 s13, 0, v6
	s_waitcnt lgkmcnt(1)
	s_delay_alu instid0(VALU_DEP_1) | instskip(SKIP_2) | instid1(VALU_DEP_2)
	v_cndmask_b32_e64 v7, 0, v17, s13
	s_waitcnt lgkmcnt(0)
	v_add_nc_u32_e32 v6, v18, v6
	v_add_nc_u16 v5, v7, v5
.LBB419_92:
	s_or_b32 exec_lo, exec_lo, s14
	v_add_nc_u32_e32 v7, -1, v77
	s_delay_alu instid0(VALU_DEP_2) | instskip(NEXT) | instid1(VALU_DEP_2)
	v_and_b32_e32 v5, 0xffff, v5
	v_cmp_gt_i32_e64 s13, 0, v7
	s_delay_alu instid0(VALU_DEP_1) | instskip(SKIP_1) | instid1(VALU_DEP_2)
	v_cndmask_b32_e64 v7, v7, v77, s13
	v_cmp_eq_u32_e64 s13, 0, v77
	v_lshlrev_b32_e32 v7, 2, v7
	ds_bpermute_b32 v19, v7, v6
	ds_bpermute_b32 v20, v7, v5
	s_and_saveexec_b32 s17, vcc_lo
	s_cbranch_execz .LBB419_115
; %bb.93:
	v_mov_b32_e32 v8, 0
	ds_load_b64 v[5:6], v8 offset:1096
	s_waitcnt lgkmcnt(0)
	v_readfirstlane_b32 s18, v6
	s_and_saveexec_b32 s14, s13
	s_cbranch_execz .LBB419_95
; %bb.94:
	s_add_i32 s26, s15, 32
	s_mov_b32 s27, 0
	v_mov_b32_e32 v7, 1
	s_lshl_b64 s[30:31], s[26:27], 4
	s_mov_b32 s40, s27
	s_add_u32 s30, s24, s30
	s_addc_u32 s31, s25, s31
	s_and_b32 s41, s18, 0xff000000
	s_and_b32 s45, s18, 0xff0000
	s_mov_b32 s44, s27
	v_dual_mov_b32 v13, s30 :: v_dual_mov_b32 v14, s31
	s_or_b64 s[40:41], s[44:45], s[40:41]
	s_and_b32 s45, s18, 0xff00
	s_delay_alu instid0(SALU_CYCLE_1) | instskip(SKIP_1) | instid1(SALU_CYCLE_1)
	s_or_b64 s[40:41], s[40:41], s[44:45]
	s_and_b32 s45, s18, 0xff
	s_or_b64 s[26:27], s[40:41], s[44:45]
	s_delay_alu instid0(SALU_CYCLE_1)
	v_mov_b32_e32 v6, s27
	;;#ASMSTART
	global_store_dwordx4 v[13:14], v[5:8] off	
s_waitcnt vmcnt(0)
	;;#ASMEND
.LBB419_95:
	s_or_b32 exec_lo, exec_lo, s14
	v_xad_u32 v13, v77, -1, s15
	s_mov_b32 s19, 0
	s_mov_b32 s14, exec_lo
	s_delay_alu instid0(VALU_DEP_1) | instskip(NEXT) | instid1(VALU_DEP_1)
	v_add_nc_u32_e32 v7, 32, v13
	v_lshlrev_b64 v[6:7], 4, v[7:8]
	s_delay_alu instid0(VALU_DEP_1) | instskip(NEXT) | instid1(VALU_DEP_2)
	v_add_co_u32 v14, vcc_lo, s24, v6
	v_add_co_ci_u32_e32 v15, vcc_lo, s25, v7, vcc_lo
	;;#ASMSTART
	global_load_dwordx4 v[6:9], v[14:15] off glc	
s_waitcnt vmcnt(0)
	;;#ASMEND
	v_and_b32_e32 v9, 0xffffff, v6
	v_and_b32_e32 v6, 0xff000000, v6
	;; [unrolled: 1-line block ×4, first 2 shown]
	s_delay_alu instid0(VALU_DEP_3) | instskip(SKIP_1) | instid1(VALU_DEP_3)
	v_or_b32_e32 v6, v9, v6
	v_and_b32_e32 v9, 0xff, v8
	v_or3_b32 v7, 0, v16, v7
	s_delay_alu instid0(VALU_DEP_3) | instskip(NEXT) | instid1(VALU_DEP_3)
	v_or3_b32 v6, v6, 0, 0
	v_cmpx_eq_u16_e32 0, v9
	s_cbranch_execz .LBB419_101
; %bb.96:
	s_mov_b32 s26, 1
	.p2align	6
.LBB419_97:                             ; =>This Loop Header: Depth=1
                                        ;     Child Loop BB419_98 Depth 2
	s_delay_alu instid0(SALU_CYCLE_1)
	s_max_u32 s27, s26, 1
.LBB419_98:                             ;   Parent Loop BB419_97 Depth=1
                                        ; =>  This Inner Loop Header: Depth=2
	s_delay_alu instid0(SALU_CYCLE_1)
	s_add_i32 s27, s27, -1
	s_sleep 1
	s_cmp_eq_u32 s27, 0
	s_cbranch_scc0 .LBB419_98
; %bb.99:                               ;   in Loop: Header=BB419_97 Depth=1
	;;#ASMSTART
	global_load_dwordx4 v[6:9], v[14:15] off glc	
s_waitcnt vmcnt(0)
	;;#ASMEND
	v_and_b32_e32 v9, 0xff, v8
	s_cmp_lt_u32 s26, 32
	s_cselect_b32 s27, -1, 0
	s_delay_alu instid0(SALU_CYCLE_1) | instskip(NEXT) | instid1(VALU_DEP_1)
	s_cmp_lg_u32 s27, 0
	v_cmp_ne_u16_e32 vcc_lo, 0, v9
	s_addc_u32 s26, s26, 0
	s_or_b32 s19, vcc_lo, s19
	s_delay_alu instid0(SALU_CYCLE_1)
	s_and_not1_b32 exec_lo, exec_lo, s19
	s_cbranch_execnz .LBB419_97
; %bb.100:
	s_or_b32 exec_lo, exec_lo, s19
	v_and_b32_e32 v7, 0xffff, v7
.LBB419_101:
	s_or_b32 exec_lo, exec_lo, s14
	v_cmp_ne_u32_e32 vcc_lo, 31, v77
	v_and_b32_e32 v14, 0xff, v8
	v_lshlrev_b32_e64 v22, v77, -1
	v_cmp_eq_u32_e64 s14, 0, v6
	v_add_co_ci_u32_e32 v9, vcc_lo, 0, v77, vcc_lo
	s_delay_alu instid0(VALU_DEP_4) | instskip(NEXT) | instid1(VALU_DEP_4)
	v_cmp_eq_u16_e32 vcc_lo, 2, v14
	v_and_or_b32 v14, vcc_lo, v22, 0x80000000
	v_cmp_gt_u32_e32 vcc_lo, 30, v77
	s_delay_alu instid0(VALU_DEP_2) | instskip(SKIP_1) | instid1(VALU_DEP_2)
	v_ctz_i32_b32_e32 v14, v14
	v_cndmask_b32_e64 v15, 0, 1, vcc_lo
	v_cmp_lt_u32_e32 vcc_lo, v77, v14
	v_lshlrev_b32_e32 v21, 2, v9
	s_delay_alu instid0(VALU_DEP_3)
	v_lshlrev_b32_e32 v15, 1, v15
	ds_bpermute_b32 v16, v21, v6
	v_add_lshl_u32 v23, v15, v77, 2
	s_waitcnt lgkmcnt(0)
	v_cndmask_b32_e32 v16, 0, v16, vcc_lo
	ds_bpermute_b32 v9, v21, v7
	v_add_nc_u32_e32 v6, v16, v6
	ds_bpermute_b32 v26, v23, v6
	s_waitcnt lgkmcnt(1)
	v_cndmask_b32_e64 v9, 0, v9, s14
	s_delay_alu instid0(VALU_DEP_1) | instskip(NEXT) | instid1(VALU_DEP_1)
	v_add_nc_u16 v9, v9, v7
	v_and_b32_e32 v24, 0xffff, v9
	v_cndmask_b32_e32 v9, v7, v9, vcc_lo
	s_delay_alu instid0(VALU_DEP_2)
	v_cndmask_b32_e32 v7, v7, v24, vcc_lo
	v_cmp_eq_u32_e32 vcc_lo, 0, v6
	ds_bpermute_b32 v15, v23, v7
	s_waitcnt lgkmcnt(0)
	v_cndmask_b32_e32 v15, 0, v15, vcc_lo
	v_cmp_gt_u32_e32 vcc_lo, 28, v77
	s_delay_alu instid0(VALU_DEP_2) | instskip(SKIP_1) | instid1(VALU_DEP_2)
	v_add_nc_u16 v15, v15, v9
	v_cndmask_b32_e64 v16, 0, 1, vcc_lo
	v_and_b32_e32 v27, 0xffff, v15
	v_add_nc_u32_e32 v24, 2, v77
	s_delay_alu instid0(VALU_DEP_1) | instskip(NEXT) | instid1(VALU_DEP_4)
	v_cmp_gt_u32_e32 vcc_lo, v24, v14
	v_dual_cndmask_b32 v9, v15, v9 :: v_dual_lshlrev_b32 v16, 2, v16
	s_delay_alu instid0(VALU_DEP_1) | instskip(SKIP_4) | instid1(VALU_DEP_1)
	v_add_lshl_u32 v25, v16, v77, 2
	v_cndmask_b32_e32 v7, v27, v7, vcc_lo
	v_cndmask_b32_e64 v16, v26, 0, vcc_lo
	ds_bpermute_b32 v15, v25, v7
	v_add_nc_u32_e32 v6, v6, v16
	v_cmp_eq_u32_e32 vcc_lo, 0, v6
	s_waitcnt lgkmcnt(0)
	v_cndmask_b32_e32 v15, 0, v15, vcc_lo
	v_cmp_gt_u32_e32 vcc_lo, 24, v77
	ds_bpermute_b32 v27, v25, v6
	v_add_nc_u16 v15, v9, v15
	v_cndmask_b32_e64 v16, 0, 1, vcc_lo
	s_delay_alu instid0(VALU_DEP_2) | instskip(SKIP_1) | instid1(VALU_DEP_1)
	v_and_b32_e32 v29, 0xffff, v15
	v_add_nc_u32_e32 v26, 4, v77
	v_cmp_gt_u32_e32 vcc_lo, v26, v14
	s_delay_alu instid0(VALU_DEP_4) | instskip(NEXT) | instid1(VALU_DEP_1)
	v_dual_cndmask_b32 v9, v15, v9 :: v_dual_lshlrev_b32 v16, 3, v16
	v_add_lshl_u32 v28, v16, v77, 2
	v_cndmask_b32_e32 v7, v29, v7, vcc_lo
	s_waitcnt lgkmcnt(0)
	v_cndmask_b32_e64 v16, v27, 0, vcc_lo
	ds_bpermute_b32 v15, v28, v7
	v_add_nc_u32_e32 v6, v6, v16
	s_delay_alu instid0(VALU_DEP_1)
	v_cmp_eq_u32_e32 vcc_lo, 0, v6
	s_waitcnt lgkmcnt(0)
	v_cndmask_b32_e32 v15, 0, v15, vcc_lo
	ds_bpermute_b32 v16, v28, v6
	v_cmp_gt_u32_e32 vcc_lo, 16, v77
	v_add_nc_u16 v15, v9, v15
	v_cndmask_b32_e64 v27, 0, 1, vcc_lo
	s_delay_alu instid0(VALU_DEP_2) | instskip(SKIP_1) | instid1(VALU_DEP_3)
	v_and_b32_e32 v29, 0xffff, v15
	v_add_nc_u32_e32 v30, 8, v77
	v_lshlrev_b32_e32 v27, 4, v27
	s_delay_alu instid0(VALU_DEP_2) | instskip(NEXT) | instid1(VALU_DEP_2)
	v_cmp_gt_u32_e32 vcc_lo, v30, v14
	v_add_lshl_u32 v31, v27, v77, 2
	v_cndmask_b32_e32 v7, v29, v7, vcc_lo
	v_cndmask_b32_e32 v9, v15, v9, vcc_lo
	s_waitcnt lgkmcnt(0)
	v_cndmask_b32_e64 v15, v16, 0, vcc_lo
	ds_bpermute_b32 v7, v31, v7
	v_add_nc_u32_e32 v6, v6, v15
	ds_bpermute_b32 v15, v31, v6
	v_cmp_eq_u32_e32 vcc_lo, 0, v6
	s_waitcnt lgkmcnt(1)
	v_dual_cndmask_b32 v7, 0, v7 :: v_dual_add_nc_u32 v32, 16, v77
	s_delay_alu instid0(VALU_DEP_1) | instskip(NEXT) | instid1(VALU_DEP_2)
	v_cmp_gt_u32_e32 vcc_lo, v32, v14
	v_cndmask_b32_e64 v7, v7, 0, vcc_lo
	s_waitcnt lgkmcnt(0)
	v_cndmask_b32_e64 v14, v15, 0, vcc_lo
	s_delay_alu instid0(VALU_DEP_2) | instskip(NEXT) | instid1(VALU_DEP_2)
	v_add_nc_u16 v7, v9, v7
	v_add_nc_u32_e32 v6, v14, v6
	v_mov_b32_e32 v14, 0
	s_branch .LBB419_103
.LBB419_102:                            ;   in Loop: Header=BB419_103 Depth=1
	s_or_b32 exec_lo, exec_lo, s14
	ds_bpermute_b32 v9, v21, v7
	v_and_b32_e32 v15, 0xff, v8
	v_cmp_eq_u32_e64 s14, 0, v6
	ds_bpermute_b32 v16, v21, v6
	v_subrev_nc_u32_e32 v13, 32, v13
	v_cmp_eq_u16_e32 vcc_lo, 2, v15
	v_and_or_b32 v15, vcc_lo, v22, 0x80000000
	s_delay_alu instid0(VALU_DEP_1) | instskip(SKIP_2) | instid1(VALU_DEP_2)
	v_ctz_i32_b32_e32 v15, v15
	s_waitcnt lgkmcnt(1)
	v_cndmask_b32_e64 v9, 0, v9, s14
	v_cmp_lt_u32_e32 vcc_lo, v77, v15
	s_delay_alu instid0(VALU_DEP_2) | instskip(SKIP_1) | instid1(VALU_DEP_1)
	v_add_nc_u16 v9, v9, v7
	s_waitcnt lgkmcnt(0)
	v_dual_cndmask_b32 v16, 0, v16 :: v_dual_and_b32 v33, 0xffff, v9
	s_delay_alu instid0(VALU_DEP_1) | instskip(NEXT) | instid1(VALU_DEP_2)
	v_dual_cndmask_b32 v9, v7, v9 :: v_dual_add_nc_u32 v6, v16, v6
	v_cndmask_b32_e32 v7, v7, v33, vcc_lo
	s_delay_alu instid0(VALU_DEP_2)
	v_cmp_eq_u32_e32 vcc_lo, 0, v6
	ds_bpermute_b32 v33, v23, v7
	s_waitcnt lgkmcnt(0)
	v_cndmask_b32_e32 v16, 0, v33, vcc_lo
	ds_bpermute_b32 v33, v23, v6
	v_cmp_gt_u32_e32 vcc_lo, v24, v15
	v_add_nc_u16 v16, v16, v9
	s_delay_alu instid0(VALU_DEP_1) | instskip(NEXT) | instid1(VALU_DEP_1)
	v_dual_cndmask_b32 v9, v16, v9 :: v_dual_and_b32 v34, 0xffff, v16
	v_cndmask_b32_e32 v7, v34, v7, vcc_lo
	ds_bpermute_b32 v16, v25, v7
	s_waitcnt lgkmcnt(1)
	v_cndmask_b32_e64 v33, v33, 0, vcc_lo
	s_delay_alu instid0(VALU_DEP_1) | instskip(NEXT) | instid1(VALU_DEP_1)
	v_add_nc_u32_e32 v6, v6, v33
	v_cmp_eq_u32_e32 vcc_lo, 0, v6
	ds_bpermute_b32 v33, v25, v6
	s_waitcnt lgkmcnt(1)
	v_cndmask_b32_e32 v16, 0, v16, vcc_lo
	v_cmp_gt_u32_e32 vcc_lo, v26, v15
	s_delay_alu instid0(VALU_DEP_2) | instskip(NEXT) | instid1(VALU_DEP_1)
	v_add_nc_u16 v16, v9, v16
	v_dual_cndmask_b32 v9, v16, v9 :: v_dual_and_b32 v34, 0xffff, v16
	s_waitcnt lgkmcnt(0)
	v_cndmask_b32_e64 v33, v33, 0, vcc_lo
	s_delay_alu instid0(VALU_DEP_2) | instskip(NEXT) | instid1(VALU_DEP_2)
	v_cndmask_b32_e32 v7, v34, v7, vcc_lo
	v_add_nc_u32_e32 v6, v6, v33
	ds_bpermute_b32 v16, v28, v7
	v_cmp_eq_u32_e32 vcc_lo, 0, v6
	ds_bpermute_b32 v33, v28, v6
	s_waitcnt lgkmcnt(1)
	v_cndmask_b32_e32 v16, 0, v16, vcc_lo
	v_cmp_gt_u32_e32 vcc_lo, v30, v15
	s_delay_alu instid0(VALU_DEP_2) | instskip(NEXT) | instid1(VALU_DEP_1)
	v_add_nc_u16 v16, v9, v16
	v_dual_cndmask_b32 v9, v16, v9 :: v_dual_and_b32 v34, 0xffff, v16
	s_waitcnt lgkmcnt(0)
	v_cndmask_b32_e64 v16, v33, 0, vcc_lo
	s_delay_alu instid0(VALU_DEP_2) | instskip(NEXT) | instid1(VALU_DEP_2)
	v_cndmask_b32_e32 v7, v34, v7, vcc_lo
	v_add_nc_u32_e32 v6, v6, v16
	ds_bpermute_b32 v7, v31, v7
	ds_bpermute_b32 v16, v31, v6
	v_cmp_eq_u32_e32 vcc_lo, 0, v6
	s_waitcnt lgkmcnt(1)
	v_cndmask_b32_e32 v7, 0, v7, vcc_lo
	v_cmp_gt_u32_e32 vcc_lo, v32, v15
	s_delay_alu instid0(VALU_DEP_2) | instskip(NEXT) | instid1(VALU_DEP_1)
	v_cndmask_b32_e64 v7, v7, 0, vcc_lo
	v_add_nc_u16 v7, v9, v7
	s_waitcnt lgkmcnt(0)
	v_cndmask_b32_e64 v9, v16, 0, vcc_lo
	v_cmp_eq_u32_e32 vcc_lo, 0, v29
	s_delay_alu instid0(VALU_DEP_2) | instskip(SKIP_1) | instid1(VALU_DEP_1)
	v_add3_u32 v6, v6, v29, v9
	v_cndmask_b32_e32 v7, 0, v7, vcc_lo
	v_add_nc_u16 v7, v7, v27
.LBB419_103:                            ; =>This Loop Header: Depth=1
                                        ;     Child Loop BB419_106 Depth 2
                                        ;       Child Loop BB419_107 Depth 3
	s_delay_alu instid0(VALU_DEP_1) | instskip(NEXT) | instid1(VALU_DEP_3)
	v_dual_mov_b32 v27, v7 :: v_dual_and_b32 v8, 0xff, v8
	v_mov_b32_e32 v29, v6
	s_delay_alu instid0(VALU_DEP_2) | instskip(SKIP_2) | instid1(VALU_DEP_1)
	v_cmp_ne_u16_e32 vcc_lo, 2, v8
	v_cndmask_b32_e64 v8, 0, 1, vcc_lo
	;;#ASMSTART
	;;#ASMEND
	v_cmp_ne_u32_e32 vcc_lo, 0, v8
	s_cmp_lg_u32 vcc_lo, exec_lo
	s_cbranch_scc1 .LBB419_110
; %bb.104:                              ;   in Loop: Header=BB419_103 Depth=1
	v_lshlrev_b64 v[6:7], 4, v[13:14]
	s_mov_b32 s14, exec_lo
	s_delay_alu instid0(VALU_DEP_1) | instskip(NEXT) | instid1(VALU_DEP_2)
	v_add_co_u32 v15, vcc_lo, s24, v6
	v_add_co_ci_u32_e32 v16, vcc_lo, s25, v7, vcc_lo
	;;#ASMSTART
	global_load_dwordx4 v[6:9], v[15:16] off glc	
s_waitcnt vmcnt(0)
	;;#ASMEND
	v_and_b32_e32 v9, 0xffffff, v6
	v_and_b32_e32 v6, 0xff000000, v6
	;; [unrolled: 1-line block ×4, first 2 shown]
	s_delay_alu instid0(VALU_DEP_3) | instskip(SKIP_1) | instid1(VALU_DEP_3)
	v_or_b32_e32 v6, v9, v6
	v_and_b32_e32 v9, 0xff, v8
	v_or3_b32 v7, 0, v33, v7
	s_delay_alu instid0(VALU_DEP_3) | instskip(NEXT) | instid1(VALU_DEP_3)
	v_or3_b32 v6, v6, 0, 0
	v_cmpx_eq_u16_e32 0, v9
	s_cbranch_execz .LBB419_102
; %bb.105:                              ;   in Loop: Header=BB419_103 Depth=1
	s_mov_b32 s26, 1
	s_mov_b32 s19, 0
	.p2align	6
.LBB419_106:                            ;   Parent Loop BB419_103 Depth=1
                                        ; =>  This Loop Header: Depth=2
                                        ;       Child Loop BB419_107 Depth 3
	s_max_u32 s27, s26, 1
.LBB419_107:                            ;   Parent Loop BB419_103 Depth=1
                                        ;     Parent Loop BB419_106 Depth=2
                                        ; =>    This Inner Loop Header: Depth=3
	s_delay_alu instid0(SALU_CYCLE_1)
	s_add_i32 s27, s27, -1
	s_sleep 1
	s_cmp_eq_u32 s27, 0
	s_cbranch_scc0 .LBB419_107
; %bb.108:                              ;   in Loop: Header=BB419_106 Depth=2
	;;#ASMSTART
	global_load_dwordx4 v[6:9], v[15:16] off glc	
s_waitcnt vmcnt(0)
	;;#ASMEND
	v_and_b32_e32 v9, 0xff, v8
	s_cmp_lt_u32 s26, 32
	s_cselect_b32 s27, -1, 0
	s_delay_alu instid0(SALU_CYCLE_1) | instskip(NEXT) | instid1(VALU_DEP_1)
	s_cmp_lg_u32 s27, 0
	v_cmp_ne_u16_e32 vcc_lo, 0, v9
	s_addc_u32 s26, s26, 0
	s_or_b32 s19, vcc_lo, s19
	s_delay_alu instid0(SALU_CYCLE_1)
	s_and_not1_b32 exec_lo, exec_lo, s19
	s_cbranch_execnz .LBB419_106
; %bb.109:                              ;   in Loop: Header=BB419_103 Depth=1
	s_or_b32 exec_lo, exec_lo, s19
	v_and_b32_e32 v7, 0xffff, v7
	s_branch .LBB419_102
.LBB419_110:                            ;   in Loop: Header=BB419_103 Depth=1
                                        ; implicit-def: $vgpr7
                                        ; implicit-def: $vgpr6
                                        ; implicit-def: $vgpr8
	s_cbranch_execz .LBB419_103
; %bb.111:
	s_and_saveexec_b32 s14, s13
	s_cbranch_execz .LBB419_113
; %bb.112:
	v_cmp_eq_u32_e32 vcc_lo, 0, v5
	s_mov_b32 s27, 0
	s_add_i32 s26, s15, 32
	v_add_nc_u32_e64 v15, 0x400, 0
	s_lshl_b64 s[26:27], s[26:27], 4
	v_dual_cndmask_b32 v6, 0, v27 :: v_dual_mov_b32 v9, 0
	s_add_u32 s26, s24, s26
	s_addc_u32 s27, s25, s27
	v_mov_b32_e32 v16, s18
	s_delay_alu instid0(VALU_DEP_2) | instskip(SKIP_1) | instid1(VALU_DEP_2)
	v_add_nc_u16 v7, v6, s18
	v_add_nc_u32_e32 v6, v29, v5
	v_dual_mov_b32 v8, 2 :: v_dual_and_b32 v13, 0xff00, v7
	v_and_b32_e32 v7, 0xff, v7
	s_delay_alu instid0(VALU_DEP_1)
	v_or_b32_e32 v7, v13, v7
	v_dual_mov_b32 v13, s26 :: v_dual_mov_b32 v14, s27
	;;#ASMSTART
	global_store_dwordx4 v[13:14], v[6:9] off	
s_waitcnt vmcnt(0)
	;;#ASMEND
	ds_store_2addr_b32 v15, v5, v29 offset1:2
	ds_store_b16 v9, v16 offset:1028
	ds_store_b16 v9, v27 offset:1036
.LBB419_113:
	s_or_b32 exec_lo, exec_lo, s14
	v_cmp_eq_u32_e32 vcc_lo, 0, v0
	s_and_b32 exec_lo, exec_lo, vcc_lo
	s_cbranch_execz .LBB419_115
; %bb.114:
	v_mov_b32_e32 v5, 0
	ds_store_b32 v5, v29 offset:1096
	ds_store_b16 v5, v27 offset:1100
.LBB419_115:
	s_or_b32 exec_lo, exec_lo, s17
	v_mov_b32_e32 v7, 0
	s_waitcnt lgkmcnt(0)
	s_barrier
	buffer_gl0_inv
	v_cndmask_b32_e64 v8, v19, v18, s13
	ds_load_b64 v[5:6], v7 offset:1096
	v_cndmask_b32_e64 v9, v20, v17, s13
	v_cmp_eq_u32_e64 s13, 0, v63
	s_waitcnt lgkmcnt(0)
	v_cmp_eq_u32_e32 vcc_lo, 0, v8
	s_barrier
	buffer_gl0_inv
	v_cndmask_b32_e32 v13, 0, v6, vcc_lo
	v_cmp_eq_u32_e32 vcc_lo, 0, v0
	s_delay_alu instid0(VALU_DEP_2) | instskip(NEXT) | instid1(VALU_DEP_1)
	v_add_nc_u16 v9, v13, v9
	v_cndmask_b32_e32 v9, v9, v6, vcc_lo
	s_delay_alu instid0(VALU_DEP_1) | instskip(NEXT) | instid1(VALU_DEP_1)
	v_cndmask_b32_e64 v6, 0, v9, s13
	v_add_nc_u16 v13, v6, v74
	s_delay_alu instid0(VALU_DEP_1) | instskip(SKIP_2) | instid1(VALU_DEP_2)
	v_and_b32_e32 v36, 0xffff, v13
	v_cndmask_b32_e64 v6, 0, v13, s12
	v_and_b32_e32 v42, 0xffff, v9
	v_add_nc_u16 v14, v6, v73
	s_delay_alu instid0(VALU_DEP_1) | instskip(SKIP_1) | instid1(VALU_DEP_2)
	v_cndmask_b32_e64 v6, 0, v14, s11
	v_and_b32_e32 v38, 0xffff, v14
	v_add_nc_u16 v15, v6, v75
	s_delay_alu instid0(VALU_DEP_1) | instskip(SKIP_1) | instid1(VALU_DEP_2)
	v_cndmask_b32_e64 v6, 0, v15, s10
	v_and_b32_e32 v34, 0xffff, v15
	v_add_nc_u16 v16, v6, v71
	s_delay_alu instid0(VALU_DEP_1) | instskip(NEXT) | instid1(VALU_DEP_1)
	v_cndmask_b32_e64 v6, 0, v16, s9
	v_add_nc_u16 v18, v6, v72
	s_delay_alu instid0(VALU_DEP_1) | instskip(SKIP_1) | instid1(VALU_DEP_2)
	v_cndmask_b32_e64 v6, 0, v18, s8
	v_and_b32_e32 v18, 0xffff, v18
	v_add_nc_u16 v20, v6, v69
	v_cndmask_b32_e64 v6, v8, 0, vcc_lo
	s_delay_alu instid0(VALU_DEP_2) | instskip(NEXT) | instid1(VALU_DEP_2)
	v_cndmask_b32_e64 v8, 0, v20, s7
	v_add_nc_u32_e32 v41, v5, v6
	v_and_b32_e32 v20, 0xffff, v20
	s_delay_alu instid0(VALU_DEP_3) | instskip(NEXT) | instid1(VALU_DEP_3)
	v_add_nc_u16 v24, v8, v70
	v_add_nc_u32_e32 v35, v41, v63
	s_delay_alu instid0(VALU_DEP_2) | instskip(NEXT) | instid1(VALU_DEP_2)
	v_cndmask_b32_e64 v5, 0, v24, s6
	v_add_nc_u32_e32 v37, v35, v61
	v_and_b32_e32 v40, 0xffff, v24
	s_delay_alu instid0(VALU_DEP_3) | instskip(NEXT) | instid1(VALU_DEP_3)
	v_add_nc_u16 v26, v5, v67
	v_add_nc_u32_e32 v33, v37, v60
	;; [unrolled: 7-line block ×4, first 2 shown]
	ds_load_b128 v[5:8], v7 offset:1024
	v_cndmask_b32_e64 v22, 0, v30, s3
	v_add_nc_u32_e32 v43, v39, v55
	v_and_b32_e32 v30, 0xffff, v30
	s_delay_alu instid0(VALU_DEP_3) | instskip(NEXT) | instid1(VALU_DEP_3)
	v_add_nc_u16 v62, v22, v65
	v_add_nc_u32_e32 v31, v43, v53
	s_delay_alu instid0(VALU_DEP_2) | instskip(NEXT) | instid1(VALU_DEP_2)
	v_cndmask_b32_e64 v22, 0, v62, s2
	v_add_nc_u32_e32 v29, v31, v52
	v_and_b32_e32 v24, 0xffff, v62
	s_delay_alu instid0(VALU_DEP_3) | instskip(NEXT) | instid1(VALU_DEP_3)
	v_add_nc_u16 v81, v22, v64
	v_add_nc_u32_e32 v23, v29, v50
	s_waitcnt lgkmcnt(0)
	v_cmp_eq_u32_e32 vcc_lo, 0, v5
	v_and_b32_e32 v22, 0xffff, v16
	v_cndmask_b32_e64 v9, 0, v81, s1
	v_dual_cndmask_b32 v8, 0, v8 :: v_dual_add_nc_u32 v27, v23, v49
	v_and_b32_e32 v28, 0xffff, v81
	s_delay_alu instid0(VALU_DEP_3) | instskip(NEXT) | instid1(VALU_DEP_3)
	v_add_nc_u16 v9, v9, v46
	v_add_nc_u32_e32 v25, v27, v48
	s_delay_alu instid0(VALU_DEP_4) | instskip(NEXT) | instid1(VALU_DEP_3)
	v_add_nc_u32_e32 v62, v8, v6
	v_cndmask_b32_e64 v13, 0, v9, s0
	s_delay_alu instid0(VALU_DEP_3) | instskip(SKIP_1) | instid1(VALU_DEP_3)
	v_add_nc_u32_e32 v15, v25, v47
	v_and_b32_e32 v26, 0xffff, v9
	v_add_nc_u16 v13, v13, v45
	s_delay_alu instid0(VALU_DEP_1)
	v_and_b32_e32 v16, 0xffff, v13
	s_branch .LBB419_128
.LBB419_116:
                                        ; implicit-def: $vgpr5
                                        ; implicit-def: $vgpr62
                                        ; implicit-def: $vgpr41_vgpr42
                                        ; implicit-def: $vgpr35_vgpr36
                                        ; implicit-def: $vgpr37_vgpr38
                                        ; implicit-def: $vgpr33_vgpr34
                                        ; implicit-def: $vgpr21_vgpr22
                                        ; implicit-def: $vgpr17_vgpr18
                                        ; implicit-def: $vgpr19_vgpr20
                                        ; implicit-def: $vgpr39_vgpr40
                                        ; implicit-def: $vgpr43_vgpr44
                                        ; implicit-def: $vgpr31_vgpr32
                                        ; implicit-def: $vgpr29_vgpr30
                                        ; implicit-def: $vgpr23_vgpr24
                                        ; implicit-def: $vgpr27_vgpr28
                                        ; implicit-def: $vgpr25_vgpr26
                                        ; implicit-def: $vgpr15_vgpr16
	s_cbranch_execz .LBB419_128
; %bb.117:
	s_and_b32 s0, s16, exec_lo
	v_mov_b32_e32 v6, v74
	s_cselect_b32 s1, 0, s35
	s_cselect_b32 s0, 0, s34
	s_delay_alu instid0(SALU_CYCLE_1)
	s_cmp_eq_u64 s[0:1], 0
	s_cbranch_scc1 .LBB419_119
; %bb.118:
	v_mov_b32_e32 v5, 0
	global_load_u16 v6, v5, s[0:1]
.LBB419_119:
	v_cmp_eq_u32_e64 s11, 0, v61
	v_cmp_eq_u32_e64 s10, 0, v60
	;; [unrolled: 1-line block ×5, first 2 shown]
	v_cndmask_b32_e64 v5, 0, v74, s11
	v_cmp_eq_u32_e64 s7, 0, v56
	v_cmp_eq_u32_e64 s5, 0, v55
	;; [unrolled: 1-line block ×4, first 2 shown]
	v_add_nc_u16 v5, v5, v73
	v_cmp_eq_u32_e64 s2, 0, v50
	v_cmp_eq_u32_e64 s1, 0, v49
	;; [unrolled: 1-line block ×3, first 2 shown]
	v_cmp_eq_u32_e32 vcc_lo, 0, v47
	v_cndmask_b32_e64 v5, 0, v5, s10
	v_add3_u32 v7, v80, v57, v56
	v_cmp_eq_u32_e64 s12, 0, v54
	v_and_b32_e32 v13, 15, v77
	s_delay_alu instid0(VALU_DEP_4) | instskip(NEXT) | instid1(VALU_DEP_4)
	v_add_nc_u16 v5, v5, v75
	v_add3_u32 v7, v7, v55, v53
	s_delay_alu instid0(VALU_DEP_2) | instskip(NEXT) | instid1(VALU_DEP_2)
	v_cndmask_b32_e64 v5, 0, v5, s9
	v_add3_u32 v7, v7, v52, v50
	s_delay_alu instid0(VALU_DEP_2) | instskip(NEXT) | instid1(VALU_DEP_2)
	v_add_nc_u16 v5, v5, v71
	v_add3_u32 v7, v7, v49, v48
	s_delay_alu instid0(VALU_DEP_2) | instskip(NEXT) | instid1(VALU_DEP_2)
	v_cndmask_b32_e64 v5, 0, v5, s8
	v_add3_u32 v7, v7, v47, v54
	s_delay_alu instid0(VALU_DEP_2) | instskip(NEXT) | instid1(VALU_DEP_2)
	v_add_nc_u16 v5, v5, v72
	v_mov_b32_dpp v14, v7 row_shr:1 row_mask:0xf bank_mask:0xf
	s_delay_alu instid0(VALU_DEP_2) | instskip(NEXT) | instid1(VALU_DEP_1)
	v_cndmask_b32_e64 v5, 0, v5, s6
	v_add_nc_u16 v5, v5, v69
	s_delay_alu instid0(VALU_DEP_1) | instskip(NEXT) | instid1(VALU_DEP_1)
	v_cndmask_b32_e64 v5, 0, v5, s7
	v_add_nc_u16 v5, v5, v70
	s_delay_alu instid0(VALU_DEP_1) | instskip(NEXT) | instid1(VALU_DEP_1)
	;; [unrolled: 3-line block ×8, first 2 shown]
	v_cndmask_b32_e32 v5, 0, v5, vcc_lo
	v_add_nc_u16 v5, v5, v45
	s_delay_alu instid0(VALU_DEP_1) | instskip(SKIP_1) | instid1(VALU_DEP_2)
	v_cndmask_b32_e64 v5, 0, v5, s12
	v_cmp_eq_u32_e64 s12, 0, v7
	v_add_nc_u16 v5, v5, v76
	s_delay_alu instid0(VALU_DEP_1) | instskip(NEXT) | instid1(VALU_DEP_1)
	v_and_b32_e32 v8, 0xffff, v5
	v_mov_b32_dpp v9, v8 row_shr:1 row_mask:0xf bank_mask:0xf
	s_delay_alu instid0(VALU_DEP_1) | instskip(SKIP_1) | instid1(VALU_DEP_2)
	v_cndmask_b32_e64 v9, 0, v9, s12
	v_cmp_eq_u32_e64 s12, 0, v13
	v_add_nc_u16 v9, v9, v5
	s_delay_alu instid0(VALU_DEP_2) | instskip(NEXT) | instid1(VALU_DEP_2)
	v_cndmask_b32_e64 v14, v14, 0, s12
	v_and_b32_e32 v15, 0xffff, v9
	s_delay_alu instid0(VALU_DEP_2) | instskip(SKIP_1) | instid1(VALU_DEP_3)
	v_add_nc_u32_e32 v7, v14, v7
	v_cndmask_b32_e64 v5, v9, v5, s12
	v_cndmask_b32_e64 v8, v15, v8, s12
	s_delay_alu instid0(VALU_DEP_3) | instskip(NEXT) | instid1(VALU_DEP_2)
	v_cmp_eq_u32_e64 s12, 0, v7
	v_mov_b32_dpp v14, v8 row_shr:2 row_mask:0xf bank_mask:0xf
	s_delay_alu instid0(VALU_DEP_1) | instskip(SKIP_2) | instid1(VALU_DEP_3)
	v_cndmask_b32_e64 v9, 0, v14, s12
	v_mov_b32_dpp v14, v7 row_shr:2 row_mask:0xf bank_mask:0xf
	v_cmp_lt_u32_e64 s12, 1, v13
	v_add_nc_u16 v9, v9, v5
	s_delay_alu instid0(VALU_DEP_1) | instskip(NEXT) | instid1(VALU_DEP_3)
	v_and_b32_e32 v15, 0xffff, v9
	v_cndmask_b32_e64 v5, v5, v9, s12
	v_cndmask_b32_e64 v9, 0, v14, s12
	s_delay_alu instid0(VALU_DEP_3) | instskip(NEXT) | instid1(VALU_DEP_2)
	v_cndmask_b32_e64 v8, v8, v15, s12
	v_add_nc_u32_e32 v7, v7, v9
	s_delay_alu instid0(VALU_DEP_2) | instskip(NEXT) | instid1(VALU_DEP_2)
	v_mov_b32_dpp v9, v8 row_shr:4 row_mask:0xf bank_mask:0xf
	v_cmp_eq_u32_e64 s12, 0, v7
	v_mov_b32_dpp v14, v7 row_shr:4 row_mask:0xf bank_mask:0xf
	s_delay_alu instid0(VALU_DEP_2) | instskip(SKIP_1) | instid1(VALU_DEP_2)
	v_cndmask_b32_e64 v9, 0, v9, s12
	v_cmp_lt_u32_e64 s12, 3, v13
	v_add_nc_u16 v9, v9, v5
	s_delay_alu instid0(VALU_DEP_1) | instskip(NEXT) | instid1(VALU_DEP_3)
	v_and_b32_e32 v15, 0xffff, v9
	v_cndmask_b32_e64 v5, v5, v9, s12
	v_cndmask_b32_e64 v9, 0, v14, s12
	s_delay_alu instid0(VALU_DEP_3) | instskip(NEXT) | instid1(VALU_DEP_2)
	v_cndmask_b32_e64 v8, v8, v15, s12
	v_add_nc_u32_e32 v7, v9, v7
	s_delay_alu instid0(VALU_DEP_2) | instskip(NEXT) | instid1(VALU_DEP_2)
	v_mov_b32_dpp v9, v8 row_shr:8 row_mask:0xf bank_mask:0xf
	v_cmp_eq_u32_e64 s12, 0, v7
	v_mov_b32_dpp v14, v7 row_shr:8 row_mask:0xf bank_mask:0xf
	s_delay_alu instid0(VALU_DEP_2) | instskip(SKIP_1) | instid1(VALU_DEP_2)
	v_cndmask_b32_e64 v9, 0, v9, s12
	v_cmp_lt_u32_e64 s12, 7, v13
	v_add_nc_u16 v9, v9, v5
	s_delay_alu instid0(VALU_DEP_1) | instskip(SKIP_3) | instid1(VALU_DEP_3)
	v_cndmask_b32_e64 v13, v5, v9, s12
	v_cndmask_b32_e64 v5, 0, v14, s12
	v_and_b32_e32 v9, 0xffff, v9
	v_bfe_i32 v14, v77, 4, 1
	v_add_nc_u32_e32 v5, v5, v7
	s_delay_alu instid0(VALU_DEP_3)
	v_cndmask_b32_e64 v7, v8, v9, s12
	v_and_b32_e32 v9, 16, v77
	ds_swizzle_b32 v8, v5 offset:swizzle(BROADCAST,32,15)
	ds_swizzle_b32 v7, v7 offset:swizzle(BROADCAST,32,15)
	v_cmp_ne_u32_e64 s12, 0, v9
	v_cmp_eq_u32_e64 s13, 0, v5
	s_delay_alu instid0(VALU_DEP_1)
	s_and_b32 s12, s12, s13
	s_mov_b32 s13, exec_lo
	s_waitcnt lgkmcnt(1)
	v_and_b32_e32 v8, v14, v8
	s_waitcnt lgkmcnt(0)
	v_cndmask_b32_e64 v7, 0, v7, s12
	s_delay_alu instid0(VALU_DEP_2) | instskip(NEXT) | instid1(VALU_DEP_2)
	v_add_nc_u32_e32 v5, v8, v5
	v_add_nc_u16 v8, v7, v13
	v_cmpx_eq_u32_e64 v79, v0
	s_cbranch_execz .LBB419_121
; %bb.120:
	v_lshlrev_b32_e32 v7, 3, v78
	ds_store_b32 v7, v5 offset:1040
	ds_store_b16 v7, v8 offset:1044
.LBB419_121:
	s_or_b32 exec_lo, exec_lo, s13
	s_delay_alu instid0(SALU_CYCLE_1)
	s_mov_b32 s14, exec_lo
	s_waitcnt vmcnt(0) lgkmcnt(0)
	s_barrier
	buffer_gl0_inv
	v_cmpx_gt_u32_e32 8, v0
	s_cbranch_execz .LBB419_123
; %bb.122:
	v_lshlrev_b32_e32 v7, 3, v0
	v_and_b32_e32 v17, 7, v77
	ds_load_b64 v[13:14], v7 offset:1040
	v_cmp_lt_u32_e64 s13, 3, v17
	s_waitcnt lgkmcnt(0)
	v_mov_b32_dpp v9, v14 row_shr:1 row_mask:0xf bank_mask:0xf
	v_cmp_eq_u32_e64 s12, 0, v13
	v_and_b32_e32 v15, 0xffff0000, v14
	v_mov_b32_dpp v18, v13 row_shr:1 row_mask:0xf bank_mask:0xf
	s_delay_alu instid0(VALU_DEP_3) | instskip(SKIP_1) | instid1(VALU_DEP_2)
	v_cndmask_b32_e64 v9, 0, v9, s12
	v_cmp_eq_u32_e64 s12, 0, v17
	v_add_nc_u16 v9, v9, v14
	s_delay_alu instid0(VALU_DEP_2) | instskip(NEXT) | instid1(VALU_DEP_2)
	v_cndmask_b32_e64 v18, v18, 0, s12
	v_and_b32_e32 v16, 0xffff, v9
	s_delay_alu instid0(VALU_DEP_2) | instskip(SKIP_1) | instid1(VALU_DEP_3)
	v_add_nc_u32_e32 v13, v18, v13
	v_cndmask_b32_e64 v9, v9, v14, s12
	v_or_b32_e32 v16, v15, v16
	s_delay_alu instid0(VALU_DEP_1) | instskip(NEXT) | instid1(VALU_DEP_4)
	v_cndmask_b32_e64 v16, v16, v14, s12
	v_cmp_eq_u32_e64 s12, 0, v13
	s_delay_alu instid0(VALU_DEP_2) | instskip(NEXT) | instid1(VALU_DEP_1)
	v_mov_b32_dpp v18, v16 row_shr:2 row_mask:0xf bank_mask:0xf
	v_cndmask_b32_e64 v14, 0, v18, s12
	v_mov_b32_dpp v18, v13 row_shr:2 row_mask:0xf bank_mask:0xf
	v_cmp_lt_u32_e64 s12, 1, v17
	s_delay_alu instid0(VALU_DEP_3) | instskip(NEXT) | instid1(VALU_DEP_1)
	v_add_nc_u16 v14, v14, v9
	v_and_b32_e32 v19, 0xffff, v14
	s_delay_alu instid0(VALU_DEP_3) | instskip(SKIP_1) | instid1(VALU_DEP_3)
	v_cndmask_b32_e64 v9, v9, v14, s12
	v_cndmask_b32_e64 v14, 0, v18, s12
	v_or_b32_e32 v15, v15, v19
	s_delay_alu instid0(VALU_DEP_2) | instskip(NEXT) | instid1(VALU_DEP_2)
	v_add_nc_u32_e32 v13, v14, v13
	v_cndmask_b32_e64 v14, v16, v15, s12
	s_delay_alu instid0(VALU_DEP_2) | instskip(SKIP_1) | instid1(VALU_DEP_3)
	v_cmp_eq_u32_e64 s12, 0, v13
	v_mov_b32_dpp v15, v13 row_shr:4 row_mask:0xf bank_mask:0xf
	v_mov_b32_dpp v14, v14 row_shr:4 row_mask:0xf bank_mask:0xf
	s_delay_alu instid0(VALU_DEP_3) | instskip(NEXT) | instid1(VALU_DEP_2)
	s_and_b32 s12, s13, s12
	v_cndmask_b32_e64 v15, 0, v15, s13
	s_delay_alu instid0(VALU_DEP_2) | instskip(NEXT) | instid1(VALU_DEP_2)
	v_cndmask_b32_e64 v14, 0, v14, s12
	v_add_nc_u32_e32 v13, v15, v13
	s_delay_alu instid0(VALU_DEP_2)
	v_add_nc_u16 v9, v9, v14
	ds_store_b32 v7, v13 offset:1040
	ds_store_b16 v7, v9 offset:1044
.LBB419_123:
	s_or_b32 exec_lo, exec_lo, s14
	v_mov_b32_e32 v7, 0
	v_mov_b32_e32 v9, 0
	;; [unrolled: 1-line block ×3, first 2 shown]
	s_mov_b32 s13, exec_lo
	s_waitcnt lgkmcnt(0)
	s_barrier
	buffer_gl0_inv
	v_cmpx_lt_u32_e32 31, v0
	s_cbranch_execz .LBB419_125
; %bb.124:
	v_lshlrev_b32_e32 v13, 3, v78
	ds_load_b32 v9, v13 offset:1032
	ds_load_u16 v13, v13 offset:1036
	s_waitcnt lgkmcnt(1)
	v_cmp_eq_u32_e64 s12, 0, v9
	s_delay_alu instid0(VALU_DEP_1) | instskip(SKIP_1) | instid1(VALU_DEP_1)
	v_cndmask_b32_e64 v14, 0, v6, s12
	s_waitcnt lgkmcnt(0)
	v_add_nc_u16 v13, v14, v13
.LBB419_125:
	s_or_b32 exec_lo, exec_lo, s13
	v_add_nc_u32_e32 v14, -1, v77
	v_cmp_eq_u32_e64 s12, 0, v5
	v_add_nc_u32_e32 v5, v9, v5
	v_cmp_eq_u32_e64 s13, 0, v63
	s_delay_alu instid0(VALU_DEP_3) | instskip(SKIP_1) | instid1(VALU_DEP_2)
	v_cndmask_b32_e64 v15, 0, v13, s12
	v_cmp_gt_i32_e64 s12, 0, v14
	v_add_nc_u16 v8, v15, v8
	s_delay_alu instid0(VALU_DEP_2) | instskip(SKIP_1) | instid1(VALU_DEP_3)
	v_cndmask_b32_e64 v14, v14, v77, s12
	v_cmp_eq_u32_e64 s12, 0, v77
	v_and_b32_e32 v8, 0xffff, v8
	s_delay_alu instid0(VALU_DEP_3)
	v_lshlrev_b32_e32 v14, 2, v14
	ds_bpermute_b32 v5, v14, v5
	ds_bpermute_b32 v8, v14, v8
	s_waitcnt lgkmcnt(1)
	v_cndmask_b32_e64 v5, v5, v9, s12
	s_waitcnt lgkmcnt(0)
	v_cndmask_b32_e64 v8, v8, v13, s12
	v_cmp_eq_u32_e64 s12, 0, v0
	s_delay_alu instid0(VALU_DEP_1) | instskip(SKIP_1) | instid1(VALU_DEP_2)
	v_cndmask_b32_e64 v8, v8, v6, s12
	v_cndmask_b32_e64 v41, v5, 0, s12
	;; [unrolled: 1-line block ×3, first 2 shown]
	s_delay_alu instid0(VALU_DEP_2) | instskip(SKIP_1) | instid1(VALU_DEP_3)
	v_add_nc_u32_e32 v35, v41, v63
	v_and_b32_e32 v42, 0xffff, v8
	v_add_nc_u16 v9, v9, v74
	s_delay_alu instid0(VALU_DEP_3) | instskip(NEXT) | instid1(VALU_DEP_2)
	v_add_nc_u32_e32 v37, v35, v61
	v_cndmask_b32_e64 v13, 0, v9, s11
	s_delay_alu instid0(VALU_DEP_2) | instskip(SKIP_1) | instid1(VALU_DEP_3)
	v_add_nc_u32_e32 v33, v37, v60
	v_and_b32_e32 v36, 0xffff, v9
	v_add_nc_u16 v13, v13, v73
	s_delay_alu instid0(VALU_DEP_3) | instskip(NEXT) | instid1(VALU_DEP_2)
	v_add_nc_u32_e32 v21, v33, v59
	v_cndmask_b32_e64 v14, 0, v13, s10
	v_and_b32_e32 v38, 0xffff, v13
	s_delay_alu instid0(VALU_DEP_2) | instskip(NEXT) | instid1(VALU_DEP_1)
	v_add_nc_u16 v14, v14, v75
	v_cndmask_b32_e64 v15, 0, v14, s9
	v_and_b32_e32 v34, 0xffff, v14
	s_delay_alu instid0(VALU_DEP_2) | instskip(NEXT) | instid1(VALU_DEP_1)
	v_add_nc_u16 v15, v15, v71
	v_cndmask_b32_e64 v16, 0, v15, s8
	v_and_b32_e32 v22, 0xffff, v15
	s_delay_alu instid0(VALU_DEP_2) | instskip(NEXT) | instid1(VALU_DEP_1)
	v_add_nc_u16 v16, v16, v72
	v_cndmask_b32_e64 v17, 0, v16, s6
	s_delay_alu instid0(VALU_DEP_1) | instskip(NEXT) | instid1(VALU_DEP_1)
	v_add_nc_u16 v20, v17, v69
	v_cndmask_b32_e64 v17, 0, v20, s7
	v_and_b32_e32 v20, 0xffff, v20
	s_delay_alu instid0(VALU_DEP_2) | instskip(SKIP_1) | instid1(VALU_DEP_2)
	v_add_nc_u16 v24, v17, v70
	v_add_nc_u32_e32 v17, v21, v58
	v_cndmask_b32_e64 v5, 0, v24, s5
	s_delay_alu instid0(VALU_DEP_2) | instskip(SKIP_1) | instid1(VALU_DEP_3)
	v_add_nc_u32_e32 v19, v17, v57
	v_and_b32_e32 v40, 0xffff, v24
	v_add_nc_u16 v26, v5, v67
	s_delay_alu instid0(VALU_DEP_3) | instskip(NEXT) | instid1(VALU_DEP_2)
	v_add_nc_u32_e32 v39, v19, v56
	v_cndmask_b32_e64 v5, 0, v26, s4
	s_delay_alu instid0(VALU_DEP_2) | instskip(SKIP_1) | instid1(VALU_DEP_3)
	v_add_nc_u32_e32 v43, v39, v55
	v_and_b32_e32 v44, 0xffff, v26
	v_add_nc_u16 v28, v5, v68
	s_delay_alu instid0(VALU_DEP_3) | instskip(NEXT) | instid1(VALU_DEP_2)
	v_add_nc_u32_e32 v31, v43, v53
	v_cndmask_b32_e64 v5, 0, v28, s3
	s_delay_alu instid0(VALU_DEP_2) | instskip(SKIP_1) | instid1(VALU_DEP_3)
	v_add_nc_u32_e32 v29, v31, v52
	v_and_b32_e32 v32, 0xffff, v28
	v_add_nc_u16 v30, v5, v66
	ds_load_b32 v5, v7 offset:1096
	ds_load_u16 v7, v7 offset:1100
	v_add_nc_u32_e32 v23, v29, v50
	v_cndmask_b32_e64 v18, 0, v30, s2
	v_and_b32_e32 v30, 0xffff, v30
	s_delay_alu instid0(VALU_DEP_3) | instskip(NEXT) | instid1(VALU_DEP_3)
	v_add_nc_u32_e32 v27, v23, v49
	v_add_nc_u16 v62, v18, v65
	s_delay_alu instid0(VALU_DEP_2) | instskip(NEXT) | instid1(VALU_DEP_2)
	v_add_nc_u32_e32 v25, v27, v48
	v_cndmask_b32_e64 v18, 0, v62, s1
	v_and_b32_e32 v24, 0xffff, v62
	s_delay_alu instid0(VALU_DEP_3) | instskip(NEXT) | instid1(VALU_DEP_3)
	v_add_nc_u32_e32 v15, v25, v47
	v_add_nc_u16 v64, v18, v64
	s_waitcnt lgkmcnt(1)
	v_cmp_eq_u32_e64 s1, 0, v5
	v_and_b32_e32 v18, 0xffff, v16
	s_delay_alu instid0(VALU_DEP_3) | instskip(NEXT) | instid1(VALU_DEP_3)
	v_cndmask_b32_e64 v8, 0, v64, s0
	v_cndmask_b32_e64 v6, 0, v6, s1
	v_and_b32_e32 v28, 0xffff, v64
	s_delay_alu instid0(VALU_DEP_3) | instskip(SKIP_1) | instid1(VALU_DEP_3)
	v_add_nc_u16 v8, v8, v46
	s_waitcnt lgkmcnt(0)
	v_add_nc_u16 v62, v6, v7
	s_delay_alu instid0(VALU_DEP_2) | instskip(SKIP_1) | instid1(VALU_DEP_2)
	v_cndmask_b32_e32 v9, 0, v8, vcc_lo
	v_and_b32_e32 v26, 0xffff, v8
	v_add_nc_u16 v9, v9, v45
	s_delay_alu instid0(VALU_DEP_1)
	v_and_b32_e32 v16, 0xffff, v9
	s_and_saveexec_b32 s0, s12
	s_cbranch_execz .LBB419_127
; %bb.126:
	v_and_b32_e32 v6, 0xff00, v62
	v_dual_mov_b32 v8, 0 :: v_dual_and_b32 v7, 0xff, v62
	s_add_u32 s2, s24, 0x200
	s_addc_u32 s3, s25, 0
	s_delay_alu instid0(VALU_DEP_1)
	v_or_b32_e32 v6, v6, v7
	v_dual_mov_b32 v7, 2 :: v_dual_mov_b32 v14, s3
	v_mov_b32_e32 v13, s2
	;;#ASMSTART
	global_store_dwordx4 v[13:14], v[5:8] off	
s_waitcnt vmcnt(0)
	;;#ASMEND
.LBB419_127:
	s_or_b32 exec_lo, exec_lo, s0
	v_mov_b32_e32 v7, 0
.LBB419_128:
	v_mov_b32_e32 v13, 0
	s_and_b32 s0, s16, exec_lo
	v_mov_b32_e32 v14, 0
	s_cselect_b32 s1, 0, s43
	s_cselect_b32 s0, 0, s42
	s_delay_alu instid0(SALU_CYCLE_1)
	s_cmp_eq_u64 s[0:1], 0
	s_barrier
	buffer_gl0_inv
	s_cbranch_scc1 .LBB419_130
; %bb.129:
	v_mov_b32_e32 v6, 0
	global_load_b64 v[13:14], v6, s[0:1]
.LBB419_130:
	v_cmp_eq_u32_e32 vcc_lo, 0, v63
	s_waitcnt vmcnt(0)
	v_lshlrev_b64 v[45:46], 1, v[13:14]
	v_cmp_ne_u32_e64 s14, 0, v63
	v_cmp_ne_u32_e64 s13, 0, v61
	;; [unrolled: 1-line block ×3, first 2 shown]
	v_cndmask_b32_e64 v6, 1, 2, vcc_lo
	v_cmp_eq_u32_e32 vcc_lo, 0, v61
	v_cmp_ne_u32_e64 s11, 0, v59
	v_cmp_ne_u32_e64 s10, 0, v58
	;; [unrolled: 1-line block ×4, first 2 shown]
	v_cndmask_b32_e64 v8, 1, 2, vcc_lo
	v_cmp_eq_u32_e32 vcc_lo, 0, v60
	v_cmp_ne_u32_e64 s5, 0, v55
	v_cmp_ne_u32_e64 s8, 0, v53
	;; [unrolled: 1-line block ×3, first 2 shown]
	v_and_b32_e32 v6, v8, v6
	v_cndmask_b32_e64 v9, 1, 2, vcc_lo
	v_cmp_eq_u32_e32 vcc_lo, 0, v59
	v_cmp_ne_u32_e64 s4, 0, v50
	v_cmp_ne_u32_e64 s3, 0, v49
	;; [unrolled: 1-line block ×3, first 2 shown]
	v_and_b32_e32 v6, v6, v9
	v_cndmask_b32_e64 v8, 1, 2, vcc_lo
	v_cmp_eq_u32_e32 vcc_lo, 0, v58
	v_cmp_ne_u32_e64 s1, 0, v47
	v_cmp_ne_u32_e64 s0, 0, v54
	s_mov_b32 s16, -1
	v_and_b32_e32 v6, v6, v8
	v_cndmask_b32_e64 v9, 1, 2, vcc_lo
	v_cmp_eq_u32_e32 vcc_lo, 0, v57
	s_delay_alu instid0(VALU_DEP_2) | instskip(SKIP_2) | instid1(VALU_DEP_2)
	v_and_b32_e32 v6, v6, v9
	v_cndmask_b32_e64 v8, 1, 2, vcc_lo
	v_cmp_eq_u32_e32 vcc_lo, 0, v56
	v_and_b32_e32 v6, v6, v8
	v_cndmask_b32_e64 v9, 1, 2, vcc_lo
	v_cmp_eq_u32_e32 vcc_lo, 0, v55
	s_delay_alu instid0(VALU_DEP_2) | instskip(SKIP_2) | instid1(VALU_DEP_2)
	v_and_b32_e32 v6, v6, v9
	v_cndmask_b32_e64 v64, 1, 2, vcc_lo
	v_cmp_eq_u32_e32 vcc_lo, 0, v53
	;; [unrolled: 7-line block ×4, first 2 shown]
	v_and_b32_e32 v6, v6, v64
	v_cndmask_b32_e64 v65, 1, 2, vcc_lo
	v_mov_b32_e32 v8, 0
	v_cmp_eq_u32_e32 vcc_lo, 0, v47
	s_delay_alu instid0(VALU_DEP_3) | instskip(NEXT) | instid1(VALU_DEP_3)
	v_and_b32_e32 v65, v6, v65
	v_lshlrev_b64 v[8:9], 1, v[7:8]
	v_cndmask_b32_e64 v66, 1, 2, vcc_lo
	v_add_co_u32 v64, vcc_lo, s22, v45
	v_add_co_ci_u32_e32 v67, vcc_lo, s23, v46, vcc_lo
	s_delay_alu instid0(VALU_DEP_3) | instskip(NEXT) | instid1(VALU_DEP_3)
	v_and_b32_e32 v65, v65, v66
	v_add_co_u32 v6, vcc_lo, v64, v8
	s_delay_alu instid0(VALU_DEP_3) | instskip(SKIP_3) | instid1(VALU_DEP_2)
	v_add_co_ci_u32_e32 v64, vcc_lo, v67, v9, vcc_lo
	v_cmp_eq_u32_e32 vcc_lo, 0, v54
	v_cndmask_b32_e64 v66, 1, 2, vcc_lo
	v_cmp_gt_u32_e32 vcc_lo, 0x100, v5
	v_and_b32_e32 v65, v65, v66
	s_delay_alu instid0(VALU_DEP_1)
	v_cmp_gt_i16_e64 s15, 2, v65
	s_cbranch_vccz .LBB419_137
; %bb.131:
	s_delay_alu instid0(VALU_DEP_1)
	s_and_saveexec_b32 s16, s15
	s_cbranch_execz .LBB419_136
; %bb.132:
	s_mov_b32 s17, 0
	s_mov_b32 s15, exec_lo
	v_cmpx_ne_u16_e32 1, v65
	s_xor_b32 s15, exec_lo, s15
	s_cbranch_execnz .LBB419_193
; %bb.133:
	s_and_not1_saveexec_b32 s15, s15
	s_cbranch_execnz .LBB419_209
.LBB419_134:
	s_or_b32 exec_lo, exec_lo, s15
	s_delay_alu instid0(SALU_CYCLE_1)
	s_and_b32 exec_lo, exec_lo, s17
	s_cbranch_execz .LBB419_136
.LBB419_135:
	v_sub_nc_u32_e32 v66, v15, v7
	v_mov_b32_e32 v67, 0
	s_delay_alu instid0(VALU_DEP_1) | instskip(NEXT) | instid1(VALU_DEP_1)
	v_lshlrev_b64 v[66:67], 1, v[66:67]
	v_add_co_u32 v66, vcc_lo, v6, v66
	s_delay_alu instid0(VALU_DEP_2)
	v_add_co_ci_u32_e32 v67, vcc_lo, v64, v67, vcc_lo
	global_store_d16_hi_b16 v[66:67], v12, off
.LBB419_136:
	s_or_b32 exec_lo, exec_lo, s16
	s_mov_b32 s16, 0
.LBB419_137:
	s_delay_alu instid0(SALU_CYCLE_1)
	s_and_b32 vcc_lo, exec_lo, s16
	s_cbranch_vccz .LBB419_159
; %bb.138:
	s_mov_b32 s15, exec_lo
	v_cmpx_gt_i16_e32 2, v65
	s_cbranch_execz .LBB419_143
; %bb.139:
	s_mov_b32 s17, 0
	s_mov_b32 s16, exec_lo
	v_cmpx_ne_u16_e32 1, v65
	s_xor_b32 s16, exec_lo, s16
	s_cbranch_execnz .LBB419_210
; %bb.140:
	s_and_not1_saveexec_b32 s0, s16
	s_cbranch_execnz .LBB419_226
.LBB419_141:
	s_or_b32 exec_lo, exec_lo, s0
	s_delay_alu instid0(SALU_CYCLE_1)
	s_and_b32 exec_lo, exec_lo, s17
	s_cbranch_execz .LBB419_143
.LBB419_142:
	v_sub_nc_u32_e32 v1, v15, v7
	s_delay_alu instid0(VALU_DEP_1)
	v_lshlrev_b32_e32 v1, 1, v1
	ds_store_b16_d16_hi v1, v12
.LBB419_143:
	s_or_b32 exec_lo, exec_lo, s15
	s_delay_alu instid0(SALU_CYCLE_1)
	s_mov_b32 s1, exec_lo
	s_waitcnt lgkmcnt(0)
	s_waitcnt_vscnt null, 0x0
	s_barrier
	buffer_gl0_inv
	v_cmpx_lt_u32_e64 v0, v5
	s_cbranch_execz .LBB419_158
; %bb.144:
	v_xad_u32 v2, v0, -1, v5
	v_mov_b32_e32 v1, v0
	s_mov_b32 s0, -1
	s_mov_b32 s3, exec_lo
	s_delay_alu instid0(VALU_DEP_2)
	v_cmp_gt_u32_e64 s2, 0x1900, v2
	v_cmpx_lt_u32_e32 0x18ff, v2
	s_cbranch_execz .LBB419_155
; %bb.145:
	v_sub_nc_u32_e32 v1, v0, v5
	s_delay_alu instid0(VALU_DEP_1) | instskip(NEXT) | instid1(VALU_DEP_1)
	v_or_b32_e32 v1, 0xff, v1
	v_cmp_ge_u32_e32 vcc_lo, v1, v0
	v_mov_b32_e32 v1, v0
	s_and_saveexec_b32 s4, vcc_lo
	s_cbranch_execz .LBB419_154
; %bb.146:
	v_lshrrev_b32_e32 v4, 8, v2
	v_or_b32_e32 v1, 0x100, v0
	v_mov_b32_e32 v66, 0
	s_delay_alu instid0(VALU_DEP_3) | instskip(NEXT) | instid1(VALU_DEP_1)
	v_add_nc_u32_e32 v2, -1, v4
	v_lshrrev_b32_e32 v3, 1, v2
	v_cmp_lt_u32_e32 vcc_lo, 13, v2
	s_delay_alu instid0(VALU_DEP_2)
	v_dual_mov_b32 v3, v1 :: v_dual_add_nc_u32 v12, 1, v3
	v_mov_b32_e32 v2, v0
	s_and_saveexec_b32 s0, vcc_lo
	s_cbranch_execz .LBB419_150
; %bb.147:
	v_mov_b32_e32 v3, v1
	v_dual_mov_b32 v2, v0 :: v_dual_and_b32 v51, -8, v12
	v_lshlrev_b32_e32 v65, 1, v0
	v_mov_b32_e32 v11, 0
	s_mov_b32 s5, 0
	s_mov_b32 s6, 0
.LBB419_148:                            ; =>This Inner Loop Header: Depth=1
	v_dual_mov_b32 v10, v2 :: v_dual_add_nc_u32 v67, 0x200, v3
	s_add_i32 s6, s6, 16
	s_delay_alu instid0(SALU_CYCLE_1) | instskip(SKIP_1) | instid1(VALU_DEP_3)
	v_dual_mov_b32 v66, s6 :: v_dual_add_nc_u32 v51, -8, v51
	v_dual_mov_b32 v68, v11 :: v_dual_add_nc_u32 v69, 0x400, v3
	v_lshlrev_b64 v[81:82], 1, v[10:11]
	v_dual_mov_b32 v70, v11 :: v_dual_add_nc_u32 v71, 0x600, v3
	s_delay_alu instid0(VALU_DEP_4) | instskip(NEXT) | instid1(VALU_DEP_4)
	v_cmp_eq_u32_e32 vcc_lo, 0, v51
	v_lshlrev_b64 v[67:68], 1, v[67:68]
	v_dual_mov_b32 v72, v11 :: v_dual_add_nc_u32 v73, 0x800, v3
	s_delay_alu instid0(VALU_DEP_4)
	v_lshlrev_b64 v[69:70], 1, v[69:70]
	s_or_b32 s5, vcc_lo, s5
	v_add_co_u32 v81, vcc_lo, v6, v81
	v_dual_mov_b32 v74, v11 :: v_dual_add_nc_u32 v75, 0xa00, v3
	v_add_co_ci_u32_e32 v82, vcc_lo, v64, v82, vcc_lo
	v_lshlrev_b64 v[71:72], 1, v[71:72]
	v_add_co_u32 v67, vcc_lo, v6, v67
	v_dual_mov_b32 v76, v11 :: v_dual_add_nc_u32 v77, 0xc00, v3
	v_add_co_ci_u32_e32 v68, vcc_lo, v64, v68, vcc_lo
	v_lshlrev_b64 v[73:74], 1, v[73:74]
	;; [unrolled: 4-line block ×3, first 2 shown]
	v_add_co_u32 v71, vcc_lo, v6, v71
	v_mov_b32_e32 v80, v11
	v_dual_mov_b32 v10, v3 :: v_dual_add_nc_u32 v3, 0x1000, v3
	v_add_co_ci_u32_e32 v72, vcc_lo, v64, v72, vcc_lo
	v_lshlrev_b64 v[77:78], 1, v[77:78]
	v_add_co_u32 v73, vcc_lo, v6, v73
	ds_load_u16 v1, v65
	ds_load_u16 v87, v65 offset:512
	ds_load_u16 v88, v65 offset:1024
	;; [unrolled: 1-line block ×7, first 2 shown]
	v_add_co_ci_u32_e32 v74, vcc_lo, v64, v74, vcc_lo
	ds_load_u16 v94, v65 offset:4096
	ds_load_u16 v95, v65 offset:4608
	;; [unrolled: 1-line block ×8, first 2 shown]
	v_add_nc_u32_e32 v65, 0x2000, v65
	v_lshlrev_b64 v[79:80], 1, v[79:80]
	v_add_co_u32 v75, vcc_lo, v6, v75
	v_lshlrev_b64 v[83:84], 1, v[10:11]
	v_add_nc_u32_e32 v10, 0x200, v2
	v_add_co_ci_u32_e32 v76, vcc_lo, v64, v76, vcc_lo
	v_add_co_u32 v77, vcc_lo, v6, v77
	v_add_co_ci_u32_e32 v78, vcc_lo, v64, v78, vcc_lo
	v_add_co_u32 v79, vcc_lo, v6, v79
	v_lshlrev_b64 v[85:86], 1, v[10:11]
	v_add_nc_u32_e32 v10, 0x400, v2
	v_add_co_ci_u32_e32 v80, vcc_lo, v64, v80, vcc_lo
	v_add_co_u32 v83, vcc_lo, v6, v83
	v_add_co_ci_u32_e32 v84, vcc_lo, v64, v84, vcc_lo
	s_waitcnt lgkmcnt(15)
	global_store_b16 v[81:82], v1, off
	v_lshlrev_b64 v[81:82], 1, v[10:11]
	v_add_nc_u32_e32 v10, 0x600, v2
	v_add_co_u32 v85, vcc_lo, v6, v85
	v_add_co_ci_u32_e32 v86, vcc_lo, v64, v86, vcc_lo
	s_waitcnt lgkmcnt(14)
	global_store_b16 v[83:84], v87, off
	v_lshlrev_b64 v[83:84], 1, v[10:11]
	v_add_nc_u32_e32 v10, 0x800, v2
	s_waitcnt lgkmcnt(13)
	global_store_b16 v[85:86], v88, off
	s_waitcnt lgkmcnt(12)
	global_store_b16 v[67:68], v89, off
	v_add_co_u32 v67, vcc_lo, v6, v81
	v_add_co_ci_u32_e32 v68, vcc_lo, v64, v82, vcc_lo
	v_lshlrev_b64 v[81:82], 1, v[10:11]
	v_add_nc_u32_e32 v10, 0xa00, v2
	v_add_co_u32 v83, vcc_lo, v6, v83
	v_add_co_ci_u32_e32 v84, vcc_lo, v64, v84, vcc_lo
	s_waitcnt lgkmcnt(11)
	global_store_b16 v[67:68], v90, off
	s_waitcnt lgkmcnt(10)
	global_store_b16 v[69:70], v91, off
	v_lshlrev_b64 v[67:68], 1, v[10:11]
	v_add_nc_u32_e32 v10, 0xc00, v2
	v_add_co_u32 v69, vcc_lo, v6, v81
	s_waitcnt lgkmcnt(9)
	global_store_b16 v[83:84], v92, off
	s_waitcnt lgkmcnt(8)
	global_store_b16 v[71:72], v93, off
	v_add_co_ci_u32_e32 v70, vcc_lo, v64, v82, vcc_lo
	v_lshlrev_b64 v[71:72], 1, v[10:11]
	v_add_nc_u32_e32 v10, 0xe00, v2
	v_add_co_u32 v67, vcc_lo, v6, v67
	v_add_co_ci_u32_e32 v68, vcc_lo, v64, v68, vcc_lo
	s_waitcnt lgkmcnt(7)
	global_store_b16 v[69:70], v94, off
	s_waitcnt lgkmcnt(6)
	global_store_b16 v[73:74], v95, off
	v_lshlrev_b64 v[69:70], 1, v[10:11]
	v_add_nc_u32_e32 v2, 0x1000, v2
	s_waitcnt lgkmcnt(5)
	global_store_b16 v[67:68], v96, off
	v_add_co_u32 v67, vcc_lo, v6, v71
	v_add_co_ci_u32_e32 v68, vcc_lo, v64, v72, vcc_lo
	v_add_co_u32 v69, vcc_lo, v6, v69
	v_add_co_ci_u32_e32 v70, vcc_lo, v64, v70, vcc_lo
	s_waitcnt lgkmcnt(4)
	global_store_b16 v[75:76], v97, off
	s_waitcnt lgkmcnt(3)
	global_store_b16 v[67:68], v98, off
	;; [unrolled: 2-line block ×5, first 2 shown]
	s_and_not1_b32 exec_lo, exec_lo, s5
	s_cbranch_execnz .LBB419_148
; %bb.149:
	s_or_b32 exec_lo, exec_lo, s5
.LBB419_150:
	s_delay_alu instid0(SALU_CYCLE_1) | instskip(SKIP_3) | instid1(VALU_DEP_1)
	s_or_b32 exec_lo, exec_lo, s0
	v_and_b32_e32 v1, 7, v12
	s_mov_b32 s6, 0
	s_mov_b32 s5, exec_lo
	v_cmpx_ne_u32_e32 0, v1
	s_cbranch_execz .LBB419_153
; %bb.151:
	v_dual_mov_b32 v11, 0 :: v_dual_lshlrev_b32 v10, 1, v0
	s_delay_alu instid0(VALU_DEP_1)
	v_lshl_or_b32 v12, v66, 9, v10
	s_set_inst_prefetch_distance 0x1
	.p2align	6
.LBB419_152:                            ; =>This Inner Loop Header: Depth=1
	v_dual_mov_b32 v10, v2 :: v_dual_add_nc_u32 v1, -1, v1
	ds_load_u16 v51, v12
	ds_load_u16 v69, v12 offset:512
	v_add_nc_u32_e32 v2, 0x200, v2
	v_add_nc_u32_e32 v12, 0x400, v12
	v_lshlrev_b64 v[65:66], 1, v[10:11]
	v_dual_mov_b32 v10, v3 :: v_dual_add_nc_u32 v3, 0x200, v3
	v_cmp_eq_u32_e32 vcc_lo, 0, v1
	s_delay_alu instid0(VALU_DEP_2) | instskip(NEXT) | instid1(VALU_DEP_4)
	v_lshlrev_b64 v[67:68], 1, v[10:11]
	v_add_co_u32 v65, s0, v6, v65
	s_delay_alu instid0(VALU_DEP_1) | instskip(SKIP_1) | instid1(VALU_DEP_3)
	v_add_co_ci_u32_e64 v66, s0, v64, v66, s0
	s_or_b32 s6, vcc_lo, s6
	v_add_co_u32 v67, s0, v6, v67
	s_delay_alu instid0(VALU_DEP_1)
	v_add_co_ci_u32_e64 v68, s0, v64, v68, s0
	s_waitcnt lgkmcnt(1)
	global_store_b16 v[65:66], v51, off
	s_waitcnt lgkmcnt(0)
	global_store_b16 v[67:68], v69, off
	s_and_not1_b32 exec_lo, exec_lo, s6
	s_cbranch_execnz .LBB419_152
.LBB419_153:
	s_set_inst_prefetch_distance 0x2
	s_or_b32 exec_lo, exec_lo, s5
	v_add_nc_u32_e32 v1, 1, v4
	s_delay_alu instid0(VALU_DEP_1) | instskip(NEXT) | instid1(VALU_DEP_1)
	v_and_b32_e32 v2, 0x1fffffe, v1
	v_cmp_ne_u32_e32 vcc_lo, v1, v2
	v_lshl_or_b32 v1, v2, 8, v0
	s_or_not1_b32 s0, vcc_lo, exec_lo
.LBB419_154:
	s_or_b32 exec_lo, exec_lo, s4
	s_delay_alu instid0(SALU_CYCLE_1) | instskip(SKIP_1) | instid1(SALU_CYCLE_1)
	s_and_not1_b32 s2, s2, exec_lo
	s_and_b32 s0, s0, exec_lo
	s_or_b32 s2, s2, s0
.LBB419_155:
	s_or_b32 exec_lo, exec_lo, s3
	s_delay_alu instid0(VALU_DEP_2) | instid1(SALU_CYCLE_1)
	s_and_b32 exec_lo, exec_lo, s2
	s_cbranch_execz .LBB419_158
; %bb.156:
	v_dual_mov_b32 v2, 0 :: v_dual_lshlrev_b32 v3, 1, v1
	s_mov_b32 s2, 0
	.p2align	6
.LBB419_157:                            ; =>This Inner Loop Header: Depth=1
	ds_load_u16 v4, v3
	v_lshlrev_b64 v[10:11], 1, v[1:2]
	v_add_nc_u32_e32 v1, 0x100, v1
	v_add_nc_u32_e32 v3, 0x200, v3
	s_delay_alu instid0(VALU_DEP_2) | instskip(NEXT) | instid1(VALU_DEP_4)
	v_cmp_ge_u32_e32 vcc_lo, v1, v5
	v_add_co_u32 v10, s0, v6, v10
	s_delay_alu instid0(VALU_DEP_1)
	v_add_co_ci_u32_e64 v11, s0, v64, v11, s0
	s_or_b32 s2, vcc_lo, s2
	s_waitcnt lgkmcnt(0)
	global_store_b16 v[10:11], v4, off
	s_and_not1_b32 exec_lo, exec_lo, s2
	s_cbranch_execnz .LBB419_157
.LBB419_158:
	s_or_b32 exec_lo, exec_lo, s1
.LBB419_159:
	s_cmpk_lg_i32 s21, 0xf00
	v_cmp_eq_u32_e32 vcc_lo, 0, v0
	s_cselect_b32 s0, -1, 0
	v_cndmask_b32_e64 v2, 0, 1, s28
	s_and_b32 s0, s20, s0
	v_mad_i32_i24 v6, v0, -15, s21
	v_cndmask_b32_e64 v1, 0, 1, s0
	s_mul_hi_u32 s0, s21, 0x88888889
	s_and_b32 s1, vcc_lo, s28
	s_lshr_b32 s0, s0, 3
	v_sub_nc_u32_e32 v3, v5, v2
	v_cndmask_b32_e64 v10, v63, 0, s1
	v_cmp_eq_u32_e32 vcc_lo, s0, v0
	v_cmp_ne_u32_e64 s0, 0, v6
	s_mov_b32 s16, -1
	s_waitcnt_vscnt null, 0x0
	s_barrier
	s_and_b32 vcc_lo, s20, vcc_lo
	v_add_nc_u32_e32 v4, v3, v1
	v_cndmask_b32_e64 v3, 1, v10, s0
	v_cmp_ne_u32_e64 s0, 1, v6
	buffer_gl0_inv
	v_cndmask_b32_e32 v64, v10, v3, vcc_lo
	v_cndmask_b32_e64 v11, 1, v61, s0
	v_cmp_ne_u32_e64 s0, 14, v6
	s_delay_alu instid0(VALU_DEP_2) | instskip(NEXT) | instid1(VALU_DEP_2)
	v_cndmask_b32_e32 v61, v61, v11, vcc_lo
	v_cndmask_b32_e64 v12, 1, v54, s0
	v_cmp_ne_u32_e64 s0, 2, v6
	s_delay_alu instid0(VALU_DEP_3) | instskip(NEXT) | instid1(VALU_DEP_2)
	v_cmp_ne_u32_e64 s13, 0, v61
	v_cndmask_b32_e64 v51, 1, v60, s0
	v_cmp_ne_u32_e64 s0, 3, v6
	s_delay_alu instid0(VALU_DEP_2) | instskip(NEXT) | instid1(VALU_DEP_2)
	v_dual_cndmask_b32 v54, v54, v12 :: v_dual_cndmask_b32 v51, v60, v51
	v_cndmask_b32_e64 v63, 1, v59, s0
	v_cmp_ne_u32_e64 s0, 4, v6
	s_delay_alu instid0(VALU_DEP_3) | instskip(NEXT) | instid1(VALU_DEP_2)
	v_cmp_ne_u32_e64 s12, 0, v51
	v_cndmask_b32_e64 v3, 1, v58, s0
	v_cmp_ne_u32_e64 s0, 5, v6
	s_delay_alu instid0(VALU_DEP_1) | instskip(SKIP_1) | instid1(VALU_DEP_2)
	v_cndmask_b32_e64 v10, 1, v57, s0
	v_cmp_eq_u32_e64 s0, 0, v64
	v_dual_cndmask_b32 v58, v58, v3 :: v_dual_cndmask_b32 v57, v57, v10
	s_delay_alu instid0(VALU_DEP_2) | instskip(SKIP_1) | instid1(VALU_DEP_3)
	v_cndmask_b32_e64 v11, 1, 2, s0
	v_cmp_eq_u32_e64 s0, 0, v61
	v_cmp_ne_u32_e64 s10, 0, v58
	s_delay_alu instid0(VALU_DEP_4) | instskip(NEXT) | instid1(VALU_DEP_3)
	v_cmp_ne_u32_e64 s9, 0, v57
	v_cndmask_b32_e64 v12, 1, 2, s0
	v_cmp_ne_u32_e64 s0, 6, v6
	s_delay_alu instid0(VALU_DEP_2) | instskip(NEXT) | instid1(VALU_DEP_2)
	v_and_b32_e32 v11, v12, v11
	v_cndmask_b32_e64 v60, 1, v56, s0
	v_cmp_eq_u32_e64 s0, 0, v51
	s_delay_alu instid0(VALU_DEP_2) | instskip(NEXT) | instid1(VALU_DEP_2)
	v_dual_cndmask_b32 v59, v59, v63 :: v_dual_cndmask_b32 v56, v56, v60
	v_cndmask_b32_e64 v12, 1, 2, s0
	v_cmp_ne_u32_e64 s0, 7, v6
	s_delay_alu instid0(VALU_DEP_3) | instskip(NEXT) | instid1(VALU_DEP_4)
	v_cmp_ne_u32_e64 s11, 0, v59
	v_cmp_ne_u32_e64 s8, 0, v56
	s_delay_alu instid0(VALU_DEP_4) | instskip(NEXT) | instid1(VALU_DEP_4)
	v_and_b32_e32 v11, v11, v12
	v_cndmask_b32_e64 v63, 1, v55, s0
	v_cmp_ne_u32_e64 s0, 8, v6
	v_cmp_ne_u32_e64 s14, 0, v64
	s_delay_alu instid0(VALU_DEP_2) | instskip(SKIP_1) | instid1(VALU_DEP_2)
	v_cndmask_b32_e64 v65, 1, v53, s0
	v_cmp_eq_u32_e64 s0, 0, v59
	v_cndmask_b32_e32 v53, v53, v65, vcc_lo
	s_delay_alu instid0(VALU_DEP_2) | instskip(SKIP_1) | instid1(VALU_DEP_3)
	v_cndmask_b32_e64 v12, 1, 2, s0
	v_cmp_ne_u32_e64 s0, 9, v6
	v_cmp_ne_u32_e64 s6, 0, v53
	s_delay_alu instid0(VALU_DEP_3) | instskip(NEXT) | instid1(VALU_DEP_3)
	v_and_b32_e32 v10, v11, v12
	v_cndmask_b32_e64 v3, 1, v52, s0
	v_cmp_eq_u32_e64 s0, 0, v58
	s_delay_alu instid0(VALU_DEP_2) | instskip(NEXT) | instid1(VALU_DEP_2)
	v_cndmask_b32_e32 v52, v52, v3, vcc_lo
	v_cndmask_b32_e64 v11, 1, 2, s0
	v_cmp_ne_u32_e64 s0, 10, v6
	s_delay_alu instid0(VALU_DEP_2) | instskip(NEXT) | instid1(VALU_DEP_2)
	v_and_b32_e32 v10, v10, v11
	v_cndmask_b32_e64 v12, 1, v50, s0
	v_cmp_ne_u32_e64 s0, 12, v6
	s_delay_alu instid0(VALU_DEP_2) | instskip(NEXT) | instid1(VALU_DEP_2)
	v_cndmask_b32_e32 v50, v50, v12, vcc_lo
	v_cndmask_b32_e64 v66, 1, v48, s0
	v_cmp_eq_u32_e64 s0, 0, v57
	v_cndmask_b32_e32 v55, v55, v63, vcc_lo
	s_delay_alu instid0(VALU_DEP_4) | instskip(NEXT) | instid1(VALU_DEP_4)
	v_cmp_ne_u32_e64 s4, 0, v50
	v_cndmask_b32_e32 v48, v48, v66, vcc_lo
	s_delay_alu instid0(VALU_DEP_4) | instskip(SKIP_2) | instid1(VALU_DEP_4)
	v_cndmask_b32_e64 v11, 1, 2, s0
	v_cmp_ne_u32_e64 s0, 13, v6
	v_cmp_ne_u32_e64 s7, 0, v55
	;; [unrolled: 1-line block ×3, first 2 shown]
	s_delay_alu instid0(VALU_DEP_3) | instskip(SKIP_1) | instid1(VALU_DEP_2)
	v_cndmask_b32_e64 v60, 1, v47, s0
	v_cmp_eq_u32_e64 s0, 0, v56
	v_dual_cndmask_b32 v47, v47, v60 :: v_dual_and_b32 v10, v10, v11
	s_delay_alu instid0(VALU_DEP_2) | instskip(SKIP_1) | instid1(VALU_DEP_3)
	v_cndmask_b32_e64 v11, 1, 2, s0
	v_cmp_ne_u32_e64 s0, 11, v6
	v_cmp_ne_u32_e64 s1, 0, v47
	s_delay_alu instid0(VALU_DEP_2) | instskip(SKIP_1) | instid1(VALU_DEP_2)
	v_cndmask_b32_e64 v6, 1, v49, s0
	v_cmp_eq_u32_e64 s0, 0, v55
	v_dual_cndmask_b32 v49, v49, v6 :: v_dual_and_b32 v10, v10, v11
	s_delay_alu instid0(VALU_DEP_2) | instskip(SKIP_2) | instid1(VALU_DEP_4)
	v_cndmask_b32_e64 v11, 1, 2, s0
	v_cmp_eq_u32_e32 vcc_lo, 0, v53
	v_cmp_ne_u32_e64 s0, 0, v54
	v_cmp_ne_u32_e64 s3, 0, v49
	s_delay_alu instid0(VALU_DEP_4) | instskip(SKIP_3) | instid1(VALU_DEP_3)
	v_and_b32_e32 v3, v10, v11
	v_cndmask_b32_e64 v6, 1, 2, vcc_lo
	v_add_co_u32 v10, vcc_lo, s36, v45
	v_add_co_ci_u32_e32 v11, vcc_lo, s37, v46, vcc_lo
	v_and_b32_e32 v3, v3, v6
	v_cmp_eq_u32_e32 vcc_lo, 0, v52
	v_cmp_ne_u32_e64 s5, 0, v52
	v_cndmask_b32_e64 v6, 1, 2, vcc_lo
	v_add_co_u32 v10, vcc_lo, v10, v8
	v_add_co_ci_u32_e32 v11, vcc_lo, v11, v9, vcc_lo
	v_lshlrev_b32_e32 v8, 1, v2
	v_cmp_eq_u32_e32 vcc_lo, 0, v50
	v_and_b32_e32 v3, v3, v6
	v_cndmask_b32_e64 v6, 1, 2, vcc_lo
	s_delay_alu instid0(VALU_DEP_4) | instskip(SKIP_2) | instid1(VALU_DEP_4)
	v_add_co_u32 v8, vcc_lo, v8, v10
	v_add_co_ci_u32_e32 v9, vcc_lo, 0, v11, vcc_lo
	v_cmp_eq_u32_e32 vcc_lo, 0, v49
	v_and_b32_e32 v45, v3, v6
	v_add_nc_u32_e32 v3, v7, v2
	v_cndmask_b32_e64 v46, 1, 2, vcc_lo
	v_add_co_u32 v6, vcc_lo, v8, -2
	v_add_co_ci_u32_e32 v12, vcc_lo, -1, v9, vcc_lo
	v_cmp_eq_u32_e32 vcc_lo, 0, v48
	s_delay_alu instid0(VALU_DEP_4) | instskip(SKIP_2) | instid1(VALU_DEP_2)
	v_and_b32_e32 v8, v45, v46
	v_cndmask_b32_e64 v9, 1, 2, vcc_lo
	v_cmp_eq_u32_e32 vcc_lo, 0, v47
	v_and_b32_e32 v8, v8, v9
	v_cndmask_b32_e64 v9, 1, 2, vcc_lo
	v_cmp_eq_u32_e32 vcc_lo, 0, v54
	s_delay_alu instid0(VALU_DEP_2) | instskip(SKIP_2) | instid1(VALU_DEP_2)
	v_and_b32_e32 v8, v8, v9
	v_cndmask_b32_e64 v9, 1, 2, vcc_lo
	v_cmp_gt_u32_e32 vcc_lo, 0x100, v4
	v_and_b32_e32 v8, v8, v9
	s_delay_alu instid0(VALU_DEP_1)
	v_cmp_gt_i16_e64 s15, 2, v8
	s_cbranch_vccnz .LBB419_163
; %bb.160:
	s_and_b32 vcc_lo, exec_lo, s16
	s_cbranch_vccnz .LBB419_169
.LBB419_161:
	v_cmp_eq_u32_e32 vcc_lo, 0xff, v0
	s_and_b32 s0, vcc_lo, s20
	s_delay_alu instid0(SALU_CYCLE_1)
	s_and_saveexec_b32 s1, s0
	s_cbranch_execnz .LBB419_190
.LBB419_162:
	s_nop 0
	s_sendmsg sendmsg(MSG_DEALLOC_VGPRS)
	s_endpgm
.LBB419_163:
	s_delay_alu instid0(VALU_DEP_1)
	s_and_saveexec_b32 s16, s15
	s_cbranch_execz .LBB419_168
; %bb.164:
	s_mov_b32 s17, 0
	s_mov_b32 s15, exec_lo
	v_cmpx_ne_u16_e32 1, v8
	s_xor_b32 s15, exec_lo, s15
	s_cbranch_execnz .LBB419_227
; %bb.165:
	s_and_not1_saveexec_b32 s15, s15
	s_cbranch_execnz .LBB419_243
.LBB419_166:
	s_or_b32 exec_lo, exec_lo, s15
	s_delay_alu instid0(SALU_CYCLE_1)
	s_and_b32 exec_lo, exec_lo, s17
	s_cbranch_execz .LBB419_168
.LBB419_167:
	v_sub_nc_u32_e32 v45, v15, v3
	v_mov_b32_e32 v46, 0
	s_delay_alu instid0(VALU_DEP_1) | instskip(NEXT) | instid1(VALU_DEP_1)
	v_lshlrev_b64 v[45:46], 1, v[45:46]
	v_add_co_u32 v45, vcc_lo, v6, v45
	s_delay_alu instid0(VALU_DEP_2)
	v_add_co_ci_u32_e32 v46, vcc_lo, v12, v46, vcc_lo
	global_store_b16 v[45:46], v16, off
.LBB419_168:
	s_or_b32 exec_lo, exec_lo, s16
	s_branch .LBB419_161
.LBB419_169:
	s_mov_b32 s15, exec_lo
	v_cmpx_gt_i16_e32 2, v8
	s_cbranch_execz .LBB419_174
; %bb.170:
	s_mov_b32 s17, 0
	s_mov_b32 s16, exec_lo
	v_cmpx_ne_u16_e32 1, v8
	s_xor_b32 s16, exec_lo, s16
	s_cbranch_execnz .LBB419_244
; %bb.171:
	s_and_not1_saveexec_b32 s0, s16
	s_cbranch_execnz .LBB419_260
.LBB419_172:
	s_or_b32 exec_lo, exec_lo, s0
	s_delay_alu instid0(SALU_CYCLE_1)
	s_and_b32 exec_lo, exec_lo, s17
	s_cbranch_execz .LBB419_174
.LBB419_173:
	v_sub_nc_u32_e32 v3, v15, v3
	s_delay_alu instid0(VALU_DEP_1)
	v_lshlrev_b32_e32 v3, 1, v3
	ds_store_b16 v3, v16
.LBB419_174:
	s_or_b32 exec_lo, exec_lo, s15
	s_delay_alu instid0(SALU_CYCLE_1)
	s_mov_b32 s1, exec_lo
	s_waitcnt lgkmcnt(0)
	s_waitcnt_vscnt null, 0x0
	s_barrier
	buffer_gl0_inv
	v_cmpx_lt_u32_e64 v0, v4
	s_cbranch_execz .LBB419_189
; %bb.175:
	v_add_nc_u32_e32 v8, v5, v1
	s_mov_b32 s0, -1
	s_mov_b32 s3, exec_lo
	s_delay_alu instid0(VALU_DEP_1) | instskip(NEXT) | instid1(VALU_DEP_1)
	v_xad_u32 v1, v0, -1, v8
	v_sub_nc_u32_e32 v3, v1, v2
	v_mov_b32_e32 v1, v0
	s_delay_alu instid0(VALU_DEP_2)
	v_cmp_gt_u32_e64 s2, 0x1b00, v3
	v_cmpx_lt_u32_e32 0x1aff, v3
	s_cbranch_execz .LBB419_186
; %bb.176:
	v_sub_nc_u32_e32 v1, v0, v8
	s_delay_alu instid0(VALU_DEP_1) | instskip(NEXT) | instid1(VALU_DEP_1)
	v_add_nc_u32_e32 v1, v1, v2
	v_or_b32_e32 v1, 0xff, v1
	s_delay_alu instid0(VALU_DEP_1)
	v_cmp_ge_u32_e32 vcc_lo, v1, v0
	v_mov_b32_e32 v1, v0
	s_and_saveexec_b32 s4, vcc_lo
	s_cbranch_execz .LBB419_185
; %bb.177:
	v_lshrrev_b32_e32 v15, 8, v3
	v_or_b32_e32 v1, 0x100, v0
	v_lshlrev_b32_e32 v16, 1, v0
	s_delay_alu instid0(VALU_DEP_3) | instskip(NEXT) | instid1(VALU_DEP_1)
	v_add_nc_u32_e32 v2, -1, v15
	v_lshrrev_b32_e32 v3, 1, v2
	v_mov_b32_e32 v20, 0
	v_cmp_lt_u32_e32 vcc_lo, 13, v2
	s_delay_alu instid0(VALU_DEP_3)
	v_add_nc_u32_e32 v17, 1, v3
	v_dual_mov_b32 v3, v1 :: v_dual_mov_b32 v2, v0
	s_and_saveexec_b32 s0, vcc_lo
	s_cbranch_execz .LBB419_181
; %bb.178:
	s_delay_alu instid0(VALU_DEP_2)
	v_dual_mov_b32 v9, 0 :: v_dual_and_b32 v18, -8, v17
	v_mov_b32_e32 v19, v16
	v_dual_mov_b32 v3, v1 :: v_dual_mov_b32 v2, v0
	s_mov_b32 s5, 0
	s_mov_b32 s6, 0
.LBB419_179:                            ; =>This Inner Loop Header: Depth=1
	s_delay_alu instid0(VALU_DEP_1) | instskip(SKIP_2) | instid1(VALU_DEP_3)
	v_dual_mov_b32 v8, v2 :: v_dual_add_nc_u32 v21, 0x200, v3
	v_add_nc_u32_e32 v18, -8, v18
	v_dual_mov_b32 v22, v9 :: v_dual_add_nc_u32 v23, 0x400, v3
	v_lshlrev_b64 v[35:36], 1, v[8:9]
	v_dual_mov_b32 v24, v9 :: v_dual_add_nc_u32 v25, 0x600, v3
	s_delay_alu instid0(VALU_DEP_4) | instskip(NEXT) | instid1(VALU_DEP_4)
	v_cmp_eq_u32_e32 vcc_lo, 0, v18
	v_lshlrev_b64 v[21:22], 1, v[21:22]
	v_dual_mov_b32 v26, v9 :: v_dual_add_nc_u32 v27, 0x800, v3
	s_add_i32 s6, s6, 16
	v_lshlrev_b64 v[23:24], 1, v[23:24]
	s_or_b32 s5, vcc_lo, s5
	v_add_co_u32 v35, vcc_lo, v6, v35
	v_dual_mov_b32 v28, v9 :: v_dual_add_nc_u32 v29, 0xa00, v3
	v_add_co_ci_u32_e32 v36, vcc_lo, v12, v36, vcc_lo
	v_lshlrev_b64 v[25:26], 1, v[25:26]
	v_add_co_u32 v21, vcc_lo, v6, v21
	v_dual_mov_b32 v30, v9 :: v_dual_add_nc_u32 v31, 0xc00, v3
	v_add_co_ci_u32_e32 v22, vcc_lo, v12, v22, vcc_lo
	v_lshlrev_b64 v[27:28], 1, v[27:28]
	;; [unrolled: 4-line block ×3, first 2 shown]
	v_add_co_u32 v25, vcc_lo, v6, v25
	v_mov_b32_e32 v34, v9
	v_mov_b32_e32 v8, v3
	v_add_co_ci_u32_e32 v26, vcc_lo, v12, v26, vcc_lo
	v_lshlrev_b64 v[31:32], 1, v[31:32]
	v_add_co_u32 v27, vcc_lo, v6, v27
	ds_load_u16 v1, v19
	ds_load_u16 v41, v19 offset:512
	ds_load_u16 v42, v19 offset:1024
	;; [unrolled: 1-line block ×7, first 2 shown]
	v_add_co_ci_u32_e32 v28, vcc_lo, v12, v28, vcc_lo
	ds_load_u16 v48, v19 offset:4096
	ds_load_u16 v49, v19 offset:4608
	;; [unrolled: 1-line block ×8, first 2 shown]
	v_add_nc_u32_e32 v19, 0x2000, v19
	v_lshlrev_b64 v[33:34], 1, v[33:34]
	v_add_co_u32 v29, vcc_lo, v6, v29
	v_lshlrev_b64 v[37:38], 1, v[8:9]
	v_add_nc_u32_e32 v8, 0x200, v2
	v_add_co_ci_u32_e32 v30, vcc_lo, v12, v30, vcc_lo
	v_add_co_u32 v31, vcc_lo, v6, v31
	v_add_co_ci_u32_e32 v32, vcc_lo, v12, v32, vcc_lo
	v_add_co_u32 v33, vcc_lo, v6, v33
	v_lshlrev_b64 v[39:40], 1, v[8:9]
	v_add_nc_u32_e32 v8, 0x400, v2
	v_add_co_ci_u32_e32 v34, vcc_lo, v12, v34, vcc_lo
	v_add_co_u32 v37, vcc_lo, v6, v37
	v_add_co_ci_u32_e32 v38, vcc_lo, v12, v38, vcc_lo
	s_waitcnt lgkmcnt(15)
	global_store_b16 v[35:36], v1, off
	v_lshlrev_b64 v[35:36], 1, v[8:9]
	v_add_nc_u32_e32 v8, 0x600, v2
	v_add_co_u32 v39, vcc_lo, v6, v39
	v_add_co_ci_u32_e32 v40, vcc_lo, v12, v40, vcc_lo
	s_waitcnt lgkmcnt(14)
	global_store_b16 v[37:38], v41, off
	v_lshlrev_b64 v[37:38], 1, v[8:9]
	v_add_nc_u32_e32 v8, 0x800, v2
	s_waitcnt lgkmcnt(13)
	global_store_b16 v[39:40], v42, off
	s_waitcnt lgkmcnt(12)
	global_store_b16 v[21:22], v43, off
	v_add_co_u32 v21, vcc_lo, v6, v35
	v_add_co_ci_u32_e32 v22, vcc_lo, v12, v36, vcc_lo
	v_lshlrev_b64 v[35:36], 1, v[8:9]
	v_add_nc_u32_e32 v8, 0xa00, v2
	v_add_co_u32 v37, vcc_lo, v6, v37
	v_add_co_ci_u32_e32 v38, vcc_lo, v12, v38, vcc_lo
	s_waitcnt lgkmcnt(11)
	global_store_b16 v[21:22], v44, off
	s_waitcnt lgkmcnt(10)
	global_store_b16 v[23:24], v45, off
	v_lshlrev_b64 v[21:22], 1, v[8:9]
	v_add_nc_u32_e32 v8, 0xc00, v2
	v_add_co_u32 v23, vcc_lo, v6, v35
	s_waitcnt lgkmcnt(9)
	global_store_b16 v[37:38], v46, off
	s_waitcnt lgkmcnt(8)
	global_store_b16 v[25:26], v47, off
	v_add_co_ci_u32_e32 v24, vcc_lo, v12, v36, vcc_lo
	v_lshlrev_b64 v[25:26], 1, v[8:9]
	v_add_nc_u32_e32 v8, 0xe00, v2
	v_add_co_u32 v21, vcc_lo, v6, v21
	v_add_co_ci_u32_e32 v22, vcc_lo, v12, v22, vcc_lo
	s_waitcnt lgkmcnt(7)
	global_store_b16 v[23:24], v48, off
	s_waitcnt lgkmcnt(6)
	global_store_b16 v[27:28], v49, off
	v_lshlrev_b64 v[23:24], 1, v[8:9]
	v_dual_mov_b32 v20, s6 :: v_dual_add_nc_u32 v3, 0x1000, v3
	s_waitcnt lgkmcnt(5)
	global_store_b16 v[21:22], v50, off
	v_add_co_u32 v21, vcc_lo, v6, v25
	v_add_nc_u32_e32 v2, 0x1000, v2
	v_add_co_ci_u32_e32 v22, vcc_lo, v12, v26, vcc_lo
	v_add_co_u32 v23, vcc_lo, v6, v23
	v_add_co_ci_u32_e32 v24, vcc_lo, v12, v24, vcc_lo
	s_waitcnt lgkmcnt(4)
	global_store_b16 v[29:30], v51, off
	s_waitcnt lgkmcnt(3)
	global_store_b16 v[21:22], v52, off
	;; [unrolled: 2-line block ×5, first 2 shown]
	s_and_not1_b32 exec_lo, exec_lo, s5
	s_cbranch_execnz .LBB419_179
; %bb.180:
	s_or_b32 exec_lo, exec_lo, s5
.LBB419_181:
	s_delay_alu instid0(SALU_CYCLE_1) | instskip(SKIP_3) | instid1(VALU_DEP_1)
	s_or_b32 exec_lo, exec_lo, s0
	v_and_b32_e32 v1, 7, v17
	s_mov_b32 s6, 0
	s_mov_b32 s5, exec_lo
	v_cmpx_ne_u32_e32 0, v1
	s_cbranch_execz .LBB419_184
; %bb.182:
	v_lshl_or_b32 v16, v20, 9, v16
	v_mov_b32_e32 v9, 0
	s_set_inst_prefetch_distance 0x1
	.p2align	6
.LBB419_183:                            ; =>This Inner Loop Header: Depth=1
	v_dual_mov_b32 v8, v2 :: v_dual_add_nc_u32 v1, -1, v1
	ds_load_u16 v21, v16
	ds_load_u16 v22, v16 offset:512
	v_add_nc_u32_e32 v2, 0x200, v2
	v_add_nc_u32_e32 v16, 0x400, v16
	v_lshlrev_b64 v[17:18], 1, v[8:9]
	v_dual_mov_b32 v8, v3 :: v_dual_add_nc_u32 v3, 0x200, v3
	v_cmp_eq_u32_e32 vcc_lo, 0, v1
	s_delay_alu instid0(VALU_DEP_2) | instskip(NEXT) | instid1(VALU_DEP_4)
	v_lshlrev_b64 v[19:20], 1, v[8:9]
	v_add_co_u32 v17, s0, v6, v17
	s_delay_alu instid0(VALU_DEP_1) | instskip(SKIP_1) | instid1(VALU_DEP_3)
	v_add_co_ci_u32_e64 v18, s0, v12, v18, s0
	s_or_b32 s6, vcc_lo, s6
	v_add_co_u32 v19, s0, v6, v19
	s_delay_alu instid0(VALU_DEP_1)
	v_add_co_ci_u32_e64 v20, s0, v12, v20, s0
	s_waitcnt lgkmcnt(1)
	global_store_b16 v[17:18], v21, off
	s_waitcnt lgkmcnt(0)
	global_store_b16 v[19:20], v22, off
	s_and_not1_b32 exec_lo, exec_lo, s6
	s_cbranch_execnz .LBB419_183
.LBB419_184:
	s_set_inst_prefetch_distance 0x2
	s_or_b32 exec_lo, exec_lo, s5
	v_add_nc_u32_e32 v1, 1, v15
	s_delay_alu instid0(VALU_DEP_1) | instskip(NEXT) | instid1(VALU_DEP_1)
	v_and_b32_e32 v2, 0x1fffffe, v1
	v_cmp_ne_u32_e32 vcc_lo, v1, v2
	v_lshl_or_b32 v1, v2, 8, v0
	s_or_not1_b32 s0, vcc_lo, exec_lo
.LBB419_185:
	s_or_b32 exec_lo, exec_lo, s4
	s_delay_alu instid0(SALU_CYCLE_1) | instskip(SKIP_1) | instid1(SALU_CYCLE_1)
	s_and_not1_b32 s2, s2, exec_lo
	s_and_b32 s0, s0, exec_lo
	s_or_b32 s2, s2, s0
.LBB419_186:
	s_or_b32 exec_lo, exec_lo, s3
	s_delay_alu instid0(VALU_DEP_2) | instid1(SALU_CYCLE_1)
	s_and_b32 exec_lo, exec_lo, s2
	s_cbranch_execz .LBB419_189
; %bb.187:
	v_dual_mov_b32 v2, 0 :: v_dual_lshlrev_b32 v3, 1, v1
	s_mov_b32 s2, 0
	.p2align	6
.LBB419_188:                            ; =>This Inner Loop Header: Depth=1
	ds_load_u16 v15, v3
	v_lshlrev_b64 v[8:9], 1, v[1:2]
	v_add_nc_u32_e32 v1, 0x100, v1
	v_add_nc_u32_e32 v3, 0x200, v3
	s_delay_alu instid0(VALU_DEP_2) | instskip(NEXT) | instid1(VALU_DEP_4)
	v_cmp_ge_u32_e32 vcc_lo, v1, v4
	v_add_co_u32 v8, s0, v6, v8
	s_delay_alu instid0(VALU_DEP_1)
	v_add_co_ci_u32_e64 v9, s0, v12, v9, s0
	s_or_b32 s2, vcc_lo, s2
	s_waitcnt lgkmcnt(0)
	global_store_b16 v[8:9], v15, off
	s_and_not1_b32 exec_lo, exec_lo, s2
	s_cbranch_execnz .LBB419_188
.LBB419_189:
	s_or_b32 exec_lo, exec_lo, s1
	v_cmp_eq_u32_e32 vcc_lo, 0xff, v0
	s_and_b32 s0, vcc_lo, s20
	s_delay_alu instid0(SALU_CYCLE_1)
	s_and_saveexec_b32 s1, s0
	s_cbranch_execz .LBB419_162
.LBB419_190:
	v_add_co_u32 v0, s0, v5, v7
	s_delay_alu instid0(VALU_DEP_1) | instskip(SKIP_1) | instid1(VALU_DEP_3)
	v_add_co_ci_u32_e64 v1, null, 0, 0, s0
	v_mov_b32_e32 v6, 0
	v_add_co_u32 v0, vcc_lo, v0, v13
	s_delay_alu instid0(VALU_DEP_3)
	v_add_co_ci_u32_e32 v1, vcc_lo, v1, v14, vcc_lo
	s_cmpk_lg_i32 s21, 0xf00
	global_store_b64 v6, v[0:1], s[38:39]
	s_cbranch_scc1 .LBB419_162
; %bb.191:
	v_lshlrev_b64 v[0:1], 1, v[5:6]
	s_delay_alu instid0(VALU_DEP_1) | instskip(NEXT) | instid1(VALU_DEP_2)
	v_add_co_u32 v0, vcc_lo, v10, v0
	v_add_co_ci_u32_e32 v1, vcc_lo, v11, v1, vcc_lo
	global_store_b16 v[0:1], v62, off offset:-2
	s_nop 0
	s_sendmsg sendmsg(MSG_DEALLOC_VGPRS)
	s_endpgm
.LBB419_192:
	s_or_b32 exec_lo, exec_lo, s1
	v_mov_b32_e32 v63, s31
	s_and_saveexec_b32 s1, s30
	s_cbranch_execnz .LBB419_84
	s_branch .LBB419_85
.LBB419_193:
	s_and_saveexec_b32 s17, s14
	s_cbranch_execnz .LBB419_261
; %bb.194:
	s_or_b32 exec_lo, exec_lo, s17
	s_and_saveexec_b32 s17, s13
	s_cbranch_execnz .LBB419_262
.LBB419_195:
	s_or_b32 exec_lo, exec_lo, s17
	s_and_saveexec_b32 s17, s12
	s_cbranch_execnz .LBB419_263
.LBB419_196:
	s_or_b32 exec_lo, exec_lo, s17
	s_and_saveexec_b32 s17, s11
	s_cbranch_execnz .LBB419_264
.LBB419_197:
	s_or_b32 exec_lo, exec_lo, s17
	s_and_saveexec_b32 s17, s10
	s_cbranch_execnz .LBB419_265
.LBB419_198:
	s_or_b32 exec_lo, exec_lo, s17
	s_and_saveexec_b32 s17, s9
	s_cbranch_execnz .LBB419_266
.LBB419_199:
	s_or_b32 exec_lo, exec_lo, s17
	s_and_saveexec_b32 s17, s7
	s_cbranch_execnz .LBB419_267
.LBB419_200:
	s_or_b32 exec_lo, exec_lo, s17
	s_and_saveexec_b32 s17, s5
	s_cbranch_execnz .LBB419_268
.LBB419_201:
	s_or_b32 exec_lo, exec_lo, s17
	s_and_saveexec_b32 s17, s8
	s_cbranch_execnz .LBB419_269
.LBB419_202:
	s_or_b32 exec_lo, exec_lo, s17
	s_and_saveexec_b32 s17, s6
	s_cbranch_execnz .LBB419_270
.LBB419_203:
	s_or_b32 exec_lo, exec_lo, s17
	s_and_saveexec_b32 s17, s4
	s_cbranch_execnz .LBB419_271
.LBB419_204:
	s_or_b32 exec_lo, exec_lo, s17
	s_and_saveexec_b32 s17, s3
	s_cbranch_execnz .LBB419_272
.LBB419_205:
	s_or_b32 exec_lo, exec_lo, s17
	s_and_saveexec_b32 s17, s2
	s_cbranch_execnz .LBB419_273
.LBB419_206:
	s_or_b32 exec_lo, exec_lo, s17
	s_and_saveexec_b32 s17, s1
	s_cbranch_execz .LBB419_208
.LBB419_207:
	v_sub_nc_u32_e32 v66, v25, v7
	v_mov_b32_e32 v67, 0
	s_delay_alu instid0(VALU_DEP_1) | instskip(NEXT) | instid1(VALU_DEP_1)
	v_lshlrev_b64 v[66:67], 1, v[66:67]
	v_add_co_u32 v66, vcc_lo, v6, v66
	s_delay_alu instid0(VALU_DEP_2)
	v_add_co_ci_u32_e32 v67, vcc_lo, v64, v67, vcc_lo
	global_store_b16 v[66:67], v12, off
.LBB419_208:
	s_or_b32 exec_lo, exec_lo, s17
	s_delay_alu instid0(SALU_CYCLE_1)
	s_and_b32 s17, s0, exec_lo
	s_and_not1_saveexec_b32 s15, s15
	s_cbranch_execz .LBB419_134
.LBB419_209:
	v_sub_nc_u32_e32 v66, v41, v7
	v_mov_b32_e32 v67, 0
	s_or_b32 s17, s17, exec_lo
	s_delay_alu instid0(VALU_DEP_1) | instskip(SKIP_1) | instid1(VALU_DEP_1)
	v_lshlrev_b64 v[68:69], 1, v[66:67]
	v_sub_nc_u32_e32 v66, v35, v7
	v_lshlrev_b64 v[70:71], 1, v[66:67]
	v_sub_nc_u32_e32 v66, v37, v7
	s_delay_alu instid0(VALU_DEP_4) | instskip(SKIP_1) | instid1(VALU_DEP_3)
	v_add_co_u32 v68, vcc_lo, v6, v68
	v_add_co_ci_u32_e32 v69, vcc_lo, v64, v69, vcc_lo
	v_lshlrev_b64 v[72:73], 1, v[66:67]
	v_sub_nc_u32_e32 v66, v33, v7
	v_add_co_u32 v70, vcc_lo, v6, v70
	v_add_co_ci_u32_e32 v71, vcc_lo, v64, v71, vcc_lo
	global_store_b16 v[68:69], v51, off
	v_lshlrev_b64 v[68:69], 1, v[66:67]
	v_sub_nc_u32_e32 v66, v21, v7
	global_store_b16 v[70:71], v1, off
	v_add_co_u32 v70, vcc_lo, v6, v72
	v_add_co_ci_u32_e32 v71, vcc_lo, v64, v73, vcc_lo
	v_lshlrev_b64 v[72:73], 1, v[66:67]
	v_sub_nc_u32_e32 v66, v17, v7
	v_add_co_u32 v68, vcc_lo, v6, v68
	v_add_co_ci_u32_e32 v69, vcc_lo, v64, v69, vcc_lo
	s_delay_alu instid0(VALU_DEP_3) | instskip(SKIP_3) | instid1(VALU_DEP_3)
	v_lshlrev_b64 v[74:75], 1, v[66:67]
	v_sub_nc_u32_e32 v66, v19, v7
	v_add_co_u32 v72, vcc_lo, v6, v72
	v_add_co_ci_u32_e32 v73, vcc_lo, v64, v73, vcc_lo
	v_lshlrev_b64 v[76:77], 1, v[66:67]
	v_sub_nc_u32_e32 v66, v39, v7
	v_add_co_u32 v74, vcc_lo, v6, v74
	v_add_co_ci_u32_e32 v75, vcc_lo, v64, v75, vcc_lo
	s_clause 0x3
	global_store_d16_hi_b16 v[70:71], v1, off
	global_store_b16 v[68:69], v2, off
	global_store_d16_hi_b16 v[72:73], v2, off
	global_store_b16 v[74:75], v3, off
	v_lshlrev_b64 v[68:69], 1, v[66:67]
	v_sub_nc_u32_e32 v66, v43, v7
	v_add_co_u32 v70, vcc_lo, v6, v76
	v_add_co_ci_u32_e32 v71, vcc_lo, v64, v77, vcc_lo
	s_delay_alu instid0(VALU_DEP_3) | instskip(SKIP_3) | instid1(VALU_DEP_3)
	v_lshlrev_b64 v[72:73], 1, v[66:67]
	v_sub_nc_u32_e32 v66, v31, v7
	v_add_co_u32 v68, vcc_lo, v6, v68
	v_add_co_ci_u32_e32 v69, vcc_lo, v64, v69, vcc_lo
	v_lshlrev_b64 v[74:75], 1, v[66:67]
	v_sub_nc_u32_e32 v66, v29, v7
	v_add_co_u32 v72, vcc_lo, v6, v72
	v_add_co_ci_u32_e32 v73, vcc_lo, v64, v73, vcc_lo
	s_delay_alu instid0(VALU_DEP_3)
	v_lshlrev_b64 v[76:77], 1, v[66:67]
	v_sub_nc_u32_e32 v66, v23, v7
	v_add_co_u32 v74, vcc_lo, v6, v74
	v_add_co_ci_u32_e32 v75, vcc_lo, v64, v75, vcc_lo
	s_clause 0x3
	global_store_d16_hi_b16 v[70:71], v3, off
	global_store_b16 v[68:69], v4, off
	global_store_d16_hi_b16 v[72:73], v4, off
	global_store_b16 v[74:75], v10, off
	v_lshlrev_b64 v[68:69], 1, v[66:67]
	v_sub_nc_u32_e32 v66, v27, v7
	v_add_co_u32 v70, vcc_lo, v6, v76
	v_add_co_ci_u32_e32 v71, vcc_lo, v64, v77, vcc_lo
	s_delay_alu instid0(VALU_DEP_3) | instskip(SKIP_3) | instid1(VALU_DEP_3)
	v_lshlrev_b64 v[72:73], 1, v[66:67]
	v_sub_nc_u32_e32 v66, v25, v7
	v_add_co_u32 v68, vcc_lo, v6, v68
	v_add_co_ci_u32_e32 v69, vcc_lo, v64, v69, vcc_lo
	v_lshlrev_b64 v[66:67], 1, v[66:67]
	v_add_co_u32 v72, vcc_lo, v6, v72
	v_add_co_ci_u32_e32 v73, vcc_lo, v64, v73, vcc_lo
	s_clause 0x2
	global_store_d16_hi_b16 v[70:71], v10, off
	global_store_b16 v[68:69], v11, off
	global_store_d16_hi_b16 v[72:73], v11, off
	v_add_co_u32 v66, vcc_lo, v6, v66
	v_add_co_ci_u32_e32 v67, vcc_lo, v64, v67, vcc_lo
	global_store_b16 v[66:67], v12, off
	s_or_b32 exec_lo, exec_lo, s15
	s_delay_alu instid0(SALU_CYCLE_1)
	s_and_b32 exec_lo, exec_lo, s17
	s_cbranch_execnz .LBB419_135
	s_branch .LBB419_136
.LBB419_210:
	s_and_saveexec_b32 s17, s14
	s_cbranch_execnz .LBB419_274
; %bb.211:
	s_or_b32 exec_lo, exec_lo, s17
	s_and_saveexec_b32 s14, s13
	s_cbranch_execnz .LBB419_275
.LBB419_212:
	s_or_b32 exec_lo, exec_lo, s14
	s_and_saveexec_b32 s13, s12
	s_cbranch_execnz .LBB419_276
.LBB419_213:
	s_or_b32 exec_lo, exec_lo, s13
	s_and_saveexec_b32 s12, s11
	s_cbranch_execnz .LBB419_277
.LBB419_214:
	s_or_b32 exec_lo, exec_lo, s12
	s_and_saveexec_b32 s11, s10
	s_cbranch_execnz .LBB419_278
.LBB419_215:
	s_or_b32 exec_lo, exec_lo, s11
	s_and_saveexec_b32 s10, s9
	s_cbranch_execnz .LBB419_279
.LBB419_216:
	s_or_b32 exec_lo, exec_lo, s10
	s_and_saveexec_b32 s9, s7
	s_cbranch_execnz .LBB419_280
.LBB419_217:
	s_or_b32 exec_lo, exec_lo, s9
	s_and_saveexec_b32 s7, s5
	s_cbranch_execnz .LBB419_281
.LBB419_218:
	s_or_b32 exec_lo, exec_lo, s7
	s_and_saveexec_b32 s5, s8
	s_cbranch_execnz .LBB419_282
.LBB419_219:
	s_or_b32 exec_lo, exec_lo, s5
	s_and_saveexec_b32 s5, s6
	s_cbranch_execnz .LBB419_283
.LBB419_220:
	s_or_b32 exec_lo, exec_lo, s5
	s_and_saveexec_b32 s5, s4
	s_cbranch_execnz .LBB419_284
.LBB419_221:
	s_or_b32 exec_lo, exec_lo, s5
	s_and_saveexec_b32 s4, s3
	s_cbranch_execnz .LBB419_285
.LBB419_222:
	s_or_b32 exec_lo, exec_lo, s4
	s_and_saveexec_b32 s3, s2
	s_cbranch_execnz .LBB419_286
.LBB419_223:
	s_or_b32 exec_lo, exec_lo, s3
	s_and_saveexec_b32 s2, s1
	s_cbranch_execz .LBB419_225
.LBB419_224:
	v_sub_nc_u32_e32 v1, v25, v7
	s_delay_alu instid0(VALU_DEP_1)
	v_lshlrev_b32_e32 v1, 1, v1
	ds_store_b16 v1, v12
.LBB419_225:
	s_or_b32 exec_lo, exec_lo, s2
	s_delay_alu instid0(SALU_CYCLE_1)
	s_and_b32 s17, s0, exec_lo
                                        ; implicit-def: $vgpr51
                                        ; implicit-def: $vgpr1
	s_and_not1_saveexec_b32 s0, s16
	s_cbranch_execz .LBB419_141
.LBB419_226:
	v_sub_nc_u32_e32 v65, v41, v7
	v_sub_nc_u32_e32 v66, v35, v7
	;; [unrolled: 1-line block ×4, first 2 shown]
	s_or_b32 s17, s17, exec_lo
	v_lshlrev_b32_e32 v65, 1, v65
	v_lshlrev_b32_e32 v66, 1, v66
	;; [unrolled: 1-line block ×4, first 2 shown]
	ds_store_b16 v65, v51
	ds_store_b16 v66, v1
	ds_store_b16_d16_hi v67, v1
	v_sub_nc_u32_e32 v1, v21, v7
	v_sub_nc_u32_e32 v51, v17, v7
	;; [unrolled: 1-line block ×5, first 2 shown]
	v_lshlrev_b32_e32 v1, 1, v1
	ds_store_b16 v68, v2
	v_lshlrev_b32_e32 v51, 1, v51
	v_lshlrev_b32_e32 v65, 1, v65
	;; [unrolled: 1-line block ×3, first 2 shown]
	ds_store_b16_d16_hi v1, v2
	v_lshlrev_b32_e32 v1, 1, v67
	v_sub_nc_u32_e32 v2, v31, v7
	ds_store_b16 v51, v3
	ds_store_b16_d16_hi v65, v3
	ds_store_b16 v66, v4
	v_sub_nc_u32_e32 v51, v25, v7
	v_sub_nc_u32_e32 v3, v23, v7
	ds_store_b16_d16_hi v1, v4
	v_sub_nc_u32_e32 v1, v29, v7
	v_lshlrev_b32_e32 v2, 1, v2
	v_sub_nc_u32_e32 v4, v27, v7
	v_lshlrev_b32_e32 v3, 1, v3
	s_delay_alu instid0(VALU_DEP_4)
	v_lshlrev_b32_e32 v1, 1, v1
	ds_store_b16 v2, v10
	v_lshlrev_b32_e32 v2, 1, v51
	v_lshlrev_b32_e32 v4, 1, v4
	ds_store_b16_d16_hi v1, v10
	ds_store_b16 v3, v11
	ds_store_b16_d16_hi v4, v11
	ds_store_b16 v2, v12
	s_or_b32 exec_lo, exec_lo, s0
	s_delay_alu instid0(SALU_CYCLE_1)
	s_and_b32 exec_lo, exec_lo, s17
	s_cbranch_execnz .LBB419_142
	s_branch .LBB419_143
.LBB419_227:
	s_and_saveexec_b32 s17, s14
	s_cbranch_execnz .LBB419_287
; %bb.228:
	s_or_b32 exec_lo, exec_lo, s17
	s_and_saveexec_b32 s17, s13
	s_cbranch_execnz .LBB419_288
.LBB419_229:
	s_or_b32 exec_lo, exec_lo, s17
	s_and_saveexec_b32 s17, s12
	s_cbranch_execnz .LBB419_289
.LBB419_230:
	s_or_b32 exec_lo, exec_lo, s17
	s_and_saveexec_b32 s17, s11
	s_cbranch_execnz .LBB419_290
.LBB419_231:
	s_or_b32 exec_lo, exec_lo, s17
	s_and_saveexec_b32 s17, s10
	s_cbranch_execnz .LBB419_291
.LBB419_232:
	s_or_b32 exec_lo, exec_lo, s17
	s_and_saveexec_b32 s17, s9
	s_cbranch_execnz .LBB419_292
.LBB419_233:
	s_or_b32 exec_lo, exec_lo, s17
	s_and_saveexec_b32 s17, s8
	s_cbranch_execnz .LBB419_293
.LBB419_234:
	s_or_b32 exec_lo, exec_lo, s17
	s_and_saveexec_b32 s17, s7
	s_cbranch_execnz .LBB419_294
.LBB419_235:
	s_or_b32 exec_lo, exec_lo, s17
	s_and_saveexec_b32 s17, s6
	s_cbranch_execnz .LBB419_295
.LBB419_236:
	s_or_b32 exec_lo, exec_lo, s17
	s_and_saveexec_b32 s17, s5
	s_cbranch_execnz .LBB419_296
.LBB419_237:
	s_or_b32 exec_lo, exec_lo, s17
	s_and_saveexec_b32 s17, s4
	s_cbranch_execnz .LBB419_297
.LBB419_238:
	s_or_b32 exec_lo, exec_lo, s17
	s_and_saveexec_b32 s17, s3
	s_cbranch_execnz .LBB419_298
.LBB419_239:
	s_or_b32 exec_lo, exec_lo, s17
	s_and_saveexec_b32 s17, s2
	s_cbranch_execnz .LBB419_299
.LBB419_240:
	s_or_b32 exec_lo, exec_lo, s17
	s_and_saveexec_b32 s17, s1
	s_cbranch_execz .LBB419_242
.LBB419_241:
	v_sub_nc_u32_e32 v45, v25, v3
	v_mov_b32_e32 v46, 0
	s_delay_alu instid0(VALU_DEP_1) | instskip(NEXT) | instid1(VALU_DEP_1)
	v_lshlrev_b64 v[45:46], 1, v[45:46]
	v_add_co_u32 v45, vcc_lo, v6, v45
	s_delay_alu instid0(VALU_DEP_2)
	v_add_co_ci_u32_e32 v46, vcc_lo, v12, v46, vcc_lo
	global_store_b16 v[45:46], v26, off
.LBB419_242:
	s_or_b32 exec_lo, exec_lo, s17
	s_delay_alu instid0(SALU_CYCLE_1)
	s_and_b32 s17, s0, exec_lo
	s_and_not1_saveexec_b32 s15, s15
	s_cbranch_execz .LBB419_166
.LBB419_243:
	v_sub_nc_u32_e32 v45, v41, v3
	v_mov_b32_e32 v46, 0
	s_or_b32 s17, s17, exec_lo
	s_delay_alu instid0(VALU_DEP_1) | instskip(SKIP_1) | instid1(VALU_DEP_1)
	v_lshlrev_b64 v[47:48], 1, v[45:46]
	v_sub_nc_u32_e32 v45, v35, v3
	v_lshlrev_b64 v[49:50], 1, v[45:46]
	v_sub_nc_u32_e32 v45, v37, v3
	s_delay_alu instid0(VALU_DEP_4) | instskip(SKIP_1) | instid1(VALU_DEP_3)
	v_add_co_u32 v47, vcc_lo, v6, v47
	v_add_co_ci_u32_e32 v48, vcc_lo, v12, v48, vcc_lo
	v_lshlrev_b64 v[51:52], 1, v[45:46]
	v_sub_nc_u32_e32 v45, v33, v3
	v_add_co_u32 v49, vcc_lo, v6, v49
	v_add_co_ci_u32_e32 v50, vcc_lo, v12, v50, vcc_lo
	global_store_b16 v[47:48], v42, off
	v_lshlrev_b64 v[47:48], 1, v[45:46]
	v_sub_nc_u32_e32 v45, v21, v3
	global_store_b16 v[49:50], v36, off
	v_add_co_u32 v49, vcc_lo, v6, v51
	v_add_co_ci_u32_e32 v50, vcc_lo, v12, v52, vcc_lo
	v_lshlrev_b64 v[51:52], 1, v[45:46]
	v_sub_nc_u32_e32 v45, v17, v3
	v_add_co_u32 v47, vcc_lo, v6, v47
	v_add_co_ci_u32_e32 v48, vcc_lo, v12, v48, vcc_lo
	s_delay_alu instid0(VALU_DEP_3) | instskip(SKIP_3) | instid1(VALU_DEP_3)
	v_lshlrev_b64 v[53:54], 1, v[45:46]
	v_sub_nc_u32_e32 v45, v19, v3
	v_add_co_u32 v51, vcc_lo, v6, v51
	v_add_co_ci_u32_e32 v52, vcc_lo, v12, v52, vcc_lo
	v_lshlrev_b64 v[55:56], 1, v[45:46]
	v_sub_nc_u32_e32 v45, v39, v3
	v_add_co_u32 v53, vcc_lo, v6, v53
	v_add_co_ci_u32_e32 v54, vcc_lo, v12, v54, vcc_lo
	s_clause 0x3
	global_store_b16 v[49:50], v38, off
	global_store_b16 v[47:48], v34, off
	;; [unrolled: 1-line block ×4, first 2 shown]
	v_lshlrev_b64 v[47:48], 1, v[45:46]
	v_sub_nc_u32_e32 v45, v43, v3
	v_add_co_u32 v49, vcc_lo, v6, v55
	v_add_co_ci_u32_e32 v50, vcc_lo, v12, v56, vcc_lo
	s_delay_alu instid0(VALU_DEP_3) | instskip(SKIP_3) | instid1(VALU_DEP_3)
	v_lshlrev_b64 v[51:52], 1, v[45:46]
	v_sub_nc_u32_e32 v45, v31, v3
	v_add_co_u32 v47, vcc_lo, v6, v47
	v_add_co_ci_u32_e32 v48, vcc_lo, v12, v48, vcc_lo
	v_lshlrev_b64 v[53:54], 1, v[45:46]
	v_sub_nc_u32_e32 v45, v29, v3
	v_add_co_u32 v51, vcc_lo, v6, v51
	v_add_co_ci_u32_e32 v52, vcc_lo, v12, v52, vcc_lo
	s_delay_alu instid0(VALU_DEP_3)
	v_lshlrev_b64 v[55:56], 1, v[45:46]
	v_sub_nc_u32_e32 v45, v23, v3
	v_add_co_u32 v53, vcc_lo, v6, v53
	v_add_co_ci_u32_e32 v54, vcc_lo, v12, v54, vcc_lo
	s_clause 0x3
	global_store_b16 v[49:50], v20, off
	global_store_b16 v[47:48], v40, off
	;; [unrolled: 1-line block ×4, first 2 shown]
	v_lshlrev_b64 v[47:48], 1, v[45:46]
	v_sub_nc_u32_e32 v45, v27, v3
	v_add_co_u32 v49, vcc_lo, v6, v55
	v_add_co_ci_u32_e32 v50, vcc_lo, v12, v56, vcc_lo
	s_delay_alu instid0(VALU_DEP_3) | instskip(SKIP_3) | instid1(VALU_DEP_3)
	v_lshlrev_b64 v[51:52], 1, v[45:46]
	v_sub_nc_u32_e32 v45, v25, v3
	v_add_co_u32 v47, vcc_lo, v6, v47
	v_add_co_ci_u32_e32 v48, vcc_lo, v12, v48, vcc_lo
	v_lshlrev_b64 v[45:46], 1, v[45:46]
	v_add_co_u32 v51, vcc_lo, v6, v51
	v_add_co_ci_u32_e32 v52, vcc_lo, v12, v52, vcc_lo
	s_clause 0x2
	global_store_b16 v[49:50], v30, off
	global_store_b16 v[47:48], v24, off
	;; [unrolled: 1-line block ×3, first 2 shown]
	v_add_co_u32 v45, vcc_lo, v6, v45
	v_add_co_ci_u32_e32 v46, vcc_lo, v12, v46, vcc_lo
	global_store_b16 v[45:46], v26, off
	s_or_b32 exec_lo, exec_lo, s15
	s_delay_alu instid0(SALU_CYCLE_1)
	s_and_b32 exec_lo, exec_lo, s17
	s_cbranch_execnz .LBB419_167
	s_branch .LBB419_168
.LBB419_244:
	s_and_saveexec_b32 s17, s14
	s_cbranch_execnz .LBB419_300
; %bb.245:
	s_or_b32 exec_lo, exec_lo, s17
	s_and_saveexec_b32 s14, s13
	s_cbranch_execnz .LBB419_301
.LBB419_246:
	s_or_b32 exec_lo, exec_lo, s14
	s_and_saveexec_b32 s13, s12
	s_cbranch_execnz .LBB419_302
.LBB419_247:
	s_or_b32 exec_lo, exec_lo, s13
	s_and_saveexec_b32 s12, s11
	s_cbranch_execnz .LBB419_303
.LBB419_248:
	s_or_b32 exec_lo, exec_lo, s12
	s_and_saveexec_b32 s11, s10
	s_cbranch_execnz .LBB419_304
.LBB419_249:
	s_or_b32 exec_lo, exec_lo, s11
	s_and_saveexec_b32 s10, s9
	s_cbranch_execnz .LBB419_305
.LBB419_250:
	s_or_b32 exec_lo, exec_lo, s10
	s_and_saveexec_b32 s9, s8
	s_cbranch_execnz .LBB419_306
.LBB419_251:
	s_or_b32 exec_lo, exec_lo, s9
	s_and_saveexec_b32 s8, s7
	s_cbranch_execnz .LBB419_307
.LBB419_252:
	s_or_b32 exec_lo, exec_lo, s8
	s_and_saveexec_b32 s7, s6
	s_cbranch_execnz .LBB419_308
.LBB419_253:
	s_or_b32 exec_lo, exec_lo, s7
	s_and_saveexec_b32 s6, s5
	s_cbranch_execnz .LBB419_309
.LBB419_254:
	s_or_b32 exec_lo, exec_lo, s6
	s_and_saveexec_b32 s5, s4
	s_cbranch_execnz .LBB419_310
.LBB419_255:
	s_or_b32 exec_lo, exec_lo, s5
	s_and_saveexec_b32 s4, s3
	s_cbranch_execnz .LBB419_311
.LBB419_256:
	s_or_b32 exec_lo, exec_lo, s4
	s_and_saveexec_b32 s3, s2
	s_cbranch_execnz .LBB419_312
.LBB419_257:
	s_or_b32 exec_lo, exec_lo, s3
	s_and_saveexec_b32 s2, s1
	s_cbranch_execz .LBB419_259
.LBB419_258:
	v_sub_nc_u32_e32 v8, v25, v3
	s_delay_alu instid0(VALU_DEP_1)
	v_lshlrev_b32_e32 v8, 1, v8
	ds_store_b16 v8, v26
.LBB419_259:
	s_or_b32 exec_lo, exec_lo, s2
	s_delay_alu instid0(SALU_CYCLE_1)
	s_and_b32 s17, s0, exec_lo
                                        ; implicit-def: $vgpr41_vgpr42
                                        ; implicit-def: $vgpr35_vgpr36
                                        ; implicit-def: $vgpr37_vgpr38
                                        ; implicit-def: $vgpr33_vgpr34
                                        ; implicit-def: $vgpr21_vgpr22
                                        ; implicit-def: $vgpr17_vgpr18
                                        ; implicit-def: $vgpr19_vgpr20
                                        ; implicit-def: $vgpr39_vgpr40
                                        ; implicit-def: $vgpr43_vgpr44
                                        ; implicit-def: $vgpr31_vgpr32
                                        ; implicit-def: $vgpr29_vgpr30
                                        ; implicit-def: $vgpr23_vgpr24
                                        ; implicit-def: $vgpr27_vgpr28
                                        ; implicit-def: $vgpr25_vgpr26
	s_and_not1_saveexec_b32 s0, s16
	s_cbranch_execz .LBB419_172
.LBB419_260:
	v_sub_nc_u32_e32 v8, v41, v3
	v_sub_nc_u32_e32 v9, v35, v3
	;; [unrolled: 1-line block ×4, first 2 shown]
	s_or_b32 s17, s17, exec_lo
	v_lshlrev_b32_e32 v8, 1, v8
	v_lshlrev_b32_e32 v9, 1, v9
	;; [unrolled: 1-line block ×4, first 2 shown]
	ds_store_b16 v8, v42
	ds_store_b16 v9, v36
	;; [unrolled: 1-line block ×3, first 2 shown]
	v_sub_nc_u32_e32 v8, v21, v3
	v_sub_nc_u32_e32 v9, v17, v3
	;; [unrolled: 1-line block ×5, first 2 shown]
	v_lshlrev_b32_e32 v8, 1, v8
	v_lshlrev_b32_e32 v9, 1, v9
	;; [unrolled: 1-line block ×4, first 2 shown]
	ds_store_b16 v33, v34
	ds_store_b16 v8, v22
	v_lshlrev_b32_e32 v8, 1, v21
	ds_store_b16 v9, v18
	ds_store_b16 v17, v20
	;; [unrolled: 1-line block ×3, first 2 shown]
	v_sub_nc_u32_e32 v9, v31, v3
	v_sub_nc_u32_e32 v19, v25, v3
	;; [unrolled: 1-line block ×3, first 2 shown]
	ds_store_b16 v8, v44
	v_sub_nc_u32_e32 v8, v29, v3
	v_lshlrev_b32_e32 v9, 1, v9
	v_sub_nc_u32_e32 v18, v27, v3
	v_lshlrev_b32_e32 v17, 1, v17
	s_delay_alu instid0(VALU_DEP_4)
	v_lshlrev_b32_e32 v8, 1, v8
	ds_store_b16 v9, v32
	v_lshlrev_b32_e32 v9, 1, v19
	v_lshlrev_b32_e32 v18, 1, v18
	ds_store_b16 v8, v30
	ds_store_b16 v17, v24
	;; [unrolled: 1-line block ×4, first 2 shown]
	s_or_b32 exec_lo, exec_lo, s0
	s_delay_alu instid0(SALU_CYCLE_1)
	s_and_b32 exec_lo, exec_lo, s17
	s_cbranch_execnz .LBB419_173
	s_branch .LBB419_174
.LBB419_261:
	v_sub_nc_u32_e32 v66, v41, v7
	v_mov_b32_e32 v67, 0
	s_delay_alu instid0(VALU_DEP_1) | instskip(NEXT) | instid1(VALU_DEP_1)
	v_lshlrev_b64 v[66:67], 1, v[66:67]
	v_add_co_u32 v66, vcc_lo, v6, v66
	s_delay_alu instid0(VALU_DEP_2)
	v_add_co_ci_u32_e32 v67, vcc_lo, v64, v67, vcc_lo
	global_store_b16 v[66:67], v51, off
	s_or_b32 exec_lo, exec_lo, s17
	s_and_saveexec_b32 s17, s13
	s_cbranch_execz .LBB419_195
.LBB419_262:
	v_sub_nc_u32_e32 v66, v35, v7
	v_mov_b32_e32 v67, 0
	s_delay_alu instid0(VALU_DEP_1) | instskip(NEXT) | instid1(VALU_DEP_1)
	v_lshlrev_b64 v[66:67], 1, v[66:67]
	v_add_co_u32 v66, vcc_lo, v6, v66
	s_delay_alu instid0(VALU_DEP_2)
	v_add_co_ci_u32_e32 v67, vcc_lo, v64, v67, vcc_lo
	global_store_b16 v[66:67], v1, off
	s_or_b32 exec_lo, exec_lo, s17
	s_and_saveexec_b32 s17, s12
	s_cbranch_execz .LBB419_196
.LBB419_263:
	v_sub_nc_u32_e32 v66, v37, v7
	v_mov_b32_e32 v67, 0
	s_delay_alu instid0(VALU_DEP_1) | instskip(NEXT) | instid1(VALU_DEP_1)
	v_lshlrev_b64 v[66:67], 1, v[66:67]
	v_add_co_u32 v66, vcc_lo, v6, v66
	s_delay_alu instid0(VALU_DEP_2)
	v_add_co_ci_u32_e32 v67, vcc_lo, v64, v67, vcc_lo
	global_store_d16_hi_b16 v[66:67], v1, off
	s_or_b32 exec_lo, exec_lo, s17
	s_and_saveexec_b32 s17, s11
	s_cbranch_execz .LBB419_197
.LBB419_264:
	v_sub_nc_u32_e32 v66, v33, v7
	v_mov_b32_e32 v67, 0
	s_delay_alu instid0(VALU_DEP_1) | instskip(NEXT) | instid1(VALU_DEP_1)
	v_lshlrev_b64 v[66:67], 1, v[66:67]
	v_add_co_u32 v66, vcc_lo, v6, v66
	s_delay_alu instid0(VALU_DEP_2)
	v_add_co_ci_u32_e32 v67, vcc_lo, v64, v67, vcc_lo
	global_store_b16 v[66:67], v2, off
	s_or_b32 exec_lo, exec_lo, s17
	s_and_saveexec_b32 s17, s10
	s_cbranch_execz .LBB419_198
.LBB419_265:
	v_sub_nc_u32_e32 v66, v21, v7
	v_mov_b32_e32 v67, 0
	s_delay_alu instid0(VALU_DEP_1) | instskip(NEXT) | instid1(VALU_DEP_1)
	v_lshlrev_b64 v[66:67], 1, v[66:67]
	v_add_co_u32 v66, vcc_lo, v6, v66
	s_delay_alu instid0(VALU_DEP_2)
	v_add_co_ci_u32_e32 v67, vcc_lo, v64, v67, vcc_lo
	global_store_d16_hi_b16 v[66:67], v2, off
	s_or_b32 exec_lo, exec_lo, s17
	s_and_saveexec_b32 s17, s9
	s_cbranch_execz .LBB419_199
.LBB419_266:
	v_sub_nc_u32_e32 v66, v17, v7
	v_mov_b32_e32 v67, 0
	s_delay_alu instid0(VALU_DEP_1) | instskip(NEXT) | instid1(VALU_DEP_1)
	v_lshlrev_b64 v[66:67], 1, v[66:67]
	v_add_co_u32 v66, vcc_lo, v6, v66
	s_delay_alu instid0(VALU_DEP_2)
	v_add_co_ci_u32_e32 v67, vcc_lo, v64, v67, vcc_lo
	global_store_b16 v[66:67], v3, off
	s_or_b32 exec_lo, exec_lo, s17
	s_and_saveexec_b32 s17, s7
	s_cbranch_execz .LBB419_200
.LBB419_267:
	v_sub_nc_u32_e32 v66, v19, v7
	v_mov_b32_e32 v67, 0
	s_delay_alu instid0(VALU_DEP_1) | instskip(NEXT) | instid1(VALU_DEP_1)
	v_lshlrev_b64 v[66:67], 1, v[66:67]
	v_add_co_u32 v66, vcc_lo, v6, v66
	s_delay_alu instid0(VALU_DEP_2)
	v_add_co_ci_u32_e32 v67, vcc_lo, v64, v67, vcc_lo
	global_store_d16_hi_b16 v[66:67], v3, off
	s_or_b32 exec_lo, exec_lo, s17
	s_and_saveexec_b32 s17, s5
	s_cbranch_execz .LBB419_201
.LBB419_268:
	v_sub_nc_u32_e32 v66, v39, v7
	v_mov_b32_e32 v67, 0
	s_delay_alu instid0(VALU_DEP_1) | instskip(NEXT) | instid1(VALU_DEP_1)
	v_lshlrev_b64 v[66:67], 1, v[66:67]
	v_add_co_u32 v66, vcc_lo, v6, v66
	s_delay_alu instid0(VALU_DEP_2)
	v_add_co_ci_u32_e32 v67, vcc_lo, v64, v67, vcc_lo
	global_store_b16 v[66:67], v4, off
	s_or_b32 exec_lo, exec_lo, s17
	s_and_saveexec_b32 s17, s8
	s_cbranch_execz .LBB419_202
.LBB419_269:
	v_sub_nc_u32_e32 v66, v43, v7
	v_mov_b32_e32 v67, 0
	s_delay_alu instid0(VALU_DEP_1) | instskip(NEXT) | instid1(VALU_DEP_1)
	v_lshlrev_b64 v[66:67], 1, v[66:67]
	v_add_co_u32 v66, vcc_lo, v6, v66
	s_delay_alu instid0(VALU_DEP_2)
	v_add_co_ci_u32_e32 v67, vcc_lo, v64, v67, vcc_lo
	global_store_d16_hi_b16 v[66:67], v4, off
	s_or_b32 exec_lo, exec_lo, s17
	s_and_saveexec_b32 s17, s6
	s_cbranch_execz .LBB419_203
.LBB419_270:
	v_sub_nc_u32_e32 v66, v31, v7
	v_mov_b32_e32 v67, 0
	s_delay_alu instid0(VALU_DEP_1) | instskip(NEXT) | instid1(VALU_DEP_1)
	v_lshlrev_b64 v[66:67], 1, v[66:67]
	v_add_co_u32 v66, vcc_lo, v6, v66
	s_delay_alu instid0(VALU_DEP_2)
	v_add_co_ci_u32_e32 v67, vcc_lo, v64, v67, vcc_lo
	global_store_b16 v[66:67], v10, off
	s_or_b32 exec_lo, exec_lo, s17
	s_and_saveexec_b32 s17, s4
	s_cbranch_execz .LBB419_204
.LBB419_271:
	v_sub_nc_u32_e32 v66, v29, v7
	v_mov_b32_e32 v67, 0
	s_delay_alu instid0(VALU_DEP_1) | instskip(NEXT) | instid1(VALU_DEP_1)
	v_lshlrev_b64 v[66:67], 1, v[66:67]
	v_add_co_u32 v66, vcc_lo, v6, v66
	s_delay_alu instid0(VALU_DEP_2)
	v_add_co_ci_u32_e32 v67, vcc_lo, v64, v67, vcc_lo
	global_store_d16_hi_b16 v[66:67], v10, off
	s_or_b32 exec_lo, exec_lo, s17
	s_and_saveexec_b32 s17, s3
	s_cbranch_execz .LBB419_205
.LBB419_272:
	v_sub_nc_u32_e32 v66, v23, v7
	v_mov_b32_e32 v67, 0
	s_delay_alu instid0(VALU_DEP_1) | instskip(NEXT) | instid1(VALU_DEP_1)
	v_lshlrev_b64 v[66:67], 1, v[66:67]
	v_add_co_u32 v66, vcc_lo, v6, v66
	s_delay_alu instid0(VALU_DEP_2)
	v_add_co_ci_u32_e32 v67, vcc_lo, v64, v67, vcc_lo
	global_store_b16 v[66:67], v11, off
	s_or_b32 exec_lo, exec_lo, s17
	s_and_saveexec_b32 s17, s2
	s_cbranch_execz .LBB419_206
.LBB419_273:
	v_sub_nc_u32_e32 v66, v27, v7
	v_mov_b32_e32 v67, 0
	s_delay_alu instid0(VALU_DEP_1) | instskip(NEXT) | instid1(VALU_DEP_1)
	v_lshlrev_b64 v[66:67], 1, v[66:67]
	v_add_co_u32 v66, vcc_lo, v6, v66
	s_delay_alu instid0(VALU_DEP_2)
	v_add_co_ci_u32_e32 v67, vcc_lo, v64, v67, vcc_lo
	global_store_d16_hi_b16 v[66:67], v11, off
	s_or_b32 exec_lo, exec_lo, s17
	s_and_saveexec_b32 s17, s1
	s_cbranch_execnz .LBB419_207
	s_branch .LBB419_208
.LBB419_274:
	v_sub_nc_u32_e32 v65, v41, v7
	s_delay_alu instid0(VALU_DEP_1)
	v_lshlrev_b32_e32 v65, 1, v65
	ds_store_b16 v65, v51
	s_or_b32 exec_lo, exec_lo, s17
	s_and_saveexec_b32 s14, s13
	s_cbranch_execz .LBB419_212
.LBB419_275:
	v_sub_nc_u32_e32 v51, v35, v7
	s_delay_alu instid0(VALU_DEP_1)
	v_lshlrev_b32_e32 v51, 1, v51
	ds_store_b16 v51, v1
	s_or_b32 exec_lo, exec_lo, s14
	s_and_saveexec_b32 s13, s12
	s_cbranch_execz .LBB419_213
.LBB419_276:
	v_sub_nc_u32_e32 v51, v37, v7
	s_delay_alu instid0(VALU_DEP_1)
	v_lshlrev_b32_e32 v51, 1, v51
	ds_store_b16_d16_hi v51, v1
	s_or_b32 exec_lo, exec_lo, s13
	s_and_saveexec_b32 s12, s11
	s_cbranch_execz .LBB419_214
.LBB419_277:
	v_sub_nc_u32_e32 v1, v33, v7
	s_delay_alu instid0(VALU_DEP_1)
	v_lshlrev_b32_e32 v1, 1, v1
	ds_store_b16 v1, v2
	s_or_b32 exec_lo, exec_lo, s12
	s_and_saveexec_b32 s11, s10
	s_cbranch_execz .LBB419_215
.LBB419_278:
	v_sub_nc_u32_e32 v1, v21, v7
	s_delay_alu instid0(VALU_DEP_1)
	v_lshlrev_b32_e32 v1, 1, v1
	ds_store_b16_d16_hi v1, v2
	s_or_b32 exec_lo, exec_lo, s11
	s_and_saveexec_b32 s10, s9
	s_cbranch_execz .LBB419_216
.LBB419_279:
	v_sub_nc_u32_e32 v1, v17, v7
	s_delay_alu instid0(VALU_DEP_1)
	v_lshlrev_b32_e32 v1, 1, v1
	ds_store_b16 v1, v3
	s_or_b32 exec_lo, exec_lo, s10
	s_and_saveexec_b32 s9, s7
	s_cbranch_execz .LBB419_217
.LBB419_280:
	v_sub_nc_u32_e32 v1, v19, v7
	s_delay_alu instid0(VALU_DEP_1)
	v_lshlrev_b32_e32 v1, 1, v1
	ds_store_b16_d16_hi v1, v3
	s_or_b32 exec_lo, exec_lo, s9
	s_and_saveexec_b32 s7, s5
	s_cbranch_execz .LBB419_218
.LBB419_281:
	v_sub_nc_u32_e32 v1, v39, v7
	s_delay_alu instid0(VALU_DEP_1)
	v_lshlrev_b32_e32 v1, 1, v1
	ds_store_b16 v1, v4
	s_or_b32 exec_lo, exec_lo, s7
	s_and_saveexec_b32 s5, s8
	s_cbranch_execz .LBB419_219
.LBB419_282:
	v_sub_nc_u32_e32 v1, v43, v7
	s_delay_alu instid0(VALU_DEP_1)
	v_lshlrev_b32_e32 v1, 1, v1
	ds_store_b16_d16_hi v1, v4
	s_or_b32 exec_lo, exec_lo, s5
	s_and_saveexec_b32 s5, s6
	s_cbranch_execz .LBB419_220
.LBB419_283:
	v_sub_nc_u32_e32 v1, v31, v7
	s_delay_alu instid0(VALU_DEP_1)
	v_lshlrev_b32_e32 v1, 1, v1
	ds_store_b16 v1, v10
	s_or_b32 exec_lo, exec_lo, s5
	s_and_saveexec_b32 s5, s4
	s_cbranch_execz .LBB419_221
.LBB419_284:
	v_sub_nc_u32_e32 v1, v29, v7
	s_delay_alu instid0(VALU_DEP_1)
	v_lshlrev_b32_e32 v1, 1, v1
	ds_store_b16_d16_hi v1, v10
	s_or_b32 exec_lo, exec_lo, s5
	s_and_saveexec_b32 s4, s3
	s_cbranch_execz .LBB419_222
.LBB419_285:
	v_sub_nc_u32_e32 v1, v23, v7
	s_delay_alu instid0(VALU_DEP_1)
	v_lshlrev_b32_e32 v1, 1, v1
	ds_store_b16 v1, v11
	s_or_b32 exec_lo, exec_lo, s4
	s_and_saveexec_b32 s3, s2
	s_cbranch_execz .LBB419_223
.LBB419_286:
	v_sub_nc_u32_e32 v1, v27, v7
	s_delay_alu instid0(VALU_DEP_1)
	v_lshlrev_b32_e32 v1, 1, v1
	ds_store_b16_d16_hi v1, v11
	s_or_b32 exec_lo, exec_lo, s3
	s_and_saveexec_b32 s2, s1
	s_cbranch_execnz .LBB419_224
	s_branch .LBB419_225
.LBB419_287:
	v_sub_nc_u32_e32 v45, v41, v3
	v_mov_b32_e32 v46, 0
	s_delay_alu instid0(VALU_DEP_1) | instskip(NEXT) | instid1(VALU_DEP_1)
	v_lshlrev_b64 v[45:46], 1, v[45:46]
	v_add_co_u32 v45, vcc_lo, v6, v45
	s_delay_alu instid0(VALU_DEP_2)
	v_add_co_ci_u32_e32 v46, vcc_lo, v12, v46, vcc_lo
	global_store_b16 v[45:46], v42, off
	s_or_b32 exec_lo, exec_lo, s17
	s_and_saveexec_b32 s17, s13
	s_cbranch_execz .LBB419_229
.LBB419_288:
	v_sub_nc_u32_e32 v45, v35, v3
	v_mov_b32_e32 v46, 0
	s_delay_alu instid0(VALU_DEP_1) | instskip(NEXT) | instid1(VALU_DEP_1)
	v_lshlrev_b64 v[45:46], 1, v[45:46]
	v_add_co_u32 v45, vcc_lo, v6, v45
	s_delay_alu instid0(VALU_DEP_2)
	v_add_co_ci_u32_e32 v46, vcc_lo, v12, v46, vcc_lo
	global_store_b16 v[45:46], v36, off
	s_or_b32 exec_lo, exec_lo, s17
	s_and_saveexec_b32 s17, s12
	s_cbranch_execz .LBB419_230
.LBB419_289:
	v_sub_nc_u32_e32 v45, v37, v3
	v_mov_b32_e32 v46, 0
	s_delay_alu instid0(VALU_DEP_1) | instskip(NEXT) | instid1(VALU_DEP_1)
	v_lshlrev_b64 v[45:46], 1, v[45:46]
	v_add_co_u32 v45, vcc_lo, v6, v45
	s_delay_alu instid0(VALU_DEP_2)
	v_add_co_ci_u32_e32 v46, vcc_lo, v12, v46, vcc_lo
	global_store_b16 v[45:46], v38, off
	s_or_b32 exec_lo, exec_lo, s17
	s_and_saveexec_b32 s17, s11
	s_cbranch_execz .LBB419_231
.LBB419_290:
	v_sub_nc_u32_e32 v45, v33, v3
	v_mov_b32_e32 v46, 0
	s_delay_alu instid0(VALU_DEP_1) | instskip(NEXT) | instid1(VALU_DEP_1)
	v_lshlrev_b64 v[45:46], 1, v[45:46]
	v_add_co_u32 v45, vcc_lo, v6, v45
	s_delay_alu instid0(VALU_DEP_2)
	v_add_co_ci_u32_e32 v46, vcc_lo, v12, v46, vcc_lo
	global_store_b16 v[45:46], v34, off
	s_or_b32 exec_lo, exec_lo, s17
	s_and_saveexec_b32 s17, s10
	s_cbranch_execz .LBB419_232
.LBB419_291:
	v_sub_nc_u32_e32 v45, v21, v3
	v_mov_b32_e32 v46, 0
	s_delay_alu instid0(VALU_DEP_1) | instskip(NEXT) | instid1(VALU_DEP_1)
	v_lshlrev_b64 v[45:46], 1, v[45:46]
	v_add_co_u32 v45, vcc_lo, v6, v45
	s_delay_alu instid0(VALU_DEP_2)
	v_add_co_ci_u32_e32 v46, vcc_lo, v12, v46, vcc_lo
	global_store_b16 v[45:46], v22, off
	s_or_b32 exec_lo, exec_lo, s17
	s_and_saveexec_b32 s17, s9
	s_cbranch_execz .LBB419_233
.LBB419_292:
	v_sub_nc_u32_e32 v45, v17, v3
	v_mov_b32_e32 v46, 0
	s_delay_alu instid0(VALU_DEP_1) | instskip(NEXT) | instid1(VALU_DEP_1)
	v_lshlrev_b64 v[45:46], 1, v[45:46]
	v_add_co_u32 v45, vcc_lo, v6, v45
	s_delay_alu instid0(VALU_DEP_2)
	v_add_co_ci_u32_e32 v46, vcc_lo, v12, v46, vcc_lo
	global_store_b16 v[45:46], v18, off
	s_or_b32 exec_lo, exec_lo, s17
	s_and_saveexec_b32 s17, s8
	s_cbranch_execz .LBB419_234
.LBB419_293:
	v_sub_nc_u32_e32 v45, v19, v3
	v_mov_b32_e32 v46, 0
	s_delay_alu instid0(VALU_DEP_1) | instskip(NEXT) | instid1(VALU_DEP_1)
	v_lshlrev_b64 v[45:46], 1, v[45:46]
	v_add_co_u32 v45, vcc_lo, v6, v45
	s_delay_alu instid0(VALU_DEP_2)
	v_add_co_ci_u32_e32 v46, vcc_lo, v12, v46, vcc_lo
	global_store_b16 v[45:46], v20, off
	s_or_b32 exec_lo, exec_lo, s17
	s_and_saveexec_b32 s17, s7
	s_cbranch_execz .LBB419_235
.LBB419_294:
	v_sub_nc_u32_e32 v45, v39, v3
	v_mov_b32_e32 v46, 0
	s_delay_alu instid0(VALU_DEP_1) | instskip(NEXT) | instid1(VALU_DEP_1)
	v_lshlrev_b64 v[45:46], 1, v[45:46]
	v_add_co_u32 v45, vcc_lo, v6, v45
	s_delay_alu instid0(VALU_DEP_2)
	v_add_co_ci_u32_e32 v46, vcc_lo, v12, v46, vcc_lo
	global_store_b16 v[45:46], v40, off
	s_or_b32 exec_lo, exec_lo, s17
	s_and_saveexec_b32 s17, s6
	s_cbranch_execz .LBB419_236
.LBB419_295:
	v_sub_nc_u32_e32 v45, v43, v3
	v_mov_b32_e32 v46, 0
	s_delay_alu instid0(VALU_DEP_1) | instskip(NEXT) | instid1(VALU_DEP_1)
	v_lshlrev_b64 v[45:46], 1, v[45:46]
	v_add_co_u32 v45, vcc_lo, v6, v45
	s_delay_alu instid0(VALU_DEP_2)
	v_add_co_ci_u32_e32 v46, vcc_lo, v12, v46, vcc_lo
	global_store_b16 v[45:46], v44, off
	s_or_b32 exec_lo, exec_lo, s17
	s_and_saveexec_b32 s17, s5
	s_cbranch_execz .LBB419_237
.LBB419_296:
	v_sub_nc_u32_e32 v45, v31, v3
	v_mov_b32_e32 v46, 0
	s_delay_alu instid0(VALU_DEP_1) | instskip(NEXT) | instid1(VALU_DEP_1)
	v_lshlrev_b64 v[45:46], 1, v[45:46]
	v_add_co_u32 v45, vcc_lo, v6, v45
	s_delay_alu instid0(VALU_DEP_2)
	v_add_co_ci_u32_e32 v46, vcc_lo, v12, v46, vcc_lo
	global_store_b16 v[45:46], v32, off
	s_or_b32 exec_lo, exec_lo, s17
	s_and_saveexec_b32 s17, s4
	s_cbranch_execz .LBB419_238
.LBB419_297:
	v_sub_nc_u32_e32 v45, v29, v3
	v_mov_b32_e32 v46, 0
	s_delay_alu instid0(VALU_DEP_1) | instskip(NEXT) | instid1(VALU_DEP_1)
	v_lshlrev_b64 v[45:46], 1, v[45:46]
	v_add_co_u32 v45, vcc_lo, v6, v45
	s_delay_alu instid0(VALU_DEP_2)
	v_add_co_ci_u32_e32 v46, vcc_lo, v12, v46, vcc_lo
	global_store_b16 v[45:46], v30, off
	s_or_b32 exec_lo, exec_lo, s17
	s_and_saveexec_b32 s17, s3
	s_cbranch_execz .LBB419_239
.LBB419_298:
	v_sub_nc_u32_e32 v45, v23, v3
	v_mov_b32_e32 v46, 0
	s_delay_alu instid0(VALU_DEP_1) | instskip(NEXT) | instid1(VALU_DEP_1)
	v_lshlrev_b64 v[45:46], 1, v[45:46]
	v_add_co_u32 v45, vcc_lo, v6, v45
	s_delay_alu instid0(VALU_DEP_2)
	v_add_co_ci_u32_e32 v46, vcc_lo, v12, v46, vcc_lo
	global_store_b16 v[45:46], v24, off
	s_or_b32 exec_lo, exec_lo, s17
	s_and_saveexec_b32 s17, s2
	s_cbranch_execz .LBB419_240
.LBB419_299:
	v_sub_nc_u32_e32 v45, v27, v3
	v_mov_b32_e32 v46, 0
	s_delay_alu instid0(VALU_DEP_1) | instskip(NEXT) | instid1(VALU_DEP_1)
	v_lshlrev_b64 v[45:46], 1, v[45:46]
	v_add_co_u32 v45, vcc_lo, v6, v45
	s_delay_alu instid0(VALU_DEP_2)
	v_add_co_ci_u32_e32 v46, vcc_lo, v12, v46, vcc_lo
	global_store_b16 v[45:46], v28, off
	s_or_b32 exec_lo, exec_lo, s17
	s_and_saveexec_b32 s17, s1
	s_cbranch_execnz .LBB419_241
	s_branch .LBB419_242
.LBB419_300:
	v_sub_nc_u32_e32 v8, v41, v3
	s_delay_alu instid0(VALU_DEP_1)
	v_lshlrev_b32_e32 v8, 1, v8
	ds_store_b16 v8, v42
	s_or_b32 exec_lo, exec_lo, s17
	s_and_saveexec_b32 s14, s13
	s_cbranch_execz .LBB419_246
.LBB419_301:
	v_sub_nc_u32_e32 v8, v35, v3
	s_delay_alu instid0(VALU_DEP_1)
	v_lshlrev_b32_e32 v8, 1, v8
	ds_store_b16 v8, v36
	s_or_b32 exec_lo, exec_lo, s14
	s_and_saveexec_b32 s13, s12
	s_cbranch_execz .LBB419_247
.LBB419_302:
	v_sub_nc_u32_e32 v8, v37, v3
	s_delay_alu instid0(VALU_DEP_1)
	v_lshlrev_b32_e32 v8, 1, v8
	ds_store_b16 v8, v38
	s_or_b32 exec_lo, exec_lo, s13
	s_and_saveexec_b32 s12, s11
	s_cbranch_execz .LBB419_248
.LBB419_303:
	v_sub_nc_u32_e32 v8, v33, v3
	s_delay_alu instid0(VALU_DEP_1)
	v_lshlrev_b32_e32 v8, 1, v8
	ds_store_b16 v8, v34
	s_or_b32 exec_lo, exec_lo, s12
	s_and_saveexec_b32 s11, s10
	s_cbranch_execz .LBB419_249
.LBB419_304:
	v_sub_nc_u32_e32 v8, v21, v3
	s_delay_alu instid0(VALU_DEP_1)
	v_lshlrev_b32_e32 v8, 1, v8
	ds_store_b16 v8, v22
	s_or_b32 exec_lo, exec_lo, s11
	s_and_saveexec_b32 s10, s9
	s_cbranch_execz .LBB419_250
.LBB419_305:
	v_sub_nc_u32_e32 v8, v17, v3
	s_delay_alu instid0(VALU_DEP_1)
	v_lshlrev_b32_e32 v8, 1, v8
	ds_store_b16 v8, v18
	s_or_b32 exec_lo, exec_lo, s10
	s_and_saveexec_b32 s9, s8
	s_cbranch_execz .LBB419_251
.LBB419_306:
	v_sub_nc_u32_e32 v8, v19, v3
	s_delay_alu instid0(VALU_DEP_1)
	v_lshlrev_b32_e32 v8, 1, v8
	ds_store_b16 v8, v20
	s_or_b32 exec_lo, exec_lo, s9
	s_and_saveexec_b32 s8, s7
	s_cbranch_execz .LBB419_252
.LBB419_307:
	v_sub_nc_u32_e32 v8, v39, v3
	s_delay_alu instid0(VALU_DEP_1)
	v_lshlrev_b32_e32 v8, 1, v8
	ds_store_b16 v8, v40
	s_or_b32 exec_lo, exec_lo, s8
	s_and_saveexec_b32 s7, s6
	s_cbranch_execz .LBB419_253
.LBB419_308:
	v_sub_nc_u32_e32 v8, v43, v3
	s_delay_alu instid0(VALU_DEP_1)
	v_lshlrev_b32_e32 v8, 1, v8
	ds_store_b16 v8, v44
	s_or_b32 exec_lo, exec_lo, s7
	s_and_saveexec_b32 s6, s5
	s_cbranch_execz .LBB419_254
.LBB419_309:
	v_sub_nc_u32_e32 v8, v31, v3
	s_delay_alu instid0(VALU_DEP_1)
	v_lshlrev_b32_e32 v8, 1, v8
	ds_store_b16 v8, v32
	s_or_b32 exec_lo, exec_lo, s6
	s_and_saveexec_b32 s5, s4
	s_cbranch_execz .LBB419_255
.LBB419_310:
	v_sub_nc_u32_e32 v8, v29, v3
	s_delay_alu instid0(VALU_DEP_1)
	v_lshlrev_b32_e32 v8, 1, v8
	ds_store_b16 v8, v30
	s_or_b32 exec_lo, exec_lo, s5
	s_and_saveexec_b32 s4, s3
	s_cbranch_execz .LBB419_256
.LBB419_311:
	v_sub_nc_u32_e32 v8, v23, v3
	s_delay_alu instid0(VALU_DEP_1)
	v_lshlrev_b32_e32 v8, 1, v8
	ds_store_b16 v8, v24
	s_or_b32 exec_lo, exec_lo, s4
	s_and_saveexec_b32 s3, s2
	s_cbranch_execz .LBB419_257
.LBB419_312:
	v_sub_nc_u32_e32 v8, v27, v3
	s_delay_alu instid0(VALU_DEP_1)
	v_lshlrev_b32_e32 v8, 1, v8
	ds_store_b16 v8, v28
	s_or_b32 exec_lo, exec_lo, s3
	s_and_saveexec_b32 s2, s1
	s_cbranch_execnz .LBB419_258
	s_branch .LBB419_259
	.section	.rodata,"a",@progbits
	.p2align	6, 0x0
	.amdhsa_kernel _ZN7rocprim17ROCPRIM_400000_NS6detail17trampoline_kernelINS0_14default_configENS1_29reduce_by_key_config_selectorIttN6thrust23THRUST_200600_302600_NS4plusItEEEEZZNS1_33reduce_by_key_impl_wrapped_configILNS1_25lookback_scan_determinismE0ES3_S9_NS6_6detail15normal_iteratorINS6_10device_ptrItEEEESG_SG_SG_PmS8_NS6_8equal_toItEEEE10hipError_tPvRmT2_T3_mT4_T5_T6_T7_T8_P12ihipStream_tbENKUlT_T0_E_clISt17integral_constantIbLb1EES10_IbLb0EEEEDaSW_SX_EUlSW_E_NS1_11comp_targetILNS1_3genE9ELNS1_11target_archE1100ELNS1_3gpuE3ELNS1_3repE0EEENS1_30default_config_static_selectorELNS0_4arch9wavefront6targetE0EEEvT1_
		.amdhsa_group_segment_fixed_size 7680
		.amdhsa_private_segment_fixed_size 0
		.amdhsa_kernarg_size 120
		.amdhsa_user_sgpr_count 15
		.amdhsa_user_sgpr_dispatch_ptr 0
		.amdhsa_user_sgpr_queue_ptr 0
		.amdhsa_user_sgpr_kernarg_segment_ptr 1
		.amdhsa_user_sgpr_dispatch_id 0
		.amdhsa_user_sgpr_private_segment_size 0
		.amdhsa_wavefront_size32 1
		.amdhsa_uses_dynamic_stack 0
		.amdhsa_enable_private_segment 0
		.amdhsa_system_sgpr_workgroup_id_x 1
		.amdhsa_system_sgpr_workgroup_id_y 0
		.amdhsa_system_sgpr_workgroup_id_z 0
		.amdhsa_system_sgpr_workgroup_info 0
		.amdhsa_system_vgpr_workitem_id 0
		.amdhsa_next_free_vgpr 102
		.amdhsa_next_free_sgpr 46
		.amdhsa_reserve_vcc 1
		.amdhsa_float_round_mode_32 0
		.amdhsa_float_round_mode_16_64 0
		.amdhsa_float_denorm_mode_32 3
		.amdhsa_float_denorm_mode_16_64 3
		.amdhsa_dx10_clamp 1
		.amdhsa_ieee_mode 1
		.amdhsa_fp16_overflow 0
		.amdhsa_workgroup_processor_mode 1
		.amdhsa_memory_ordered 1
		.amdhsa_forward_progress 0
		.amdhsa_shared_vgpr_count 0
		.amdhsa_exception_fp_ieee_invalid_op 0
		.amdhsa_exception_fp_denorm_src 0
		.amdhsa_exception_fp_ieee_div_zero 0
		.amdhsa_exception_fp_ieee_overflow 0
		.amdhsa_exception_fp_ieee_underflow 0
		.amdhsa_exception_fp_ieee_inexact 0
		.amdhsa_exception_int_div_zero 0
	.end_amdhsa_kernel
	.section	.text._ZN7rocprim17ROCPRIM_400000_NS6detail17trampoline_kernelINS0_14default_configENS1_29reduce_by_key_config_selectorIttN6thrust23THRUST_200600_302600_NS4plusItEEEEZZNS1_33reduce_by_key_impl_wrapped_configILNS1_25lookback_scan_determinismE0ES3_S9_NS6_6detail15normal_iteratorINS6_10device_ptrItEEEESG_SG_SG_PmS8_NS6_8equal_toItEEEE10hipError_tPvRmT2_T3_mT4_T5_T6_T7_T8_P12ihipStream_tbENKUlT_T0_E_clISt17integral_constantIbLb1EES10_IbLb0EEEEDaSW_SX_EUlSW_E_NS1_11comp_targetILNS1_3genE9ELNS1_11target_archE1100ELNS1_3gpuE3ELNS1_3repE0EEENS1_30default_config_static_selectorELNS0_4arch9wavefront6targetE0EEEvT1_,"axG",@progbits,_ZN7rocprim17ROCPRIM_400000_NS6detail17trampoline_kernelINS0_14default_configENS1_29reduce_by_key_config_selectorIttN6thrust23THRUST_200600_302600_NS4plusItEEEEZZNS1_33reduce_by_key_impl_wrapped_configILNS1_25lookback_scan_determinismE0ES3_S9_NS6_6detail15normal_iteratorINS6_10device_ptrItEEEESG_SG_SG_PmS8_NS6_8equal_toItEEEE10hipError_tPvRmT2_T3_mT4_T5_T6_T7_T8_P12ihipStream_tbENKUlT_T0_E_clISt17integral_constantIbLb1EES10_IbLb0EEEEDaSW_SX_EUlSW_E_NS1_11comp_targetILNS1_3genE9ELNS1_11target_archE1100ELNS1_3gpuE3ELNS1_3repE0EEENS1_30default_config_static_selectorELNS0_4arch9wavefront6targetE0EEEvT1_,comdat
.Lfunc_end419:
	.size	_ZN7rocprim17ROCPRIM_400000_NS6detail17trampoline_kernelINS0_14default_configENS1_29reduce_by_key_config_selectorIttN6thrust23THRUST_200600_302600_NS4plusItEEEEZZNS1_33reduce_by_key_impl_wrapped_configILNS1_25lookback_scan_determinismE0ES3_S9_NS6_6detail15normal_iteratorINS6_10device_ptrItEEEESG_SG_SG_PmS8_NS6_8equal_toItEEEE10hipError_tPvRmT2_T3_mT4_T5_T6_T7_T8_P12ihipStream_tbENKUlT_T0_E_clISt17integral_constantIbLb1EES10_IbLb0EEEEDaSW_SX_EUlSW_E_NS1_11comp_targetILNS1_3genE9ELNS1_11target_archE1100ELNS1_3gpuE3ELNS1_3repE0EEENS1_30default_config_static_selectorELNS0_4arch9wavefront6targetE0EEEvT1_, .Lfunc_end419-_ZN7rocprim17ROCPRIM_400000_NS6detail17trampoline_kernelINS0_14default_configENS1_29reduce_by_key_config_selectorIttN6thrust23THRUST_200600_302600_NS4plusItEEEEZZNS1_33reduce_by_key_impl_wrapped_configILNS1_25lookback_scan_determinismE0ES3_S9_NS6_6detail15normal_iteratorINS6_10device_ptrItEEEESG_SG_SG_PmS8_NS6_8equal_toItEEEE10hipError_tPvRmT2_T3_mT4_T5_T6_T7_T8_P12ihipStream_tbENKUlT_T0_E_clISt17integral_constantIbLb1EES10_IbLb0EEEEDaSW_SX_EUlSW_E_NS1_11comp_targetILNS1_3genE9ELNS1_11target_archE1100ELNS1_3gpuE3ELNS1_3repE0EEENS1_30default_config_static_selectorELNS0_4arch9wavefront6targetE0EEEvT1_
                                        ; -- End function
	.section	.AMDGPU.csdata,"",@progbits
; Kernel info:
; codeLenInByte = 21292
; NumSgprs: 48
; NumVgprs: 102
; ScratchSize: 0
; MemoryBound: 0
; FloatMode: 240
; IeeeMode: 1
; LDSByteSize: 7680 bytes/workgroup (compile time only)
; SGPRBlocks: 5
; VGPRBlocks: 12
; NumSGPRsForWavesPerEU: 48
; NumVGPRsForWavesPerEU: 102
; Occupancy: 12
; WaveLimiterHint : 1
; COMPUTE_PGM_RSRC2:SCRATCH_EN: 0
; COMPUTE_PGM_RSRC2:USER_SGPR: 15
; COMPUTE_PGM_RSRC2:TRAP_HANDLER: 0
; COMPUTE_PGM_RSRC2:TGID_X_EN: 1
; COMPUTE_PGM_RSRC2:TGID_Y_EN: 0
; COMPUTE_PGM_RSRC2:TGID_Z_EN: 0
; COMPUTE_PGM_RSRC2:TIDIG_COMP_CNT: 0
	.section	.text._ZN7rocprim17ROCPRIM_400000_NS6detail17trampoline_kernelINS0_14default_configENS1_29reduce_by_key_config_selectorIttN6thrust23THRUST_200600_302600_NS4plusItEEEEZZNS1_33reduce_by_key_impl_wrapped_configILNS1_25lookback_scan_determinismE0ES3_S9_NS6_6detail15normal_iteratorINS6_10device_ptrItEEEESG_SG_SG_PmS8_NS6_8equal_toItEEEE10hipError_tPvRmT2_T3_mT4_T5_T6_T7_T8_P12ihipStream_tbENKUlT_T0_E_clISt17integral_constantIbLb1EES10_IbLb0EEEEDaSW_SX_EUlSW_E_NS1_11comp_targetILNS1_3genE8ELNS1_11target_archE1030ELNS1_3gpuE2ELNS1_3repE0EEENS1_30default_config_static_selectorELNS0_4arch9wavefront6targetE0EEEvT1_,"axG",@progbits,_ZN7rocprim17ROCPRIM_400000_NS6detail17trampoline_kernelINS0_14default_configENS1_29reduce_by_key_config_selectorIttN6thrust23THRUST_200600_302600_NS4plusItEEEEZZNS1_33reduce_by_key_impl_wrapped_configILNS1_25lookback_scan_determinismE0ES3_S9_NS6_6detail15normal_iteratorINS6_10device_ptrItEEEESG_SG_SG_PmS8_NS6_8equal_toItEEEE10hipError_tPvRmT2_T3_mT4_T5_T6_T7_T8_P12ihipStream_tbENKUlT_T0_E_clISt17integral_constantIbLb1EES10_IbLb0EEEEDaSW_SX_EUlSW_E_NS1_11comp_targetILNS1_3genE8ELNS1_11target_archE1030ELNS1_3gpuE2ELNS1_3repE0EEENS1_30default_config_static_selectorELNS0_4arch9wavefront6targetE0EEEvT1_,comdat
	.protected	_ZN7rocprim17ROCPRIM_400000_NS6detail17trampoline_kernelINS0_14default_configENS1_29reduce_by_key_config_selectorIttN6thrust23THRUST_200600_302600_NS4plusItEEEEZZNS1_33reduce_by_key_impl_wrapped_configILNS1_25lookback_scan_determinismE0ES3_S9_NS6_6detail15normal_iteratorINS6_10device_ptrItEEEESG_SG_SG_PmS8_NS6_8equal_toItEEEE10hipError_tPvRmT2_T3_mT4_T5_T6_T7_T8_P12ihipStream_tbENKUlT_T0_E_clISt17integral_constantIbLb1EES10_IbLb0EEEEDaSW_SX_EUlSW_E_NS1_11comp_targetILNS1_3genE8ELNS1_11target_archE1030ELNS1_3gpuE2ELNS1_3repE0EEENS1_30default_config_static_selectorELNS0_4arch9wavefront6targetE0EEEvT1_ ; -- Begin function _ZN7rocprim17ROCPRIM_400000_NS6detail17trampoline_kernelINS0_14default_configENS1_29reduce_by_key_config_selectorIttN6thrust23THRUST_200600_302600_NS4plusItEEEEZZNS1_33reduce_by_key_impl_wrapped_configILNS1_25lookback_scan_determinismE0ES3_S9_NS6_6detail15normal_iteratorINS6_10device_ptrItEEEESG_SG_SG_PmS8_NS6_8equal_toItEEEE10hipError_tPvRmT2_T3_mT4_T5_T6_T7_T8_P12ihipStream_tbENKUlT_T0_E_clISt17integral_constantIbLb1EES10_IbLb0EEEEDaSW_SX_EUlSW_E_NS1_11comp_targetILNS1_3genE8ELNS1_11target_archE1030ELNS1_3gpuE2ELNS1_3repE0EEENS1_30default_config_static_selectorELNS0_4arch9wavefront6targetE0EEEvT1_
	.globl	_ZN7rocprim17ROCPRIM_400000_NS6detail17trampoline_kernelINS0_14default_configENS1_29reduce_by_key_config_selectorIttN6thrust23THRUST_200600_302600_NS4plusItEEEEZZNS1_33reduce_by_key_impl_wrapped_configILNS1_25lookback_scan_determinismE0ES3_S9_NS6_6detail15normal_iteratorINS6_10device_ptrItEEEESG_SG_SG_PmS8_NS6_8equal_toItEEEE10hipError_tPvRmT2_T3_mT4_T5_T6_T7_T8_P12ihipStream_tbENKUlT_T0_E_clISt17integral_constantIbLb1EES10_IbLb0EEEEDaSW_SX_EUlSW_E_NS1_11comp_targetILNS1_3genE8ELNS1_11target_archE1030ELNS1_3gpuE2ELNS1_3repE0EEENS1_30default_config_static_selectorELNS0_4arch9wavefront6targetE0EEEvT1_
	.p2align	8
	.type	_ZN7rocprim17ROCPRIM_400000_NS6detail17trampoline_kernelINS0_14default_configENS1_29reduce_by_key_config_selectorIttN6thrust23THRUST_200600_302600_NS4plusItEEEEZZNS1_33reduce_by_key_impl_wrapped_configILNS1_25lookback_scan_determinismE0ES3_S9_NS6_6detail15normal_iteratorINS6_10device_ptrItEEEESG_SG_SG_PmS8_NS6_8equal_toItEEEE10hipError_tPvRmT2_T3_mT4_T5_T6_T7_T8_P12ihipStream_tbENKUlT_T0_E_clISt17integral_constantIbLb1EES10_IbLb0EEEEDaSW_SX_EUlSW_E_NS1_11comp_targetILNS1_3genE8ELNS1_11target_archE1030ELNS1_3gpuE2ELNS1_3repE0EEENS1_30default_config_static_selectorELNS0_4arch9wavefront6targetE0EEEvT1_,@function
_ZN7rocprim17ROCPRIM_400000_NS6detail17trampoline_kernelINS0_14default_configENS1_29reduce_by_key_config_selectorIttN6thrust23THRUST_200600_302600_NS4plusItEEEEZZNS1_33reduce_by_key_impl_wrapped_configILNS1_25lookback_scan_determinismE0ES3_S9_NS6_6detail15normal_iteratorINS6_10device_ptrItEEEESG_SG_SG_PmS8_NS6_8equal_toItEEEE10hipError_tPvRmT2_T3_mT4_T5_T6_T7_T8_P12ihipStream_tbENKUlT_T0_E_clISt17integral_constantIbLb1EES10_IbLb0EEEEDaSW_SX_EUlSW_E_NS1_11comp_targetILNS1_3genE8ELNS1_11target_archE1030ELNS1_3gpuE2ELNS1_3repE0EEENS1_30default_config_static_selectorELNS0_4arch9wavefront6targetE0EEEvT1_: ; @_ZN7rocprim17ROCPRIM_400000_NS6detail17trampoline_kernelINS0_14default_configENS1_29reduce_by_key_config_selectorIttN6thrust23THRUST_200600_302600_NS4plusItEEEEZZNS1_33reduce_by_key_impl_wrapped_configILNS1_25lookback_scan_determinismE0ES3_S9_NS6_6detail15normal_iteratorINS6_10device_ptrItEEEESG_SG_SG_PmS8_NS6_8equal_toItEEEE10hipError_tPvRmT2_T3_mT4_T5_T6_T7_T8_P12ihipStream_tbENKUlT_T0_E_clISt17integral_constantIbLb1EES10_IbLb0EEEEDaSW_SX_EUlSW_E_NS1_11comp_targetILNS1_3genE8ELNS1_11target_archE1030ELNS1_3gpuE2ELNS1_3repE0EEENS1_30default_config_static_selectorELNS0_4arch9wavefront6targetE0EEEvT1_
; %bb.0:
	.section	.rodata,"a",@progbits
	.p2align	6, 0x0
	.amdhsa_kernel _ZN7rocprim17ROCPRIM_400000_NS6detail17trampoline_kernelINS0_14default_configENS1_29reduce_by_key_config_selectorIttN6thrust23THRUST_200600_302600_NS4plusItEEEEZZNS1_33reduce_by_key_impl_wrapped_configILNS1_25lookback_scan_determinismE0ES3_S9_NS6_6detail15normal_iteratorINS6_10device_ptrItEEEESG_SG_SG_PmS8_NS6_8equal_toItEEEE10hipError_tPvRmT2_T3_mT4_T5_T6_T7_T8_P12ihipStream_tbENKUlT_T0_E_clISt17integral_constantIbLb1EES10_IbLb0EEEEDaSW_SX_EUlSW_E_NS1_11comp_targetILNS1_3genE8ELNS1_11target_archE1030ELNS1_3gpuE2ELNS1_3repE0EEENS1_30default_config_static_selectorELNS0_4arch9wavefront6targetE0EEEvT1_
		.amdhsa_group_segment_fixed_size 0
		.amdhsa_private_segment_fixed_size 0
		.amdhsa_kernarg_size 120
		.amdhsa_user_sgpr_count 15
		.amdhsa_user_sgpr_dispatch_ptr 0
		.amdhsa_user_sgpr_queue_ptr 0
		.amdhsa_user_sgpr_kernarg_segment_ptr 1
		.amdhsa_user_sgpr_dispatch_id 0
		.amdhsa_user_sgpr_private_segment_size 0
		.amdhsa_wavefront_size32 1
		.amdhsa_uses_dynamic_stack 0
		.amdhsa_enable_private_segment 0
		.amdhsa_system_sgpr_workgroup_id_x 1
		.amdhsa_system_sgpr_workgroup_id_y 0
		.amdhsa_system_sgpr_workgroup_id_z 0
		.amdhsa_system_sgpr_workgroup_info 0
		.amdhsa_system_vgpr_workitem_id 0
		.amdhsa_next_free_vgpr 1
		.amdhsa_next_free_sgpr 1
		.amdhsa_reserve_vcc 0
		.amdhsa_float_round_mode_32 0
		.amdhsa_float_round_mode_16_64 0
		.amdhsa_float_denorm_mode_32 3
		.amdhsa_float_denorm_mode_16_64 3
		.amdhsa_dx10_clamp 1
		.amdhsa_ieee_mode 1
		.amdhsa_fp16_overflow 0
		.amdhsa_workgroup_processor_mode 1
		.amdhsa_memory_ordered 1
		.amdhsa_forward_progress 0
		.amdhsa_shared_vgpr_count 0
		.amdhsa_exception_fp_ieee_invalid_op 0
		.amdhsa_exception_fp_denorm_src 0
		.amdhsa_exception_fp_ieee_div_zero 0
		.amdhsa_exception_fp_ieee_overflow 0
		.amdhsa_exception_fp_ieee_underflow 0
		.amdhsa_exception_fp_ieee_inexact 0
		.amdhsa_exception_int_div_zero 0
	.end_amdhsa_kernel
	.section	.text._ZN7rocprim17ROCPRIM_400000_NS6detail17trampoline_kernelINS0_14default_configENS1_29reduce_by_key_config_selectorIttN6thrust23THRUST_200600_302600_NS4plusItEEEEZZNS1_33reduce_by_key_impl_wrapped_configILNS1_25lookback_scan_determinismE0ES3_S9_NS6_6detail15normal_iteratorINS6_10device_ptrItEEEESG_SG_SG_PmS8_NS6_8equal_toItEEEE10hipError_tPvRmT2_T3_mT4_T5_T6_T7_T8_P12ihipStream_tbENKUlT_T0_E_clISt17integral_constantIbLb1EES10_IbLb0EEEEDaSW_SX_EUlSW_E_NS1_11comp_targetILNS1_3genE8ELNS1_11target_archE1030ELNS1_3gpuE2ELNS1_3repE0EEENS1_30default_config_static_selectorELNS0_4arch9wavefront6targetE0EEEvT1_,"axG",@progbits,_ZN7rocprim17ROCPRIM_400000_NS6detail17trampoline_kernelINS0_14default_configENS1_29reduce_by_key_config_selectorIttN6thrust23THRUST_200600_302600_NS4plusItEEEEZZNS1_33reduce_by_key_impl_wrapped_configILNS1_25lookback_scan_determinismE0ES3_S9_NS6_6detail15normal_iteratorINS6_10device_ptrItEEEESG_SG_SG_PmS8_NS6_8equal_toItEEEE10hipError_tPvRmT2_T3_mT4_T5_T6_T7_T8_P12ihipStream_tbENKUlT_T0_E_clISt17integral_constantIbLb1EES10_IbLb0EEEEDaSW_SX_EUlSW_E_NS1_11comp_targetILNS1_3genE8ELNS1_11target_archE1030ELNS1_3gpuE2ELNS1_3repE0EEENS1_30default_config_static_selectorELNS0_4arch9wavefront6targetE0EEEvT1_,comdat
.Lfunc_end420:
	.size	_ZN7rocprim17ROCPRIM_400000_NS6detail17trampoline_kernelINS0_14default_configENS1_29reduce_by_key_config_selectorIttN6thrust23THRUST_200600_302600_NS4plusItEEEEZZNS1_33reduce_by_key_impl_wrapped_configILNS1_25lookback_scan_determinismE0ES3_S9_NS6_6detail15normal_iteratorINS6_10device_ptrItEEEESG_SG_SG_PmS8_NS6_8equal_toItEEEE10hipError_tPvRmT2_T3_mT4_T5_T6_T7_T8_P12ihipStream_tbENKUlT_T0_E_clISt17integral_constantIbLb1EES10_IbLb0EEEEDaSW_SX_EUlSW_E_NS1_11comp_targetILNS1_3genE8ELNS1_11target_archE1030ELNS1_3gpuE2ELNS1_3repE0EEENS1_30default_config_static_selectorELNS0_4arch9wavefront6targetE0EEEvT1_, .Lfunc_end420-_ZN7rocprim17ROCPRIM_400000_NS6detail17trampoline_kernelINS0_14default_configENS1_29reduce_by_key_config_selectorIttN6thrust23THRUST_200600_302600_NS4plusItEEEEZZNS1_33reduce_by_key_impl_wrapped_configILNS1_25lookback_scan_determinismE0ES3_S9_NS6_6detail15normal_iteratorINS6_10device_ptrItEEEESG_SG_SG_PmS8_NS6_8equal_toItEEEE10hipError_tPvRmT2_T3_mT4_T5_T6_T7_T8_P12ihipStream_tbENKUlT_T0_E_clISt17integral_constantIbLb1EES10_IbLb0EEEEDaSW_SX_EUlSW_E_NS1_11comp_targetILNS1_3genE8ELNS1_11target_archE1030ELNS1_3gpuE2ELNS1_3repE0EEENS1_30default_config_static_selectorELNS0_4arch9wavefront6targetE0EEEvT1_
                                        ; -- End function
	.section	.AMDGPU.csdata,"",@progbits
; Kernel info:
; codeLenInByte = 0
; NumSgprs: 0
; NumVgprs: 0
; ScratchSize: 0
; MemoryBound: 0
; FloatMode: 240
; IeeeMode: 1
; LDSByteSize: 0 bytes/workgroup (compile time only)
; SGPRBlocks: 0
; VGPRBlocks: 0
; NumSGPRsForWavesPerEU: 1
; NumVGPRsForWavesPerEU: 1
; Occupancy: 16
; WaveLimiterHint : 0
; COMPUTE_PGM_RSRC2:SCRATCH_EN: 0
; COMPUTE_PGM_RSRC2:USER_SGPR: 15
; COMPUTE_PGM_RSRC2:TRAP_HANDLER: 0
; COMPUTE_PGM_RSRC2:TGID_X_EN: 1
; COMPUTE_PGM_RSRC2:TGID_Y_EN: 0
; COMPUTE_PGM_RSRC2:TGID_Z_EN: 0
; COMPUTE_PGM_RSRC2:TIDIG_COMP_CNT: 0
	.section	.text._ZN7rocprim17ROCPRIM_400000_NS6detail25reduce_by_key_init_kernelINS1_19lookback_scan_stateINS0_5tupleIJjtEEELb0ELb1EEEtNS1_16block_id_wrapperIjLb1EEEEEvT_jbjPmPT0_T1_,"axG",@progbits,_ZN7rocprim17ROCPRIM_400000_NS6detail25reduce_by_key_init_kernelINS1_19lookback_scan_stateINS0_5tupleIJjtEEELb0ELb1EEEtNS1_16block_id_wrapperIjLb1EEEEEvT_jbjPmPT0_T1_,comdat
	.protected	_ZN7rocprim17ROCPRIM_400000_NS6detail25reduce_by_key_init_kernelINS1_19lookback_scan_stateINS0_5tupleIJjtEEELb0ELb1EEEtNS1_16block_id_wrapperIjLb1EEEEEvT_jbjPmPT0_T1_ ; -- Begin function _ZN7rocprim17ROCPRIM_400000_NS6detail25reduce_by_key_init_kernelINS1_19lookback_scan_stateINS0_5tupleIJjtEEELb0ELb1EEEtNS1_16block_id_wrapperIjLb1EEEEEvT_jbjPmPT0_T1_
	.globl	_ZN7rocprim17ROCPRIM_400000_NS6detail25reduce_by_key_init_kernelINS1_19lookback_scan_stateINS0_5tupleIJjtEEELb0ELb1EEEtNS1_16block_id_wrapperIjLb1EEEEEvT_jbjPmPT0_T1_
	.p2align	8
	.type	_ZN7rocprim17ROCPRIM_400000_NS6detail25reduce_by_key_init_kernelINS1_19lookback_scan_stateINS0_5tupleIJjtEEELb0ELb1EEEtNS1_16block_id_wrapperIjLb1EEEEEvT_jbjPmPT0_T1_,@function
_ZN7rocprim17ROCPRIM_400000_NS6detail25reduce_by_key_init_kernelINS1_19lookback_scan_stateINS0_5tupleIJjtEEELb0ELb1EEEtNS1_16block_id_wrapperIjLb1EEEEEvT_jbjPmPT0_T1_: ; @_ZN7rocprim17ROCPRIM_400000_NS6detail25reduce_by_key_init_kernelINS1_19lookback_scan_stateINS0_5tupleIJjtEEELb0ELb1EEEtNS1_16block_id_wrapperIjLb1EEEEEvT_jbjPmPT0_T1_
; %bb.0:
	s_clause 0x3
	s_load_b32 s14, s[0:1], 0x3c
	s_load_b256 s[4:11], s[0:1], 0x8
	s_load_b64 s[12:13], s[0:1], 0x28
	s_load_b64 s[2:3], s[0:1], 0x0
	s_mov_b32 s1, -1
	s_waitcnt lgkmcnt(0)
	s_and_b32 s0, s14, 0xffff
	s_delay_alu instid0(SALU_CYCLE_1) | instskip(SKIP_1) | instid1(SALU_CYCLE_1)
	v_mad_u64_u32 v[1:2], null, s15, s0, v[0:1]
	s_and_b32 s0, s5, 1
	s_cmp_eq_u32 s0, 0
	s_cbranch_scc0 .LBB421_8
; %bb.1:
	s_cmp_lt_u32 s6, s4
	s_mov_b32 s5, exec_lo
	s_cselect_b32 s0, s6, 0
	s_delay_alu instid0(VALU_DEP_1) | instid1(SALU_CYCLE_1)
	v_cmpx_eq_u32_e64 s0, v1
	s_cbranch_execz .LBB421_7
; %bb.2:
	s_add_i32 s0, s6, 32
	s_mov_b32 s1, 0
	v_mov_b32_e32 v6, 0
	s_lshl_b64 s[6:7], s[0:1], 4
	s_mov_b32 s0, exec_lo
	s_add_u32 s6, s2, s6
	s_addc_u32 s7, s3, s7
	s_delay_alu instid0(SALU_CYCLE_1) | instskip(SKIP_2) | instid1(VALU_DEP_1)
	v_dual_mov_b32 v2, s6 :: v_dual_mov_b32 v3, s7
	;;#ASMSTART
	global_load_dwordx4 v[2:5], v[2:3] off glc	
s_waitcnt vmcnt(0)
	;;#ASMEND
	v_and_b32_e32 v5, 0xff, v4
	v_cmpx_eq_u64_e32 0, v[5:6]
	s_cbranch_execz .LBB421_6
; %bb.3:
	v_dual_mov_b32 v8, s7 :: v_dual_mov_b32 v7, s6
.LBB421_4:                              ; =>This Inner Loop Header: Depth=1
	;;#ASMSTART
	global_load_dwordx4 v[2:5], v[7:8] off glc	
s_waitcnt vmcnt(0)
	;;#ASMEND
	v_and_b32_e32 v5, 0xff, v4
	s_delay_alu instid0(VALU_DEP_1) | instskip(SKIP_1) | instid1(SALU_CYCLE_1)
	v_cmp_ne_u64_e32 vcc_lo, 0, v[5:6]
	s_or_b32 s1, vcc_lo, s1
	s_and_not1_b32 exec_lo, exec_lo, s1
	s_cbranch_execnz .LBB421_4
; %bb.5:
	s_or_b32 exec_lo, exec_lo, s1
.LBB421_6:
	s_delay_alu instid0(SALU_CYCLE_1)
	s_or_b32 exec_lo, exec_lo, s0
	v_mov_b32_e32 v0, 0
	global_load_b64 v[4:5], v0, s[8:9]
	s_waitcnt vmcnt(0)
	v_add_co_u32 v4, vcc_lo, v4, v2
	v_add_co_ci_u32_e32 v5, vcc_lo, 0, v5, vcc_lo
	s_clause 0x1
	global_store_b64 v0, v[4:5], s[8:9]
	global_store_b16 v0, v3, s[10:11]
.LBB421_7:
	s_or_b32 exec_lo, exec_lo, s5
	s_mov_b32 s1, 0
.LBB421_8:
	s_delay_alu instid0(VALU_DEP_1)
	v_cmp_eq_u32_e64 s0, 0, v1
	s_and_not1_b32 vcc_lo, exec_lo, s1
	s_cbranch_vccnz .LBB421_12
; %bb.9:
	s_cmp_lg_u64 s[8:9], 0
	s_cselect_b32 s1, -1, 0
	s_delay_alu instid0(SALU_CYCLE_1) | instskip(NEXT) | instid1(SALU_CYCLE_1)
	s_and_b32 s1, s1, s0
	s_and_saveexec_b32 s0, s1
	s_cbranch_execz .LBB421_11
; %bb.10:
	v_mov_b32_e32 v2, 0
	s_delay_alu instid0(VALU_DEP_1)
	v_mov_b32_e32 v3, v2
	global_store_b64 v2, v[2:3], s[8:9]
.LBB421_11:
	s_or_b32 exec_lo, exec_lo, s0
.LBB421_12:
	s_delay_alu instid0(SALU_CYCLE_1)
	s_mov_b32 s0, exec_lo
	v_cmpx_eq_u32_e32 0, v1
	s_cbranch_execz .LBB421_14
; %bb.13:
	v_mov_b32_e32 v0, 0
	global_store_b32 v0, v0, s[12:13]
.LBB421_14:
	s_or_b32 exec_lo, exec_lo, s0
	s_delay_alu instid0(SALU_CYCLE_1)
	s_mov_b32 s0, exec_lo
	v_cmpx_gt_u32_e64 s4, v1
	s_cbranch_execz .LBB421_16
; %bb.15:
	v_dual_mov_b32 v3, 0 :: v_dual_add_nc_u32 v2, 32, v1
	s_delay_alu instid0(VALU_DEP_1) | instskip(SKIP_2) | instid1(VALU_DEP_3)
	v_lshlrev_b64 v[5:6], 4, v[2:3]
	v_mov_b32_e32 v2, v3
	v_mov_b32_e32 v4, v3
	v_add_co_u32 v7, vcc_lo, s2, v5
	s_delay_alu instid0(VALU_DEP_4)
	v_add_co_ci_u32_e32 v8, vcc_lo, s3, v6, vcc_lo
	v_mov_b32_e32 v5, v3
	global_store_b128 v[7:8], v[2:5], off
.LBB421_16:
	s_or_b32 exec_lo, exec_lo, s0
	s_delay_alu instid0(SALU_CYCLE_1)
	s_mov_b32 s0, exec_lo
	v_cmpx_gt_u32_e32 32, v1
	s_cbranch_execz .LBB421_18
; %bb.17:
	v_dual_mov_b32 v2, 0 :: v_dual_mov_b32 v3, 0xff
	s_delay_alu instid0(VALU_DEP_1) | instskip(SKIP_1) | instid1(VALU_DEP_2)
	v_lshlrev_b64 v[4:5], 4, v[1:2]
	v_mov_b32_e32 v1, v2
	v_add_co_u32 v6, vcc_lo, s2, v4
	s_delay_alu instid0(VALU_DEP_3)
	v_add_co_ci_u32_e32 v7, vcc_lo, s3, v5, vcc_lo
	v_mov_b32_e32 v4, v2
	global_store_b128 v[6:7], v[1:4], off
.LBB421_18:
	s_nop 0
	s_sendmsg sendmsg(MSG_DEALLOC_VGPRS)
	s_endpgm
	.section	.rodata,"a",@progbits
	.p2align	6, 0x0
	.amdhsa_kernel _ZN7rocprim17ROCPRIM_400000_NS6detail25reduce_by_key_init_kernelINS1_19lookback_scan_stateINS0_5tupleIJjtEEELb0ELb1EEEtNS1_16block_id_wrapperIjLb1EEEEEvT_jbjPmPT0_T1_
		.amdhsa_group_segment_fixed_size 0
		.amdhsa_private_segment_fixed_size 0
		.amdhsa_kernarg_size 304
		.amdhsa_user_sgpr_count 15
		.amdhsa_user_sgpr_dispatch_ptr 0
		.amdhsa_user_sgpr_queue_ptr 0
		.amdhsa_user_sgpr_kernarg_segment_ptr 1
		.amdhsa_user_sgpr_dispatch_id 0
		.amdhsa_user_sgpr_private_segment_size 0
		.amdhsa_wavefront_size32 1
		.amdhsa_uses_dynamic_stack 0
		.amdhsa_enable_private_segment 0
		.amdhsa_system_sgpr_workgroup_id_x 1
		.amdhsa_system_sgpr_workgroup_id_y 0
		.amdhsa_system_sgpr_workgroup_id_z 0
		.amdhsa_system_sgpr_workgroup_info 0
		.amdhsa_system_vgpr_workitem_id 0
		.amdhsa_next_free_vgpr 9
		.amdhsa_next_free_sgpr 16
		.amdhsa_reserve_vcc 1
		.amdhsa_float_round_mode_32 0
		.amdhsa_float_round_mode_16_64 0
		.amdhsa_float_denorm_mode_32 3
		.amdhsa_float_denorm_mode_16_64 3
		.amdhsa_dx10_clamp 1
		.amdhsa_ieee_mode 1
		.amdhsa_fp16_overflow 0
		.amdhsa_workgroup_processor_mode 1
		.amdhsa_memory_ordered 1
		.amdhsa_forward_progress 0
		.amdhsa_shared_vgpr_count 0
		.amdhsa_exception_fp_ieee_invalid_op 0
		.amdhsa_exception_fp_denorm_src 0
		.amdhsa_exception_fp_ieee_div_zero 0
		.amdhsa_exception_fp_ieee_overflow 0
		.amdhsa_exception_fp_ieee_underflow 0
		.amdhsa_exception_fp_ieee_inexact 0
		.amdhsa_exception_int_div_zero 0
	.end_amdhsa_kernel
	.section	.text._ZN7rocprim17ROCPRIM_400000_NS6detail25reduce_by_key_init_kernelINS1_19lookback_scan_stateINS0_5tupleIJjtEEELb0ELb1EEEtNS1_16block_id_wrapperIjLb1EEEEEvT_jbjPmPT0_T1_,"axG",@progbits,_ZN7rocprim17ROCPRIM_400000_NS6detail25reduce_by_key_init_kernelINS1_19lookback_scan_stateINS0_5tupleIJjtEEELb0ELb1EEEtNS1_16block_id_wrapperIjLb1EEEEEvT_jbjPmPT0_T1_,comdat
.Lfunc_end421:
	.size	_ZN7rocprim17ROCPRIM_400000_NS6detail25reduce_by_key_init_kernelINS1_19lookback_scan_stateINS0_5tupleIJjtEEELb0ELb1EEEtNS1_16block_id_wrapperIjLb1EEEEEvT_jbjPmPT0_T1_, .Lfunc_end421-_ZN7rocprim17ROCPRIM_400000_NS6detail25reduce_by_key_init_kernelINS1_19lookback_scan_stateINS0_5tupleIJjtEEELb0ELb1EEEtNS1_16block_id_wrapperIjLb1EEEEEvT_jbjPmPT0_T1_
                                        ; -- End function
	.section	.AMDGPU.csdata,"",@progbits
; Kernel info:
; codeLenInByte = 608
; NumSgprs: 18
; NumVgprs: 9
; ScratchSize: 0
; MemoryBound: 0
; FloatMode: 240
; IeeeMode: 1
; LDSByteSize: 0 bytes/workgroup (compile time only)
; SGPRBlocks: 2
; VGPRBlocks: 1
; NumSGPRsForWavesPerEU: 18
; NumVGPRsForWavesPerEU: 9
; Occupancy: 16
; WaveLimiterHint : 0
; COMPUTE_PGM_RSRC2:SCRATCH_EN: 0
; COMPUTE_PGM_RSRC2:USER_SGPR: 15
; COMPUTE_PGM_RSRC2:TRAP_HANDLER: 0
; COMPUTE_PGM_RSRC2:TGID_X_EN: 1
; COMPUTE_PGM_RSRC2:TGID_Y_EN: 0
; COMPUTE_PGM_RSRC2:TGID_Z_EN: 0
; COMPUTE_PGM_RSRC2:TIDIG_COMP_CNT: 0
	.section	.text._ZN7rocprim17ROCPRIM_400000_NS6detail17trampoline_kernelINS0_14default_configENS1_29reduce_by_key_config_selectorIttN6thrust23THRUST_200600_302600_NS4plusItEEEEZZNS1_33reduce_by_key_impl_wrapped_configILNS1_25lookback_scan_determinismE0ES3_S9_NS6_6detail15normal_iteratorINS6_10device_ptrItEEEESG_SG_SG_PmS8_NS6_8equal_toItEEEE10hipError_tPvRmT2_T3_mT4_T5_T6_T7_T8_P12ihipStream_tbENKUlT_T0_E_clISt17integral_constantIbLb0EES10_IbLb1EEEEDaSW_SX_EUlSW_E_NS1_11comp_targetILNS1_3genE0ELNS1_11target_archE4294967295ELNS1_3gpuE0ELNS1_3repE0EEENS1_30default_config_static_selectorELNS0_4arch9wavefront6targetE0EEEvT1_,"axG",@progbits,_ZN7rocprim17ROCPRIM_400000_NS6detail17trampoline_kernelINS0_14default_configENS1_29reduce_by_key_config_selectorIttN6thrust23THRUST_200600_302600_NS4plusItEEEEZZNS1_33reduce_by_key_impl_wrapped_configILNS1_25lookback_scan_determinismE0ES3_S9_NS6_6detail15normal_iteratorINS6_10device_ptrItEEEESG_SG_SG_PmS8_NS6_8equal_toItEEEE10hipError_tPvRmT2_T3_mT4_T5_T6_T7_T8_P12ihipStream_tbENKUlT_T0_E_clISt17integral_constantIbLb0EES10_IbLb1EEEEDaSW_SX_EUlSW_E_NS1_11comp_targetILNS1_3genE0ELNS1_11target_archE4294967295ELNS1_3gpuE0ELNS1_3repE0EEENS1_30default_config_static_selectorELNS0_4arch9wavefront6targetE0EEEvT1_,comdat
	.protected	_ZN7rocprim17ROCPRIM_400000_NS6detail17trampoline_kernelINS0_14default_configENS1_29reduce_by_key_config_selectorIttN6thrust23THRUST_200600_302600_NS4plusItEEEEZZNS1_33reduce_by_key_impl_wrapped_configILNS1_25lookback_scan_determinismE0ES3_S9_NS6_6detail15normal_iteratorINS6_10device_ptrItEEEESG_SG_SG_PmS8_NS6_8equal_toItEEEE10hipError_tPvRmT2_T3_mT4_T5_T6_T7_T8_P12ihipStream_tbENKUlT_T0_E_clISt17integral_constantIbLb0EES10_IbLb1EEEEDaSW_SX_EUlSW_E_NS1_11comp_targetILNS1_3genE0ELNS1_11target_archE4294967295ELNS1_3gpuE0ELNS1_3repE0EEENS1_30default_config_static_selectorELNS0_4arch9wavefront6targetE0EEEvT1_ ; -- Begin function _ZN7rocprim17ROCPRIM_400000_NS6detail17trampoline_kernelINS0_14default_configENS1_29reduce_by_key_config_selectorIttN6thrust23THRUST_200600_302600_NS4plusItEEEEZZNS1_33reduce_by_key_impl_wrapped_configILNS1_25lookback_scan_determinismE0ES3_S9_NS6_6detail15normal_iteratorINS6_10device_ptrItEEEESG_SG_SG_PmS8_NS6_8equal_toItEEEE10hipError_tPvRmT2_T3_mT4_T5_T6_T7_T8_P12ihipStream_tbENKUlT_T0_E_clISt17integral_constantIbLb0EES10_IbLb1EEEEDaSW_SX_EUlSW_E_NS1_11comp_targetILNS1_3genE0ELNS1_11target_archE4294967295ELNS1_3gpuE0ELNS1_3repE0EEENS1_30default_config_static_selectorELNS0_4arch9wavefront6targetE0EEEvT1_
	.globl	_ZN7rocprim17ROCPRIM_400000_NS6detail17trampoline_kernelINS0_14default_configENS1_29reduce_by_key_config_selectorIttN6thrust23THRUST_200600_302600_NS4plusItEEEEZZNS1_33reduce_by_key_impl_wrapped_configILNS1_25lookback_scan_determinismE0ES3_S9_NS6_6detail15normal_iteratorINS6_10device_ptrItEEEESG_SG_SG_PmS8_NS6_8equal_toItEEEE10hipError_tPvRmT2_T3_mT4_T5_T6_T7_T8_P12ihipStream_tbENKUlT_T0_E_clISt17integral_constantIbLb0EES10_IbLb1EEEEDaSW_SX_EUlSW_E_NS1_11comp_targetILNS1_3genE0ELNS1_11target_archE4294967295ELNS1_3gpuE0ELNS1_3repE0EEENS1_30default_config_static_selectorELNS0_4arch9wavefront6targetE0EEEvT1_
	.p2align	8
	.type	_ZN7rocprim17ROCPRIM_400000_NS6detail17trampoline_kernelINS0_14default_configENS1_29reduce_by_key_config_selectorIttN6thrust23THRUST_200600_302600_NS4plusItEEEEZZNS1_33reduce_by_key_impl_wrapped_configILNS1_25lookback_scan_determinismE0ES3_S9_NS6_6detail15normal_iteratorINS6_10device_ptrItEEEESG_SG_SG_PmS8_NS6_8equal_toItEEEE10hipError_tPvRmT2_T3_mT4_T5_T6_T7_T8_P12ihipStream_tbENKUlT_T0_E_clISt17integral_constantIbLb0EES10_IbLb1EEEEDaSW_SX_EUlSW_E_NS1_11comp_targetILNS1_3genE0ELNS1_11target_archE4294967295ELNS1_3gpuE0ELNS1_3repE0EEENS1_30default_config_static_selectorELNS0_4arch9wavefront6targetE0EEEvT1_,@function
_ZN7rocprim17ROCPRIM_400000_NS6detail17trampoline_kernelINS0_14default_configENS1_29reduce_by_key_config_selectorIttN6thrust23THRUST_200600_302600_NS4plusItEEEEZZNS1_33reduce_by_key_impl_wrapped_configILNS1_25lookback_scan_determinismE0ES3_S9_NS6_6detail15normal_iteratorINS6_10device_ptrItEEEESG_SG_SG_PmS8_NS6_8equal_toItEEEE10hipError_tPvRmT2_T3_mT4_T5_T6_T7_T8_P12ihipStream_tbENKUlT_T0_E_clISt17integral_constantIbLb0EES10_IbLb1EEEEDaSW_SX_EUlSW_E_NS1_11comp_targetILNS1_3genE0ELNS1_11target_archE4294967295ELNS1_3gpuE0ELNS1_3repE0EEENS1_30default_config_static_selectorELNS0_4arch9wavefront6targetE0EEEvT1_: ; @_ZN7rocprim17ROCPRIM_400000_NS6detail17trampoline_kernelINS0_14default_configENS1_29reduce_by_key_config_selectorIttN6thrust23THRUST_200600_302600_NS4plusItEEEEZZNS1_33reduce_by_key_impl_wrapped_configILNS1_25lookback_scan_determinismE0ES3_S9_NS6_6detail15normal_iteratorINS6_10device_ptrItEEEESG_SG_SG_PmS8_NS6_8equal_toItEEEE10hipError_tPvRmT2_T3_mT4_T5_T6_T7_T8_P12ihipStream_tbENKUlT_T0_E_clISt17integral_constantIbLb0EES10_IbLb1EEEEDaSW_SX_EUlSW_E_NS1_11comp_targetILNS1_3genE0ELNS1_11target_archE4294967295ELNS1_3gpuE0ELNS1_3repE0EEENS1_30default_config_static_selectorELNS0_4arch9wavefront6targetE0EEEvT1_
; %bb.0:
	.section	.rodata,"a",@progbits
	.p2align	6, 0x0
	.amdhsa_kernel _ZN7rocprim17ROCPRIM_400000_NS6detail17trampoline_kernelINS0_14default_configENS1_29reduce_by_key_config_selectorIttN6thrust23THRUST_200600_302600_NS4plusItEEEEZZNS1_33reduce_by_key_impl_wrapped_configILNS1_25lookback_scan_determinismE0ES3_S9_NS6_6detail15normal_iteratorINS6_10device_ptrItEEEESG_SG_SG_PmS8_NS6_8equal_toItEEEE10hipError_tPvRmT2_T3_mT4_T5_T6_T7_T8_P12ihipStream_tbENKUlT_T0_E_clISt17integral_constantIbLb0EES10_IbLb1EEEEDaSW_SX_EUlSW_E_NS1_11comp_targetILNS1_3genE0ELNS1_11target_archE4294967295ELNS1_3gpuE0ELNS1_3repE0EEENS1_30default_config_static_selectorELNS0_4arch9wavefront6targetE0EEEvT1_
		.amdhsa_group_segment_fixed_size 0
		.amdhsa_private_segment_fixed_size 0
		.amdhsa_kernarg_size 120
		.amdhsa_user_sgpr_count 15
		.amdhsa_user_sgpr_dispatch_ptr 0
		.amdhsa_user_sgpr_queue_ptr 0
		.amdhsa_user_sgpr_kernarg_segment_ptr 1
		.amdhsa_user_sgpr_dispatch_id 0
		.amdhsa_user_sgpr_private_segment_size 0
		.amdhsa_wavefront_size32 1
		.amdhsa_uses_dynamic_stack 0
		.amdhsa_enable_private_segment 0
		.amdhsa_system_sgpr_workgroup_id_x 1
		.amdhsa_system_sgpr_workgroup_id_y 0
		.amdhsa_system_sgpr_workgroup_id_z 0
		.amdhsa_system_sgpr_workgroup_info 0
		.amdhsa_system_vgpr_workitem_id 0
		.amdhsa_next_free_vgpr 1
		.amdhsa_next_free_sgpr 1
		.amdhsa_reserve_vcc 0
		.amdhsa_float_round_mode_32 0
		.amdhsa_float_round_mode_16_64 0
		.amdhsa_float_denorm_mode_32 3
		.amdhsa_float_denorm_mode_16_64 3
		.amdhsa_dx10_clamp 1
		.amdhsa_ieee_mode 1
		.amdhsa_fp16_overflow 0
		.amdhsa_workgroup_processor_mode 1
		.amdhsa_memory_ordered 1
		.amdhsa_forward_progress 0
		.amdhsa_shared_vgpr_count 0
		.amdhsa_exception_fp_ieee_invalid_op 0
		.amdhsa_exception_fp_denorm_src 0
		.amdhsa_exception_fp_ieee_div_zero 0
		.amdhsa_exception_fp_ieee_overflow 0
		.amdhsa_exception_fp_ieee_underflow 0
		.amdhsa_exception_fp_ieee_inexact 0
		.amdhsa_exception_int_div_zero 0
	.end_amdhsa_kernel
	.section	.text._ZN7rocprim17ROCPRIM_400000_NS6detail17trampoline_kernelINS0_14default_configENS1_29reduce_by_key_config_selectorIttN6thrust23THRUST_200600_302600_NS4plusItEEEEZZNS1_33reduce_by_key_impl_wrapped_configILNS1_25lookback_scan_determinismE0ES3_S9_NS6_6detail15normal_iteratorINS6_10device_ptrItEEEESG_SG_SG_PmS8_NS6_8equal_toItEEEE10hipError_tPvRmT2_T3_mT4_T5_T6_T7_T8_P12ihipStream_tbENKUlT_T0_E_clISt17integral_constantIbLb0EES10_IbLb1EEEEDaSW_SX_EUlSW_E_NS1_11comp_targetILNS1_3genE0ELNS1_11target_archE4294967295ELNS1_3gpuE0ELNS1_3repE0EEENS1_30default_config_static_selectorELNS0_4arch9wavefront6targetE0EEEvT1_,"axG",@progbits,_ZN7rocprim17ROCPRIM_400000_NS6detail17trampoline_kernelINS0_14default_configENS1_29reduce_by_key_config_selectorIttN6thrust23THRUST_200600_302600_NS4plusItEEEEZZNS1_33reduce_by_key_impl_wrapped_configILNS1_25lookback_scan_determinismE0ES3_S9_NS6_6detail15normal_iteratorINS6_10device_ptrItEEEESG_SG_SG_PmS8_NS6_8equal_toItEEEE10hipError_tPvRmT2_T3_mT4_T5_T6_T7_T8_P12ihipStream_tbENKUlT_T0_E_clISt17integral_constantIbLb0EES10_IbLb1EEEEDaSW_SX_EUlSW_E_NS1_11comp_targetILNS1_3genE0ELNS1_11target_archE4294967295ELNS1_3gpuE0ELNS1_3repE0EEENS1_30default_config_static_selectorELNS0_4arch9wavefront6targetE0EEEvT1_,comdat
.Lfunc_end422:
	.size	_ZN7rocprim17ROCPRIM_400000_NS6detail17trampoline_kernelINS0_14default_configENS1_29reduce_by_key_config_selectorIttN6thrust23THRUST_200600_302600_NS4plusItEEEEZZNS1_33reduce_by_key_impl_wrapped_configILNS1_25lookback_scan_determinismE0ES3_S9_NS6_6detail15normal_iteratorINS6_10device_ptrItEEEESG_SG_SG_PmS8_NS6_8equal_toItEEEE10hipError_tPvRmT2_T3_mT4_T5_T6_T7_T8_P12ihipStream_tbENKUlT_T0_E_clISt17integral_constantIbLb0EES10_IbLb1EEEEDaSW_SX_EUlSW_E_NS1_11comp_targetILNS1_3genE0ELNS1_11target_archE4294967295ELNS1_3gpuE0ELNS1_3repE0EEENS1_30default_config_static_selectorELNS0_4arch9wavefront6targetE0EEEvT1_, .Lfunc_end422-_ZN7rocprim17ROCPRIM_400000_NS6detail17trampoline_kernelINS0_14default_configENS1_29reduce_by_key_config_selectorIttN6thrust23THRUST_200600_302600_NS4plusItEEEEZZNS1_33reduce_by_key_impl_wrapped_configILNS1_25lookback_scan_determinismE0ES3_S9_NS6_6detail15normal_iteratorINS6_10device_ptrItEEEESG_SG_SG_PmS8_NS6_8equal_toItEEEE10hipError_tPvRmT2_T3_mT4_T5_T6_T7_T8_P12ihipStream_tbENKUlT_T0_E_clISt17integral_constantIbLb0EES10_IbLb1EEEEDaSW_SX_EUlSW_E_NS1_11comp_targetILNS1_3genE0ELNS1_11target_archE4294967295ELNS1_3gpuE0ELNS1_3repE0EEENS1_30default_config_static_selectorELNS0_4arch9wavefront6targetE0EEEvT1_
                                        ; -- End function
	.section	.AMDGPU.csdata,"",@progbits
; Kernel info:
; codeLenInByte = 0
; NumSgprs: 0
; NumVgprs: 0
; ScratchSize: 0
; MemoryBound: 0
; FloatMode: 240
; IeeeMode: 1
; LDSByteSize: 0 bytes/workgroup (compile time only)
; SGPRBlocks: 0
; VGPRBlocks: 0
; NumSGPRsForWavesPerEU: 1
; NumVGPRsForWavesPerEU: 1
; Occupancy: 16
; WaveLimiterHint : 0
; COMPUTE_PGM_RSRC2:SCRATCH_EN: 0
; COMPUTE_PGM_RSRC2:USER_SGPR: 15
; COMPUTE_PGM_RSRC2:TRAP_HANDLER: 0
; COMPUTE_PGM_RSRC2:TGID_X_EN: 1
; COMPUTE_PGM_RSRC2:TGID_Y_EN: 0
; COMPUTE_PGM_RSRC2:TGID_Z_EN: 0
; COMPUTE_PGM_RSRC2:TIDIG_COMP_CNT: 0
	.section	.text._ZN7rocprim17ROCPRIM_400000_NS6detail17trampoline_kernelINS0_14default_configENS1_29reduce_by_key_config_selectorIttN6thrust23THRUST_200600_302600_NS4plusItEEEEZZNS1_33reduce_by_key_impl_wrapped_configILNS1_25lookback_scan_determinismE0ES3_S9_NS6_6detail15normal_iteratorINS6_10device_ptrItEEEESG_SG_SG_PmS8_NS6_8equal_toItEEEE10hipError_tPvRmT2_T3_mT4_T5_T6_T7_T8_P12ihipStream_tbENKUlT_T0_E_clISt17integral_constantIbLb0EES10_IbLb1EEEEDaSW_SX_EUlSW_E_NS1_11comp_targetILNS1_3genE5ELNS1_11target_archE942ELNS1_3gpuE9ELNS1_3repE0EEENS1_30default_config_static_selectorELNS0_4arch9wavefront6targetE0EEEvT1_,"axG",@progbits,_ZN7rocprim17ROCPRIM_400000_NS6detail17trampoline_kernelINS0_14default_configENS1_29reduce_by_key_config_selectorIttN6thrust23THRUST_200600_302600_NS4plusItEEEEZZNS1_33reduce_by_key_impl_wrapped_configILNS1_25lookback_scan_determinismE0ES3_S9_NS6_6detail15normal_iteratorINS6_10device_ptrItEEEESG_SG_SG_PmS8_NS6_8equal_toItEEEE10hipError_tPvRmT2_T3_mT4_T5_T6_T7_T8_P12ihipStream_tbENKUlT_T0_E_clISt17integral_constantIbLb0EES10_IbLb1EEEEDaSW_SX_EUlSW_E_NS1_11comp_targetILNS1_3genE5ELNS1_11target_archE942ELNS1_3gpuE9ELNS1_3repE0EEENS1_30default_config_static_selectorELNS0_4arch9wavefront6targetE0EEEvT1_,comdat
	.protected	_ZN7rocprim17ROCPRIM_400000_NS6detail17trampoline_kernelINS0_14default_configENS1_29reduce_by_key_config_selectorIttN6thrust23THRUST_200600_302600_NS4plusItEEEEZZNS1_33reduce_by_key_impl_wrapped_configILNS1_25lookback_scan_determinismE0ES3_S9_NS6_6detail15normal_iteratorINS6_10device_ptrItEEEESG_SG_SG_PmS8_NS6_8equal_toItEEEE10hipError_tPvRmT2_T3_mT4_T5_T6_T7_T8_P12ihipStream_tbENKUlT_T0_E_clISt17integral_constantIbLb0EES10_IbLb1EEEEDaSW_SX_EUlSW_E_NS1_11comp_targetILNS1_3genE5ELNS1_11target_archE942ELNS1_3gpuE9ELNS1_3repE0EEENS1_30default_config_static_selectorELNS0_4arch9wavefront6targetE0EEEvT1_ ; -- Begin function _ZN7rocprim17ROCPRIM_400000_NS6detail17trampoline_kernelINS0_14default_configENS1_29reduce_by_key_config_selectorIttN6thrust23THRUST_200600_302600_NS4plusItEEEEZZNS1_33reduce_by_key_impl_wrapped_configILNS1_25lookback_scan_determinismE0ES3_S9_NS6_6detail15normal_iteratorINS6_10device_ptrItEEEESG_SG_SG_PmS8_NS6_8equal_toItEEEE10hipError_tPvRmT2_T3_mT4_T5_T6_T7_T8_P12ihipStream_tbENKUlT_T0_E_clISt17integral_constantIbLb0EES10_IbLb1EEEEDaSW_SX_EUlSW_E_NS1_11comp_targetILNS1_3genE5ELNS1_11target_archE942ELNS1_3gpuE9ELNS1_3repE0EEENS1_30default_config_static_selectorELNS0_4arch9wavefront6targetE0EEEvT1_
	.globl	_ZN7rocprim17ROCPRIM_400000_NS6detail17trampoline_kernelINS0_14default_configENS1_29reduce_by_key_config_selectorIttN6thrust23THRUST_200600_302600_NS4plusItEEEEZZNS1_33reduce_by_key_impl_wrapped_configILNS1_25lookback_scan_determinismE0ES3_S9_NS6_6detail15normal_iteratorINS6_10device_ptrItEEEESG_SG_SG_PmS8_NS6_8equal_toItEEEE10hipError_tPvRmT2_T3_mT4_T5_T6_T7_T8_P12ihipStream_tbENKUlT_T0_E_clISt17integral_constantIbLb0EES10_IbLb1EEEEDaSW_SX_EUlSW_E_NS1_11comp_targetILNS1_3genE5ELNS1_11target_archE942ELNS1_3gpuE9ELNS1_3repE0EEENS1_30default_config_static_selectorELNS0_4arch9wavefront6targetE0EEEvT1_
	.p2align	8
	.type	_ZN7rocprim17ROCPRIM_400000_NS6detail17trampoline_kernelINS0_14default_configENS1_29reduce_by_key_config_selectorIttN6thrust23THRUST_200600_302600_NS4plusItEEEEZZNS1_33reduce_by_key_impl_wrapped_configILNS1_25lookback_scan_determinismE0ES3_S9_NS6_6detail15normal_iteratorINS6_10device_ptrItEEEESG_SG_SG_PmS8_NS6_8equal_toItEEEE10hipError_tPvRmT2_T3_mT4_T5_T6_T7_T8_P12ihipStream_tbENKUlT_T0_E_clISt17integral_constantIbLb0EES10_IbLb1EEEEDaSW_SX_EUlSW_E_NS1_11comp_targetILNS1_3genE5ELNS1_11target_archE942ELNS1_3gpuE9ELNS1_3repE0EEENS1_30default_config_static_selectorELNS0_4arch9wavefront6targetE0EEEvT1_,@function
_ZN7rocprim17ROCPRIM_400000_NS6detail17trampoline_kernelINS0_14default_configENS1_29reduce_by_key_config_selectorIttN6thrust23THRUST_200600_302600_NS4plusItEEEEZZNS1_33reduce_by_key_impl_wrapped_configILNS1_25lookback_scan_determinismE0ES3_S9_NS6_6detail15normal_iteratorINS6_10device_ptrItEEEESG_SG_SG_PmS8_NS6_8equal_toItEEEE10hipError_tPvRmT2_T3_mT4_T5_T6_T7_T8_P12ihipStream_tbENKUlT_T0_E_clISt17integral_constantIbLb0EES10_IbLb1EEEEDaSW_SX_EUlSW_E_NS1_11comp_targetILNS1_3genE5ELNS1_11target_archE942ELNS1_3gpuE9ELNS1_3repE0EEENS1_30default_config_static_selectorELNS0_4arch9wavefront6targetE0EEEvT1_: ; @_ZN7rocprim17ROCPRIM_400000_NS6detail17trampoline_kernelINS0_14default_configENS1_29reduce_by_key_config_selectorIttN6thrust23THRUST_200600_302600_NS4plusItEEEEZZNS1_33reduce_by_key_impl_wrapped_configILNS1_25lookback_scan_determinismE0ES3_S9_NS6_6detail15normal_iteratorINS6_10device_ptrItEEEESG_SG_SG_PmS8_NS6_8equal_toItEEEE10hipError_tPvRmT2_T3_mT4_T5_T6_T7_T8_P12ihipStream_tbENKUlT_T0_E_clISt17integral_constantIbLb0EES10_IbLb1EEEEDaSW_SX_EUlSW_E_NS1_11comp_targetILNS1_3genE5ELNS1_11target_archE942ELNS1_3gpuE9ELNS1_3repE0EEENS1_30default_config_static_selectorELNS0_4arch9wavefront6targetE0EEEvT1_
; %bb.0:
	.section	.rodata,"a",@progbits
	.p2align	6, 0x0
	.amdhsa_kernel _ZN7rocprim17ROCPRIM_400000_NS6detail17trampoline_kernelINS0_14default_configENS1_29reduce_by_key_config_selectorIttN6thrust23THRUST_200600_302600_NS4plusItEEEEZZNS1_33reduce_by_key_impl_wrapped_configILNS1_25lookback_scan_determinismE0ES3_S9_NS6_6detail15normal_iteratorINS6_10device_ptrItEEEESG_SG_SG_PmS8_NS6_8equal_toItEEEE10hipError_tPvRmT2_T3_mT4_T5_T6_T7_T8_P12ihipStream_tbENKUlT_T0_E_clISt17integral_constantIbLb0EES10_IbLb1EEEEDaSW_SX_EUlSW_E_NS1_11comp_targetILNS1_3genE5ELNS1_11target_archE942ELNS1_3gpuE9ELNS1_3repE0EEENS1_30default_config_static_selectorELNS0_4arch9wavefront6targetE0EEEvT1_
		.amdhsa_group_segment_fixed_size 0
		.amdhsa_private_segment_fixed_size 0
		.amdhsa_kernarg_size 120
		.amdhsa_user_sgpr_count 15
		.amdhsa_user_sgpr_dispatch_ptr 0
		.amdhsa_user_sgpr_queue_ptr 0
		.amdhsa_user_sgpr_kernarg_segment_ptr 1
		.amdhsa_user_sgpr_dispatch_id 0
		.amdhsa_user_sgpr_private_segment_size 0
		.amdhsa_wavefront_size32 1
		.amdhsa_uses_dynamic_stack 0
		.amdhsa_enable_private_segment 0
		.amdhsa_system_sgpr_workgroup_id_x 1
		.amdhsa_system_sgpr_workgroup_id_y 0
		.amdhsa_system_sgpr_workgroup_id_z 0
		.amdhsa_system_sgpr_workgroup_info 0
		.amdhsa_system_vgpr_workitem_id 0
		.amdhsa_next_free_vgpr 1
		.amdhsa_next_free_sgpr 1
		.amdhsa_reserve_vcc 0
		.amdhsa_float_round_mode_32 0
		.amdhsa_float_round_mode_16_64 0
		.amdhsa_float_denorm_mode_32 3
		.amdhsa_float_denorm_mode_16_64 3
		.amdhsa_dx10_clamp 1
		.amdhsa_ieee_mode 1
		.amdhsa_fp16_overflow 0
		.amdhsa_workgroup_processor_mode 1
		.amdhsa_memory_ordered 1
		.amdhsa_forward_progress 0
		.amdhsa_shared_vgpr_count 0
		.amdhsa_exception_fp_ieee_invalid_op 0
		.amdhsa_exception_fp_denorm_src 0
		.amdhsa_exception_fp_ieee_div_zero 0
		.amdhsa_exception_fp_ieee_overflow 0
		.amdhsa_exception_fp_ieee_underflow 0
		.amdhsa_exception_fp_ieee_inexact 0
		.amdhsa_exception_int_div_zero 0
	.end_amdhsa_kernel
	.section	.text._ZN7rocprim17ROCPRIM_400000_NS6detail17trampoline_kernelINS0_14default_configENS1_29reduce_by_key_config_selectorIttN6thrust23THRUST_200600_302600_NS4plusItEEEEZZNS1_33reduce_by_key_impl_wrapped_configILNS1_25lookback_scan_determinismE0ES3_S9_NS6_6detail15normal_iteratorINS6_10device_ptrItEEEESG_SG_SG_PmS8_NS6_8equal_toItEEEE10hipError_tPvRmT2_T3_mT4_T5_T6_T7_T8_P12ihipStream_tbENKUlT_T0_E_clISt17integral_constantIbLb0EES10_IbLb1EEEEDaSW_SX_EUlSW_E_NS1_11comp_targetILNS1_3genE5ELNS1_11target_archE942ELNS1_3gpuE9ELNS1_3repE0EEENS1_30default_config_static_selectorELNS0_4arch9wavefront6targetE0EEEvT1_,"axG",@progbits,_ZN7rocprim17ROCPRIM_400000_NS6detail17trampoline_kernelINS0_14default_configENS1_29reduce_by_key_config_selectorIttN6thrust23THRUST_200600_302600_NS4plusItEEEEZZNS1_33reduce_by_key_impl_wrapped_configILNS1_25lookback_scan_determinismE0ES3_S9_NS6_6detail15normal_iteratorINS6_10device_ptrItEEEESG_SG_SG_PmS8_NS6_8equal_toItEEEE10hipError_tPvRmT2_T3_mT4_T5_T6_T7_T8_P12ihipStream_tbENKUlT_T0_E_clISt17integral_constantIbLb0EES10_IbLb1EEEEDaSW_SX_EUlSW_E_NS1_11comp_targetILNS1_3genE5ELNS1_11target_archE942ELNS1_3gpuE9ELNS1_3repE0EEENS1_30default_config_static_selectorELNS0_4arch9wavefront6targetE0EEEvT1_,comdat
.Lfunc_end423:
	.size	_ZN7rocprim17ROCPRIM_400000_NS6detail17trampoline_kernelINS0_14default_configENS1_29reduce_by_key_config_selectorIttN6thrust23THRUST_200600_302600_NS4plusItEEEEZZNS1_33reduce_by_key_impl_wrapped_configILNS1_25lookback_scan_determinismE0ES3_S9_NS6_6detail15normal_iteratorINS6_10device_ptrItEEEESG_SG_SG_PmS8_NS6_8equal_toItEEEE10hipError_tPvRmT2_T3_mT4_T5_T6_T7_T8_P12ihipStream_tbENKUlT_T0_E_clISt17integral_constantIbLb0EES10_IbLb1EEEEDaSW_SX_EUlSW_E_NS1_11comp_targetILNS1_3genE5ELNS1_11target_archE942ELNS1_3gpuE9ELNS1_3repE0EEENS1_30default_config_static_selectorELNS0_4arch9wavefront6targetE0EEEvT1_, .Lfunc_end423-_ZN7rocprim17ROCPRIM_400000_NS6detail17trampoline_kernelINS0_14default_configENS1_29reduce_by_key_config_selectorIttN6thrust23THRUST_200600_302600_NS4plusItEEEEZZNS1_33reduce_by_key_impl_wrapped_configILNS1_25lookback_scan_determinismE0ES3_S9_NS6_6detail15normal_iteratorINS6_10device_ptrItEEEESG_SG_SG_PmS8_NS6_8equal_toItEEEE10hipError_tPvRmT2_T3_mT4_T5_T6_T7_T8_P12ihipStream_tbENKUlT_T0_E_clISt17integral_constantIbLb0EES10_IbLb1EEEEDaSW_SX_EUlSW_E_NS1_11comp_targetILNS1_3genE5ELNS1_11target_archE942ELNS1_3gpuE9ELNS1_3repE0EEENS1_30default_config_static_selectorELNS0_4arch9wavefront6targetE0EEEvT1_
                                        ; -- End function
	.section	.AMDGPU.csdata,"",@progbits
; Kernel info:
; codeLenInByte = 0
; NumSgprs: 0
; NumVgprs: 0
; ScratchSize: 0
; MemoryBound: 0
; FloatMode: 240
; IeeeMode: 1
; LDSByteSize: 0 bytes/workgroup (compile time only)
; SGPRBlocks: 0
; VGPRBlocks: 0
; NumSGPRsForWavesPerEU: 1
; NumVGPRsForWavesPerEU: 1
; Occupancy: 16
; WaveLimiterHint : 0
; COMPUTE_PGM_RSRC2:SCRATCH_EN: 0
; COMPUTE_PGM_RSRC2:USER_SGPR: 15
; COMPUTE_PGM_RSRC2:TRAP_HANDLER: 0
; COMPUTE_PGM_RSRC2:TGID_X_EN: 1
; COMPUTE_PGM_RSRC2:TGID_Y_EN: 0
; COMPUTE_PGM_RSRC2:TGID_Z_EN: 0
; COMPUTE_PGM_RSRC2:TIDIG_COMP_CNT: 0
	.section	.text._ZN7rocprim17ROCPRIM_400000_NS6detail17trampoline_kernelINS0_14default_configENS1_29reduce_by_key_config_selectorIttN6thrust23THRUST_200600_302600_NS4plusItEEEEZZNS1_33reduce_by_key_impl_wrapped_configILNS1_25lookback_scan_determinismE0ES3_S9_NS6_6detail15normal_iteratorINS6_10device_ptrItEEEESG_SG_SG_PmS8_NS6_8equal_toItEEEE10hipError_tPvRmT2_T3_mT4_T5_T6_T7_T8_P12ihipStream_tbENKUlT_T0_E_clISt17integral_constantIbLb0EES10_IbLb1EEEEDaSW_SX_EUlSW_E_NS1_11comp_targetILNS1_3genE4ELNS1_11target_archE910ELNS1_3gpuE8ELNS1_3repE0EEENS1_30default_config_static_selectorELNS0_4arch9wavefront6targetE0EEEvT1_,"axG",@progbits,_ZN7rocprim17ROCPRIM_400000_NS6detail17trampoline_kernelINS0_14default_configENS1_29reduce_by_key_config_selectorIttN6thrust23THRUST_200600_302600_NS4plusItEEEEZZNS1_33reduce_by_key_impl_wrapped_configILNS1_25lookback_scan_determinismE0ES3_S9_NS6_6detail15normal_iteratorINS6_10device_ptrItEEEESG_SG_SG_PmS8_NS6_8equal_toItEEEE10hipError_tPvRmT2_T3_mT4_T5_T6_T7_T8_P12ihipStream_tbENKUlT_T0_E_clISt17integral_constantIbLb0EES10_IbLb1EEEEDaSW_SX_EUlSW_E_NS1_11comp_targetILNS1_3genE4ELNS1_11target_archE910ELNS1_3gpuE8ELNS1_3repE0EEENS1_30default_config_static_selectorELNS0_4arch9wavefront6targetE0EEEvT1_,comdat
	.protected	_ZN7rocprim17ROCPRIM_400000_NS6detail17trampoline_kernelINS0_14default_configENS1_29reduce_by_key_config_selectorIttN6thrust23THRUST_200600_302600_NS4plusItEEEEZZNS1_33reduce_by_key_impl_wrapped_configILNS1_25lookback_scan_determinismE0ES3_S9_NS6_6detail15normal_iteratorINS6_10device_ptrItEEEESG_SG_SG_PmS8_NS6_8equal_toItEEEE10hipError_tPvRmT2_T3_mT4_T5_T6_T7_T8_P12ihipStream_tbENKUlT_T0_E_clISt17integral_constantIbLb0EES10_IbLb1EEEEDaSW_SX_EUlSW_E_NS1_11comp_targetILNS1_3genE4ELNS1_11target_archE910ELNS1_3gpuE8ELNS1_3repE0EEENS1_30default_config_static_selectorELNS0_4arch9wavefront6targetE0EEEvT1_ ; -- Begin function _ZN7rocprim17ROCPRIM_400000_NS6detail17trampoline_kernelINS0_14default_configENS1_29reduce_by_key_config_selectorIttN6thrust23THRUST_200600_302600_NS4plusItEEEEZZNS1_33reduce_by_key_impl_wrapped_configILNS1_25lookback_scan_determinismE0ES3_S9_NS6_6detail15normal_iteratorINS6_10device_ptrItEEEESG_SG_SG_PmS8_NS6_8equal_toItEEEE10hipError_tPvRmT2_T3_mT4_T5_T6_T7_T8_P12ihipStream_tbENKUlT_T0_E_clISt17integral_constantIbLb0EES10_IbLb1EEEEDaSW_SX_EUlSW_E_NS1_11comp_targetILNS1_3genE4ELNS1_11target_archE910ELNS1_3gpuE8ELNS1_3repE0EEENS1_30default_config_static_selectorELNS0_4arch9wavefront6targetE0EEEvT1_
	.globl	_ZN7rocprim17ROCPRIM_400000_NS6detail17trampoline_kernelINS0_14default_configENS1_29reduce_by_key_config_selectorIttN6thrust23THRUST_200600_302600_NS4plusItEEEEZZNS1_33reduce_by_key_impl_wrapped_configILNS1_25lookback_scan_determinismE0ES3_S9_NS6_6detail15normal_iteratorINS6_10device_ptrItEEEESG_SG_SG_PmS8_NS6_8equal_toItEEEE10hipError_tPvRmT2_T3_mT4_T5_T6_T7_T8_P12ihipStream_tbENKUlT_T0_E_clISt17integral_constantIbLb0EES10_IbLb1EEEEDaSW_SX_EUlSW_E_NS1_11comp_targetILNS1_3genE4ELNS1_11target_archE910ELNS1_3gpuE8ELNS1_3repE0EEENS1_30default_config_static_selectorELNS0_4arch9wavefront6targetE0EEEvT1_
	.p2align	8
	.type	_ZN7rocprim17ROCPRIM_400000_NS6detail17trampoline_kernelINS0_14default_configENS1_29reduce_by_key_config_selectorIttN6thrust23THRUST_200600_302600_NS4plusItEEEEZZNS1_33reduce_by_key_impl_wrapped_configILNS1_25lookback_scan_determinismE0ES3_S9_NS6_6detail15normal_iteratorINS6_10device_ptrItEEEESG_SG_SG_PmS8_NS6_8equal_toItEEEE10hipError_tPvRmT2_T3_mT4_T5_T6_T7_T8_P12ihipStream_tbENKUlT_T0_E_clISt17integral_constantIbLb0EES10_IbLb1EEEEDaSW_SX_EUlSW_E_NS1_11comp_targetILNS1_3genE4ELNS1_11target_archE910ELNS1_3gpuE8ELNS1_3repE0EEENS1_30default_config_static_selectorELNS0_4arch9wavefront6targetE0EEEvT1_,@function
_ZN7rocprim17ROCPRIM_400000_NS6detail17trampoline_kernelINS0_14default_configENS1_29reduce_by_key_config_selectorIttN6thrust23THRUST_200600_302600_NS4plusItEEEEZZNS1_33reduce_by_key_impl_wrapped_configILNS1_25lookback_scan_determinismE0ES3_S9_NS6_6detail15normal_iteratorINS6_10device_ptrItEEEESG_SG_SG_PmS8_NS6_8equal_toItEEEE10hipError_tPvRmT2_T3_mT4_T5_T6_T7_T8_P12ihipStream_tbENKUlT_T0_E_clISt17integral_constantIbLb0EES10_IbLb1EEEEDaSW_SX_EUlSW_E_NS1_11comp_targetILNS1_3genE4ELNS1_11target_archE910ELNS1_3gpuE8ELNS1_3repE0EEENS1_30default_config_static_selectorELNS0_4arch9wavefront6targetE0EEEvT1_: ; @_ZN7rocprim17ROCPRIM_400000_NS6detail17trampoline_kernelINS0_14default_configENS1_29reduce_by_key_config_selectorIttN6thrust23THRUST_200600_302600_NS4plusItEEEEZZNS1_33reduce_by_key_impl_wrapped_configILNS1_25lookback_scan_determinismE0ES3_S9_NS6_6detail15normal_iteratorINS6_10device_ptrItEEEESG_SG_SG_PmS8_NS6_8equal_toItEEEE10hipError_tPvRmT2_T3_mT4_T5_T6_T7_T8_P12ihipStream_tbENKUlT_T0_E_clISt17integral_constantIbLb0EES10_IbLb1EEEEDaSW_SX_EUlSW_E_NS1_11comp_targetILNS1_3genE4ELNS1_11target_archE910ELNS1_3gpuE8ELNS1_3repE0EEENS1_30default_config_static_selectorELNS0_4arch9wavefront6targetE0EEEvT1_
; %bb.0:
	.section	.rodata,"a",@progbits
	.p2align	6, 0x0
	.amdhsa_kernel _ZN7rocprim17ROCPRIM_400000_NS6detail17trampoline_kernelINS0_14default_configENS1_29reduce_by_key_config_selectorIttN6thrust23THRUST_200600_302600_NS4plusItEEEEZZNS1_33reduce_by_key_impl_wrapped_configILNS1_25lookback_scan_determinismE0ES3_S9_NS6_6detail15normal_iteratorINS6_10device_ptrItEEEESG_SG_SG_PmS8_NS6_8equal_toItEEEE10hipError_tPvRmT2_T3_mT4_T5_T6_T7_T8_P12ihipStream_tbENKUlT_T0_E_clISt17integral_constantIbLb0EES10_IbLb1EEEEDaSW_SX_EUlSW_E_NS1_11comp_targetILNS1_3genE4ELNS1_11target_archE910ELNS1_3gpuE8ELNS1_3repE0EEENS1_30default_config_static_selectorELNS0_4arch9wavefront6targetE0EEEvT1_
		.amdhsa_group_segment_fixed_size 0
		.amdhsa_private_segment_fixed_size 0
		.amdhsa_kernarg_size 120
		.amdhsa_user_sgpr_count 15
		.amdhsa_user_sgpr_dispatch_ptr 0
		.amdhsa_user_sgpr_queue_ptr 0
		.amdhsa_user_sgpr_kernarg_segment_ptr 1
		.amdhsa_user_sgpr_dispatch_id 0
		.amdhsa_user_sgpr_private_segment_size 0
		.amdhsa_wavefront_size32 1
		.amdhsa_uses_dynamic_stack 0
		.amdhsa_enable_private_segment 0
		.amdhsa_system_sgpr_workgroup_id_x 1
		.amdhsa_system_sgpr_workgroup_id_y 0
		.amdhsa_system_sgpr_workgroup_id_z 0
		.amdhsa_system_sgpr_workgroup_info 0
		.amdhsa_system_vgpr_workitem_id 0
		.amdhsa_next_free_vgpr 1
		.amdhsa_next_free_sgpr 1
		.amdhsa_reserve_vcc 0
		.amdhsa_float_round_mode_32 0
		.amdhsa_float_round_mode_16_64 0
		.amdhsa_float_denorm_mode_32 3
		.amdhsa_float_denorm_mode_16_64 3
		.amdhsa_dx10_clamp 1
		.amdhsa_ieee_mode 1
		.amdhsa_fp16_overflow 0
		.amdhsa_workgroup_processor_mode 1
		.amdhsa_memory_ordered 1
		.amdhsa_forward_progress 0
		.amdhsa_shared_vgpr_count 0
		.amdhsa_exception_fp_ieee_invalid_op 0
		.amdhsa_exception_fp_denorm_src 0
		.amdhsa_exception_fp_ieee_div_zero 0
		.amdhsa_exception_fp_ieee_overflow 0
		.amdhsa_exception_fp_ieee_underflow 0
		.amdhsa_exception_fp_ieee_inexact 0
		.amdhsa_exception_int_div_zero 0
	.end_amdhsa_kernel
	.section	.text._ZN7rocprim17ROCPRIM_400000_NS6detail17trampoline_kernelINS0_14default_configENS1_29reduce_by_key_config_selectorIttN6thrust23THRUST_200600_302600_NS4plusItEEEEZZNS1_33reduce_by_key_impl_wrapped_configILNS1_25lookback_scan_determinismE0ES3_S9_NS6_6detail15normal_iteratorINS6_10device_ptrItEEEESG_SG_SG_PmS8_NS6_8equal_toItEEEE10hipError_tPvRmT2_T3_mT4_T5_T6_T7_T8_P12ihipStream_tbENKUlT_T0_E_clISt17integral_constantIbLb0EES10_IbLb1EEEEDaSW_SX_EUlSW_E_NS1_11comp_targetILNS1_3genE4ELNS1_11target_archE910ELNS1_3gpuE8ELNS1_3repE0EEENS1_30default_config_static_selectorELNS0_4arch9wavefront6targetE0EEEvT1_,"axG",@progbits,_ZN7rocprim17ROCPRIM_400000_NS6detail17trampoline_kernelINS0_14default_configENS1_29reduce_by_key_config_selectorIttN6thrust23THRUST_200600_302600_NS4plusItEEEEZZNS1_33reduce_by_key_impl_wrapped_configILNS1_25lookback_scan_determinismE0ES3_S9_NS6_6detail15normal_iteratorINS6_10device_ptrItEEEESG_SG_SG_PmS8_NS6_8equal_toItEEEE10hipError_tPvRmT2_T3_mT4_T5_T6_T7_T8_P12ihipStream_tbENKUlT_T0_E_clISt17integral_constantIbLb0EES10_IbLb1EEEEDaSW_SX_EUlSW_E_NS1_11comp_targetILNS1_3genE4ELNS1_11target_archE910ELNS1_3gpuE8ELNS1_3repE0EEENS1_30default_config_static_selectorELNS0_4arch9wavefront6targetE0EEEvT1_,comdat
.Lfunc_end424:
	.size	_ZN7rocprim17ROCPRIM_400000_NS6detail17trampoline_kernelINS0_14default_configENS1_29reduce_by_key_config_selectorIttN6thrust23THRUST_200600_302600_NS4plusItEEEEZZNS1_33reduce_by_key_impl_wrapped_configILNS1_25lookback_scan_determinismE0ES3_S9_NS6_6detail15normal_iteratorINS6_10device_ptrItEEEESG_SG_SG_PmS8_NS6_8equal_toItEEEE10hipError_tPvRmT2_T3_mT4_T5_T6_T7_T8_P12ihipStream_tbENKUlT_T0_E_clISt17integral_constantIbLb0EES10_IbLb1EEEEDaSW_SX_EUlSW_E_NS1_11comp_targetILNS1_3genE4ELNS1_11target_archE910ELNS1_3gpuE8ELNS1_3repE0EEENS1_30default_config_static_selectorELNS0_4arch9wavefront6targetE0EEEvT1_, .Lfunc_end424-_ZN7rocprim17ROCPRIM_400000_NS6detail17trampoline_kernelINS0_14default_configENS1_29reduce_by_key_config_selectorIttN6thrust23THRUST_200600_302600_NS4plusItEEEEZZNS1_33reduce_by_key_impl_wrapped_configILNS1_25lookback_scan_determinismE0ES3_S9_NS6_6detail15normal_iteratorINS6_10device_ptrItEEEESG_SG_SG_PmS8_NS6_8equal_toItEEEE10hipError_tPvRmT2_T3_mT4_T5_T6_T7_T8_P12ihipStream_tbENKUlT_T0_E_clISt17integral_constantIbLb0EES10_IbLb1EEEEDaSW_SX_EUlSW_E_NS1_11comp_targetILNS1_3genE4ELNS1_11target_archE910ELNS1_3gpuE8ELNS1_3repE0EEENS1_30default_config_static_selectorELNS0_4arch9wavefront6targetE0EEEvT1_
                                        ; -- End function
	.section	.AMDGPU.csdata,"",@progbits
; Kernel info:
; codeLenInByte = 0
; NumSgprs: 0
; NumVgprs: 0
; ScratchSize: 0
; MemoryBound: 0
; FloatMode: 240
; IeeeMode: 1
; LDSByteSize: 0 bytes/workgroup (compile time only)
; SGPRBlocks: 0
; VGPRBlocks: 0
; NumSGPRsForWavesPerEU: 1
; NumVGPRsForWavesPerEU: 1
; Occupancy: 16
; WaveLimiterHint : 0
; COMPUTE_PGM_RSRC2:SCRATCH_EN: 0
; COMPUTE_PGM_RSRC2:USER_SGPR: 15
; COMPUTE_PGM_RSRC2:TRAP_HANDLER: 0
; COMPUTE_PGM_RSRC2:TGID_X_EN: 1
; COMPUTE_PGM_RSRC2:TGID_Y_EN: 0
; COMPUTE_PGM_RSRC2:TGID_Z_EN: 0
; COMPUTE_PGM_RSRC2:TIDIG_COMP_CNT: 0
	.section	.text._ZN7rocprim17ROCPRIM_400000_NS6detail17trampoline_kernelINS0_14default_configENS1_29reduce_by_key_config_selectorIttN6thrust23THRUST_200600_302600_NS4plusItEEEEZZNS1_33reduce_by_key_impl_wrapped_configILNS1_25lookback_scan_determinismE0ES3_S9_NS6_6detail15normal_iteratorINS6_10device_ptrItEEEESG_SG_SG_PmS8_NS6_8equal_toItEEEE10hipError_tPvRmT2_T3_mT4_T5_T6_T7_T8_P12ihipStream_tbENKUlT_T0_E_clISt17integral_constantIbLb0EES10_IbLb1EEEEDaSW_SX_EUlSW_E_NS1_11comp_targetILNS1_3genE3ELNS1_11target_archE908ELNS1_3gpuE7ELNS1_3repE0EEENS1_30default_config_static_selectorELNS0_4arch9wavefront6targetE0EEEvT1_,"axG",@progbits,_ZN7rocprim17ROCPRIM_400000_NS6detail17trampoline_kernelINS0_14default_configENS1_29reduce_by_key_config_selectorIttN6thrust23THRUST_200600_302600_NS4plusItEEEEZZNS1_33reduce_by_key_impl_wrapped_configILNS1_25lookback_scan_determinismE0ES3_S9_NS6_6detail15normal_iteratorINS6_10device_ptrItEEEESG_SG_SG_PmS8_NS6_8equal_toItEEEE10hipError_tPvRmT2_T3_mT4_T5_T6_T7_T8_P12ihipStream_tbENKUlT_T0_E_clISt17integral_constantIbLb0EES10_IbLb1EEEEDaSW_SX_EUlSW_E_NS1_11comp_targetILNS1_3genE3ELNS1_11target_archE908ELNS1_3gpuE7ELNS1_3repE0EEENS1_30default_config_static_selectorELNS0_4arch9wavefront6targetE0EEEvT1_,comdat
	.protected	_ZN7rocprim17ROCPRIM_400000_NS6detail17trampoline_kernelINS0_14default_configENS1_29reduce_by_key_config_selectorIttN6thrust23THRUST_200600_302600_NS4plusItEEEEZZNS1_33reduce_by_key_impl_wrapped_configILNS1_25lookback_scan_determinismE0ES3_S9_NS6_6detail15normal_iteratorINS6_10device_ptrItEEEESG_SG_SG_PmS8_NS6_8equal_toItEEEE10hipError_tPvRmT2_T3_mT4_T5_T6_T7_T8_P12ihipStream_tbENKUlT_T0_E_clISt17integral_constantIbLb0EES10_IbLb1EEEEDaSW_SX_EUlSW_E_NS1_11comp_targetILNS1_3genE3ELNS1_11target_archE908ELNS1_3gpuE7ELNS1_3repE0EEENS1_30default_config_static_selectorELNS0_4arch9wavefront6targetE0EEEvT1_ ; -- Begin function _ZN7rocprim17ROCPRIM_400000_NS6detail17trampoline_kernelINS0_14default_configENS1_29reduce_by_key_config_selectorIttN6thrust23THRUST_200600_302600_NS4plusItEEEEZZNS1_33reduce_by_key_impl_wrapped_configILNS1_25lookback_scan_determinismE0ES3_S9_NS6_6detail15normal_iteratorINS6_10device_ptrItEEEESG_SG_SG_PmS8_NS6_8equal_toItEEEE10hipError_tPvRmT2_T3_mT4_T5_T6_T7_T8_P12ihipStream_tbENKUlT_T0_E_clISt17integral_constantIbLb0EES10_IbLb1EEEEDaSW_SX_EUlSW_E_NS1_11comp_targetILNS1_3genE3ELNS1_11target_archE908ELNS1_3gpuE7ELNS1_3repE0EEENS1_30default_config_static_selectorELNS0_4arch9wavefront6targetE0EEEvT1_
	.globl	_ZN7rocprim17ROCPRIM_400000_NS6detail17trampoline_kernelINS0_14default_configENS1_29reduce_by_key_config_selectorIttN6thrust23THRUST_200600_302600_NS4plusItEEEEZZNS1_33reduce_by_key_impl_wrapped_configILNS1_25lookback_scan_determinismE0ES3_S9_NS6_6detail15normal_iteratorINS6_10device_ptrItEEEESG_SG_SG_PmS8_NS6_8equal_toItEEEE10hipError_tPvRmT2_T3_mT4_T5_T6_T7_T8_P12ihipStream_tbENKUlT_T0_E_clISt17integral_constantIbLb0EES10_IbLb1EEEEDaSW_SX_EUlSW_E_NS1_11comp_targetILNS1_3genE3ELNS1_11target_archE908ELNS1_3gpuE7ELNS1_3repE0EEENS1_30default_config_static_selectorELNS0_4arch9wavefront6targetE0EEEvT1_
	.p2align	8
	.type	_ZN7rocprim17ROCPRIM_400000_NS6detail17trampoline_kernelINS0_14default_configENS1_29reduce_by_key_config_selectorIttN6thrust23THRUST_200600_302600_NS4plusItEEEEZZNS1_33reduce_by_key_impl_wrapped_configILNS1_25lookback_scan_determinismE0ES3_S9_NS6_6detail15normal_iteratorINS6_10device_ptrItEEEESG_SG_SG_PmS8_NS6_8equal_toItEEEE10hipError_tPvRmT2_T3_mT4_T5_T6_T7_T8_P12ihipStream_tbENKUlT_T0_E_clISt17integral_constantIbLb0EES10_IbLb1EEEEDaSW_SX_EUlSW_E_NS1_11comp_targetILNS1_3genE3ELNS1_11target_archE908ELNS1_3gpuE7ELNS1_3repE0EEENS1_30default_config_static_selectorELNS0_4arch9wavefront6targetE0EEEvT1_,@function
_ZN7rocprim17ROCPRIM_400000_NS6detail17trampoline_kernelINS0_14default_configENS1_29reduce_by_key_config_selectorIttN6thrust23THRUST_200600_302600_NS4plusItEEEEZZNS1_33reduce_by_key_impl_wrapped_configILNS1_25lookback_scan_determinismE0ES3_S9_NS6_6detail15normal_iteratorINS6_10device_ptrItEEEESG_SG_SG_PmS8_NS6_8equal_toItEEEE10hipError_tPvRmT2_T3_mT4_T5_T6_T7_T8_P12ihipStream_tbENKUlT_T0_E_clISt17integral_constantIbLb0EES10_IbLb1EEEEDaSW_SX_EUlSW_E_NS1_11comp_targetILNS1_3genE3ELNS1_11target_archE908ELNS1_3gpuE7ELNS1_3repE0EEENS1_30default_config_static_selectorELNS0_4arch9wavefront6targetE0EEEvT1_: ; @_ZN7rocprim17ROCPRIM_400000_NS6detail17trampoline_kernelINS0_14default_configENS1_29reduce_by_key_config_selectorIttN6thrust23THRUST_200600_302600_NS4plusItEEEEZZNS1_33reduce_by_key_impl_wrapped_configILNS1_25lookback_scan_determinismE0ES3_S9_NS6_6detail15normal_iteratorINS6_10device_ptrItEEEESG_SG_SG_PmS8_NS6_8equal_toItEEEE10hipError_tPvRmT2_T3_mT4_T5_T6_T7_T8_P12ihipStream_tbENKUlT_T0_E_clISt17integral_constantIbLb0EES10_IbLb1EEEEDaSW_SX_EUlSW_E_NS1_11comp_targetILNS1_3genE3ELNS1_11target_archE908ELNS1_3gpuE7ELNS1_3repE0EEENS1_30default_config_static_selectorELNS0_4arch9wavefront6targetE0EEEvT1_
; %bb.0:
	.section	.rodata,"a",@progbits
	.p2align	6, 0x0
	.amdhsa_kernel _ZN7rocprim17ROCPRIM_400000_NS6detail17trampoline_kernelINS0_14default_configENS1_29reduce_by_key_config_selectorIttN6thrust23THRUST_200600_302600_NS4plusItEEEEZZNS1_33reduce_by_key_impl_wrapped_configILNS1_25lookback_scan_determinismE0ES3_S9_NS6_6detail15normal_iteratorINS6_10device_ptrItEEEESG_SG_SG_PmS8_NS6_8equal_toItEEEE10hipError_tPvRmT2_T3_mT4_T5_T6_T7_T8_P12ihipStream_tbENKUlT_T0_E_clISt17integral_constantIbLb0EES10_IbLb1EEEEDaSW_SX_EUlSW_E_NS1_11comp_targetILNS1_3genE3ELNS1_11target_archE908ELNS1_3gpuE7ELNS1_3repE0EEENS1_30default_config_static_selectorELNS0_4arch9wavefront6targetE0EEEvT1_
		.amdhsa_group_segment_fixed_size 0
		.amdhsa_private_segment_fixed_size 0
		.amdhsa_kernarg_size 120
		.amdhsa_user_sgpr_count 15
		.amdhsa_user_sgpr_dispatch_ptr 0
		.amdhsa_user_sgpr_queue_ptr 0
		.amdhsa_user_sgpr_kernarg_segment_ptr 1
		.amdhsa_user_sgpr_dispatch_id 0
		.amdhsa_user_sgpr_private_segment_size 0
		.amdhsa_wavefront_size32 1
		.amdhsa_uses_dynamic_stack 0
		.amdhsa_enable_private_segment 0
		.amdhsa_system_sgpr_workgroup_id_x 1
		.amdhsa_system_sgpr_workgroup_id_y 0
		.amdhsa_system_sgpr_workgroup_id_z 0
		.amdhsa_system_sgpr_workgroup_info 0
		.amdhsa_system_vgpr_workitem_id 0
		.amdhsa_next_free_vgpr 1
		.amdhsa_next_free_sgpr 1
		.amdhsa_reserve_vcc 0
		.amdhsa_float_round_mode_32 0
		.amdhsa_float_round_mode_16_64 0
		.amdhsa_float_denorm_mode_32 3
		.amdhsa_float_denorm_mode_16_64 3
		.amdhsa_dx10_clamp 1
		.amdhsa_ieee_mode 1
		.amdhsa_fp16_overflow 0
		.amdhsa_workgroup_processor_mode 1
		.amdhsa_memory_ordered 1
		.amdhsa_forward_progress 0
		.amdhsa_shared_vgpr_count 0
		.amdhsa_exception_fp_ieee_invalid_op 0
		.amdhsa_exception_fp_denorm_src 0
		.amdhsa_exception_fp_ieee_div_zero 0
		.amdhsa_exception_fp_ieee_overflow 0
		.amdhsa_exception_fp_ieee_underflow 0
		.amdhsa_exception_fp_ieee_inexact 0
		.amdhsa_exception_int_div_zero 0
	.end_amdhsa_kernel
	.section	.text._ZN7rocprim17ROCPRIM_400000_NS6detail17trampoline_kernelINS0_14default_configENS1_29reduce_by_key_config_selectorIttN6thrust23THRUST_200600_302600_NS4plusItEEEEZZNS1_33reduce_by_key_impl_wrapped_configILNS1_25lookback_scan_determinismE0ES3_S9_NS6_6detail15normal_iteratorINS6_10device_ptrItEEEESG_SG_SG_PmS8_NS6_8equal_toItEEEE10hipError_tPvRmT2_T3_mT4_T5_T6_T7_T8_P12ihipStream_tbENKUlT_T0_E_clISt17integral_constantIbLb0EES10_IbLb1EEEEDaSW_SX_EUlSW_E_NS1_11comp_targetILNS1_3genE3ELNS1_11target_archE908ELNS1_3gpuE7ELNS1_3repE0EEENS1_30default_config_static_selectorELNS0_4arch9wavefront6targetE0EEEvT1_,"axG",@progbits,_ZN7rocprim17ROCPRIM_400000_NS6detail17trampoline_kernelINS0_14default_configENS1_29reduce_by_key_config_selectorIttN6thrust23THRUST_200600_302600_NS4plusItEEEEZZNS1_33reduce_by_key_impl_wrapped_configILNS1_25lookback_scan_determinismE0ES3_S9_NS6_6detail15normal_iteratorINS6_10device_ptrItEEEESG_SG_SG_PmS8_NS6_8equal_toItEEEE10hipError_tPvRmT2_T3_mT4_T5_T6_T7_T8_P12ihipStream_tbENKUlT_T0_E_clISt17integral_constantIbLb0EES10_IbLb1EEEEDaSW_SX_EUlSW_E_NS1_11comp_targetILNS1_3genE3ELNS1_11target_archE908ELNS1_3gpuE7ELNS1_3repE0EEENS1_30default_config_static_selectorELNS0_4arch9wavefront6targetE0EEEvT1_,comdat
.Lfunc_end425:
	.size	_ZN7rocprim17ROCPRIM_400000_NS6detail17trampoline_kernelINS0_14default_configENS1_29reduce_by_key_config_selectorIttN6thrust23THRUST_200600_302600_NS4plusItEEEEZZNS1_33reduce_by_key_impl_wrapped_configILNS1_25lookback_scan_determinismE0ES3_S9_NS6_6detail15normal_iteratorINS6_10device_ptrItEEEESG_SG_SG_PmS8_NS6_8equal_toItEEEE10hipError_tPvRmT2_T3_mT4_T5_T6_T7_T8_P12ihipStream_tbENKUlT_T0_E_clISt17integral_constantIbLb0EES10_IbLb1EEEEDaSW_SX_EUlSW_E_NS1_11comp_targetILNS1_3genE3ELNS1_11target_archE908ELNS1_3gpuE7ELNS1_3repE0EEENS1_30default_config_static_selectorELNS0_4arch9wavefront6targetE0EEEvT1_, .Lfunc_end425-_ZN7rocprim17ROCPRIM_400000_NS6detail17trampoline_kernelINS0_14default_configENS1_29reduce_by_key_config_selectorIttN6thrust23THRUST_200600_302600_NS4plusItEEEEZZNS1_33reduce_by_key_impl_wrapped_configILNS1_25lookback_scan_determinismE0ES3_S9_NS6_6detail15normal_iteratorINS6_10device_ptrItEEEESG_SG_SG_PmS8_NS6_8equal_toItEEEE10hipError_tPvRmT2_T3_mT4_T5_T6_T7_T8_P12ihipStream_tbENKUlT_T0_E_clISt17integral_constantIbLb0EES10_IbLb1EEEEDaSW_SX_EUlSW_E_NS1_11comp_targetILNS1_3genE3ELNS1_11target_archE908ELNS1_3gpuE7ELNS1_3repE0EEENS1_30default_config_static_selectorELNS0_4arch9wavefront6targetE0EEEvT1_
                                        ; -- End function
	.section	.AMDGPU.csdata,"",@progbits
; Kernel info:
; codeLenInByte = 0
; NumSgprs: 0
; NumVgprs: 0
; ScratchSize: 0
; MemoryBound: 0
; FloatMode: 240
; IeeeMode: 1
; LDSByteSize: 0 bytes/workgroup (compile time only)
; SGPRBlocks: 0
; VGPRBlocks: 0
; NumSGPRsForWavesPerEU: 1
; NumVGPRsForWavesPerEU: 1
; Occupancy: 16
; WaveLimiterHint : 0
; COMPUTE_PGM_RSRC2:SCRATCH_EN: 0
; COMPUTE_PGM_RSRC2:USER_SGPR: 15
; COMPUTE_PGM_RSRC2:TRAP_HANDLER: 0
; COMPUTE_PGM_RSRC2:TGID_X_EN: 1
; COMPUTE_PGM_RSRC2:TGID_Y_EN: 0
; COMPUTE_PGM_RSRC2:TGID_Z_EN: 0
; COMPUTE_PGM_RSRC2:TIDIG_COMP_CNT: 0
	.section	.text._ZN7rocprim17ROCPRIM_400000_NS6detail17trampoline_kernelINS0_14default_configENS1_29reduce_by_key_config_selectorIttN6thrust23THRUST_200600_302600_NS4plusItEEEEZZNS1_33reduce_by_key_impl_wrapped_configILNS1_25lookback_scan_determinismE0ES3_S9_NS6_6detail15normal_iteratorINS6_10device_ptrItEEEESG_SG_SG_PmS8_NS6_8equal_toItEEEE10hipError_tPvRmT2_T3_mT4_T5_T6_T7_T8_P12ihipStream_tbENKUlT_T0_E_clISt17integral_constantIbLb0EES10_IbLb1EEEEDaSW_SX_EUlSW_E_NS1_11comp_targetILNS1_3genE2ELNS1_11target_archE906ELNS1_3gpuE6ELNS1_3repE0EEENS1_30default_config_static_selectorELNS0_4arch9wavefront6targetE0EEEvT1_,"axG",@progbits,_ZN7rocprim17ROCPRIM_400000_NS6detail17trampoline_kernelINS0_14default_configENS1_29reduce_by_key_config_selectorIttN6thrust23THRUST_200600_302600_NS4plusItEEEEZZNS1_33reduce_by_key_impl_wrapped_configILNS1_25lookback_scan_determinismE0ES3_S9_NS6_6detail15normal_iteratorINS6_10device_ptrItEEEESG_SG_SG_PmS8_NS6_8equal_toItEEEE10hipError_tPvRmT2_T3_mT4_T5_T6_T7_T8_P12ihipStream_tbENKUlT_T0_E_clISt17integral_constantIbLb0EES10_IbLb1EEEEDaSW_SX_EUlSW_E_NS1_11comp_targetILNS1_3genE2ELNS1_11target_archE906ELNS1_3gpuE6ELNS1_3repE0EEENS1_30default_config_static_selectorELNS0_4arch9wavefront6targetE0EEEvT1_,comdat
	.protected	_ZN7rocprim17ROCPRIM_400000_NS6detail17trampoline_kernelINS0_14default_configENS1_29reduce_by_key_config_selectorIttN6thrust23THRUST_200600_302600_NS4plusItEEEEZZNS1_33reduce_by_key_impl_wrapped_configILNS1_25lookback_scan_determinismE0ES3_S9_NS6_6detail15normal_iteratorINS6_10device_ptrItEEEESG_SG_SG_PmS8_NS6_8equal_toItEEEE10hipError_tPvRmT2_T3_mT4_T5_T6_T7_T8_P12ihipStream_tbENKUlT_T0_E_clISt17integral_constantIbLb0EES10_IbLb1EEEEDaSW_SX_EUlSW_E_NS1_11comp_targetILNS1_3genE2ELNS1_11target_archE906ELNS1_3gpuE6ELNS1_3repE0EEENS1_30default_config_static_selectorELNS0_4arch9wavefront6targetE0EEEvT1_ ; -- Begin function _ZN7rocprim17ROCPRIM_400000_NS6detail17trampoline_kernelINS0_14default_configENS1_29reduce_by_key_config_selectorIttN6thrust23THRUST_200600_302600_NS4plusItEEEEZZNS1_33reduce_by_key_impl_wrapped_configILNS1_25lookback_scan_determinismE0ES3_S9_NS6_6detail15normal_iteratorINS6_10device_ptrItEEEESG_SG_SG_PmS8_NS6_8equal_toItEEEE10hipError_tPvRmT2_T3_mT4_T5_T6_T7_T8_P12ihipStream_tbENKUlT_T0_E_clISt17integral_constantIbLb0EES10_IbLb1EEEEDaSW_SX_EUlSW_E_NS1_11comp_targetILNS1_3genE2ELNS1_11target_archE906ELNS1_3gpuE6ELNS1_3repE0EEENS1_30default_config_static_selectorELNS0_4arch9wavefront6targetE0EEEvT1_
	.globl	_ZN7rocprim17ROCPRIM_400000_NS6detail17trampoline_kernelINS0_14default_configENS1_29reduce_by_key_config_selectorIttN6thrust23THRUST_200600_302600_NS4plusItEEEEZZNS1_33reduce_by_key_impl_wrapped_configILNS1_25lookback_scan_determinismE0ES3_S9_NS6_6detail15normal_iteratorINS6_10device_ptrItEEEESG_SG_SG_PmS8_NS6_8equal_toItEEEE10hipError_tPvRmT2_T3_mT4_T5_T6_T7_T8_P12ihipStream_tbENKUlT_T0_E_clISt17integral_constantIbLb0EES10_IbLb1EEEEDaSW_SX_EUlSW_E_NS1_11comp_targetILNS1_3genE2ELNS1_11target_archE906ELNS1_3gpuE6ELNS1_3repE0EEENS1_30default_config_static_selectorELNS0_4arch9wavefront6targetE0EEEvT1_
	.p2align	8
	.type	_ZN7rocprim17ROCPRIM_400000_NS6detail17trampoline_kernelINS0_14default_configENS1_29reduce_by_key_config_selectorIttN6thrust23THRUST_200600_302600_NS4plusItEEEEZZNS1_33reduce_by_key_impl_wrapped_configILNS1_25lookback_scan_determinismE0ES3_S9_NS6_6detail15normal_iteratorINS6_10device_ptrItEEEESG_SG_SG_PmS8_NS6_8equal_toItEEEE10hipError_tPvRmT2_T3_mT4_T5_T6_T7_T8_P12ihipStream_tbENKUlT_T0_E_clISt17integral_constantIbLb0EES10_IbLb1EEEEDaSW_SX_EUlSW_E_NS1_11comp_targetILNS1_3genE2ELNS1_11target_archE906ELNS1_3gpuE6ELNS1_3repE0EEENS1_30default_config_static_selectorELNS0_4arch9wavefront6targetE0EEEvT1_,@function
_ZN7rocprim17ROCPRIM_400000_NS6detail17trampoline_kernelINS0_14default_configENS1_29reduce_by_key_config_selectorIttN6thrust23THRUST_200600_302600_NS4plusItEEEEZZNS1_33reduce_by_key_impl_wrapped_configILNS1_25lookback_scan_determinismE0ES3_S9_NS6_6detail15normal_iteratorINS6_10device_ptrItEEEESG_SG_SG_PmS8_NS6_8equal_toItEEEE10hipError_tPvRmT2_T3_mT4_T5_T6_T7_T8_P12ihipStream_tbENKUlT_T0_E_clISt17integral_constantIbLb0EES10_IbLb1EEEEDaSW_SX_EUlSW_E_NS1_11comp_targetILNS1_3genE2ELNS1_11target_archE906ELNS1_3gpuE6ELNS1_3repE0EEENS1_30default_config_static_selectorELNS0_4arch9wavefront6targetE0EEEvT1_: ; @_ZN7rocprim17ROCPRIM_400000_NS6detail17trampoline_kernelINS0_14default_configENS1_29reduce_by_key_config_selectorIttN6thrust23THRUST_200600_302600_NS4plusItEEEEZZNS1_33reduce_by_key_impl_wrapped_configILNS1_25lookback_scan_determinismE0ES3_S9_NS6_6detail15normal_iteratorINS6_10device_ptrItEEEESG_SG_SG_PmS8_NS6_8equal_toItEEEE10hipError_tPvRmT2_T3_mT4_T5_T6_T7_T8_P12ihipStream_tbENKUlT_T0_E_clISt17integral_constantIbLb0EES10_IbLb1EEEEDaSW_SX_EUlSW_E_NS1_11comp_targetILNS1_3genE2ELNS1_11target_archE906ELNS1_3gpuE6ELNS1_3repE0EEENS1_30default_config_static_selectorELNS0_4arch9wavefront6targetE0EEEvT1_
; %bb.0:
	.section	.rodata,"a",@progbits
	.p2align	6, 0x0
	.amdhsa_kernel _ZN7rocprim17ROCPRIM_400000_NS6detail17trampoline_kernelINS0_14default_configENS1_29reduce_by_key_config_selectorIttN6thrust23THRUST_200600_302600_NS4plusItEEEEZZNS1_33reduce_by_key_impl_wrapped_configILNS1_25lookback_scan_determinismE0ES3_S9_NS6_6detail15normal_iteratorINS6_10device_ptrItEEEESG_SG_SG_PmS8_NS6_8equal_toItEEEE10hipError_tPvRmT2_T3_mT4_T5_T6_T7_T8_P12ihipStream_tbENKUlT_T0_E_clISt17integral_constantIbLb0EES10_IbLb1EEEEDaSW_SX_EUlSW_E_NS1_11comp_targetILNS1_3genE2ELNS1_11target_archE906ELNS1_3gpuE6ELNS1_3repE0EEENS1_30default_config_static_selectorELNS0_4arch9wavefront6targetE0EEEvT1_
		.amdhsa_group_segment_fixed_size 0
		.amdhsa_private_segment_fixed_size 0
		.amdhsa_kernarg_size 120
		.amdhsa_user_sgpr_count 15
		.amdhsa_user_sgpr_dispatch_ptr 0
		.amdhsa_user_sgpr_queue_ptr 0
		.amdhsa_user_sgpr_kernarg_segment_ptr 1
		.amdhsa_user_sgpr_dispatch_id 0
		.amdhsa_user_sgpr_private_segment_size 0
		.amdhsa_wavefront_size32 1
		.amdhsa_uses_dynamic_stack 0
		.amdhsa_enable_private_segment 0
		.amdhsa_system_sgpr_workgroup_id_x 1
		.amdhsa_system_sgpr_workgroup_id_y 0
		.amdhsa_system_sgpr_workgroup_id_z 0
		.amdhsa_system_sgpr_workgroup_info 0
		.amdhsa_system_vgpr_workitem_id 0
		.amdhsa_next_free_vgpr 1
		.amdhsa_next_free_sgpr 1
		.amdhsa_reserve_vcc 0
		.amdhsa_float_round_mode_32 0
		.amdhsa_float_round_mode_16_64 0
		.amdhsa_float_denorm_mode_32 3
		.amdhsa_float_denorm_mode_16_64 3
		.amdhsa_dx10_clamp 1
		.amdhsa_ieee_mode 1
		.amdhsa_fp16_overflow 0
		.amdhsa_workgroup_processor_mode 1
		.amdhsa_memory_ordered 1
		.amdhsa_forward_progress 0
		.amdhsa_shared_vgpr_count 0
		.amdhsa_exception_fp_ieee_invalid_op 0
		.amdhsa_exception_fp_denorm_src 0
		.amdhsa_exception_fp_ieee_div_zero 0
		.amdhsa_exception_fp_ieee_overflow 0
		.amdhsa_exception_fp_ieee_underflow 0
		.amdhsa_exception_fp_ieee_inexact 0
		.amdhsa_exception_int_div_zero 0
	.end_amdhsa_kernel
	.section	.text._ZN7rocprim17ROCPRIM_400000_NS6detail17trampoline_kernelINS0_14default_configENS1_29reduce_by_key_config_selectorIttN6thrust23THRUST_200600_302600_NS4plusItEEEEZZNS1_33reduce_by_key_impl_wrapped_configILNS1_25lookback_scan_determinismE0ES3_S9_NS6_6detail15normal_iteratorINS6_10device_ptrItEEEESG_SG_SG_PmS8_NS6_8equal_toItEEEE10hipError_tPvRmT2_T3_mT4_T5_T6_T7_T8_P12ihipStream_tbENKUlT_T0_E_clISt17integral_constantIbLb0EES10_IbLb1EEEEDaSW_SX_EUlSW_E_NS1_11comp_targetILNS1_3genE2ELNS1_11target_archE906ELNS1_3gpuE6ELNS1_3repE0EEENS1_30default_config_static_selectorELNS0_4arch9wavefront6targetE0EEEvT1_,"axG",@progbits,_ZN7rocprim17ROCPRIM_400000_NS6detail17trampoline_kernelINS0_14default_configENS1_29reduce_by_key_config_selectorIttN6thrust23THRUST_200600_302600_NS4plusItEEEEZZNS1_33reduce_by_key_impl_wrapped_configILNS1_25lookback_scan_determinismE0ES3_S9_NS6_6detail15normal_iteratorINS6_10device_ptrItEEEESG_SG_SG_PmS8_NS6_8equal_toItEEEE10hipError_tPvRmT2_T3_mT4_T5_T6_T7_T8_P12ihipStream_tbENKUlT_T0_E_clISt17integral_constantIbLb0EES10_IbLb1EEEEDaSW_SX_EUlSW_E_NS1_11comp_targetILNS1_3genE2ELNS1_11target_archE906ELNS1_3gpuE6ELNS1_3repE0EEENS1_30default_config_static_selectorELNS0_4arch9wavefront6targetE0EEEvT1_,comdat
.Lfunc_end426:
	.size	_ZN7rocprim17ROCPRIM_400000_NS6detail17trampoline_kernelINS0_14default_configENS1_29reduce_by_key_config_selectorIttN6thrust23THRUST_200600_302600_NS4plusItEEEEZZNS1_33reduce_by_key_impl_wrapped_configILNS1_25lookback_scan_determinismE0ES3_S9_NS6_6detail15normal_iteratorINS6_10device_ptrItEEEESG_SG_SG_PmS8_NS6_8equal_toItEEEE10hipError_tPvRmT2_T3_mT4_T5_T6_T7_T8_P12ihipStream_tbENKUlT_T0_E_clISt17integral_constantIbLb0EES10_IbLb1EEEEDaSW_SX_EUlSW_E_NS1_11comp_targetILNS1_3genE2ELNS1_11target_archE906ELNS1_3gpuE6ELNS1_3repE0EEENS1_30default_config_static_selectorELNS0_4arch9wavefront6targetE0EEEvT1_, .Lfunc_end426-_ZN7rocprim17ROCPRIM_400000_NS6detail17trampoline_kernelINS0_14default_configENS1_29reduce_by_key_config_selectorIttN6thrust23THRUST_200600_302600_NS4plusItEEEEZZNS1_33reduce_by_key_impl_wrapped_configILNS1_25lookback_scan_determinismE0ES3_S9_NS6_6detail15normal_iteratorINS6_10device_ptrItEEEESG_SG_SG_PmS8_NS6_8equal_toItEEEE10hipError_tPvRmT2_T3_mT4_T5_T6_T7_T8_P12ihipStream_tbENKUlT_T0_E_clISt17integral_constantIbLb0EES10_IbLb1EEEEDaSW_SX_EUlSW_E_NS1_11comp_targetILNS1_3genE2ELNS1_11target_archE906ELNS1_3gpuE6ELNS1_3repE0EEENS1_30default_config_static_selectorELNS0_4arch9wavefront6targetE0EEEvT1_
                                        ; -- End function
	.section	.AMDGPU.csdata,"",@progbits
; Kernel info:
; codeLenInByte = 0
; NumSgprs: 0
; NumVgprs: 0
; ScratchSize: 0
; MemoryBound: 0
; FloatMode: 240
; IeeeMode: 1
; LDSByteSize: 0 bytes/workgroup (compile time only)
; SGPRBlocks: 0
; VGPRBlocks: 0
; NumSGPRsForWavesPerEU: 1
; NumVGPRsForWavesPerEU: 1
; Occupancy: 16
; WaveLimiterHint : 0
; COMPUTE_PGM_RSRC2:SCRATCH_EN: 0
; COMPUTE_PGM_RSRC2:USER_SGPR: 15
; COMPUTE_PGM_RSRC2:TRAP_HANDLER: 0
; COMPUTE_PGM_RSRC2:TGID_X_EN: 1
; COMPUTE_PGM_RSRC2:TGID_Y_EN: 0
; COMPUTE_PGM_RSRC2:TGID_Z_EN: 0
; COMPUTE_PGM_RSRC2:TIDIG_COMP_CNT: 0
	.section	.text._ZN7rocprim17ROCPRIM_400000_NS6detail17trampoline_kernelINS0_14default_configENS1_29reduce_by_key_config_selectorIttN6thrust23THRUST_200600_302600_NS4plusItEEEEZZNS1_33reduce_by_key_impl_wrapped_configILNS1_25lookback_scan_determinismE0ES3_S9_NS6_6detail15normal_iteratorINS6_10device_ptrItEEEESG_SG_SG_PmS8_NS6_8equal_toItEEEE10hipError_tPvRmT2_T3_mT4_T5_T6_T7_T8_P12ihipStream_tbENKUlT_T0_E_clISt17integral_constantIbLb0EES10_IbLb1EEEEDaSW_SX_EUlSW_E_NS1_11comp_targetILNS1_3genE10ELNS1_11target_archE1201ELNS1_3gpuE5ELNS1_3repE0EEENS1_30default_config_static_selectorELNS0_4arch9wavefront6targetE0EEEvT1_,"axG",@progbits,_ZN7rocprim17ROCPRIM_400000_NS6detail17trampoline_kernelINS0_14default_configENS1_29reduce_by_key_config_selectorIttN6thrust23THRUST_200600_302600_NS4plusItEEEEZZNS1_33reduce_by_key_impl_wrapped_configILNS1_25lookback_scan_determinismE0ES3_S9_NS6_6detail15normal_iteratorINS6_10device_ptrItEEEESG_SG_SG_PmS8_NS6_8equal_toItEEEE10hipError_tPvRmT2_T3_mT4_T5_T6_T7_T8_P12ihipStream_tbENKUlT_T0_E_clISt17integral_constantIbLb0EES10_IbLb1EEEEDaSW_SX_EUlSW_E_NS1_11comp_targetILNS1_3genE10ELNS1_11target_archE1201ELNS1_3gpuE5ELNS1_3repE0EEENS1_30default_config_static_selectorELNS0_4arch9wavefront6targetE0EEEvT1_,comdat
	.protected	_ZN7rocprim17ROCPRIM_400000_NS6detail17trampoline_kernelINS0_14default_configENS1_29reduce_by_key_config_selectorIttN6thrust23THRUST_200600_302600_NS4plusItEEEEZZNS1_33reduce_by_key_impl_wrapped_configILNS1_25lookback_scan_determinismE0ES3_S9_NS6_6detail15normal_iteratorINS6_10device_ptrItEEEESG_SG_SG_PmS8_NS6_8equal_toItEEEE10hipError_tPvRmT2_T3_mT4_T5_T6_T7_T8_P12ihipStream_tbENKUlT_T0_E_clISt17integral_constantIbLb0EES10_IbLb1EEEEDaSW_SX_EUlSW_E_NS1_11comp_targetILNS1_3genE10ELNS1_11target_archE1201ELNS1_3gpuE5ELNS1_3repE0EEENS1_30default_config_static_selectorELNS0_4arch9wavefront6targetE0EEEvT1_ ; -- Begin function _ZN7rocprim17ROCPRIM_400000_NS6detail17trampoline_kernelINS0_14default_configENS1_29reduce_by_key_config_selectorIttN6thrust23THRUST_200600_302600_NS4plusItEEEEZZNS1_33reduce_by_key_impl_wrapped_configILNS1_25lookback_scan_determinismE0ES3_S9_NS6_6detail15normal_iteratorINS6_10device_ptrItEEEESG_SG_SG_PmS8_NS6_8equal_toItEEEE10hipError_tPvRmT2_T3_mT4_T5_T6_T7_T8_P12ihipStream_tbENKUlT_T0_E_clISt17integral_constantIbLb0EES10_IbLb1EEEEDaSW_SX_EUlSW_E_NS1_11comp_targetILNS1_3genE10ELNS1_11target_archE1201ELNS1_3gpuE5ELNS1_3repE0EEENS1_30default_config_static_selectorELNS0_4arch9wavefront6targetE0EEEvT1_
	.globl	_ZN7rocprim17ROCPRIM_400000_NS6detail17trampoline_kernelINS0_14default_configENS1_29reduce_by_key_config_selectorIttN6thrust23THRUST_200600_302600_NS4plusItEEEEZZNS1_33reduce_by_key_impl_wrapped_configILNS1_25lookback_scan_determinismE0ES3_S9_NS6_6detail15normal_iteratorINS6_10device_ptrItEEEESG_SG_SG_PmS8_NS6_8equal_toItEEEE10hipError_tPvRmT2_T3_mT4_T5_T6_T7_T8_P12ihipStream_tbENKUlT_T0_E_clISt17integral_constantIbLb0EES10_IbLb1EEEEDaSW_SX_EUlSW_E_NS1_11comp_targetILNS1_3genE10ELNS1_11target_archE1201ELNS1_3gpuE5ELNS1_3repE0EEENS1_30default_config_static_selectorELNS0_4arch9wavefront6targetE0EEEvT1_
	.p2align	8
	.type	_ZN7rocprim17ROCPRIM_400000_NS6detail17trampoline_kernelINS0_14default_configENS1_29reduce_by_key_config_selectorIttN6thrust23THRUST_200600_302600_NS4plusItEEEEZZNS1_33reduce_by_key_impl_wrapped_configILNS1_25lookback_scan_determinismE0ES3_S9_NS6_6detail15normal_iteratorINS6_10device_ptrItEEEESG_SG_SG_PmS8_NS6_8equal_toItEEEE10hipError_tPvRmT2_T3_mT4_T5_T6_T7_T8_P12ihipStream_tbENKUlT_T0_E_clISt17integral_constantIbLb0EES10_IbLb1EEEEDaSW_SX_EUlSW_E_NS1_11comp_targetILNS1_3genE10ELNS1_11target_archE1201ELNS1_3gpuE5ELNS1_3repE0EEENS1_30default_config_static_selectorELNS0_4arch9wavefront6targetE0EEEvT1_,@function
_ZN7rocprim17ROCPRIM_400000_NS6detail17trampoline_kernelINS0_14default_configENS1_29reduce_by_key_config_selectorIttN6thrust23THRUST_200600_302600_NS4plusItEEEEZZNS1_33reduce_by_key_impl_wrapped_configILNS1_25lookback_scan_determinismE0ES3_S9_NS6_6detail15normal_iteratorINS6_10device_ptrItEEEESG_SG_SG_PmS8_NS6_8equal_toItEEEE10hipError_tPvRmT2_T3_mT4_T5_T6_T7_T8_P12ihipStream_tbENKUlT_T0_E_clISt17integral_constantIbLb0EES10_IbLb1EEEEDaSW_SX_EUlSW_E_NS1_11comp_targetILNS1_3genE10ELNS1_11target_archE1201ELNS1_3gpuE5ELNS1_3repE0EEENS1_30default_config_static_selectorELNS0_4arch9wavefront6targetE0EEEvT1_: ; @_ZN7rocprim17ROCPRIM_400000_NS6detail17trampoline_kernelINS0_14default_configENS1_29reduce_by_key_config_selectorIttN6thrust23THRUST_200600_302600_NS4plusItEEEEZZNS1_33reduce_by_key_impl_wrapped_configILNS1_25lookback_scan_determinismE0ES3_S9_NS6_6detail15normal_iteratorINS6_10device_ptrItEEEESG_SG_SG_PmS8_NS6_8equal_toItEEEE10hipError_tPvRmT2_T3_mT4_T5_T6_T7_T8_P12ihipStream_tbENKUlT_T0_E_clISt17integral_constantIbLb0EES10_IbLb1EEEEDaSW_SX_EUlSW_E_NS1_11comp_targetILNS1_3genE10ELNS1_11target_archE1201ELNS1_3gpuE5ELNS1_3repE0EEENS1_30default_config_static_selectorELNS0_4arch9wavefront6targetE0EEEvT1_
; %bb.0:
	.section	.rodata,"a",@progbits
	.p2align	6, 0x0
	.amdhsa_kernel _ZN7rocprim17ROCPRIM_400000_NS6detail17trampoline_kernelINS0_14default_configENS1_29reduce_by_key_config_selectorIttN6thrust23THRUST_200600_302600_NS4plusItEEEEZZNS1_33reduce_by_key_impl_wrapped_configILNS1_25lookback_scan_determinismE0ES3_S9_NS6_6detail15normal_iteratorINS6_10device_ptrItEEEESG_SG_SG_PmS8_NS6_8equal_toItEEEE10hipError_tPvRmT2_T3_mT4_T5_T6_T7_T8_P12ihipStream_tbENKUlT_T0_E_clISt17integral_constantIbLb0EES10_IbLb1EEEEDaSW_SX_EUlSW_E_NS1_11comp_targetILNS1_3genE10ELNS1_11target_archE1201ELNS1_3gpuE5ELNS1_3repE0EEENS1_30default_config_static_selectorELNS0_4arch9wavefront6targetE0EEEvT1_
		.amdhsa_group_segment_fixed_size 0
		.amdhsa_private_segment_fixed_size 0
		.amdhsa_kernarg_size 120
		.amdhsa_user_sgpr_count 15
		.amdhsa_user_sgpr_dispatch_ptr 0
		.amdhsa_user_sgpr_queue_ptr 0
		.amdhsa_user_sgpr_kernarg_segment_ptr 1
		.amdhsa_user_sgpr_dispatch_id 0
		.amdhsa_user_sgpr_private_segment_size 0
		.amdhsa_wavefront_size32 1
		.amdhsa_uses_dynamic_stack 0
		.amdhsa_enable_private_segment 0
		.amdhsa_system_sgpr_workgroup_id_x 1
		.amdhsa_system_sgpr_workgroup_id_y 0
		.amdhsa_system_sgpr_workgroup_id_z 0
		.amdhsa_system_sgpr_workgroup_info 0
		.amdhsa_system_vgpr_workitem_id 0
		.amdhsa_next_free_vgpr 1
		.amdhsa_next_free_sgpr 1
		.amdhsa_reserve_vcc 0
		.amdhsa_float_round_mode_32 0
		.amdhsa_float_round_mode_16_64 0
		.amdhsa_float_denorm_mode_32 3
		.amdhsa_float_denorm_mode_16_64 3
		.amdhsa_dx10_clamp 1
		.amdhsa_ieee_mode 1
		.amdhsa_fp16_overflow 0
		.amdhsa_workgroup_processor_mode 1
		.amdhsa_memory_ordered 1
		.amdhsa_forward_progress 0
		.amdhsa_shared_vgpr_count 0
		.amdhsa_exception_fp_ieee_invalid_op 0
		.amdhsa_exception_fp_denorm_src 0
		.amdhsa_exception_fp_ieee_div_zero 0
		.amdhsa_exception_fp_ieee_overflow 0
		.amdhsa_exception_fp_ieee_underflow 0
		.amdhsa_exception_fp_ieee_inexact 0
		.amdhsa_exception_int_div_zero 0
	.end_amdhsa_kernel
	.section	.text._ZN7rocprim17ROCPRIM_400000_NS6detail17trampoline_kernelINS0_14default_configENS1_29reduce_by_key_config_selectorIttN6thrust23THRUST_200600_302600_NS4plusItEEEEZZNS1_33reduce_by_key_impl_wrapped_configILNS1_25lookback_scan_determinismE0ES3_S9_NS6_6detail15normal_iteratorINS6_10device_ptrItEEEESG_SG_SG_PmS8_NS6_8equal_toItEEEE10hipError_tPvRmT2_T3_mT4_T5_T6_T7_T8_P12ihipStream_tbENKUlT_T0_E_clISt17integral_constantIbLb0EES10_IbLb1EEEEDaSW_SX_EUlSW_E_NS1_11comp_targetILNS1_3genE10ELNS1_11target_archE1201ELNS1_3gpuE5ELNS1_3repE0EEENS1_30default_config_static_selectorELNS0_4arch9wavefront6targetE0EEEvT1_,"axG",@progbits,_ZN7rocprim17ROCPRIM_400000_NS6detail17trampoline_kernelINS0_14default_configENS1_29reduce_by_key_config_selectorIttN6thrust23THRUST_200600_302600_NS4plusItEEEEZZNS1_33reduce_by_key_impl_wrapped_configILNS1_25lookback_scan_determinismE0ES3_S9_NS6_6detail15normal_iteratorINS6_10device_ptrItEEEESG_SG_SG_PmS8_NS6_8equal_toItEEEE10hipError_tPvRmT2_T3_mT4_T5_T6_T7_T8_P12ihipStream_tbENKUlT_T0_E_clISt17integral_constantIbLb0EES10_IbLb1EEEEDaSW_SX_EUlSW_E_NS1_11comp_targetILNS1_3genE10ELNS1_11target_archE1201ELNS1_3gpuE5ELNS1_3repE0EEENS1_30default_config_static_selectorELNS0_4arch9wavefront6targetE0EEEvT1_,comdat
.Lfunc_end427:
	.size	_ZN7rocprim17ROCPRIM_400000_NS6detail17trampoline_kernelINS0_14default_configENS1_29reduce_by_key_config_selectorIttN6thrust23THRUST_200600_302600_NS4plusItEEEEZZNS1_33reduce_by_key_impl_wrapped_configILNS1_25lookback_scan_determinismE0ES3_S9_NS6_6detail15normal_iteratorINS6_10device_ptrItEEEESG_SG_SG_PmS8_NS6_8equal_toItEEEE10hipError_tPvRmT2_T3_mT4_T5_T6_T7_T8_P12ihipStream_tbENKUlT_T0_E_clISt17integral_constantIbLb0EES10_IbLb1EEEEDaSW_SX_EUlSW_E_NS1_11comp_targetILNS1_3genE10ELNS1_11target_archE1201ELNS1_3gpuE5ELNS1_3repE0EEENS1_30default_config_static_selectorELNS0_4arch9wavefront6targetE0EEEvT1_, .Lfunc_end427-_ZN7rocprim17ROCPRIM_400000_NS6detail17trampoline_kernelINS0_14default_configENS1_29reduce_by_key_config_selectorIttN6thrust23THRUST_200600_302600_NS4plusItEEEEZZNS1_33reduce_by_key_impl_wrapped_configILNS1_25lookback_scan_determinismE0ES3_S9_NS6_6detail15normal_iteratorINS6_10device_ptrItEEEESG_SG_SG_PmS8_NS6_8equal_toItEEEE10hipError_tPvRmT2_T3_mT4_T5_T6_T7_T8_P12ihipStream_tbENKUlT_T0_E_clISt17integral_constantIbLb0EES10_IbLb1EEEEDaSW_SX_EUlSW_E_NS1_11comp_targetILNS1_3genE10ELNS1_11target_archE1201ELNS1_3gpuE5ELNS1_3repE0EEENS1_30default_config_static_selectorELNS0_4arch9wavefront6targetE0EEEvT1_
                                        ; -- End function
	.section	.AMDGPU.csdata,"",@progbits
; Kernel info:
; codeLenInByte = 0
; NumSgprs: 0
; NumVgprs: 0
; ScratchSize: 0
; MemoryBound: 0
; FloatMode: 240
; IeeeMode: 1
; LDSByteSize: 0 bytes/workgroup (compile time only)
; SGPRBlocks: 0
; VGPRBlocks: 0
; NumSGPRsForWavesPerEU: 1
; NumVGPRsForWavesPerEU: 1
; Occupancy: 16
; WaveLimiterHint : 0
; COMPUTE_PGM_RSRC2:SCRATCH_EN: 0
; COMPUTE_PGM_RSRC2:USER_SGPR: 15
; COMPUTE_PGM_RSRC2:TRAP_HANDLER: 0
; COMPUTE_PGM_RSRC2:TGID_X_EN: 1
; COMPUTE_PGM_RSRC2:TGID_Y_EN: 0
; COMPUTE_PGM_RSRC2:TGID_Z_EN: 0
; COMPUTE_PGM_RSRC2:TIDIG_COMP_CNT: 0
	.section	.text._ZN7rocprim17ROCPRIM_400000_NS6detail17trampoline_kernelINS0_14default_configENS1_29reduce_by_key_config_selectorIttN6thrust23THRUST_200600_302600_NS4plusItEEEEZZNS1_33reduce_by_key_impl_wrapped_configILNS1_25lookback_scan_determinismE0ES3_S9_NS6_6detail15normal_iteratorINS6_10device_ptrItEEEESG_SG_SG_PmS8_NS6_8equal_toItEEEE10hipError_tPvRmT2_T3_mT4_T5_T6_T7_T8_P12ihipStream_tbENKUlT_T0_E_clISt17integral_constantIbLb0EES10_IbLb1EEEEDaSW_SX_EUlSW_E_NS1_11comp_targetILNS1_3genE10ELNS1_11target_archE1200ELNS1_3gpuE4ELNS1_3repE0EEENS1_30default_config_static_selectorELNS0_4arch9wavefront6targetE0EEEvT1_,"axG",@progbits,_ZN7rocprim17ROCPRIM_400000_NS6detail17trampoline_kernelINS0_14default_configENS1_29reduce_by_key_config_selectorIttN6thrust23THRUST_200600_302600_NS4plusItEEEEZZNS1_33reduce_by_key_impl_wrapped_configILNS1_25lookback_scan_determinismE0ES3_S9_NS6_6detail15normal_iteratorINS6_10device_ptrItEEEESG_SG_SG_PmS8_NS6_8equal_toItEEEE10hipError_tPvRmT2_T3_mT4_T5_T6_T7_T8_P12ihipStream_tbENKUlT_T0_E_clISt17integral_constantIbLb0EES10_IbLb1EEEEDaSW_SX_EUlSW_E_NS1_11comp_targetILNS1_3genE10ELNS1_11target_archE1200ELNS1_3gpuE4ELNS1_3repE0EEENS1_30default_config_static_selectorELNS0_4arch9wavefront6targetE0EEEvT1_,comdat
	.protected	_ZN7rocprim17ROCPRIM_400000_NS6detail17trampoline_kernelINS0_14default_configENS1_29reduce_by_key_config_selectorIttN6thrust23THRUST_200600_302600_NS4plusItEEEEZZNS1_33reduce_by_key_impl_wrapped_configILNS1_25lookback_scan_determinismE0ES3_S9_NS6_6detail15normal_iteratorINS6_10device_ptrItEEEESG_SG_SG_PmS8_NS6_8equal_toItEEEE10hipError_tPvRmT2_T3_mT4_T5_T6_T7_T8_P12ihipStream_tbENKUlT_T0_E_clISt17integral_constantIbLb0EES10_IbLb1EEEEDaSW_SX_EUlSW_E_NS1_11comp_targetILNS1_3genE10ELNS1_11target_archE1200ELNS1_3gpuE4ELNS1_3repE0EEENS1_30default_config_static_selectorELNS0_4arch9wavefront6targetE0EEEvT1_ ; -- Begin function _ZN7rocprim17ROCPRIM_400000_NS6detail17trampoline_kernelINS0_14default_configENS1_29reduce_by_key_config_selectorIttN6thrust23THRUST_200600_302600_NS4plusItEEEEZZNS1_33reduce_by_key_impl_wrapped_configILNS1_25lookback_scan_determinismE0ES3_S9_NS6_6detail15normal_iteratorINS6_10device_ptrItEEEESG_SG_SG_PmS8_NS6_8equal_toItEEEE10hipError_tPvRmT2_T3_mT4_T5_T6_T7_T8_P12ihipStream_tbENKUlT_T0_E_clISt17integral_constantIbLb0EES10_IbLb1EEEEDaSW_SX_EUlSW_E_NS1_11comp_targetILNS1_3genE10ELNS1_11target_archE1200ELNS1_3gpuE4ELNS1_3repE0EEENS1_30default_config_static_selectorELNS0_4arch9wavefront6targetE0EEEvT1_
	.globl	_ZN7rocprim17ROCPRIM_400000_NS6detail17trampoline_kernelINS0_14default_configENS1_29reduce_by_key_config_selectorIttN6thrust23THRUST_200600_302600_NS4plusItEEEEZZNS1_33reduce_by_key_impl_wrapped_configILNS1_25lookback_scan_determinismE0ES3_S9_NS6_6detail15normal_iteratorINS6_10device_ptrItEEEESG_SG_SG_PmS8_NS6_8equal_toItEEEE10hipError_tPvRmT2_T3_mT4_T5_T6_T7_T8_P12ihipStream_tbENKUlT_T0_E_clISt17integral_constantIbLb0EES10_IbLb1EEEEDaSW_SX_EUlSW_E_NS1_11comp_targetILNS1_3genE10ELNS1_11target_archE1200ELNS1_3gpuE4ELNS1_3repE0EEENS1_30default_config_static_selectorELNS0_4arch9wavefront6targetE0EEEvT1_
	.p2align	8
	.type	_ZN7rocprim17ROCPRIM_400000_NS6detail17trampoline_kernelINS0_14default_configENS1_29reduce_by_key_config_selectorIttN6thrust23THRUST_200600_302600_NS4plusItEEEEZZNS1_33reduce_by_key_impl_wrapped_configILNS1_25lookback_scan_determinismE0ES3_S9_NS6_6detail15normal_iteratorINS6_10device_ptrItEEEESG_SG_SG_PmS8_NS6_8equal_toItEEEE10hipError_tPvRmT2_T3_mT4_T5_T6_T7_T8_P12ihipStream_tbENKUlT_T0_E_clISt17integral_constantIbLb0EES10_IbLb1EEEEDaSW_SX_EUlSW_E_NS1_11comp_targetILNS1_3genE10ELNS1_11target_archE1200ELNS1_3gpuE4ELNS1_3repE0EEENS1_30default_config_static_selectorELNS0_4arch9wavefront6targetE0EEEvT1_,@function
_ZN7rocprim17ROCPRIM_400000_NS6detail17trampoline_kernelINS0_14default_configENS1_29reduce_by_key_config_selectorIttN6thrust23THRUST_200600_302600_NS4plusItEEEEZZNS1_33reduce_by_key_impl_wrapped_configILNS1_25lookback_scan_determinismE0ES3_S9_NS6_6detail15normal_iteratorINS6_10device_ptrItEEEESG_SG_SG_PmS8_NS6_8equal_toItEEEE10hipError_tPvRmT2_T3_mT4_T5_T6_T7_T8_P12ihipStream_tbENKUlT_T0_E_clISt17integral_constantIbLb0EES10_IbLb1EEEEDaSW_SX_EUlSW_E_NS1_11comp_targetILNS1_3genE10ELNS1_11target_archE1200ELNS1_3gpuE4ELNS1_3repE0EEENS1_30default_config_static_selectorELNS0_4arch9wavefront6targetE0EEEvT1_: ; @_ZN7rocprim17ROCPRIM_400000_NS6detail17trampoline_kernelINS0_14default_configENS1_29reduce_by_key_config_selectorIttN6thrust23THRUST_200600_302600_NS4plusItEEEEZZNS1_33reduce_by_key_impl_wrapped_configILNS1_25lookback_scan_determinismE0ES3_S9_NS6_6detail15normal_iteratorINS6_10device_ptrItEEEESG_SG_SG_PmS8_NS6_8equal_toItEEEE10hipError_tPvRmT2_T3_mT4_T5_T6_T7_T8_P12ihipStream_tbENKUlT_T0_E_clISt17integral_constantIbLb0EES10_IbLb1EEEEDaSW_SX_EUlSW_E_NS1_11comp_targetILNS1_3genE10ELNS1_11target_archE1200ELNS1_3gpuE4ELNS1_3repE0EEENS1_30default_config_static_selectorELNS0_4arch9wavefront6targetE0EEEvT1_
; %bb.0:
	.section	.rodata,"a",@progbits
	.p2align	6, 0x0
	.amdhsa_kernel _ZN7rocprim17ROCPRIM_400000_NS6detail17trampoline_kernelINS0_14default_configENS1_29reduce_by_key_config_selectorIttN6thrust23THRUST_200600_302600_NS4plusItEEEEZZNS1_33reduce_by_key_impl_wrapped_configILNS1_25lookback_scan_determinismE0ES3_S9_NS6_6detail15normal_iteratorINS6_10device_ptrItEEEESG_SG_SG_PmS8_NS6_8equal_toItEEEE10hipError_tPvRmT2_T3_mT4_T5_T6_T7_T8_P12ihipStream_tbENKUlT_T0_E_clISt17integral_constantIbLb0EES10_IbLb1EEEEDaSW_SX_EUlSW_E_NS1_11comp_targetILNS1_3genE10ELNS1_11target_archE1200ELNS1_3gpuE4ELNS1_3repE0EEENS1_30default_config_static_selectorELNS0_4arch9wavefront6targetE0EEEvT1_
		.amdhsa_group_segment_fixed_size 0
		.amdhsa_private_segment_fixed_size 0
		.amdhsa_kernarg_size 120
		.amdhsa_user_sgpr_count 15
		.amdhsa_user_sgpr_dispatch_ptr 0
		.amdhsa_user_sgpr_queue_ptr 0
		.amdhsa_user_sgpr_kernarg_segment_ptr 1
		.amdhsa_user_sgpr_dispatch_id 0
		.amdhsa_user_sgpr_private_segment_size 0
		.amdhsa_wavefront_size32 1
		.amdhsa_uses_dynamic_stack 0
		.amdhsa_enable_private_segment 0
		.amdhsa_system_sgpr_workgroup_id_x 1
		.amdhsa_system_sgpr_workgroup_id_y 0
		.amdhsa_system_sgpr_workgroup_id_z 0
		.amdhsa_system_sgpr_workgroup_info 0
		.amdhsa_system_vgpr_workitem_id 0
		.amdhsa_next_free_vgpr 1
		.amdhsa_next_free_sgpr 1
		.amdhsa_reserve_vcc 0
		.amdhsa_float_round_mode_32 0
		.amdhsa_float_round_mode_16_64 0
		.amdhsa_float_denorm_mode_32 3
		.amdhsa_float_denorm_mode_16_64 3
		.amdhsa_dx10_clamp 1
		.amdhsa_ieee_mode 1
		.amdhsa_fp16_overflow 0
		.amdhsa_workgroup_processor_mode 1
		.amdhsa_memory_ordered 1
		.amdhsa_forward_progress 0
		.amdhsa_shared_vgpr_count 0
		.amdhsa_exception_fp_ieee_invalid_op 0
		.amdhsa_exception_fp_denorm_src 0
		.amdhsa_exception_fp_ieee_div_zero 0
		.amdhsa_exception_fp_ieee_overflow 0
		.amdhsa_exception_fp_ieee_underflow 0
		.amdhsa_exception_fp_ieee_inexact 0
		.amdhsa_exception_int_div_zero 0
	.end_amdhsa_kernel
	.section	.text._ZN7rocprim17ROCPRIM_400000_NS6detail17trampoline_kernelINS0_14default_configENS1_29reduce_by_key_config_selectorIttN6thrust23THRUST_200600_302600_NS4plusItEEEEZZNS1_33reduce_by_key_impl_wrapped_configILNS1_25lookback_scan_determinismE0ES3_S9_NS6_6detail15normal_iteratorINS6_10device_ptrItEEEESG_SG_SG_PmS8_NS6_8equal_toItEEEE10hipError_tPvRmT2_T3_mT4_T5_T6_T7_T8_P12ihipStream_tbENKUlT_T0_E_clISt17integral_constantIbLb0EES10_IbLb1EEEEDaSW_SX_EUlSW_E_NS1_11comp_targetILNS1_3genE10ELNS1_11target_archE1200ELNS1_3gpuE4ELNS1_3repE0EEENS1_30default_config_static_selectorELNS0_4arch9wavefront6targetE0EEEvT1_,"axG",@progbits,_ZN7rocprim17ROCPRIM_400000_NS6detail17trampoline_kernelINS0_14default_configENS1_29reduce_by_key_config_selectorIttN6thrust23THRUST_200600_302600_NS4plusItEEEEZZNS1_33reduce_by_key_impl_wrapped_configILNS1_25lookback_scan_determinismE0ES3_S9_NS6_6detail15normal_iteratorINS6_10device_ptrItEEEESG_SG_SG_PmS8_NS6_8equal_toItEEEE10hipError_tPvRmT2_T3_mT4_T5_T6_T7_T8_P12ihipStream_tbENKUlT_T0_E_clISt17integral_constantIbLb0EES10_IbLb1EEEEDaSW_SX_EUlSW_E_NS1_11comp_targetILNS1_3genE10ELNS1_11target_archE1200ELNS1_3gpuE4ELNS1_3repE0EEENS1_30default_config_static_selectorELNS0_4arch9wavefront6targetE0EEEvT1_,comdat
.Lfunc_end428:
	.size	_ZN7rocprim17ROCPRIM_400000_NS6detail17trampoline_kernelINS0_14default_configENS1_29reduce_by_key_config_selectorIttN6thrust23THRUST_200600_302600_NS4plusItEEEEZZNS1_33reduce_by_key_impl_wrapped_configILNS1_25lookback_scan_determinismE0ES3_S9_NS6_6detail15normal_iteratorINS6_10device_ptrItEEEESG_SG_SG_PmS8_NS6_8equal_toItEEEE10hipError_tPvRmT2_T3_mT4_T5_T6_T7_T8_P12ihipStream_tbENKUlT_T0_E_clISt17integral_constantIbLb0EES10_IbLb1EEEEDaSW_SX_EUlSW_E_NS1_11comp_targetILNS1_3genE10ELNS1_11target_archE1200ELNS1_3gpuE4ELNS1_3repE0EEENS1_30default_config_static_selectorELNS0_4arch9wavefront6targetE0EEEvT1_, .Lfunc_end428-_ZN7rocprim17ROCPRIM_400000_NS6detail17trampoline_kernelINS0_14default_configENS1_29reduce_by_key_config_selectorIttN6thrust23THRUST_200600_302600_NS4plusItEEEEZZNS1_33reduce_by_key_impl_wrapped_configILNS1_25lookback_scan_determinismE0ES3_S9_NS6_6detail15normal_iteratorINS6_10device_ptrItEEEESG_SG_SG_PmS8_NS6_8equal_toItEEEE10hipError_tPvRmT2_T3_mT4_T5_T6_T7_T8_P12ihipStream_tbENKUlT_T0_E_clISt17integral_constantIbLb0EES10_IbLb1EEEEDaSW_SX_EUlSW_E_NS1_11comp_targetILNS1_3genE10ELNS1_11target_archE1200ELNS1_3gpuE4ELNS1_3repE0EEENS1_30default_config_static_selectorELNS0_4arch9wavefront6targetE0EEEvT1_
                                        ; -- End function
	.section	.AMDGPU.csdata,"",@progbits
; Kernel info:
; codeLenInByte = 0
; NumSgprs: 0
; NumVgprs: 0
; ScratchSize: 0
; MemoryBound: 0
; FloatMode: 240
; IeeeMode: 1
; LDSByteSize: 0 bytes/workgroup (compile time only)
; SGPRBlocks: 0
; VGPRBlocks: 0
; NumSGPRsForWavesPerEU: 1
; NumVGPRsForWavesPerEU: 1
; Occupancy: 16
; WaveLimiterHint : 0
; COMPUTE_PGM_RSRC2:SCRATCH_EN: 0
; COMPUTE_PGM_RSRC2:USER_SGPR: 15
; COMPUTE_PGM_RSRC2:TRAP_HANDLER: 0
; COMPUTE_PGM_RSRC2:TGID_X_EN: 1
; COMPUTE_PGM_RSRC2:TGID_Y_EN: 0
; COMPUTE_PGM_RSRC2:TGID_Z_EN: 0
; COMPUTE_PGM_RSRC2:TIDIG_COMP_CNT: 0
	.section	.text._ZN7rocprim17ROCPRIM_400000_NS6detail17trampoline_kernelINS0_14default_configENS1_29reduce_by_key_config_selectorIttN6thrust23THRUST_200600_302600_NS4plusItEEEEZZNS1_33reduce_by_key_impl_wrapped_configILNS1_25lookback_scan_determinismE0ES3_S9_NS6_6detail15normal_iteratorINS6_10device_ptrItEEEESG_SG_SG_PmS8_NS6_8equal_toItEEEE10hipError_tPvRmT2_T3_mT4_T5_T6_T7_T8_P12ihipStream_tbENKUlT_T0_E_clISt17integral_constantIbLb0EES10_IbLb1EEEEDaSW_SX_EUlSW_E_NS1_11comp_targetILNS1_3genE9ELNS1_11target_archE1100ELNS1_3gpuE3ELNS1_3repE0EEENS1_30default_config_static_selectorELNS0_4arch9wavefront6targetE0EEEvT1_,"axG",@progbits,_ZN7rocprim17ROCPRIM_400000_NS6detail17trampoline_kernelINS0_14default_configENS1_29reduce_by_key_config_selectorIttN6thrust23THRUST_200600_302600_NS4plusItEEEEZZNS1_33reduce_by_key_impl_wrapped_configILNS1_25lookback_scan_determinismE0ES3_S9_NS6_6detail15normal_iteratorINS6_10device_ptrItEEEESG_SG_SG_PmS8_NS6_8equal_toItEEEE10hipError_tPvRmT2_T3_mT4_T5_T6_T7_T8_P12ihipStream_tbENKUlT_T0_E_clISt17integral_constantIbLb0EES10_IbLb1EEEEDaSW_SX_EUlSW_E_NS1_11comp_targetILNS1_3genE9ELNS1_11target_archE1100ELNS1_3gpuE3ELNS1_3repE0EEENS1_30default_config_static_selectorELNS0_4arch9wavefront6targetE0EEEvT1_,comdat
	.protected	_ZN7rocprim17ROCPRIM_400000_NS6detail17trampoline_kernelINS0_14default_configENS1_29reduce_by_key_config_selectorIttN6thrust23THRUST_200600_302600_NS4plusItEEEEZZNS1_33reduce_by_key_impl_wrapped_configILNS1_25lookback_scan_determinismE0ES3_S9_NS6_6detail15normal_iteratorINS6_10device_ptrItEEEESG_SG_SG_PmS8_NS6_8equal_toItEEEE10hipError_tPvRmT2_T3_mT4_T5_T6_T7_T8_P12ihipStream_tbENKUlT_T0_E_clISt17integral_constantIbLb0EES10_IbLb1EEEEDaSW_SX_EUlSW_E_NS1_11comp_targetILNS1_3genE9ELNS1_11target_archE1100ELNS1_3gpuE3ELNS1_3repE0EEENS1_30default_config_static_selectorELNS0_4arch9wavefront6targetE0EEEvT1_ ; -- Begin function _ZN7rocprim17ROCPRIM_400000_NS6detail17trampoline_kernelINS0_14default_configENS1_29reduce_by_key_config_selectorIttN6thrust23THRUST_200600_302600_NS4plusItEEEEZZNS1_33reduce_by_key_impl_wrapped_configILNS1_25lookback_scan_determinismE0ES3_S9_NS6_6detail15normal_iteratorINS6_10device_ptrItEEEESG_SG_SG_PmS8_NS6_8equal_toItEEEE10hipError_tPvRmT2_T3_mT4_T5_T6_T7_T8_P12ihipStream_tbENKUlT_T0_E_clISt17integral_constantIbLb0EES10_IbLb1EEEEDaSW_SX_EUlSW_E_NS1_11comp_targetILNS1_3genE9ELNS1_11target_archE1100ELNS1_3gpuE3ELNS1_3repE0EEENS1_30default_config_static_selectorELNS0_4arch9wavefront6targetE0EEEvT1_
	.globl	_ZN7rocprim17ROCPRIM_400000_NS6detail17trampoline_kernelINS0_14default_configENS1_29reduce_by_key_config_selectorIttN6thrust23THRUST_200600_302600_NS4plusItEEEEZZNS1_33reduce_by_key_impl_wrapped_configILNS1_25lookback_scan_determinismE0ES3_S9_NS6_6detail15normal_iteratorINS6_10device_ptrItEEEESG_SG_SG_PmS8_NS6_8equal_toItEEEE10hipError_tPvRmT2_T3_mT4_T5_T6_T7_T8_P12ihipStream_tbENKUlT_T0_E_clISt17integral_constantIbLb0EES10_IbLb1EEEEDaSW_SX_EUlSW_E_NS1_11comp_targetILNS1_3genE9ELNS1_11target_archE1100ELNS1_3gpuE3ELNS1_3repE0EEENS1_30default_config_static_selectorELNS0_4arch9wavefront6targetE0EEEvT1_
	.p2align	8
	.type	_ZN7rocprim17ROCPRIM_400000_NS6detail17trampoline_kernelINS0_14default_configENS1_29reduce_by_key_config_selectorIttN6thrust23THRUST_200600_302600_NS4plusItEEEEZZNS1_33reduce_by_key_impl_wrapped_configILNS1_25lookback_scan_determinismE0ES3_S9_NS6_6detail15normal_iteratorINS6_10device_ptrItEEEESG_SG_SG_PmS8_NS6_8equal_toItEEEE10hipError_tPvRmT2_T3_mT4_T5_T6_T7_T8_P12ihipStream_tbENKUlT_T0_E_clISt17integral_constantIbLb0EES10_IbLb1EEEEDaSW_SX_EUlSW_E_NS1_11comp_targetILNS1_3genE9ELNS1_11target_archE1100ELNS1_3gpuE3ELNS1_3repE0EEENS1_30default_config_static_selectorELNS0_4arch9wavefront6targetE0EEEvT1_,@function
_ZN7rocprim17ROCPRIM_400000_NS6detail17trampoline_kernelINS0_14default_configENS1_29reduce_by_key_config_selectorIttN6thrust23THRUST_200600_302600_NS4plusItEEEEZZNS1_33reduce_by_key_impl_wrapped_configILNS1_25lookback_scan_determinismE0ES3_S9_NS6_6detail15normal_iteratorINS6_10device_ptrItEEEESG_SG_SG_PmS8_NS6_8equal_toItEEEE10hipError_tPvRmT2_T3_mT4_T5_T6_T7_T8_P12ihipStream_tbENKUlT_T0_E_clISt17integral_constantIbLb0EES10_IbLb1EEEEDaSW_SX_EUlSW_E_NS1_11comp_targetILNS1_3genE9ELNS1_11target_archE1100ELNS1_3gpuE3ELNS1_3repE0EEENS1_30default_config_static_selectorELNS0_4arch9wavefront6targetE0EEEvT1_: ; @_ZN7rocprim17ROCPRIM_400000_NS6detail17trampoline_kernelINS0_14default_configENS1_29reduce_by_key_config_selectorIttN6thrust23THRUST_200600_302600_NS4plusItEEEEZZNS1_33reduce_by_key_impl_wrapped_configILNS1_25lookback_scan_determinismE0ES3_S9_NS6_6detail15normal_iteratorINS6_10device_ptrItEEEESG_SG_SG_PmS8_NS6_8equal_toItEEEE10hipError_tPvRmT2_T3_mT4_T5_T6_T7_T8_P12ihipStream_tbENKUlT_T0_E_clISt17integral_constantIbLb0EES10_IbLb1EEEEDaSW_SX_EUlSW_E_NS1_11comp_targetILNS1_3genE9ELNS1_11target_archE1100ELNS1_3gpuE3ELNS1_3repE0EEENS1_30default_config_static_selectorELNS0_4arch9wavefront6targetE0EEEvT1_
; %bb.0:
	s_clause 0x4
	s_load_b256 s[12:19], s[0:1], 0x0
	s_load_b128 s[28:31], s[0:1], 0x20
	s_load_b256 s[20:27], s[0:1], 0x38
	s_load_b64 s[34:35], s[0:1], 0x68
	s_load_b128 s[36:39], s[0:1], 0x58
	v_cmp_ne_u32_e64 s3, 0, v0
	v_cmp_eq_u32_e64 s2, 0, v0
	s_delay_alu instid0(VALU_DEP_1)
	s_and_saveexec_b32 s4, s2
	s_cbranch_execz .LBB429_4
; %bb.1:
	s_mov_b32 s6, exec_lo
	s_mov_b32 s5, exec_lo
	v_mbcnt_lo_u32_b32 v1, s6, 0
                                        ; implicit-def: $vgpr2
	s_delay_alu instid0(VALU_DEP_1)
	v_cmpx_eq_u32_e32 0, v1
	s_cbranch_execz .LBB429_3
; %bb.2:
	s_load_b64 s[0:1], s[0:1], 0x70
	s_bcnt1_i32_b32 s6, s6
	s_delay_alu instid0(SALU_CYCLE_1)
	v_dual_mov_b32 v2, 0 :: v_dual_mov_b32 v3, s6
	s_waitcnt lgkmcnt(0)
	global_atomic_add_u32 v2, v2, v3, s[0:1] glc
.LBB429_3:
	s_or_b32 exec_lo, exec_lo, s5
	s_waitcnt vmcnt(0)
	v_readfirstlane_b32 s0, v2
	s_delay_alu instid0(VALU_DEP_1)
	v_dual_mov_b32 v2, 0 :: v_dual_add_nc_u32 v1, s0, v1
	ds_store_b32 v2, v1
.LBB429_4:
	s_or_b32 exec_lo, exec_lo, s4
	v_mov_b32_e32 v2, 0
	s_waitcnt lgkmcnt(0)
	s_barrier
	buffer_gl0_inv
	s_lshl_b64 s[4:5], s[14:15], 1
	ds_load_b32 v1, v2
	s_add_u32 s9, s12, s4
	s_mul_i32 s1, s24, s23
	s_mul_hi_u32 s6, s24, s22
	s_addc_u32 s10, s13, s5
	s_add_u32 s11, s16, s4
	s_mul_i32 s7, s25, s22
	s_addc_u32 s12, s17, s5
	s_add_i32 s1, s6, s1
	s_mul_i32 s8, s24, s22
	s_add_i32 s1, s1, s7
	s_mov_b32 s0, 0
	s_waitcnt lgkmcnt(0)
	s_barrier
	buffer_gl0_inv
	v_readfirstlane_b32 s33, v1
	v_mul_lo_u32 v1, 0xf00, v1
	s_delay_alu instid0(VALU_DEP_2) | instskip(SKIP_3) | instid1(VALU_DEP_1)
	s_add_u32 s24, s8, s33
	s_addc_u32 s25, s1, 0
	s_add_u32 s4, s26, -1
	s_addc_u32 s5, s27, -1
	v_lshlrev_b64 v[1:2], 1, v[1:2]
	s_cmp_eq_u64 s[24:25], s[4:5]
	s_mul_i32 s26, s4, 0xfffff100
	s_cselect_b32 s17, -1, 0
	s_cmp_lg_u64 s[24:25], s[4:5]
	s_delay_alu instid0(VALU_DEP_1)
	v_add_co_u32 v8, vcc_lo, s9, v1
	v_add_co_ci_u32_e32 v6, vcc_lo, s10, v2, vcc_lo
	v_add_co_u32 v5, vcc_lo, s11, v1
	v_add_co_ci_u32_e32 v7, vcc_lo, s12, v2, vcc_lo
	s_cselect_b32 s40, -1, 0
	s_and_b32 vcc_lo, exec_lo, s17
	s_cbranch_vccnz .LBB429_6
; %bb.5:
	v_lshlrev_b32_e32 v17, 1, v0
	s_delay_alu instid0(VALU_DEP_1) | instskip(SKIP_2) | instid1(VALU_DEP_3)
	v_add_co_u32 v1, vcc_lo, v8, v17
	v_add_co_ci_u32_e32 v2, vcc_lo, 0, v6, vcc_lo
	v_mad_u32_u24 v9, v0, 28, v17
	v_add_co_u32 v3, vcc_lo, 0x1000, v1
	s_delay_alu instid0(VALU_DEP_3)
	v_add_co_ci_u32_e32 v4, vcc_lo, 0, v2, vcc_lo
	s_clause 0xe
	flat_load_u16 v10, v[1:2]
	flat_load_u16 v11, v[1:2] offset:512
	flat_load_u16 v12, v[1:2] offset:1024
	;; [unrolled: 1-line block ×7, first 2 shown]
	flat_load_u16 v2, v[3:4]
	flat_load_u16 v22, v[3:4] offset:512
	flat_load_u16 v23, v[3:4] offset:1024
	;; [unrolled: 1-line block ×6, first 2 shown]
	v_add_co_u32 v13, vcc_lo, v5, v17
	v_add_co_ci_u32_e32 v14, vcc_lo, 0, v7, vcc_lo
	s_waitcnt vmcnt(14) lgkmcnt(14)
	ds_store_b16 v17, v10
	s_waitcnt vmcnt(13) lgkmcnt(14)
	ds_store_b16 v17, v11 offset:512
	s_waitcnt vmcnt(12) lgkmcnt(14)
	ds_store_b16 v17, v12 offset:1024
	;; [unrolled: 2-line block ×14, first 2 shown]
	v_add_co_u32 v15, vcc_lo, 0x1000, v13
	v_add_co_ci_u32_e32 v16, vcc_lo, 0, v14, vcc_lo
	s_waitcnt lgkmcnt(0)
	s_barrier
	buffer_gl0_inv
	ds_load_u16 v55, v9
	ds_load_b128 v[1:4], v9 offset:2
	ds_load_b96 v[10:12], v9 offset:18
	s_waitcnt lgkmcnt(0)
	s_barrier
	buffer_gl0_inv
	s_clause 0xe
	flat_load_u16 v18, v[13:14]
	flat_load_u16 v19, v[13:14] offset:512
	flat_load_u16 v20, v[13:14] offset:1024
	;; [unrolled: 1-line block ×7, first 2 shown]
	flat_load_u16 v25, v[15:16]
	flat_load_u16 v26, v[15:16] offset:512
	flat_load_u16 v27, v[15:16] offset:1024
	;; [unrolled: 1-line block ×6, first 2 shown]
	v_mul_u32_u24_e32 v13, 15, v0
	s_waitcnt vmcnt(14) lgkmcnt(14)
	ds_store_b16 v17, v18
	s_waitcnt vmcnt(13) lgkmcnt(14)
	ds_store_b16 v17, v19 offset:512
	s_waitcnt vmcnt(12) lgkmcnt(14)
	ds_store_b16 v17, v20 offset:1024
	s_waitcnt vmcnt(11) lgkmcnt(14)
	ds_store_b16 v17, v21 offset:1536
	s_waitcnt vmcnt(10) lgkmcnt(14)
	ds_store_b16 v17, v22 offset:2048
	s_waitcnt vmcnt(9) lgkmcnt(14)
	ds_store_b16 v17, v23 offset:2560
	s_waitcnt vmcnt(8) lgkmcnt(14)
	ds_store_b16 v17, v24 offset:3072
	s_waitcnt vmcnt(7) lgkmcnt(14)
	ds_store_b16 v17, v14 offset:3584
	s_waitcnt vmcnt(6) lgkmcnt(14)
	ds_store_b16 v17, v25 offset:4096
	s_waitcnt vmcnt(5) lgkmcnt(14)
	ds_store_b16 v17, v26 offset:4608
	s_waitcnt vmcnt(4) lgkmcnt(14)
	ds_store_b16 v17, v27 offset:5120
	s_waitcnt vmcnt(3) lgkmcnt(14)
	ds_store_b16 v17, v28 offset:5632
	s_waitcnt vmcnt(2) lgkmcnt(14)
	ds_store_b16 v17, v29 offset:6144
	s_waitcnt vmcnt(1) lgkmcnt(14)
	ds_store_b16 v17, v30 offset:6656
	s_waitcnt vmcnt(0) lgkmcnt(14)
	ds_store_b16 v17, v15 offset:7168
	s_waitcnt lgkmcnt(0)
	s_barrier
	s_and_not1_b32 vcc_lo, exec_lo, s0
	s_add_i32 s26, s26, s36
	s_cbranch_vccz .LBB429_7
	s_branch .LBB429_54
.LBB429_6:
                                        ; implicit-def: $vgpr1
                                        ; implicit-def: $vgpr10
                                        ; implicit-def: $vgpr13
                                        ; implicit-def: $vgpr9
                                        ; implicit-def: $vgpr55
	s_add_i32 s26, s26, s36
.LBB429_7:
	s_delay_alu instid0(SALU_CYCLE_1)
	v_cmp_gt_u32_e32 vcc_lo, s26, v0
                                        ; implicit-def: $vgpr1
	s_and_saveexec_b32 s1, vcc_lo
	s_cbranch_execz .LBB429_9
; %bb.8:
	v_lshlrev_b32_e32 v1, 1, v0
	s_delay_alu instid0(VALU_DEP_1) | instskip(NEXT) | instid1(VALU_DEP_1)
	v_add_co_u32 v1, s0, v8, v1
	v_add_co_ci_u32_e64 v2, s0, 0, v6, s0
	flat_load_u16 v1, v[1:2]
.LBB429_9:
	s_or_b32 exec_lo, exec_lo, s1
	v_or_b32_e32 v2, 0x100, v0
	s_delay_alu instid0(VALU_DEP_1) | instskip(NEXT) | instid1(VALU_DEP_1)
	v_cmp_gt_u32_e64 s0, s26, v2
                                        ; implicit-def: $vgpr2
	s_and_saveexec_b32 s4, s0
	s_cbranch_execz .LBB429_11
; %bb.10:
	v_lshlrev_b32_e32 v2, 1, v0
	s_delay_alu instid0(VALU_DEP_1) | instskip(NEXT) | instid1(VALU_DEP_1)
	v_add_co_u32 v2, s1, v8, v2
	v_add_co_ci_u32_e64 v3, s1, 0, v6, s1
	flat_load_u16 v2, v[2:3] offset:512
.LBB429_11:
	s_or_b32 exec_lo, exec_lo, s4
	v_or_b32_e32 v3, 0x200, v0
	s_delay_alu instid0(VALU_DEP_1) | instskip(NEXT) | instid1(VALU_DEP_1)
	v_cmp_gt_u32_e64 s1, s26, v3
                                        ; implicit-def: $vgpr3
	s_and_saveexec_b32 s5, s1
	s_cbranch_execz .LBB429_13
; %bb.12:
	v_lshlrev_b32_e32 v3, 1, v0
	s_delay_alu instid0(VALU_DEP_1) | instskip(NEXT) | instid1(VALU_DEP_1)
	v_add_co_u32 v3, s4, v8, v3
	v_add_co_ci_u32_e64 v4, s4, 0, v6, s4
	flat_load_u16 v3, v[3:4] offset:1024
.LBB429_13:
	s_or_b32 exec_lo, exec_lo, s5
	v_or_b32_e32 v4, 0x300, v0
	s_delay_alu instid0(VALU_DEP_1) | instskip(NEXT) | instid1(VALU_DEP_1)
	v_cmp_gt_u32_e64 s4, s26, v4
                                        ; implicit-def: $vgpr4
	s_and_saveexec_b32 s6, s4
	s_cbranch_execz .LBB429_15
; %bb.14:
	v_lshlrev_b32_e32 v4, 1, v0
	s_delay_alu instid0(VALU_DEP_1) | instskip(NEXT) | instid1(VALU_DEP_1)
	v_add_co_u32 v9, s5, v8, v4
	v_add_co_ci_u32_e64 v10, s5, 0, v6, s5
	flat_load_u16 v4, v[9:10] offset:1536
.LBB429_15:
	s_or_b32 exec_lo, exec_lo, s6
	v_or_b32_e32 v9, 0x400, v0
	s_delay_alu instid0(VALU_DEP_1) | instskip(NEXT) | instid1(VALU_DEP_1)
	v_cmp_gt_u32_e64 s5, s26, v9
                                        ; implicit-def: $vgpr9
	s_and_saveexec_b32 s7, s5
	s_cbranch_execz .LBB429_17
; %bb.16:
	v_lshlrev_b32_e32 v9, 1, v0
	s_delay_alu instid0(VALU_DEP_1) | instskip(NEXT) | instid1(VALU_DEP_1)
	v_add_co_u32 v9, s6, v8, v9
	v_add_co_ci_u32_e64 v10, s6, 0, v6, s6
	flat_load_u16 v9, v[9:10] offset:2048
.LBB429_17:
	s_or_b32 exec_lo, exec_lo, s7
	v_or_b32_e32 v10, 0x500, v0
	s_delay_alu instid0(VALU_DEP_1) | instskip(NEXT) | instid1(VALU_DEP_1)
	v_cmp_gt_u32_e64 s6, s26, v10
                                        ; implicit-def: $vgpr10
	s_and_saveexec_b32 s8, s6
	s_cbranch_execz .LBB429_19
; %bb.18:
	v_lshlrev_b32_e32 v10, 1, v0
	s_delay_alu instid0(VALU_DEP_1) | instskip(NEXT) | instid1(VALU_DEP_1)
	v_add_co_u32 v10, s7, v8, v10
	v_add_co_ci_u32_e64 v11, s7, 0, v6, s7
	flat_load_u16 v10, v[10:11] offset:2560
.LBB429_19:
	s_or_b32 exec_lo, exec_lo, s8
	v_or_b32_e32 v11, 0x600, v0
	s_delay_alu instid0(VALU_DEP_1) | instskip(NEXT) | instid1(VALU_DEP_1)
	v_cmp_gt_u32_e64 s7, s26, v11
                                        ; implicit-def: $vgpr11
	s_and_saveexec_b32 s9, s7
	s_cbranch_execz .LBB429_21
; %bb.20:
	v_lshlrev_b32_e32 v11, 1, v0
	s_delay_alu instid0(VALU_DEP_1) | instskip(NEXT) | instid1(VALU_DEP_1)
	v_add_co_u32 v11, s8, v8, v11
	v_add_co_ci_u32_e64 v12, s8, 0, v6, s8
	flat_load_u16 v11, v[11:12] offset:3072
.LBB429_21:
	s_or_b32 exec_lo, exec_lo, s9
	v_or_b32_e32 v12, 0x700, v0
	s_delay_alu instid0(VALU_DEP_1) | instskip(NEXT) | instid1(VALU_DEP_1)
	v_cmp_gt_u32_e64 s8, s26, v12
                                        ; implicit-def: $vgpr12
	s_and_saveexec_b32 s10, s8
	s_cbranch_execz .LBB429_23
; %bb.22:
	v_lshlrev_b32_e32 v12, 1, v0
	s_delay_alu instid0(VALU_DEP_1) | instskip(NEXT) | instid1(VALU_DEP_1)
	v_add_co_u32 v12, s9, v8, v12
	v_add_co_ci_u32_e64 v13, s9, 0, v6, s9
	flat_load_u16 v12, v[12:13] offset:3584
.LBB429_23:
	s_or_b32 exec_lo, exec_lo, s10
	v_or_b32_e32 v13, 0x800, v0
                                        ; implicit-def: $vgpr21
	s_delay_alu instid0(VALU_DEP_1) | instskip(SKIP_1) | instid1(VALU_DEP_2)
	v_cmp_gt_u32_e64 s9, s26, v13
	v_lshlrev_b32_e32 v13, 1, v13
	s_and_saveexec_b32 s11, s9
	s_cbranch_execz .LBB429_25
; %bb.24:
	s_delay_alu instid0(VALU_DEP_1) | instskip(NEXT) | instid1(VALU_DEP_1)
	v_add_co_u32 v14, s10, v8, v13
	v_add_co_ci_u32_e64 v15, s10, 0, v6, s10
	flat_load_u16 v21, v[14:15]
.LBB429_25:
	s_or_b32 exec_lo, exec_lo, s11
	v_or_b32_e32 v14, 0x900, v0
                                        ; implicit-def: $vgpr22
	s_delay_alu instid0(VALU_DEP_1) | instskip(SKIP_1) | instid1(VALU_DEP_2)
	v_cmp_gt_u32_e64 s10, s26, v14
	v_lshlrev_b32_e32 v14, 1, v14
	s_and_saveexec_b32 s12, s10
	s_cbranch_execz .LBB429_27
; %bb.26:
	s_delay_alu instid0(VALU_DEP_1) | instskip(NEXT) | instid1(VALU_DEP_1)
	v_add_co_u32 v15, s11, v8, v14
	v_add_co_ci_u32_e64 v16, s11, 0, v6, s11
	flat_load_u16 v22, v[15:16]
.LBB429_27:
	s_or_b32 exec_lo, exec_lo, s12
	v_or_b32_e32 v15, 0xa00, v0
                                        ; implicit-def: $vgpr23
	s_delay_alu instid0(VALU_DEP_1) | instskip(SKIP_1) | instid1(VALU_DEP_2)
	v_cmp_gt_u32_e64 s11, s26, v15
	v_lshlrev_b32_e32 v16, 1, v15
	s_and_saveexec_b32 s13, s11
	s_cbranch_execz .LBB429_29
; %bb.28:
	s_delay_alu instid0(VALU_DEP_1) | instskip(NEXT) | instid1(VALU_DEP_1)
	v_add_co_u32 v17, s12, v8, v16
	v_add_co_ci_u32_e64 v18, s12, 0, v6, s12
	flat_load_u16 v23, v[17:18]
.LBB429_29:
	s_or_b32 exec_lo, exec_lo, s13
	v_or_b32_e32 v15, 0xb00, v0
                                        ; implicit-def: $vgpr24
	s_delay_alu instid0(VALU_DEP_1) | instskip(SKIP_1) | instid1(VALU_DEP_2)
	v_cmp_gt_u32_e64 s12, s26, v15
	v_lshlrev_b32_e32 v17, 1, v15
	s_and_saveexec_b32 s14, s12
	s_cbranch_execz .LBB429_31
; %bb.30:
	s_delay_alu instid0(VALU_DEP_1) | instskip(NEXT) | instid1(VALU_DEP_1)
	v_add_co_u32 v18, s13, v8, v17
	v_add_co_ci_u32_e64 v19, s13, 0, v6, s13
	flat_load_u16 v24, v[18:19]
.LBB429_31:
	s_or_b32 exec_lo, exec_lo, s14
	v_or_b32_e32 v15, 0xc00, v0
                                        ; implicit-def: $vgpr25
	s_delay_alu instid0(VALU_DEP_1) | instskip(SKIP_1) | instid1(VALU_DEP_2)
	v_cmp_gt_u32_e64 s13, s26, v15
	v_lshlrev_b32_e32 v18, 1, v15
	s_and_saveexec_b32 s15, s13
	s_cbranch_execz .LBB429_33
; %bb.32:
	s_delay_alu instid0(VALU_DEP_1) | instskip(NEXT) | instid1(VALU_DEP_1)
	v_add_co_u32 v19, s14, v8, v18
	v_add_co_ci_u32_e64 v20, s14, 0, v6, s14
	flat_load_u16 v25, v[19:20]
.LBB429_33:
	s_or_b32 exec_lo, exec_lo, s15
	v_or_b32_e32 v15, 0xd00, v0
                                        ; implicit-def: $vgpr26
	s_delay_alu instid0(VALU_DEP_1) | instskip(SKIP_1) | instid1(VALU_DEP_2)
	v_cmp_gt_u32_e64 s14, s26, v15
	v_lshlrev_b32_e32 v19, 1, v15
	s_and_saveexec_b32 s16, s14
	s_cbranch_execz .LBB429_35
; %bb.34:
	s_delay_alu instid0(VALU_DEP_1) | instskip(NEXT) | instid1(VALU_DEP_1)
	v_add_co_u32 v26, s15, v8, v19
	v_add_co_ci_u32_e64 v27, s15, 0, v6, s15
	flat_load_u16 v26, v[26:27]
.LBB429_35:
	s_or_b32 exec_lo, exec_lo, s16
	v_or_b32_e32 v15, 0xe00, v0
                                        ; implicit-def: $vgpr27
	s_delay_alu instid0(VALU_DEP_1) | instskip(SKIP_1) | instid1(VALU_DEP_2)
	v_cmp_gt_u32_e64 s15, s26, v15
	v_lshlrev_b32_e32 v20, 1, v15
	s_and_saveexec_b32 s27, s15
	s_cbranch_execz .LBB429_37
; %bb.36:
	s_delay_alu instid0(VALU_DEP_1) | instskip(NEXT) | instid1(VALU_DEP_1)
	v_add_co_u32 v27, s16, v8, v20
	v_add_co_ci_u32_e64 v28, s16, 0, v6, s16
	flat_load_u16 v27, v[27:28]
.LBB429_37:
	s_or_b32 exec_lo, exec_lo, s27
	v_lshlrev_b32_e32 v15, 1, v0
	s_waitcnt vmcnt(0) lgkmcnt(0)
	ds_store_b16 v15, v1
	ds_store_b16 v15, v2 offset:512
	ds_store_b16 v15, v3 offset:1024
	ds_store_b16 v15, v4 offset:1536
	ds_store_b16 v15, v9 offset:2048
	ds_store_b16 v15, v10 offset:2560
	ds_store_b16 v15, v11 offset:3072
	ds_store_b16 v15, v12 offset:3584
	v_mad_u32_u24 v9, v0, 28, v15
	ds_store_b16 v15, v21 offset:4096
	ds_store_b16 v15, v22 offset:4608
	ds_store_b16 v15, v23 offset:5120
	ds_store_b16 v15, v24 offset:5632
	ds_store_b16 v15, v25 offset:6144
	ds_store_b16 v15, v26 offset:6656
	ds_store_b16 v15, v27 offset:7168
	s_waitcnt lgkmcnt(0)
	s_barrier
	buffer_gl0_inv
	ds_load_u16 v55, v9
	ds_load_b128 v[1:4], v9 offset:2
	ds_load_b96 v[10:12], v9 offset:18
	s_waitcnt lgkmcnt(0)
	s_barrier
	buffer_gl0_inv
                                        ; implicit-def: $vgpr21
	s_and_saveexec_b32 s16, vcc_lo
	s_cbranch_execnz .LBB429_61
; %bb.38:
	s_or_b32 exec_lo, exec_lo, s16
                                        ; implicit-def: $vgpr22
	s_and_saveexec_b32 s16, s0
	s_cbranch_execnz .LBB429_62
.LBB429_39:
	s_or_b32 exec_lo, exec_lo, s16
                                        ; implicit-def: $vgpr23
	s_and_saveexec_b32 s0, s1
	s_cbranch_execnz .LBB429_63
.LBB429_40:
	s_or_b32 exec_lo, exec_lo, s0
                                        ; implicit-def: $vgpr24
	s_and_saveexec_b32 s0, s4
	s_cbranch_execnz .LBB429_64
.LBB429_41:
	s_or_b32 exec_lo, exec_lo, s0
                                        ; implicit-def: $vgpr25
	s_and_saveexec_b32 s0, s5
	s_cbranch_execnz .LBB429_65
.LBB429_42:
	s_or_b32 exec_lo, exec_lo, s0
                                        ; implicit-def: $vgpr26
	s_and_saveexec_b32 s0, s6
	s_cbranch_execnz .LBB429_66
.LBB429_43:
	s_or_b32 exec_lo, exec_lo, s0
                                        ; implicit-def: $vgpr27
	s_and_saveexec_b32 s0, s7
	s_cbranch_execnz .LBB429_67
.LBB429_44:
	s_or_b32 exec_lo, exec_lo, s0
                                        ; implicit-def: $vgpr28
	s_and_saveexec_b32 s0, s8
	s_cbranch_execnz .LBB429_68
.LBB429_45:
	s_or_b32 exec_lo, exec_lo, s0
                                        ; implicit-def: $vgpr29
	s_and_saveexec_b32 s0, s9
	s_cbranch_execnz .LBB429_69
.LBB429_46:
	s_or_b32 exec_lo, exec_lo, s0
                                        ; implicit-def: $vgpr30
	s_and_saveexec_b32 s0, s10
	s_cbranch_execnz .LBB429_70
.LBB429_47:
	s_or_b32 exec_lo, exec_lo, s0
                                        ; implicit-def: $vgpr14
	s_and_saveexec_b32 s0, s11
	s_cbranch_execnz .LBB429_71
.LBB429_48:
	s_or_b32 exec_lo, exec_lo, s0
                                        ; implicit-def: $vgpr16
	s_and_saveexec_b32 s0, s12
	s_cbranch_execnz .LBB429_72
.LBB429_49:
	s_or_b32 exec_lo, exec_lo, s0
                                        ; implicit-def: $vgpr17
	s_and_saveexec_b32 s0, s13
	s_cbranch_execnz .LBB429_73
.LBB429_50:
	s_or_b32 exec_lo, exec_lo, s0
                                        ; implicit-def: $vgpr18
	s_and_saveexec_b32 s0, s14
	s_cbranch_execnz .LBB429_74
.LBB429_51:
	s_or_b32 exec_lo, exec_lo, s0
                                        ; implicit-def: $vgpr19
	s_and_saveexec_b32 s0, s15
	s_cbranch_execz .LBB429_53
.LBB429_52:
	v_add_co_u32 v19, vcc_lo, v5, v20
	v_add_co_ci_u32_e32 v20, vcc_lo, 0, v7, vcc_lo
	flat_load_u16 v19, v[19:20]
.LBB429_53:
	s_or_b32 exec_lo, exec_lo, s0
	v_mul_u32_u24_e32 v13, 15, v0
	s_waitcnt vmcnt(0) lgkmcnt(0)
	ds_store_b16 v15, v21
	ds_store_b16 v15, v22 offset:512
	ds_store_b16 v15, v23 offset:1024
	ds_store_b16 v15, v24 offset:1536
	ds_store_b16 v15, v25 offset:2048
	ds_store_b16 v15, v26 offset:2560
	ds_store_b16 v15, v27 offset:3072
	ds_store_b16 v15, v28 offset:3584
	ds_store_b16 v15, v29 offset:4096
	ds_store_b16 v15, v30 offset:4608
	ds_store_b16 v15, v14 offset:5120
	ds_store_b16 v15, v16 offset:5632
	ds_store_b16 v15, v17 offset:6144
	ds_store_b16 v15, v18 offset:6656
	ds_store_b16 v15, v19 offset:7168
	s_waitcnt lgkmcnt(0)
	s_barrier
.LBB429_54:
	v_lshlrev_b32_e32 v5, 1, v13
	buffer_gl0_inv
	ds_load_u16 v74, v9
	ds_load_u16 v73, v9 offset:2
	ds_load_u16 v71, v9 offset:6
	;; [unrolled: 1-line block ×14, first 2 shown]
	s_cmp_eq_u64 s[24:25], 0
	s_waitcnt lgkmcnt(0)
	s_cselect_b32 s27, -1, 0
	s_cmp_lg_u64 s[24:25], 0
	s_barrier
	s_cselect_b32 s41, -1, 0
	s_and_b32 vcc_lo, exec_lo, s40
	buffer_gl0_inv
	s_cbranch_vccz .LBB429_60
; %bb.55:
	s_and_b32 vcc_lo, exec_lo, s41
	s_cbranch_vccz .LBB429_75
; %bb.56:
	v_add_co_u32 v13, vcc_lo, -2, v8
	v_add_co_ci_u32_e32 v14, vcc_lo, -1, v6, vcc_lo
	v_lshrrev_b32_e32 v15, 16, v4
	v_lshrrev_b32_e32 v9, 16, v12
	v_lshlrev_b32_e32 v7, 1, v0
	flat_load_u16 v5, v[13:14]
	v_lshrrev_b32_e32 v13, 16, v11
	v_lshrrev_b32_e32 v14, 16, v10
	v_cmp_ne_u16_e64 s6, v15, v10
	v_cmp_ne_u16_e64 s7, v4, v15
	v_lshrrev_b32_e32 v15, 16, v1
	v_cmp_ne_u16_e64 s0, v13, v12
	v_cmp_ne_u16_e64 s1, v11, v13
	;; [unrolled: 1-line block ×4, first 2 shown]
	v_lshrrev_b32_e32 v13, 16, v3
	v_lshrrev_b32_e32 v14, 16, v2
	v_cmp_ne_u16_e32 vcc_lo, v12, v9
	v_cmp_ne_u16_e64 s12, v15, v2
	v_cmp_ne_u16_e64 s13, v1, v15
	;; [unrolled: 1-line block ×7, first 2 shown]
	s_mov_b32 s16, -1
	ds_store_b16 v7, v9
	s_waitcnt vmcnt(0) lgkmcnt(0)
	s_barrier
	buffer_gl0_inv
	s_and_saveexec_b32 s15, s3
	s_cbranch_execz .LBB429_58
; %bb.57:
	v_add_nc_u32_e32 v5, -2, v7
	ds_load_u16 v5, v5
.LBB429_58:
	s_or_b32 exec_lo, exec_lo, s15
	v_cndmask_b32_e64 v52, 0, 1, vcc_lo
	v_cndmask_b32_e64 v47, 0, 1, s0
	v_cndmask_b32_e64 v48, 0, 1, s1
	;; [unrolled: 1-line block ×13, first 2 shown]
	s_waitcnt lgkmcnt(0)
	v_cmp_ne_u16_e64 s0, v5, v55
.LBB429_59:
                                        ; implicit-def: $sgpr7
	s_branch .LBB429_87
.LBB429_60:
	s_mov_b32 s16, 0
                                        ; implicit-def: $sgpr0
                                        ; implicit-def: $vgpr52
                                        ; implicit-def: $vgpr47
                                        ; implicit-def: $vgpr48
                                        ; implicit-def: $vgpr49
                                        ; implicit-def: $vgpr50
                                        ; implicit-def: $vgpr51
                                        ; implicit-def: $vgpr53
                                        ; implicit-def: $vgpr54
                                        ; implicit-def: $vgpr56
                                        ; implicit-def: $vgpr57
                                        ; implicit-def: $vgpr58
                                        ; implicit-def: $vgpr59
                                        ; implicit-def: $vgpr60
                                        ; implicit-def: $vgpr61
                                        ; implicit-def: $sgpr7
	s_cbranch_execnz .LBB429_79
	s_branch .LBB429_87
.LBB429_61:
	v_add_co_u32 v21, vcc_lo, v5, v15
	v_add_co_ci_u32_e32 v22, vcc_lo, 0, v7, vcc_lo
	flat_load_u16 v21, v[21:22]
	s_or_b32 exec_lo, exec_lo, s16
                                        ; implicit-def: $vgpr22
	s_and_saveexec_b32 s16, s0
	s_cbranch_execz .LBB429_39
.LBB429_62:
	v_add_co_u32 v22, vcc_lo, v5, v15
	v_add_co_ci_u32_e32 v23, vcc_lo, 0, v7, vcc_lo
	flat_load_u16 v22, v[22:23] offset:512
	s_or_b32 exec_lo, exec_lo, s16
                                        ; implicit-def: $vgpr23
	s_and_saveexec_b32 s0, s1
	s_cbranch_execz .LBB429_40
.LBB429_63:
	v_add_co_u32 v23, vcc_lo, v5, v15
	v_add_co_ci_u32_e32 v24, vcc_lo, 0, v7, vcc_lo
	flat_load_u16 v23, v[23:24] offset:1024
	s_or_b32 exec_lo, exec_lo, s0
                                        ; implicit-def: $vgpr24
	s_and_saveexec_b32 s0, s4
	s_cbranch_execz .LBB429_41
.LBB429_64:
	v_add_co_u32 v24, vcc_lo, v5, v15
	v_add_co_ci_u32_e32 v25, vcc_lo, 0, v7, vcc_lo
	flat_load_u16 v24, v[24:25] offset:1536
	s_or_b32 exec_lo, exec_lo, s0
                                        ; implicit-def: $vgpr25
	s_and_saveexec_b32 s0, s5
	s_cbranch_execz .LBB429_42
.LBB429_65:
	v_add_co_u32 v25, vcc_lo, v5, v15
	v_add_co_ci_u32_e32 v26, vcc_lo, 0, v7, vcc_lo
	flat_load_u16 v25, v[25:26] offset:2048
	s_or_b32 exec_lo, exec_lo, s0
                                        ; implicit-def: $vgpr26
	s_and_saveexec_b32 s0, s6
	s_cbranch_execz .LBB429_43
.LBB429_66:
	v_add_co_u32 v26, vcc_lo, v5, v15
	v_add_co_ci_u32_e32 v27, vcc_lo, 0, v7, vcc_lo
	flat_load_u16 v26, v[26:27] offset:2560
	s_or_b32 exec_lo, exec_lo, s0
                                        ; implicit-def: $vgpr27
	s_and_saveexec_b32 s0, s7
	s_cbranch_execz .LBB429_44
.LBB429_67:
	v_add_co_u32 v27, vcc_lo, v5, v15
	v_add_co_ci_u32_e32 v28, vcc_lo, 0, v7, vcc_lo
	flat_load_u16 v27, v[27:28] offset:3072
	s_or_b32 exec_lo, exec_lo, s0
                                        ; implicit-def: $vgpr28
	s_and_saveexec_b32 s0, s8
	s_cbranch_execz .LBB429_45
.LBB429_68:
	v_add_co_u32 v28, vcc_lo, v5, v15
	v_add_co_ci_u32_e32 v29, vcc_lo, 0, v7, vcc_lo
	flat_load_u16 v28, v[28:29] offset:3584
	s_or_b32 exec_lo, exec_lo, s0
                                        ; implicit-def: $vgpr29
	s_and_saveexec_b32 s0, s9
	s_cbranch_execz .LBB429_46
.LBB429_69:
	v_add_co_u32 v29, vcc_lo, v5, v13
	v_add_co_ci_u32_e32 v30, vcc_lo, 0, v7, vcc_lo
	flat_load_u16 v29, v[29:30]
	s_or_b32 exec_lo, exec_lo, s0
                                        ; implicit-def: $vgpr30
	s_and_saveexec_b32 s0, s10
	s_cbranch_execz .LBB429_47
.LBB429_70:
	v_add_co_u32 v13, vcc_lo, v5, v14
	v_add_co_ci_u32_e32 v14, vcc_lo, 0, v7, vcc_lo
	flat_load_u16 v30, v[13:14]
	s_or_b32 exec_lo, exec_lo, s0
                                        ; implicit-def: $vgpr14
	s_and_saveexec_b32 s0, s11
	s_cbranch_execz .LBB429_48
.LBB429_71:
	v_add_co_u32 v13, vcc_lo, v5, v16
	v_add_co_ci_u32_e32 v14, vcc_lo, 0, v7, vcc_lo
	flat_load_u16 v14, v[13:14]
	s_or_b32 exec_lo, exec_lo, s0
                                        ; implicit-def: $vgpr16
	s_and_saveexec_b32 s0, s12
	s_cbranch_execz .LBB429_49
.LBB429_72:
	v_add_co_u32 v16, vcc_lo, v5, v17
	v_add_co_ci_u32_e32 v17, vcc_lo, 0, v7, vcc_lo
	flat_load_u16 v16, v[16:17]
	s_or_b32 exec_lo, exec_lo, s0
                                        ; implicit-def: $vgpr17
	s_and_saveexec_b32 s0, s13
	s_cbranch_execz .LBB429_50
.LBB429_73:
	v_add_co_u32 v17, vcc_lo, v5, v18
	v_add_co_ci_u32_e32 v18, vcc_lo, 0, v7, vcc_lo
	flat_load_u16 v17, v[17:18]
	s_or_b32 exec_lo, exec_lo, s0
                                        ; implicit-def: $vgpr18
	s_and_saveexec_b32 s0, s14
	s_cbranch_execz .LBB429_51
.LBB429_74:
	v_add_co_u32 v18, vcc_lo, v5, v19
	v_add_co_ci_u32_e32 v19, vcc_lo, 0, v7, vcc_lo
	flat_load_u16 v18, v[18:19]
	s_or_b32 exec_lo, exec_lo, s0
                                        ; implicit-def: $vgpr19
	s_and_saveexec_b32 s0, s15
	s_cbranch_execnz .LBB429_52
	s_branch .LBB429_53
.LBB429_75:
	s_mov_b32 s16, 0
                                        ; implicit-def: $sgpr0
                                        ; implicit-def: $vgpr52
                                        ; implicit-def: $vgpr47
                                        ; implicit-def: $vgpr48
                                        ; implicit-def: $vgpr49
                                        ; implicit-def: $vgpr50
                                        ; implicit-def: $vgpr51
                                        ; implicit-def: $vgpr53
                                        ; implicit-def: $vgpr54
                                        ; implicit-def: $vgpr56
                                        ; implicit-def: $vgpr57
                                        ; implicit-def: $vgpr58
                                        ; implicit-def: $vgpr59
                                        ; implicit-def: $vgpr60
                                        ; implicit-def: $vgpr61
	s_cbranch_execz .LBB429_59
; %bb.76:
	v_lshrrev_b32_e32 v7, 16, v12
	v_lshrrev_b32_e32 v9, 16, v11
	;; [unrolled: 1-line block ×3, first 2 shown]
	v_lshlrev_b32_e32 v5, 1, v0
	s_mov_b32 s7, 1
	v_cmp_ne_u16_e32 vcc_lo, v12, v7
                                        ; implicit-def: $sgpr0
	ds_store_b16 v5, v7
	s_waitcnt lgkmcnt(0)
	v_cndmask_b32_e64 v52, 0, 1, vcc_lo
	v_cmp_ne_u16_e32 vcc_lo, v9, v12
	s_barrier
	buffer_gl0_inv
	v_cndmask_b32_e64 v47, 0, 1, vcc_lo
	v_cmp_ne_u16_e32 vcc_lo, v11, v9
	v_lshrrev_b32_e32 v9, 16, v4
	v_cndmask_b32_e64 v48, 0, 1, vcc_lo
	v_cmp_ne_u16_e32 vcc_lo, v13, v11
	v_cndmask_b32_e64 v49, 0, 1, vcc_lo
	v_cmp_ne_u16_e32 vcc_lo, v10, v13
	v_lshrrev_b32_e32 v13, 16, v3
	v_cndmask_b32_e64 v50, 0, 1, vcc_lo
	v_cmp_ne_u16_e32 vcc_lo, v9, v10
	;; [unrolled: 5-line block ×4, first 2 shown]
	v_cndmask_b32_e64 v57, 0, 1, vcc_lo
	v_cmp_ne_u16_e32 vcc_lo, v2, v9
	v_cndmask_b32_e64 v58, 0, 1, vcc_lo
	v_cmp_ne_u16_e32 vcc_lo, v13, v2
	;; [unrolled: 2-line block ×4, first 2 shown]
	v_cndmask_b32_e64 v61, 0, 1, vcc_lo
	s_and_saveexec_b32 s1, s3
	s_delay_alu instid0(SALU_CYCLE_1)
	s_xor_b32 s1, exec_lo, s1
	s_cbranch_execz .LBB429_78
; %bb.77:
	v_add_nc_u32_e32 v5, -2, v5
	s_or_b32 s16, s16, exec_lo
	ds_load_u16 v5, v5
	s_waitcnt lgkmcnt(0)
	v_cmp_ne_u16_e32 vcc_lo, v5, v55
	s_and_b32 s0, vcc_lo, exec_lo
.LBB429_78:
	s_or_b32 exec_lo, exec_lo, s1
	s_branch .LBB429_87
.LBB429_79:
	s_mul_hi_u32 s0, s24, 0xfffff100
	s_mul_i32 s1, s25, 0xfffff100
	s_sub_i32 s0, s0, s24
	s_mul_i32 s4, s24, 0xfffff100
	s_add_i32 s0, s0, s1
	s_add_u32 s14, s4, s36
	s_addc_u32 s15, s0, s37
	v_lshrrev_b32_e32 v9, 16, v12
	v_mad_u32_u24 v5, v0, 15, 14
	v_mad_u32_u24 v35, v0, 15, 13
	v_lshrrev_b32_e32 v44, 16, v11
	v_mad_u32_u24 v33, v0, 15, 12
	v_mad_u32_u24 v31, v0, 15, 11
	;; [unrolled: 3-line block ×7, first 2 shown]
	v_cmp_ne_u16_e64 s0, v55, v1
	s_and_b32 vcc_lo, exec_lo, s41
	s_cbranch_vccz .LBB429_84
; %bb.80:
	v_add_co_u32 v36, vcc_lo, -2, v8
	v_add_co_ci_u32_e32 v37, vcc_lo, -1, v6, vcc_lo
	v_mov_b32_e32 v6, 0
	v_cmp_ne_u16_e64 s1, v12, v9
	v_cmp_ne_u16_e64 s5, v44, v12
	flat_load_u16 v60, v[36:37]
	v_cmp_ne_u16_e64 s7, v10, v43
	v_mov_b32_e32 v36, v6
	v_cmp_gt_u64_e32 vcc_lo, s[14:15], v[5:6]
	v_mov_b32_e32 v34, v6
	v_mov_b32_e32 v32, v6
	;; [unrolled: 1-line block ×3, first 2 shown]
	v_cmp_gt_u64_e64 s4, s[14:15], v[35:36]
	v_mov_b32_e32 v28, v6
	s_and_b32 s24, vcc_lo, s1
	v_cmp_gt_u64_e32 vcc_lo, s[14:15], v[33:34]
	v_cmp_gt_u64_e64 s6, s[14:15], v[29:30]
	v_cmp_ne_u16_e64 s1, v11, v44
	s_and_b32 s25, s4, s5
	v_cmp_gt_u64_e64 s4, s[14:15], v[31:32]
	v_cmp_ne_u16_e64 s5, v43, v11
	v_mov_b32_e32 v26, v6
	v_mov_b32_e32 v24, v6
	s_and_b32 s36, vcc_lo, s1
	s_and_b32 s40, s6, s7
	s_and_b32 s37, s4, s5
	v_cmp_gt_u64_e32 vcc_lo, s[14:15], v[27:28]
	v_cmp_gt_u64_e64 s4, s[14:15], v[25:26]
	v_cmp_gt_u64_e64 s6, s[14:15], v[23:24]
	v_cmp_ne_u16_e64 s1, v42, v10
	v_cmp_ne_u16_e64 s5, v4, v42
	;; [unrolled: 1-line block ×3, first 2 shown]
	v_mov_b32_e32 v22, v6
	v_mov_b32_e32 v20, v6
	;; [unrolled: 1-line block ×6, first 2 shown]
	s_and_b32 s41, vcc_lo, s1
	s_and_b32 s42, s4, s5
	s_and_b32 s43, s6, s7
	v_cmp_gt_u64_e32 vcc_lo, s[14:15], v[21:22]
	v_cmp_gt_u64_e64 s4, s[14:15], v[19:20]
	v_cmp_gt_u64_e64 s6, s[14:15], v[17:18]
	;; [unrolled: 1-line block ×5, first 2 shown]
	v_cmp_ne_u16_e64 s1, v3, v41
	v_cmp_ne_u16_e64 s5, v40, v3
	;; [unrolled: 1-line block ×5, first 2 shown]
	v_lshlrev_b32_e32 v38, 1, v0
	v_mul_u32_u24_e32 v37, 15, v0
	s_mov_b32 s16, -1
	s_mov_b32 s13, 0
	s_and_b32 s44, vcc_lo, s1
	s_and_b32 s5, s4, s5
	s_and_b32 s6, s6, s7
	;; [unrolled: 1-line block ×5, first 2 shown]
	ds_store_b16 v38, v9
	s_waitcnt vmcnt(0) lgkmcnt(0)
	s_barrier
	buffer_gl0_inv
	s_and_saveexec_b32 s0, s3
	s_cbranch_execz .LBB429_82
; %bb.81:
	v_add_nc_u32_e32 v8, -2, v38
	ds_load_u16 v60, v8
.LBB429_82:
	s_or_b32 exec_lo, exec_lo, s0
	v_mov_b32_e32 v38, v6
	s_waitcnt lgkmcnt(0)
	v_cmp_ne_u16_e64 s0, v60, v55
	v_cndmask_b32_e64 v52, 0, 1, s24
	v_cndmask_b32_e64 v47, 0, 1, s25
	;; [unrolled: 1-line block ×3, first 2 shown]
	v_cmp_gt_u64_e32 vcc_lo, s[14:15], v[37:38]
	v_cndmask_b32_e64 v49, 0, 1, s37
	v_cndmask_b32_e64 v50, 0, 1, s40
	;; [unrolled: 1-line block ×11, first 2 shown]
	s_and_b32 s0, vcc_lo, s0
	s_and_b32 vcc_lo, exec_lo, s13
	s_cbranch_vccnz .LBB429_85
.LBB429_83:
                                        ; implicit-def: $sgpr7
	v_mov_b32_e32 v63, s7
	s_and_saveexec_b32 s1, s16
	s_cbranch_execnz .LBB429_88
	s_branch .LBB429_89
.LBB429_84:
                                        ; implicit-def: $sgpr0
                                        ; implicit-def: $vgpr52
                                        ; implicit-def: $vgpr47
                                        ; implicit-def: $vgpr48
                                        ; implicit-def: $vgpr49
                                        ; implicit-def: $vgpr50
                                        ; implicit-def: $vgpr51
                                        ; implicit-def: $vgpr53
                                        ; implicit-def: $vgpr54
                                        ; implicit-def: $vgpr56
                                        ; implicit-def: $vgpr57
                                        ; implicit-def: $vgpr58
                                        ; implicit-def: $vgpr59
                                        ; implicit-def: $vgpr60
                                        ; implicit-def: $vgpr61
	s_cbranch_execz .LBB429_83
.LBB429_85:
	v_dual_mov_b32 v6, 0 :: v_dual_lshlrev_b32 v37, 1, v0
	v_cmp_ne_u16_e32 vcc_lo, v12, v9
	v_cmp_ne_u16_e64 s4, v11, v44
	v_cmp_ne_u16_e64 s0, v44, v12
	s_delay_alu instid0(VALU_DEP_4)
	v_mov_b32_e32 v34, v6
	v_mov_b32_e32 v36, v6
	v_cmp_gt_u64_e64 s1, s[14:15], v[5:6]
	v_mov_b32_e32 v30, v6
	v_mov_b32_e32 v32, v6
	v_cmp_gt_u64_e64 s6, s[14:15], v[33:34]
	v_cmp_gt_u64_e64 s5, s[14:15], v[35:36]
	v_mov_b32_e32 v28, v6
	s_and_b32 s1, s1, vcc_lo
	v_cmp_gt_u64_e32 vcc_lo, s[14:15], v[31:32]
	v_cndmask_b32_e64 v52, 0, 1, s1
	s_and_b32 s1, s6, s4
	s_and_b32 s0, s5, s0
	v_cndmask_b32_e64 v48, 0, 1, s1
	v_cmp_gt_u64_e64 s1, s[14:15], v[29:30]
	v_cmp_ne_u16_e64 s4, v10, v43
	v_cndmask_b32_e64 v47, 0, 1, s0
	v_cmp_ne_u16_e64 s0, v43, v11
	v_mov_b32_e32 v26, v6
	v_mov_b32_e32 v24, v6
	s_and_b32 s1, s1, s4
	v_cmp_ne_u16_e64 s4, v4, v42
	s_and_b32 s0, vcc_lo, s0
	v_cmp_gt_u64_e32 vcc_lo, s[14:15], v[27:28]
	v_cndmask_b32_e64 v50, 0, 1, s1
	v_cmp_gt_u64_e64 s1, s[14:15], v[25:26]
	v_cndmask_b32_e64 v49, 0, 1, s0
	v_cmp_ne_u16_e64 s0, v42, v10
	v_mov_b32_e32 v22, v6
	v_mov_b32_e32 v20, v6
	;; [unrolled: 1-line block ×3, first 2 shown]
	s_and_b32 s1, s1, s4
	s_and_b32 s0, vcc_lo, s0
	v_cmp_gt_u64_e32 vcc_lo, s[14:15], v[23:24]
	v_cndmask_b32_e64 v51, 0, 1, s0
	v_cmp_ne_u16_e64 s0, v41, v4
	v_cndmask_b32_e64 v53, 0, 1, s1
	v_cmp_gt_u64_e64 s1, s[14:15], v[21:22]
	v_cmp_ne_u16_e64 s4, v3, v41
	v_mov_b32_e32 v16, v6
	s_and_b32 s0, vcc_lo, s0
	v_cmp_gt_u64_e32 vcc_lo, s[14:15], v[19:20]
	v_cndmask_b32_e64 v54, 0, 1, s0
	s_and_b32 s1, s1, s4
	v_cmp_ne_u16_e64 s0, v40, v3
	v_cndmask_b32_e64 v56, 0, 1, s1
	v_cmp_gt_u64_e64 s1, s[14:15], v[17:18]
	v_cmp_ne_u16_e64 s4, v2, v40
	v_mov_b32_e32 v14, v6
	s_and_b32 s0, vcc_lo, s0
	v_mov_b32_e32 v8, v6
	v_cndmask_b32_e64 v57, 0, 1, s0
	s_and_b32 s0, s1, s4
	v_cmp_gt_u64_e32 vcc_lo, s[14:15], v[15:16]
	v_cndmask_b32_e64 v58, 0, 1, s0
	v_cmp_ne_u16_e64 s0, v39, v2
	v_cmp_gt_u64_e64 s1, s[14:15], v[13:14]
	v_cmp_ne_u16_e64 s4, v1, v39
	v_cmp_gt_u64_e64 s5, s[14:15], v[7:8]
	v_cmp_ne_u16_e64 s6, v55, v1
	s_and_b32 s0, vcc_lo, s0
	s_mov_b32 s7, 1
	v_cndmask_b32_e64 v59, 0, 1, s0
	s_and_b32 s0, s1, s4
	ds_store_b16 v37, v9
	v_cndmask_b32_e64 v60, 0, 1, s0
	s_and_b32 s0, s5, s6
	s_waitcnt lgkmcnt(0)
	v_cndmask_b32_e64 v61, 0, 1, s0
	s_barrier
	buffer_gl0_inv
                                        ; implicit-def: $sgpr0
	s_and_saveexec_b32 s1, s3
	s_cbranch_execz .LBB429_191
; %bb.86:
	v_add_nc_u32_e32 v5, -2, v37
	s_or_b32 s16, s16, exec_lo
	ds_load_u16 v7, v5
	v_mul_u32_u24_e32 v5, 15, v0
	s_delay_alu instid0(VALU_DEP_1) | instskip(SKIP_2) | instid1(VALU_DEP_1)
	v_cmp_gt_u64_e32 vcc_lo, s[14:15], v[5:6]
	s_waitcnt lgkmcnt(0)
	v_cmp_ne_u16_e64 s0, v7, v55
	s_and_b32 s0, vcc_lo, s0
	s_delay_alu instid0(SALU_CYCLE_1)
	s_and_b32 s0, s0, exec_lo
	s_or_b32 exec_lo, exec_lo, s1
.LBB429_87:
	v_mov_b32_e32 v63, s7
	s_and_saveexec_b32 s1, s16
.LBB429_88:
	s_delay_alu instid0(VALU_DEP_2)
	v_cndmask_b32_e64 v63, 0, 1, s0
.LBB429_89:
	s_or_b32 exec_lo, exec_lo, s1
	s_delay_alu instid0(VALU_DEP_1)
	v_add3_u32 v5, v61, v63, v60
	v_cmp_eq_u32_e64 s13, 0, v61
	v_cmp_eq_u32_e64 s12, 0, v60
	;; [unrolled: 1-line block ×4, first 2 shown]
	v_add3_u32 v80, v5, v59, v58
	v_cmp_eq_u32_e64 s9, 0, v57
	v_cmp_eq_u32_e64 s8, 0, v56
	;; [unrolled: 1-line block ×9, first 2 shown]
	v_cmp_eq_u32_e32 vcc_lo, 0, v52
	v_mbcnt_lo_u32_b32 v77, -1, 0
	v_lshrrev_b32_e32 v78, 5, v0
	v_or_b32_e32 v79, 31, v0
	s_cmp_eq_u64 s[22:23], 0
	s_cselect_b32 s16, -1, 0
	s_cmp_lg_u32 s33, 0
	s_cbranch_scc0 .LBB429_115
; %bb.90:
	v_cndmask_b32_e64 v5, 0, v74, s13
	v_add3_u32 v6, v80, v57, v56
	v_and_b32_e32 v9, 15, v77
	s_delay_alu instid0(VALU_DEP_3) | instskip(NEXT) | instid1(VALU_DEP_3)
	v_add_nc_u16 v5, v5, v73
	v_add3_u32 v6, v6, v54, v53
	s_delay_alu instid0(VALU_DEP_2) | instskip(NEXT) | instid1(VALU_DEP_2)
	v_cndmask_b32_e64 v5, 0, v5, s12
	v_add3_u32 v6, v6, v51, v50
	s_delay_alu instid0(VALU_DEP_2) | instskip(NEXT) | instid1(VALU_DEP_2)
	v_add_nc_u16 v5, v5, v75
	v_add3_u32 v6, v6, v49, v48
	s_delay_alu instid0(VALU_DEP_2) | instskip(NEXT) | instid1(VALU_DEP_2)
	v_cndmask_b32_e64 v5, 0, v5, s11
	v_add3_u32 v6, v6, v47, v52
	s_delay_alu instid0(VALU_DEP_2) | instskip(NEXT) | instid1(VALU_DEP_2)
	v_add_nc_u16 v5, v5, v71
	v_mov_b32_dpp v13, v6 row_shr:1 row_mask:0xf bank_mask:0xf
	s_delay_alu instid0(VALU_DEP_2) | instskip(NEXT) | instid1(VALU_DEP_1)
	v_cndmask_b32_e64 v5, 0, v5, s10
	v_add_nc_u16 v5, v5, v72
	s_delay_alu instid0(VALU_DEP_1) | instskip(NEXT) | instid1(VALU_DEP_1)
	v_cndmask_b32_e64 v5, 0, v5, s9
	v_add_nc_u16 v5, v5, v69
	s_delay_alu instid0(VALU_DEP_1) | instskip(NEXT) | instid1(VALU_DEP_1)
	;; [unrolled: 3-line block ×9, first 2 shown]
	v_cndmask_b32_e64 v5, 0, v5, s0
	v_add_nc_u16 v5, v5, v45
	s_delay_alu instid0(VALU_DEP_1) | instskip(SKIP_1) | instid1(VALU_DEP_2)
	v_cndmask_b32_e32 v5, 0, v5, vcc_lo
	v_cmp_eq_u32_e32 vcc_lo, 0, v6
	v_add_nc_u16 v5, v5, v76
	s_delay_alu instid0(VALU_DEP_1) | instskip(NEXT) | instid1(VALU_DEP_1)
	v_and_b32_e32 v7, 0xffff, v5
	v_mov_b32_dpp v8, v7 row_shr:1 row_mask:0xf bank_mask:0xf
	s_delay_alu instid0(VALU_DEP_1) | instskip(SKIP_1) | instid1(VALU_DEP_2)
	v_cndmask_b32_e32 v8, 0, v8, vcc_lo
	v_cmp_eq_u32_e32 vcc_lo, 0, v9
	v_add_nc_u16 v8, v8, v5
	v_cndmask_b32_e64 v13, v13, 0, vcc_lo
	s_delay_alu instid0(VALU_DEP_2) | instskip(NEXT) | instid1(VALU_DEP_1)
	v_dual_cndmask_b32 v5, v8, v5 :: v_dual_and_b32 v14, 0xffff, v8
	v_dual_cndmask_b32 v7, v14, v7 :: v_dual_add_nc_u32 v6, v13, v6
	s_delay_alu instid0(VALU_DEP_1) | instskip(NEXT) | instid1(VALU_DEP_2)
	v_cmp_eq_u32_e32 vcc_lo, 0, v6
	v_mov_b32_dpp v13, v7 row_shr:2 row_mask:0xf bank_mask:0xf
	s_delay_alu instid0(VALU_DEP_1) | instskip(SKIP_2) | instid1(VALU_DEP_3)
	v_cndmask_b32_e32 v8, 0, v13, vcc_lo
	v_mov_b32_dpp v13, v6 row_shr:2 row_mask:0xf bank_mask:0xf
	v_cmp_lt_u32_e32 vcc_lo, 1, v9
	v_add_nc_u16 v8, v8, v5
	s_delay_alu instid0(VALU_DEP_1) | instskip(NEXT) | instid1(VALU_DEP_4)
	v_and_b32_e32 v14, 0xffff, v8
	v_dual_cndmask_b32 v5, v5, v8 :: v_dual_cndmask_b32 v8, 0, v13
	s_delay_alu instid0(VALU_DEP_1) | instskip(NEXT) | instid1(VALU_DEP_1)
	v_dual_cndmask_b32 v7, v7, v14 :: v_dual_add_nc_u32 v6, v6, v8
	v_mov_b32_dpp v8, v7 row_shr:4 row_mask:0xf bank_mask:0xf
	s_delay_alu instid0(VALU_DEP_2) | instskip(NEXT) | instid1(VALU_DEP_2)
	v_cmp_eq_u32_e32 vcc_lo, 0, v6
	v_cndmask_b32_e32 v8, 0, v8, vcc_lo
	v_cmp_lt_u32_e32 vcc_lo, 3, v9
	s_delay_alu instid0(VALU_DEP_2) | instskip(NEXT) | instid1(VALU_DEP_1)
	v_add_nc_u16 v8, v8, v5
	v_and_b32_e32 v14, 0xffff, v8
	s_delay_alu instid0(VALU_DEP_1) | instskip(SKIP_1) | instid1(VALU_DEP_1)
	v_cndmask_b32_e32 v7, v7, v14, vcc_lo
	v_mov_b32_dpp v13, v6 row_shr:4 row_mask:0xf bank_mask:0xf
	v_dual_cndmask_b32 v5, v5, v8 :: v_dual_cndmask_b32 v8, 0, v13
	s_delay_alu instid0(VALU_DEP_1) | instskip(NEXT) | instid1(VALU_DEP_4)
	v_add_nc_u32_e32 v6, v8, v6
	v_mov_b32_dpp v8, v7 row_shr:8 row_mask:0xf bank_mask:0xf
	s_delay_alu instid0(VALU_DEP_2) | instskip(NEXT) | instid1(VALU_DEP_2)
	v_cmp_eq_u32_e32 vcc_lo, 0, v6
	v_cndmask_b32_e32 v8, 0, v8, vcc_lo
	v_cmp_lt_u32_e32 vcc_lo, 7, v9
	s_delay_alu instid0(VALU_DEP_2) | instskip(NEXT) | instid1(VALU_DEP_1)
	v_add_nc_u16 v8, v8, v5
	v_cndmask_b32_e32 v5, v5, v8, vcc_lo
	v_mov_b32_dpp v13, v6 row_shr:8 row_mask:0xf bank_mask:0xf
	s_delay_alu instid0(VALU_DEP_1) | instskip(NEXT) | instid1(VALU_DEP_1)
	v_dual_cndmask_b32 v9, 0, v13 :: v_dual_and_b32 v8, 0xffff, v8
	v_cndmask_b32_e32 v7, v7, v8, vcc_lo
	v_bfe_i32 v13, v77, 4, 1
	s_delay_alu instid0(VALU_DEP_3)
	v_add_nc_u32_e32 v6, v9, v6
	ds_swizzle_b32 v7, v7 offset:swizzle(BROADCAST,32,15)
	v_and_b32_e32 v9, 16, v77
	ds_swizzle_b32 v8, v6 offset:swizzle(BROADCAST,32,15)
	v_cmp_eq_u32_e64 s14, 0, v6
	v_cmp_ne_u32_e32 vcc_lo, 0, v9
	s_delay_alu instid0(VALU_DEP_2) | instskip(SKIP_3) | instid1(VALU_DEP_1)
	s_and_b32 vcc_lo, vcc_lo, s14
	s_mov_b32 s14, exec_lo
	s_waitcnt lgkmcnt(0)
	v_dual_cndmask_b32 v7, 0, v7 :: v_dual_and_b32 v8, v13, v8
	v_add_nc_u16 v5, v7, v5
	v_lshlrev_b32_e32 v7, 3, v78
	s_delay_alu instid0(VALU_DEP_3)
	v_add_nc_u32_e32 v6, v8, v6
	v_cmpx_eq_u32_e64 v79, v0
	s_cbranch_execz .LBB429_92
; %bb.91:
	ds_store_b32 v7, v6 offset:1040
	ds_store_b16 v7, v5 offset:1044
.LBB429_92:
	s_or_b32 exec_lo, exec_lo, s14
	s_delay_alu instid0(SALU_CYCLE_1)
	s_mov_b32 s15, exec_lo
	s_waitcnt lgkmcnt(0)
	s_barrier
	buffer_gl0_inv
	v_cmpx_gt_u32_e32 8, v0
	s_cbranch_execz .LBB429_94
; %bb.93:
	v_lshlrev_b32_e32 v13, 3, v0
	v_and_b32_e32 v17, 7, v77
	ds_load_b64 v[8:9], v13 offset:1040
	s_waitcnt lgkmcnt(0)
	v_mov_b32_dpp v14, v9 row_shr:1 row_mask:0xf bank_mask:0xf
	v_cmp_eq_u32_e32 vcc_lo, 0, v8
	v_and_b32_e32 v15, 0xffff0000, v9
	v_mov_b32_dpp v18, v8 row_shr:1 row_mask:0xf bank_mask:0xf
	s_delay_alu instid0(VALU_DEP_4) | instskip(SKIP_1) | instid1(VALU_DEP_2)
	v_cndmask_b32_e32 v14, 0, v14, vcc_lo
	v_cmp_eq_u32_e32 vcc_lo, 0, v17
	v_add_nc_u16 v14, v14, v9
	s_delay_alu instid0(VALU_DEP_4) | instskip(NEXT) | instid1(VALU_DEP_2)
	v_cndmask_b32_e64 v18, v18, 0, vcc_lo
	v_and_b32_e32 v16, 0xffff, v14
	s_delay_alu instid0(VALU_DEP_1) | instskip(NEXT) | instid1(VALU_DEP_1)
	v_or_b32_e32 v16, v15, v16
	v_cndmask_b32_e32 v16, v16, v9, vcc_lo
	v_cndmask_b32_e32 v9, v14, v9, vcc_lo
	v_add_nc_u32_e32 v8, v18, v8
	s_delay_alu instid0(VALU_DEP_3) | instskip(NEXT) | instid1(VALU_DEP_2)
	v_mov_b32_dpp v18, v16 row_shr:2 row_mask:0xf bank_mask:0xf
	v_cmp_eq_u32_e32 vcc_lo, 0, v8
	s_delay_alu instid0(VALU_DEP_2) | instskip(SKIP_1) | instid1(VALU_DEP_2)
	v_cndmask_b32_e32 v14, 0, v18, vcc_lo
	v_cmp_lt_u32_e32 vcc_lo, 1, v17
	v_add_nc_u16 v14, v14, v9
	s_delay_alu instid0(VALU_DEP_1) | instskip(SKIP_2) | instid1(VALU_DEP_2)
	v_cndmask_b32_e32 v9, v9, v14, vcc_lo
	v_mov_b32_dpp v18, v8 row_shr:2 row_mask:0xf bank_mask:0xf
	v_and_b32_e32 v19, 0xffff, v14
	v_cndmask_b32_e32 v14, 0, v18, vcc_lo
	s_delay_alu instid0(VALU_DEP_2) | instskip(SKIP_1) | instid1(VALU_DEP_3)
	v_or_b32_e32 v15, v15, v19
	v_cmp_lt_u32_e64 s14, 3, v17
	v_add_nc_u32_e32 v8, v14, v8
	s_delay_alu instid0(VALU_DEP_3) | instskip(NEXT) | instid1(VALU_DEP_2)
	v_cndmask_b32_e32 v14, v16, v15, vcc_lo
	v_cmp_eq_u32_e32 vcc_lo, 0, v8
	v_mov_b32_dpp v15, v8 row_shr:4 row_mask:0xf bank_mask:0xf
	s_delay_alu instid0(VALU_DEP_3) | instskip(SKIP_1) | instid1(VALU_DEP_2)
	v_mov_b32_dpp v14, v14 row_shr:4 row_mask:0xf bank_mask:0xf
	s_and_b32 vcc_lo, s14, vcc_lo
	v_cndmask_b32_e64 v15, 0, v15, s14
	s_delay_alu instid0(VALU_DEP_2) | instskip(NEXT) | instid1(VALU_DEP_2)
	v_cndmask_b32_e32 v14, 0, v14, vcc_lo
	v_add_nc_u32_e32 v8, v15, v8
	s_delay_alu instid0(VALU_DEP_2)
	v_add_nc_u16 v9, v9, v14
	ds_store_b32 v13, v8 offset:1040
	ds_store_b16 v13, v9 offset:1044
.LBB429_94:
	s_or_b32 exec_lo, exec_lo, s15
	v_cmp_gt_u32_e32 vcc_lo, 32, v0
	v_dual_mov_b32 v18, 0 :: v_dual_mov_b32 v17, 0
	s_mov_b32 s15, exec_lo
	s_waitcnt lgkmcnt(0)
	s_barrier
	buffer_gl0_inv
	v_cmpx_lt_u32_e32 31, v0
	s_cbranch_execz .LBB429_96
; %bb.95:
	ds_load_u16 v17, v7 offset:1036
	ds_load_b32 v18, v7 offset:1032
	v_cmp_eq_u32_e64 s14, 0, v6
	s_waitcnt lgkmcnt(1)
	s_delay_alu instid0(VALU_DEP_1) | instskip(SKIP_2) | instid1(VALU_DEP_2)
	v_cndmask_b32_e64 v7, 0, v17, s14
	s_waitcnt lgkmcnt(0)
	v_add_nc_u32_e32 v6, v18, v6
	v_add_nc_u16 v5, v7, v5
.LBB429_96:
	s_or_b32 exec_lo, exec_lo, s15
	v_add_nc_u32_e32 v7, -1, v77
	s_delay_alu instid0(VALU_DEP_2) | instskip(NEXT) | instid1(VALU_DEP_2)
	v_and_b32_e32 v5, 0xffff, v5
	v_cmp_gt_i32_e64 s14, 0, v7
	s_delay_alu instid0(VALU_DEP_1) | instskip(SKIP_1) | instid1(VALU_DEP_2)
	v_cndmask_b32_e64 v7, v7, v77, s14
	v_cmp_eq_u32_e64 s14, 0, v77
	v_lshlrev_b32_e32 v7, 2, v7
	ds_bpermute_b32 v19, v7, v6
	ds_bpermute_b32 v20, v7, v5
	s_and_saveexec_b32 s22, vcc_lo
	s_cbranch_execz .LBB429_114
; %bb.97:
	v_mov_b32_e32 v8, 0
	ds_load_b64 v[5:6], v8 offset:1096
	s_waitcnt lgkmcnt(0)
	v_readfirstlane_b32 s23, v6
	s_and_saveexec_b32 s15, s14
	s_cbranch_execz .LBB429_99
; %bb.98:
	s_add_i32 s24, s33, 32
	s_mov_b32 s25, 0
	v_mov_b32_e32 v7, 1
	s_lshl_b64 s[36:37], s[24:25], 4
	s_mov_b32 s40, s25
	s_add_u32 s36, s20, s36
	s_addc_u32 s37, s21, s37
	s_and_b32 s41, s23, 0xff000000
	s_and_b32 s43, s23, 0xff0000
	s_mov_b32 s42, s25
	v_dual_mov_b32 v13, s36 :: v_dual_mov_b32 v14, s37
	s_or_b64 s[40:41], s[42:43], s[40:41]
	s_and_b32 s43, s23, 0xff00
	s_delay_alu instid0(SALU_CYCLE_1) | instskip(SKIP_1) | instid1(SALU_CYCLE_1)
	s_or_b64 s[40:41], s[40:41], s[42:43]
	s_and_b32 s43, s23, 0xff
	s_or_b64 s[24:25], s[40:41], s[42:43]
	s_delay_alu instid0(SALU_CYCLE_1)
	v_mov_b32_e32 v6, s25
	;;#ASMSTART
	global_store_dwordx4 v[13:14], v[5:8] off	
s_waitcnt vmcnt(0)
	;;#ASMEND
.LBB429_99:
	s_or_b32 exec_lo, exec_lo, s15
	v_xad_u32 v13, v77, -1, s33
	s_mov_b32 s24, 0
	s_mov_b32 s15, exec_lo
	s_delay_alu instid0(VALU_DEP_1) | instskip(NEXT) | instid1(VALU_DEP_1)
	v_add_nc_u32_e32 v7, 32, v13
	v_lshlrev_b64 v[6:7], 4, v[7:8]
	s_delay_alu instid0(VALU_DEP_1) | instskip(NEXT) | instid1(VALU_DEP_2)
	v_add_co_u32 v14, vcc_lo, s20, v6
	v_add_co_ci_u32_e32 v15, vcc_lo, s21, v7, vcc_lo
	;;#ASMSTART
	global_load_dwordx4 v[6:9], v[14:15] off glc	
s_waitcnt vmcnt(0)
	;;#ASMEND
	v_and_b32_e32 v9, 0xffffff, v6
	v_and_b32_e32 v6, 0xff000000, v6
	;; [unrolled: 1-line block ×4, first 2 shown]
	s_delay_alu instid0(VALU_DEP_3) | instskip(SKIP_1) | instid1(VALU_DEP_3)
	v_or_b32_e32 v6, v9, v6
	v_and_b32_e32 v9, 0xff, v8
	v_or3_b32 v7, 0, v16, v7
	s_delay_alu instid0(VALU_DEP_3) | instskip(NEXT) | instid1(VALU_DEP_3)
	v_or3_b32 v6, v6, 0, 0
	v_cmpx_eq_u16_e32 0, v9
	s_cbranch_execz .LBB429_102
.LBB429_100:                            ; =>This Inner Loop Header: Depth=1
	;;#ASMSTART
	global_load_dwordx4 v[6:9], v[14:15] off glc	
s_waitcnt vmcnt(0)
	;;#ASMEND
	v_and_b32_e32 v9, 0xff, v8
	s_delay_alu instid0(VALU_DEP_1) | instskip(SKIP_1) | instid1(SALU_CYCLE_1)
	v_cmp_ne_u16_e32 vcc_lo, 0, v9
	s_or_b32 s24, vcc_lo, s24
	s_and_not1_b32 exec_lo, exec_lo, s24
	s_cbranch_execnz .LBB429_100
; %bb.101:
	s_or_b32 exec_lo, exec_lo, s24
	v_and_b32_e32 v7, 0xffff, v7
.LBB429_102:
	s_or_b32 exec_lo, exec_lo, s15
	v_cmp_ne_u32_e32 vcc_lo, 31, v77
	v_and_b32_e32 v14, 0xff, v8
	v_lshlrev_b32_e64 v22, v77, -1
	v_cmp_eq_u32_e64 s15, 0, v6
	v_add_co_ci_u32_e32 v9, vcc_lo, 0, v77, vcc_lo
	s_delay_alu instid0(VALU_DEP_4) | instskip(NEXT) | instid1(VALU_DEP_4)
	v_cmp_eq_u16_e32 vcc_lo, 2, v14
	v_and_or_b32 v14, vcc_lo, v22, 0x80000000
	v_cmp_gt_u32_e32 vcc_lo, 30, v77
	s_delay_alu instid0(VALU_DEP_2) | instskip(SKIP_1) | instid1(VALU_DEP_2)
	v_ctz_i32_b32_e32 v14, v14
	v_cndmask_b32_e64 v15, 0, 1, vcc_lo
	v_cmp_lt_u32_e32 vcc_lo, v77, v14
	v_lshlrev_b32_e32 v21, 2, v9
	s_delay_alu instid0(VALU_DEP_3)
	v_lshlrev_b32_e32 v15, 1, v15
	ds_bpermute_b32 v16, v21, v6
	v_add_lshl_u32 v23, v15, v77, 2
	s_waitcnt lgkmcnt(0)
	v_cndmask_b32_e32 v16, 0, v16, vcc_lo
	ds_bpermute_b32 v9, v21, v7
	v_add_nc_u32_e32 v6, v16, v6
	ds_bpermute_b32 v26, v23, v6
	s_waitcnt lgkmcnt(1)
	v_cndmask_b32_e64 v9, 0, v9, s15
	s_delay_alu instid0(VALU_DEP_1) | instskip(NEXT) | instid1(VALU_DEP_1)
	v_add_nc_u16 v9, v9, v7
	v_and_b32_e32 v24, 0xffff, v9
	v_cndmask_b32_e32 v9, v7, v9, vcc_lo
	s_delay_alu instid0(VALU_DEP_2)
	v_cndmask_b32_e32 v7, v7, v24, vcc_lo
	v_cmp_eq_u32_e32 vcc_lo, 0, v6
	ds_bpermute_b32 v15, v23, v7
	s_waitcnt lgkmcnt(0)
	v_cndmask_b32_e32 v15, 0, v15, vcc_lo
	v_cmp_gt_u32_e32 vcc_lo, 28, v77
	s_delay_alu instid0(VALU_DEP_2) | instskip(SKIP_1) | instid1(VALU_DEP_2)
	v_add_nc_u16 v15, v15, v9
	v_cndmask_b32_e64 v16, 0, 1, vcc_lo
	v_and_b32_e32 v27, 0xffff, v15
	v_add_nc_u32_e32 v24, 2, v77
	s_delay_alu instid0(VALU_DEP_1) | instskip(NEXT) | instid1(VALU_DEP_4)
	v_cmp_gt_u32_e32 vcc_lo, v24, v14
	v_dual_cndmask_b32 v9, v15, v9 :: v_dual_lshlrev_b32 v16, 2, v16
	s_delay_alu instid0(VALU_DEP_1) | instskip(SKIP_4) | instid1(VALU_DEP_1)
	v_add_lshl_u32 v25, v16, v77, 2
	v_cndmask_b32_e32 v7, v27, v7, vcc_lo
	v_cndmask_b32_e64 v16, v26, 0, vcc_lo
	ds_bpermute_b32 v15, v25, v7
	v_add_nc_u32_e32 v6, v6, v16
	v_cmp_eq_u32_e32 vcc_lo, 0, v6
	s_waitcnt lgkmcnt(0)
	v_cndmask_b32_e32 v15, 0, v15, vcc_lo
	v_cmp_gt_u32_e32 vcc_lo, 24, v77
	ds_bpermute_b32 v28, v25, v6
	v_add_nc_u16 v15, v9, v15
	v_cndmask_b32_e64 v16, 0, 1, vcc_lo
	s_delay_alu instid0(VALU_DEP_2) | instskip(SKIP_1) | instid1(VALU_DEP_1)
	v_and_b32_e32 v29, 0xffff, v15
	v_add_nc_u32_e32 v26, 4, v77
	v_cmp_gt_u32_e32 vcc_lo, v26, v14
	s_delay_alu instid0(VALU_DEP_4) | instskip(NEXT) | instid1(VALU_DEP_1)
	v_dual_cndmask_b32 v9, v15, v9 :: v_dual_lshlrev_b32 v16, 3, v16
	v_add_lshl_u32 v27, v16, v77, 2
	v_cndmask_b32_e32 v7, v29, v7, vcc_lo
	s_waitcnt lgkmcnt(0)
	v_cndmask_b32_e64 v16, v28, 0, vcc_lo
	ds_bpermute_b32 v15, v27, v7
	v_add_nc_u32_e32 v6, v6, v16
	s_delay_alu instid0(VALU_DEP_1)
	v_cmp_eq_u32_e32 vcc_lo, 0, v6
	s_waitcnt lgkmcnt(0)
	v_cndmask_b32_e32 v15, 0, v15, vcc_lo
	ds_bpermute_b32 v16, v27, v6
	v_cmp_gt_u32_e32 vcc_lo, 16, v77
	v_add_nc_u16 v15, v9, v15
	v_cndmask_b32_e64 v28, 0, 1, vcc_lo
	s_delay_alu instid0(VALU_DEP_2) | instskip(SKIP_1) | instid1(VALU_DEP_1)
	v_and_b32_e32 v29, 0xffff, v15
	v_add_nc_u32_e32 v30, 8, v77
	v_cmp_gt_u32_e32 vcc_lo, v30, v14
	s_delay_alu instid0(VALU_DEP_4) | instskip(NEXT) | instid1(VALU_DEP_1)
	v_dual_cndmask_b32 v9, v15, v9 :: v_dual_lshlrev_b32 v28, 4, v28
	v_add_lshl_u32 v31, v28, v77, 2
	v_cndmask_b32_e32 v7, v29, v7, vcc_lo
	s_waitcnt lgkmcnt(0)
	v_cndmask_b32_e64 v15, v16, 0, vcc_lo
	ds_bpermute_b32 v7, v31, v7
	v_add_nc_u32_e32 v6, v6, v15
	ds_bpermute_b32 v15, v31, v6
	v_cmp_eq_u32_e32 vcc_lo, 0, v6
	s_waitcnt lgkmcnt(1)
	v_dual_cndmask_b32 v7, 0, v7 :: v_dual_add_nc_u32 v32, 16, v77
	s_delay_alu instid0(VALU_DEP_1) | instskip(NEXT) | instid1(VALU_DEP_2)
	v_cmp_gt_u32_e32 vcc_lo, v32, v14
	v_cndmask_b32_e64 v7, v7, 0, vcc_lo
	s_waitcnt lgkmcnt(0)
	v_cndmask_b32_e64 v14, v15, 0, vcc_lo
	s_delay_alu instid0(VALU_DEP_2) | instskip(NEXT) | instid1(VALU_DEP_2)
	v_add_nc_u16 v7, v9, v7
	v_add_nc_u32_e32 v6, v14, v6
	v_mov_b32_e32 v14, 0
	s_branch .LBB429_104
.LBB429_103:                            ;   in Loop: Header=BB429_104 Depth=1
	s_or_b32 exec_lo, exec_lo, s15
	ds_bpermute_b32 v9, v21, v7
	v_and_b32_e32 v15, 0xff, v8
	v_cmp_eq_u32_e64 s15, 0, v6
	ds_bpermute_b32 v16, v21, v6
	v_subrev_nc_u32_e32 v13, 32, v13
	v_cmp_eq_u16_e32 vcc_lo, 2, v15
	v_and_or_b32 v15, vcc_lo, v22, 0x80000000
	s_delay_alu instid0(VALU_DEP_1) | instskip(SKIP_2) | instid1(VALU_DEP_2)
	v_ctz_i32_b32_e32 v15, v15
	s_waitcnt lgkmcnt(1)
	v_cndmask_b32_e64 v9, 0, v9, s15
	v_cmp_lt_u32_e32 vcc_lo, v77, v15
	s_delay_alu instid0(VALU_DEP_2) | instskip(SKIP_1) | instid1(VALU_DEP_1)
	v_add_nc_u16 v9, v9, v7
	s_waitcnt lgkmcnt(0)
	v_dual_cndmask_b32 v16, 0, v16 :: v_dual_and_b32 v33, 0xffff, v9
	s_delay_alu instid0(VALU_DEP_1) | instskip(NEXT) | instid1(VALU_DEP_2)
	v_dual_cndmask_b32 v9, v7, v9 :: v_dual_add_nc_u32 v6, v16, v6
	v_cndmask_b32_e32 v7, v7, v33, vcc_lo
	s_delay_alu instid0(VALU_DEP_2)
	v_cmp_eq_u32_e32 vcc_lo, 0, v6
	ds_bpermute_b32 v33, v23, v7
	s_waitcnt lgkmcnt(0)
	v_cndmask_b32_e32 v16, 0, v33, vcc_lo
	ds_bpermute_b32 v33, v23, v6
	v_cmp_gt_u32_e32 vcc_lo, v24, v15
	v_add_nc_u16 v16, v16, v9
	s_delay_alu instid0(VALU_DEP_1) | instskip(NEXT) | instid1(VALU_DEP_1)
	v_dual_cndmask_b32 v9, v16, v9 :: v_dual_and_b32 v34, 0xffff, v16
	v_cndmask_b32_e32 v7, v34, v7, vcc_lo
	ds_bpermute_b32 v16, v25, v7
	s_waitcnt lgkmcnt(1)
	v_cndmask_b32_e64 v33, v33, 0, vcc_lo
	s_delay_alu instid0(VALU_DEP_1) | instskip(NEXT) | instid1(VALU_DEP_1)
	v_add_nc_u32_e32 v6, v6, v33
	v_cmp_eq_u32_e32 vcc_lo, 0, v6
	ds_bpermute_b32 v33, v25, v6
	s_waitcnt lgkmcnt(1)
	v_cndmask_b32_e32 v16, 0, v16, vcc_lo
	v_cmp_gt_u32_e32 vcc_lo, v26, v15
	s_delay_alu instid0(VALU_DEP_2) | instskip(NEXT) | instid1(VALU_DEP_1)
	v_add_nc_u16 v16, v9, v16
	v_dual_cndmask_b32 v9, v16, v9 :: v_dual_and_b32 v34, 0xffff, v16
	s_waitcnt lgkmcnt(0)
	v_cndmask_b32_e64 v33, v33, 0, vcc_lo
	s_delay_alu instid0(VALU_DEP_2) | instskip(NEXT) | instid1(VALU_DEP_2)
	v_cndmask_b32_e32 v7, v34, v7, vcc_lo
	v_add_nc_u32_e32 v6, v6, v33
	ds_bpermute_b32 v16, v27, v7
	v_cmp_eq_u32_e32 vcc_lo, 0, v6
	ds_bpermute_b32 v33, v27, v6
	s_waitcnt lgkmcnt(1)
	v_cndmask_b32_e32 v16, 0, v16, vcc_lo
	v_cmp_gt_u32_e32 vcc_lo, v30, v15
	s_delay_alu instid0(VALU_DEP_2) | instskip(NEXT) | instid1(VALU_DEP_1)
	v_add_nc_u16 v16, v9, v16
	v_dual_cndmask_b32 v9, v16, v9 :: v_dual_and_b32 v34, 0xffff, v16
	s_waitcnt lgkmcnt(0)
	v_cndmask_b32_e64 v16, v33, 0, vcc_lo
	s_delay_alu instid0(VALU_DEP_2) | instskip(NEXT) | instid1(VALU_DEP_2)
	v_cndmask_b32_e32 v7, v34, v7, vcc_lo
	v_add_nc_u32_e32 v6, v6, v16
	ds_bpermute_b32 v7, v31, v7
	ds_bpermute_b32 v16, v31, v6
	v_cmp_eq_u32_e32 vcc_lo, 0, v6
	s_waitcnt lgkmcnt(1)
	v_cndmask_b32_e32 v7, 0, v7, vcc_lo
	v_cmp_gt_u32_e32 vcc_lo, v32, v15
	s_delay_alu instid0(VALU_DEP_2) | instskip(NEXT) | instid1(VALU_DEP_1)
	v_cndmask_b32_e64 v7, v7, 0, vcc_lo
	v_add_nc_u16 v7, v9, v7
	s_waitcnt lgkmcnt(0)
	v_cndmask_b32_e64 v9, v16, 0, vcc_lo
	v_cmp_eq_u32_e32 vcc_lo, 0, v29
	s_delay_alu instid0(VALU_DEP_2) | instskip(SKIP_1) | instid1(VALU_DEP_1)
	v_add3_u32 v6, v6, v29, v9
	v_cndmask_b32_e32 v7, 0, v7, vcc_lo
	v_add_nc_u16 v7, v7, v28
.LBB429_104:                            ; =>This Loop Header: Depth=1
                                        ;     Child Loop BB429_107 Depth 2
	s_delay_alu instid0(VALU_DEP_2) | instskip(NEXT) | instid1(VALU_DEP_2)
	v_dual_mov_b32 v29, v6 :: v_dual_and_b32 v8, 0xff, v8
	v_mov_b32_e32 v28, v7
	s_delay_alu instid0(VALU_DEP_2) | instskip(SKIP_2) | instid1(VALU_DEP_1)
	v_cmp_ne_u16_e32 vcc_lo, 2, v8
	v_cndmask_b32_e64 v8, 0, 1, vcc_lo
	;;#ASMSTART
	;;#ASMEND
	v_cmp_ne_u32_e32 vcc_lo, 0, v8
	s_cmp_lg_u32 vcc_lo, exec_lo
	s_cbranch_scc1 .LBB429_109
; %bb.105:                              ;   in Loop: Header=BB429_104 Depth=1
	v_lshlrev_b64 v[6:7], 4, v[13:14]
	s_mov_b32 s15, exec_lo
	s_delay_alu instid0(VALU_DEP_1) | instskip(NEXT) | instid1(VALU_DEP_2)
	v_add_co_u32 v15, vcc_lo, s20, v6
	v_add_co_ci_u32_e32 v16, vcc_lo, s21, v7, vcc_lo
	;;#ASMSTART
	global_load_dwordx4 v[6:9], v[15:16] off glc	
s_waitcnt vmcnt(0)
	;;#ASMEND
	v_and_b32_e32 v9, 0xffffff, v6
	v_and_b32_e32 v6, 0xff000000, v6
	;; [unrolled: 1-line block ×4, first 2 shown]
	s_delay_alu instid0(VALU_DEP_3) | instskip(SKIP_1) | instid1(VALU_DEP_3)
	v_or_b32_e32 v6, v9, v6
	v_and_b32_e32 v9, 0xff, v8
	v_or3_b32 v7, 0, v33, v7
	s_delay_alu instid0(VALU_DEP_3) | instskip(NEXT) | instid1(VALU_DEP_3)
	v_or3_b32 v6, v6, 0, 0
	v_cmpx_eq_u16_e32 0, v9
	s_cbranch_execz .LBB429_103
; %bb.106:                              ;   in Loop: Header=BB429_104 Depth=1
	s_mov_b32 s24, 0
.LBB429_107:                            ;   Parent Loop BB429_104 Depth=1
                                        ; =>  This Inner Loop Header: Depth=2
	;;#ASMSTART
	global_load_dwordx4 v[6:9], v[15:16] off glc	
s_waitcnt vmcnt(0)
	;;#ASMEND
	v_and_b32_e32 v9, 0xff, v8
	s_delay_alu instid0(VALU_DEP_1) | instskip(SKIP_1) | instid1(SALU_CYCLE_1)
	v_cmp_ne_u16_e32 vcc_lo, 0, v9
	s_or_b32 s24, vcc_lo, s24
	s_and_not1_b32 exec_lo, exec_lo, s24
	s_cbranch_execnz .LBB429_107
; %bb.108:                              ;   in Loop: Header=BB429_104 Depth=1
	s_or_b32 exec_lo, exec_lo, s24
	v_and_b32_e32 v7, 0xffff, v7
	s_branch .LBB429_103
.LBB429_109:                            ;   in Loop: Header=BB429_104 Depth=1
                                        ; implicit-def: $vgpr7
                                        ; implicit-def: $vgpr6
                                        ; implicit-def: $vgpr8
	s_cbranch_execz .LBB429_104
; %bb.110:
	s_and_saveexec_b32 s15, s14
	s_cbranch_execz .LBB429_112
; %bb.111:
	v_cmp_eq_u32_e32 vcc_lo, 0, v5
	s_mov_b32 s25, 0
	s_add_i32 s24, s33, 32
	v_add_nc_u32_e64 v15, 0x400, 0
	s_lshl_b64 s[24:25], s[24:25], 4
	v_dual_cndmask_b32 v6, 0, v28 :: v_dual_mov_b32 v9, 0
	s_add_u32 s24, s20, s24
	s_addc_u32 s25, s21, s25
	v_mov_b32_e32 v16, s23
	s_delay_alu instid0(VALU_DEP_2) | instskip(SKIP_1) | instid1(VALU_DEP_2)
	v_add_nc_u16 v7, v6, s23
	v_add_nc_u32_e32 v6, v29, v5
	v_dual_mov_b32 v8, 2 :: v_dual_and_b32 v13, 0xff00, v7
	v_and_b32_e32 v7, 0xff, v7
	s_delay_alu instid0(VALU_DEP_1)
	v_or_b32_e32 v7, v13, v7
	v_dual_mov_b32 v13, s24 :: v_dual_mov_b32 v14, s25
	;;#ASMSTART
	global_store_dwordx4 v[13:14], v[6:9] off	
s_waitcnt vmcnt(0)
	;;#ASMEND
	ds_store_2addr_b32 v15, v5, v29 offset1:2
	ds_store_b16 v9, v16 offset:1028
	ds_store_b16 v9, v28 offset:1036
.LBB429_112:
	s_or_b32 exec_lo, exec_lo, s15
	s_delay_alu instid0(SALU_CYCLE_1)
	s_and_b32 exec_lo, exec_lo, s2
	s_cbranch_execz .LBB429_114
; %bb.113:
	v_mov_b32_e32 v5, 0
	ds_store_b32 v5, v29 offset:1096
	ds_store_b16 v5, v28 offset:1100
.LBB429_114:
	s_or_b32 exec_lo, exec_lo, s22
	v_mov_b32_e32 v7, 0
	s_waitcnt lgkmcnt(0)
	s_barrier
	buffer_gl0_inv
	v_cndmask_b32_e64 v8, v19, v18, s14
	ds_load_b64 v[5:6], v7 offset:1096
	v_cndmask_b32_e64 v9, v20, v17, s14
	s_waitcnt lgkmcnt(0)
	s_barrier
	v_cmp_eq_u32_e32 vcc_lo, 0, v8
	v_cndmask_b32_e64 v8, v8, 0, s2
	buffer_gl0_inv
	v_cndmask_b32_e32 v13, 0, v6, vcc_lo
	v_cmp_eq_u32_e32 vcc_lo, 0, v63
	v_add_nc_u32_e32 v41, v5, v8
	s_delay_alu instid0(VALU_DEP_3) | instskip(NEXT) | instid1(VALU_DEP_2)
	v_add_nc_u16 v9, v13, v9
	v_add_nc_u32_e32 v37, v41, v63
	s_delay_alu instid0(VALU_DEP_2) | instskip(NEXT) | instid1(VALU_DEP_2)
	v_cndmask_b32_e64 v9, v9, v6, s2
	v_add_nc_u32_e32 v35, v37, v61
	s_delay_alu instid0(VALU_DEP_2) | instskip(SKIP_1) | instid1(VALU_DEP_3)
	v_cndmask_b32_e32 v6, 0, v9, vcc_lo
	v_and_b32_e32 v42, 0xffff, v9
	v_add_nc_u32_e32 v33, v35, v60
	s_delay_alu instid0(VALU_DEP_3) | instskip(NEXT) | instid1(VALU_DEP_2)
	v_add_nc_u16 v13, v6, v74
	v_add_nc_u32_e32 v21, v33, v59
	s_delay_alu instid0(VALU_DEP_2) | instskip(SKIP_1) | instid1(VALU_DEP_3)
	v_cndmask_b32_e64 v6, 0, v13, s13
	v_and_b32_e32 v38, 0xffff, v13
	v_add_nc_u32_e32 v19, v21, v58
	s_delay_alu instid0(VALU_DEP_3) | instskip(NEXT) | instid1(VALU_DEP_2)
	v_add_nc_u16 v14, v6, v73
	v_add_nc_u32_e32 v17, v19, v57
	s_delay_alu instid0(VALU_DEP_2) | instskip(SKIP_1) | instid1(VALU_DEP_3)
	v_cndmask_b32_e64 v6, 0, v14, s12
	;; [unrolled: 7-line block ×4, first 2 shown]
	v_and_b32_e32 v22, 0xffff, v16
	v_add_nc_u32_e32 v25, v29, v50
	s_delay_alu instid0(VALU_DEP_3) | instskip(NEXT) | instid1(VALU_DEP_2)
	v_add_nc_u16 v18, v6, v72
	v_add_nc_u32_e32 v27, v25, v49
	s_delay_alu instid0(VALU_DEP_2) | instskip(NEXT) | instid1(VALU_DEP_2)
	v_cndmask_b32_e64 v6, 0, v18, s9
	v_add_nc_u32_e32 v23, v27, v48
	s_delay_alu instid0(VALU_DEP_2) | instskip(NEXT) | instid1(VALU_DEP_2)
	v_add_nc_u16 v24, v6, v69
	v_add_nc_u32_e32 v15, v23, v47
	s_delay_alu instid0(VALU_DEP_2) | instskip(NEXT) | instid1(VALU_DEP_1)
	v_cndmask_b32_e64 v5, 0, v24, s8
	v_add_nc_u16 v26, v5, v70
	s_delay_alu instid0(VALU_DEP_1) | instskip(SKIP_1) | instid1(VALU_DEP_2)
	v_cndmask_b32_e64 v5, 0, v26, s7
	v_and_b32_e32 v40, 0xffff, v26
	v_add_nc_u16 v28, v5, v67
	s_delay_alu instid0(VALU_DEP_1) | instskip(SKIP_1) | instid1(VALU_DEP_2)
	v_cndmask_b32_e64 v5, 0, v28, s6
	v_and_b32_e32 v44, 0xffff, v28
	;; [unrolled: 4-line block ×3, first 2 shown]
	v_add_nc_u16 v62, v5, v66
	ds_load_b128 v[5:8], v7 offset:1024
	v_cndmask_b32_e64 v20, 0, v62, s4
	v_and_b32_e32 v30, 0xffff, v62
	s_delay_alu instid0(VALU_DEP_2) | instskip(NEXT) | instid1(VALU_DEP_1)
	v_add_nc_u16 v81, v20, v65
	v_cndmask_b32_e64 v20, 0, v81, s3
	v_and_b32_e32 v26, 0xffff, v81
	s_delay_alu instid0(VALU_DEP_2) | instskip(SKIP_2) | instid1(VALU_DEP_2)
	v_add_nc_u16 v82, v20, v64
	s_waitcnt lgkmcnt(0)
	v_cmp_eq_u32_e32 vcc_lo, 0, v5
	v_cndmask_b32_e64 v20, 0, v82, s1
	v_cndmask_b32_e32 v8, 0, v8, vcc_lo
	v_and_b32_e32 v28, 0xffff, v82
	s_delay_alu instid0(VALU_DEP_3) | instskip(SKIP_3) | instid1(VALU_DEP_4)
	v_add_nc_u16 v9, v20, v46
	v_and_b32_e32 v20, 0xffff, v18
	v_and_b32_e32 v18, 0xffff, v24
	v_add_nc_u32_e32 v62, v8, v6
	v_cndmask_b32_e64 v13, 0, v9, s0
	v_and_b32_e32 v24, 0xffff, v9
	s_delay_alu instid0(VALU_DEP_2) | instskip(NEXT) | instid1(VALU_DEP_1)
	v_add_nc_u16 v13, v13, v45
	v_and_b32_e32 v16, 0xffff, v13
	s_branch .LBB429_127
.LBB429_115:
                                        ; implicit-def: $vgpr5
                                        ; implicit-def: $vgpr62
                                        ; implicit-def: $vgpr41_vgpr42
                                        ; implicit-def: $vgpr37_vgpr38
                                        ; implicit-def: $vgpr35_vgpr36
                                        ; implicit-def: $vgpr33_vgpr34
                                        ; implicit-def: $vgpr21_vgpr22
                                        ; implicit-def: $vgpr19_vgpr20
                                        ; implicit-def: $vgpr17_vgpr18
                                        ; implicit-def: $vgpr39_vgpr40
                                        ; implicit-def: $vgpr43_vgpr44
                                        ; implicit-def: $vgpr31_vgpr32
                                        ; implicit-def: $vgpr29_vgpr30
                                        ; implicit-def: $vgpr25_vgpr26
                                        ; implicit-def: $vgpr27_vgpr28
                                        ; implicit-def: $vgpr23_vgpr24
                                        ; implicit-def: $vgpr15_vgpr16
	s_cbranch_execz .LBB429_127
; %bb.116:
	s_and_b32 s0, s16, exec_lo
	v_mov_b32_e32 v6, v74
	s_cselect_b32 s1, 0, s35
	s_cselect_b32 s0, 0, s34
	s_delay_alu instid0(SALU_CYCLE_1)
	s_cmp_eq_u64 s[0:1], 0
	s_cbranch_scc1 .LBB429_118
; %bb.117:
	v_mov_b32_e32 v5, 0
	global_load_u16 v6, v5, s[0:1]
.LBB429_118:
	v_cmp_eq_u32_e64 s12, 0, v61
	v_cmp_eq_u32_e64 s11, 0, v60
	;; [unrolled: 1-line block ×5, first 2 shown]
	v_cndmask_b32_e64 v5, 0, v74, s12
	v_cmp_eq_u32_e64 s8, 0, v56
	v_cmp_eq_u32_e64 s6, 0, v54
	;; [unrolled: 1-line block ×4, first 2 shown]
	v_add_nc_u16 v5, v5, v73
	v_cmp_eq_u32_e64 s3, 0, v50
	v_cmp_eq_u32_e64 s1, 0, v49
	v_cmp_eq_u32_e64 s0, 0, v48
	v_cmp_eq_u32_e32 vcc_lo, 0, v47
	v_cndmask_b32_e64 v5, 0, v5, s11
	v_add3_u32 v7, v80, v57, v56
	v_cmp_eq_u32_e64 s13, 0, v52
	v_and_b32_e32 v13, 15, v77
	s_delay_alu instid0(VALU_DEP_4) | instskip(NEXT) | instid1(VALU_DEP_4)
	v_add_nc_u16 v5, v5, v75
	v_add3_u32 v7, v7, v54, v53
	s_delay_alu instid0(VALU_DEP_2) | instskip(NEXT) | instid1(VALU_DEP_2)
	v_cndmask_b32_e64 v5, 0, v5, s10
	v_add3_u32 v7, v7, v51, v50
	s_delay_alu instid0(VALU_DEP_2) | instskip(NEXT) | instid1(VALU_DEP_2)
	v_add_nc_u16 v5, v5, v71
	v_add3_u32 v7, v7, v49, v48
	s_delay_alu instid0(VALU_DEP_2) | instskip(NEXT) | instid1(VALU_DEP_2)
	v_cndmask_b32_e64 v5, 0, v5, s9
	v_add3_u32 v7, v7, v47, v52
	s_delay_alu instid0(VALU_DEP_2) | instskip(NEXT) | instid1(VALU_DEP_2)
	v_add_nc_u16 v5, v5, v72
	v_mov_b32_dpp v14, v7 row_shr:1 row_mask:0xf bank_mask:0xf
	s_delay_alu instid0(VALU_DEP_2) | instskip(NEXT) | instid1(VALU_DEP_1)
	v_cndmask_b32_e64 v5, 0, v5, s7
	v_add_nc_u16 v5, v5, v69
	s_delay_alu instid0(VALU_DEP_1) | instskip(NEXT) | instid1(VALU_DEP_1)
	v_cndmask_b32_e64 v5, 0, v5, s8
	v_add_nc_u16 v5, v5, v70
	s_delay_alu instid0(VALU_DEP_1) | instskip(NEXT) | instid1(VALU_DEP_1)
	;; [unrolled: 3-line block ×8, first 2 shown]
	v_cndmask_b32_e32 v5, 0, v5, vcc_lo
	v_add_nc_u16 v5, v5, v45
	s_delay_alu instid0(VALU_DEP_1) | instskip(SKIP_1) | instid1(VALU_DEP_2)
	v_cndmask_b32_e64 v5, 0, v5, s13
	v_cmp_eq_u32_e64 s13, 0, v7
	v_add_nc_u16 v5, v5, v76
	s_delay_alu instid0(VALU_DEP_1) | instskip(NEXT) | instid1(VALU_DEP_1)
	v_and_b32_e32 v8, 0xffff, v5
	v_mov_b32_dpp v9, v8 row_shr:1 row_mask:0xf bank_mask:0xf
	s_delay_alu instid0(VALU_DEP_1) | instskip(SKIP_1) | instid1(VALU_DEP_2)
	v_cndmask_b32_e64 v9, 0, v9, s13
	v_cmp_eq_u32_e64 s13, 0, v13
	v_add_nc_u16 v9, v9, v5
	s_delay_alu instid0(VALU_DEP_2) | instskip(NEXT) | instid1(VALU_DEP_2)
	v_cndmask_b32_e64 v14, v14, 0, s13
	v_and_b32_e32 v15, 0xffff, v9
	s_delay_alu instid0(VALU_DEP_2) | instskip(SKIP_1) | instid1(VALU_DEP_3)
	v_add_nc_u32_e32 v7, v14, v7
	v_cndmask_b32_e64 v5, v9, v5, s13
	v_cndmask_b32_e64 v8, v15, v8, s13
	s_delay_alu instid0(VALU_DEP_3) | instskip(NEXT) | instid1(VALU_DEP_2)
	v_cmp_eq_u32_e64 s13, 0, v7
	v_mov_b32_dpp v14, v8 row_shr:2 row_mask:0xf bank_mask:0xf
	s_delay_alu instid0(VALU_DEP_1) | instskip(SKIP_2) | instid1(VALU_DEP_3)
	v_cndmask_b32_e64 v9, 0, v14, s13
	v_mov_b32_dpp v14, v7 row_shr:2 row_mask:0xf bank_mask:0xf
	v_cmp_lt_u32_e64 s13, 1, v13
	v_add_nc_u16 v9, v9, v5
	s_delay_alu instid0(VALU_DEP_1) | instskip(NEXT) | instid1(VALU_DEP_3)
	v_and_b32_e32 v15, 0xffff, v9
	v_cndmask_b32_e64 v5, v5, v9, s13
	v_cndmask_b32_e64 v9, 0, v14, s13
	s_delay_alu instid0(VALU_DEP_3) | instskip(NEXT) | instid1(VALU_DEP_2)
	v_cndmask_b32_e64 v8, v8, v15, s13
	v_add_nc_u32_e32 v7, v7, v9
	s_delay_alu instid0(VALU_DEP_2) | instskip(NEXT) | instid1(VALU_DEP_2)
	v_mov_b32_dpp v9, v8 row_shr:4 row_mask:0xf bank_mask:0xf
	v_cmp_eq_u32_e64 s13, 0, v7
	v_mov_b32_dpp v14, v7 row_shr:4 row_mask:0xf bank_mask:0xf
	s_delay_alu instid0(VALU_DEP_2) | instskip(SKIP_1) | instid1(VALU_DEP_2)
	v_cndmask_b32_e64 v9, 0, v9, s13
	v_cmp_lt_u32_e64 s13, 3, v13
	v_add_nc_u16 v9, v9, v5
	s_delay_alu instid0(VALU_DEP_1) | instskip(NEXT) | instid1(VALU_DEP_3)
	v_and_b32_e32 v15, 0xffff, v9
	v_cndmask_b32_e64 v5, v5, v9, s13
	v_cndmask_b32_e64 v9, 0, v14, s13
	s_delay_alu instid0(VALU_DEP_3) | instskip(NEXT) | instid1(VALU_DEP_2)
	v_cndmask_b32_e64 v8, v8, v15, s13
	v_add_nc_u32_e32 v7, v9, v7
	s_delay_alu instid0(VALU_DEP_2) | instskip(NEXT) | instid1(VALU_DEP_2)
	v_mov_b32_dpp v9, v8 row_shr:8 row_mask:0xf bank_mask:0xf
	v_cmp_eq_u32_e64 s13, 0, v7
	v_mov_b32_dpp v14, v7 row_shr:8 row_mask:0xf bank_mask:0xf
	s_delay_alu instid0(VALU_DEP_2) | instskip(SKIP_1) | instid1(VALU_DEP_2)
	v_cndmask_b32_e64 v9, 0, v9, s13
	v_cmp_lt_u32_e64 s13, 7, v13
	v_add_nc_u16 v9, v9, v5
	s_delay_alu instid0(VALU_DEP_1) | instskip(SKIP_3) | instid1(VALU_DEP_3)
	v_cndmask_b32_e64 v13, v5, v9, s13
	v_cndmask_b32_e64 v5, 0, v14, s13
	v_and_b32_e32 v9, 0xffff, v9
	v_bfe_i32 v14, v77, 4, 1
	v_add_nc_u32_e32 v5, v5, v7
	s_delay_alu instid0(VALU_DEP_3)
	v_cndmask_b32_e64 v7, v8, v9, s13
	v_and_b32_e32 v9, 16, v77
	ds_swizzle_b32 v8, v5 offset:swizzle(BROADCAST,32,15)
	ds_swizzle_b32 v7, v7 offset:swizzle(BROADCAST,32,15)
	v_cmp_ne_u32_e64 s13, 0, v9
	v_cmp_eq_u32_e64 s14, 0, v5
	v_lshlrev_b32_e32 v9, 3, v78
	s_delay_alu instid0(VALU_DEP_2)
	s_and_b32 s13, s13, s14
	s_mov_b32 s14, exec_lo
	s_waitcnt lgkmcnt(1)
	v_and_b32_e32 v8, v14, v8
	s_waitcnt lgkmcnt(0)
	v_cndmask_b32_e64 v7, 0, v7, s13
	s_delay_alu instid0(VALU_DEP_2) | instskip(NEXT) | instid1(VALU_DEP_2)
	v_add_nc_u32_e32 v5, v8, v5
	v_add_nc_u16 v8, v7, v13
	v_cmpx_eq_u32_e64 v79, v0
	s_cbranch_execz .LBB429_120
; %bb.119:
	ds_store_b32 v9, v5 offset:1040
	ds_store_b16 v9, v8 offset:1044
.LBB429_120:
	s_or_b32 exec_lo, exec_lo, s14
	s_delay_alu instid0(SALU_CYCLE_1)
	s_mov_b32 s15, exec_lo
	s_waitcnt vmcnt(0) lgkmcnt(0)
	s_barrier
	buffer_gl0_inv
	v_cmpx_gt_u32_e32 8, v0
	s_cbranch_execz .LBB429_122
; %bb.121:
	v_lshlrev_b32_e32 v7, 3, v0
	v_and_b32_e32 v18, 7, v77
	ds_load_b64 v[13:14], v7 offset:1040
	v_cmp_lt_u32_e64 s14, 3, v18
	s_waitcnt lgkmcnt(0)
	v_mov_b32_dpp v15, v14 row_shr:1 row_mask:0xf bank_mask:0xf
	v_cmp_eq_u32_e64 s13, 0, v13
	v_and_b32_e32 v16, 0xffff0000, v14
	v_mov_b32_dpp v19, v13 row_shr:1 row_mask:0xf bank_mask:0xf
	s_delay_alu instid0(VALU_DEP_3) | instskip(SKIP_1) | instid1(VALU_DEP_2)
	v_cndmask_b32_e64 v15, 0, v15, s13
	v_cmp_eq_u32_e64 s13, 0, v18
	v_add_nc_u16 v15, v15, v14
	s_delay_alu instid0(VALU_DEP_2) | instskip(NEXT) | instid1(VALU_DEP_2)
	v_cndmask_b32_e64 v19, v19, 0, s13
	v_and_b32_e32 v17, 0xffff, v15
	s_delay_alu instid0(VALU_DEP_2) | instskip(NEXT) | instid1(VALU_DEP_2)
	v_add_nc_u32_e32 v13, v19, v13
	v_or_b32_e32 v17, v16, v17
	s_delay_alu instid0(VALU_DEP_1) | instskip(SKIP_1) | instid1(VALU_DEP_4)
	v_cndmask_b32_e64 v17, v17, v14, s13
	v_cndmask_b32_e64 v14, v15, v14, s13
	v_cmp_eq_u32_e64 s13, 0, v13
	s_delay_alu instid0(VALU_DEP_3) | instskip(NEXT) | instid1(VALU_DEP_1)
	v_mov_b32_dpp v19, v17 row_shr:2 row_mask:0xf bank_mask:0xf
	v_cndmask_b32_e64 v15, 0, v19, s13
	v_mov_b32_dpp v19, v13 row_shr:2 row_mask:0xf bank_mask:0xf
	v_cmp_lt_u32_e64 s13, 1, v18
	s_delay_alu instid0(VALU_DEP_3) | instskip(NEXT) | instid1(VALU_DEP_1)
	v_add_nc_u16 v15, v15, v14
	v_and_b32_e32 v20, 0xffff, v15
	s_delay_alu instid0(VALU_DEP_3) | instskip(SKIP_1) | instid1(VALU_DEP_3)
	v_cndmask_b32_e64 v14, v14, v15, s13
	v_cndmask_b32_e64 v15, 0, v19, s13
	v_or_b32_e32 v16, v16, v20
	s_delay_alu instid0(VALU_DEP_2) | instskip(NEXT) | instid1(VALU_DEP_2)
	v_add_nc_u32_e32 v13, v15, v13
	v_cndmask_b32_e64 v15, v17, v16, s13
	s_delay_alu instid0(VALU_DEP_2) | instskip(SKIP_1) | instid1(VALU_DEP_3)
	v_cmp_eq_u32_e64 s13, 0, v13
	v_mov_b32_dpp v16, v13 row_shr:4 row_mask:0xf bank_mask:0xf
	v_mov_b32_dpp v15, v15 row_shr:4 row_mask:0xf bank_mask:0xf
	s_delay_alu instid0(VALU_DEP_3) | instskip(NEXT) | instid1(VALU_DEP_2)
	s_and_b32 s13, s14, s13
	v_cndmask_b32_e64 v16, 0, v16, s14
	s_delay_alu instid0(VALU_DEP_2) | instskip(NEXT) | instid1(VALU_DEP_2)
	v_cndmask_b32_e64 v15, 0, v15, s13
	v_add_nc_u32_e32 v13, v16, v13
	s_delay_alu instid0(VALU_DEP_2)
	v_add_nc_u16 v14, v14, v15
	ds_store_b32 v7, v13 offset:1040
	ds_store_b16 v7, v14 offset:1044
.LBB429_122:
	s_or_b32 exec_lo, exec_lo, s15
	v_dual_mov_b32 v7, 0 :: v_dual_mov_b32 v14, v6
	v_mov_b32_e32 v13, 0
	s_mov_b32 s14, exec_lo
	s_waitcnt lgkmcnt(0)
	s_barrier
	buffer_gl0_inv
	v_cmpx_lt_u32_e32 31, v0
	s_cbranch_execz .LBB429_124
; %bb.123:
	ds_load_b32 v13, v9 offset:1032
	ds_load_u16 v9, v9 offset:1036
	s_waitcnt lgkmcnt(1)
	v_cmp_eq_u32_e64 s13, 0, v13
	s_delay_alu instid0(VALU_DEP_1) | instskip(SKIP_1) | instid1(VALU_DEP_1)
	v_cndmask_b32_e64 v14, 0, v6, s13
	s_waitcnt lgkmcnt(0)
	v_add_nc_u16 v14, v14, v9
.LBB429_124:
	s_or_b32 exec_lo, exec_lo, s14
	v_add_nc_u32_e32 v9, -1, v77
	v_cmp_eq_u32_e64 s13, 0, v5
	v_add_nc_u32_e32 v5, v13, v5
	s_delay_alu instid0(VALU_DEP_2) | instskip(NEXT) | instid1(VALU_DEP_4)
	v_cndmask_b32_e64 v15, 0, v14, s13
	v_cmp_gt_i32_e64 s13, 0, v9
	s_delay_alu instid0(VALU_DEP_2) | instskip(NEXT) | instid1(VALU_DEP_2)
	v_add_nc_u16 v8, v15, v8
	v_cndmask_b32_e64 v9, v9, v77, s13
	v_cmp_eq_u32_e64 s13, 0, v77
	s_delay_alu instid0(VALU_DEP_3) | instskip(NEXT) | instid1(VALU_DEP_3)
	v_and_b32_e32 v8, 0xffff, v8
	v_lshlrev_b32_e32 v9, 2, v9
	ds_bpermute_b32 v8, v9, v8
	ds_bpermute_b32 v5, v9, v5
	s_waitcnt lgkmcnt(1)
	v_cndmask_b32_e64 v8, v8, v14, s13
	s_waitcnt lgkmcnt(0)
	v_cndmask_b32_e64 v5, v5, v13, s13
	v_cmp_eq_u32_e64 s13, 0, v63
	s_delay_alu instid0(VALU_DEP_3) | instskip(NEXT) | instid1(VALU_DEP_3)
	v_cndmask_b32_e64 v8, v8, v6, s2
	v_cndmask_b32_e64 v41, v5, 0, s2
	s_delay_alu instid0(VALU_DEP_2) | instskip(NEXT) | instid1(VALU_DEP_2)
	v_cndmask_b32_e64 v9, 0, v8, s13
	v_add_nc_u32_e32 v37, v41, v63
	v_and_b32_e32 v42, 0xffff, v8
	s_delay_alu instid0(VALU_DEP_3) | instskip(NEXT) | instid1(VALU_DEP_3)
	v_add_nc_u16 v9, v9, v74
	v_add_nc_u32_e32 v35, v37, v61
	s_delay_alu instid0(VALU_DEP_2) | instskip(NEXT) | instid1(VALU_DEP_2)
	v_cndmask_b32_e64 v13, 0, v9, s12
	v_add_nc_u32_e32 v33, v35, v60
	s_delay_alu instid0(VALU_DEP_2) | instskip(NEXT) | instid1(VALU_DEP_2)
	v_add_nc_u16 v13, v13, v73
	v_add_nc_u32_e32 v21, v33, v59
	s_delay_alu instid0(VALU_DEP_2) | instskip(NEXT) | instid1(VALU_DEP_2)
	v_cndmask_b32_e64 v14, 0, v13, s11
	v_add_nc_u32_e32 v19, v21, v58
	v_and_b32_e32 v36, 0xffff, v13
	s_delay_alu instid0(VALU_DEP_3) | instskip(NEXT) | instid1(VALU_DEP_1)
	v_add_nc_u16 v14, v14, v75
	v_cndmask_b32_e64 v15, 0, v14, s10
	v_and_b32_e32 v34, 0xffff, v14
	s_delay_alu instid0(VALU_DEP_2) | instskip(NEXT) | instid1(VALU_DEP_1)
	v_add_nc_u16 v15, v15, v71
	v_cndmask_b32_e64 v16, 0, v15, s9
	v_and_b32_e32 v22, 0xffff, v15
	s_delay_alu instid0(VALU_DEP_2) | instskip(NEXT) | instid1(VALU_DEP_1)
	v_add_nc_u16 v16, v16, v72
	v_cndmask_b32_e64 v17, 0, v16, s7
	s_delay_alu instid0(VALU_DEP_1) | instskip(NEXT) | instid1(VALU_DEP_1)
	v_add_nc_u16 v18, v17, v69
	v_cndmask_b32_e64 v17, 0, v18, s8
	v_and_b32_e32 v18, 0xffff, v18
	s_delay_alu instid0(VALU_DEP_2) | instskip(SKIP_1) | instid1(VALU_DEP_2)
	v_add_nc_u16 v24, v17, v70
	v_add_nc_u32_e32 v17, v19, v57
	v_cndmask_b32_e64 v5, 0, v24, s6
	s_delay_alu instid0(VALU_DEP_2) | instskip(SKIP_1) | instid1(VALU_DEP_3)
	v_add_nc_u32_e32 v39, v17, v56
	v_and_b32_e32 v40, 0xffff, v24
	v_add_nc_u16 v26, v5, v67
	s_delay_alu instid0(VALU_DEP_3) | instskip(NEXT) | instid1(VALU_DEP_2)
	v_add_nc_u32_e32 v43, v39, v54
	v_cndmask_b32_e64 v5, 0, v26, s5
	s_delay_alu instid0(VALU_DEP_2) | instskip(SKIP_1) | instid1(VALU_DEP_3)
	v_add_nc_u32_e32 v31, v43, v53
	v_and_b32_e32 v44, 0xffff, v26
	v_add_nc_u16 v28, v5, v68
	s_delay_alu instid0(VALU_DEP_3) | instskip(NEXT) | instid1(VALU_DEP_2)
	v_add_nc_u32_e32 v29, v31, v51
	v_cndmask_b32_e64 v5, 0, v28, s4
	s_delay_alu instid0(VALU_DEP_2) | instskip(SKIP_1) | instid1(VALU_DEP_3)
	v_add_nc_u32_e32 v25, v29, v50
	v_and_b32_e32 v32, 0xffff, v28
	v_add_nc_u16 v30, v5, v66
	ds_load_b32 v5, v7 offset:1096
	ds_load_u16 v7, v7 offset:1100
	v_add_nc_u32_e32 v27, v25, v49
	v_cndmask_b32_e64 v20, 0, v30, s3
	v_and_b32_e32 v30, 0xffff, v30
	s_delay_alu instid0(VALU_DEP_3) | instskip(NEXT) | instid1(VALU_DEP_3)
	v_add_nc_u32_e32 v23, v27, v48
	v_add_nc_u16 v62, v20, v65
	s_delay_alu instid0(VALU_DEP_2) | instskip(NEXT) | instid1(VALU_DEP_2)
	v_add_nc_u32_e32 v15, v23, v47
	v_cndmask_b32_e64 v20, 0, v62, s1
	v_and_b32_e32 v26, 0xffff, v62
	s_delay_alu instid0(VALU_DEP_2) | instskip(SKIP_3) | instid1(VALU_DEP_3)
	v_add_nc_u16 v64, v20, v64
	s_waitcnt lgkmcnt(1)
	v_cmp_eq_u32_e64 s1, 0, v5
	v_and_b32_e32 v20, 0xffff, v16
	v_cndmask_b32_e64 v8, 0, v64, s0
	s_delay_alu instid0(VALU_DEP_3) | instskip(SKIP_1) | instid1(VALU_DEP_3)
	v_cndmask_b32_e64 v6, 0, v6, s1
	v_and_b32_e32 v28, 0xffff, v64
	v_add_nc_u16 v8, v8, v46
	v_and_b32_e32 v38, 0xffff, v9
	s_waitcnt lgkmcnt(0)
	v_add_nc_u16 v62, v6, v7
	s_delay_alu instid0(VALU_DEP_3) | instskip(SKIP_1) | instid1(VALU_DEP_2)
	v_cndmask_b32_e32 v9, 0, v8, vcc_lo
	v_and_b32_e32 v24, 0xffff, v8
	v_add_nc_u16 v9, v9, v45
	s_delay_alu instid0(VALU_DEP_1)
	v_and_b32_e32 v16, 0xffff, v9
	s_and_saveexec_b32 s0, s2
	s_cbranch_execz .LBB429_126
; %bb.125:
	v_and_b32_e32 v6, 0xff00, v62
	v_dual_mov_b32 v8, 0 :: v_dual_and_b32 v7, 0xff, v62
	s_add_u32 s4, s20, 0x200
	s_addc_u32 s5, s21, 0
	s_delay_alu instid0(VALU_DEP_1)
	v_or_b32_e32 v6, v6, v7
	v_dual_mov_b32 v7, 2 :: v_dual_mov_b32 v14, s5
	v_mov_b32_e32 v13, s4
	;;#ASMSTART
	global_store_dwordx4 v[13:14], v[5:8] off	
s_waitcnt vmcnt(0)
	;;#ASMEND
.LBB429_126:
	s_or_b32 exec_lo, exec_lo, s0
	v_mov_b32_e32 v7, 0
.LBB429_127:
	v_mov_b32_e32 v13, 0
	s_and_b32 s0, s16, exec_lo
	v_mov_b32_e32 v14, 0
	s_cselect_b32 s1, 0, s39
	s_cselect_b32 s0, 0, s38
	s_delay_alu instid0(SALU_CYCLE_1)
	s_cmp_eq_u64 s[0:1], 0
	s_barrier
	buffer_gl0_inv
	s_cbranch_scc1 .LBB429_129
; %bb.128:
	v_mov_b32_e32 v6, 0
	global_load_b64 v[13:14], v6, s[0:1]
.LBB429_129:
	v_cmp_eq_u32_e32 vcc_lo, 0, v63
	s_waitcnt vmcnt(0)
	v_lshlrev_b64 v[45:46], 1, v[13:14]
	v_cmp_ne_u32_e64 s15, 0, v63
	v_cmp_ne_u32_e64 s14, 0, v61
	;; [unrolled: 1-line block ×3, first 2 shown]
	v_cndmask_b32_e64 v6, 1, 2, vcc_lo
	v_cmp_eq_u32_e32 vcc_lo, 0, v61
	v_cmp_ne_u32_e64 s12, 0, v59
	v_cmp_ne_u32_e64 s11, 0, v58
	;; [unrolled: 1-line block ×4, first 2 shown]
	v_cndmask_b32_e64 v8, 1, 2, vcc_lo
	v_cmp_eq_u32_e32 vcc_lo, 0, v60
	v_cmp_ne_u32_e64 s6, 0, v54
	v_cmp_ne_u32_e64 s9, 0, v53
	;; [unrolled: 1-line block ×3, first 2 shown]
	v_and_b32_e32 v6, v8, v6
	v_cndmask_b32_e64 v9, 1, 2, vcc_lo
	v_cmp_eq_u32_e32 vcc_lo, 0, v59
	v_cmp_ne_u32_e64 s5, 0, v50
	v_cmp_ne_u32_e64 s4, 0, v49
	;; [unrolled: 1-line block ×3, first 2 shown]
	v_and_b32_e32 v6, v6, v9
	v_cndmask_b32_e64 v8, 1, 2, vcc_lo
	v_cmp_eq_u32_e32 vcc_lo, 0, v58
	v_cmp_ne_u32_e64 s1, 0, v47
	v_cmp_ne_u32_e64 s0, 0, v52
	s_delay_alu instid0(VALU_DEP_4) | instskip(SKIP_2) | instid1(VALU_DEP_2)
	v_and_b32_e32 v6, v6, v8
	v_cndmask_b32_e64 v9, 1, 2, vcc_lo
	v_cmp_eq_u32_e32 vcc_lo, 0, v57
	v_and_b32_e32 v6, v6, v9
	v_cndmask_b32_e64 v8, 1, 2, vcc_lo
	v_cmp_eq_u32_e32 vcc_lo, 0, v56
	s_delay_alu instid0(VALU_DEP_2) | instskip(SKIP_2) | instid1(VALU_DEP_2)
	v_and_b32_e32 v6, v6, v8
	v_cndmask_b32_e64 v9, 1, 2, vcc_lo
	v_cmp_eq_u32_e32 vcc_lo, 0, v54
	v_and_b32_e32 v6, v6, v9
	v_cndmask_b32_e64 v64, 1, 2, vcc_lo
	v_cmp_eq_u32_e32 vcc_lo, 0, v53
	s_delay_alu instid0(VALU_DEP_2) | instskip(SKIP_2) | instid1(VALU_DEP_2)
	;; [unrolled: 7-line block ×3, first 2 shown]
	v_and_b32_e32 v6, v6, v64
	v_cndmask_b32_e64 v9, 1, 2, vcc_lo
	v_cmp_eq_u32_e32 vcc_lo, 0, v49
	v_and_b32_e32 v6, v6, v9
	v_cndmask_b32_e64 v64, 1, 2, vcc_lo
	v_cmp_eq_u32_e32 vcc_lo, 0, v48
	s_delay_alu instid0(VALU_DEP_2) | instskip(SKIP_3) | instid1(VALU_DEP_3)
	v_and_b32_e32 v6, v6, v64
	v_cndmask_b32_e64 v65, 1, 2, vcc_lo
	v_mov_b32_e32 v8, 0
	v_cmp_eq_u32_e32 vcc_lo, 0, v47
	v_and_b32_e32 v65, v6, v65
	s_delay_alu instid0(VALU_DEP_3) | instskip(SKIP_3) | instid1(VALU_DEP_3)
	v_lshlrev_b64 v[8:9], 1, v[7:8]
	v_cndmask_b32_e64 v66, 1, 2, vcc_lo
	v_add_co_u32 v64, vcc_lo, s18, v45
	v_add_co_ci_u32_e32 v67, vcc_lo, s19, v46, vcc_lo
	v_and_b32_e32 v65, v65, v66
	s_delay_alu instid0(VALU_DEP_3) | instskip(NEXT) | instid1(VALU_DEP_3)
	v_add_co_u32 v6, vcc_lo, v64, v8
	v_add_co_ci_u32_e32 v64, vcc_lo, v67, v9, vcc_lo
	v_cmp_eq_u32_e32 vcc_lo, 0, v52
	s_mov_b32 s18, -1
	v_cndmask_b32_e64 v66, 1, 2, vcc_lo
	v_cmp_gt_u32_e32 vcc_lo, 0x100, v5
	s_delay_alu instid0(VALU_DEP_2) | instskip(NEXT) | instid1(VALU_DEP_1)
	v_and_b32_e32 v65, v65, v66
	v_cmp_gt_i16_e64 s16, 2, v65
	s_cbranch_vccz .LBB429_136
; %bb.130:
	s_delay_alu instid0(VALU_DEP_1)
	s_and_saveexec_b32 s18, s16
	s_cbranch_execz .LBB429_135
; %bb.131:
	s_mov_b32 s19, 0
	s_mov_b32 s16, exec_lo
	v_cmpx_ne_u16_e32 1, v65
	s_xor_b32 s16, exec_lo, s16
	s_cbranch_execnz .LBB429_192
; %bb.132:
	s_and_not1_saveexec_b32 s16, s16
	s_cbranch_execnz .LBB429_208
.LBB429_133:
	s_or_b32 exec_lo, exec_lo, s16
	s_delay_alu instid0(SALU_CYCLE_1)
	s_and_b32 exec_lo, exec_lo, s19
	s_cbranch_execz .LBB429_135
.LBB429_134:
	v_sub_nc_u32_e32 v66, v15, v7
	v_mov_b32_e32 v67, 0
	s_delay_alu instid0(VALU_DEP_1) | instskip(NEXT) | instid1(VALU_DEP_1)
	v_lshlrev_b64 v[66:67], 1, v[66:67]
	v_add_co_u32 v66, vcc_lo, v6, v66
	s_delay_alu instid0(VALU_DEP_2)
	v_add_co_ci_u32_e32 v67, vcc_lo, v64, v67, vcc_lo
	global_store_d16_hi_b16 v[66:67], v12, off
.LBB429_135:
	s_or_b32 exec_lo, exec_lo, s18
	s_mov_b32 s18, 0
.LBB429_136:
	s_delay_alu instid0(SALU_CYCLE_1)
	s_and_b32 vcc_lo, exec_lo, s18
	s_cbranch_vccz .LBB429_158
; %bb.137:
	s_mov_b32 s16, exec_lo
	v_cmpx_gt_i16_e32 2, v65
	s_cbranch_execz .LBB429_142
; %bb.138:
	s_mov_b32 s19, 0
	s_mov_b32 s18, exec_lo
	v_cmpx_ne_u16_e32 1, v65
	s_xor_b32 s18, exec_lo, s18
	s_cbranch_execnz .LBB429_209
; %bb.139:
	s_and_not1_saveexec_b32 s0, s18
	s_cbranch_execnz .LBB429_225
.LBB429_140:
	s_or_b32 exec_lo, exec_lo, s0
	s_delay_alu instid0(SALU_CYCLE_1)
	s_and_b32 exec_lo, exec_lo, s19
	s_cbranch_execz .LBB429_142
.LBB429_141:
	v_sub_nc_u32_e32 v1, v15, v7
	s_delay_alu instid0(VALU_DEP_1)
	v_lshlrev_b32_e32 v1, 1, v1
	ds_store_b16_d16_hi v1, v12
.LBB429_142:
	s_or_b32 exec_lo, exec_lo, s16
	s_delay_alu instid0(SALU_CYCLE_1)
	s_mov_b32 s1, exec_lo
	s_waitcnt lgkmcnt(0)
	s_waitcnt_vscnt null, 0x0
	s_barrier
	buffer_gl0_inv
	v_cmpx_lt_u32_e64 v0, v5
	s_cbranch_execz .LBB429_157
; %bb.143:
	v_xad_u32 v2, v0, -1, v5
	v_mov_b32_e32 v1, v0
	s_mov_b32 s0, -1
	s_mov_b32 s4, exec_lo
	s_delay_alu instid0(VALU_DEP_2)
	v_cmp_gt_u32_e64 s3, 0x1900, v2
	v_cmpx_lt_u32_e32 0x18ff, v2
	s_cbranch_execz .LBB429_154
; %bb.144:
	v_sub_nc_u32_e32 v1, v0, v5
	s_delay_alu instid0(VALU_DEP_1) | instskip(NEXT) | instid1(VALU_DEP_1)
	v_or_b32_e32 v1, 0xff, v1
	v_cmp_ge_u32_e32 vcc_lo, v1, v0
	v_mov_b32_e32 v1, v0
	s_and_saveexec_b32 s5, vcc_lo
	s_cbranch_execz .LBB429_153
; %bb.145:
	v_lshrrev_b32_e32 v4, 8, v2
	v_or_b32_e32 v1, 0x100, v0
	v_mov_b32_e32 v66, 0
	s_delay_alu instid0(VALU_DEP_3) | instskip(NEXT) | instid1(VALU_DEP_1)
	v_add_nc_u32_e32 v2, -1, v4
	v_lshrrev_b32_e32 v3, 1, v2
	v_cmp_lt_u32_e32 vcc_lo, 13, v2
	s_delay_alu instid0(VALU_DEP_2)
	v_dual_mov_b32 v3, v1 :: v_dual_add_nc_u32 v12, 1, v3
	v_mov_b32_e32 v2, v0
	s_and_saveexec_b32 s0, vcc_lo
	s_cbranch_execz .LBB429_149
; %bb.146:
	v_mov_b32_e32 v3, v1
	v_dual_mov_b32 v2, v0 :: v_dual_and_b32 v55, -8, v12
	v_lshlrev_b32_e32 v65, 1, v0
	v_mov_b32_e32 v11, 0
	s_mov_b32 s6, 0
	s_mov_b32 s7, 0
.LBB429_147:                            ; =>This Inner Loop Header: Depth=1
	v_dual_mov_b32 v10, v2 :: v_dual_add_nc_u32 v67, 0x200, v3
	s_add_i32 s7, s7, 16
	s_delay_alu instid0(SALU_CYCLE_1) | instskip(SKIP_1) | instid1(VALU_DEP_3)
	v_dual_mov_b32 v66, s7 :: v_dual_add_nc_u32 v55, -8, v55
	v_dual_mov_b32 v68, v11 :: v_dual_add_nc_u32 v69, 0x400, v3
	v_lshlrev_b64 v[81:82], 1, v[10:11]
	v_dual_mov_b32 v70, v11 :: v_dual_add_nc_u32 v71, 0x600, v3
	s_delay_alu instid0(VALU_DEP_4) | instskip(NEXT) | instid1(VALU_DEP_4)
	v_cmp_eq_u32_e32 vcc_lo, 0, v55
	v_lshlrev_b64 v[67:68], 1, v[67:68]
	v_dual_mov_b32 v72, v11 :: v_dual_add_nc_u32 v73, 0x800, v3
	s_delay_alu instid0(VALU_DEP_4)
	v_lshlrev_b64 v[69:70], 1, v[69:70]
	s_or_b32 s6, vcc_lo, s6
	v_add_co_u32 v81, vcc_lo, v6, v81
	v_dual_mov_b32 v74, v11 :: v_dual_add_nc_u32 v75, 0xa00, v3
	v_add_co_ci_u32_e32 v82, vcc_lo, v64, v82, vcc_lo
	v_lshlrev_b64 v[71:72], 1, v[71:72]
	v_add_co_u32 v67, vcc_lo, v6, v67
	v_dual_mov_b32 v76, v11 :: v_dual_add_nc_u32 v77, 0xc00, v3
	v_add_co_ci_u32_e32 v68, vcc_lo, v64, v68, vcc_lo
	v_lshlrev_b64 v[73:74], 1, v[73:74]
	;; [unrolled: 4-line block ×3, first 2 shown]
	v_add_co_u32 v71, vcc_lo, v6, v71
	v_mov_b32_e32 v80, v11
	v_dual_mov_b32 v10, v3 :: v_dual_add_nc_u32 v3, 0x1000, v3
	v_add_co_ci_u32_e32 v72, vcc_lo, v64, v72, vcc_lo
	v_lshlrev_b64 v[77:78], 1, v[77:78]
	v_add_co_u32 v73, vcc_lo, v6, v73
	ds_load_u16 v1, v65
	ds_load_u16 v87, v65 offset:512
	ds_load_u16 v88, v65 offset:1024
	;; [unrolled: 1-line block ×7, first 2 shown]
	v_add_co_ci_u32_e32 v74, vcc_lo, v64, v74, vcc_lo
	ds_load_u16 v94, v65 offset:4096
	ds_load_u16 v95, v65 offset:4608
	;; [unrolled: 1-line block ×8, first 2 shown]
	v_add_nc_u32_e32 v65, 0x2000, v65
	v_lshlrev_b64 v[79:80], 1, v[79:80]
	v_add_co_u32 v75, vcc_lo, v6, v75
	v_lshlrev_b64 v[83:84], 1, v[10:11]
	v_add_nc_u32_e32 v10, 0x200, v2
	v_add_co_ci_u32_e32 v76, vcc_lo, v64, v76, vcc_lo
	v_add_co_u32 v77, vcc_lo, v6, v77
	v_add_co_ci_u32_e32 v78, vcc_lo, v64, v78, vcc_lo
	v_add_co_u32 v79, vcc_lo, v6, v79
	v_lshlrev_b64 v[85:86], 1, v[10:11]
	v_add_nc_u32_e32 v10, 0x400, v2
	v_add_co_ci_u32_e32 v80, vcc_lo, v64, v80, vcc_lo
	v_add_co_u32 v83, vcc_lo, v6, v83
	v_add_co_ci_u32_e32 v84, vcc_lo, v64, v84, vcc_lo
	s_waitcnt lgkmcnt(15)
	global_store_b16 v[81:82], v1, off
	v_lshlrev_b64 v[81:82], 1, v[10:11]
	v_add_nc_u32_e32 v10, 0x600, v2
	v_add_co_u32 v85, vcc_lo, v6, v85
	v_add_co_ci_u32_e32 v86, vcc_lo, v64, v86, vcc_lo
	s_waitcnt lgkmcnt(14)
	global_store_b16 v[83:84], v87, off
	v_lshlrev_b64 v[83:84], 1, v[10:11]
	v_add_nc_u32_e32 v10, 0x800, v2
	s_waitcnt lgkmcnt(13)
	global_store_b16 v[85:86], v88, off
	s_waitcnt lgkmcnt(12)
	global_store_b16 v[67:68], v89, off
	v_add_co_u32 v67, vcc_lo, v6, v81
	v_add_co_ci_u32_e32 v68, vcc_lo, v64, v82, vcc_lo
	v_lshlrev_b64 v[81:82], 1, v[10:11]
	v_add_nc_u32_e32 v10, 0xa00, v2
	v_add_co_u32 v83, vcc_lo, v6, v83
	v_add_co_ci_u32_e32 v84, vcc_lo, v64, v84, vcc_lo
	s_waitcnt lgkmcnt(11)
	global_store_b16 v[67:68], v90, off
	s_waitcnt lgkmcnt(10)
	global_store_b16 v[69:70], v91, off
	v_lshlrev_b64 v[67:68], 1, v[10:11]
	v_add_nc_u32_e32 v10, 0xc00, v2
	v_add_co_u32 v69, vcc_lo, v6, v81
	s_waitcnt lgkmcnt(9)
	global_store_b16 v[83:84], v92, off
	s_waitcnt lgkmcnt(8)
	global_store_b16 v[71:72], v93, off
	v_add_co_ci_u32_e32 v70, vcc_lo, v64, v82, vcc_lo
	v_lshlrev_b64 v[71:72], 1, v[10:11]
	v_add_nc_u32_e32 v10, 0xe00, v2
	v_add_co_u32 v67, vcc_lo, v6, v67
	v_add_co_ci_u32_e32 v68, vcc_lo, v64, v68, vcc_lo
	s_waitcnt lgkmcnt(7)
	global_store_b16 v[69:70], v94, off
	s_waitcnt lgkmcnt(6)
	global_store_b16 v[73:74], v95, off
	v_lshlrev_b64 v[69:70], 1, v[10:11]
	v_add_nc_u32_e32 v2, 0x1000, v2
	s_waitcnt lgkmcnt(5)
	global_store_b16 v[67:68], v96, off
	v_add_co_u32 v67, vcc_lo, v6, v71
	v_add_co_ci_u32_e32 v68, vcc_lo, v64, v72, vcc_lo
	v_add_co_u32 v69, vcc_lo, v6, v69
	v_add_co_ci_u32_e32 v70, vcc_lo, v64, v70, vcc_lo
	s_waitcnt lgkmcnt(4)
	global_store_b16 v[75:76], v97, off
	s_waitcnt lgkmcnt(3)
	global_store_b16 v[67:68], v98, off
	;; [unrolled: 2-line block ×5, first 2 shown]
	s_and_not1_b32 exec_lo, exec_lo, s6
	s_cbranch_execnz .LBB429_147
; %bb.148:
	s_or_b32 exec_lo, exec_lo, s6
.LBB429_149:
	s_delay_alu instid0(SALU_CYCLE_1) | instskip(SKIP_3) | instid1(VALU_DEP_1)
	s_or_b32 exec_lo, exec_lo, s0
	v_and_b32_e32 v1, 7, v12
	s_mov_b32 s7, 0
	s_mov_b32 s6, exec_lo
	v_cmpx_ne_u32_e32 0, v1
	s_cbranch_execz .LBB429_152
; %bb.150:
	v_dual_mov_b32 v11, 0 :: v_dual_lshlrev_b32 v10, 1, v0
	s_delay_alu instid0(VALU_DEP_1)
	v_lshl_or_b32 v12, v66, 9, v10
	s_set_inst_prefetch_distance 0x1
	.p2align	6
.LBB429_151:                            ; =>This Inner Loop Header: Depth=1
	v_dual_mov_b32 v10, v2 :: v_dual_add_nc_u32 v1, -1, v1
	ds_load_u16 v55, v12
	ds_load_u16 v69, v12 offset:512
	v_add_nc_u32_e32 v2, 0x200, v2
	v_add_nc_u32_e32 v12, 0x400, v12
	v_lshlrev_b64 v[65:66], 1, v[10:11]
	v_dual_mov_b32 v10, v3 :: v_dual_add_nc_u32 v3, 0x200, v3
	v_cmp_eq_u32_e32 vcc_lo, 0, v1
	s_delay_alu instid0(VALU_DEP_2) | instskip(NEXT) | instid1(VALU_DEP_4)
	v_lshlrev_b64 v[67:68], 1, v[10:11]
	v_add_co_u32 v65, s0, v6, v65
	s_delay_alu instid0(VALU_DEP_1) | instskip(SKIP_1) | instid1(VALU_DEP_3)
	v_add_co_ci_u32_e64 v66, s0, v64, v66, s0
	s_or_b32 s7, vcc_lo, s7
	v_add_co_u32 v67, s0, v6, v67
	s_delay_alu instid0(VALU_DEP_1)
	v_add_co_ci_u32_e64 v68, s0, v64, v68, s0
	s_waitcnt lgkmcnt(1)
	global_store_b16 v[65:66], v55, off
	s_waitcnt lgkmcnt(0)
	global_store_b16 v[67:68], v69, off
	s_and_not1_b32 exec_lo, exec_lo, s7
	s_cbranch_execnz .LBB429_151
.LBB429_152:
	s_set_inst_prefetch_distance 0x2
	s_or_b32 exec_lo, exec_lo, s6
	v_add_nc_u32_e32 v1, 1, v4
	s_delay_alu instid0(VALU_DEP_1) | instskip(NEXT) | instid1(VALU_DEP_1)
	v_and_b32_e32 v2, 0x1fffffe, v1
	v_cmp_ne_u32_e32 vcc_lo, v1, v2
	v_lshl_or_b32 v1, v2, 8, v0
	s_or_not1_b32 s0, vcc_lo, exec_lo
.LBB429_153:
	s_or_b32 exec_lo, exec_lo, s5
	s_delay_alu instid0(SALU_CYCLE_1) | instskip(SKIP_1) | instid1(SALU_CYCLE_1)
	s_and_not1_b32 s3, s3, exec_lo
	s_and_b32 s0, s0, exec_lo
	s_or_b32 s3, s3, s0
.LBB429_154:
	s_or_b32 exec_lo, exec_lo, s4
	s_delay_alu instid0(VALU_DEP_2) | instid1(SALU_CYCLE_1)
	s_and_b32 exec_lo, exec_lo, s3
	s_cbranch_execz .LBB429_157
; %bb.155:
	v_dual_mov_b32 v2, 0 :: v_dual_lshlrev_b32 v3, 1, v1
	s_mov_b32 s3, 0
	.p2align	6
.LBB429_156:                            ; =>This Inner Loop Header: Depth=1
	ds_load_u16 v4, v3
	v_lshlrev_b64 v[10:11], 1, v[1:2]
	v_add_nc_u32_e32 v1, 0x100, v1
	v_add_nc_u32_e32 v3, 0x200, v3
	s_delay_alu instid0(VALU_DEP_2) | instskip(NEXT) | instid1(VALU_DEP_4)
	v_cmp_ge_u32_e32 vcc_lo, v1, v5
	v_add_co_u32 v10, s0, v6, v10
	s_delay_alu instid0(VALU_DEP_1)
	v_add_co_ci_u32_e64 v11, s0, v64, v11, s0
	s_or_b32 s3, vcc_lo, s3
	s_waitcnt lgkmcnt(0)
	global_store_b16 v[10:11], v4, off
	s_and_not1_b32 exec_lo, exec_lo, s3
	s_cbranch_execnz .LBB429_156
.LBB429_157:
	s_or_b32 exec_lo, exec_lo, s1
.LBB429_158:
	s_cmpk_lg_i32 s26, 0xf00
	v_cndmask_b32_e64 v2, 0, 1, s27
	s_cselect_b32 s0, -1, 0
	v_mad_i32_i24 v6, v0, -15, s26
	s_and_b32 s0, s0, s17
	s_and_b32 s1, s2, s27
	v_cndmask_b32_e64 v1, 0, 1, s0
	s_mul_hi_u32 s0, s26, 0x88888889
	v_sub_nc_u32_e32 v3, v5, v2
	s_lshr_b32 s0, s0, 3
	v_cndmask_b32_e64 v10, v63, 0, s1
	v_cmp_eq_u32_e32 vcc_lo, s0, v0
	v_cmp_ne_u32_e64 s0, 0, v6
	s_mov_b32 s16, -1
	s_waitcnt_vscnt null, 0x0
	s_barrier
	s_and_b32 vcc_lo, vcc_lo, s17
	v_add_nc_u32_e32 v4, v3, v1
	v_cndmask_b32_e64 v3, 1, v10, s0
	v_cmp_ne_u32_e64 s0, 1, v6
	buffer_gl0_inv
	v_cndmask_b32_e32 v64, v10, v3, vcc_lo
	v_cndmask_b32_e64 v11, 1, v61, s0
	v_cmp_ne_u32_e64 s0, 14, v6
	s_delay_alu instid0(VALU_DEP_2) | instskip(NEXT) | instid1(VALU_DEP_2)
	v_cndmask_b32_e32 v61, v61, v11, vcc_lo
	v_cndmask_b32_e64 v12, 1, v52, s0
	v_cmp_ne_u32_e64 s0, 2, v6
	s_delay_alu instid0(VALU_DEP_3) | instskip(NEXT) | instid1(VALU_DEP_2)
	v_cmp_ne_u32_e64 s13, 0, v61
	v_cndmask_b32_e64 v55, 1, v60, s0
	v_cmp_ne_u32_e64 s0, 3, v6
	s_delay_alu instid0(VALU_DEP_2) | instskip(NEXT) | instid1(VALU_DEP_2)
	v_cndmask_b32_e32 v55, v60, v55, vcc_lo
	v_cndmask_b32_e64 v63, 1, v59, s0
	v_cmp_ne_u32_e64 s0, 4, v6
	s_delay_alu instid0(VALU_DEP_2) | instskip(NEXT) | instid1(VALU_DEP_2)
	v_dual_cndmask_b32 v52, v52, v12 :: v_dual_cndmask_b32 v59, v59, v63
	v_cndmask_b32_e64 v3, 1, v58, s0
	v_cmp_ne_u32_e64 s0, 5, v6
	s_delay_alu instid0(VALU_DEP_3) | instskip(NEXT) | instid1(VALU_DEP_2)
	v_cmp_ne_u32_e64 s11, 0, v59
	v_cndmask_b32_e64 v10, 1, v57, s0
	v_cmp_eq_u32_e64 s0, 0, v64
	s_delay_alu instid0(VALU_DEP_2) | instskip(NEXT) | instid1(VALU_DEP_2)
	v_dual_cndmask_b32 v58, v58, v3 :: v_dual_cndmask_b32 v57, v57, v10
	v_cndmask_b32_e64 v11, 1, 2, s0
	v_cmp_eq_u32_e64 s0, 0, v61
	s_delay_alu instid0(VALU_DEP_3) | instskip(NEXT) | instid1(VALU_DEP_4)
	v_cmp_ne_u32_e64 s10, 0, v58
	v_cmp_ne_u32_e64 s9, 0, v57
	s_delay_alu instid0(VALU_DEP_3) | instskip(SKIP_1) | instid1(VALU_DEP_2)
	v_cndmask_b32_e64 v12, 1, 2, s0
	v_cmp_ne_u32_e64 s0, 6, v6
	v_and_b32_e32 v11, v12, v11
	s_delay_alu instid0(VALU_DEP_2) | instskip(SKIP_1) | instid1(VALU_DEP_1)
	v_cndmask_b32_e64 v60, 1, v56, s0
	v_cmp_eq_u32_e64 s0, 0, v55
	v_cndmask_b32_e64 v12, 1, 2, s0
	v_cmp_ne_u32_e64 s0, 7, v6
	s_delay_alu instid0(VALU_DEP_2) | instskip(NEXT) | instid1(VALU_DEP_2)
	v_and_b32_e32 v11, v11, v12
	v_cndmask_b32_e64 v63, 1, v54, s0
	v_cmp_ne_u32_e64 s0, 8, v6
	v_cmp_ne_u32_e64 s14, 0, v64
	s_delay_alu instid0(VALU_DEP_2) | instskip(SKIP_1) | instid1(VALU_DEP_2)
	v_cndmask_b32_e64 v65, 1, v53, s0
	v_cmp_eq_u32_e64 s0, 0, v59
	v_dual_cndmask_b32 v56, v56, v60 :: v_dual_cndmask_b32 v53, v53, v65
	s_delay_alu instid0(VALU_DEP_2) | instskip(SKIP_1) | instid1(VALU_DEP_3)
	v_cndmask_b32_e64 v12, 1, 2, s0
	v_cmp_ne_u32_e64 s0, 9, v6
	v_cmp_ne_u32_e64 s8, 0, v56
	s_delay_alu instid0(VALU_DEP_4) | instskip(NEXT) | instid1(VALU_DEP_4)
	v_cmp_ne_u32_e64 s6, 0, v53
	v_and_b32_e32 v10, v11, v12
	s_delay_alu instid0(VALU_DEP_4) | instskip(SKIP_2) | instid1(VALU_DEP_3)
	v_cndmask_b32_e64 v3, 1, v51, s0
	v_cmp_eq_u32_e64 s0, 0, v58
	v_cmp_ne_u32_e64 s12, 0, v55
	v_cndmask_b32_e32 v51, v51, v3, vcc_lo
	s_delay_alu instid0(VALU_DEP_3) | instskip(SKIP_1) | instid1(VALU_DEP_3)
	v_cndmask_b32_e64 v11, 1, 2, s0
	v_cmp_ne_u32_e64 s0, 10, v6
	v_cmp_ne_u32_e64 s5, 0, v51
	s_delay_alu instid0(VALU_DEP_3) | instskip(NEXT) | instid1(VALU_DEP_3)
	v_and_b32_e32 v10, v10, v11
	v_cndmask_b32_e64 v12, 1, v50, s0
	v_cmp_ne_u32_e64 s0, 12, v6
	s_delay_alu instid0(VALU_DEP_2) | instskip(NEXT) | instid1(VALU_DEP_2)
	v_cndmask_b32_e32 v50, v50, v12, vcc_lo
	v_cndmask_b32_e64 v66, 1, v48, s0
	v_cmp_eq_u32_e64 s0, 0, v57
	s_delay_alu instid0(VALU_DEP_3) | instskip(NEXT) | instid1(VALU_DEP_3)
	v_cmp_ne_u32_e64 s4, 0, v50
	v_cndmask_b32_e32 v48, v48, v66, vcc_lo
	s_delay_alu instid0(VALU_DEP_3) | instskip(SKIP_1) | instid1(VALU_DEP_3)
	v_cndmask_b32_e64 v11, 1, 2, s0
	v_cmp_ne_u32_e64 s0, 13, v6
	v_cmp_ne_u32_e64 s2, 0, v48
	s_delay_alu instid0(VALU_DEP_2) | instskip(SKIP_1) | instid1(VALU_DEP_2)
	v_cndmask_b32_e64 v60, 1, v47, s0
	v_cmp_eq_u32_e64 s0, 0, v56
	v_dual_cndmask_b32 v47, v47, v60 :: v_dual_and_b32 v10, v10, v11
	s_delay_alu instid0(VALU_DEP_2) | instskip(SKIP_1) | instid1(VALU_DEP_3)
	v_cndmask_b32_e64 v11, 1, 2, s0
	v_cmp_ne_u32_e64 s0, 11, v6
	v_cmp_ne_u32_e64 s1, 0, v47
	s_delay_alu instid0(VALU_DEP_3) | instskip(NEXT) | instid1(VALU_DEP_3)
	v_and_b32_e32 v10, v10, v11
	v_cndmask_b32_e64 v6, 1, v49, s0
	s_delay_alu instid0(VALU_DEP_1) | instskip(NEXT) | instid1(VALU_DEP_1)
	v_dual_cndmask_b32 v54, v54, v63 :: v_dual_cndmask_b32 v49, v49, v6
	v_cmp_eq_u32_e64 s0, 0, v54
	v_cmp_eq_u32_e32 vcc_lo, 0, v53
	v_cmp_ne_u32_e64 s7, 0, v54
	s_delay_alu instid0(VALU_DEP_4) | instskip(NEXT) | instid1(VALU_DEP_4)
	v_cmp_ne_u32_e64 s3, 0, v49
	v_cndmask_b32_e64 v11, 1, 2, s0
	v_cndmask_b32_e64 v6, 1, 2, vcc_lo
	v_cmp_ne_u32_e64 s0, 0, v52
	s_delay_alu instid0(VALU_DEP_3) | instskip(SKIP_3) | instid1(VALU_DEP_4)
	v_and_b32_e32 v3, v10, v11
	v_add_co_u32 v10, vcc_lo, s28, v45
	v_add_co_ci_u32_e32 v11, vcc_lo, s29, v46, vcc_lo
	v_cmp_eq_u32_e32 vcc_lo, 0, v51
	v_and_b32_e32 v3, v3, v6
	v_cndmask_b32_e64 v6, 1, 2, vcc_lo
	v_add_co_u32 v10, vcc_lo, v10, v8
	v_add_co_ci_u32_e32 v11, vcc_lo, v11, v9, vcc_lo
	v_lshlrev_b32_e32 v8, 1, v2
	v_cmp_eq_u32_e32 vcc_lo, 0, v50
	v_and_b32_e32 v3, v3, v6
	v_cndmask_b32_e64 v6, 1, 2, vcc_lo
	s_delay_alu instid0(VALU_DEP_4) | instskip(SKIP_2) | instid1(VALU_DEP_4)
	v_add_co_u32 v8, vcc_lo, v8, v10
	v_add_co_ci_u32_e32 v9, vcc_lo, 0, v11, vcc_lo
	v_cmp_eq_u32_e32 vcc_lo, 0, v49
	v_and_b32_e32 v45, v3, v6
	v_add_nc_u32_e32 v3, v7, v2
	v_cndmask_b32_e64 v46, 1, 2, vcc_lo
	v_add_co_u32 v6, vcc_lo, v8, -2
	v_add_co_ci_u32_e32 v12, vcc_lo, -1, v9, vcc_lo
	v_cmp_eq_u32_e32 vcc_lo, 0, v48
	s_delay_alu instid0(VALU_DEP_4) | instskip(SKIP_2) | instid1(VALU_DEP_2)
	v_and_b32_e32 v8, v45, v46
	v_cndmask_b32_e64 v9, 1, 2, vcc_lo
	v_cmp_eq_u32_e32 vcc_lo, 0, v47
	v_and_b32_e32 v8, v8, v9
	v_cndmask_b32_e64 v9, 1, 2, vcc_lo
	v_cmp_eq_u32_e32 vcc_lo, 0, v52
	s_delay_alu instid0(VALU_DEP_2) | instskip(SKIP_2) | instid1(VALU_DEP_2)
	v_and_b32_e32 v8, v8, v9
	v_cndmask_b32_e64 v9, 1, 2, vcc_lo
	v_cmp_gt_u32_e32 vcc_lo, 0x100, v4
	v_and_b32_e32 v8, v8, v9
	s_delay_alu instid0(VALU_DEP_1)
	v_cmp_gt_i16_e64 s15, 2, v8
	s_cbranch_vccnz .LBB429_162
; %bb.159:
	s_and_b32 vcc_lo, exec_lo, s16
	s_cbranch_vccnz .LBB429_168
.LBB429_160:
	v_cmp_eq_u32_e32 vcc_lo, 0xff, v0
	s_and_b32 s0, vcc_lo, s17
	s_delay_alu instid0(SALU_CYCLE_1)
	s_and_saveexec_b32 s1, s0
	s_cbranch_execnz .LBB429_189
.LBB429_161:
	s_nop 0
	s_sendmsg sendmsg(MSG_DEALLOC_VGPRS)
	s_endpgm
.LBB429_162:
	s_delay_alu instid0(VALU_DEP_1)
	s_and_saveexec_b32 s16, s15
	s_cbranch_execz .LBB429_167
; %bb.163:
	s_mov_b32 s18, 0
	s_mov_b32 s15, exec_lo
	v_cmpx_ne_u16_e32 1, v8
	s_xor_b32 s15, exec_lo, s15
	s_cbranch_execnz .LBB429_226
; %bb.164:
	s_and_not1_saveexec_b32 s15, s15
	s_cbranch_execnz .LBB429_242
.LBB429_165:
	s_or_b32 exec_lo, exec_lo, s15
	s_delay_alu instid0(SALU_CYCLE_1)
	s_and_b32 exec_lo, exec_lo, s18
	s_cbranch_execz .LBB429_167
.LBB429_166:
	v_sub_nc_u32_e32 v45, v15, v3
	v_mov_b32_e32 v46, 0
	s_delay_alu instid0(VALU_DEP_1) | instskip(NEXT) | instid1(VALU_DEP_1)
	v_lshlrev_b64 v[45:46], 1, v[45:46]
	v_add_co_u32 v45, vcc_lo, v6, v45
	s_delay_alu instid0(VALU_DEP_2)
	v_add_co_ci_u32_e32 v46, vcc_lo, v12, v46, vcc_lo
	global_store_b16 v[45:46], v16, off
.LBB429_167:
	s_or_b32 exec_lo, exec_lo, s16
	s_branch .LBB429_160
.LBB429_168:
	s_mov_b32 s15, exec_lo
	v_cmpx_gt_i16_e32 2, v8
	s_cbranch_execz .LBB429_173
; %bb.169:
	s_mov_b32 s18, 0
	s_mov_b32 s16, exec_lo
	v_cmpx_ne_u16_e32 1, v8
	s_xor_b32 s16, exec_lo, s16
	s_cbranch_execnz .LBB429_243
; %bb.170:
	s_and_not1_saveexec_b32 s0, s16
	s_cbranch_execnz .LBB429_259
.LBB429_171:
	s_or_b32 exec_lo, exec_lo, s0
	s_delay_alu instid0(SALU_CYCLE_1)
	s_and_b32 exec_lo, exec_lo, s18
	s_cbranch_execz .LBB429_173
.LBB429_172:
	v_sub_nc_u32_e32 v3, v15, v3
	s_delay_alu instid0(VALU_DEP_1)
	v_lshlrev_b32_e32 v3, 1, v3
	ds_store_b16 v3, v16
.LBB429_173:
	s_or_b32 exec_lo, exec_lo, s15
	s_delay_alu instid0(SALU_CYCLE_1)
	s_mov_b32 s1, exec_lo
	s_waitcnt lgkmcnt(0)
	s_waitcnt_vscnt null, 0x0
	s_barrier
	buffer_gl0_inv
	v_cmpx_lt_u32_e64 v0, v4
	s_cbranch_execz .LBB429_188
; %bb.174:
	v_add_nc_u32_e32 v8, v5, v1
	s_mov_b32 s0, -1
	s_mov_b32 s3, exec_lo
	s_delay_alu instid0(VALU_DEP_1) | instskip(NEXT) | instid1(VALU_DEP_1)
	v_xad_u32 v1, v0, -1, v8
	v_sub_nc_u32_e32 v3, v1, v2
	v_mov_b32_e32 v1, v0
	s_delay_alu instid0(VALU_DEP_2)
	v_cmp_gt_u32_e64 s2, 0x1b00, v3
	v_cmpx_lt_u32_e32 0x1aff, v3
	s_cbranch_execz .LBB429_185
; %bb.175:
	v_sub_nc_u32_e32 v1, v0, v8
	s_delay_alu instid0(VALU_DEP_1) | instskip(NEXT) | instid1(VALU_DEP_1)
	v_add_nc_u32_e32 v1, v1, v2
	v_or_b32_e32 v1, 0xff, v1
	s_delay_alu instid0(VALU_DEP_1)
	v_cmp_ge_u32_e32 vcc_lo, v1, v0
	v_mov_b32_e32 v1, v0
	s_and_saveexec_b32 s4, vcc_lo
	s_cbranch_execz .LBB429_184
; %bb.176:
	v_lshrrev_b32_e32 v15, 8, v3
	v_or_b32_e32 v1, 0x100, v0
	v_lshlrev_b32_e32 v16, 1, v0
	s_delay_alu instid0(VALU_DEP_3) | instskip(NEXT) | instid1(VALU_DEP_1)
	v_add_nc_u32_e32 v2, -1, v15
	v_lshrrev_b32_e32 v3, 1, v2
	v_mov_b32_e32 v20, 0
	v_cmp_lt_u32_e32 vcc_lo, 13, v2
	s_delay_alu instid0(VALU_DEP_3)
	v_add_nc_u32_e32 v17, 1, v3
	v_dual_mov_b32 v3, v1 :: v_dual_mov_b32 v2, v0
	s_and_saveexec_b32 s0, vcc_lo
	s_cbranch_execz .LBB429_180
; %bb.177:
	s_delay_alu instid0(VALU_DEP_2)
	v_dual_mov_b32 v9, 0 :: v_dual_and_b32 v18, -8, v17
	v_mov_b32_e32 v19, v16
	v_dual_mov_b32 v3, v1 :: v_dual_mov_b32 v2, v0
	s_mov_b32 s5, 0
	s_mov_b32 s6, 0
.LBB429_178:                            ; =>This Inner Loop Header: Depth=1
	s_delay_alu instid0(VALU_DEP_1) | instskip(SKIP_2) | instid1(VALU_DEP_3)
	v_dual_mov_b32 v8, v2 :: v_dual_add_nc_u32 v21, 0x200, v3
	v_add_nc_u32_e32 v18, -8, v18
	v_dual_mov_b32 v22, v9 :: v_dual_add_nc_u32 v23, 0x400, v3
	v_lshlrev_b64 v[35:36], 1, v[8:9]
	v_dual_mov_b32 v24, v9 :: v_dual_add_nc_u32 v25, 0x600, v3
	s_delay_alu instid0(VALU_DEP_4) | instskip(NEXT) | instid1(VALU_DEP_4)
	v_cmp_eq_u32_e32 vcc_lo, 0, v18
	v_lshlrev_b64 v[21:22], 1, v[21:22]
	v_dual_mov_b32 v26, v9 :: v_dual_add_nc_u32 v27, 0x800, v3
	s_add_i32 s6, s6, 16
	v_lshlrev_b64 v[23:24], 1, v[23:24]
	s_or_b32 s5, vcc_lo, s5
	v_add_co_u32 v35, vcc_lo, v6, v35
	v_dual_mov_b32 v28, v9 :: v_dual_add_nc_u32 v29, 0xa00, v3
	v_add_co_ci_u32_e32 v36, vcc_lo, v12, v36, vcc_lo
	v_lshlrev_b64 v[25:26], 1, v[25:26]
	v_add_co_u32 v21, vcc_lo, v6, v21
	v_dual_mov_b32 v30, v9 :: v_dual_add_nc_u32 v31, 0xc00, v3
	v_add_co_ci_u32_e32 v22, vcc_lo, v12, v22, vcc_lo
	v_lshlrev_b64 v[27:28], 1, v[27:28]
	;; [unrolled: 4-line block ×3, first 2 shown]
	v_add_co_u32 v25, vcc_lo, v6, v25
	v_mov_b32_e32 v34, v9
	v_mov_b32_e32 v8, v3
	v_add_co_ci_u32_e32 v26, vcc_lo, v12, v26, vcc_lo
	v_lshlrev_b64 v[31:32], 1, v[31:32]
	v_add_co_u32 v27, vcc_lo, v6, v27
	ds_load_u16 v1, v19
	ds_load_u16 v41, v19 offset:512
	ds_load_u16 v42, v19 offset:1024
	;; [unrolled: 1-line block ×7, first 2 shown]
	v_add_co_ci_u32_e32 v28, vcc_lo, v12, v28, vcc_lo
	ds_load_u16 v48, v19 offset:4096
	ds_load_u16 v49, v19 offset:4608
	ds_load_u16 v50, v19 offset:5120
	ds_load_u16 v51, v19 offset:5632
	ds_load_u16 v52, v19 offset:6144
	ds_load_u16 v53, v19 offset:6656
	ds_load_u16 v54, v19 offset:7168
	ds_load_u16 v55, v19 offset:7680
	v_add_nc_u32_e32 v19, 0x2000, v19
	v_lshlrev_b64 v[33:34], 1, v[33:34]
	v_add_co_u32 v29, vcc_lo, v6, v29
	v_lshlrev_b64 v[37:38], 1, v[8:9]
	v_add_nc_u32_e32 v8, 0x200, v2
	v_add_co_ci_u32_e32 v30, vcc_lo, v12, v30, vcc_lo
	v_add_co_u32 v31, vcc_lo, v6, v31
	v_add_co_ci_u32_e32 v32, vcc_lo, v12, v32, vcc_lo
	v_add_co_u32 v33, vcc_lo, v6, v33
	v_lshlrev_b64 v[39:40], 1, v[8:9]
	v_add_nc_u32_e32 v8, 0x400, v2
	v_add_co_ci_u32_e32 v34, vcc_lo, v12, v34, vcc_lo
	v_add_co_u32 v37, vcc_lo, v6, v37
	v_add_co_ci_u32_e32 v38, vcc_lo, v12, v38, vcc_lo
	s_waitcnt lgkmcnt(15)
	global_store_b16 v[35:36], v1, off
	v_lshlrev_b64 v[35:36], 1, v[8:9]
	v_add_nc_u32_e32 v8, 0x600, v2
	v_add_co_u32 v39, vcc_lo, v6, v39
	v_add_co_ci_u32_e32 v40, vcc_lo, v12, v40, vcc_lo
	s_waitcnt lgkmcnt(14)
	global_store_b16 v[37:38], v41, off
	v_lshlrev_b64 v[37:38], 1, v[8:9]
	v_add_nc_u32_e32 v8, 0x800, v2
	s_waitcnt lgkmcnt(13)
	global_store_b16 v[39:40], v42, off
	s_waitcnt lgkmcnt(12)
	global_store_b16 v[21:22], v43, off
	v_add_co_u32 v21, vcc_lo, v6, v35
	v_add_co_ci_u32_e32 v22, vcc_lo, v12, v36, vcc_lo
	v_lshlrev_b64 v[35:36], 1, v[8:9]
	v_add_nc_u32_e32 v8, 0xa00, v2
	v_add_co_u32 v37, vcc_lo, v6, v37
	v_add_co_ci_u32_e32 v38, vcc_lo, v12, v38, vcc_lo
	s_waitcnt lgkmcnt(11)
	global_store_b16 v[21:22], v44, off
	s_waitcnt lgkmcnt(10)
	global_store_b16 v[23:24], v45, off
	v_lshlrev_b64 v[21:22], 1, v[8:9]
	v_add_nc_u32_e32 v8, 0xc00, v2
	v_add_co_u32 v23, vcc_lo, v6, v35
	s_waitcnt lgkmcnt(9)
	global_store_b16 v[37:38], v46, off
	s_waitcnt lgkmcnt(8)
	global_store_b16 v[25:26], v47, off
	v_add_co_ci_u32_e32 v24, vcc_lo, v12, v36, vcc_lo
	v_lshlrev_b64 v[25:26], 1, v[8:9]
	v_add_nc_u32_e32 v8, 0xe00, v2
	v_add_co_u32 v21, vcc_lo, v6, v21
	v_add_co_ci_u32_e32 v22, vcc_lo, v12, v22, vcc_lo
	s_waitcnt lgkmcnt(7)
	global_store_b16 v[23:24], v48, off
	s_waitcnt lgkmcnt(6)
	global_store_b16 v[27:28], v49, off
	v_lshlrev_b64 v[23:24], 1, v[8:9]
	v_dual_mov_b32 v20, s6 :: v_dual_add_nc_u32 v3, 0x1000, v3
	s_waitcnt lgkmcnt(5)
	global_store_b16 v[21:22], v50, off
	v_add_co_u32 v21, vcc_lo, v6, v25
	v_add_nc_u32_e32 v2, 0x1000, v2
	v_add_co_ci_u32_e32 v22, vcc_lo, v12, v26, vcc_lo
	v_add_co_u32 v23, vcc_lo, v6, v23
	v_add_co_ci_u32_e32 v24, vcc_lo, v12, v24, vcc_lo
	s_waitcnt lgkmcnt(4)
	global_store_b16 v[29:30], v51, off
	s_waitcnt lgkmcnt(3)
	global_store_b16 v[21:22], v52, off
	;; [unrolled: 2-line block ×5, first 2 shown]
	s_and_not1_b32 exec_lo, exec_lo, s5
	s_cbranch_execnz .LBB429_178
; %bb.179:
	s_or_b32 exec_lo, exec_lo, s5
.LBB429_180:
	s_delay_alu instid0(SALU_CYCLE_1) | instskip(SKIP_3) | instid1(VALU_DEP_1)
	s_or_b32 exec_lo, exec_lo, s0
	v_and_b32_e32 v1, 7, v17
	s_mov_b32 s6, 0
	s_mov_b32 s5, exec_lo
	v_cmpx_ne_u32_e32 0, v1
	s_cbranch_execz .LBB429_183
; %bb.181:
	v_lshl_or_b32 v16, v20, 9, v16
	v_mov_b32_e32 v9, 0
	s_set_inst_prefetch_distance 0x1
	.p2align	6
.LBB429_182:                            ; =>This Inner Loop Header: Depth=1
	v_dual_mov_b32 v8, v2 :: v_dual_add_nc_u32 v1, -1, v1
	ds_load_u16 v21, v16
	ds_load_u16 v22, v16 offset:512
	v_add_nc_u32_e32 v2, 0x200, v2
	v_add_nc_u32_e32 v16, 0x400, v16
	v_lshlrev_b64 v[17:18], 1, v[8:9]
	v_dual_mov_b32 v8, v3 :: v_dual_add_nc_u32 v3, 0x200, v3
	v_cmp_eq_u32_e32 vcc_lo, 0, v1
	s_delay_alu instid0(VALU_DEP_2) | instskip(NEXT) | instid1(VALU_DEP_4)
	v_lshlrev_b64 v[19:20], 1, v[8:9]
	v_add_co_u32 v17, s0, v6, v17
	s_delay_alu instid0(VALU_DEP_1) | instskip(SKIP_1) | instid1(VALU_DEP_3)
	v_add_co_ci_u32_e64 v18, s0, v12, v18, s0
	s_or_b32 s6, vcc_lo, s6
	v_add_co_u32 v19, s0, v6, v19
	s_delay_alu instid0(VALU_DEP_1)
	v_add_co_ci_u32_e64 v20, s0, v12, v20, s0
	s_waitcnt lgkmcnt(1)
	global_store_b16 v[17:18], v21, off
	s_waitcnt lgkmcnt(0)
	global_store_b16 v[19:20], v22, off
	s_and_not1_b32 exec_lo, exec_lo, s6
	s_cbranch_execnz .LBB429_182
.LBB429_183:
	s_set_inst_prefetch_distance 0x2
	s_or_b32 exec_lo, exec_lo, s5
	v_add_nc_u32_e32 v1, 1, v15
	s_delay_alu instid0(VALU_DEP_1) | instskip(NEXT) | instid1(VALU_DEP_1)
	v_and_b32_e32 v2, 0x1fffffe, v1
	v_cmp_ne_u32_e32 vcc_lo, v1, v2
	v_lshl_or_b32 v1, v2, 8, v0
	s_or_not1_b32 s0, vcc_lo, exec_lo
.LBB429_184:
	s_or_b32 exec_lo, exec_lo, s4
	s_delay_alu instid0(SALU_CYCLE_1) | instskip(SKIP_1) | instid1(SALU_CYCLE_1)
	s_and_not1_b32 s2, s2, exec_lo
	s_and_b32 s0, s0, exec_lo
	s_or_b32 s2, s2, s0
.LBB429_185:
	s_or_b32 exec_lo, exec_lo, s3
	s_delay_alu instid0(VALU_DEP_2) | instid1(SALU_CYCLE_1)
	s_and_b32 exec_lo, exec_lo, s2
	s_cbranch_execz .LBB429_188
; %bb.186:
	v_dual_mov_b32 v2, 0 :: v_dual_lshlrev_b32 v3, 1, v1
	s_mov_b32 s2, 0
	.p2align	6
.LBB429_187:                            ; =>This Inner Loop Header: Depth=1
	ds_load_u16 v15, v3
	v_lshlrev_b64 v[8:9], 1, v[1:2]
	v_add_nc_u32_e32 v1, 0x100, v1
	v_add_nc_u32_e32 v3, 0x200, v3
	s_delay_alu instid0(VALU_DEP_2) | instskip(NEXT) | instid1(VALU_DEP_4)
	v_cmp_ge_u32_e32 vcc_lo, v1, v4
	v_add_co_u32 v8, s0, v6, v8
	s_delay_alu instid0(VALU_DEP_1)
	v_add_co_ci_u32_e64 v9, s0, v12, v9, s0
	s_or_b32 s2, vcc_lo, s2
	s_waitcnt lgkmcnt(0)
	global_store_b16 v[8:9], v15, off
	s_and_not1_b32 exec_lo, exec_lo, s2
	s_cbranch_execnz .LBB429_187
.LBB429_188:
	s_or_b32 exec_lo, exec_lo, s1
	v_cmp_eq_u32_e32 vcc_lo, 0xff, v0
	s_and_b32 s0, vcc_lo, s17
	s_delay_alu instid0(SALU_CYCLE_1)
	s_and_saveexec_b32 s1, s0
	s_cbranch_execz .LBB429_161
.LBB429_189:
	v_add_co_u32 v0, s0, v5, v7
	s_delay_alu instid0(VALU_DEP_1) | instskip(SKIP_1) | instid1(VALU_DEP_3)
	v_add_co_ci_u32_e64 v1, null, 0, 0, s0
	v_mov_b32_e32 v6, 0
	v_add_co_u32 v0, vcc_lo, v0, v13
	s_delay_alu instid0(VALU_DEP_3)
	v_add_co_ci_u32_e32 v1, vcc_lo, v1, v14, vcc_lo
	s_cmpk_lg_i32 s26, 0xf00
	global_store_b64 v6, v[0:1], s[30:31]
	s_cbranch_scc1 .LBB429_161
; %bb.190:
	v_lshlrev_b64 v[0:1], 1, v[5:6]
	s_delay_alu instid0(VALU_DEP_1) | instskip(NEXT) | instid1(VALU_DEP_2)
	v_add_co_u32 v0, vcc_lo, v10, v0
	v_add_co_ci_u32_e32 v1, vcc_lo, v11, v1, vcc_lo
	global_store_b16 v[0:1], v62, off offset:-2
	s_nop 0
	s_sendmsg sendmsg(MSG_DEALLOC_VGPRS)
	s_endpgm
.LBB429_191:
	s_or_b32 exec_lo, exec_lo, s1
	v_mov_b32_e32 v63, s7
	s_and_saveexec_b32 s1, s16
	s_cbranch_execnz .LBB429_88
	s_branch .LBB429_89
.LBB429_192:
	s_and_saveexec_b32 s19, s15
	s_cbranch_execnz .LBB429_260
; %bb.193:
	s_or_b32 exec_lo, exec_lo, s19
	s_and_saveexec_b32 s19, s14
	s_cbranch_execnz .LBB429_261
.LBB429_194:
	s_or_b32 exec_lo, exec_lo, s19
	s_and_saveexec_b32 s19, s13
	s_cbranch_execnz .LBB429_262
.LBB429_195:
	s_or_b32 exec_lo, exec_lo, s19
	s_and_saveexec_b32 s19, s12
	s_cbranch_execnz .LBB429_263
.LBB429_196:
	s_or_b32 exec_lo, exec_lo, s19
	s_and_saveexec_b32 s19, s11
	s_cbranch_execnz .LBB429_264
.LBB429_197:
	s_or_b32 exec_lo, exec_lo, s19
	s_and_saveexec_b32 s19, s10
	s_cbranch_execnz .LBB429_265
.LBB429_198:
	s_or_b32 exec_lo, exec_lo, s19
	s_and_saveexec_b32 s19, s8
	s_cbranch_execnz .LBB429_266
.LBB429_199:
	s_or_b32 exec_lo, exec_lo, s19
	s_and_saveexec_b32 s19, s6
	s_cbranch_execnz .LBB429_267
.LBB429_200:
	s_or_b32 exec_lo, exec_lo, s19
	s_and_saveexec_b32 s19, s9
	s_cbranch_execnz .LBB429_268
.LBB429_201:
	s_or_b32 exec_lo, exec_lo, s19
	s_and_saveexec_b32 s19, s7
	s_cbranch_execnz .LBB429_269
.LBB429_202:
	s_or_b32 exec_lo, exec_lo, s19
	s_and_saveexec_b32 s19, s5
	s_cbranch_execnz .LBB429_270
.LBB429_203:
	s_or_b32 exec_lo, exec_lo, s19
	s_and_saveexec_b32 s19, s4
	s_cbranch_execnz .LBB429_271
.LBB429_204:
	s_or_b32 exec_lo, exec_lo, s19
	s_and_saveexec_b32 s19, s3
	s_cbranch_execnz .LBB429_272
.LBB429_205:
	s_or_b32 exec_lo, exec_lo, s19
	s_and_saveexec_b32 s19, s1
	s_cbranch_execz .LBB429_207
.LBB429_206:
	v_sub_nc_u32_e32 v66, v23, v7
	v_mov_b32_e32 v67, 0
	s_delay_alu instid0(VALU_DEP_1) | instskip(NEXT) | instid1(VALU_DEP_1)
	v_lshlrev_b64 v[66:67], 1, v[66:67]
	v_add_co_u32 v66, vcc_lo, v6, v66
	s_delay_alu instid0(VALU_DEP_2)
	v_add_co_ci_u32_e32 v67, vcc_lo, v64, v67, vcc_lo
	global_store_b16 v[66:67], v12, off
.LBB429_207:
	s_or_b32 exec_lo, exec_lo, s19
	s_delay_alu instid0(SALU_CYCLE_1)
	s_and_b32 s19, s0, exec_lo
	s_and_not1_saveexec_b32 s16, s16
	s_cbranch_execz .LBB429_133
.LBB429_208:
	v_sub_nc_u32_e32 v66, v41, v7
	v_mov_b32_e32 v67, 0
	s_or_b32 s19, s19, exec_lo
	s_delay_alu instid0(VALU_DEP_1) | instskip(SKIP_1) | instid1(VALU_DEP_1)
	v_lshlrev_b64 v[68:69], 1, v[66:67]
	v_sub_nc_u32_e32 v66, v37, v7
	v_lshlrev_b64 v[70:71], 1, v[66:67]
	v_sub_nc_u32_e32 v66, v35, v7
	s_delay_alu instid0(VALU_DEP_4) | instskip(SKIP_1) | instid1(VALU_DEP_3)
	v_add_co_u32 v68, vcc_lo, v6, v68
	v_add_co_ci_u32_e32 v69, vcc_lo, v64, v69, vcc_lo
	v_lshlrev_b64 v[72:73], 1, v[66:67]
	v_sub_nc_u32_e32 v66, v33, v7
	v_add_co_u32 v70, vcc_lo, v6, v70
	v_add_co_ci_u32_e32 v71, vcc_lo, v64, v71, vcc_lo
	global_store_b16 v[68:69], v55, off
	v_lshlrev_b64 v[68:69], 1, v[66:67]
	v_sub_nc_u32_e32 v66, v21, v7
	global_store_b16 v[70:71], v1, off
	v_add_co_u32 v70, vcc_lo, v6, v72
	v_add_co_ci_u32_e32 v71, vcc_lo, v64, v73, vcc_lo
	v_lshlrev_b64 v[72:73], 1, v[66:67]
	v_sub_nc_u32_e32 v66, v19, v7
	v_add_co_u32 v68, vcc_lo, v6, v68
	v_add_co_ci_u32_e32 v69, vcc_lo, v64, v69, vcc_lo
	s_delay_alu instid0(VALU_DEP_3) | instskip(SKIP_3) | instid1(VALU_DEP_3)
	v_lshlrev_b64 v[74:75], 1, v[66:67]
	v_sub_nc_u32_e32 v66, v17, v7
	v_add_co_u32 v72, vcc_lo, v6, v72
	v_add_co_ci_u32_e32 v73, vcc_lo, v64, v73, vcc_lo
	v_lshlrev_b64 v[76:77], 1, v[66:67]
	v_sub_nc_u32_e32 v66, v39, v7
	v_add_co_u32 v74, vcc_lo, v6, v74
	v_add_co_ci_u32_e32 v75, vcc_lo, v64, v75, vcc_lo
	s_clause 0x3
	global_store_d16_hi_b16 v[70:71], v1, off
	global_store_b16 v[68:69], v2, off
	global_store_d16_hi_b16 v[72:73], v2, off
	global_store_b16 v[74:75], v3, off
	v_lshlrev_b64 v[68:69], 1, v[66:67]
	v_sub_nc_u32_e32 v66, v43, v7
	v_add_co_u32 v70, vcc_lo, v6, v76
	v_add_co_ci_u32_e32 v71, vcc_lo, v64, v77, vcc_lo
	s_delay_alu instid0(VALU_DEP_3) | instskip(SKIP_3) | instid1(VALU_DEP_3)
	v_lshlrev_b64 v[72:73], 1, v[66:67]
	v_sub_nc_u32_e32 v66, v31, v7
	v_add_co_u32 v68, vcc_lo, v6, v68
	v_add_co_ci_u32_e32 v69, vcc_lo, v64, v69, vcc_lo
	v_lshlrev_b64 v[74:75], 1, v[66:67]
	v_sub_nc_u32_e32 v66, v29, v7
	v_add_co_u32 v72, vcc_lo, v6, v72
	v_add_co_ci_u32_e32 v73, vcc_lo, v64, v73, vcc_lo
	s_delay_alu instid0(VALU_DEP_3)
	v_lshlrev_b64 v[76:77], 1, v[66:67]
	v_sub_nc_u32_e32 v66, v25, v7
	v_add_co_u32 v74, vcc_lo, v6, v74
	v_add_co_ci_u32_e32 v75, vcc_lo, v64, v75, vcc_lo
	s_clause 0x3
	global_store_d16_hi_b16 v[70:71], v3, off
	global_store_b16 v[68:69], v4, off
	global_store_d16_hi_b16 v[72:73], v4, off
	global_store_b16 v[74:75], v10, off
	v_lshlrev_b64 v[68:69], 1, v[66:67]
	v_sub_nc_u32_e32 v66, v27, v7
	v_add_co_u32 v70, vcc_lo, v6, v76
	v_add_co_ci_u32_e32 v71, vcc_lo, v64, v77, vcc_lo
	s_delay_alu instid0(VALU_DEP_3) | instskip(SKIP_3) | instid1(VALU_DEP_3)
	v_lshlrev_b64 v[72:73], 1, v[66:67]
	v_sub_nc_u32_e32 v66, v23, v7
	v_add_co_u32 v68, vcc_lo, v6, v68
	v_add_co_ci_u32_e32 v69, vcc_lo, v64, v69, vcc_lo
	v_lshlrev_b64 v[66:67], 1, v[66:67]
	v_add_co_u32 v72, vcc_lo, v6, v72
	v_add_co_ci_u32_e32 v73, vcc_lo, v64, v73, vcc_lo
	s_clause 0x2
	global_store_d16_hi_b16 v[70:71], v10, off
	global_store_b16 v[68:69], v11, off
	global_store_d16_hi_b16 v[72:73], v11, off
	v_add_co_u32 v66, vcc_lo, v6, v66
	v_add_co_ci_u32_e32 v67, vcc_lo, v64, v67, vcc_lo
	global_store_b16 v[66:67], v12, off
	s_or_b32 exec_lo, exec_lo, s16
	s_delay_alu instid0(SALU_CYCLE_1)
	s_and_b32 exec_lo, exec_lo, s19
	s_cbranch_execnz .LBB429_134
	s_branch .LBB429_135
.LBB429_209:
	s_and_saveexec_b32 s19, s15
	s_cbranch_execnz .LBB429_273
; %bb.210:
	s_or_b32 exec_lo, exec_lo, s19
	s_and_saveexec_b32 s15, s14
	s_cbranch_execnz .LBB429_274
.LBB429_211:
	s_or_b32 exec_lo, exec_lo, s15
	s_and_saveexec_b32 s14, s13
	s_cbranch_execnz .LBB429_275
.LBB429_212:
	s_or_b32 exec_lo, exec_lo, s14
	s_and_saveexec_b32 s13, s12
	s_cbranch_execnz .LBB429_276
.LBB429_213:
	s_or_b32 exec_lo, exec_lo, s13
	s_and_saveexec_b32 s12, s11
	s_cbranch_execnz .LBB429_277
.LBB429_214:
	s_or_b32 exec_lo, exec_lo, s12
	s_and_saveexec_b32 s11, s10
	s_cbranch_execnz .LBB429_278
.LBB429_215:
	s_or_b32 exec_lo, exec_lo, s11
	s_and_saveexec_b32 s10, s8
	s_cbranch_execnz .LBB429_279
.LBB429_216:
	s_or_b32 exec_lo, exec_lo, s10
	s_and_saveexec_b32 s8, s6
	s_cbranch_execnz .LBB429_280
.LBB429_217:
	s_or_b32 exec_lo, exec_lo, s8
	s_and_saveexec_b32 s6, s9
	s_cbranch_execnz .LBB429_281
.LBB429_218:
	s_or_b32 exec_lo, exec_lo, s6
	s_and_saveexec_b32 s6, s7
	s_cbranch_execnz .LBB429_282
.LBB429_219:
	s_or_b32 exec_lo, exec_lo, s6
	s_and_saveexec_b32 s6, s5
	s_cbranch_execnz .LBB429_283
.LBB429_220:
	s_or_b32 exec_lo, exec_lo, s6
	s_and_saveexec_b32 s5, s4
	s_cbranch_execnz .LBB429_284
.LBB429_221:
	s_or_b32 exec_lo, exec_lo, s5
	s_and_saveexec_b32 s4, s3
	s_cbranch_execnz .LBB429_285
.LBB429_222:
	s_or_b32 exec_lo, exec_lo, s4
	s_and_saveexec_b32 s3, s1
	s_cbranch_execz .LBB429_224
.LBB429_223:
	v_sub_nc_u32_e32 v1, v23, v7
	s_delay_alu instid0(VALU_DEP_1)
	v_lshlrev_b32_e32 v1, 1, v1
	ds_store_b16 v1, v12
.LBB429_224:
	s_or_b32 exec_lo, exec_lo, s3
	s_delay_alu instid0(SALU_CYCLE_1)
	s_and_b32 s19, s0, exec_lo
                                        ; implicit-def: $vgpr55
                                        ; implicit-def: $vgpr1
	s_and_not1_saveexec_b32 s0, s18
	s_cbranch_execz .LBB429_140
.LBB429_225:
	v_sub_nc_u32_e32 v65, v41, v7
	v_sub_nc_u32_e32 v66, v37, v7
	;; [unrolled: 1-line block ×4, first 2 shown]
	s_or_b32 s19, s19, exec_lo
	v_lshlrev_b32_e32 v65, 1, v65
	v_lshlrev_b32_e32 v66, 1, v66
	;; [unrolled: 1-line block ×4, first 2 shown]
	ds_store_b16 v65, v55
	ds_store_b16 v66, v1
	ds_store_b16_d16_hi v67, v1
	v_sub_nc_u32_e32 v1, v21, v7
	v_sub_nc_u32_e32 v55, v19, v7
	v_sub_nc_u32_e32 v67, v43, v7
	v_sub_nc_u32_e32 v65, v17, v7
	v_sub_nc_u32_e32 v66, v39, v7
	v_lshlrev_b32_e32 v1, 1, v1
	ds_store_b16 v68, v2
	v_lshlrev_b32_e32 v55, 1, v55
	v_lshlrev_b32_e32 v65, 1, v65
	;; [unrolled: 1-line block ×3, first 2 shown]
	ds_store_b16_d16_hi v1, v2
	v_lshlrev_b32_e32 v1, 1, v67
	v_sub_nc_u32_e32 v2, v31, v7
	ds_store_b16 v55, v3
	ds_store_b16_d16_hi v65, v3
	ds_store_b16 v66, v4
	v_sub_nc_u32_e32 v55, v23, v7
	v_sub_nc_u32_e32 v3, v25, v7
	ds_store_b16_d16_hi v1, v4
	v_sub_nc_u32_e32 v1, v29, v7
	v_lshlrev_b32_e32 v2, 1, v2
	v_sub_nc_u32_e32 v4, v27, v7
	v_lshlrev_b32_e32 v3, 1, v3
	s_delay_alu instid0(VALU_DEP_4)
	v_lshlrev_b32_e32 v1, 1, v1
	ds_store_b16 v2, v10
	v_lshlrev_b32_e32 v2, 1, v55
	v_lshlrev_b32_e32 v4, 1, v4
	ds_store_b16_d16_hi v1, v10
	ds_store_b16 v3, v11
	ds_store_b16_d16_hi v4, v11
	ds_store_b16 v2, v12
	s_or_b32 exec_lo, exec_lo, s0
	s_delay_alu instid0(SALU_CYCLE_1)
	s_and_b32 exec_lo, exec_lo, s19
	s_cbranch_execnz .LBB429_141
	s_branch .LBB429_142
.LBB429_226:
	s_and_saveexec_b32 s18, s14
	s_cbranch_execnz .LBB429_286
; %bb.227:
	s_or_b32 exec_lo, exec_lo, s18
	s_and_saveexec_b32 s18, s13
	s_cbranch_execnz .LBB429_287
.LBB429_228:
	s_or_b32 exec_lo, exec_lo, s18
	s_and_saveexec_b32 s18, s12
	s_cbranch_execnz .LBB429_288
.LBB429_229:
	s_or_b32 exec_lo, exec_lo, s18
	s_and_saveexec_b32 s18, s11
	s_cbranch_execnz .LBB429_289
.LBB429_230:
	s_or_b32 exec_lo, exec_lo, s18
	s_and_saveexec_b32 s18, s10
	s_cbranch_execnz .LBB429_290
.LBB429_231:
	s_or_b32 exec_lo, exec_lo, s18
	s_and_saveexec_b32 s18, s9
	s_cbranch_execnz .LBB429_291
.LBB429_232:
	s_or_b32 exec_lo, exec_lo, s18
	s_and_saveexec_b32 s18, s8
	s_cbranch_execnz .LBB429_292
.LBB429_233:
	s_or_b32 exec_lo, exec_lo, s18
	s_and_saveexec_b32 s18, s7
	s_cbranch_execnz .LBB429_293
.LBB429_234:
	s_or_b32 exec_lo, exec_lo, s18
	s_and_saveexec_b32 s18, s6
	s_cbranch_execnz .LBB429_294
.LBB429_235:
	s_or_b32 exec_lo, exec_lo, s18
	s_and_saveexec_b32 s18, s5
	s_cbranch_execnz .LBB429_295
.LBB429_236:
	s_or_b32 exec_lo, exec_lo, s18
	s_and_saveexec_b32 s18, s4
	s_cbranch_execnz .LBB429_296
.LBB429_237:
	s_or_b32 exec_lo, exec_lo, s18
	s_and_saveexec_b32 s18, s3
	s_cbranch_execnz .LBB429_297
.LBB429_238:
	s_or_b32 exec_lo, exec_lo, s18
	s_and_saveexec_b32 s18, s2
	s_cbranch_execnz .LBB429_298
.LBB429_239:
	s_or_b32 exec_lo, exec_lo, s18
	s_and_saveexec_b32 s18, s1
	s_cbranch_execz .LBB429_241
.LBB429_240:
	v_sub_nc_u32_e32 v45, v23, v3
	v_mov_b32_e32 v46, 0
	s_delay_alu instid0(VALU_DEP_1) | instskip(NEXT) | instid1(VALU_DEP_1)
	v_lshlrev_b64 v[45:46], 1, v[45:46]
	v_add_co_u32 v45, vcc_lo, v6, v45
	s_delay_alu instid0(VALU_DEP_2)
	v_add_co_ci_u32_e32 v46, vcc_lo, v12, v46, vcc_lo
	global_store_b16 v[45:46], v24, off
.LBB429_241:
	s_or_b32 exec_lo, exec_lo, s18
	s_delay_alu instid0(SALU_CYCLE_1)
	s_and_b32 s18, s0, exec_lo
	s_and_not1_saveexec_b32 s15, s15
	s_cbranch_execz .LBB429_165
.LBB429_242:
	v_sub_nc_u32_e32 v45, v41, v3
	v_mov_b32_e32 v46, 0
	s_or_b32 s18, s18, exec_lo
	s_delay_alu instid0(VALU_DEP_1) | instskip(SKIP_1) | instid1(VALU_DEP_1)
	v_lshlrev_b64 v[47:48], 1, v[45:46]
	v_sub_nc_u32_e32 v45, v37, v3
	v_lshlrev_b64 v[49:50], 1, v[45:46]
	v_sub_nc_u32_e32 v45, v35, v3
	s_delay_alu instid0(VALU_DEP_4) | instskip(SKIP_1) | instid1(VALU_DEP_3)
	v_add_co_u32 v47, vcc_lo, v6, v47
	v_add_co_ci_u32_e32 v48, vcc_lo, v12, v48, vcc_lo
	v_lshlrev_b64 v[51:52], 1, v[45:46]
	v_sub_nc_u32_e32 v45, v33, v3
	v_add_co_u32 v49, vcc_lo, v6, v49
	v_add_co_ci_u32_e32 v50, vcc_lo, v12, v50, vcc_lo
	global_store_b16 v[47:48], v42, off
	v_lshlrev_b64 v[47:48], 1, v[45:46]
	v_sub_nc_u32_e32 v45, v21, v3
	global_store_b16 v[49:50], v38, off
	v_add_co_u32 v49, vcc_lo, v6, v51
	v_add_co_ci_u32_e32 v50, vcc_lo, v12, v52, vcc_lo
	v_lshlrev_b64 v[51:52], 1, v[45:46]
	v_sub_nc_u32_e32 v45, v19, v3
	v_add_co_u32 v47, vcc_lo, v6, v47
	v_add_co_ci_u32_e32 v48, vcc_lo, v12, v48, vcc_lo
	s_delay_alu instid0(VALU_DEP_3) | instskip(SKIP_3) | instid1(VALU_DEP_3)
	v_lshlrev_b64 v[53:54], 1, v[45:46]
	v_sub_nc_u32_e32 v45, v17, v3
	v_add_co_u32 v51, vcc_lo, v6, v51
	v_add_co_ci_u32_e32 v52, vcc_lo, v12, v52, vcc_lo
	v_lshlrev_b64 v[55:56], 1, v[45:46]
	v_sub_nc_u32_e32 v45, v39, v3
	v_add_co_u32 v53, vcc_lo, v6, v53
	v_add_co_ci_u32_e32 v54, vcc_lo, v12, v54, vcc_lo
	s_clause 0x3
	global_store_b16 v[49:50], v36, off
	global_store_b16 v[47:48], v34, off
	global_store_b16 v[51:52], v22, off
	global_store_b16 v[53:54], v20, off
	v_lshlrev_b64 v[47:48], 1, v[45:46]
	v_sub_nc_u32_e32 v45, v43, v3
	v_add_co_u32 v49, vcc_lo, v6, v55
	v_add_co_ci_u32_e32 v50, vcc_lo, v12, v56, vcc_lo
	s_delay_alu instid0(VALU_DEP_3) | instskip(SKIP_3) | instid1(VALU_DEP_3)
	v_lshlrev_b64 v[51:52], 1, v[45:46]
	v_sub_nc_u32_e32 v45, v31, v3
	v_add_co_u32 v47, vcc_lo, v6, v47
	v_add_co_ci_u32_e32 v48, vcc_lo, v12, v48, vcc_lo
	v_lshlrev_b64 v[53:54], 1, v[45:46]
	v_sub_nc_u32_e32 v45, v29, v3
	v_add_co_u32 v51, vcc_lo, v6, v51
	v_add_co_ci_u32_e32 v52, vcc_lo, v12, v52, vcc_lo
	s_delay_alu instid0(VALU_DEP_3)
	v_lshlrev_b64 v[55:56], 1, v[45:46]
	v_sub_nc_u32_e32 v45, v25, v3
	v_add_co_u32 v53, vcc_lo, v6, v53
	v_add_co_ci_u32_e32 v54, vcc_lo, v12, v54, vcc_lo
	s_clause 0x3
	global_store_b16 v[49:50], v18, off
	global_store_b16 v[47:48], v40, off
	;; [unrolled: 1-line block ×4, first 2 shown]
	v_lshlrev_b64 v[47:48], 1, v[45:46]
	v_sub_nc_u32_e32 v45, v27, v3
	v_add_co_u32 v49, vcc_lo, v6, v55
	v_add_co_ci_u32_e32 v50, vcc_lo, v12, v56, vcc_lo
	s_delay_alu instid0(VALU_DEP_3) | instskip(SKIP_3) | instid1(VALU_DEP_3)
	v_lshlrev_b64 v[51:52], 1, v[45:46]
	v_sub_nc_u32_e32 v45, v23, v3
	v_add_co_u32 v47, vcc_lo, v6, v47
	v_add_co_ci_u32_e32 v48, vcc_lo, v12, v48, vcc_lo
	v_lshlrev_b64 v[45:46], 1, v[45:46]
	v_add_co_u32 v51, vcc_lo, v6, v51
	v_add_co_ci_u32_e32 v52, vcc_lo, v12, v52, vcc_lo
	s_clause 0x2
	global_store_b16 v[49:50], v30, off
	global_store_b16 v[47:48], v26, off
	;; [unrolled: 1-line block ×3, first 2 shown]
	v_add_co_u32 v45, vcc_lo, v6, v45
	v_add_co_ci_u32_e32 v46, vcc_lo, v12, v46, vcc_lo
	global_store_b16 v[45:46], v24, off
	s_or_b32 exec_lo, exec_lo, s15
	s_delay_alu instid0(SALU_CYCLE_1)
	s_and_b32 exec_lo, exec_lo, s18
	s_cbranch_execnz .LBB429_166
	s_branch .LBB429_167
.LBB429_243:
	s_and_saveexec_b32 s18, s14
	s_cbranch_execnz .LBB429_299
; %bb.244:
	s_or_b32 exec_lo, exec_lo, s18
	s_and_saveexec_b32 s14, s13
	s_cbranch_execnz .LBB429_300
.LBB429_245:
	s_or_b32 exec_lo, exec_lo, s14
	s_and_saveexec_b32 s13, s12
	s_cbranch_execnz .LBB429_301
.LBB429_246:
	s_or_b32 exec_lo, exec_lo, s13
	s_and_saveexec_b32 s12, s11
	s_cbranch_execnz .LBB429_302
.LBB429_247:
	s_or_b32 exec_lo, exec_lo, s12
	s_and_saveexec_b32 s11, s10
	s_cbranch_execnz .LBB429_303
.LBB429_248:
	s_or_b32 exec_lo, exec_lo, s11
	s_and_saveexec_b32 s10, s9
	s_cbranch_execnz .LBB429_304
.LBB429_249:
	s_or_b32 exec_lo, exec_lo, s10
	s_and_saveexec_b32 s9, s8
	s_cbranch_execnz .LBB429_305
.LBB429_250:
	s_or_b32 exec_lo, exec_lo, s9
	s_and_saveexec_b32 s8, s7
	s_cbranch_execnz .LBB429_306
.LBB429_251:
	s_or_b32 exec_lo, exec_lo, s8
	s_and_saveexec_b32 s7, s6
	s_cbranch_execnz .LBB429_307
.LBB429_252:
	s_or_b32 exec_lo, exec_lo, s7
	s_and_saveexec_b32 s6, s5
	s_cbranch_execnz .LBB429_308
.LBB429_253:
	s_or_b32 exec_lo, exec_lo, s6
	s_and_saveexec_b32 s5, s4
	s_cbranch_execnz .LBB429_309
.LBB429_254:
	s_or_b32 exec_lo, exec_lo, s5
	s_and_saveexec_b32 s4, s3
	s_cbranch_execnz .LBB429_310
.LBB429_255:
	s_or_b32 exec_lo, exec_lo, s4
	s_and_saveexec_b32 s3, s2
	s_cbranch_execnz .LBB429_311
.LBB429_256:
	s_or_b32 exec_lo, exec_lo, s3
	s_and_saveexec_b32 s2, s1
	s_cbranch_execz .LBB429_258
.LBB429_257:
	v_sub_nc_u32_e32 v8, v23, v3
	s_delay_alu instid0(VALU_DEP_1)
	v_lshlrev_b32_e32 v8, 1, v8
	ds_store_b16 v8, v24
.LBB429_258:
	s_or_b32 exec_lo, exec_lo, s2
	s_delay_alu instid0(SALU_CYCLE_1)
	s_and_b32 s18, s0, exec_lo
                                        ; implicit-def: $vgpr41_vgpr42
                                        ; implicit-def: $vgpr37_vgpr38
                                        ; implicit-def: $vgpr35_vgpr36
                                        ; implicit-def: $vgpr33_vgpr34
                                        ; implicit-def: $vgpr21_vgpr22
                                        ; implicit-def: $vgpr19_vgpr20
                                        ; implicit-def: $vgpr17_vgpr18
                                        ; implicit-def: $vgpr39_vgpr40
                                        ; implicit-def: $vgpr43_vgpr44
                                        ; implicit-def: $vgpr31_vgpr32
                                        ; implicit-def: $vgpr29_vgpr30
                                        ; implicit-def: $vgpr25_vgpr26
                                        ; implicit-def: $vgpr27_vgpr28
                                        ; implicit-def: $vgpr23_vgpr24
	s_and_not1_saveexec_b32 s0, s16
	s_cbranch_execz .LBB429_171
.LBB429_259:
	v_sub_nc_u32_e32 v8, v41, v3
	v_sub_nc_u32_e32 v9, v37, v3
	;; [unrolled: 1-line block ×5, first 2 shown]
	v_lshlrev_b32_e32 v8, 1, v8
	v_lshlrev_b32_e32 v9, 1, v9
	;; [unrolled: 1-line block ×5, first 2 shown]
	ds_store_b16 v8, v42
	ds_store_b16 v9, v38
	;; [unrolled: 1-line block ×3, first 2 shown]
	v_sub_nc_u32_e32 v8, v21, v3
	v_sub_nc_u32_e32 v9, v19, v3
	;; [unrolled: 1-line block ×4, first 2 shown]
	ds_store_b16 v33, v34
	v_lshlrev_b32_e32 v8, 1, v8
	v_lshlrev_b32_e32 v9, 1, v9
	;; [unrolled: 1-line block ×3, first 2 shown]
	s_or_b32 s18, s18, exec_lo
	ds_store_b16 v8, v22
	v_lshlrev_b32_e32 v8, 1, v21
	ds_store_b16 v9, v20
	ds_store_b16 v17, v18
	;; [unrolled: 1-line block ×3, first 2 shown]
	v_sub_nc_u32_e32 v9, v31, v3
	v_sub_nc_u32_e32 v19, v23, v3
	;; [unrolled: 1-line block ×3, first 2 shown]
	ds_store_b16 v8, v44
	v_sub_nc_u32_e32 v8, v29, v3
	v_lshlrev_b32_e32 v9, 1, v9
	v_sub_nc_u32_e32 v18, v27, v3
	v_lshlrev_b32_e32 v17, 1, v17
	s_delay_alu instid0(VALU_DEP_4)
	v_lshlrev_b32_e32 v8, 1, v8
	ds_store_b16 v9, v32
	v_lshlrev_b32_e32 v9, 1, v19
	v_lshlrev_b32_e32 v18, 1, v18
	ds_store_b16 v8, v30
	ds_store_b16 v17, v26
	;; [unrolled: 1-line block ×4, first 2 shown]
	s_or_b32 exec_lo, exec_lo, s0
	s_delay_alu instid0(SALU_CYCLE_1)
	s_and_b32 exec_lo, exec_lo, s18
	s_cbranch_execnz .LBB429_172
	s_branch .LBB429_173
.LBB429_260:
	v_sub_nc_u32_e32 v66, v41, v7
	v_mov_b32_e32 v67, 0
	s_delay_alu instid0(VALU_DEP_1) | instskip(NEXT) | instid1(VALU_DEP_1)
	v_lshlrev_b64 v[66:67], 1, v[66:67]
	v_add_co_u32 v66, vcc_lo, v6, v66
	s_delay_alu instid0(VALU_DEP_2)
	v_add_co_ci_u32_e32 v67, vcc_lo, v64, v67, vcc_lo
	global_store_b16 v[66:67], v55, off
	s_or_b32 exec_lo, exec_lo, s19
	s_and_saveexec_b32 s19, s14
	s_cbranch_execz .LBB429_194
.LBB429_261:
	v_sub_nc_u32_e32 v66, v37, v7
	v_mov_b32_e32 v67, 0
	s_delay_alu instid0(VALU_DEP_1) | instskip(NEXT) | instid1(VALU_DEP_1)
	v_lshlrev_b64 v[66:67], 1, v[66:67]
	v_add_co_u32 v66, vcc_lo, v6, v66
	s_delay_alu instid0(VALU_DEP_2)
	v_add_co_ci_u32_e32 v67, vcc_lo, v64, v67, vcc_lo
	global_store_b16 v[66:67], v1, off
	s_or_b32 exec_lo, exec_lo, s19
	s_and_saveexec_b32 s19, s13
	s_cbranch_execz .LBB429_195
.LBB429_262:
	v_sub_nc_u32_e32 v66, v35, v7
	v_mov_b32_e32 v67, 0
	s_delay_alu instid0(VALU_DEP_1) | instskip(NEXT) | instid1(VALU_DEP_1)
	v_lshlrev_b64 v[66:67], 1, v[66:67]
	v_add_co_u32 v66, vcc_lo, v6, v66
	s_delay_alu instid0(VALU_DEP_2)
	v_add_co_ci_u32_e32 v67, vcc_lo, v64, v67, vcc_lo
	global_store_d16_hi_b16 v[66:67], v1, off
	s_or_b32 exec_lo, exec_lo, s19
	s_and_saveexec_b32 s19, s12
	s_cbranch_execz .LBB429_196
.LBB429_263:
	v_sub_nc_u32_e32 v66, v33, v7
	v_mov_b32_e32 v67, 0
	s_delay_alu instid0(VALU_DEP_1) | instskip(NEXT) | instid1(VALU_DEP_1)
	v_lshlrev_b64 v[66:67], 1, v[66:67]
	v_add_co_u32 v66, vcc_lo, v6, v66
	s_delay_alu instid0(VALU_DEP_2)
	v_add_co_ci_u32_e32 v67, vcc_lo, v64, v67, vcc_lo
	global_store_b16 v[66:67], v2, off
	s_or_b32 exec_lo, exec_lo, s19
	s_and_saveexec_b32 s19, s11
	s_cbranch_execz .LBB429_197
.LBB429_264:
	v_sub_nc_u32_e32 v66, v21, v7
	v_mov_b32_e32 v67, 0
	s_delay_alu instid0(VALU_DEP_1) | instskip(NEXT) | instid1(VALU_DEP_1)
	v_lshlrev_b64 v[66:67], 1, v[66:67]
	v_add_co_u32 v66, vcc_lo, v6, v66
	s_delay_alu instid0(VALU_DEP_2)
	v_add_co_ci_u32_e32 v67, vcc_lo, v64, v67, vcc_lo
	global_store_d16_hi_b16 v[66:67], v2, off
	s_or_b32 exec_lo, exec_lo, s19
	s_and_saveexec_b32 s19, s10
	s_cbranch_execz .LBB429_198
.LBB429_265:
	v_sub_nc_u32_e32 v66, v19, v7
	v_mov_b32_e32 v67, 0
	s_delay_alu instid0(VALU_DEP_1) | instskip(NEXT) | instid1(VALU_DEP_1)
	v_lshlrev_b64 v[66:67], 1, v[66:67]
	v_add_co_u32 v66, vcc_lo, v6, v66
	s_delay_alu instid0(VALU_DEP_2)
	v_add_co_ci_u32_e32 v67, vcc_lo, v64, v67, vcc_lo
	global_store_b16 v[66:67], v3, off
	s_or_b32 exec_lo, exec_lo, s19
	s_and_saveexec_b32 s19, s8
	s_cbranch_execz .LBB429_199
.LBB429_266:
	v_sub_nc_u32_e32 v66, v17, v7
	v_mov_b32_e32 v67, 0
	s_delay_alu instid0(VALU_DEP_1) | instskip(NEXT) | instid1(VALU_DEP_1)
	v_lshlrev_b64 v[66:67], 1, v[66:67]
	v_add_co_u32 v66, vcc_lo, v6, v66
	s_delay_alu instid0(VALU_DEP_2)
	v_add_co_ci_u32_e32 v67, vcc_lo, v64, v67, vcc_lo
	global_store_d16_hi_b16 v[66:67], v3, off
	s_or_b32 exec_lo, exec_lo, s19
	s_and_saveexec_b32 s19, s6
	s_cbranch_execz .LBB429_200
.LBB429_267:
	v_sub_nc_u32_e32 v66, v39, v7
	v_mov_b32_e32 v67, 0
	s_delay_alu instid0(VALU_DEP_1) | instskip(NEXT) | instid1(VALU_DEP_1)
	v_lshlrev_b64 v[66:67], 1, v[66:67]
	v_add_co_u32 v66, vcc_lo, v6, v66
	s_delay_alu instid0(VALU_DEP_2)
	v_add_co_ci_u32_e32 v67, vcc_lo, v64, v67, vcc_lo
	global_store_b16 v[66:67], v4, off
	s_or_b32 exec_lo, exec_lo, s19
	s_and_saveexec_b32 s19, s9
	s_cbranch_execz .LBB429_201
.LBB429_268:
	v_sub_nc_u32_e32 v66, v43, v7
	v_mov_b32_e32 v67, 0
	s_delay_alu instid0(VALU_DEP_1) | instskip(NEXT) | instid1(VALU_DEP_1)
	v_lshlrev_b64 v[66:67], 1, v[66:67]
	v_add_co_u32 v66, vcc_lo, v6, v66
	s_delay_alu instid0(VALU_DEP_2)
	v_add_co_ci_u32_e32 v67, vcc_lo, v64, v67, vcc_lo
	global_store_d16_hi_b16 v[66:67], v4, off
	s_or_b32 exec_lo, exec_lo, s19
	s_and_saveexec_b32 s19, s7
	s_cbranch_execz .LBB429_202
.LBB429_269:
	v_sub_nc_u32_e32 v66, v31, v7
	v_mov_b32_e32 v67, 0
	s_delay_alu instid0(VALU_DEP_1) | instskip(NEXT) | instid1(VALU_DEP_1)
	v_lshlrev_b64 v[66:67], 1, v[66:67]
	v_add_co_u32 v66, vcc_lo, v6, v66
	s_delay_alu instid0(VALU_DEP_2)
	v_add_co_ci_u32_e32 v67, vcc_lo, v64, v67, vcc_lo
	global_store_b16 v[66:67], v10, off
	s_or_b32 exec_lo, exec_lo, s19
	s_and_saveexec_b32 s19, s5
	s_cbranch_execz .LBB429_203
.LBB429_270:
	v_sub_nc_u32_e32 v66, v29, v7
	v_mov_b32_e32 v67, 0
	s_delay_alu instid0(VALU_DEP_1) | instskip(NEXT) | instid1(VALU_DEP_1)
	v_lshlrev_b64 v[66:67], 1, v[66:67]
	v_add_co_u32 v66, vcc_lo, v6, v66
	s_delay_alu instid0(VALU_DEP_2)
	v_add_co_ci_u32_e32 v67, vcc_lo, v64, v67, vcc_lo
	global_store_d16_hi_b16 v[66:67], v10, off
	s_or_b32 exec_lo, exec_lo, s19
	s_and_saveexec_b32 s19, s4
	s_cbranch_execz .LBB429_204
.LBB429_271:
	v_sub_nc_u32_e32 v66, v25, v7
	v_mov_b32_e32 v67, 0
	s_delay_alu instid0(VALU_DEP_1) | instskip(NEXT) | instid1(VALU_DEP_1)
	v_lshlrev_b64 v[66:67], 1, v[66:67]
	v_add_co_u32 v66, vcc_lo, v6, v66
	s_delay_alu instid0(VALU_DEP_2)
	v_add_co_ci_u32_e32 v67, vcc_lo, v64, v67, vcc_lo
	global_store_b16 v[66:67], v11, off
	s_or_b32 exec_lo, exec_lo, s19
	s_and_saveexec_b32 s19, s3
	s_cbranch_execz .LBB429_205
.LBB429_272:
	v_sub_nc_u32_e32 v66, v27, v7
	v_mov_b32_e32 v67, 0
	s_delay_alu instid0(VALU_DEP_1) | instskip(NEXT) | instid1(VALU_DEP_1)
	v_lshlrev_b64 v[66:67], 1, v[66:67]
	v_add_co_u32 v66, vcc_lo, v6, v66
	s_delay_alu instid0(VALU_DEP_2)
	v_add_co_ci_u32_e32 v67, vcc_lo, v64, v67, vcc_lo
	global_store_d16_hi_b16 v[66:67], v11, off
	s_or_b32 exec_lo, exec_lo, s19
	s_and_saveexec_b32 s19, s1
	s_cbranch_execnz .LBB429_206
	s_branch .LBB429_207
.LBB429_273:
	v_sub_nc_u32_e32 v65, v41, v7
	s_delay_alu instid0(VALU_DEP_1)
	v_lshlrev_b32_e32 v65, 1, v65
	ds_store_b16 v65, v55
	s_or_b32 exec_lo, exec_lo, s19
	s_and_saveexec_b32 s15, s14
	s_cbranch_execz .LBB429_211
.LBB429_274:
	v_sub_nc_u32_e32 v55, v37, v7
	s_delay_alu instid0(VALU_DEP_1)
	v_lshlrev_b32_e32 v55, 1, v55
	ds_store_b16 v55, v1
	s_or_b32 exec_lo, exec_lo, s15
	s_and_saveexec_b32 s14, s13
	s_cbranch_execz .LBB429_212
.LBB429_275:
	v_sub_nc_u32_e32 v55, v35, v7
	s_delay_alu instid0(VALU_DEP_1)
	v_lshlrev_b32_e32 v55, 1, v55
	ds_store_b16_d16_hi v55, v1
	s_or_b32 exec_lo, exec_lo, s14
	s_and_saveexec_b32 s13, s12
	s_cbranch_execz .LBB429_213
.LBB429_276:
	v_sub_nc_u32_e32 v1, v33, v7
	s_delay_alu instid0(VALU_DEP_1)
	v_lshlrev_b32_e32 v1, 1, v1
	ds_store_b16 v1, v2
	s_or_b32 exec_lo, exec_lo, s13
	s_and_saveexec_b32 s12, s11
	s_cbranch_execz .LBB429_214
.LBB429_277:
	v_sub_nc_u32_e32 v1, v21, v7
	s_delay_alu instid0(VALU_DEP_1)
	v_lshlrev_b32_e32 v1, 1, v1
	ds_store_b16_d16_hi v1, v2
	s_or_b32 exec_lo, exec_lo, s12
	s_and_saveexec_b32 s11, s10
	s_cbranch_execz .LBB429_215
.LBB429_278:
	v_sub_nc_u32_e32 v1, v19, v7
	s_delay_alu instid0(VALU_DEP_1)
	v_lshlrev_b32_e32 v1, 1, v1
	ds_store_b16 v1, v3
	s_or_b32 exec_lo, exec_lo, s11
	s_and_saveexec_b32 s10, s8
	s_cbranch_execz .LBB429_216
.LBB429_279:
	v_sub_nc_u32_e32 v1, v17, v7
	s_delay_alu instid0(VALU_DEP_1)
	v_lshlrev_b32_e32 v1, 1, v1
	ds_store_b16_d16_hi v1, v3
	s_or_b32 exec_lo, exec_lo, s10
	s_and_saveexec_b32 s8, s6
	s_cbranch_execz .LBB429_217
.LBB429_280:
	v_sub_nc_u32_e32 v1, v39, v7
	s_delay_alu instid0(VALU_DEP_1)
	v_lshlrev_b32_e32 v1, 1, v1
	ds_store_b16 v1, v4
	s_or_b32 exec_lo, exec_lo, s8
	s_and_saveexec_b32 s6, s9
	s_cbranch_execz .LBB429_218
.LBB429_281:
	v_sub_nc_u32_e32 v1, v43, v7
	s_delay_alu instid0(VALU_DEP_1)
	v_lshlrev_b32_e32 v1, 1, v1
	ds_store_b16_d16_hi v1, v4
	s_or_b32 exec_lo, exec_lo, s6
	s_and_saveexec_b32 s6, s7
	s_cbranch_execz .LBB429_219
.LBB429_282:
	v_sub_nc_u32_e32 v1, v31, v7
	s_delay_alu instid0(VALU_DEP_1)
	v_lshlrev_b32_e32 v1, 1, v1
	ds_store_b16 v1, v10
	s_or_b32 exec_lo, exec_lo, s6
	s_and_saveexec_b32 s6, s5
	s_cbranch_execz .LBB429_220
.LBB429_283:
	v_sub_nc_u32_e32 v1, v29, v7
	s_delay_alu instid0(VALU_DEP_1)
	v_lshlrev_b32_e32 v1, 1, v1
	ds_store_b16_d16_hi v1, v10
	s_or_b32 exec_lo, exec_lo, s6
	s_and_saveexec_b32 s5, s4
	s_cbranch_execz .LBB429_221
.LBB429_284:
	v_sub_nc_u32_e32 v1, v25, v7
	s_delay_alu instid0(VALU_DEP_1)
	v_lshlrev_b32_e32 v1, 1, v1
	ds_store_b16 v1, v11
	s_or_b32 exec_lo, exec_lo, s5
	s_and_saveexec_b32 s4, s3
	s_cbranch_execz .LBB429_222
.LBB429_285:
	v_sub_nc_u32_e32 v1, v27, v7
	s_delay_alu instid0(VALU_DEP_1)
	v_lshlrev_b32_e32 v1, 1, v1
	ds_store_b16_d16_hi v1, v11
	s_or_b32 exec_lo, exec_lo, s4
	s_and_saveexec_b32 s3, s1
	s_cbranch_execnz .LBB429_223
	s_branch .LBB429_224
.LBB429_286:
	v_sub_nc_u32_e32 v45, v41, v3
	v_mov_b32_e32 v46, 0
	s_delay_alu instid0(VALU_DEP_1) | instskip(NEXT) | instid1(VALU_DEP_1)
	v_lshlrev_b64 v[45:46], 1, v[45:46]
	v_add_co_u32 v45, vcc_lo, v6, v45
	s_delay_alu instid0(VALU_DEP_2)
	v_add_co_ci_u32_e32 v46, vcc_lo, v12, v46, vcc_lo
	global_store_b16 v[45:46], v42, off
	s_or_b32 exec_lo, exec_lo, s18
	s_and_saveexec_b32 s18, s13
	s_cbranch_execz .LBB429_228
.LBB429_287:
	v_sub_nc_u32_e32 v45, v37, v3
	v_mov_b32_e32 v46, 0
	s_delay_alu instid0(VALU_DEP_1) | instskip(NEXT) | instid1(VALU_DEP_1)
	v_lshlrev_b64 v[45:46], 1, v[45:46]
	v_add_co_u32 v45, vcc_lo, v6, v45
	s_delay_alu instid0(VALU_DEP_2)
	v_add_co_ci_u32_e32 v46, vcc_lo, v12, v46, vcc_lo
	global_store_b16 v[45:46], v38, off
	s_or_b32 exec_lo, exec_lo, s18
	s_and_saveexec_b32 s18, s12
	s_cbranch_execz .LBB429_229
.LBB429_288:
	v_sub_nc_u32_e32 v45, v35, v3
	v_mov_b32_e32 v46, 0
	s_delay_alu instid0(VALU_DEP_1) | instskip(NEXT) | instid1(VALU_DEP_1)
	v_lshlrev_b64 v[45:46], 1, v[45:46]
	v_add_co_u32 v45, vcc_lo, v6, v45
	s_delay_alu instid0(VALU_DEP_2)
	v_add_co_ci_u32_e32 v46, vcc_lo, v12, v46, vcc_lo
	global_store_b16 v[45:46], v36, off
	s_or_b32 exec_lo, exec_lo, s18
	s_and_saveexec_b32 s18, s11
	s_cbranch_execz .LBB429_230
.LBB429_289:
	v_sub_nc_u32_e32 v45, v33, v3
	v_mov_b32_e32 v46, 0
	s_delay_alu instid0(VALU_DEP_1) | instskip(NEXT) | instid1(VALU_DEP_1)
	v_lshlrev_b64 v[45:46], 1, v[45:46]
	v_add_co_u32 v45, vcc_lo, v6, v45
	s_delay_alu instid0(VALU_DEP_2)
	v_add_co_ci_u32_e32 v46, vcc_lo, v12, v46, vcc_lo
	global_store_b16 v[45:46], v34, off
	s_or_b32 exec_lo, exec_lo, s18
	s_and_saveexec_b32 s18, s10
	s_cbranch_execz .LBB429_231
.LBB429_290:
	v_sub_nc_u32_e32 v45, v21, v3
	v_mov_b32_e32 v46, 0
	s_delay_alu instid0(VALU_DEP_1) | instskip(NEXT) | instid1(VALU_DEP_1)
	v_lshlrev_b64 v[45:46], 1, v[45:46]
	v_add_co_u32 v45, vcc_lo, v6, v45
	s_delay_alu instid0(VALU_DEP_2)
	v_add_co_ci_u32_e32 v46, vcc_lo, v12, v46, vcc_lo
	global_store_b16 v[45:46], v22, off
	s_or_b32 exec_lo, exec_lo, s18
	s_and_saveexec_b32 s18, s9
	s_cbranch_execz .LBB429_232
.LBB429_291:
	v_sub_nc_u32_e32 v45, v19, v3
	v_mov_b32_e32 v46, 0
	s_delay_alu instid0(VALU_DEP_1) | instskip(NEXT) | instid1(VALU_DEP_1)
	v_lshlrev_b64 v[45:46], 1, v[45:46]
	v_add_co_u32 v45, vcc_lo, v6, v45
	s_delay_alu instid0(VALU_DEP_2)
	v_add_co_ci_u32_e32 v46, vcc_lo, v12, v46, vcc_lo
	global_store_b16 v[45:46], v20, off
	s_or_b32 exec_lo, exec_lo, s18
	s_and_saveexec_b32 s18, s8
	s_cbranch_execz .LBB429_233
.LBB429_292:
	v_sub_nc_u32_e32 v45, v17, v3
	v_mov_b32_e32 v46, 0
	s_delay_alu instid0(VALU_DEP_1) | instskip(NEXT) | instid1(VALU_DEP_1)
	v_lshlrev_b64 v[45:46], 1, v[45:46]
	v_add_co_u32 v45, vcc_lo, v6, v45
	s_delay_alu instid0(VALU_DEP_2)
	v_add_co_ci_u32_e32 v46, vcc_lo, v12, v46, vcc_lo
	global_store_b16 v[45:46], v18, off
	s_or_b32 exec_lo, exec_lo, s18
	s_and_saveexec_b32 s18, s7
	s_cbranch_execz .LBB429_234
.LBB429_293:
	v_sub_nc_u32_e32 v45, v39, v3
	v_mov_b32_e32 v46, 0
	s_delay_alu instid0(VALU_DEP_1) | instskip(NEXT) | instid1(VALU_DEP_1)
	v_lshlrev_b64 v[45:46], 1, v[45:46]
	v_add_co_u32 v45, vcc_lo, v6, v45
	s_delay_alu instid0(VALU_DEP_2)
	v_add_co_ci_u32_e32 v46, vcc_lo, v12, v46, vcc_lo
	global_store_b16 v[45:46], v40, off
	s_or_b32 exec_lo, exec_lo, s18
	s_and_saveexec_b32 s18, s6
	s_cbranch_execz .LBB429_235
.LBB429_294:
	v_sub_nc_u32_e32 v45, v43, v3
	v_mov_b32_e32 v46, 0
	s_delay_alu instid0(VALU_DEP_1) | instskip(NEXT) | instid1(VALU_DEP_1)
	v_lshlrev_b64 v[45:46], 1, v[45:46]
	v_add_co_u32 v45, vcc_lo, v6, v45
	s_delay_alu instid0(VALU_DEP_2)
	v_add_co_ci_u32_e32 v46, vcc_lo, v12, v46, vcc_lo
	global_store_b16 v[45:46], v44, off
	s_or_b32 exec_lo, exec_lo, s18
	s_and_saveexec_b32 s18, s5
	s_cbranch_execz .LBB429_236
.LBB429_295:
	v_sub_nc_u32_e32 v45, v31, v3
	v_mov_b32_e32 v46, 0
	s_delay_alu instid0(VALU_DEP_1) | instskip(NEXT) | instid1(VALU_DEP_1)
	v_lshlrev_b64 v[45:46], 1, v[45:46]
	v_add_co_u32 v45, vcc_lo, v6, v45
	s_delay_alu instid0(VALU_DEP_2)
	v_add_co_ci_u32_e32 v46, vcc_lo, v12, v46, vcc_lo
	global_store_b16 v[45:46], v32, off
	s_or_b32 exec_lo, exec_lo, s18
	s_and_saveexec_b32 s18, s4
	s_cbranch_execz .LBB429_237
.LBB429_296:
	v_sub_nc_u32_e32 v45, v29, v3
	v_mov_b32_e32 v46, 0
	s_delay_alu instid0(VALU_DEP_1) | instskip(NEXT) | instid1(VALU_DEP_1)
	v_lshlrev_b64 v[45:46], 1, v[45:46]
	v_add_co_u32 v45, vcc_lo, v6, v45
	s_delay_alu instid0(VALU_DEP_2)
	v_add_co_ci_u32_e32 v46, vcc_lo, v12, v46, vcc_lo
	global_store_b16 v[45:46], v30, off
	s_or_b32 exec_lo, exec_lo, s18
	s_and_saveexec_b32 s18, s3
	s_cbranch_execz .LBB429_238
.LBB429_297:
	v_sub_nc_u32_e32 v45, v25, v3
	v_mov_b32_e32 v46, 0
	s_delay_alu instid0(VALU_DEP_1) | instskip(NEXT) | instid1(VALU_DEP_1)
	v_lshlrev_b64 v[45:46], 1, v[45:46]
	v_add_co_u32 v45, vcc_lo, v6, v45
	s_delay_alu instid0(VALU_DEP_2)
	v_add_co_ci_u32_e32 v46, vcc_lo, v12, v46, vcc_lo
	global_store_b16 v[45:46], v26, off
	s_or_b32 exec_lo, exec_lo, s18
	s_and_saveexec_b32 s18, s2
	s_cbranch_execz .LBB429_239
.LBB429_298:
	v_sub_nc_u32_e32 v45, v27, v3
	v_mov_b32_e32 v46, 0
	s_delay_alu instid0(VALU_DEP_1) | instskip(NEXT) | instid1(VALU_DEP_1)
	v_lshlrev_b64 v[45:46], 1, v[45:46]
	v_add_co_u32 v45, vcc_lo, v6, v45
	s_delay_alu instid0(VALU_DEP_2)
	v_add_co_ci_u32_e32 v46, vcc_lo, v12, v46, vcc_lo
	global_store_b16 v[45:46], v28, off
	s_or_b32 exec_lo, exec_lo, s18
	s_and_saveexec_b32 s18, s1
	s_cbranch_execnz .LBB429_240
	s_branch .LBB429_241
.LBB429_299:
	v_sub_nc_u32_e32 v8, v41, v3
	s_delay_alu instid0(VALU_DEP_1)
	v_lshlrev_b32_e32 v8, 1, v8
	ds_store_b16 v8, v42
	s_or_b32 exec_lo, exec_lo, s18
	s_and_saveexec_b32 s14, s13
	s_cbranch_execz .LBB429_245
.LBB429_300:
	v_sub_nc_u32_e32 v8, v37, v3
	s_delay_alu instid0(VALU_DEP_1)
	v_lshlrev_b32_e32 v8, 1, v8
	ds_store_b16 v8, v38
	s_or_b32 exec_lo, exec_lo, s14
	s_and_saveexec_b32 s13, s12
	s_cbranch_execz .LBB429_246
.LBB429_301:
	v_sub_nc_u32_e32 v8, v35, v3
	s_delay_alu instid0(VALU_DEP_1)
	v_lshlrev_b32_e32 v8, 1, v8
	ds_store_b16 v8, v36
	s_or_b32 exec_lo, exec_lo, s13
	s_and_saveexec_b32 s12, s11
	s_cbranch_execz .LBB429_247
.LBB429_302:
	v_sub_nc_u32_e32 v8, v33, v3
	s_delay_alu instid0(VALU_DEP_1)
	v_lshlrev_b32_e32 v8, 1, v8
	ds_store_b16 v8, v34
	s_or_b32 exec_lo, exec_lo, s12
	s_and_saveexec_b32 s11, s10
	s_cbranch_execz .LBB429_248
.LBB429_303:
	v_sub_nc_u32_e32 v8, v21, v3
	s_delay_alu instid0(VALU_DEP_1)
	v_lshlrev_b32_e32 v8, 1, v8
	ds_store_b16 v8, v22
	s_or_b32 exec_lo, exec_lo, s11
	s_and_saveexec_b32 s10, s9
	s_cbranch_execz .LBB429_249
.LBB429_304:
	v_sub_nc_u32_e32 v8, v19, v3
	s_delay_alu instid0(VALU_DEP_1)
	v_lshlrev_b32_e32 v8, 1, v8
	ds_store_b16 v8, v20
	s_or_b32 exec_lo, exec_lo, s10
	s_and_saveexec_b32 s9, s8
	s_cbranch_execz .LBB429_250
.LBB429_305:
	v_sub_nc_u32_e32 v8, v17, v3
	s_delay_alu instid0(VALU_DEP_1)
	v_lshlrev_b32_e32 v8, 1, v8
	ds_store_b16 v8, v18
	s_or_b32 exec_lo, exec_lo, s9
	s_and_saveexec_b32 s8, s7
	s_cbranch_execz .LBB429_251
.LBB429_306:
	v_sub_nc_u32_e32 v8, v39, v3
	s_delay_alu instid0(VALU_DEP_1)
	v_lshlrev_b32_e32 v8, 1, v8
	ds_store_b16 v8, v40
	s_or_b32 exec_lo, exec_lo, s8
	s_and_saveexec_b32 s7, s6
	s_cbranch_execz .LBB429_252
.LBB429_307:
	v_sub_nc_u32_e32 v8, v43, v3
	s_delay_alu instid0(VALU_DEP_1)
	v_lshlrev_b32_e32 v8, 1, v8
	ds_store_b16 v8, v44
	s_or_b32 exec_lo, exec_lo, s7
	s_and_saveexec_b32 s6, s5
	s_cbranch_execz .LBB429_253
.LBB429_308:
	v_sub_nc_u32_e32 v8, v31, v3
	s_delay_alu instid0(VALU_DEP_1)
	v_lshlrev_b32_e32 v8, 1, v8
	ds_store_b16 v8, v32
	s_or_b32 exec_lo, exec_lo, s6
	s_and_saveexec_b32 s5, s4
	s_cbranch_execz .LBB429_254
.LBB429_309:
	v_sub_nc_u32_e32 v8, v29, v3
	s_delay_alu instid0(VALU_DEP_1)
	v_lshlrev_b32_e32 v8, 1, v8
	ds_store_b16 v8, v30
	s_or_b32 exec_lo, exec_lo, s5
	s_and_saveexec_b32 s4, s3
	s_cbranch_execz .LBB429_255
.LBB429_310:
	v_sub_nc_u32_e32 v8, v25, v3
	s_delay_alu instid0(VALU_DEP_1)
	v_lshlrev_b32_e32 v8, 1, v8
	ds_store_b16 v8, v26
	s_or_b32 exec_lo, exec_lo, s4
	s_and_saveexec_b32 s3, s2
	s_cbranch_execz .LBB429_256
.LBB429_311:
	v_sub_nc_u32_e32 v8, v27, v3
	s_delay_alu instid0(VALU_DEP_1)
	v_lshlrev_b32_e32 v8, 1, v8
	ds_store_b16 v8, v28
	s_or_b32 exec_lo, exec_lo, s3
	s_and_saveexec_b32 s2, s1
	s_cbranch_execnz .LBB429_257
	s_branch .LBB429_258
	.section	.rodata,"a",@progbits
	.p2align	6, 0x0
	.amdhsa_kernel _ZN7rocprim17ROCPRIM_400000_NS6detail17trampoline_kernelINS0_14default_configENS1_29reduce_by_key_config_selectorIttN6thrust23THRUST_200600_302600_NS4plusItEEEEZZNS1_33reduce_by_key_impl_wrapped_configILNS1_25lookback_scan_determinismE0ES3_S9_NS6_6detail15normal_iteratorINS6_10device_ptrItEEEESG_SG_SG_PmS8_NS6_8equal_toItEEEE10hipError_tPvRmT2_T3_mT4_T5_T6_T7_T8_P12ihipStream_tbENKUlT_T0_E_clISt17integral_constantIbLb0EES10_IbLb1EEEEDaSW_SX_EUlSW_E_NS1_11comp_targetILNS1_3genE9ELNS1_11target_archE1100ELNS1_3gpuE3ELNS1_3repE0EEENS1_30default_config_static_selectorELNS0_4arch9wavefront6targetE0EEEvT1_
		.amdhsa_group_segment_fixed_size 7680
		.amdhsa_private_segment_fixed_size 0
		.amdhsa_kernarg_size 120
		.amdhsa_user_sgpr_count 15
		.amdhsa_user_sgpr_dispatch_ptr 0
		.amdhsa_user_sgpr_queue_ptr 0
		.amdhsa_user_sgpr_kernarg_segment_ptr 1
		.amdhsa_user_sgpr_dispatch_id 0
		.amdhsa_user_sgpr_private_segment_size 0
		.amdhsa_wavefront_size32 1
		.amdhsa_uses_dynamic_stack 0
		.amdhsa_enable_private_segment 0
		.amdhsa_system_sgpr_workgroup_id_x 1
		.amdhsa_system_sgpr_workgroup_id_y 0
		.amdhsa_system_sgpr_workgroup_id_z 0
		.amdhsa_system_sgpr_workgroup_info 0
		.amdhsa_system_vgpr_workitem_id 0
		.amdhsa_next_free_vgpr 102
		.amdhsa_next_free_sgpr 45
		.amdhsa_reserve_vcc 1
		.amdhsa_float_round_mode_32 0
		.amdhsa_float_round_mode_16_64 0
		.amdhsa_float_denorm_mode_32 3
		.amdhsa_float_denorm_mode_16_64 3
		.amdhsa_dx10_clamp 1
		.amdhsa_ieee_mode 1
		.amdhsa_fp16_overflow 0
		.amdhsa_workgroup_processor_mode 1
		.amdhsa_memory_ordered 1
		.amdhsa_forward_progress 0
		.amdhsa_shared_vgpr_count 0
		.amdhsa_exception_fp_ieee_invalid_op 0
		.amdhsa_exception_fp_denorm_src 0
		.amdhsa_exception_fp_ieee_div_zero 0
		.amdhsa_exception_fp_ieee_overflow 0
		.amdhsa_exception_fp_ieee_underflow 0
		.amdhsa_exception_fp_ieee_inexact 0
		.amdhsa_exception_int_div_zero 0
	.end_amdhsa_kernel
	.section	.text._ZN7rocprim17ROCPRIM_400000_NS6detail17trampoline_kernelINS0_14default_configENS1_29reduce_by_key_config_selectorIttN6thrust23THRUST_200600_302600_NS4plusItEEEEZZNS1_33reduce_by_key_impl_wrapped_configILNS1_25lookback_scan_determinismE0ES3_S9_NS6_6detail15normal_iteratorINS6_10device_ptrItEEEESG_SG_SG_PmS8_NS6_8equal_toItEEEE10hipError_tPvRmT2_T3_mT4_T5_T6_T7_T8_P12ihipStream_tbENKUlT_T0_E_clISt17integral_constantIbLb0EES10_IbLb1EEEEDaSW_SX_EUlSW_E_NS1_11comp_targetILNS1_3genE9ELNS1_11target_archE1100ELNS1_3gpuE3ELNS1_3repE0EEENS1_30default_config_static_selectorELNS0_4arch9wavefront6targetE0EEEvT1_,"axG",@progbits,_ZN7rocprim17ROCPRIM_400000_NS6detail17trampoline_kernelINS0_14default_configENS1_29reduce_by_key_config_selectorIttN6thrust23THRUST_200600_302600_NS4plusItEEEEZZNS1_33reduce_by_key_impl_wrapped_configILNS1_25lookback_scan_determinismE0ES3_S9_NS6_6detail15normal_iteratorINS6_10device_ptrItEEEESG_SG_SG_PmS8_NS6_8equal_toItEEEE10hipError_tPvRmT2_T3_mT4_T5_T6_T7_T8_P12ihipStream_tbENKUlT_T0_E_clISt17integral_constantIbLb0EES10_IbLb1EEEEDaSW_SX_EUlSW_E_NS1_11comp_targetILNS1_3genE9ELNS1_11target_archE1100ELNS1_3gpuE3ELNS1_3repE0EEENS1_30default_config_static_selectorELNS0_4arch9wavefront6targetE0EEEvT1_,comdat
.Lfunc_end429:
	.size	_ZN7rocprim17ROCPRIM_400000_NS6detail17trampoline_kernelINS0_14default_configENS1_29reduce_by_key_config_selectorIttN6thrust23THRUST_200600_302600_NS4plusItEEEEZZNS1_33reduce_by_key_impl_wrapped_configILNS1_25lookback_scan_determinismE0ES3_S9_NS6_6detail15normal_iteratorINS6_10device_ptrItEEEESG_SG_SG_PmS8_NS6_8equal_toItEEEE10hipError_tPvRmT2_T3_mT4_T5_T6_T7_T8_P12ihipStream_tbENKUlT_T0_E_clISt17integral_constantIbLb0EES10_IbLb1EEEEDaSW_SX_EUlSW_E_NS1_11comp_targetILNS1_3genE9ELNS1_11target_archE1100ELNS1_3gpuE3ELNS1_3repE0EEENS1_30default_config_static_selectorELNS0_4arch9wavefront6targetE0EEEvT1_, .Lfunc_end429-_ZN7rocprim17ROCPRIM_400000_NS6detail17trampoline_kernelINS0_14default_configENS1_29reduce_by_key_config_selectorIttN6thrust23THRUST_200600_302600_NS4plusItEEEEZZNS1_33reduce_by_key_impl_wrapped_configILNS1_25lookback_scan_determinismE0ES3_S9_NS6_6detail15normal_iteratorINS6_10device_ptrItEEEESG_SG_SG_PmS8_NS6_8equal_toItEEEE10hipError_tPvRmT2_T3_mT4_T5_T6_T7_T8_P12ihipStream_tbENKUlT_T0_E_clISt17integral_constantIbLb0EES10_IbLb1EEEEDaSW_SX_EUlSW_E_NS1_11comp_targetILNS1_3genE9ELNS1_11target_archE1100ELNS1_3gpuE3ELNS1_3repE0EEENS1_30default_config_static_selectorELNS0_4arch9wavefront6targetE0EEEvT1_
                                        ; -- End function
	.section	.AMDGPU.csdata,"",@progbits
; Kernel info:
; codeLenInByte = 21076
; NumSgprs: 47
; NumVgprs: 102
; ScratchSize: 0
; MemoryBound: 0
; FloatMode: 240
; IeeeMode: 1
; LDSByteSize: 7680 bytes/workgroup (compile time only)
; SGPRBlocks: 5
; VGPRBlocks: 12
; NumSGPRsForWavesPerEU: 47
; NumVGPRsForWavesPerEU: 102
; Occupancy: 12
; WaveLimiterHint : 1
; COMPUTE_PGM_RSRC2:SCRATCH_EN: 0
; COMPUTE_PGM_RSRC2:USER_SGPR: 15
; COMPUTE_PGM_RSRC2:TRAP_HANDLER: 0
; COMPUTE_PGM_RSRC2:TGID_X_EN: 1
; COMPUTE_PGM_RSRC2:TGID_Y_EN: 0
; COMPUTE_PGM_RSRC2:TGID_Z_EN: 0
; COMPUTE_PGM_RSRC2:TIDIG_COMP_CNT: 0
	.section	.text._ZN7rocprim17ROCPRIM_400000_NS6detail17trampoline_kernelINS0_14default_configENS1_29reduce_by_key_config_selectorIttN6thrust23THRUST_200600_302600_NS4plusItEEEEZZNS1_33reduce_by_key_impl_wrapped_configILNS1_25lookback_scan_determinismE0ES3_S9_NS6_6detail15normal_iteratorINS6_10device_ptrItEEEESG_SG_SG_PmS8_NS6_8equal_toItEEEE10hipError_tPvRmT2_T3_mT4_T5_T6_T7_T8_P12ihipStream_tbENKUlT_T0_E_clISt17integral_constantIbLb0EES10_IbLb1EEEEDaSW_SX_EUlSW_E_NS1_11comp_targetILNS1_3genE8ELNS1_11target_archE1030ELNS1_3gpuE2ELNS1_3repE0EEENS1_30default_config_static_selectorELNS0_4arch9wavefront6targetE0EEEvT1_,"axG",@progbits,_ZN7rocprim17ROCPRIM_400000_NS6detail17trampoline_kernelINS0_14default_configENS1_29reduce_by_key_config_selectorIttN6thrust23THRUST_200600_302600_NS4plusItEEEEZZNS1_33reduce_by_key_impl_wrapped_configILNS1_25lookback_scan_determinismE0ES3_S9_NS6_6detail15normal_iteratorINS6_10device_ptrItEEEESG_SG_SG_PmS8_NS6_8equal_toItEEEE10hipError_tPvRmT2_T3_mT4_T5_T6_T7_T8_P12ihipStream_tbENKUlT_T0_E_clISt17integral_constantIbLb0EES10_IbLb1EEEEDaSW_SX_EUlSW_E_NS1_11comp_targetILNS1_3genE8ELNS1_11target_archE1030ELNS1_3gpuE2ELNS1_3repE0EEENS1_30default_config_static_selectorELNS0_4arch9wavefront6targetE0EEEvT1_,comdat
	.protected	_ZN7rocprim17ROCPRIM_400000_NS6detail17trampoline_kernelINS0_14default_configENS1_29reduce_by_key_config_selectorIttN6thrust23THRUST_200600_302600_NS4plusItEEEEZZNS1_33reduce_by_key_impl_wrapped_configILNS1_25lookback_scan_determinismE0ES3_S9_NS6_6detail15normal_iteratorINS6_10device_ptrItEEEESG_SG_SG_PmS8_NS6_8equal_toItEEEE10hipError_tPvRmT2_T3_mT4_T5_T6_T7_T8_P12ihipStream_tbENKUlT_T0_E_clISt17integral_constantIbLb0EES10_IbLb1EEEEDaSW_SX_EUlSW_E_NS1_11comp_targetILNS1_3genE8ELNS1_11target_archE1030ELNS1_3gpuE2ELNS1_3repE0EEENS1_30default_config_static_selectorELNS0_4arch9wavefront6targetE0EEEvT1_ ; -- Begin function _ZN7rocprim17ROCPRIM_400000_NS6detail17trampoline_kernelINS0_14default_configENS1_29reduce_by_key_config_selectorIttN6thrust23THRUST_200600_302600_NS4plusItEEEEZZNS1_33reduce_by_key_impl_wrapped_configILNS1_25lookback_scan_determinismE0ES3_S9_NS6_6detail15normal_iteratorINS6_10device_ptrItEEEESG_SG_SG_PmS8_NS6_8equal_toItEEEE10hipError_tPvRmT2_T3_mT4_T5_T6_T7_T8_P12ihipStream_tbENKUlT_T0_E_clISt17integral_constantIbLb0EES10_IbLb1EEEEDaSW_SX_EUlSW_E_NS1_11comp_targetILNS1_3genE8ELNS1_11target_archE1030ELNS1_3gpuE2ELNS1_3repE0EEENS1_30default_config_static_selectorELNS0_4arch9wavefront6targetE0EEEvT1_
	.globl	_ZN7rocprim17ROCPRIM_400000_NS6detail17trampoline_kernelINS0_14default_configENS1_29reduce_by_key_config_selectorIttN6thrust23THRUST_200600_302600_NS4plusItEEEEZZNS1_33reduce_by_key_impl_wrapped_configILNS1_25lookback_scan_determinismE0ES3_S9_NS6_6detail15normal_iteratorINS6_10device_ptrItEEEESG_SG_SG_PmS8_NS6_8equal_toItEEEE10hipError_tPvRmT2_T3_mT4_T5_T6_T7_T8_P12ihipStream_tbENKUlT_T0_E_clISt17integral_constantIbLb0EES10_IbLb1EEEEDaSW_SX_EUlSW_E_NS1_11comp_targetILNS1_3genE8ELNS1_11target_archE1030ELNS1_3gpuE2ELNS1_3repE0EEENS1_30default_config_static_selectorELNS0_4arch9wavefront6targetE0EEEvT1_
	.p2align	8
	.type	_ZN7rocprim17ROCPRIM_400000_NS6detail17trampoline_kernelINS0_14default_configENS1_29reduce_by_key_config_selectorIttN6thrust23THRUST_200600_302600_NS4plusItEEEEZZNS1_33reduce_by_key_impl_wrapped_configILNS1_25lookback_scan_determinismE0ES3_S9_NS6_6detail15normal_iteratorINS6_10device_ptrItEEEESG_SG_SG_PmS8_NS6_8equal_toItEEEE10hipError_tPvRmT2_T3_mT4_T5_T6_T7_T8_P12ihipStream_tbENKUlT_T0_E_clISt17integral_constantIbLb0EES10_IbLb1EEEEDaSW_SX_EUlSW_E_NS1_11comp_targetILNS1_3genE8ELNS1_11target_archE1030ELNS1_3gpuE2ELNS1_3repE0EEENS1_30default_config_static_selectorELNS0_4arch9wavefront6targetE0EEEvT1_,@function
_ZN7rocprim17ROCPRIM_400000_NS6detail17trampoline_kernelINS0_14default_configENS1_29reduce_by_key_config_selectorIttN6thrust23THRUST_200600_302600_NS4plusItEEEEZZNS1_33reduce_by_key_impl_wrapped_configILNS1_25lookback_scan_determinismE0ES3_S9_NS6_6detail15normal_iteratorINS6_10device_ptrItEEEESG_SG_SG_PmS8_NS6_8equal_toItEEEE10hipError_tPvRmT2_T3_mT4_T5_T6_T7_T8_P12ihipStream_tbENKUlT_T0_E_clISt17integral_constantIbLb0EES10_IbLb1EEEEDaSW_SX_EUlSW_E_NS1_11comp_targetILNS1_3genE8ELNS1_11target_archE1030ELNS1_3gpuE2ELNS1_3repE0EEENS1_30default_config_static_selectorELNS0_4arch9wavefront6targetE0EEEvT1_: ; @_ZN7rocprim17ROCPRIM_400000_NS6detail17trampoline_kernelINS0_14default_configENS1_29reduce_by_key_config_selectorIttN6thrust23THRUST_200600_302600_NS4plusItEEEEZZNS1_33reduce_by_key_impl_wrapped_configILNS1_25lookback_scan_determinismE0ES3_S9_NS6_6detail15normal_iteratorINS6_10device_ptrItEEEESG_SG_SG_PmS8_NS6_8equal_toItEEEE10hipError_tPvRmT2_T3_mT4_T5_T6_T7_T8_P12ihipStream_tbENKUlT_T0_E_clISt17integral_constantIbLb0EES10_IbLb1EEEEDaSW_SX_EUlSW_E_NS1_11comp_targetILNS1_3genE8ELNS1_11target_archE1030ELNS1_3gpuE2ELNS1_3repE0EEENS1_30default_config_static_selectorELNS0_4arch9wavefront6targetE0EEEvT1_
; %bb.0:
	.section	.rodata,"a",@progbits
	.p2align	6, 0x0
	.amdhsa_kernel _ZN7rocprim17ROCPRIM_400000_NS6detail17trampoline_kernelINS0_14default_configENS1_29reduce_by_key_config_selectorIttN6thrust23THRUST_200600_302600_NS4plusItEEEEZZNS1_33reduce_by_key_impl_wrapped_configILNS1_25lookback_scan_determinismE0ES3_S9_NS6_6detail15normal_iteratorINS6_10device_ptrItEEEESG_SG_SG_PmS8_NS6_8equal_toItEEEE10hipError_tPvRmT2_T3_mT4_T5_T6_T7_T8_P12ihipStream_tbENKUlT_T0_E_clISt17integral_constantIbLb0EES10_IbLb1EEEEDaSW_SX_EUlSW_E_NS1_11comp_targetILNS1_3genE8ELNS1_11target_archE1030ELNS1_3gpuE2ELNS1_3repE0EEENS1_30default_config_static_selectorELNS0_4arch9wavefront6targetE0EEEvT1_
		.amdhsa_group_segment_fixed_size 0
		.amdhsa_private_segment_fixed_size 0
		.amdhsa_kernarg_size 120
		.amdhsa_user_sgpr_count 15
		.amdhsa_user_sgpr_dispatch_ptr 0
		.amdhsa_user_sgpr_queue_ptr 0
		.amdhsa_user_sgpr_kernarg_segment_ptr 1
		.amdhsa_user_sgpr_dispatch_id 0
		.amdhsa_user_sgpr_private_segment_size 0
		.amdhsa_wavefront_size32 1
		.amdhsa_uses_dynamic_stack 0
		.amdhsa_enable_private_segment 0
		.amdhsa_system_sgpr_workgroup_id_x 1
		.amdhsa_system_sgpr_workgroup_id_y 0
		.amdhsa_system_sgpr_workgroup_id_z 0
		.amdhsa_system_sgpr_workgroup_info 0
		.amdhsa_system_vgpr_workitem_id 0
		.amdhsa_next_free_vgpr 1
		.amdhsa_next_free_sgpr 1
		.amdhsa_reserve_vcc 0
		.amdhsa_float_round_mode_32 0
		.amdhsa_float_round_mode_16_64 0
		.amdhsa_float_denorm_mode_32 3
		.amdhsa_float_denorm_mode_16_64 3
		.amdhsa_dx10_clamp 1
		.amdhsa_ieee_mode 1
		.amdhsa_fp16_overflow 0
		.amdhsa_workgroup_processor_mode 1
		.amdhsa_memory_ordered 1
		.amdhsa_forward_progress 0
		.amdhsa_shared_vgpr_count 0
		.amdhsa_exception_fp_ieee_invalid_op 0
		.amdhsa_exception_fp_denorm_src 0
		.amdhsa_exception_fp_ieee_div_zero 0
		.amdhsa_exception_fp_ieee_overflow 0
		.amdhsa_exception_fp_ieee_underflow 0
		.amdhsa_exception_fp_ieee_inexact 0
		.amdhsa_exception_int_div_zero 0
	.end_amdhsa_kernel
	.section	.text._ZN7rocprim17ROCPRIM_400000_NS6detail17trampoline_kernelINS0_14default_configENS1_29reduce_by_key_config_selectorIttN6thrust23THRUST_200600_302600_NS4plusItEEEEZZNS1_33reduce_by_key_impl_wrapped_configILNS1_25lookback_scan_determinismE0ES3_S9_NS6_6detail15normal_iteratorINS6_10device_ptrItEEEESG_SG_SG_PmS8_NS6_8equal_toItEEEE10hipError_tPvRmT2_T3_mT4_T5_T6_T7_T8_P12ihipStream_tbENKUlT_T0_E_clISt17integral_constantIbLb0EES10_IbLb1EEEEDaSW_SX_EUlSW_E_NS1_11comp_targetILNS1_3genE8ELNS1_11target_archE1030ELNS1_3gpuE2ELNS1_3repE0EEENS1_30default_config_static_selectorELNS0_4arch9wavefront6targetE0EEEvT1_,"axG",@progbits,_ZN7rocprim17ROCPRIM_400000_NS6detail17trampoline_kernelINS0_14default_configENS1_29reduce_by_key_config_selectorIttN6thrust23THRUST_200600_302600_NS4plusItEEEEZZNS1_33reduce_by_key_impl_wrapped_configILNS1_25lookback_scan_determinismE0ES3_S9_NS6_6detail15normal_iteratorINS6_10device_ptrItEEEESG_SG_SG_PmS8_NS6_8equal_toItEEEE10hipError_tPvRmT2_T3_mT4_T5_T6_T7_T8_P12ihipStream_tbENKUlT_T0_E_clISt17integral_constantIbLb0EES10_IbLb1EEEEDaSW_SX_EUlSW_E_NS1_11comp_targetILNS1_3genE8ELNS1_11target_archE1030ELNS1_3gpuE2ELNS1_3repE0EEENS1_30default_config_static_selectorELNS0_4arch9wavefront6targetE0EEEvT1_,comdat
.Lfunc_end430:
	.size	_ZN7rocprim17ROCPRIM_400000_NS6detail17trampoline_kernelINS0_14default_configENS1_29reduce_by_key_config_selectorIttN6thrust23THRUST_200600_302600_NS4plusItEEEEZZNS1_33reduce_by_key_impl_wrapped_configILNS1_25lookback_scan_determinismE0ES3_S9_NS6_6detail15normal_iteratorINS6_10device_ptrItEEEESG_SG_SG_PmS8_NS6_8equal_toItEEEE10hipError_tPvRmT2_T3_mT4_T5_T6_T7_T8_P12ihipStream_tbENKUlT_T0_E_clISt17integral_constantIbLb0EES10_IbLb1EEEEDaSW_SX_EUlSW_E_NS1_11comp_targetILNS1_3genE8ELNS1_11target_archE1030ELNS1_3gpuE2ELNS1_3repE0EEENS1_30default_config_static_selectorELNS0_4arch9wavefront6targetE0EEEvT1_, .Lfunc_end430-_ZN7rocprim17ROCPRIM_400000_NS6detail17trampoline_kernelINS0_14default_configENS1_29reduce_by_key_config_selectorIttN6thrust23THRUST_200600_302600_NS4plusItEEEEZZNS1_33reduce_by_key_impl_wrapped_configILNS1_25lookback_scan_determinismE0ES3_S9_NS6_6detail15normal_iteratorINS6_10device_ptrItEEEESG_SG_SG_PmS8_NS6_8equal_toItEEEE10hipError_tPvRmT2_T3_mT4_T5_T6_T7_T8_P12ihipStream_tbENKUlT_T0_E_clISt17integral_constantIbLb0EES10_IbLb1EEEEDaSW_SX_EUlSW_E_NS1_11comp_targetILNS1_3genE8ELNS1_11target_archE1030ELNS1_3gpuE2ELNS1_3repE0EEENS1_30default_config_static_selectorELNS0_4arch9wavefront6targetE0EEEvT1_
                                        ; -- End function
	.section	.AMDGPU.csdata,"",@progbits
; Kernel info:
; codeLenInByte = 0
; NumSgprs: 0
; NumVgprs: 0
; ScratchSize: 0
; MemoryBound: 0
; FloatMode: 240
; IeeeMode: 1
; LDSByteSize: 0 bytes/workgroup (compile time only)
; SGPRBlocks: 0
; VGPRBlocks: 0
; NumSGPRsForWavesPerEU: 1
; NumVGPRsForWavesPerEU: 1
; Occupancy: 16
; WaveLimiterHint : 0
; COMPUTE_PGM_RSRC2:SCRATCH_EN: 0
; COMPUTE_PGM_RSRC2:USER_SGPR: 15
; COMPUTE_PGM_RSRC2:TRAP_HANDLER: 0
; COMPUTE_PGM_RSRC2:TGID_X_EN: 1
; COMPUTE_PGM_RSRC2:TGID_Y_EN: 0
; COMPUTE_PGM_RSRC2:TGID_Z_EN: 0
; COMPUTE_PGM_RSRC2:TIDIG_COMP_CNT: 0
	.section	.text._ZN7rocprim17ROCPRIM_400000_NS6detail17trampoline_kernelINS0_14default_configENS1_29reduce_by_key_config_selectorIttN6thrust23THRUST_200600_302600_NS4plusItEEEEZZNS1_33reduce_by_key_impl_wrapped_configILNS1_25lookback_scan_determinismE0ES3_S9_NS6_6detail15normal_iteratorINS6_10device_ptrItEEEESG_SG_SG_PmS8_22is_equal_div_10_reduceItEEE10hipError_tPvRmT2_T3_mT4_T5_T6_T7_T8_P12ihipStream_tbENKUlT_T0_E_clISt17integral_constantIbLb0EES11_EEDaSW_SX_EUlSW_E_NS1_11comp_targetILNS1_3genE0ELNS1_11target_archE4294967295ELNS1_3gpuE0ELNS1_3repE0EEENS1_30default_config_static_selectorELNS0_4arch9wavefront6targetE0EEEvT1_,"axG",@progbits,_ZN7rocprim17ROCPRIM_400000_NS6detail17trampoline_kernelINS0_14default_configENS1_29reduce_by_key_config_selectorIttN6thrust23THRUST_200600_302600_NS4plusItEEEEZZNS1_33reduce_by_key_impl_wrapped_configILNS1_25lookback_scan_determinismE0ES3_S9_NS6_6detail15normal_iteratorINS6_10device_ptrItEEEESG_SG_SG_PmS8_22is_equal_div_10_reduceItEEE10hipError_tPvRmT2_T3_mT4_T5_T6_T7_T8_P12ihipStream_tbENKUlT_T0_E_clISt17integral_constantIbLb0EES11_EEDaSW_SX_EUlSW_E_NS1_11comp_targetILNS1_3genE0ELNS1_11target_archE4294967295ELNS1_3gpuE0ELNS1_3repE0EEENS1_30default_config_static_selectorELNS0_4arch9wavefront6targetE0EEEvT1_,comdat
	.protected	_ZN7rocprim17ROCPRIM_400000_NS6detail17trampoline_kernelINS0_14default_configENS1_29reduce_by_key_config_selectorIttN6thrust23THRUST_200600_302600_NS4plusItEEEEZZNS1_33reduce_by_key_impl_wrapped_configILNS1_25lookback_scan_determinismE0ES3_S9_NS6_6detail15normal_iteratorINS6_10device_ptrItEEEESG_SG_SG_PmS8_22is_equal_div_10_reduceItEEE10hipError_tPvRmT2_T3_mT4_T5_T6_T7_T8_P12ihipStream_tbENKUlT_T0_E_clISt17integral_constantIbLb0EES11_EEDaSW_SX_EUlSW_E_NS1_11comp_targetILNS1_3genE0ELNS1_11target_archE4294967295ELNS1_3gpuE0ELNS1_3repE0EEENS1_30default_config_static_selectorELNS0_4arch9wavefront6targetE0EEEvT1_ ; -- Begin function _ZN7rocprim17ROCPRIM_400000_NS6detail17trampoline_kernelINS0_14default_configENS1_29reduce_by_key_config_selectorIttN6thrust23THRUST_200600_302600_NS4plusItEEEEZZNS1_33reduce_by_key_impl_wrapped_configILNS1_25lookback_scan_determinismE0ES3_S9_NS6_6detail15normal_iteratorINS6_10device_ptrItEEEESG_SG_SG_PmS8_22is_equal_div_10_reduceItEEE10hipError_tPvRmT2_T3_mT4_T5_T6_T7_T8_P12ihipStream_tbENKUlT_T0_E_clISt17integral_constantIbLb0EES11_EEDaSW_SX_EUlSW_E_NS1_11comp_targetILNS1_3genE0ELNS1_11target_archE4294967295ELNS1_3gpuE0ELNS1_3repE0EEENS1_30default_config_static_selectorELNS0_4arch9wavefront6targetE0EEEvT1_
	.globl	_ZN7rocprim17ROCPRIM_400000_NS6detail17trampoline_kernelINS0_14default_configENS1_29reduce_by_key_config_selectorIttN6thrust23THRUST_200600_302600_NS4plusItEEEEZZNS1_33reduce_by_key_impl_wrapped_configILNS1_25lookback_scan_determinismE0ES3_S9_NS6_6detail15normal_iteratorINS6_10device_ptrItEEEESG_SG_SG_PmS8_22is_equal_div_10_reduceItEEE10hipError_tPvRmT2_T3_mT4_T5_T6_T7_T8_P12ihipStream_tbENKUlT_T0_E_clISt17integral_constantIbLb0EES11_EEDaSW_SX_EUlSW_E_NS1_11comp_targetILNS1_3genE0ELNS1_11target_archE4294967295ELNS1_3gpuE0ELNS1_3repE0EEENS1_30default_config_static_selectorELNS0_4arch9wavefront6targetE0EEEvT1_
	.p2align	8
	.type	_ZN7rocprim17ROCPRIM_400000_NS6detail17trampoline_kernelINS0_14default_configENS1_29reduce_by_key_config_selectorIttN6thrust23THRUST_200600_302600_NS4plusItEEEEZZNS1_33reduce_by_key_impl_wrapped_configILNS1_25lookback_scan_determinismE0ES3_S9_NS6_6detail15normal_iteratorINS6_10device_ptrItEEEESG_SG_SG_PmS8_22is_equal_div_10_reduceItEEE10hipError_tPvRmT2_T3_mT4_T5_T6_T7_T8_P12ihipStream_tbENKUlT_T0_E_clISt17integral_constantIbLb0EES11_EEDaSW_SX_EUlSW_E_NS1_11comp_targetILNS1_3genE0ELNS1_11target_archE4294967295ELNS1_3gpuE0ELNS1_3repE0EEENS1_30default_config_static_selectorELNS0_4arch9wavefront6targetE0EEEvT1_,@function
_ZN7rocprim17ROCPRIM_400000_NS6detail17trampoline_kernelINS0_14default_configENS1_29reduce_by_key_config_selectorIttN6thrust23THRUST_200600_302600_NS4plusItEEEEZZNS1_33reduce_by_key_impl_wrapped_configILNS1_25lookback_scan_determinismE0ES3_S9_NS6_6detail15normal_iteratorINS6_10device_ptrItEEEESG_SG_SG_PmS8_22is_equal_div_10_reduceItEEE10hipError_tPvRmT2_T3_mT4_T5_T6_T7_T8_P12ihipStream_tbENKUlT_T0_E_clISt17integral_constantIbLb0EES11_EEDaSW_SX_EUlSW_E_NS1_11comp_targetILNS1_3genE0ELNS1_11target_archE4294967295ELNS1_3gpuE0ELNS1_3repE0EEENS1_30default_config_static_selectorELNS0_4arch9wavefront6targetE0EEEvT1_: ; @_ZN7rocprim17ROCPRIM_400000_NS6detail17trampoline_kernelINS0_14default_configENS1_29reduce_by_key_config_selectorIttN6thrust23THRUST_200600_302600_NS4plusItEEEEZZNS1_33reduce_by_key_impl_wrapped_configILNS1_25lookback_scan_determinismE0ES3_S9_NS6_6detail15normal_iteratorINS6_10device_ptrItEEEESG_SG_SG_PmS8_22is_equal_div_10_reduceItEEE10hipError_tPvRmT2_T3_mT4_T5_T6_T7_T8_P12ihipStream_tbENKUlT_T0_E_clISt17integral_constantIbLb0EES11_EEDaSW_SX_EUlSW_E_NS1_11comp_targetILNS1_3genE0ELNS1_11target_archE4294967295ELNS1_3gpuE0ELNS1_3repE0EEENS1_30default_config_static_selectorELNS0_4arch9wavefront6targetE0EEEvT1_
; %bb.0:
	.section	.rodata,"a",@progbits
	.p2align	6, 0x0
	.amdhsa_kernel _ZN7rocprim17ROCPRIM_400000_NS6detail17trampoline_kernelINS0_14default_configENS1_29reduce_by_key_config_selectorIttN6thrust23THRUST_200600_302600_NS4plusItEEEEZZNS1_33reduce_by_key_impl_wrapped_configILNS1_25lookback_scan_determinismE0ES3_S9_NS6_6detail15normal_iteratorINS6_10device_ptrItEEEESG_SG_SG_PmS8_22is_equal_div_10_reduceItEEE10hipError_tPvRmT2_T3_mT4_T5_T6_T7_T8_P12ihipStream_tbENKUlT_T0_E_clISt17integral_constantIbLb0EES11_EEDaSW_SX_EUlSW_E_NS1_11comp_targetILNS1_3genE0ELNS1_11target_archE4294967295ELNS1_3gpuE0ELNS1_3repE0EEENS1_30default_config_static_selectorELNS0_4arch9wavefront6targetE0EEEvT1_
		.amdhsa_group_segment_fixed_size 0
		.amdhsa_private_segment_fixed_size 0
		.amdhsa_kernarg_size 120
		.amdhsa_user_sgpr_count 15
		.amdhsa_user_sgpr_dispatch_ptr 0
		.amdhsa_user_sgpr_queue_ptr 0
		.amdhsa_user_sgpr_kernarg_segment_ptr 1
		.amdhsa_user_sgpr_dispatch_id 0
		.amdhsa_user_sgpr_private_segment_size 0
		.amdhsa_wavefront_size32 1
		.amdhsa_uses_dynamic_stack 0
		.amdhsa_enable_private_segment 0
		.amdhsa_system_sgpr_workgroup_id_x 1
		.amdhsa_system_sgpr_workgroup_id_y 0
		.amdhsa_system_sgpr_workgroup_id_z 0
		.amdhsa_system_sgpr_workgroup_info 0
		.amdhsa_system_vgpr_workitem_id 0
		.amdhsa_next_free_vgpr 1
		.amdhsa_next_free_sgpr 1
		.amdhsa_reserve_vcc 0
		.amdhsa_float_round_mode_32 0
		.amdhsa_float_round_mode_16_64 0
		.amdhsa_float_denorm_mode_32 3
		.amdhsa_float_denorm_mode_16_64 3
		.amdhsa_dx10_clamp 1
		.amdhsa_ieee_mode 1
		.amdhsa_fp16_overflow 0
		.amdhsa_workgroup_processor_mode 1
		.amdhsa_memory_ordered 1
		.amdhsa_forward_progress 0
		.amdhsa_shared_vgpr_count 0
		.amdhsa_exception_fp_ieee_invalid_op 0
		.amdhsa_exception_fp_denorm_src 0
		.amdhsa_exception_fp_ieee_div_zero 0
		.amdhsa_exception_fp_ieee_overflow 0
		.amdhsa_exception_fp_ieee_underflow 0
		.amdhsa_exception_fp_ieee_inexact 0
		.amdhsa_exception_int_div_zero 0
	.end_amdhsa_kernel
	.section	.text._ZN7rocprim17ROCPRIM_400000_NS6detail17trampoline_kernelINS0_14default_configENS1_29reduce_by_key_config_selectorIttN6thrust23THRUST_200600_302600_NS4plusItEEEEZZNS1_33reduce_by_key_impl_wrapped_configILNS1_25lookback_scan_determinismE0ES3_S9_NS6_6detail15normal_iteratorINS6_10device_ptrItEEEESG_SG_SG_PmS8_22is_equal_div_10_reduceItEEE10hipError_tPvRmT2_T3_mT4_T5_T6_T7_T8_P12ihipStream_tbENKUlT_T0_E_clISt17integral_constantIbLb0EES11_EEDaSW_SX_EUlSW_E_NS1_11comp_targetILNS1_3genE0ELNS1_11target_archE4294967295ELNS1_3gpuE0ELNS1_3repE0EEENS1_30default_config_static_selectorELNS0_4arch9wavefront6targetE0EEEvT1_,"axG",@progbits,_ZN7rocprim17ROCPRIM_400000_NS6detail17trampoline_kernelINS0_14default_configENS1_29reduce_by_key_config_selectorIttN6thrust23THRUST_200600_302600_NS4plusItEEEEZZNS1_33reduce_by_key_impl_wrapped_configILNS1_25lookback_scan_determinismE0ES3_S9_NS6_6detail15normal_iteratorINS6_10device_ptrItEEEESG_SG_SG_PmS8_22is_equal_div_10_reduceItEEE10hipError_tPvRmT2_T3_mT4_T5_T6_T7_T8_P12ihipStream_tbENKUlT_T0_E_clISt17integral_constantIbLb0EES11_EEDaSW_SX_EUlSW_E_NS1_11comp_targetILNS1_3genE0ELNS1_11target_archE4294967295ELNS1_3gpuE0ELNS1_3repE0EEENS1_30default_config_static_selectorELNS0_4arch9wavefront6targetE0EEEvT1_,comdat
.Lfunc_end431:
	.size	_ZN7rocprim17ROCPRIM_400000_NS6detail17trampoline_kernelINS0_14default_configENS1_29reduce_by_key_config_selectorIttN6thrust23THRUST_200600_302600_NS4plusItEEEEZZNS1_33reduce_by_key_impl_wrapped_configILNS1_25lookback_scan_determinismE0ES3_S9_NS6_6detail15normal_iteratorINS6_10device_ptrItEEEESG_SG_SG_PmS8_22is_equal_div_10_reduceItEEE10hipError_tPvRmT2_T3_mT4_T5_T6_T7_T8_P12ihipStream_tbENKUlT_T0_E_clISt17integral_constantIbLb0EES11_EEDaSW_SX_EUlSW_E_NS1_11comp_targetILNS1_3genE0ELNS1_11target_archE4294967295ELNS1_3gpuE0ELNS1_3repE0EEENS1_30default_config_static_selectorELNS0_4arch9wavefront6targetE0EEEvT1_, .Lfunc_end431-_ZN7rocprim17ROCPRIM_400000_NS6detail17trampoline_kernelINS0_14default_configENS1_29reduce_by_key_config_selectorIttN6thrust23THRUST_200600_302600_NS4plusItEEEEZZNS1_33reduce_by_key_impl_wrapped_configILNS1_25lookback_scan_determinismE0ES3_S9_NS6_6detail15normal_iteratorINS6_10device_ptrItEEEESG_SG_SG_PmS8_22is_equal_div_10_reduceItEEE10hipError_tPvRmT2_T3_mT4_T5_T6_T7_T8_P12ihipStream_tbENKUlT_T0_E_clISt17integral_constantIbLb0EES11_EEDaSW_SX_EUlSW_E_NS1_11comp_targetILNS1_3genE0ELNS1_11target_archE4294967295ELNS1_3gpuE0ELNS1_3repE0EEENS1_30default_config_static_selectorELNS0_4arch9wavefront6targetE0EEEvT1_
                                        ; -- End function
	.section	.AMDGPU.csdata,"",@progbits
; Kernel info:
; codeLenInByte = 0
; NumSgprs: 0
; NumVgprs: 0
; ScratchSize: 0
; MemoryBound: 0
; FloatMode: 240
; IeeeMode: 1
; LDSByteSize: 0 bytes/workgroup (compile time only)
; SGPRBlocks: 0
; VGPRBlocks: 0
; NumSGPRsForWavesPerEU: 1
; NumVGPRsForWavesPerEU: 1
; Occupancy: 16
; WaveLimiterHint : 0
; COMPUTE_PGM_RSRC2:SCRATCH_EN: 0
; COMPUTE_PGM_RSRC2:USER_SGPR: 15
; COMPUTE_PGM_RSRC2:TRAP_HANDLER: 0
; COMPUTE_PGM_RSRC2:TGID_X_EN: 1
; COMPUTE_PGM_RSRC2:TGID_Y_EN: 0
; COMPUTE_PGM_RSRC2:TGID_Z_EN: 0
; COMPUTE_PGM_RSRC2:TIDIG_COMP_CNT: 0
	.section	.text._ZN7rocprim17ROCPRIM_400000_NS6detail17trampoline_kernelINS0_14default_configENS1_29reduce_by_key_config_selectorIttN6thrust23THRUST_200600_302600_NS4plusItEEEEZZNS1_33reduce_by_key_impl_wrapped_configILNS1_25lookback_scan_determinismE0ES3_S9_NS6_6detail15normal_iteratorINS6_10device_ptrItEEEESG_SG_SG_PmS8_22is_equal_div_10_reduceItEEE10hipError_tPvRmT2_T3_mT4_T5_T6_T7_T8_P12ihipStream_tbENKUlT_T0_E_clISt17integral_constantIbLb0EES11_EEDaSW_SX_EUlSW_E_NS1_11comp_targetILNS1_3genE5ELNS1_11target_archE942ELNS1_3gpuE9ELNS1_3repE0EEENS1_30default_config_static_selectorELNS0_4arch9wavefront6targetE0EEEvT1_,"axG",@progbits,_ZN7rocprim17ROCPRIM_400000_NS6detail17trampoline_kernelINS0_14default_configENS1_29reduce_by_key_config_selectorIttN6thrust23THRUST_200600_302600_NS4plusItEEEEZZNS1_33reduce_by_key_impl_wrapped_configILNS1_25lookback_scan_determinismE0ES3_S9_NS6_6detail15normal_iteratorINS6_10device_ptrItEEEESG_SG_SG_PmS8_22is_equal_div_10_reduceItEEE10hipError_tPvRmT2_T3_mT4_T5_T6_T7_T8_P12ihipStream_tbENKUlT_T0_E_clISt17integral_constantIbLb0EES11_EEDaSW_SX_EUlSW_E_NS1_11comp_targetILNS1_3genE5ELNS1_11target_archE942ELNS1_3gpuE9ELNS1_3repE0EEENS1_30default_config_static_selectorELNS0_4arch9wavefront6targetE0EEEvT1_,comdat
	.protected	_ZN7rocprim17ROCPRIM_400000_NS6detail17trampoline_kernelINS0_14default_configENS1_29reduce_by_key_config_selectorIttN6thrust23THRUST_200600_302600_NS4plusItEEEEZZNS1_33reduce_by_key_impl_wrapped_configILNS1_25lookback_scan_determinismE0ES3_S9_NS6_6detail15normal_iteratorINS6_10device_ptrItEEEESG_SG_SG_PmS8_22is_equal_div_10_reduceItEEE10hipError_tPvRmT2_T3_mT4_T5_T6_T7_T8_P12ihipStream_tbENKUlT_T0_E_clISt17integral_constantIbLb0EES11_EEDaSW_SX_EUlSW_E_NS1_11comp_targetILNS1_3genE5ELNS1_11target_archE942ELNS1_3gpuE9ELNS1_3repE0EEENS1_30default_config_static_selectorELNS0_4arch9wavefront6targetE0EEEvT1_ ; -- Begin function _ZN7rocprim17ROCPRIM_400000_NS6detail17trampoline_kernelINS0_14default_configENS1_29reduce_by_key_config_selectorIttN6thrust23THRUST_200600_302600_NS4plusItEEEEZZNS1_33reduce_by_key_impl_wrapped_configILNS1_25lookback_scan_determinismE0ES3_S9_NS6_6detail15normal_iteratorINS6_10device_ptrItEEEESG_SG_SG_PmS8_22is_equal_div_10_reduceItEEE10hipError_tPvRmT2_T3_mT4_T5_T6_T7_T8_P12ihipStream_tbENKUlT_T0_E_clISt17integral_constantIbLb0EES11_EEDaSW_SX_EUlSW_E_NS1_11comp_targetILNS1_3genE5ELNS1_11target_archE942ELNS1_3gpuE9ELNS1_3repE0EEENS1_30default_config_static_selectorELNS0_4arch9wavefront6targetE0EEEvT1_
	.globl	_ZN7rocprim17ROCPRIM_400000_NS6detail17trampoline_kernelINS0_14default_configENS1_29reduce_by_key_config_selectorIttN6thrust23THRUST_200600_302600_NS4plusItEEEEZZNS1_33reduce_by_key_impl_wrapped_configILNS1_25lookback_scan_determinismE0ES3_S9_NS6_6detail15normal_iteratorINS6_10device_ptrItEEEESG_SG_SG_PmS8_22is_equal_div_10_reduceItEEE10hipError_tPvRmT2_T3_mT4_T5_T6_T7_T8_P12ihipStream_tbENKUlT_T0_E_clISt17integral_constantIbLb0EES11_EEDaSW_SX_EUlSW_E_NS1_11comp_targetILNS1_3genE5ELNS1_11target_archE942ELNS1_3gpuE9ELNS1_3repE0EEENS1_30default_config_static_selectorELNS0_4arch9wavefront6targetE0EEEvT1_
	.p2align	8
	.type	_ZN7rocprim17ROCPRIM_400000_NS6detail17trampoline_kernelINS0_14default_configENS1_29reduce_by_key_config_selectorIttN6thrust23THRUST_200600_302600_NS4plusItEEEEZZNS1_33reduce_by_key_impl_wrapped_configILNS1_25lookback_scan_determinismE0ES3_S9_NS6_6detail15normal_iteratorINS6_10device_ptrItEEEESG_SG_SG_PmS8_22is_equal_div_10_reduceItEEE10hipError_tPvRmT2_T3_mT4_T5_T6_T7_T8_P12ihipStream_tbENKUlT_T0_E_clISt17integral_constantIbLb0EES11_EEDaSW_SX_EUlSW_E_NS1_11comp_targetILNS1_3genE5ELNS1_11target_archE942ELNS1_3gpuE9ELNS1_3repE0EEENS1_30default_config_static_selectorELNS0_4arch9wavefront6targetE0EEEvT1_,@function
_ZN7rocprim17ROCPRIM_400000_NS6detail17trampoline_kernelINS0_14default_configENS1_29reduce_by_key_config_selectorIttN6thrust23THRUST_200600_302600_NS4plusItEEEEZZNS1_33reduce_by_key_impl_wrapped_configILNS1_25lookback_scan_determinismE0ES3_S9_NS6_6detail15normal_iteratorINS6_10device_ptrItEEEESG_SG_SG_PmS8_22is_equal_div_10_reduceItEEE10hipError_tPvRmT2_T3_mT4_T5_T6_T7_T8_P12ihipStream_tbENKUlT_T0_E_clISt17integral_constantIbLb0EES11_EEDaSW_SX_EUlSW_E_NS1_11comp_targetILNS1_3genE5ELNS1_11target_archE942ELNS1_3gpuE9ELNS1_3repE0EEENS1_30default_config_static_selectorELNS0_4arch9wavefront6targetE0EEEvT1_: ; @_ZN7rocprim17ROCPRIM_400000_NS6detail17trampoline_kernelINS0_14default_configENS1_29reduce_by_key_config_selectorIttN6thrust23THRUST_200600_302600_NS4plusItEEEEZZNS1_33reduce_by_key_impl_wrapped_configILNS1_25lookback_scan_determinismE0ES3_S9_NS6_6detail15normal_iteratorINS6_10device_ptrItEEEESG_SG_SG_PmS8_22is_equal_div_10_reduceItEEE10hipError_tPvRmT2_T3_mT4_T5_T6_T7_T8_P12ihipStream_tbENKUlT_T0_E_clISt17integral_constantIbLb0EES11_EEDaSW_SX_EUlSW_E_NS1_11comp_targetILNS1_3genE5ELNS1_11target_archE942ELNS1_3gpuE9ELNS1_3repE0EEENS1_30default_config_static_selectorELNS0_4arch9wavefront6targetE0EEEvT1_
; %bb.0:
	.section	.rodata,"a",@progbits
	.p2align	6, 0x0
	.amdhsa_kernel _ZN7rocprim17ROCPRIM_400000_NS6detail17trampoline_kernelINS0_14default_configENS1_29reduce_by_key_config_selectorIttN6thrust23THRUST_200600_302600_NS4plusItEEEEZZNS1_33reduce_by_key_impl_wrapped_configILNS1_25lookback_scan_determinismE0ES3_S9_NS6_6detail15normal_iteratorINS6_10device_ptrItEEEESG_SG_SG_PmS8_22is_equal_div_10_reduceItEEE10hipError_tPvRmT2_T3_mT4_T5_T6_T7_T8_P12ihipStream_tbENKUlT_T0_E_clISt17integral_constantIbLb0EES11_EEDaSW_SX_EUlSW_E_NS1_11comp_targetILNS1_3genE5ELNS1_11target_archE942ELNS1_3gpuE9ELNS1_3repE0EEENS1_30default_config_static_selectorELNS0_4arch9wavefront6targetE0EEEvT1_
		.amdhsa_group_segment_fixed_size 0
		.amdhsa_private_segment_fixed_size 0
		.amdhsa_kernarg_size 120
		.amdhsa_user_sgpr_count 15
		.amdhsa_user_sgpr_dispatch_ptr 0
		.amdhsa_user_sgpr_queue_ptr 0
		.amdhsa_user_sgpr_kernarg_segment_ptr 1
		.amdhsa_user_sgpr_dispatch_id 0
		.amdhsa_user_sgpr_private_segment_size 0
		.amdhsa_wavefront_size32 1
		.amdhsa_uses_dynamic_stack 0
		.amdhsa_enable_private_segment 0
		.amdhsa_system_sgpr_workgroup_id_x 1
		.amdhsa_system_sgpr_workgroup_id_y 0
		.amdhsa_system_sgpr_workgroup_id_z 0
		.amdhsa_system_sgpr_workgroup_info 0
		.amdhsa_system_vgpr_workitem_id 0
		.amdhsa_next_free_vgpr 1
		.amdhsa_next_free_sgpr 1
		.amdhsa_reserve_vcc 0
		.amdhsa_float_round_mode_32 0
		.amdhsa_float_round_mode_16_64 0
		.amdhsa_float_denorm_mode_32 3
		.amdhsa_float_denorm_mode_16_64 3
		.amdhsa_dx10_clamp 1
		.amdhsa_ieee_mode 1
		.amdhsa_fp16_overflow 0
		.amdhsa_workgroup_processor_mode 1
		.amdhsa_memory_ordered 1
		.amdhsa_forward_progress 0
		.amdhsa_shared_vgpr_count 0
		.amdhsa_exception_fp_ieee_invalid_op 0
		.amdhsa_exception_fp_denorm_src 0
		.amdhsa_exception_fp_ieee_div_zero 0
		.amdhsa_exception_fp_ieee_overflow 0
		.amdhsa_exception_fp_ieee_underflow 0
		.amdhsa_exception_fp_ieee_inexact 0
		.amdhsa_exception_int_div_zero 0
	.end_amdhsa_kernel
	.section	.text._ZN7rocprim17ROCPRIM_400000_NS6detail17trampoline_kernelINS0_14default_configENS1_29reduce_by_key_config_selectorIttN6thrust23THRUST_200600_302600_NS4plusItEEEEZZNS1_33reduce_by_key_impl_wrapped_configILNS1_25lookback_scan_determinismE0ES3_S9_NS6_6detail15normal_iteratorINS6_10device_ptrItEEEESG_SG_SG_PmS8_22is_equal_div_10_reduceItEEE10hipError_tPvRmT2_T3_mT4_T5_T6_T7_T8_P12ihipStream_tbENKUlT_T0_E_clISt17integral_constantIbLb0EES11_EEDaSW_SX_EUlSW_E_NS1_11comp_targetILNS1_3genE5ELNS1_11target_archE942ELNS1_3gpuE9ELNS1_3repE0EEENS1_30default_config_static_selectorELNS0_4arch9wavefront6targetE0EEEvT1_,"axG",@progbits,_ZN7rocprim17ROCPRIM_400000_NS6detail17trampoline_kernelINS0_14default_configENS1_29reduce_by_key_config_selectorIttN6thrust23THRUST_200600_302600_NS4plusItEEEEZZNS1_33reduce_by_key_impl_wrapped_configILNS1_25lookback_scan_determinismE0ES3_S9_NS6_6detail15normal_iteratorINS6_10device_ptrItEEEESG_SG_SG_PmS8_22is_equal_div_10_reduceItEEE10hipError_tPvRmT2_T3_mT4_T5_T6_T7_T8_P12ihipStream_tbENKUlT_T0_E_clISt17integral_constantIbLb0EES11_EEDaSW_SX_EUlSW_E_NS1_11comp_targetILNS1_3genE5ELNS1_11target_archE942ELNS1_3gpuE9ELNS1_3repE0EEENS1_30default_config_static_selectorELNS0_4arch9wavefront6targetE0EEEvT1_,comdat
.Lfunc_end432:
	.size	_ZN7rocprim17ROCPRIM_400000_NS6detail17trampoline_kernelINS0_14default_configENS1_29reduce_by_key_config_selectorIttN6thrust23THRUST_200600_302600_NS4plusItEEEEZZNS1_33reduce_by_key_impl_wrapped_configILNS1_25lookback_scan_determinismE0ES3_S9_NS6_6detail15normal_iteratorINS6_10device_ptrItEEEESG_SG_SG_PmS8_22is_equal_div_10_reduceItEEE10hipError_tPvRmT2_T3_mT4_T5_T6_T7_T8_P12ihipStream_tbENKUlT_T0_E_clISt17integral_constantIbLb0EES11_EEDaSW_SX_EUlSW_E_NS1_11comp_targetILNS1_3genE5ELNS1_11target_archE942ELNS1_3gpuE9ELNS1_3repE0EEENS1_30default_config_static_selectorELNS0_4arch9wavefront6targetE0EEEvT1_, .Lfunc_end432-_ZN7rocprim17ROCPRIM_400000_NS6detail17trampoline_kernelINS0_14default_configENS1_29reduce_by_key_config_selectorIttN6thrust23THRUST_200600_302600_NS4plusItEEEEZZNS1_33reduce_by_key_impl_wrapped_configILNS1_25lookback_scan_determinismE0ES3_S9_NS6_6detail15normal_iteratorINS6_10device_ptrItEEEESG_SG_SG_PmS8_22is_equal_div_10_reduceItEEE10hipError_tPvRmT2_T3_mT4_T5_T6_T7_T8_P12ihipStream_tbENKUlT_T0_E_clISt17integral_constantIbLb0EES11_EEDaSW_SX_EUlSW_E_NS1_11comp_targetILNS1_3genE5ELNS1_11target_archE942ELNS1_3gpuE9ELNS1_3repE0EEENS1_30default_config_static_selectorELNS0_4arch9wavefront6targetE0EEEvT1_
                                        ; -- End function
	.section	.AMDGPU.csdata,"",@progbits
; Kernel info:
; codeLenInByte = 0
; NumSgprs: 0
; NumVgprs: 0
; ScratchSize: 0
; MemoryBound: 0
; FloatMode: 240
; IeeeMode: 1
; LDSByteSize: 0 bytes/workgroup (compile time only)
; SGPRBlocks: 0
; VGPRBlocks: 0
; NumSGPRsForWavesPerEU: 1
; NumVGPRsForWavesPerEU: 1
; Occupancy: 16
; WaveLimiterHint : 0
; COMPUTE_PGM_RSRC2:SCRATCH_EN: 0
; COMPUTE_PGM_RSRC2:USER_SGPR: 15
; COMPUTE_PGM_RSRC2:TRAP_HANDLER: 0
; COMPUTE_PGM_RSRC2:TGID_X_EN: 1
; COMPUTE_PGM_RSRC2:TGID_Y_EN: 0
; COMPUTE_PGM_RSRC2:TGID_Z_EN: 0
; COMPUTE_PGM_RSRC2:TIDIG_COMP_CNT: 0
	.section	.text._ZN7rocprim17ROCPRIM_400000_NS6detail17trampoline_kernelINS0_14default_configENS1_29reduce_by_key_config_selectorIttN6thrust23THRUST_200600_302600_NS4plusItEEEEZZNS1_33reduce_by_key_impl_wrapped_configILNS1_25lookback_scan_determinismE0ES3_S9_NS6_6detail15normal_iteratorINS6_10device_ptrItEEEESG_SG_SG_PmS8_22is_equal_div_10_reduceItEEE10hipError_tPvRmT2_T3_mT4_T5_T6_T7_T8_P12ihipStream_tbENKUlT_T0_E_clISt17integral_constantIbLb0EES11_EEDaSW_SX_EUlSW_E_NS1_11comp_targetILNS1_3genE4ELNS1_11target_archE910ELNS1_3gpuE8ELNS1_3repE0EEENS1_30default_config_static_selectorELNS0_4arch9wavefront6targetE0EEEvT1_,"axG",@progbits,_ZN7rocprim17ROCPRIM_400000_NS6detail17trampoline_kernelINS0_14default_configENS1_29reduce_by_key_config_selectorIttN6thrust23THRUST_200600_302600_NS4plusItEEEEZZNS1_33reduce_by_key_impl_wrapped_configILNS1_25lookback_scan_determinismE0ES3_S9_NS6_6detail15normal_iteratorINS6_10device_ptrItEEEESG_SG_SG_PmS8_22is_equal_div_10_reduceItEEE10hipError_tPvRmT2_T3_mT4_T5_T6_T7_T8_P12ihipStream_tbENKUlT_T0_E_clISt17integral_constantIbLb0EES11_EEDaSW_SX_EUlSW_E_NS1_11comp_targetILNS1_3genE4ELNS1_11target_archE910ELNS1_3gpuE8ELNS1_3repE0EEENS1_30default_config_static_selectorELNS0_4arch9wavefront6targetE0EEEvT1_,comdat
	.protected	_ZN7rocprim17ROCPRIM_400000_NS6detail17trampoline_kernelINS0_14default_configENS1_29reduce_by_key_config_selectorIttN6thrust23THRUST_200600_302600_NS4plusItEEEEZZNS1_33reduce_by_key_impl_wrapped_configILNS1_25lookback_scan_determinismE0ES3_S9_NS6_6detail15normal_iteratorINS6_10device_ptrItEEEESG_SG_SG_PmS8_22is_equal_div_10_reduceItEEE10hipError_tPvRmT2_T3_mT4_T5_T6_T7_T8_P12ihipStream_tbENKUlT_T0_E_clISt17integral_constantIbLb0EES11_EEDaSW_SX_EUlSW_E_NS1_11comp_targetILNS1_3genE4ELNS1_11target_archE910ELNS1_3gpuE8ELNS1_3repE0EEENS1_30default_config_static_selectorELNS0_4arch9wavefront6targetE0EEEvT1_ ; -- Begin function _ZN7rocprim17ROCPRIM_400000_NS6detail17trampoline_kernelINS0_14default_configENS1_29reduce_by_key_config_selectorIttN6thrust23THRUST_200600_302600_NS4plusItEEEEZZNS1_33reduce_by_key_impl_wrapped_configILNS1_25lookback_scan_determinismE0ES3_S9_NS6_6detail15normal_iteratorINS6_10device_ptrItEEEESG_SG_SG_PmS8_22is_equal_div_10_reduceItEEE10hipError_tPvRmT2_T3_mT4_T5_T6_T7_T8_P12ihipStream_tbENKUlT_T0_E_clISt17integral_constantIbLb0EES11_EEDaSW_SX_EUlSW_E_NS1_11comp_targetILNS1_3genE4ELNS1_11target_archE910ELNS1_3gpuE8ELNS1_3repE0EEENS1_30default_config_static_selectorELNS0_4arch9wavefront6targetE0EEEvT1_
	.globl	_ZN7rocprim17ROCPRIM_400000_NS6detail17trampoline_kernelINS0_14default_configENS1_29reduce_by_key_config_selectorIttN6thrust23THRUST_200600_302600_NS4plusItEEEEZZNS1_33reduce_by_key_impl_wrapped_configILNS1_25lookback_scan_determinismE0ES3_S9_NS6_6detail15normal_iteratorINS6_10device_ptrItEEEESG_SG_SG_PmS8_22is_equal_div_10_reduceItEEE10hipError_tPvRmT2_T3_mT4_T5_T6_T7_T8_P12ihipStream_tbENKUlT_T0_E_clISt17integral_constantIbLb0EES11_EEDaSW_SX_EUlSW_E_NS1_11comp_targetILNS1_3genE4ELNS1_11target_archE910ELNS1_3gpuE8ELNS1_3repE0EEENS1_30default_config_static_selectorELNS0_4arch9wavefront6targetE0EEEvT1_
	.p2align	8
	.type	_ZN7rocprim17ROCPRIM_400000_NS6detail17trampoline_kernelINS0_14default_configENS1_29reduce_by_key_config_selectorIttN6thrust23THRUST_200600_302600_NS4plusItEEEEZZNS1_33reduce_by_key_impl_wrapped_configILNS1_25lookback_scan_determinismE0ES3_S9_NS6_6detail15normal_iteratorINS6_10device_ptrItEEEESG_SG_SG_PmS8_22is_equal_div_10_reduceItEEE10hipError_tPvRmT2_T3_mT4_T5_T6_T7_T8_P12ihipStream_tbENKUlT_T0_E_clISt17integral_constantIbLb0EES11_EEDaSW_SX_EUlSW_E_NS1_11comp_targetILNS1_3genE4ELNS1_11target_archE910ELNS1_3gpuE8ELNS1_3repE0EEENS1_30default_config_static_selectorELNS0_4arch9wavefront6targetE0EEEvT1_,@function
_ZN7rocprim17ROCPRIM_400000_NS6detail17trampoline_kernelINS0_14default_configENS1_29reduce_by_key_config_selectorIttN6thrust23THRUST_200600_302600_NS4plusItEEEEZZNS1_33reduce_by_key_impl_wrapped_configILNS1_25lookback_scan_determinismE0ES3_S9_NS6_6detail15normal_iteratorINS6_10device_ptrItEEEESG_SG_SG_PmS8_22is_equal_div_10_reduceItEEE10hipError_tPvRmT2_T3_mT4_T5_T6_T7_T8_P12ihipStream_tbENKUlT_T0_E_clISt17integral_constantIbLb0EES11_EEDaSW_SX_EUlSW_E_NS1_11comp_targetILNS1_3genE4ELNS1_11target_archE910ELNS1_3gpuE8ELNS1_3repE0EEENS1_30default_config_static_selectorELNS0_4arch9wavefront6targetE0EEEvT1_: ; @_ZN7rocprim17ROCPRIM_400000_NS6detail17trampoline_kernelINS0_14default_configENS1_29reduce_by_key_config_selectorIttN6thrust23THRUST_200600_302600_NS4plusItEEEEZZNS1_33reduce_by_key_impl_wrapped_configILNS1_25lookback_scan_determinismE0ES3_S9_NS6_6detail15normal_iteratorINS6_10device_ptrItEEEESG_SG_SG_PmS8_22is_equal_div_10_reduceItEEE10hipError_tPvRmT2_T3_mT4_T5_T6_T7_T8_P12ihipStream_tbENKUlT_T0_E_clISt17integral_constantIbLb0EES11_EEDaSW_SX_EUlSW_E_NS1_11comp_targetILNS1_3genE4ELNS1_11target_archE910ELNS1_3gpuE8ELNS1_3repE0EEENS1_30default_config_static_selectorELNS0_4arch9wavefront6targetE0EEEvT1_
; %bb.0:
	.section	.rodata,"a",@progbits
	.p2align	6, 0x0
	.amdhsa_kernel _ZN7rocprim17ROCPRIM_400000_NS6detail17trampoline_kernelINS0_14default_configENS1_29reduce_by_key_config_selectorIttN6thrust23THRUST_200600_302600_NS4plusItEEEEZZNS1_33reduce_by_key_impl_wrapped_configILNS1_25lookback_scan_determinismE0ES3_S9_NS6_6detail15normal_iteratorINS6_10device_ptrItEEEESG_SG_SG_PmS8_22is_equal_div_10_reduceItEEE10hipError_tPvRmT2_T3_mT4_T5_T6_T7_T8_P12ihipStream_tbENKUlT_T0_E_clISt17integral_constantIbLb0EES11_EEDaSW_SX_EUlSW_E_NS1_11comp_targetILNS1_3genE4ELNS1_11target_archE910ELNS1_3gpuE8ELNS1_3repE0EEENS1_30default_config_static_selectorELNS0_4arch9wavefront6targetE0EEEvT1_
		.amdhsa_group_segment_fixed_size 0
		.amdhsa_private_segment_fixed_size 0
		.amdhsa_kernarg_size 120
		.amdhsa_user_sgpr_count 15
		.amdhsa_user_sgpr_dispatch_ptr 0
		.amdhsa_user_sgpr_queue_ptr 0
		.amdhsa_user_sgpr_kernarg_segment_ptr 1
		.amdhsa_user_sgpr_dispatch_id 0
		.amdhsa_user_sgpr_private_segment_size 0
		.amdhsa_wavefront_size32 1
		.amdhsa_uses_dynamic_stack 0
		.amdhsa_enable_private_segment 0
		.amdhsa_system_sgpr_workgroup_id_x 1
		.amdhsa_system_sgpr_workgroup_id_y 0
		.amdhsa_system_sgpr_workgroup_id_z 0
		.amdhsa_system_sgpr_workgroup_info 0
		.amdhsa_system_vgpr_workitem_id 0
		.amdhsa_next_free_vgpr 1
		.amdhsa_next_free_sgpr 1
		.amdhsa_reserve_vcc 0
		.amdhsa_float_round_mode_32 0
		.amdhsa_float_round_mode_16_64 0
		.amdhsa_float_denorm_mode_32 3
		.amdhsa_float_denorm_mode_16_64 3
		.amdhsa_dx10_clamp 1
		.amdhsa_ieee_mode 1
		.amdhsa_fp16_overflow 0
		.amdhsa_workgroup_processor_mode 1
		.amdhsa_memory_ordered 1
		.amdhsa_forward_progress 0
		.amdhsa_shared_vgpr_count 0
		.amdhsa_exception_fp_ieee_invalid_op 0
		.amdhsa_exception_fp_denorm_src 0
		.amdhsa_exception_fp_ieee_div_zero 0
		.amdhsa_exception_fp_ieee_overflow 0
		.amdhsa_exception_fp_ieee_underflow 0
		.amdhsa_exception_fp_ieee_inexact 0
		.amdhsa_exception_int_div_zero 0
	.end_amdhsa_kernel
	.section	.text._ZN7rocprim17ROCPRIM_400000_NS6detail17trampoline_kernelINS0_14default_configENS1_29reduce_by_key_config_selectorIttN6thrust23THRUST_200600_302600_NS4plusItEEEEZZNS1_33reduce_by_key_impl_wrapped_configILNS1_25lookback_scan_determinismE0ES3_S9_NS6_6detail15normal_iteratorINS6_10device_ptrItEEEESG_SG_SG_PmS8_22is_equal_div_10_reduceItEEE10hipError_tPvRmT2_T3_mT4_T5_T6_T7_T8_P12ihipStream_tbENKUlT_T0_E_clISt17integral_constantIbLb0EES11_EEDaSW_SX_EUlSW_E_NS1_11comp_targetILNS1_3genE4ELNS1_11target_archE910ELNS1_3gpuE8ELNS1_3repE0EEENS1_30default_config_static_selectorELNS0_4arch9wavefront6targetE0EEEvT1_,"axG",@progbits,_ZN7rocprim17ROCPRIM_400000_NS6detail17trampoline_kernelINS0_14default_configENS1_29reduce_by_key_config_selectorIttN6thrust23THRUST_200600_302600_NS4plusItEEEEZZNS1_33reduce_by_key_impl_wrapped_configILNS1_25lookback_scan_determinismE0ES3_S9_NS6_6detail15normal_iteratorINS6_10device_ptrItEEEESG_SG_SG_PmS8_22is_equal_div_10_reduceItEEE10hipError_tPvRmT2_T3_mT4_T5_T6_T7_T8_P12ihipStream_tbENKUlT_T0_E_clISt17integral_constantIbLb0EES11_EEDaSW_SX_EUlSW_E_NS1_11comp_targetILNS1_3genE4ELNS1_11target_archE910ELNS1_3gpuE8ELNS1_3repE0EEENS1_30default_config_static_selectorELNS0_4arch9wavefront6targetE0EEEvT1_,comdat
.Lfunc_end433:
	.size	_ZN7rocprim17ROCPRIM_400000_NS6detail17trampoline_kernelINS0_14default_configENS1_29reduce_by_key_config_selectorIttN6thrust23THRUST_200600_302600_NS4plusItEEEEZZNS1_33reduce_by_key_impl_wrapped_configILNS1_25lookback_scan_determinismE0ES3_S9_NS6_6detail15normal_iteratorINS6_10device_ptrItEEEESG_SG_SG_PmS8_22is_equal_div_10_reduceItEEE10hipError_tPvRmT2_T3_mT4_T5_T6_T7_T8_P12ihipStream_tbENKUlT_T0_E_clISt17integral_constantIbLb0EES11_EEDaSW_SX_EUlSW_E_NS1_11comp_targetILNS1_3genE4ELNS1_11target_archE910ELNS1_3gpuE8ELNS1_3repE0EEENS1_30default_config_static_selectorELNS0_4arch9wavefront6targetE0EEEvT1_, .Lfunc_end433-_ZN7rocprim17ROCPRIM_400000_NS6detail17trampoline_kernelINS0_14default_configENS1_29reduce_by_key_config_selectorIttN6thrust23THRUST_200600_302600_NS4plusItEEEEZZNS1_33reduce_by_key_impl_wrapped_configILNS1_25lookback_scan_determinismE0ES3_S9_NS6_6detail15normal_iteratorINS6_10device_ptrItEEEESG_SG_SG_PmS8_22is_equal_div_10_reduceItEEE10hipError_tPvRmT2_T3_mT4_T5_T6_T7_T8_P12ihipStream_tbENKUlT_T0_E_clISt17integral_constantIbLb0EES11_EEDaSW_SX_EUlSW_E_NS1_11comp_targetILNS1_3genE4ELNS1_11target_archE910ELNS1_3gpuE8ELNS1_3repE0EEENS1_30default_config_static_selectorELNS0_4arch9wavefront6targetE0EEEvT1_
                                        ; -- End function
	.section	.AMDGPU.csdata,"",@progbits
; Kernel info:
; codeLenInByte = 0
; NumSgprs: 0
; NumVgprs: 0
; ScratchSize: 0
; MemoryBound: 0
; FloatMode: 240
; IeeeMode: 1
; LDSByteSize: 0 bytes/workgroup (compile time only)
; SGPRBlocks: 0
; VGPRBlocks: 0
; NumSGPRsForWavesPerEU: 1
; NumVGPRsForWavesPerEU: 1
; Occupancy: 16
; WaveLimiterHint : 0
; COMPUTE_PGM_RSRC2:SCRATCH_EN: 0
; COMPUTE_PGM_RSRC2:USER_SGPR: 15
; COMPUTE_PGM_RSRC2:TRAP_HANDLER: 0
; COMPUTE_PGM_RSRC2:TGID_X_EN: 1
; COMPUTE_PGM_RSRC2:TGID_Y_EN: 0
; COMPUTE_PGM_RSRC2:TGID_Z_EN: 0
; COMPUTE_PGM_RSRC2:TIDIG_COMP_CNT: 0
	.section	.text._ZN7rocprim17ROCPRIM_400000_NS6detail17trampoline_kernelINS0_14default_configENS1_29reduce_by_key_config_selectorIttN6thrust23THRUST_200600_302600_NS4plusItEEEEZZNS1_33reduce_by_key_impl_wrapped_configILNS1_25lookback_scan_determinismE0ES3_S9_NS6_6detail15normal_iteratorINS6_10device_ptrItEEEESG_SG_SG_PmS8_22is_equal_div_10_reduceItEEE10hipError_tPvRmT2_T3_mT4_T5_T6_T7_T8_P12ihipStream_tbENKUlT_T0_E_clISt17integral_constantIbLb0EES11_EEDaSW_SX_EUlSW_E_NS1_11comp_targetILNS1_3genE3ELNS1_11target_archE908ELNS1_3gpuE7ELNS1_3repE0EEENS1_30default_config_static_selectorELNS0_4arch9wavefront6targetE0EEEvT1_,"axG",@progbits,_ZN7rocprim17ROCPRIM_400000_NS6detail17trampoline_kernelINS0_14default_configENS1_29reduce_by_key_config_selectorIttN6thrust23THRUST_200600_302600_NS4plusItEEEEZZNS1_33reduce_by_key_impl_wrapped_configILNS1_25lookback_scan_determinismE0ES3_S9_NS6_6detail15normal_iteratorINS6_10device_ptrItEEEESG_SG_SG_PmS8_22is_equal_div_10_reduceItEEE10hipError_tPvRmT2_T3_mT4_T5_T6_T7_T8_P12ihipStream_tbENKUlT_T0_E_clISt17integral_constantIbLb0EES11_EEDaSW_SX_EUlSW_E_NS1_11comp_targetILNS1_3genE3ELNS1_11target_archE908ELNS1_3gpuE7ELNS1_3repE0EEENS1_30default_config_static_selectorELNS0_4arch9wavefront6targetE0EEEvT1_,comdat
	.protected	_ZN7rocprim17ROCPRIM_400000_NS6detail17trampoline_kernelINS0_14default_configENS1_29reduce_by_key_config_selectorIttN6thrust23THRUST_200600_302600_NS4plusItEEEEZZNS1_33reduce_by_key_impl_wrapped_configILNS1_25lookback_scan_determinismE0ES3_S9_NS6_6detail15normal_iteratorINS6_10device_ptrItEEEESG_SG_SG_PmS8_22is_equal_div_10_reduceItEEE10hipError_tPvRmT2_T3_mT4_T5_T6_T7_T8_P12ihipStream_tbENKUlT_T0_E_clISt17integral_constantIbLb0EES11_EEDaSW_SX_EUlSW_E_NS1_11comp_targetILNS1_3genE3ELNS1_11target_archE908ELNS1_3gpuE7ELNS1_3repE0EEENS1_30default_config_static_selectorELNS0_4arch9wavefront6targetE0EEEvT1_ ; -- Begin function _ZN7rocprim17ROCPRIM_400000_NS6detail17trampoline_kernelINS0_14default_configENS1_29reduce_by_key_config_selectorIttN6thrust23THRUST_200600_302600_NS4plusItEEEEZZNS1_33reduce_by_key_impl_wrapped_configILNS1_25lookback_scan_determinismE0ES3_S9_NS6_6detail15normal_iteratorINS6_10device_ptrItEEEESG_SG_SG_PmS8_22is_equal_div_10_reduceItEEE10hipError_tPvRmT2_T3_mT4_T5_T6_T7_T8_P12ihipStream_tbENKUlT_T0_E_clISt17integral_constantIbLb0EES11_EEDaSW_SX_EUlSW_E_NS1_11comp_targetILNS1_3genE3ELNS1_11target_archE908ELNS1_3gpuE7ELNS1_3repE0EEENS1_30default_config_static_selectorELNS0_4arch9wavefront6targetE0EEEvT1_
	.globl	_ZN7rocprim17ROCPRIM_400000_NS6detail17trampoline_kernelINS0_14default_configENS1_29reduce_by_key_config_selectorIttN6thrust23THRUST_200600_302600_NS4plusItEEEEZZNS1_33reduce_by_key_impl_wrapped_configILNS1_25lookback_scan_determinismE0ES3_S9_NS6_6detail15normal_iteratorINS6_10device_ptrItEEEESG_SG_SG_PmS8_22is_equal_div_10_reduceItEEE10hipError_tPvRmT2_T3_mT4_T5_T6_T7_T8_P12ihipStream_tbENKUlT_T0_E_clISt17integral_constantIbLb0EES11_EEDaSW_SX_EUlSW_E_NS1_11comp_targetILNS1_3genE3ELNS1_11target_archE908ELNS1_3gpuE7ELNS1_3repE0EEENS1_30default_config_static_selectorELNS0_4arch9wavefront6targetE0EEEvT1_
	.p2align	8
	.type	_ZN7rocprim17ROCPRIM_400000_NS6detail17trampoline_kernelINS0_14default_configENS1_29reduce_by_key_config_selectorIttN6thrust23THRUST_200600_302600_NS4plusItEEEEZZNS1_33reduce_by_key_impl_wrapped_configILNS1_25lookback_scan_determinismE0ES3_S9_NS6_6detail15normal_iteratorINS6_10device_ptrItEEEESG_SG_SG_PmS8_22is_equal_div_10_reduceItEEE10hipError_tPvRmT2_T3_mT4_T5_T6_T7_T8_P12ihipStream_tbENKUlT_T0_E_clISt17integral_constantIbLb0EES11_EEDaSW_SX_EUlSW_E_NS1_11comp_targetILNS1_3genE3ELNS1_11target_archE908ELNS1_3gpuE7ELNS1_3repE0EEENS1_30default_config_static_selectorELNS0_4arch9wavefront6targetE0EEEvT1_,@function
_ZN7rocprim17ROCPRIM_400000_NS6detail17trampoline_kernelINS0_14default_configENS1_29reduce_by_key_config_selectorIttN6thrust23THRUST_200600_302600_NS4plusItEEEEZZNS1_33reduce_by_key_impl_wrapped_configILNS1_25lookback_scan_determinismE0ES3_S9_NS6_6detail15normal_iteratorINS6_10device_ptrItEEEESG_SG_SG_PmS8_22is_equal_div_10_reduceItEEE10hipError_tPvRmT2_T3_mT4_T5_T6_T7_T8_P12ihipStream_tbENKUlT_T0_E_clISt17integral_constantIbLb0EES11_EEDaSW_SX_EUlSW_E_NS1_11comp_targetILNS1_3genE3ELNS1_11target_archE908ELNS1_3gpuE7ELNS1_3repE0EEENS1_30default_config_static_selectorELNS0_4arch9wavefront6targetE0EEEvT1_: ; @_ZN7rocprim17ROCPRIM_400000_NS6detail17trampoline_kernelINS0_14default_configENS1_29reduce_by_key_config_selectorIttN6thrust23THRUST_200600_302600_NS4plusItEEEEZZNS1_33reduce_by_key_impl_wrapped_configILNS1_25lookback_scan_determinismE0ES3_S9_NS6_6detail15normal_iteratorINS6_10device_ptrItEEEESG_SG_SG_PmS8_22is_equal_div_10_reduceItEEE10hipError_tPvRmT2_T3_mT4_T5_T6_T7_T8_P12ihipStream_tbENKUlT_T0_E_clISt17integral_constantIbLb0EES11_EEDaSW_SX_EUlSW_E_NS1_11comp_targetILNS1_3genE3ELNS1_11target_archE908ELNS1_3gpuE7ELNS1_3repE0EEENS1_30default_config_static_selectorELNS0_4arch9wavefront6targetE0EEEvT1_
; %bb.0:
	.section	.rodata,"a",@progbits
	.p2align	6, 0x0
	.amdhsa_kernel _ZN7rocprim17ROCPRIM_400000_NS6detail17trampoline_kernelINS0_14default_configENS1_29reduce_by_key_config_selectorIttN6thrust23THRUST_200600_302600_NS4plusItEEEEZZNS1_33reduce_by_key_impl_wrapped_configILNS1_25lookback_scan_determinismE0ES3_S9_NS6_6detail15normal_iteratorINS6_10device_ptrItEEEESG_SG_SG_PmS8_22is_equal_div_10_reduceItEEE10hipError_tPvRmT2_T3_mT4_T5_T6_T7_T8_P12ihipStream_tbENKUlT_T0_E_clISt17integral_constantIbLb0EES11_EEDaSW_SX_EUlSW_E_NS1_11comp_targetILNS1_3genE3ELNS1_11target_archE908ELNS1_3gpuE7ELNS1_3repE0EEENS1_30default_config_static_selectorELNS0_4arch9wavefront6targetE0EEEvT1_
		.amdhsa_group_segment_fixed_size 0
		.amdhsa_private_segment_fixed_size 0
		.amdhsa_kernarg_size 120
		.amdhsa_user_sgpr_count 15
		.amdhsa_user_sgpr_dispatch_ptr 0
		.amdhsa_user_sgpr_queue_ptr 0
		.amdhsa_user_sgpr_kernarg_segment_ptr 1
		.amdhsa_user_sgpr_dispatch_id 0
		.amdhsa_user_sgpr_private_segment_size 0
		.amdhsa_wavefront_size32 1
		.amdhsa_uses_dynamic_stack 0
		.amdhsa_enable_private_segment 0
		.amdhsa_system_sgpr_workgroup_id_x 1
		.amdhsa_system_sgpr_workgroup_id_y 0
		.amdhsa_system_sgpr_workgroup_id_z 0
		.amdhsa_system_sgpr_workgroup_info 0
		.amdhsa_system_vgpr_workitem_id 0
		.amdhsa_next_free_vgpr 1
		.amdhsa_next_free_sgpr 1
		.amdhsa_reserve_vcc 0
		.amdhsa_float_round_mode_32 0
		.amdhsa_float_round_mode_16_64 0
		.amdhsa_float_denorm_mode_32 3
		.amdhsa_float_denorm_mode_16_64 3
		.amdhsa_dx10_clamp 1
		.amdhsa_ieee_mode 1
		.amdhsa_fp16_overflow 0
		.amdhsa_workgroup_processor_mode 1
		.amdhsa_memory_ordered 1
		.amdhsa_forward_progress 0
		.amdhsa_shared_vgpr_count 0
		.amdhsa_exception_fp_ieee_invalid_op 0
		.amdhsa_exception_fp_denorm_src 0
		.amdhsa_exception_fp_ieee_div_zero 0
		.amdhsa_exception_fp_ieee_overflow 0
		.amdhsa_exception_fp_ieee_underflow 0
		.amdhsa_exception_fp_ieee_inexact 0
		.amdhsa_exception_int_div_zero 0
	.end_amdhsa_kernel
	.section	.text._ZN7rocprim17ROCPRIM_400000_NS6detail17trampoline_kernelINS0_14default_configENS1_29reduce_by_key_config_selectorIttN6thrust23THRUST_200600_302600_NS4plusItEEEEZZNS1_33reduce_by_key_impl_wrapped_configILNS1_25lookback_scan_determinismE0ES3_S9_NS6_6detail15normal_iteratorINS6_10device_ptrItEEEESG_SG_SG_PmS8_22is_equal_div_10_reduceItEEE10hipError_tPvRmT2_T3_mT4_T5_T6_T7_T8_P12ihipStream_tbENKUlT_T0_E_clISt17integral_constantIbLb0EES11_EEDaSW_SX_EUlSW_E_NS1_11comp_targetILNS1_3genE3ELNS1_11target_archE908ELNS1_3gpuE7ELNS1_3repE0EEENS1_30default_config_static_selectorELNS0_4arch9wavefront6targetE0EEEvT1_,"axG",@progbits,_ZN7rocprim17ROCPRIM_400000_NS6detail17trampoline_kernelINS0_14default_configENS1_29reduce_by_key_config_selectorIttN6thrust23THRUST_200600_302600_NS4plusItEEEEZZNS1_33reduce_by_key_impl_wrapped_configILNS1_25lookback_scan_determinismE0ES3_S9_NS6_6detail15normal_iteratorINS6_10device_ptrItEEEESG_SG_SG_PmS8_22is_equal_div_10_reduceItEEE10hipError_tPvRmT2_T3_mT4_T5_T6_T7_T8_P12ihipStream_tbENKUlT_T0_E_clISt17integral_constantIbLb0EES11_EEDaSW_SX_EUlSW_E_NS1_11comp_targetILNS1_3genE3ELNS1_11target_archE908ELNS1_3gpuE7ELNS1_3repE0EEENS1_30default_config_static_selectorELNS0_4arch9wavefront6targetE0EEEvT1_,comdat
.Lfunc_end434:
	.size	_ZN7rocprim17ROCPRIM_400000_NS6detail17trampoline_kernelINS0_14default_configENS1_29reduce_by_key_config_selectorIttN6thrust23THRUST_200600_302600_NS4plusItEEEEZZNS1_33reduce_by_key_impl_wrapped_configILNS1_25lookback_scan_determinismE0ES3_S9_NS6_6detail15normal_iteratorINS6_10device_ptrItEEEESG_SG_SG_PmS8_22is_equal_div_10_reduceItEEE10hipError_tPvRmT2_T3_mT4_T5_T6_T7_T8_P12ihipStream_tbENKUlT_T0_E_clISt17integral_constantIbLb0EES11_EEDaSW_SX_EUlSW_E_NS1_11comp_targetILNS1_3genE3ELNS1_11target_archE908ELNS1_3gpuE7ELNS1_3repE0EEENS1_30default_config_static_selectorELNS0_4arch9wavefront6targetE0EEEvT1_, .Lfunc_end434-_ZN7rocprim17ROCPRIM_400000_NS6detail17trampoline_kernelINS0_14default_configENS1_29reduce_by_key_config_selectorIttN6thrust23THRUST_200600_302600_NS4plusItEEEEZZNS1_33reduce_by_key_impl_wrapped_configILNS1_25lookback_scan_determinismE0ES3_S9_NS6_6detail15normal_iteratorINS6_10device_ptrItEEEESG_SG_SG_PmS8_22is_equal_div_10_reduceItEEE10hipError_tPvRmT2_T3_mT4_T5_T6_T7_T8_P12ihipStream_tbENKUlT_T0_E_clISt17integral_constantIbLb0EES11_EEDaSW_SX_EUlSW_E_NS1_11comp_targetILNS1_3genE3ELNS1_11target_archE908ELNS1_3gpuE7ELNS1_3repE0EEENS1_30default_config_static_selectorELNS0_4arch9wavefront6targetE0EEEvT1_
                                        ; -- End function
	.section	.AMDGPU.csdata,"",@progbits
; Kernel info:
; codeLenInByte = 0
; NumSgprs: 0
; NumVgprs: 0
; ScratchSize: 0
; MemoryBound: 0
; FloatMode: 240
; IeeeMode: 1
; LDSByteSize: 0 bytes/workgroup (compile time only)
; SGPRBlocks: 0
; VGPRBlocks: 0
; NumSGPRsForWavesPerEU: 1
; NumVGPRsForWavesPerEU: 1
; Occupancy: 16
; WaveLimiterHint : 0
; COMPUTE_PGM_RSRC2:SCRATCH_EN: 0
; COMPUTE_PGM_RSRC2:USER_SGPR: 15
; COMPUTE_PGM_RSRC2:TRAP_HANDLER: 0
; COMPUTE_PGM_RSRC2:TGID_X_EN: 1
; COMPUTE_PGM_RSRC2:TGID_Y_EN: 0
; COMPUTE_PGM_RSRC2:TGID_Z_EN: 0
; COMPUTE_PGM_RSRC2:TIDIG_COMP_CNT: 0
	.section	.text._ZN7rocprim17ROCPRIM_400000_NS6detail17trampoline_kernelINS0_14default_configENS1_29reduce_by_key_config_selectorIttN6thrust23THRUST_200600_302600_NS4plusItEEEEZZNS1_33reduce_by_key_impl_wrapped_configILNS1_25lookback_scan_determinismE0ES3_S9_NS6_6detail15normal_iteratorINS6_10device_ptrItEEEESG_SG_SG_PmS8_22is_equal_div_10_reduceItEEE10hipError_tPvRmT2_T3_mT4_T5_T6_T7_T8_P12ihipStream_tbENKUlT_T0_E_clISt17integral_constantIbLb0EES11_EEDaSW_SX_EUlSW_E_NS1_11comp_targetILNS1_3genE2ELNS1_11target_archE906ELNS1_3gpuE6ELNS1_3repE0EEENS1_30default_config_static_selectorELNS0_4arch9wavefront6targetE0EEEvT1_,"axG",@progbits,_ZN7rocprim17ROCPRIM_400000_NS6detail17trampoline_kernelINS0_14default_configENS1_29reduce_by_key_config_selectorIttN6thrust23THRUST_200600_302600_NS4plusItEEEEZZNS1_33reduce_by_key_impl_wrapped_configILNS1_25lookback_scan_determinismE0ES3_S9_NS6_6detail15normal_iteratorINS6_10device_ptrItEEEESG_SG_SG_PmS8_22is_equal_div_10_reduceItEEE10hipError_tPvRmT2_T3_mT4_T5_T6_T7_T8_P12ihipStream_tbENKUlT_T0_E_clISt17integral_constantIbLb0EES11_EEDaSW_SX_EUlSW_E_NS1_11comp_targetILNS1_3genE2ELNS1_11target_archE906ELNS1_3gpuE6ELNS1_3repE0EEENS1_30default_config_static_selectorELNS0_4arch9wavefront6targetE0EEEvT1_,comdat
	.protected	_ZN7rocprim17ROCPRIM_400000_NS6detail17trampoline_kernelINS0_14default_configENS1_29reduce_by_key_config_selectorIttN6thrust23THRUST_200600_302600_NS4plusItEEEEZZNS1_33reduce_by_key_impl_wrapped_configILNS1_25lookback_scan_determinismE0ES3_S9_NS6_6detail15normal_iteratorINS6_10device_ptrItEEEESG_SG_SG_PmS8_22is_equal_div_10_reduceItEEE10hipError_tPvRmT2_T3_mT4_T5_T6_T7_T8_P12ihipStream_tbENKUlT_T0_E_clISt17integral_constantIbLb0EES11_EEDaSW_SX_EUlSW_E_NS1_11comp_targetILNS1_3genE2ELNS1_11target_archE906ELNS1_3gpuE6ELNS1_3repE0EEENS1_30default_config_static_selectorELNS0_4arch9wavefront6targetE0EEEvT1_ ; -- Begin function _ZN7rocprim17ROCPRIM_400000_NS6detail17trampoline_kernelINS0_14default_configENS1_29reduce_by_key_config_selectorIttN6thrust23THRUST_200600_302600_NS4plusItEEEEZZNS1_33reduce_by_key_impl_wrapped_configILNS1_25lookback_scan_determinismE0ES3_S9_NS6_6detail15normal_iteratorINS6_10device_ptrItEEEESG_SG_SG_PmS8_22is_equal_div_10_reduceItEEE10hipError_tPvRmT2_T3_mT4_T5_T6_T7_T8_P12ihipStream_tbENKUlT_T0_E_clISt17integral_constantIbLb0EES11_EEDaSW_SX_EUlSW_E_NS1_11comp_targetILNS1_3genE2ELNS1_11target_archE906ELNS1_3gpuE6ELNS1_3repE0EEENS1_30default_config_static_selectorELNS0_4arch9wavefront6targetE0EEEvT1_
	.globl	_ZN7rocprim17ROCPRIM_400000_NS6detail17trampoline_kernelINS0_14default_configENS1_29reduce_by_key_config_selectorIttN6thrust23THRUST_200600_302600_NS4plusItEEEEZZNS1_33reduce_by_key_impl_wrapped_configILNS1_25lookback_scan_determinismE0ES3_S9_NS6_6detail15normal_iteratorINS6_10device_ptrItEEEESG_SG_SG_PmS8_22is_equal_div_10_reduceItEEE10hipError_tPvRmT2_T3_mT4_T5_T6_T7_T8_P12ihipStream_tbENKUlT_T0_E_clISt17integral_constantIbLb0EES11_EEDaSW_SX_EUlSW_E_NS1_11comp_targetILNS1_3genE2ELNS1_11target_archE906ELNS1_3gpuE6ELNS1_3repE0EEENS1_30default_config_static_selectorELNS0_4arch9wavefront6targetE0EEEvT1_
	.p2align	8
	.type	_ZN7rocprim17ROCPRIM_400000_NS6detail17trampoline_kernelINS0_14default_configENS1_29reduce_by_key_config_selectorIttN6thrust23THRUST_200600_302600_NS4plusItEEEEZZNS1_33reduce_by_key_impl_wrapped_configILNS1_25lookback_scan_determinismE0ES3_S9_NS6_6detail15normal_iteratorINS6_10device_ptrItEEEESG_SG_SG_PmS8_22is_equal_div_10_reduceItEEE10hipError_tPvRmT2_T3_mT4_T5_T6_T7_T8_P12ihipStream_tbENKUlT_T0_E_clISt17integral_constantIbLb0EES11_EEDaSW_SX_EUlSW_E_NS1_11comp_targetILNS1_3genE2ELNS1_11target_archE906ELNS1_3gpuE6ELNS1_3repE0EEENS1_30default_config_static_selectorELNS0_4arch9wavefront6targetE0EEEvT1_,@function
_ZN7rocprim17ROCPRIM_400000_NS6detail17trampoline_kernelINS0_14default_configENS1_29reduce_by_key_config_selectorIttN6thrust23THRUST_200600_302600_NS4plusItEEEEZZNS1_33reduce_by_key_impl_wrapped_configILNS1_25lookback_scan_determinismE0ES3_S9_NS6_6detail15normal_iteratorINS6_10device_ptrItEEEESG_SG_SG_PmS8_22is_equal_div_10_reduceItEEE10hipError_tPvRmT2_T3_mT4_T5_T6_T7_T8_P12ihipStream_tbENKUlT_T0_E_clISt17integral_constantIbLb0EES11_EEDaSW_SX_EUlSW_E_NS1_11comp_targetILNS1_3genE2ELNS1_11target_archE906ELNS1_3gpuE6ELNS1_3repE0EEENS1_30default_config_static_selectorELNS0_4arch9wavefront6targetE0EEEvT1_: ; @_ZN7rocprim17ROCPRIM_400000_NS6detail17trampoline_kernelINS0_14default_configENS1_29reduce_by_key_config_selectorIttN6thrust23THRUST_200600_302600_NS4plusItEEEEZZNS1_33reduce_by_key_impl_wrapped_configILNS1_25lookback_scan_determinismE0ES3_S9_NS6_6detail15normal_iteratorINS6_10device_ptrItEEEESG_SG_SG_PmS8_22is_equal_div_10_reduceItEEE10hipError_tPvRmT2_T3_mT4_T5_T6_T7_T8_P12ihipStream_tbENKUlT_T0_E_clISt17integral_constantIbLb0EES11_EEDaSW_SX_EUlSW_E_NS1_11comp_targetILNS1_3genE2ELNS1_11target_archE906ELNS1_3gpuE6ELNS1_3repE0EEENS1_30default_config_static_selectorELNS0_4arch9wavefront6targetE0EEEvT1_
; %bb.0:
	.section	.rodata,"a",@progbits
	.p2align	6, 0x0
	.amdhsa_kernel _ZN7rocprim17ROCPRIM_400000_NS6detail17trampoline_kernelINS0_14default_configENS1_29reduce_by_key_config_selectorIttN6thrust23THRUST_200600_302600_NS4plusItEEEEZZNS1_33reduce_by_key_impl_wrapped_configILNS1_25lookback_scan_determinismE0ES3_S9_NS6_6detail15normal_iteratorINS6_10device_ptrItEEEESG_SG_SG_PmS8_22is_equal_div_10_reduceItEEE10hipError_tPvRmT2_T3_mT4_T5_T6_T7_T8_P12ihipStream_tbENKUlT_T0_E_clISt17integral_constantIbLb0EES11_EEDaSW_SX_EUlSW_E_NS1_11comp_targetILNS1_3genE2ELNS1_11target_archE906ELNS1_3gpuE6ELNS1_3repE0EEENS1_30default_config_static_selectorELNS0_4arch9wavefront6targetE0EEEvT1_
		.amdhsa_group_segment_fixed_size 0
		.amdhsa_private_segment_fixed_size 0
		.amdhsa_kernarg_size 120
		.amdhsa_user_sgpr_count 15
		.amdhsa_user_sgpr_dispatch_ptr 0
		.amdhsa_user_sgpr_queue_ptr 0
		.amdhsa_user_sgpr_kernarg_segment_ptr 1
		.amdhsa_user_sgpr_dispatch_id 0
		.amdhsa_user_sgpr_private_segment_size 0
		.amdhsa_wavefront_size32 1
		.amdhsa_uses_dynamic_stack 0
		.amdhsa_enable_private_segment 0
		.amdhsa_system_sgpr_workgroup_id_x 1
		.amdhsa_system_sgpr_workgroup_id_y 0
		.amdhsa_system_sgpr_workgroup_id_z 0
		.amdhsa_system_sgpr_workgroup_info 0
		.amdhsa_system_vgpr_workitem_id 0
		.amdhsa_next_free_vgpr 1
		.amdhsa_next_free_sgpr 1
		.amdhsa_reserve_vcc 0
		.amdhsa_float_round_mode_32 0
		.amdhsa_float_round_mode_16_64 0
		.amdhsa_float_denorm_mode_32 3
		.amdhsa_float_denorm_mode_16_64 3
		.amdhsa_dx10_clamp 1
		.amdhsa_ieee_mode 1
		.amdhsa_fp16_overflow 0
		.amdhsa_workgroup_processor_mode 1
		.amdhsa_memory_ordered 1
		.amdhsa_forward_progress 0
		.amdhsa_shared_vgpr_count 0
		.amdhsa_exception_fp_ieee_invalid_op 0
		.amdhsa_exception_fp_denorm_src 0
		.amdhsa_exception_fp_ieee_div_zero 0
		.amdhsa_exception_fp_ieee_overflow 0
		.amdhsa_exception_fp_ieee_underflow 0
		.amdhsa_exception_fp_ieee_inexact 0
		.amdhsa_exception_int_div_zero 0
	.end_amdhsa_kernel
	.section	.text._ZN7rocprim17ROCPRIM_400000_NS6detail17trampoline_kernelINS0_14default_configENS1_29reduce_by_key_config_selectorIttN6thrust23THRUST_200600_302600_NS4plusItEEEEZZNS1_33reduce_by_key_impl_wrapped_configILNS1_25lookback_scan_determinismE0ES3_S9_NS6_6detail15normal_iteratorINS6_10device_ptrItEEEESG_SG_SG_PmS8_22is_equal_div_10_reduceItEEE10hipError_tPvRmT2_T3_mT4_T5_T6_T7_T8_P12ihipStream_tbENKUlT_T0_E_clISt17integral_constantIbLb0EES11_EEDaSW_SX_EUlSW_E_NS1_11comp_targetILNS1_3genE2ELNS1_11target_archE906ELNS1_3gpuE6ELNS1_3repE0EEENS1_30default_config_static_selectorELNS0_4arch9wavefront6targetE0EEEvT1_,"axG",@progbits,_ZN7rocprim17ROCPRIM_400000_NS6detail17trampoline_kernelINS0_14default_configENS1_29reduce_by_key_config_selectorIttN6thrust23THRUST_200600_302600_NS4plusItEEEEZZNS1_33reduce_by_key_impl_wrapped_configILNS1_25lookback_scan_determinismE0ES3_S9_NS6_6detail15normal_iteratorINS6_10device_ptrItEEEESG_SG_SG_PmS8_22is_equal_div_10_reduceItEEE10hipError_tPvRmT2_T3_mT4_T5_T6_T7_T8_P12ihipStream_tbENKUlT_T0_E_clISt17integral_constantIbLb0EES11_EEDaSW_SX_EUlSW_E_NS1_11comp_targetILNS1_3genE2ELNS1_11target_archE906ELNS1_3gpuE6ELNS1_3repE0EEENS1_30default_config_static_selectorELNS0_4arch9wavefront6targetE0EEEvT1_,comdat
.Lfunc_end435:
	.size	_ZN7rocprim17ROCPRIM_400000_NS6detail17trampoline_kernelINS0_14default_configENS1_29reduce_by_key_config_selectorIttN6thrust23THRUST_200600_302600_NS4plusItEEEEZZNS1_33reduce_by_key_impl_wrapped_configILNS1_25lookback_scan_determinismE0ES3_S9_NS6_6detail15normal_iteratorINS6_10device_ptrItEEEESG_SG_SG_PmS8_22is_equal_div_10_reduceItEEE10hipError_tPvRmT2_T3_mT4_T5_T6_T7_T8_P12ihipStream_tbENKUlT_T0_E_clISt17integral_constantIbLb0EES11_EEDaSW_SX_EUlSW_E_NS1_11comp_targetILNS1_3genE2ELNS1_11target_archE906ELNS1_3gpuE6ELNS1_3repE0EEENS1_30default_config_static_selectorELNS0_4arch9wavefront6targetE0EEEvT1_, .Lfunc_end435-_ZN7rocprim17ROCPRIM_400000_NS6detail17trampoline_kernelINS0_14default_configENS1_29reduce_by_key_config_selectorIttN6thrust23THRUST_200600_302600_NS4plusItEEEEZZNS1_33reduce_by_key_impl_wrapped_configILNS1_25lookback_scan_determinismE0ES3_S9_NS6_6detail15normal_iteratorINS6_10device_ptrItEEEESG_SG_SG_PmS8_22is_equal_div_10_reduceItEEE10hipError_tPvRmT2_T3_mT4_T5_T6_T7_T8_P12ihipStream_tbENKUlT_T0_E_clISt17integral_constantIbLb0EES11_EEDaSW_SX_EUlSW_E_NS1_11comp_targetILNS1_3genE2ELNS1_11target_archE906ELNS1_3gpuE6ELNS1_3repE0EEENS1_30default_config_static_selectorELNS0_4arch9wavefront6targetE0EEEvT1_
                                        ; -- End function
	.section	.AMDGPU.csdata,"",@progbits
; Kernel info:
; codeLenInByte = 0
; NumSgprs: 0
; NumVgprs: 0
; ScratchSize: 0
; MemoryBound: 0
; FloatMode: 240
; IeeeMode: 1
; LDSByteSize: 0 bytes/workgroup (compile time only)
; SGPRBlocks: 0
; VGPRBlocks: 0
; NumSGPRsForWavesPerEU: 1
; NumVGPRsForWavesPerEU: 1
; Occupancy: 16
; WaveLimiterHint : 0
; COMPUTE_PGM_RSRC2:SCRATCH_EN: 0
; COMPUTE_PGM_RSRC2:USER_SGPR: 15
; COMPUTE_PGM_RSRC2:TRAP_HANDLER: 0
; COMPUTE_PGM_RSRC2:TGID_X_EN: 1
; COMPUTE_PGM_RSRC2:TGID_Y_EN: 0
; COMPUTE_PGM_RSRC2:TGID_Z_EN: 0
; COMPUTE_PGM_RSRC2:TIDIG_COMP_CNT: 0
	.section	.text._ZN7rocprim17ROCPRIM_400000_NS6detail17trampoline_kernelINS0_14default_configENS1_29reduce_by_key_config_selectorIttN6thrust23THRUST_200600_302600_NS4plusItEEEEZZNS1_33reduce_by_key_impl_wrapped_configILNS1_25lookback_scan_determinismE0ES3_S9_NS6_6detail15normal_iteratorINS6_10device_ptrItEEEESG_SG_SG_PmS8_22is_equal_div_10_reduceItEEE10hipError_tPvRmT2_T3_mT4_T5_T6_T7_T8_P12ihipStream_tbENKUlT_T0_E_clISt17integral_constantIbLb0EES11_EEDaSW_SX_EUlSW_E_NS1_11comp_targetILNS1_3genE10ELNS1_11target_archE1201ELNS1_3gpuE5ELNS1_3repE0EEENS1_30default_config_static_selectorELNS0_4arch9wavefront6targetE0EEEvT1_,"axG",@progbits,_ZN7rocprim17ROCPRIM_400000_NS6detail17trampoline_kernelINS0_14default_configENS1_29reduce_by_key_config_selectorIttN6thrust23THRUST_200600_302600_NS4plusItEEEEZZNS1_33reduce_by_key_impl_wrapped_configILNS1_25lookback_scan_determinismE0ES3_S9_NS6_6detail15normal_iteratorINS6_10device_ptrItEEEESG_SG_SG_PmS8_22is_equal_div_10_reduceItEEE10hipError_tPvRmT2_T3_mT4_T5_T6_T7_T8_P12ihipStream_tbENKUlT_T0_E_clISt17integral_constantIbLb0EES11_EEDaSW_SX_EUlSW_E_NS1_11comp_targetILNS1_3genE10ELNS1_11target_archE1201ELNS1_3gpuE5ELNS1_3repE0EEENS1_30default_config_static_selectorELNS0_4arch9wavefront6targetE0EEEvT1_,comdat
	.protected	_ZN7rocprim17ROCPRIM_400000_NS6detail17trampoline_kernelINS0_14default_configENS1_29reduce_by_key_config_selectorIttN6thrust23THRUST_200600_302600_NS4plusItEEEEZZNS1_33reduce_by_key_impl_wrapped_configILNS1_25lookback_scan_determinismE0ES3_S9_NS6_6detail15normal_iteratorINS6_10device_ptrItEEEESG_SG_SG_PmS8_22is_equal_div_10_reduceItEEE10hipError_tPvRmT2_T3_mT4_T5_T6_T7_T8_P12ihipStream_tbENKUlT_T0_E_clISt17integral_constantIbLb0EES11_EEDaSW_SX_EUlSW_E_NS1_11comp_targetILNS1_3genE10ELNS1_11target_archE1201ELNS1_3gpuE5ELNS1_3repE0EEENS1_30default_config_static_selectorELNS0_4arch9wavefront6targetE0EEEvT1_ ; -- Begin function _ZN7rocprim17ROCPRIM_400000_NS6detail17trampoline_kernelINS0_14default_configENS1_29reduce_by_key_config_selectorIttN6thrust23THRUST_200600_302600_NS4plusItEEEEZZNS1_33reduce_by_key_impl_wrapped_configILNS1_25lookback_scan_determinismE0ES3_S9_NS6_6detail15normal_iteratorINS6_10device_ptrItEEEESG_SG_SG_PmS8_22is_equal_div_10_reduceItEEE10hipError_tPvRmT2_T3_mT4_T5_T6_T7_T8_P12ihipStream_tbENKUlT_T0_E_clISt17integral_constantIbLb0EES11_EEDaSW_SX_EUlSW_E_NS1_11comp_targetILNS1_3genE10ELNS1_11target_archE1201ELNS1_3gpuE5ELNS1_3repE0EEENS1_30default_config_static_selectorELNS0_4arch9wavefront6targetE0EEEvT1_
	.globl	_ZN7rocprim17ROCPRIM_400000_NS6detail17trampoline_kernelINS0_14default_configENS1_29reduce_by_key_config_selectorIttN6thrust23THRUST_200600_302600_NS4plusItEEEEZZNS1_33reduce_by_key_impl_wrapped_configILNS1_25lookback_scan_determinismE0ES3_S9_NS6_6detail15normal_iteratorINS6_10device_ptrItEEEESG_SG_SG_PmS8_22is_equal_div_10_reduceItEEE10hipError_tPvRmT2_T3_mT4_T5_T6_T7_T8_P12ihipStream_tbENKUlT_T0_E_clISt17integral_constantIbLb0EES11_EEDaSW_SX_EUlSW_E_NS1_11comp_targetILNS1_3genE10ELNS1_11target_archE1201ELNS1_3gpuE5ELNS1_3repE0EEENS1_30default_config_static_selectorELNS0_4arch9wavefront6targetE0EEEvT1_
	.p2align	8
	.type	_ZN7rocprim17ROCPRIM_400000_NS6detail17trampoline_kernelINS0_14default_configENS1_29reduce_by_key_config_selectorIttN6thrust23THRUST_200600_302600_NS4plusItEEEEZZNS1_33reduce_by_key_impl_wrapped_configILNS1_25lookback_scan_determinismE0ES3_S9_NS6_6detail15normal_iteratorINS6_10device_ptrItEEEESG_SG_SG_PmS8_22is_equal_div_10_reduceItEEE10hipError_tPvRmT2_T3_mT4_T5_T6_T7_T8_P12ihipStream_tbENKUlT_T0_E_clISt17integral_constantIbLb0EES11_EEDaSW_SX_EUlSW_E_NS1_11comp_targetILNS1_3genE10ELNS1_11target_archE1201ELNS1_3gpuE5ELNS1_3repE0EEENS1_30default_config_static_selectorELNS0_4arch9wavefront6targetE0EEEvT1_,@function
_ZN7rocprim17ROCPRIM_400000_NS6detail17trampoline_kernelINS0_14default_configENS1_29reduce_by_key_config_selectorIttN6thrust23THRUST_200600_302600_NS4plusItEEEEZZNS1_33reduce_by_key_impl_wrapped_configILNS1_25lookback_scan_determinismE0ES3_S9_NS6_6detail15normal_iteratorINS6_10device_ptrItEEEESG_SG_SG_PmS8_22is_equal_div_10_reduceItEEE10hipError_tPvRmT2_T3_mT4_T5_T6_T7_T8_P12ihipStream_tbENKUlT_T0_E_clISt17integral_constantIbLb0EES11_EEDaSW_SX_EUlSW_E_NS1_11comp_targetILNS1_3genE10ELNS1_11target_archE1201ELNS1_3gpuE5ELNS1_3repE0EEENS1_30default_config_static_selectorELNS0_4arch9wavefront6targetE0EEEvT1_: ; @_ZN7rocprim17ROCPRIM_400000_NS6detail17trampoline_kernelINS0_14default_configENS1_29reduce_by_key_config_selectorIttN6thrust23THRUST_200600_302600_NS4plusItEEEEZZNS1_33reduce_by_key_impl_wrapped_configILNS1_25lookback_scan_determinismE0ES3_S9_NS6_6detail15normal_iteratorINS6_10device_ptrItEEEESG_SG_SG_PmS8_22is_equal_div_10_reduceItEEE10hipError_tPvRmT2_T3_mT4_T5_T6_T7_T8_P12ihipStream_tbENKUlT_T0_E_clISt17integral_constantIbLb0EES11_EEDaSW_SX_EUlSW_E_NS1_11comp_targetILNS1_3genE10ELNS1_11target_archE1201ELNS1_3gpuE5ELNS1_3repE0EEENS1_30default_config_static_selectorELNS0_4arch9wavefront6targetE0EEEvT1_
; %bb.0:
	.section	.rodata,"a",@progbits
	.p2align	6, 0x0
	.amdhsa_kernel _ZN7rocprim17ROCPRIM_400000_NS6detail17trampoline_kernelINS0_14default_configENS1_29reduce_by_key_config_selectorIttN6thrust23THRUST_200600_302600_NS4plusItEEEEZZNS1_33reduce_by_key_impl_wrapped_configILNS1_25lookback_scan_determinismE0ES3_S9_NS6_6detail15normal_iteratorINS6_10device_ptrItEEEESG_SG_SG_PmS8_22is_equal_div_10_reduceItEEE10hipError_tPvRmT2_T3_mT4_T5_T6_T7_T8_P12ihipStream_tbENKUlT_T0_E_clISt17integral_constantIbLb0EES11_EEDaSW_SX_EUlSW_E_NS1_11comp_targetILNS1_3genE10ELNS1_11target_archE1201ELNS1_3gpuE5ELNS1_3repE0EEENS1_30default_config_static_selectorELNS0_4arch9wavefront6targetE0EEEvT1_
		.amdhsa_group_segment_fixed_size 0
		.amdhsa_private_segment_fixed_size 0
		.amdhsa_kernarg_size 120
		.amdhsa_user_sgpr_count 15
		.amdhsa_user_sgpr_dispatch_ptr 0
		.amdhsa_user_sgpr_queue_ptr 0
		.amdhsa_user_sgpr_kernarg_segment_ptr 1
		.amdhsa_user_sgpr_dispatch_id 0
		.amdhsa_user_sgpr_private_segment_size 0
		.amdhsa_wavefront_size32 1
		.amdhsa_uses_dynamic_stack 0
		.amdhsa_enable_private_segment 0
		.amdhsa_system_sgpr_workgroup_id_x 1
		.amdhsa_system_sgpr_workgroup_id_y 0
		.amdhsa_system_sgpr_workgroup_id_z 0
		.amdhsa_system_sgpr_workgroup_info 0
		.amdhsa_system_vgpr_workitem_id 0
		.amdhsa_next_free_vgpr 1
		.amdhsa_next_free_sgpr 1
		.amdhsa_reserve_vcc 0
		.amdhsa_float_round_mode_32 0
		.amdhsa_float_round_mode_16_64 0
		.amdhsa_float_denorm_mode_32 3
		.amdhsa_float_denorm_mode_16_64 3
		.amdhsa_dx10_clamp 1
		.amdhsa_ieee_mode 1
		.amdhsa_fp16_overflow 0
		.amdhsa_workgroup_processor_mode 1
		.amdhsa_memory_ordered 1
		.amdhsa_forward_progress 0
		.amdhsa_shared_vgpr_count 0
		.amdhsa_exception_fp_ieee_invalid_op 0
		.amdhsa_exception_fp_denorm_src 0
		.amdhsa_exception_fp_ieee_div_zero 0
		.amdhsa_exception_fp_ieee_overflow 0
		.amdhsa_exception_fp_ieee_underflow 0
		.amdhsa_exception_fp_ieee_inexact 0
		.amdhsa_exception_int_div_zero 0
	.end_amdhsa_kernel
	.section	.text._ZN7rocprim17ROCPRIM_400000_NS6detail17trampoline_kernelINS0_14default_configENS1_29reduce_by_key_config_selectorIttN6thrust23THRUST_200600_302600_NS4plusItEEEEZZNS1_33reduce_by_key_impl_wrapped_configILNS1_25lookback_scan_determinismE0ES3_S9_NS6_6detail15normal_iteratorINS6_10device_ptrItEEEESG_SG_SG_PmS8_22is_equal_div_10_reduceItEEE10hipError_tPvRmT2_T3_mT4_T5_T6_T7_T8_P12ihipStream_tbENKUlT_T0_E_clISt17integral_constantIbLb0EES11_EEDaSW_SX_EUlSW_E_NS1_11comp_targetILNS1_3genE10ELNS1_11target_archE1201ELNS1_3gpuE5ELNS1_3repE0EEENS1_30default_config_static_selectorELNS0_4arch9wavefront6targetE0EEEvT1_,"axG",@progbits,_ZN7rocprim17ROCPRIM_400000_NS6detail17trampoline_kernelINS0_14default_configENS1_29reduce_by_key_config_selectorIttN6thrust23THRUST_200600_302600_NS4plusItEEEEZZNS1_33reduce_by_key_impl_wrapped_configILNS1_25lookback_scan_determinismE0ES3_S9_NS6_6detail15normal_iteratorINS6_10device_ptrItEEEESG_SG_SG_PmS8_22is_equal_div_10_reduceItEEE10hipError_tPvRmT2_T3_mT4_T5_T6_T7_T8_P12ihipStream_tbENKUlT_T0_E_clISt17integral_constantIbLb0EES11_EEDaSW_SX_EUlSW_E_NS1_11comp_targetILNS1_3genE10ELNS1_11target_archE1201ELNS1_3gpuE5ELNS1_3repE0EEENS1_30default_config_static_selectorELNS0_4arch9wavefront6targetE0EEEvT1_,comdat
.Lfunc_end436:
	.size	_ZN7rocprim17ROCPRIM_400000_NS6detail17trampoline_kernelINS0_14default_configENS1_29reduce_by_key_config_selectorIttN6thrust23THRUST_200600_302600_NS4plusItEEEEZZNS1_33reduce_by_key_impl_wrapped_configILNS1_25lookback_scan_determinismE0ES3_S9_NS6_6detail15normal_iteratorINS6_10device_ptrItEEEESG_SG_SG_PmS8_22is_equal_div_10_reduceItEEE10hipError_tPvRmT2_T3_mT4_T5_T6_T7_T8_P12ihipStream_tbENKUlT_T0_E_clISt17integral_constantIbLb0EES11_EEDaSW_SX_EUlSW_E_NS1_11comp_targetILNS1_3genE10ELNS1_11target_archE1201ELNS1_3gpuE5ELNS1_3repE0EEENS1_30default_config_static_selectorELNS0_4arch9wavefront6targetE0EEEvT1_, .Lfunc_end436-_ZN7rocprim17ROCPRIM_400000_NS6detail17trampoline_kernelINS0_14default_configENS1_29reduce_by_key_config_selectorIttN6thrust23THRUST_200600_302600_NS4plusItEEEEZZNS1_33reduce_by_key_impl_wrapped_configILNS1_25lookback_scan_determinismE0ES3_S9_NS6_6detail15normal_iteratorINS6_10device_ptrItEEEESG_SG_SG_PmS8_22is_equal_div_10_reduceItEEE10hipError_tPvRmT2_T3_mT4_T5_T6_T7_T8_P12ihipStream_tbENKUlT_T0_E_clISt17integral_constantIbLb0EES11_EEDaSW_SX_EUlSW_E_NS1_11comp_targetILNS1_3genE10ELNS1_11target_archE1201ELNS1_3gpuE5ELNS1_3repE0EEENS1_30default_config_static_selectorELNS0_4arch9wavefront6targetE0EEEvT1_
                                        ; -- End function
	.section	.AMDGPU.csdata,"",@progbits
; Kernel info:
; codeLenInByte = 0
; NumSgprs: 0
; NumVgprs: 0
; ScratchSize: 0
; MemoryBound: 0
; FloatMode: 240
; IeeeMode: 1
; LDSByteSize: 0 bytes/workgroup (compile time only)
; SGPRBlocks: 0
; VGPRBlocks: 0
; NumSGPRsForWavesPerEU: 1
; NumVGPRsForWavesPerEU: 1
; Occupancy: 16
; WaveLimiterHint : 0
; COMPUTE_PGM_RSRC2:SCRATCH_EN: 0
; COMPUTE_PGM_RSRC2:USER_SGPR: 15
; COMPUTE_PGM_RSRC2:TRAP_HANDLER: 0
; COMPUTE_PGM_RSRC2:TGID_X_EN: 1
; COMPUTE_PGM_RSRC2:TGID_Y_EN: 0
; COMPUTE_PGM_RSRC2:TGID_Z_EN: 0
; COMPUTE_PGM_RSRC2:TIDIG_COMP_CNT: 0
	.section	.text._ZN7rocprim17ROCPRIM_400000_NS6detail17trampoline_kernelINS0_14default_configENS1_29reduce_by_key_config_selectorIttN6thrust23THRUST_200600_302600_NS4plusItEEEEZZNS1_33reduce_by_key_impl_wrapped_configILNS1_25lookback_scan_determinismE0ES3_S9_NS6_6detail15normal_iteratorINS6_10device_ptrItEEEESG_SG_SG_PmS8_22is_equal_div_10_reduceItEEE10hipError_tPvRmT2_T3_mT4_T5_T6_T7_T8_P12ihipStream_tbENKUlT_T0_E_clISt17integral_constantIbLb0EES11_EEDaSW_SX_EUlSW_E_NS1_11comp_targetILNS1_3genE10ELNS1_11target_archE1200ELNS1_3gpuE4ELNS1_3repE0EEENS1_30default_config_static_selectorELNS0_4arch9wavefront6targetE0EEEvT1_,"axG",@progbits,_ZN7rocprim17ROCPRIM_400000_NS6detail17trampoline_kernelINS0_14default_configENS1_29reduce_by_key_config_selectorIttN6thrust23THRUST_200600_302600_NS4plusItEEEEZZNS1_33reduce_by_key_impl_wrapped_configILNS1_25lookback_scan_determinismE0ES3_S9_NS6_6detail15normal_iteratorINS6_10device_ptrItEEEESG_SG_SG_PmS8_22is_equal_div_10_reduceItEEE10hipError_tPvRmT2_T3_mT4_T5_T6_T7_T8_P12ihipStream_tbENKUlT_T0_E_clISt17integral_constantIbLb0EES11_EEDaSW_SX_EUlSW_E_NS1_11comp_targetILNS1_3genE10ELNS1_11target_archE1200ELNS1_3gpuE4ELNS1_3repE0EEENS1_30default_config_static_selectorELNS0_4arch9wavefront6targetE0EEEvT1_,comdat
	.protected	_ZN7rocprim17ROCPRIM_400000_NS6detail17trampoline_kernelINS0_14default_configENS1_29reduce_by_key_config_selectorIttN6thrust23THRUST_200600_302600_NS4plusItEEEEZZNS1_33reduce_by_key_impl_wrapped_configILNS1_25lookback_scan_determinismE0ES3_S9_NS6_6detail15normal_iteratorINS6_10device_ptrItEEEESG_SG_SG_PmS8_22is_equal_div_10_reduceItEEE10hipError_tPvRmT2_T3_mT4_T5_T6_T7_T8_P12ihipStream_tbENKUlT_T0_E_clISt17integral_constantIbLb0EES11_EEDaSW_SX_EUlSW_E_NS1_11comp_targetILNS1_3genE10ELNS1_11target_archE1200ELNS1_3gpuE4ELNS1_3repE0EEENS1_30default_config_static_selectorELNS0_4arch9wavefront6targetE0EEEvT1_ ; -- Begin function _ZN7rocprim17ROCPRIM_400000_NS6detail17trampoline_kernelINS0_14default_configENS1_29reduce_by_key_config_selectorIttN6thrust23THRUST_200600_302600_NS4plusItEEEEZZNS1_33reduce_by_key_impl_wrapped_configILNS1_25lookback_scan_determinismE0ES3_S9_NS6_6detail15normal_iteratorINS6_10device_ptrItEEEESG_SG_SG_PmS8_22is_equal_div_10_reduceItEEE10hipError_tPvRmT2_T3_mT4_T5_T6_T7_T8_P12ihipStream_tbENKUlT_T0_E_clISt17integral_constantIbLb0EES11_EEDaSW_SX_EUlSW_E_NS1_11comp_targetILNS1_3genE10ELNS1_11target_archE1200ELNS1_3gpuE4ELNS1_3repE0EEENS1_30default_config_static_selectorELNS0_4arch9wavefront6targetE0EEEvT1_
	.globl	_ZN7rocprim17ROCPRIM_400000_NS6detail17trampoline_kernelINS0_14default_configENS1_29reduce_by_key_config_selectorIttN6thrust23THRUST_200600_302600_NS4plusItEEEEZZNS1_33reduce_by_key_impl_wrapped_configILNS1_25lookback_scan_determinismE0ES3_S9_NS6_6detail15normal_iteratorINS6_10device_ptrItEEEESG_SG_SG_PmS8_22is_equal_div_10_reduceItEEE10hipError_tPvRmT2_T3_mT4_T5_T6_T7_T8_P12ihipStream_tbENKUlT_T0_E_clISt17integral_constantIbLb0EES11_EEDaSW_SX_EUlSW_E_NS1_11comp_targetILNS1_3genE10ELNS1_11target_archE1200ELNS1_3gpuE4ELNS1_3repE0EEENS1_30default_config_static_selectorELNS0_4arch9wavefront6targetE0EEEvT1_
	.p2align	8
	.type	_ZN7rocprim17ROCPRIM_400000_NS6detail17trampoline_kernelINS0_14default_configENS1_29reduce_by_key_config_selectorIttN6thrust23THRUST_200600_302600_NS4plusItEEEEZZNS1_33reduce_by_key_impl_wrapped_configILNS1_25lookback_scan_determinismE0ES3_S9_NS6_6detail15normal_iteratorINS6_10device_ptrItEEEESG_SG_SG_PmS8_22is_equal_div_10_reduceItEEE10hipError_tPvRmT2_T3_mT4_T5_T6_T7_T8_P12ihipStream_tbENKUlT_T0_E_clISt17integral_constantIbLb0EES11_EEDaSW_SX_EUlSW_E_NS1_11comp_targetILNS1_3genE10ELNS1_11target_archE1200ELNS1_3gpuE4ELNS1_3repE0EEENS1_30default_config_static_selectorELNS0_4arch9wavefront6targetE0EEEvT1_,@function
_ZN7rocprim17ROCPRIM_400000_NS6detail17trampoline_kernelINS0_14default_configENS1_29reduce_by_key_config_selectorIttN6thrust23THRUST_200600_302600_NS4plusItEEEEZZNS1_33reduce_by_key_impl_wrapped_configILNS1_25lookback_scan_determinismE0ES3_S9_NS6_6detail15normal_iteratorINS6_10device_ptrItEEEESG_SG_SG_PmS8_22is_equal_div_10_reduceItEEE10hipError_tPvRmT2_T3_mT4_T5_T6_T7_T8_P12ihipStream_tbENKUlT_T0_E_clISt17integral_constantIbLb0EES11_EEDaSW_SX_EUlSW_E_NS1_11comp_targetILNS1_3genE10ELNS1_11target_archE1200ELNS1_3gpuE4ELNS1_3repE0EEENS1_30default_config_static_selectorELNS0_4arch9wavefront6targetE0EEEvT1_: ; @_ZN7rocprim17ROCPRIM_400000_NS6detail17trampoline_kernelINS0_14default_configENS1_29reduce_by_key_config_selectorIttN6thrust23THRUST_200600_302600_NS4plusItEEEEZZNS1_33reduce_by_key_impl_wrapped_configILNS1_25lookback_scan_determinismE0ES3_S9_NS6_6detail15normal_iteratorINS6_10device_ptrItEEEESG_SG_SG_PmS8_22is_equal_div_10_reduceItEEE10hipError_tPvRmT2_T3_mT4_T5_T6_T7_T8_P12ihipStream_tbENKUlT_T0_E_clISt17integral_constantIbLb0EES11_EEDaSW_SX_EUlSW_E_NS1_11comp_targetILNS1_3genE10ELNS1_11target_archE1200ELNS1_3gpuE4ELNS1_3repE0EEENS1_30default_config_static_selectorELNS0_4arch9wavefront6targetE0EEEvT1_
; %bb.0:
	.section	.rodata,"a",@progbits
	.p2align	6, 0x0
	.amdhsa_kernel _ZN7rocprim17ROCPRIM_400000_NS6detail17trampoline_kernelINS0_14default_configENS1_29reduce_by_key_config_selectorIttN6thrust23THRUST_200600_302600_NS4plusItEEEEZZNS1_33reduce_by_key_impl_wrapped_configILNS1_25lookback_scan_determinismE0ES3_S9_NS6_6detail15normal_iteratorINS6_10device_ptrItEEEESG_SG_SG_PmS8_22is_equal_div_10_reduceItEEE10hipError_tPvRmT2_T3_mT4_T5_T6_T7_T8_P12ihipStream_tbENKUlT_T0_E_clISt17integral_constantIbLb0EES11_EEDaSW_SX_EUlSW_E_NS1_11comp_targetILNS1_3genE10ELNS1_11target_archE1200ELNS1_3gpuE4ELNS1_3repE0EEENS1_30default_config_static_selectorELNS0_4arch9wavefront6targetE0EEEvT1_
		.amdhsa_group_segment_fixed_size 0
		.amdhsa_private_segment_fixed_size 0
		.amdhsa_kernarg_size 120
		.amdhsa_user_sgpr_count 15
		.amdhsa_user_sgpr_dispatch_ptr 0
		.amdhsa_user_sgpr_queue_ptr 0
		.amdhsa_user_sgpr_kernarg_segment_ptr 1
		.amdhsa_user_sgpr_dispatch_id 0
		.amdhsa_user_sgpr_private_segment_size 0
		.amdhsa_wavefront_size32 1
		.amdhsa_uses_dynamic_stack 0
		.amdhsa_enable_private_segment 0
		.amdhsa_system_sgpr_workgroup_id_x 1
		.amdhsa_system_sgpr_workgroup_id_y 0
		.amdhsa_system_sgpr_workgroup_id_z 0
		.amdhsa_system_sgpr_workgroup_info 0
		.amdhsa_system_vgpr_workitem_id 0
		.amdhsa_next_free_vgpr 1
		.amdhsa_next_free_sgpr 1
		.amdhsa_reserve_vcc 0
		.amdhsa_float_round_mode_32 0
		.amdhsa_float_round_mode_16_64 0
		.amdhsa_float_denorm_mode_32 3
		.amdhsa_float_denorm_mode_16_64 3
		.amdhsa_dx10_clamp 1
		.amdhsa_ieee_mode 1
		.amdhsa_fp16_overflow 0
		.amdhsa_workgroup_processor_mode 1
		.amdhsa_memory_ordered 1
		.amdhsa_forward_progress 0
		.amdhsa_shared_vgpr_count 0
		.amdhsa_exception_fp_ieee_invalid_op 0
		.amdhsa_exception_fp_denorm_src 0
		.amdhsa_exception_fp_ieee_div_zero 0
		.amdhsa_exception_fp_ieee_overflow 0
		.amdhsa_exception_fp_ieee_underflow 0
		.amdhsa_exception_fp_ieee_inexact 0
		.amdhsa_exception_int_div_zero 0
	.end_amdhsa_kernel
	.section	.text._ZN7rocprim17ROCPRIM_400000_NS6detail17trampoline_kernelINS0_14default_configENS1_29reduce_by_key_config_selectorIttN6thrust23THRUST_200600_302600_NS4plusItEEEEZZNS1_33reduce_by_key_impl_wrapped_configILNS1_25lookback_scan_determinismE0ES3_S9_NS6_6detail15normal_iteratorINS6_10device_ptrItEEEESG_SG_SG_PmS8_22is_equal_div_10_reduceItEEE10hipError_tPvRmT2_T3_mT4_T5_T6_T7_T8_P12ihipStream_tbENKUlT_T0_E_clISt17integral_constantIbLb0EES11_EEDaSW_SX_EUlSW_E_NS1_11comp_targetILNS1_3genE10ELNS1_11target_archE1200ELNS1_3gpuE4ELNS1_3repE0EEENS1_30default_config_static_selectorELNS0_4arch9wavefront6targetE0EEEvT1_,"axG",@progbits,_ZN7rocprim17ROCPRIM_400000_NS6detail17trampoline_kernelINS0_14default_configENS1_29reduce_by_key_config_selectorIttN6thrust23THRUST_200600_302600_NS4plusItEEEEZZNS1_33reduce_by_key_impl_wrapped_configILNS1_25lookback_scan_determinismE0ES3_S9_NS6_6detail15normal_iteratorINS6_10device_ptrItEEEESG_SG_SG_PmS8_22is_equal_div_10_reduceItEEE10hipError_tPvRmT2_T3_mT4_T5_T6_T7_T8_P12ihipStream_tbENKUlT_T0_E_clISt17integral_constantIbLb0EES11_EEDaSW_SX_EUlSW_E_NS1_11comp_targetILNS1_3genE10ELNS1_11target_archE1200ELNS1_3gpuE4ELNS1_3repE0EEENS1_30default_config_static_selectorELNS0_4arch9wavefront6targetE0EEEvT1_,comdat
.Lfunc_end437:
	.size	_ZN7rocprim17ROCPRIM_400000_NS6detail17trampoline_kernelINS0_14default_configENS1_29reduce_by_key_config_selectorIttN6thrust23THRUST_200600_302600_NS4plusItEEEEZZNS1_33reduce_by_key_impl_wrapped_configILNS1_25lookback_scan_determinismE0ES3_S9_NS6_6detail15normal_iteratorINS6_10device_ptrItEEEESG_SG_SG_PmS8_22is_equal_div_10_reduceItEEE10hipError_tPvRmT2_T3_mT4_T5_T6_T7_T8_P12ihipStream_tbENKUlT_T0_E_clISt17integral_constantIbLb0EES11_EEDaSW_SX_EUlSW_E_NS1_11comp_targetILNS1_3genE10ELNS1_11target_archE1200ELNS1_3gpuE4ELNS1_3repE0EEENS1_30default_config_static_selectorELNS0_4arch9wavefront6targetE0EEEvT1_, .Lfunc_end437-_ZN7rocprim17ROCPRIM_400000_NS6detail17trampoline_kernelINS0_14default_configENS1_29reduce_by_key_config_selectorIttN6thrust23THRUST_200600_302600_NS4plusItEEEEZZNS1_33reduce_by_key_impl_wrapped_configILNS1_25lookback_scan_determinismE0ES3_S9_NS6_6detail15normal_iteratorINS6_10device_ptrItEEEESG_SG_SG_PmS8_22is_equal_div_10_reduceItEEE10hipError_tPvRmT2_T3_mT4_T5_T6_T7_T8_P12ihipStream_tbENKUlT_T0_E_clISt17integral_constantIbLb0EES11_EEDaSW_SX_EUlSW_E_NS1_11comp_targetILNS1_3genE10ELNS1_11target_archE1200ELNS1_3gpuE4ELNS1_3repE0EEENS1_30default_config_static_selectorELNS0_4arch9wavefront6targetE0EEEvT1_
                                        ; -- End function
	.section	.AMDGPU.csdata,"",@progbits
; Kernel info:
; codeLenInByte = 0
; NumSgprs: 0
; NumVgprs: 0
; ScratchSize: 0
; MemoryBound: 0
; FloatMode: 240
; IeeeMode: 1
; LDSByteSize: 0 bytes/workgroup (compile time only)
; SGPRBlocks: 0
; VGPRBlocks: 0
; NumSGPRsForWavesPerEU: 1
; NumVGPRsForWavesPerEU: 1
; Occupancy: 16
; WaveLimiterHint : 0
; COMPUTE_PGM_RSRC2:SCRATCH_EN: 0
; COMPUTE_PGM_RSRC2:USER_SGPR: 15
; COMPUTE_PGM_RSRC2:TRAP_HANDLER: 0
; COMPUTE_PGM_RSRC2:TGID_X_EN: 1
; COMPUTE_PGM_RSRC2:TGID_Y_EN: 0
; COMPUTE_PGM_RSRC2:TGID_Z_EN: 0
; COMPUTE_PGM_RSRC2:TIDIG_COMP_CNT: 0
	.section	.text._ZN7rocprim17ROCPRIM_400000_NS6detail17trampoline_kernelINS0_14default_configENS1_29reduce_by_key_config_selectorIttN6thrust23THRUST_200600_302600_NS4plusItEEEEZZNS1_33reduce_by_key_impl_wrapped_configILNS1_25lookback_scan_determinismE0ES3_S9_NS6_6detail15normal_iteratorINS6_10device_ptrItEEEESG_SG_SG_PmS8_22is_equal_div_10_reduceItEEE10hipError_tPvRmT2_T3_mT4_T5_T6_T7_T8_P12ihipStream_tbENKUlT_T0_E_clISt17integral_constantIbLb0EES11_EEDaSW_SX_EUlSW_E_NS1_11comp_targetILNS1_3genE9ELNS1_11target_archE1100ELNS1_3gpuE3ELNS1_3repE0EEENS1_30default_config_static_selectorELNS0_4arch9wavefront6targetE0EEEvT1_,"axG",@progbits,_ZN7rocprim17ROCPRIM_400000_NS6detail17trampoline_kernelINS0_14default_configENS1_29reduce_by_key_config_selectorIttN6thrust23THRUST_200600_302600_NS4plusItEEEEZZNS1_33reduce_by_key_impl_wrapped_configILNS1_25lookback_scan_determinismE0ES3_S9_NS6_6detail15normal_iteratorINS6_10device_ptrItEEEESG_SG_SG_PmS8_22is_equal_div_10_reduceItEEE10hipError_tPvRmT2_T3_mT4_T5_T6_T7_T8_P12ihipStream_tbENKUlT_T0_E_clISt17integral_constantIbLb0EES11_EEDaSW_SX_EUlSW_E_NS1_11comp_targetILNS1_3genE9ELNS1_11target_archE1100ELNS1_3gpuE3ELNS1_3repE0EEENS1_30default_config_static_selectorELNS0_4arch9wavefront6targetE0EEEvT1_,comdat
	.protected	_ZN7rocprim17ROCPRIM_400000_NS6detail17trampoline_kernelINS0_14default_configENS1_29reduce_by_key_config_selectorIttN6thrust23THRUST_200600_302600_NS4plusItEEEEZZNS1_33reduce_by_key_impl_wrapped_configILNS1_25lookback_scan_determinismE0ES3_S9_NS6_6detail15normal_iteratorINS6_10device_ptrItEEEESG_SG_SG_PmS8_22is_equal_div_10_reduceItEEE10hipError_tPvRmT2_T3_mT4_T5_T6_T7_T8_P12ihipStream_tbENKUlT_T0_E_clISt17integral_constantIbLb0EES11_EEDaSW_SX_EUlSW_E_NS1_11comp_targetILNS1_3genE9ELNS1_11target_archE1100ELNS1_3gpuE3ELNS1_3repE0EEENS1_30default_config_static_selectorELNS0_4arch9wavefront6targetE0EEEvT1_ ; -- Begin function _ZN7rocprim17ROCPRIM_400000_NS6detail17trampoline_kernelINS0_14default_configENS1_29reduce_by_key_config_selectorIttN6thrust23THRUST_200600_302600_NS4plusItEEEEZZNS1_33reduce_by_key_impl_wrapped_configILNS1_25lookback_scan_determinismE0ES3_S9_NS6_6detail15normal_iteratorINS6_10device_ptrItEEEESG_SG_SG_PmS8_22is_equal_div_10_reduceItEEE10hipError_tPvRmT2_T3_mT4_T5_T6_T7_T8_P12ihipStream_tbENKUlT_T0_E_clISt17integral_constantIbLb0EES11_EEDaSW_SX_EUlSW_E_NS1_11comp_targetILNS1_3genE9ELNS1_11target_archE1100ELNS1_3gpuE3ELNS1_3repE0EEENS1_30default_config_static_selectorELNS0_4arch9wavefront6targetE0EEEvT1_
	.globl	_ZN7rocprim17ROCPRIM_400000_NS6detail17trampoline_kernelINS0_14default_configENS1_29reduce_by_key_config_selectorIttN6thrust23THRUST_200600_302600_NS4plusItEEEEZZNS1_33reduce_by_key_impl_wrapped_configILNS1_25lookback_scan_determinismE0ES3_S9_NS6_6detail15normal_iteratorINS6_10device_ptrItEEEESG_SG_SG_PmS8_22is_equal_div_10_reduceItEEE10hipError_tPvRmT2_T3_mT4_T5_T6_T7_T8_P12ihipStream_tbENKUlT_T0_E_clISt17integral_constantIbLb0EES11_EEDaSW_SX_EUlSW_E_NS1_11comp_targetILNS1_3genE9ELNS1_11target_archE1100ELNS1_3gpuE3ELNS1_3repE0EEENS1_30default_config_static_selectorELNS0_4arch9wavefront6targetE0EEEvT1_
	.p2align	8
	.type	_ZN7rocprim17ROCPRIM_400000_NS6detail17trampoline_kernelINS0_14default_configENS1_29reduce_by_key_config_selectorIttN6thrust23THRUST_200600_302600_NS4plusItEEEEZZNS1_33reduce_by_key_impl_wrapped_configILNS1_25lookback_scan_determinismE0ES3_S9_NS6_6detail15normal_iteratorINS6_10device_ptrItEEEESG_SG_SG_PmS8_22is_equal_div_10_reduceItEEE10hipError_tPvRmT2_T3_mT4_T5_T6_T7_T8_P12ihipStream_tbENKUlT_T0_E_clISt17integral_constantIbLb0EES11_EEDaSW_SX_EUlSW_E_NS1_11comp_targetILNS1_3genE9ELNS1_11target_archE1100ELNS1_3gpuE3ELNS1_3repE0EEENS1_30default_config_static_selectorELNS0_4arch9wavefront6targetE0EEEvT1_,@function
_ZN7rocprim17ROCPRIM_400000_NS6detail17trampoline_kernelINS0_14default_configENS1_29reduce_by_key_config_selectorIttN6thrust23THRUST_200600_302600_NS4plusItEEEEZZNS1_33reduce_by_key_impl_wrapped_configILNS1_25lookback_scan_determinismE0ES3_S9_NS6_6detail15normal_iteratorINS6_10device_ptrItEEEESG_SG_SG_PmS8_22is_equal_div_10_reduceItEEE10hipError_tPvRmT2_T3_mT4_T5_T6_T7_T8_P12ihipStream_tbENKUlT_T0_E_clISt17integral_constantIbLb0EES11_EEDaSW_SX_EUlSW_E_NS1_11comp_targetILNS1_3genE9ELNS1_11target_archE1100ELNS1_3gpuE3ELNS1_3repE0EEENS1_30default_config_static_selectorELNS0_4arch9wavefront6targetE0EEEvT1_: ; @_ZN7rocprim17ROCPRIM_400000_NS6detail17trampoline_kernelINS0_14default_configENS1_29reduce_by_key_config_selectorIttN6thrust23THRUST_200600_302600_NS4plusItEEEEZZNS1_33reduce_by_key_impl_wrapped_configILNS1_25lookback_scan_determinismE0ES3_S9_NS6_6detail15normal_iteratorINS6_10device_ptrItEEEESG_SG_SG_PmS8_22is_equal_div_10_reduceItEEE10hipError_tPvRmT2_T3_mT4_T5_T6_T7_T8_P12ihipStream_tbENKUlT_T0_E_clISt17integral_constantIbLb0EES11_EEDaSW_SX_EUlSW_E_NS1_11comp_targetILNS1_3genE9ELNS1_11target_archE1100ELNS1_3gpuE3ELNS1_3repE0EEENS1_30default_config_static_selectorELNS0_4arch9wavefront6targetE0EEEvT1_
; %bb.0:
	s_clause 0x4
	s_load_b256 s[16:23], s[0:1], 0x0
	s_load_b256 s[24:31], s[0:1], 0x38
	s_load_b128 s[36:39], s[0:1], 0x20
	s_load_b64 s[34:35], s[0:1], 0x68
	s_load_b128 s[40:43], s[0:1], 0x58
	s_mov_b32 s3, 0
	s_mul_i32 s2, s15, 0xf00
	v_mul_u32_u24_e32 v5, 15, v0
	s_waitcnt lgkmcnt(0)
	s_lshl_b64 s[0:1], s[18:19], 1
	s_mul_i32 s4, s28, s27
	s_add_u32 s8, s16, s0
	s_mul_hi_u32 s5, s28, s26
	s_addc_u32 s9, s17, s1
	s_add_u32 s10, s20, s0
	s_mul_i32 s6, s29, s26
	s_addc_u32 s11, s21, s1
	s_add_i32 s4, s5, s4
	s_lshl_b64 s[0:1], s[2:3], 1
	s_add_i32 s4, s4, s6
	s_add_u32 s14, s8, s0
	s_addc_u32 s21, s9, s1
	s_mul_i32 s7, s28, s26
	s_add_u32 s20, s10, s0
	s_addc_u32 s29, s11, s1
	s_add_u32 s16, s7, s15
	s_addc_u32 s17, s4, 0
	s_add_u32 s0, s30, -1
	s_addc_u32 s1, s31, -1
	s_mul_i32 s19, s0, 0xfffff100
	s_cmp_eq_u64 s[16:17], s[0:1]
	s_cselect_b32 s18, -1, 0
	s_cmp_lg_u64 s[16:17], s[0:1]
	s_cselect_b32 s28, -1, 0
	s_and_b32 vcc_lo, exec_lo, s18
	s_cbranch_vccnz .LBB438_2
; %bb.1:
	v_lshlrev_b32_e32 v9, 1, v0
	s_delay_alu instid0(VALU_DEP_1) | instskip(NEXT) | instid1(VALU_DEP_1)
	v_add_co_u32 v1, s0, s14, v9
	v_add_co_ci_u32_e64 v2, null, s21, 0, s0
	v_add_co_u32 v7, s0, s20, v9
	s_delay_alu instid0(VALU_DEP_3) | instskip(NEXT) | instid1(VALU_DEP_3)
	v_add_co_u32 v3, vcc_lo, 0x1000, v1
	v_add_co_ci_u32_e32 v4, vcc_lo, 0, v2, vcc_lo
	s_clause 0xe
	flat_load_u16 v10, v[1:2]
	flat_load_u16 v11, v[1:2] offset:512
	flat_load_u16 v12, v[1:2] offset:1024
	;; [unrolled: 1-line block ×7, first 2 shown]
	flat_load_u16 v2, v[3:4]
	flat_load_u16 v19, v[3:4] offset:512
	flat_load_u16 v20, v[3:4] offset:1024
	;; [unrolled: 1-line block ×6, first 2 shown]
	v_add_co_ci_u32_e64 v8, null, s29, 0, s0
	v_mad_u32_u24 v6, v0, 28, v9
	v_add_co_u32 v13, vcc_lo, 0x1000, v7
	s_delay_alu instid0(VALU_DEP_3)
	v_add_co_ci_u32_e32 v14, vcc_lo, 0, v8, vcc_lo
	s_waitcnt vmcnt(14) lgkmcnt(14)
	ds_store_b16 v9, v10
	s_waitcnt vmcnt(13) lgkmcnt(14)
	ds_store_b16 v9, v11 offset:512
	s_waitcnt vmcnt(12) lgkmcnt(14)
	ds_store_b16 v9, v12 offset:1024
	s_waitcnt vmcnt(11) lgkmcnt(14)
	ds_store_b16 v9, v15 offset:1536
	s_waitcnt vmcnt(10) lgkmcnt(14)
	ds_store_b16 v9, v16 offset:2048
	s_waitcnt vmcnt(9) lgkmcnt(14)
	ds_store_b16 v9, v17 offset:2560
	s_waitcnt vmcnt(8) lgkmcnt(14)
	ds_store_b16 v9, v18 offset:3072
	s_waitcnt vmcnt(7) lgkmcnt(14)
	ds_store_b16 v9, v1 offset:3584
	s_waitcnt vmcnt(6) lgkmcnt(14)
	ds_store_b16 v9, v2 offset:4096
	s_waitcnt vmcnt(5) lgkmcnt(14)
	ds_store_b16 v9, v19 offset:4608
	s_waitcnt vmcnt(4) lgkmcnt(14)
	ds_store_b16 v9, v20 offset:5120
	s_waitcnt vmcnt(3) lgkmcnt(14)
	ds_store_b16 v9, v21 offset:5632
	s_waitcnt vmcnt(2) lgkmcnt(14)
	ds_store_b16 v9, v22 offset:6144
	s_waitcnt vmcnt(1) lgkmcnt(14)
	ds_store_b16 v9, v23 offset:6656
	s_waitcnt vmcnt(0) lgkmcnt(14)
	ds_store_b16 v9, v3 offset:7168
	s_waitcnt lgkmcnt(0)
	s_barrier
	buffer_gl0_inv
	ds_load_u16 v63, v6
	ds_load_b128 v[1:4], v6 offset:2
	ds_load_b96 v[10:12], v6 offset:18
	s_waitcnt lgkmcnt(0)
	s_barrier
	buffer_gl0_inv
	s_clause 0xe
	flat_load_u16 v15, v[7:8]
	flat_load_u16 v16, v[7:8] offset:512
	flat_load_u16 v17, v[7:8] offset:1024
	;; [unrolled: 1-line block ×7, first 2 shown]
	flat_load_u16 v8, v[13:14]
	flat_load_u16 v22, v[13:14] offset:512
	flat_load_u16 v23, v[13:14] offset:1024
	;; [unrolled: 1-line block ×6, first 2 shown]
	v_mul_u32_u24_e32 v13, 15, v0
	s_waitcnt vmcnt(14) lgkmcnt(14)
	ds_store_b16 v9, v15
	s_waitcnt vmcnt(13) lgkmcnt(14)
	ds_store_b16 v9, v16 offset:512
	s_waitcnt vmcnt(12) lgkmcnt(14)
	ds_store_b16 v9, v17 offset:1024
	;; [unrolled: 2-line block ×14, first 2 shown]
	s_waitcnt lgkmcnt(0)
	s_barrier
	s_and_not1_b32 vcc_lo, exec_lo, s3
	s_add_i32 s19, s19, s40
	s_cbranch_vccz .LBB438_3
	s_branch .LBB438_50
.LBB438_2:
                                        ; implicit-def: $vgpr1
                                        ; implicit-def: $vgpr10
                                        ; implicit-def: $vgpr13
                                        ; implicit-def: $vgpr6
                                        ; implicit-def: $vgpr63
	s_add_i32 s19, s19, s40
.LBB438_3:
	s_delay_alu instid0(SALU_CYCLE_1)
	v_cmp_gt_u32_e32 vcc_lo, s19, v0
                                        ; implicit-def: $vgpr1
	s_and_saveexec_b32 s0, vcc_lo
	s_cbranch_execz .LBB438_5
; %bb.4:
	v_lshlrev_b32_e32 v1, 1, v0
	s_delay_alu instid0(VALU_DEP_1) | instskip(NEXT) | instid1(VALU_DEP_1)
	v_add_co_u32 v1, s1, s14, v1
	v_add_co_ci_u32_e64 v2, null, s21, 0, s1
	flat_load_u16 v1, v[1:2]
.LBB438_5:
	s_or_b32 exec_lo, exec_lo, s0
	v_or_b32_e32 v2, 0x100, v0
	s_delay_alu instid0(VALU_DEP_1) | instskip(NEXT) | instid1(VALU_DEP_1)
	v_cmp_gt_u32_e64 s0, s19, v2
                                        ; implicit-def: $vgpr2
	s_and_saveexec_b32 s1, s0
	s_cbranch_execz .LBB438_7
; %bb.6:
	v_lshlrev_b32_e32 v2, 1, v0
	s_delay_alu instid0(VALU_DEP_1) | instskip(NEXT) | instid1(VALU_DEP_1)
	v_add_co_u32 v2, s2, s14, v2
	v_add_co_ci_u32_e64 v3, null, s21, 0, s2
	flat_load_u16 v2, v[2:3] offset:512
.LBB438_7:
	s_or_b32 exec_lo, exec_lo, s1
	v_or_b32_e32 v3, 0x200, v0
	s_delay_alu instid0(VALU_DEP_1) | instskip(NEXT) | instid1(VALU_DEP_1)
	v_cmp_gt_u32_e64 s1, s19, v3
                                        ; implicit-def: $vgpr3
	s_and_saveexec_b32 s2, s1
	s_cbranch_execz .LBB438_9
; %bb.8:
	v_lshlrev_b32_e32 v3, 1, v0
	s_delay_alu instid0(VALU_DEP_1) | instskip(NEXT) | instid1(VALU_DEP_1)
	v_add_co_u32 v3, s3, s14, v3
	v_add_co_ci_u32_e64 v4, null, s21, 0, s3
	flat_load_u16 v3, v[3:4] offset:1024
.LBB438_9:
	s_or_b32 exec_lo, exec_lo, s2
	v_or_b32_e32 v4, 0x300, v0
	s_delay_alu instid0(VALU_DEP_1) | instskip(NEXT) | instid1(VALU_DEP_1)
	v_cmp_gt_u32_e64 s2, s19, v4
                                        ; implicit-def: $vgpr4
	s_and_saveexec_b32 s3, s2
	s_cbranch_execz .LBB438_11
; %bb.10:
	v_lshlrev_b32_e32 v4, 1, v0
	s_delay_alu instid0(VALU_DEP_1) | instskip(NEXT) | instid1(VALU_DEP_1)
	v_add_co_u32 v6, s4, s14, v4
	v_add_co_ci_u32_e64 v7, null, s21, 0, s4
	flat_load_u16 v4, v[6:7] offset:1536
.LBB438_11:
	s_or_b32 exec_lo, exec_lo, s3
	v_or_b32_e32 v6, 0x400, v0
	s_delay_alu instid0(VALU_DEP_1) | instskip(NEXT) | instid1(VALU_DEP_1)
	v_cmp_gt_u32_e64 s3, s19, v6
                                        ; implicit-def: $vgpr6
	s_and_saveexec_b32 s4, s3
	s_cbranch_execz .LBB438_13
; %bb.12:
	v_lshlrev_b32_e32 v6, 1, v0
	s_delay_alu instid0(VALU_DEP_1) | instskip(NEXT) | instid1(VALU_DEP_1)
	v_add_co_u32 v6, s5, s14, v6
	v_add_co_ci_u32_e64 v7, null, s21, 0, s5
	flat_load_u16 v6, v[6:7] offset:2048
.LBB438_13:
	s_or_b32 exec_lo, exec_lo, s4
	v_or_b32_e32 v7, 0x500, v0
                                        ; implicit-def: $vgpr10
	s_delay_alu instid0(VALU_DEP_1) | instskip(NEXT) | instid1(VALU_DEP_1)
	v_cmp_gt_u32_e64 s4, s19, v7
	s_and_saveexec_b32 s5, s4
	s_cbranch_execz .LBB438_15
; %bb.14:
	v_lshlrev_b32_e32 v7, 1, v0
	s_delay_alu instid0(VALU_DEP_1) | instskip(NEXT) | instid1(VALU_DEP_1)
	v_add_co_u32 v7, s6, s14, v7
	v_add_co_ci_u32_e64 v8, null, s21, 0, s6
	flat_load_u16 v10, v[7:8] offset:2560
.LBB438_15:
	s_or_b32 exec_lo, exec_lo, s5
	v_or_b32_e32 v7, 0x600, v0
                                        ; implicit-def: $vgpr11
	s_delay_alu instid0(VALU_DEP_1) | instskip(NEXT) | instid1(VALU_DEP_1)
	v_cmp_gt_u32_e64 s5, s19, v7
	s_and_saveexec_b32 s6, s5
	s_cbranch_execz .LBB438_17
; %bb.16:
	v_lshlrev_b32_e32 v7, 1, v0
	s_delay_alu instid0(VALU_DEP_1) | instskip(NEXT) | instid1(VALU_DEP_1)
	v_add_co_u32 v7, s7, s14, v7
	v_add_co_ci_u32_e64 v8, null, s21, 0, s7
	flat_load_u16 v11, v[7:8] offset:3072
.LBB438_17:
	s_or_b32 exec_lo, exec_lo, s6
	v_or_b32_e32 v7, 0x700, v0
                                        ; implicit-def: $vgpr12
	s_delay_alu instid0(VALU_DEP_1) | instskip(NEXT) | instid1(VALU_DEP_1)
	v_cmp_gt_u32_e64 s6, s19, v7
	s_and_saveexec_b32 s7, s6
	s_cbranch_execz .LBB438_19
; %bb.18:
	v_lshlrev_b32_e32 v7, 1, v0
	s_delay_alu instid0(VALU_DEP_1) | instskip(NEXT) | instid1(VALU_DEP_1)
	v_add_co_u32 v7, s8, s14, v7
	v_add_co_ci_u32_e64 v8, null, s21, 0, s8
	flat_load_u16 v12, v[7:8] offset:3584
.LBB438_19:
	s_or_b32 exec_lo, exec_lo, s7
	v_or_b32_e32 v7, 0x800, v0
                                        ; implicit-def: $vgpr18
	s_delay_alu instid0(VALU_DEP_1) | instskip(SKIP_1) | instid1(VALU_DEP_2)
	v_cmp_gt_u32_e64 s7, s19, v7
	v_lshlrev_b32_e32 v8, 1, v7
	s_and_saveexec_b32 s8, s7
	s_cbranch_execz .LBB438_21
; %bb.20:
	s_delay_alu instid0(VALU_DEP_1) | instskip(NEXT) | instid1(VALU_DEP_1)
	v_add_co_u32 v13, s9, s14, v8
	v_add_co_ci_u32_e64 v14, null, s21, 0, s9
	flat_load_u16 v18, v[13:14]
.LBB438_21:
	s_or_b32 exec_lo, exec_lo, s8
	v_or_b32_e32 v7, 0x900, v0
                                        ; implicit-def: $vgpr19
	s_delay_alu instid0(VALU_DEP_1) | instskip(SKIP_1) | instid1(VALU_DEP_2)
	v_cmp_gt_u32_e64 s8, s19, v7
	v_lshlrev_b32_e32 v9, 1, v7
	s_and_saveexec_b32 s9, s8
	s_cbranch_execz .LBB438_23
; %bb.22:
	s_delay_alu instid0(VALU_DEP_1) | instskip(NEXT) | instid1(VALU_DEP_1)
	v_add_co_u32 v13, s10, s14, v9
	v_add_co_ci_u32_e64 v14, null, s21, 0, s10
	flat_load_u16 v19, v[13:14]
.LBB438_23:
	s_or_b32 exec_lo, exec_lo, s9
	v_or_b32_e32 v7, 0xa00, v0
                                        ; implicit-def: $vgpr20
	s_delay_alu instid0(VALU_DEP_1) | instskip(SKIP_1) | instid1(VALU_DEP_2)
	v_cmp_gt_u32_e64 s9, s19, v7
	v_lshlrev_b32_e32 v13, 1, v7
	s_and_saveexec_b32 s10, s9
	s_cbranch_execz .LBB438_25
; %bb.24:
	s_delay_alu instid0(VALU_DEP_1) | instskip(NEXT) | instid1(VALU_DEP_1)
	v_add_co_u32 v14, s11, s14, v13
	v_add_co_ci_u32_e64 v15, null, s21, 0, s11
	flat_load_u16 v20, v[14:15]
.LBB438_25:
	s_or_b32 exec_lo, exec_lo, s10
	v_or_b32_e32 v7, 0xb00, v0
                                        ; implicit-def: $vgpr21
	s_delay_alu instid0(VALU_DEP_1) | instskip(SKIP_1) | instid1(VALU_DEP_2)
	v_cmp_gt_u32_e64 s10, s19, v7
	v_lshlrev_b32_e32 v14, 1, v7
	s_and_saveexec_b32 s11, s10
	s_cbranch_execz .LBB438_27
; %bb.26:
	s_delay_alu instid0(VALU_DEP_1) | instskip(NEXT) | instid1(VALU_DEP_1)
	v_add_co_u32 v15, s12, s14, v14
	v_add_co_ci_u32_e64 v16, null, s21, 0, s12
	flat_load_u16 v21, v[15:16]
.LBB438_27:
	s_or_b32 exec_lo, exec_lo, s11
	v_or_b32_e32 v7, 0xc00, v0
                                        ; implicit-def: $vgpr22
	s_delay_alu instid0(VALU_DEP_1) | instskip(SKIP_1) | instid1(VALU_DEP_2)
	v_cmp_gt_u32_e64 s11, s19, v7
	v_lshlrev_b32_e32 v15, 1, v7
	s_and_saveexec_b32 s12, s11
	s_cbranch_execz .LBB438_29
; %bb.28:
	s_delay_alu instid0(VALU_DEP_1) | instskip(NEXT) | instid1(VALU_DEP_1)
	v_add_co_u32 v16, s13, s14, v15
	v_add_co_ci_u32_e64 v17, null, s21, 0, s13
	flat_load_u16 v22, v[16:17]
.LBB438_29:
	s_or_b32 exec_lo, exec_lo, s12
	v_or_b32_e32 v7, 0xd00, v0
                                        ; implicit-def: $vgpr23
	s_delay_alu instid0(VALU_DEP_1) | instskip(SKIP_1) | instid1(VALU_DEP_2)
	v_cmp_gt_u32_e64 s12, s19, v7
	v_lshlrev_b32_e32 v16, 1, v7
	s_and_saveexec_b32 s13, s12
	s_cbranch_execz .LBB438_31
; %bb.30:
	s_delay_alu instid0(VALU_DEP_1) | instskip(NEXT) | instid1(VALU_DEP_1)
	v_add_co_u32 v23, s30, s14, v16
	v_add_co_ci_u32_e64 v24, null, s21, 0, s30
	flat_load_u16 v23, v[23:24]
.LBB438_31:
	s_or_b32 exec_lo, exec_lo, s13
	v_or_b32_e32 v7, 0xe00, v0
                                        ; implicit-def: $vgpr24
	s_delay_alu instid0(VALU_DEP_1) | instskip(SKIP_1) | instid1(VALU_DEP_2)
	v_cmp_gt_u32_e64 s13, s19, v7
	v_lshlrev_b32_e32 v17, 1, v7
	s_and_saveexec_b32 s30, s13
	s_cbranch_execz .LBB438_33
; %bb.32:
	s_delay_alu instid0(VALU_DEP_1) | instskip(NEXT) | instid1(VALU_DEP_1)
	v_add_co_u32 v24, s31, s14, v17
	v_add_co_ci_u32_e64 v25, null, s21, 0, s31
	flat_load_u16 v24, v[24:25]
.LBB438_33:
	s_or_b32 exec_lo, exec_lo, s30
	v_lshlrev_b32_e32 v7, 1, v0
	s_waitcnt vmcnt(0) lgkmcnt(0)
	ds_store_b16 v7, v1
	ds_store_b16 v7, v2 offset:512
	ds_store_b16 v7, v3 offset:1024
	;; [unrolled: 1-line block ×7, first 2 shown]
	v_mad_u32_u24 v6, v0, 28, v7
	ds_store_b16 v7, v18 offset:4096
	ds_store_b16 v7, v19 offset:4608
	;; [unrolled: 1-line block ×7, first 2 shown]
	s_waitcnt lgkmcnt(0)
	s_barrier
	buffer_gl0_inv
	ds_load_u16 v63, v6
	ds_load_b128 v[1:4], v6 offset:2
	ds_load_b96 v[10:12], v6 offset:18
	s_waitcnt lgkmcnt(0)
	s_barrier
	buffer_gl0_inv
                                        ; implicit-def: $vgpr18
	s_and_saveexec_b32 s30, vcc_lo
	s_cbranch_execnz .LBB438_57
; %bb.34:
	s_or_b32 exec_lo, exec_lo, s30
                                        ; implicit-def: $vgpr19
	s_and_saveexec_b32 s30, s0
	s_cbranch_execnz .LBB438_58
.LBB438_35:
	s_or_b32 exec_lo, exec_lo, s30
                                        ; implicit-def: $vgpr20
	s_and_saveexec_b32 s0, s1
	s_cbranch_execnz .LBB438_59
.LBB438_36:
	s_or_b32 exec_lo, exec_lo, s0
                                        ; implicit-def: $vgpr21
	s_and_saveexec_b32 s0, s2
	s_cbranch_execnz .LBB438_60
.LBB438_37:
	s_or_b32 exec_lo, exec_lo, s0
                                        ; implicit-def: $vgpr22
	s_and_saveexec_b32 s0, s3
	s_cbranch_execnz .LBB438_61
.LBB438_38:
	s_or_b32 exec_lo, exec_lo, s0
                                        ; implicit-def: $vgpr23
	s_and_saveexec_b32 s0, s4
	s_cbranch_execnz .LBB438_62
.LBB438_39:
	s_or_b32 exec_lo, exec_lo, s0
                                        ; implicit-def: $vgpr24
	s_and_saveexec_b32 s0, s5
	s_cbranch_execnz .LBB438_63
.LBB438_40:
	s_or_b32 exec_lo, exec_lo, s0
                                        ; implicit-def: $vgpr26
	s_and_saveexec_b32 s0, s6
	s_cbranch_execnz .LBB438_64
.LBB438_41:
	s_or_b32 exec_lo, exec_lo, s0
                                        ; implicit-def: $vgpr25
	s_and_saveexec_b32 s0, s7
	s_cbranch_execnz .LBB438_65
.LBB438_42:
	s_or_b32 exec_lo, exec_lo, s0
                                        ; implicit-def: $vgpr8
	s_and_saveexec_b32 s0, s8
	s_cbranch_execnz .LBB438_66
.LBB438_43:
	s_or_b32 exec_lo, exec_lo, s0
                                        ; implicit-def: $vgpr9
	s_and_saveexec_b32 s0, s9
	s_cbranch_execnz .LBB438_67
.LBB438_44:
	s_or_b32 exec_lo, exec_lo, s0
                                        ; implicit-def: $vgpr27
	s_and_saveexec_b32 s0, s10
	s_cbranch_execnz .LBB438_68
.LBB438_45:
	s_or_b32 exec_lo, exec_lo, s0
                                        ; implicit-def: $vgpr14
	s_and_saveexec_b32 s0, s11
	s_cbranch_execnz .LBB438_69
.LBB438_46:
	s_or_b32 exec_lo, exec_lo, s0
                                        ; implicit-def: $vgpr15
	s_and_saveexec_b32 s0, s12
	s_cbranch_execnz .LBB438_70
.LBB438_47:
	s_or_b32 exec_lo, exec_lo, s0
                                        ; implicit-def: $vgpr16
	s_and_saveexec_b32 s0, s13
	s_cbranch_execz .LBB438_49
.LBB438_48:
	v_add_co_u32 v16, s1, s20, v17
	s_delay_alu instid0(VALU_DEP_1)
	v_add_co_ci_u32_e64 v17, null, s29, 0, s1
	flat_load_u16 v16, v[16:17]
.LBB438_49:
	s_or_b32 exec_lo, exec_lo, s0
	v_mov_b32_e32 v13, v5
	s_waitcnt vmcnt(0) lgkmcnt(0)
	ds_store_b16 v7, v18
	ds_store_b16 v7, v19 offset:512
	ds_store_b16 v7, v20 offset:1024
	;; [unrolled: 1-line block ×14, first 2 shown]
	s_waitcnt lgkmcnt(0)
	s_barrier
.LBB438_50:
	v_lshlrev_b32_e32 v7, 1, v13
	buffer_gl0_inv
	ds_load_u16 v74, v6
	ds_load_u16 v73, v6 offset:2
	ds_load_u16 v71, v6 offset:6
	;; [unrolled: 1-line block ×14, first 2 shown]
	s_cmp_eq_u64 s[16:17], 0
	s_waitcnt lgkmcnt(0)
	s_cselect_b32 s20, -1, 0
	s_cmp_lg_u64 s[16:17], 0
	s_barrier
	s_cselect_b32 s29, -1, 0
	s_and_b32 vcc_lo, exec_lo, s28
	buffer_gl0_inv
	s_cbranch_vccz .LBB438_56
; %bb.51:
	s_and_b32 vcc_lo, exec_lo, s29
	s_cbranch_vccz .LBB438_71
; %bb.52:
	v_add_co_u32 v6, s0, -2, s14
	s_delay_alu instid0(VALU_DEP_1)
	v_add_co_ci_u32_e64 v7, null, -1, s21, s0
	v_and_b32_e32 v8, 0xffff, v12
	v_lshrrev_b32_e32 v9, 16, v12
	v_lshrrev_b32_e32 v13, 16, v11
	flat_load_u16 v6, v[6:7]
	v_and_b32_e32 v14, 0xffff, v11
	v_lshrrev_b32_e32 v15, 16, v10
	v_mul_u32_u24_e32 v8, 0xcccd, v8
	v_mul_u32_u24_e32 v16, 0xcccd, v9
	;; [unrolled: 1-line block ×5, first 2 shown]
	v_lshlrev_b32_e32 v7, 1, v0
	v_lshrrev_b32_e32 v8, 19, v8
	v_lshrrev_b32_e32 v16, 19, v16
	;; [unrolled: 1-line block ×5, first 2 shown]
	ds_store_b16 v7, v9
	v_cmp_ne_u16_e64 s1, v8, v16
	v_cmp_ne_u16_e64 s2, v13, v8
	v_cmp_ne_u16_e32 vcc_lo, v14, v13
	v_cmp_ne_u16_e64 s0, v15, v14
	v_and_b32_e32 v8, 0xffff, v10
	v_lshrrev_b32_e32 v9, 16, v4
	v_and_b32_e32 v13, 0xffff, v4
	v_lshrrev_b32_e32 v14, 16, v3
	v_and_b32_e32 v16, 0xffff, v3
	v_mul_u32_u24_e32 v8, 0xcccd, v8
	v_mul_u32_u24_e32 v9, 0xcccd, v9
	;; [unrolled: 1-line block ×5, first 2 shown]
	v_lshrrev_b32_e32 v8, 19, v8
	v_lshrrev_b32_e32 v9, 19, v9
	v_lshrrev_b32_e32 v13, 19, v13
	v_lshrrev_b32_e32 v14, 19, v14
	v_lshrrev_b32_e32 v16, 19, v16
	v_cmp_ne_u16_e64 s6, v8, v15
	v_cmp_ne_u16_e64 s7, v9, v8
	;; [unrolled: 1-line block ×5, first 2 shown]
	v_lshrrev_b32_e32 v8, 16, v2
	v_and_b32_e32 v9, 0xffff, v2
	v_lshrrev_b32_e32 v13, 16, v1
	v_and_b32_e32 v14, 0xffff, v1
	v_and_b32_e32 v15, 0xffff, v63
	v_mul_u32_u24_e32 v8, 0xcccd, v8
	v_mul_u32_u24_e32 v9, 0xcccd, v9
	;; [unrolled: 1-line block ×5, first 2 shown]
	v_lshrrev_b32_e32 v17, 19, v8
	v_lshrrev_b32_e32 v9, 19, v9
	;; [unrolled: 1-line block ×5, first 2 shown]
	v_cmp_ne_u16_e64 s12, v17, v16
	v_cmp_ne_u16_e64 s8, v9, v17
	;; [unrolled: 1-line block ×5, first 2 shown]
	s_mov_b32 s28, -1
	s_mov_b32 s30, 0
	s_mov_b32 s31, exec_lo
	s_waitcnt vmcnt(0) lgkmcnt(0)
	s_barrier
	buffer_gl0_inv
	v_cmpx_ne_u32_e32 0, v0
	s_cbranch_execz .LBB438_54
; %bb.53:
	v_add_nc_u32_e32 v6, -2, v7
	ds_load_u16 v6, v6
.LBB438_54:
	s_or_b32 exec_lo, exec_lo, s31
	s_waitcnt lgkmcnt(0)
	v_and_b32_e32 v6, 0xffff, v6
	v_cndmask_b32_e64 v61, 0, 1, s1
	v_cndmask_b32_e64 v7, 0, 1, s2
	v_cndmask_b32_e64 v62, 0, 1, vcc_lo
	v_cndmask_b32_e64 v14, 0, 1, s0
	v_mul_u32_u24_e32 v6, 0xcccd, v6
	v_cndmask_b32_e64 v13, 0, 1, s6
	v_cndmask_b32_e64 v16, 0, 1, s7
	;; [unrolled: 1-line block ×4, first 2 shown]
	v_lshrrev_b32_e32 v6, 19, v6
	v_cndmask_b32_e64 v17, 0, 1, s5
	v_cndmask_b32_e64 v22, 0, 1, s12
	;; [unrolled: 1-line block ×6, first 2 shown]
	v_cmp_ne_u16_e64 s2, v6, v8
	s_and_b32 vcc_lo, exec_lo, s30
	s_cbranch_vccnz .LBB438_72
.LBB438_55:
                                        ; implicit-def: $sgpr0
	s_branch .LBB438_75
.LBB438_56:
	s_mov_b32 s28, 0
                                        ; implicit-def: $sgpr2
                                        ; implicit-def: $vgpr61
                                        ; implicit-def: $vgpr7
                                        ; implicit-def: $vgpr62
                                        ; implicit-def: $vgpr14
                                        ; implicit-def: $vgpr13
                                        ; implicit-def: $vgpr16
                                        ; implicit-def: $vgpr15
                                        ; implicit-def: $vgpr18
                                        ; implicit-def: $vgpr17
                                        ; implicit-def: $vgpr22
                                        ; implicit-def: $vgpr21
                                        ; implicit-def: $vgpr24
                                        ; implicit-def: $vgpr23
                                        ; implicit-def: $vgpr26
                                        ; implicit-def: $vgpr20
                                        ; implicit-def: $sgpr0
	s_cbranch_execnz .LBB438_76
	s_branch .LBB438_111
.LBB438_57:
	v_add_co_u32 v18, s31, s20, v7
	s_delay_alu instid0(VALU_DEP_1)
	v_add_co_ci_u32_e64 v19, null, s29, 0, s31
	flat_load_u16 v18, v[18:19]
	s_or_b32 exec_lo, exec_lo, s30
                                        ; implicit-def: $vgpr19
	s_and_saveexec_b32 s30, s0
	s_cbranch_execz .LBB438_35
.LBB438_58:
	v_add_co_u32 v19, s0, s20, v7
	s_delay_alu instid0(VALU_DEP_1)
	v_add_co_ci_u32_e64 v20, null, s29, 0, s0
	flat_load_u16 v19, v[19:20] offset:512
	s_or_b32 exec_lo, exec_lo, s30
                                        ; implicit-def: $vgpr20
	s_and_saveexec_b32 s0, s1
	s_cbranch_execz .LBB438_36
.LBB438_59:
	v_add_co_u32 v20, s1, s20, v7
	s_delay_alu instid0(VALU_DEP_1)
	v_add_co_ci_u32_e64 v21, null, s29, 0, s1
	flat_load_u16 v20, v[20:21] offset:1024
	s_or_b32 exec_lo, exec_lo, s0
                                        ; implicit-def: $vgpr21
	s_and_saveexec_b32 s0, s2
	s_cbranch_execz .LBB438_37
.LBB438_60:
	v_add_co_u32 v21, s1, s20, v7
	s_delay_alu instid0(VALU_DEP_1)
	v_add_co_ci_u32_e64 v22, null, s29, 0, s1
	flat_load_u16 v21, v[21:22] offset:1536
	s_or_b32 exec_lo, exec_lo, s0
                                        ; implicit-def: $vgpr22
	s_and_saveexec_b32 s0, s3
	s_cbranch_execz .LBB438_38
.LBB438_61:
	v_add_co_u32 v22, s1, s20, v7
	s_delay_alu instid0(VALU_DEP_1)
	v_add_co_ci_u32_e64 v23, null, s29, 0, s1
	flat_load_u16 v22, v[22:23] offset:2048
	s_or_b32 exec_lo, exec_lo, s0
                                        ; implicit-def: $vgpr23
	s_and_saveexec_b32 s0, s4
	s_cbranch_execz .LBB438_39
.LBB438_62:
	v_add_co_u32 v23, s1, s20, v7
	s_delay_alu instid0(VALU_DEP_1)
	v_add_co_ci_u32_e64 v24, null, s29, 0, s1
	flat_load_u16 v23, v[23:24] offset:2560
	s_or_b32 exec_lo, exec_lo, s0
                                        ; implicit-def: $vgpr24
	s_and_saveexec_b32 s0, s5
	s_cbranch_execz .LBB438_40
.LBB438_63:
	v_add_co_u32 v24, s1, s20, v7
	s_delay_alu instid0(VALU_DEP_1)
	v_add_co_ci_u32_e64 v25, null, s29, 0, s1
	flat_load_u16 v24, v[24:25] offset:3072
	s_or_b32 exec_lo, exec_lo, s0
                                        ; implicit-def: $vgpr26
	s_and_saveexec_b32 s0, s6
	s_cbranch_execz .LBB438_41
.LBB438_64:
	v_add_co_u32 v25, s1, s20, v7
	s_delay_alu instid0(VALU_DEP_1)
	v_add_co_ci_u32_e64 v26, null, s29, 0, s1
	flat_load_u16 v26, v[25:26] offset:3584
	s_or_b32 exec_lo, exec_lo, s0
                                        ; implicit-def: $vgpr25
	s_and_saveexec_b32 s0, s7
	s_cbranch_execz .LBB438_42
.LBB438_65:
	v_add_co_u32 v27, s1, s20, v8
	s_delay_alu instid0(VALU_DEP_1)
	v_add_co_ci_u32_e64 v28, null, s29, 0, s1
	flat_load_u16 v25, v[27:28]
	s_or_b32 exec_lo, exec_lo, s0
                                        ; implicit-def: $vgpr8
	s_and_saveexec_b32 s0, s8
	s_cbranch_execz .LBB438_43
.LBB438_66:
	v_add_co_u32 v8, s1, s20, v9
	s_delay_alu instid0(VALU_DEP_1)
	v_add_co_ci_u32_e64 v9, null, s29, 0, s1
	flat_load_u16 v8, v[8:9]
	s_or_b32 exec_lo, exec_lo, s0
                                        ; implicit-def: $vgpr9
	s_and_saveexec_b32 s0, s9
	s_cbranch_execz .LBB438_44
.LBB438_67:
	v_add_co_u32 v27, s1, s20, v13
	s_delay_alu instid0(VALU_DEP_1)
	v_add_co_ci_u32_e64 v28, null, s29, 0, s1
	flat_load_u16 v9, v[27:28]
	s_or_b32 exec_lo, exec_lo, s0
                                        ; implicit-def: $vgpr27
	s_and_saveexec_b32 s0, s10
	s_cbranch_execz .LBB438_45
.LBB438_68:
	v_add_co_u32 v13, s1, s20, v14
	s_delay_alu instid0(VALU_DEP_1)
	v_add_co_ci_u32_e64 v14, null, s29, 0, s1
	flat_load_u16 v27, v[13:14]
	s_or_b32 exec_lo, exec_lo, s0
                                        ; implicit-def: $vgpr14
	s_and_saveexec_b32 s0, s11
	s_cbranch_execz .LBB438_46
.LBB438_69:
	v_add_co_u32 v13, s1, s20, v15
	s_delay_alu instid0(VALU_DEP_1)
	v_add_co_ci_u32_e64 v14, null, s29, 0, s1
	flat_load_u16 v14, v[13:14]
	s_or_b32 exec_lo, exec_lo, s0
                                        ; implicit-def: $vgpr15
	s_and_saveexec_b32 s0, s12
	s_cbranch_execz .LBB438_47
.LBB438_70:
	v_add_co_u32 v15, s1, s20, v16
	s_delay_alu instid0(VALU_DEP_1)
	v_add_co_ci_u32_e64 v16, null, s29, 0, s1
	flat_load_u16 v15, v[15:16]
	s_or_b32 exec_lo, exec_lo, s0
                                        ; implicit-def: $vgpr16
	s_and_saveexec_b32 s0, s13
	s_cbranch_execnz .LBB438_48
	s_branch .LBB438_49
.LBB438_71:
	s_mov_b32 s28, 0
                                        ; implicit-def: $sgpr2
                                        ; implicit-def: $vgpr61
                                        ; implicit-def: $vgpr7
                                        ; implicit-def: $vgpr62
                                        ; implicit-def: $vgpr14
                                        ; implicit-def: $vgpr13
                                        ; implicit-def: $vgpr16
                                        ; implicit-def: $vgpr15
                                        ; implicit-def: $vgpr18
                                        ; implicit-def: $vgpr17
                                        ; implicit-def: $vgpr22
                                        ; implicit-def: $vgpr21
                                        ; implicit-def: $vgpr24
                                        ; implicit-def: $vgpr23
                                        ; implicit-def: $vgpr26
	s_cbranch_execz .LBB438_55
.LBB438_72:
	v_and_b32_e32 v6, 0xffff, v12
	v_lshrrev_b32_e32 v9, 16, v12
	v_lshrrev_b32_e32 v7, 16, v11
	v_and_b32_e32 v13, 0xffff, v11
	v_lshrrev_b32_e32 v15, 16, v10
	v_mul_u32_u24_e32 v6, 0xcccd, v6
	v_mul_u32_u24_e32 v8, 0xcccd, v9
	;; [unrolled: 1-line block ×5, first 2 shown]
	v_lshrrev_b32_e32 v14, 19, v6
	v_lshrrev_b32_e32 v8, 19, v8
	;; [unrolled: 1-line block ×5, first 2 shown]
	v_and_b32_e32 v17, 0xffff, v4
	v_cmp_ne_u16_e32 vcc_lo, v14, v8
	v_and_b32_e32 v8, 0xffff, v10
	v_lshrrev_b32_e32 v18, 16, v3
	v_and_b32_e32 v20, 0xffff, v2
	v_and_b32_e32 v22, 0xffff, v1
	v_cndmask_b32_e64 v61, 0, 1, vcc_lo
	v_cmp_ne_u16_e32 vcc_lo, v16, v14
	v_mul_u32_u24_e32 v8, 0xcccd, v8
	v_lshrrev_b32_e32 v14, 16, v4
	v_mul_u32_u24_e32 v20, 0xcccd, v20
	v_and_b32_e32 v23, 0xffff, v63
	v_cndmask_b32_e64 v7, 0, 1, vcc_lo
	v_cmp_ne_u16_e32 vcc_lo, v13, v16
	v_lshrrev_b32_e32 v8, 19, v8
	v_mul_u32_u24_e32 v16, 0xcccd, v14
	v_lshrrev_b32_e32 v20, 19, v20
	v_mul_u32_u24_e32 v24, 0xcccd, v22
	v_cndmask_b32_e64 v62, 0, 1, vcc_lo
	v_cmp_ne_u16_e32 vcc_lo, v15, v13
	v_lshrrev_b32_e32 v19, 19, v16
	v_mul_u32_u24_e32 v16, 0xcccd, v17
	v_and_b32_e32 v17, 0xffff, v3
	v_mul_u32_u24_e32 v23, 0xcccd, v23
	v_cndmask_b32_e64 v14, 0, 1, vcc_lo
	v_cmp_ne_u16_e32 vcc_lo, v8, v15
	v_mul_u32_u24_e32 v15, 0xcccd, v18
	v_lshrrev_b32_e32 v18, 19, v16
	v_mul_u32_u24_e32 v17, 0xcccd, v17
	v_lshrrev_b32_e32 v26, 19, v24
	v_cndmask_b32_e64 v13, 0, 1, vcc_lo
	v_cmp_ne_u16_e32 vcc_lo, v19, v8
	v_lshrrev_b32_e32 v8, 19, v15
	v_lshrrev_b32_e32 v21, 19, v17
	v_lshlrev_b32_e32 v6, 1, v0
	s_mov_b32 s0, 1
	v_cndmask_b32_e64 v16, 0, 1, vcc_lo
	v_cmp_ne_u16_e32 vcc_lo, v18, v19
	v_lshrrev_b32_e32 v19, 16, v2
	s_mov_b32 s1, exec_lo
	ds_store_b16 v6, v9
	s_waitcnt lgkmcnt(0)
	v_cndmask_b32_e64 v15, 0, 1, vcc_lo
	v_cmp_ne_u16_e32 vcc_lo, v8, v18
	v_mul_u32_u24_e32 v19, 0xcccd, v19
	s_barrier
	buffer_gl0_inv
                                        ; implicit-def: $sgpr2
	v_cndmask_b32_e64 v18, 0, 1, vcc_lo
	v_cmp_ne_u16_e32 vcc_lo, v21, v8
	v_lshrrev_b32_e32 v8, 16, v1
	v_lshrrev_b32_e32 v19, 19, v19
	v_cndmask_b32_e64 v17, 0, 1, vcc_lo
	s_delay_alu instid0(VALU_DEP_3) | instskip(NEXT) | instid1(VALU_DEP_3)
	v_mul_u32_u24_e32 v8, 0xcccd, v8
	v_cmp_ne_u16_e32 vcc_lo, v19, v21
	s_delay_alu instid0(VALU_DEP_2)
	v_lshrrev_b32_e32 v25, 19, v8
	v_cndmask_b32_e64 v22, 0, 1, vcc_lo
	v_cmp_ne_u16_e32 vcc_lo, v20, v19
	v_lshrrev_b32_e32 v8, 19, v23
	v_cndmask_b32_e64 v21, 0, 1, vcc_lo
	v_cmp_ne_u16_e32 vcc_lo, v25, v20
	v_cndmask_b32_e64 v24, 0, 1, vcc_lo
	v_cmp_ne_u16_e32 vcc_lo, v26, v25
	;; [unrolled: 2-line block ×3, first 2 shown]
	v_cndmask_b32_e64 v26, 0, 1, vcc_lo
	v_cmpx_ne_u32_e32 0, v0
	s_xor_b32 s1, exec_lo, s1
	s_cbranch_execz .LBB438_74
; %bb.73:
	v_add_nc_u32_e32 v6, -2, v6
	s_or_b32 s28, s28, exec_lo
	ds_load_u16 v6, v6
	s_waitcnt lgkmcnt(0)
	v_mul_u32_u24_e32 v6, 0xcccd, v6
	s_delay_alu instid0(VALU_DEP_1) | instskip(NEXT) | instid1(VALU_DEP_1)
	v_lshrrev_b32_e32 v6, 19, v6
	v_cmp_ne_u16_e32 vcc_lo, v6, v8
	s_and_b32 s2, vcc_lo, exec_lo
.LBB438_74:
	s_or_b32 exec_lo, exec_lo, s1
.LBB438_75:
	v_mov_b32_e32 v20, v7
	s_branch .LBB438_111
.LBB438_76:
	s_mul_hi_u32 s0, s16, 0xfffff100
	s_mul_i32 s1, s17, 0xfffff100
	s_sub_i32 s0, s0, s16
	s_mul_i32 s2, s16, 0xfffff100
	v_lshrrev_b32_e32 v8, 16, v12
	v_mad_u32_u24 v19, v0, 15, 14
	s_add_i32 s1, s0, s1
	s_add_u32 s0, s2, s40
	s_addc_u32 s1, s1, s41
	s_and_b32 vcc_lo, exec_lo, s29
	s_cbranch_vccz .LBB438_215
; %bb.77:
	v_add_co_u32 v6, s2, -2, s14
	s_delay_alu instid0(VALU_DEP_1)
	v_add_co_ci_u32_e64 v7, null, -1, s21, s2
	v_mov_b32_e32 v61, 0
	s_mov_b32 s2, exec_lo
	v_lshlrev_b32_e32 v27, 1, v0
	flat_load_u16 v9, v[6:7]
	v_mov_b32_e32 v7, 0
	ds_store_b16 v27, v8
	v_mov_b32_e32 v20, v7
	s_delay_alu instid0(VALU_DEP_1)
	v_cmpx_gt_u64_e64 s[0:1], v[19:20]
; %bb.78:
	v_and_b32_e32 v6, 0xffff, v12
	v_and_b32_e32 v13, 0xffff, v8
	s_delay_alu instid0(VALU_DEP_2) | instskip(NEXT) | instid1(VALU_DEP_2)
	v_mul_u32_u24_e32 v6, 0xcccd, v6
	v_mul_u32_u24_e32 v13, 0xcccd, v13
	s_delay_alu instid0(VALU_DEP_2) | instskip(NEXT) | instid1(VALU_DEP_2)
	v_lshrrev_b32_e32 v6, 19, v6
	v_lshrrev_b32_e32 v13, 19, v13
	s_delay_alu instid0(VALU_DEP_1)
	v_cmp_ne_u16_e32 vcc_lo, v6, v13
	v_cndmask_b32_e64 v61, 0, 1, vcc_lo
; %bb.79:
	s_or_b32 exec_lo, exec_lo, s2
	v_add_nc_u32_e32 v6, 13, v5
	s_mov_b32 s2, exec_lo
	s_delay_alu instid0(VALU_DEP_1)
	v_cmpx_gt_u64_e64 s[0:1], v[6:7]
; %bb.80:
	v_lshrrev_b32_e32 v6, 16, v11
	v_and_b32_e32 v7, 0xffff, v12
	s_delay_alu instid0(VALU_DEP_2) | instskip(NEXT) | instid1(VALU_DEP_2)
	v_mul_u32_u24_e32 v6, 0xcccd, v6
	v_mul_u32_u24_e32 v7, 0xcccd, v7
	s_delay_alu instid0(VALU_DEP_2) | instskip(NEXT) | instid1(VALU_DEP_2)
	v_lshrrev_b32_e32 v6, 19, v6
	v_lshrrev_b32_e32 v7, 19, v7
	s_delay_alu instid0(VALU_DEP_1)
	v_cmp_ne_u16_e32 vcc_lo, v6, v7
	v_cndmask_b32_e64 v7, 0, 1, vcc_lo
; %bb.81:
	s_or_b32 exec_lo, exec_lo, s2
	v_dual_mov_b32 v14, 0 :: v_dual_add_nc_u32 v13, 12, v5
	v_mov_b32_e32 v62, 0
	s_mov_b32 s2, exec_lo
	s_delay_alu instid0(VALU_DEP_2)
	v_cmpx_gt_u64_e64 s[0:1], v[13:14]
; %bb.82:
	v_and_b32_e32 v6, 0xffff, v11
	v_lshrrev_b32_e32 v13, 16, v11
	s_delay_alu instid0(VALU_DEP_2) | instskip(NEXT) | instid1(VALU_DEP_2)
	v_mul_u32_u24_e32 v6, 0xcccd, v6
	v_mul_u32_u24_e32 v13, 0xcccd, v13
	s_delay_alu instid0(VALU_DEP_2) | instskip(NEXT) | instid1(VALU_DEP_2)
	v_lshrrev_b32_e32 v6, 19, v6
	v_lshrrev_b32_e32 v13, 19, v13
	s_delay_alu instid0(VALU_DEP_1)
	v_cmp_ne_u16_e32 vcc_lo, v6, v13
	v_cndmask_b32_e64 v62, 0, 1, vcc_lo
; %bb.83:
	s_or_b32 exec_lo, exec_lo, s2
	v_add_nc_u32_e32 v13, 11, v5
	s_mov_b32 s2, exec_lo
	s_delay_alu instid0(VALU_DEP_1)
	v_cmpx_gt_u64_e64 s[0:1], v[13:14]
; %bb.84:
	v_lshrrev_b32_e32 v6, 16, v10
	v_and_b32_e32 v13, 0xffff, v11
	s_delay_alu instid0(VALU_DEP_2) | instskip(NEXT) | instid1(VALU_DEP_2)
	v_mul_u32_u24_e32 v6, 0xcccd, v6
	v_mul_u32_u24_e32 v13, 0xcccd, v13
	s_delay_alu instid0(VALU_DEP_2) | instskip(NEXT) | instid1(VALU_DEP_2)
	v_lshrrev_b32_e32 v6, 19, v6
	v_lshrrev_b32_e32 v13, 19, v13
	s_delay_alu instid0(VALU_DEP_1)
	v_cmp_ne_u16_e32 vcc_lo, v6, v13
	v_cndmask_b32_e64 v14, 0, 1, vcc_lo
; %bb.85:
	s_or_b32 exec_lo, exec_lo, s2
	v_dual_mov_b32 v16, 0 :: v_dual_add_nc_u32 v15, 10, v5
	v_mov_b32_e32 v13, 0
	s_mov_b32 s2, exec_lo
	s_delay_alu instid0(VALU_DEP_2)
	v_cmpx_gt_u64_e64 s[0:1], v[15:16]
; %bb.86:
	v_and_b32_e32 v6, 0xffff, v10
	v_lshrrev_b32_e32 v13, 16, v10
	;; [unrolled: 37-line block ×6, first 2 shown]
	s_delay_alu instid0(VALU_DEP_2) | instskip(NEXT) | instid1(VALU_DEP_2)
	v_mul_u32_u24_e32 v6, 0xcccd, v6
	v_mul_u32_u24_e32 v20, 0xcccd, v20
	s_delay_alu instid0(VALU_DEP_2) | instskip(NEXT) | instid1(VALU_DEP_2)
	v_lshrrev_b32_e32 v6, 19, v6
	v_lshrrev_b32_e32 v20, 19, v20
	s_delay_alu instid0(VALU_DEP_1)
	v_cmp_ne_u16_e32 vcc_lo, v6, v20
	v_cndmask_b32_e64 v23, 0, 1, vcc_lo
; %bb.103:
	s_or_b32 exec_lo, exec_lo, s2
	v_add_nc_u32_e32 v25, 1, v5
	s_mov_b32 s2, exec_lo
	s_delay_alu instid0(VALU_DEP_1)
	v_cmpx_gt_u64_e64 s[0:1], v[25:26]
; %bb.104:
	v_and_b32_e32 v6, 0xffff, v63
	v_and_b32_e32 v20, 0xffff, v1
	s_delay_alu instid0(VALU_DEP_2) | instskip(NEXT) | instid1(VALU_DEP_2)
	v_mul_u32_u24_e32 v6, 0xcccd, v6
	v_mul_u32_u24_e32 v20, 0xcccd, v20
	s_delay_alu instid0(VALU_DEP_2) | instskip(NEXT) | instid1(VALU_DEP_2)
	v_lshrrev_b32_e32 v6, 19, v6
	v_lshrrev_b32_e32 v20, 19, v20
	s_delay_alu instid0(VALU_DEP_1)
	v_cmp_ne_u16_e32 vcc_lo, v6, v20
	v_cndmask_b32_e64 v26, 0, 1, vcc_lo
; %bb.105:
	s_or_b32 exec_lo, exec_lo, s2
	s_mov_b32 s2, 0
	s_mov_b32 s3, exec_lo
	s_waitcnt vmcnt(0) lgkmcnt(0)
	s_barrier
	buffer_gl0_inv
	v_cmpx_ne_u32_e32 0, v0
	s_cbranch_execz .LBB438_107
; %bb.106:
	v_add_nc_u32_e32 v6, -2, v27
	ds_load_u16 v9, v6
.LBB438_107:
	s_or_b32 exec_lo, exec_lo, s3
	v_mov_b32_e32 v6, 0
	s_mov_b32 s3, exec_lo
	s_delay_alu instid0(VALU_DEP_1)
	v_cmpx_gt_u64_e64 s[0:1], v[5:6]
	s_cbranch_execz .LBB438_109
; %bb.108:
	s_waitcnt lgkmcnt(0)
	v_and_b32_e32 v6, 0xffff, v9
	v_and_b32_e32 v9, 0xffff, v63
	s_delay_alu instid0(VALU_DEP_2) | instskip(NEXT) | instid1(VALU_DEP_2)
	v_mul_u32_u24_e32 v6, 0xcccd, v6
	v_mul_u32_u24_e32 v9, 0xcccd, v9
	s_delay_alu instid0(VALU_DEP_2) | instskip(NEXT) | instid1(VALU_DEP_2)
	v_lshrrev_b32_e32 v6, 19, v6
	v_lshrrev_b32_e32 v9, 19, v9
	s_delay_alu instid0(VALU_DEP_1)
	v_cmp_ne_u16_e32 vcc_lo, v6, v9
	s_and_b32 s2, vcc_lo, exec_lo
.LBB438_109:
	s_or_b32 exec_lo, exec_lo, s3
	s_mov_b32 s28, -1
.LBB438_110:
                                        ; implicit-def: $vgpr20
                                        ; implicit-def: $sgpr0
.LBB438_111:
	v_mov_b32_e32 v25, s0
	s_and_saveexec_b32 s0, s28
.LBB438_112:
	v_cndmask_b32_e64 v25, 0, 1, s2
	v_mov_b32_e32 v20, v7
.LBB438_113:
	s_or_b32 exec_lo, exec_lo, s0
	s_delay_alu instid0(VALU_DEP_1)
	v_add3_u32 v5, v26, v25, v23
	v_cmp_eq_u32_e64 s12, 0, v26
	v_cmp_eq_u32_e64 s11, 0, v23
	;; [unrolled: 1-line block ×4, first 2 shown]
	v_add3_u32 v80, v5, v24, v21
	v_cmp_eq_u32_e64 s8, 0, v22
	v_cmp_eq_u32_e64 s7, 0, v17
	;; [unrolled: 1-line block ×9, first 2 shown]
	v_cmp_eq_u32_e32 vcc_lo, 0, v61
	v_mbcnt_lo_u32_b32 v77, -1, 0
	v_lshrrev_b32_e32 v78, 5, v0
	v_or_b32_e32 v79, 31, v0
	s_cmp_eq_u64 s[26:27], 0
	s_cselect_b32 s16, -1, 0
	s_cmp_lg_u32 s15, 0
	s_cbranch_scc0 .LBB438_139
; %bb.114:
	v_cndmask_b32_e64 v5, 0, v74, s12
	v_add3_u32 v6, v80, v22, v17
	s_waitcnt lgkmcnt(0)
	v_and_b32_e32 v9, 15, v77
	s_delay_alu instid0(VALU_DEP_3) | instskip(NEXT) | instid1(VALU_DEP_3)
	v_add_nc_u16 v5, v5, v73
	v_add3_u32 v6, v6, v18, v15
	s_delay_alu instid0(VALU_DEP_2) | instskip(NEXT) | instid1(VALU_DEP_2)
	v_cndmask_b32_e64 v5, 0, v5, s11
	v_add3_u32 v6, v6, v16, v13
	s_delay_alu instid0(VALU_DEP_2) | instskip(NEXT) | instid1(VALU_DEP_2)
	v_add_nc_u16 v5, v5, v75
	v_add3_u32 v6, v6, v14, v62
	s_delay_alu instid0(VALU_DEP_2) | instskip(NEXT) | instid1(VALU_DEP_2)
	v_cndmask_b32_e64 v5, 0, v5, s10
	v_add3_u32 v6, v6, v20, v61
	s_delay_alu instid0(VALU_DEP_2) | instskip(NEXT) | instid1(VALU_DEP_2)
	v_add_nc_u16 v5, v5, v71
	v_mov_b32_dpp v19, v6 row_shr:1 row_mask:0xf bank_mask:0xf
	s_delay_alu instid0(VALU_DEP_2) | instskip(NEXT) | instid1(VALU_DEP_1)
	v_cndmask_b32_e64 v5, 0, v5, s9
	v_add_nc_u16 v5, v5, v72
	s_delay_alu instid0(VALU_DEP_1) | instskip(NEXT) | instid1(VALU_DEP_1)
	v_cndmask_b32_e64 v5, 0, v5, s8
	v_add_nc_u16 v5, v5, v69
	s_delay_alu instid0(VALU_DEP_1) | instskip(NEXT) | instid1(VALU_DEP_1)
	;; [unrolled: 3-line block ×9, first 2 shown]
	v_cndmask_b32_e64 v5, 0, v5, s0
	v_add_nc_u16 v5, v5, v59
	s_delay_alu instid0(VALU_DEP_1) | instskip(SKIP_1) | instid1(VALU_DEP_2)
	v_cndmask_b32_e32 v5, 0, v5, vcc_lo
	v_cmp_eq_u32_e32 vcc_lo, 0, v6
	v_add_nc_u16 v5, v5, v76
	s_delay_alu instid0(VALU_DEP_1) | instskip(NEXT) | instid1(VALU_DEP_1)
	v_and_b32_e32 v7, 0xffff, v5
	v_mov_b32_dpp v8, v7 row_shr:1 row_mask:0xf bank_mask:0xf
	s_delay_alu instid0(VALU_DEP_1) | instskip(SKIP_1) | instid1(VALU_DEP_2)
	v_cndmask_b32_e32 v8, 0, v8, vcc_lo
	v_cmp_eq_u32_e32 vcc_lo, 0, v9
	v_add_nc_u16 v8, v8, v5
	v_cndmask_b32_e64 v19, v19, 0, vcc_lo
	s_delay_alu instid0(VALU_DEP_2) | instskip(NEXT) | instid1(VALU_DEP_2)
	v_and_b32_e32 v27, 0xffff, v8
	v_dual_cndmask_b32 v5, v8, v5 :: v_dual_add_nc_u32 v6, v19, v6
	s_delay_alu instid0(VALU_DEP_2) | instskip(NEXT) | instid1(VALU_DEP_2)
	v_cndmask_b32_e32 v7, v27, v7, vcc_lo
	v_cmp_eq_u32_e32 vcc_lo, 0, v6
	s_delay_alu instid0(VALU_DEP_2) | instskip(NEXT) | instid1(VALU_DEP_1)
	v_mov_b32_dpp v19, v7 row_shr:2 row_mask:0xf bank_mask:0xf
	v_cndmask_b32_e32 v8, 0, v19, vcc_lo
	v_mov_b32_dpp v19, v6 row_shr:2 row_mask:0xf bank_mask:0xf
	v_cmp_lt_u32_e32 vcc_lo, 1, v9
	s_delay_alu instid0(VALU_DEP_3) | instskip(NEXT) | instid1(VALU_DEP_1)
	v_add_nc_u16 v8, v8, v5
	v_and_b32_e32 v27, 0xffff, v8
	s_delay_alu instid0(VALU_DEP_4) | instskip(NEXT) | instid1(VALU_DEP_1)
	v_dual_cndmask_b32 v5, v5, v8 :: v_dual_cndmask_b32 v8, 0, v19
	v_dual_cndmask_b32 v7, v7, v27 :: v_dual_add_nc_u32 v6, v6, v8
	s_delay_alu instid0(VALU_DEP_1) | instskip(NEXT) | instid1(VALU_DEP_2)
	v_cmp_eq_u32_e32 vcc_lo, 0, v6
	v_mov_b32_dpp v8, v7 row_shr:4 row_mask:0xf bank_mask:0xf
	v_mov_b32_dpp v19, v6 row_shr:4 row_mask:0xf bank_mask:0xf
	s_delay_alu instid0(VALU_DEP_2) | instskip(SKIP_1) | instid1(VALU_DEP_2)
	v_cndmask_b32_e32 v8, 0, v8, vcc_lo
	v_cmp_lt_u32_e32 vcc_lo, 3, v9
	v_add_nc_u16 v8, v8, v5
	s_delay_alu instid0(VALU_DEP_1) | instskip(SKIP_1) | instid1(VALU_DEP_1)
	v_and_b32_e32 v27, 0xffff, v8
	v_dual_cndmask_b32 v5, v5, v8 :: v_dual_cndmask_b32 v8, 0, v19
	v_dual_cndmask_b32 v7, v7, v27 :: v_dual_add_nc_u32 v6, v8, v6
	s_delay_alu instid0(VALU_DEP_1) | instskip(NEXT) | instid1(VALU_DEP_2)
	v_mov_b32_dpp v8, v7 row_shr:8 row_mask:0xf bank_mask:0xf
	v_cmp_eq_u32_e32 vcc_lo, 0, v6
	v_mov_b32_dpp v19, v6 row_shr:8 row_mask:0xf bank_mask:0xf
	s_delay_alu instid0(VALU_DEP_3) | instskip(SKIP_1) | instid1(VALU_DEP_2)
	v_cndmask_b32_e32 v8, 0, v8, vcc_lo
	v_cmp_lt_u32_e32 vcc_lo, 7, v9
	v_add_nc_u16 v8, v8, v5
	s_delay_alu instid0(VALU_DEP_4) | instskip(SKIP_1) | instid1(VALU_DEP_3)
	v_cndmask_b32_e32 v9, 0, v19, vcc_lo
	v_bfe_i32 v19, v77, 4, 1
	v_cndmask_b32_e32 v5, v5, v8, vcc_lo
	v_and_b32_e32 v8, 0xffff, v8
	s_delay_alu instid0(VALU_DEP_4) | instskip(SKIP_1) | instid1(VALU_DEP_3)
	v_add_nc_u32_e32 v6, v9, v6
	v_and_b32_e32 v9, 16, v77
	v_cndmask_b32_e32 v7, v7, v8, vcc_lo
	ds_swizzle_b32 v8, v6 offset:swizzle(BROADCAST,32,15)
	v_cmp_ne_u32_e32 vcc_lo, 0, v9
	v_cmp_eq_u32_e64 s13, 0, v6
	ds_swizzle_b32 v7, v7 offset:swizzle(BROADCAST,32,15)
	s_and_b32 vcc_lo, vcc_lo, s13
	s_mov_b32 s13, exec_lo
	s_waitcnt lgkmcnt(0)
	v_dual_cndmask_b32 v7, 0, v7 :: v_dual_and_b32 v8, v19, v8
	s_delay_alu instid0(VALU_DEP_1) | instskip(NEXT) | instid1(VALU_DEP_2)
	v_add_nc_u32_e32 v6, v8, v6
	v_add_nc_u16 v5, v7, v5
	v_lshlrev_b32_e32 v7, 3, v78
	v_cmpx_eq_u32_e64 v79, v0
	s_cbranch_execz .LBB438_116
; %bb.115:
	ds_store_b32 v7, v6 offset:1040
	ds_store_b16 v7, v5 offset:1044
.LBB438_116:
	s_or_b32 exec_lo, exec_lo, s13
	s_delay_alu instid0(SALU_CYCLE_1)
	s_mov_b32 s14, exec_lo
	s_waitcnt lgkmcnt(0)
	s_barrier
	buffer_gl0_inv
	v_cmpx_gt_u32_e32 8, v0
	s_cbranch_execz .LBB438_118
; %bb.117:
	v_lshlrev_b32_e32 v19, 3, v0
	v_and_b32_e32 v30, 7, v77
	ds_load_b64 v[8:9], v19 offset:1040
	s_waitcnt lgkmcnt(0)
	v_mov_b32_dpp v27, v9 row_shr:1 row_mask:0xf bank_mask:0xf
	v_cmp_eq_u32_e32 vcc_lo, 0, v8
	v_mov_b32_dpp v31, v8 row_shr:1 row_mask:0xf bank_mask:0xf
	s_delay_alu instid0(VALU_DEP_3) | instskip(SKIP_1) | instid1(VALU_DEP_2)
	v_dual_cndmask_b32 v27, 0, v27 :: v_dual_and_b32 v28, 0xffff0000, v9
	v_cmp_eq_u32_e32 vcc_lo, 0, v30
	v_add_nc_u16 v27, v27, v9
	s_delay_alu instid0(VALU_DEP_4) | instskip(NEXT) | instid1(VALU_DEP_2)
	v_cndmask_b32_e64 v31, v31, 0, vcc_lo
	v_and_b32_e32 v29, 0xffff, v27
	s_delay_alu instid0(VALU_DEP_2) | instskip(NEXT) | instid1(VALU_DEP_2)
	v_add_nc_u32_e32 v8, v31, v8
	v_or_b32_e32 v29, v28, v29
	s_delay_alu instid0(VALU_DEP_1) | instskip(SKIP_1) | instid1(VALU_DEP_4)
	v_cndmask_b32_e32 v29, v29, v9, vcc_lo
	v_cndmask_b32_e32 v9, v27, v9, vcc_lo
	v_cmp_eq_u32_e32 vcc_lo, 0, v8
	s_delay_alu instid0(VALU_DEP_3) | instskip(NEXT) | instid1(VALU_DEP_1)
	v_mov_b32_dpp v31, v29 row_shr:2 row_mask:0xf bank_mask:0xf
	v_cndmask_b32_e32 v27, 0, v31, vcc_lo
	v_mov_b32_dpp v31, v8 row_shr:2 row_mask:0xf bank_mask:0xf
	v_cmp_lt_u32_e32 vcc_lo, 1, v30
	v_cmp_lt_u32_e64 s13, 3, v30
	s_delay_alu instid0(VALU_DEP_4) | instskip(NEXT) | instid1(VALU_DEP_1)
	v_add_nc_u16 v27, v27, v9
	v_and_b32_e32 v32, 0xffff, v27
	v_cndmask_b32_e32 v9, v9, v27, vcc_lo
	v_cndmask_b32_e32 v27, 0, v31, vcc_lo
	s_delay_alu instid0(VALU_DEP_3) | instskip(NEXT) | instid1(VALU_DEP_2)
	v_or_b32_e32 v28, v28, v32
	v_add_nc_u32_e32 v8, v27, v8
	s_delay_alu instid0(VALU_DEP_2) | instskip(NEXT) | instid1(VALU_DEP_2)
	v_cndmask_b32_e32 v27, v29, v28, vcc_lo
	v_cmp_eq_u32_e32 vcc_lo, 0, v8
	v_mov_b32_dpp v28, v8 row_shr:4 row_mask:0xf bank_mask:0xf
	s_delay_alu instid0(VALU_DEP_3) | instskip(SKIP_1) | instid1(VALU_DEP_2)
	v_mov_b32_dpp v27, v27 row_shr:4 row_mask:0xf bank_mask:0xf
	s_and_b32 vcc_lo, s13, vcc_lo
	v_cndmask_b32_e64 v28, 0, v28, s13
	s_delay_alu instid0(VALU_DEP_1) | instskip(NEXT) | instid1(VALU_DEP_1)
	v_dual_cndmask_b32 v27, 0, v27 :: v_dual_add_nc_u32 v8, v28, v8
	v_add_nc_u16 v9, v9, v27
	ds_store_b32 v19, v8 offset:1040
	ds_store_b16 v19, v9 offset:1044
.LBB438_118:
	s_or_b32 exec_lo, exec_lo, s14
	v_cmp_gt_u32_e32 vcc_lo, 32, v0
	v_mov_b32_e32 v31, 0
	v_mov_b32_e32 v19, 0
	s_mov_b32 s14, exec_lo
	s_waitcnt lgkmcnt(0)
	s_barrier
	buffer_gl0_inv
	v_cmpx_lt_u32_e32 31, v0
	s_cbranch_execz .LBB438_120
; %bb.119:
	ds_load_u16 v19, v7 offset:1036
	ds_load_b32 v31, v7 offset:1032
	v_cmp_eq_u32_e64 s13, 0, v6
	s_waitcnt lgkmcnt(1)
	s_delay_alu instid0(VALU_DEP_1) | instskip(SKIP_2) | instid1(VALU_DEP_2)
	v_cndmask_b32_e64 v7, 0, v19, s13
	s_waitcnt lgkmcnt(0)
	v_add_nc_u32_e32 v6, v31, v6
	v_add_nc_u16 v5, v7, v5
.LBB438_120:
	s_or_b32 exec_lo, exec_lo, s14
	v_add_nc_u32_e32 v7, -1, v77
	s_delay_alu instid0(VALU_DEP_2) | instskip(NEXT) | instid1(VALU_DEP_2)
	v_and_b32_e32 v5, 0xffff, v5
	v_cmp_gt_i32_e64 s13, 0, v7
	s_delay_alu instid0(VALU_DEP_1) | instskip(SKIP_1) | instid1(VALU_DEP_2)
	v_cndmask_b32_e64 v7, v7, v77, s13
	v_cmp_eq_u32_e64 s13, 0, v77
	v_lshlrev_b32_e32 v7, 2, v7
	ds_bpermute_b32 v32, v7, v6
	ds_bpermute_b32 v33, v7, v5
	s_and_saveexec_b32 s17, vcc_lo
	s_cbranch_execz .LBB438_138
; %bb.121:
	v_mov_b32_e32 v8, 0
	ds_load_b64 v[5:6], v8 offset:1096
	s_waitcnt lgkmcnt(0)
	v_readfirstlane_b32 s21, v6
	s_and_saveexec_b32 s14, s13
	s_cbranch_execz .LBB438_123
; %bb.122:
	s_add_i32 s26, s15, 32
	s_mov_b32 s27, 0
	v_mov_b32_e32 v7, 1
	s_lshl_b64 s[28:29], s[26:27], 4
	s_mov_b32 s30, s27
	s_add_u32 s28, s24, s28
	s_addc_u32 s29, s25, s29
	s_and_b32 s31, s21, 0xff000000
	s_and_b32 s41, s21, 0xff0000
	s_mov_b32 s40, s27
	v_dual_mov_b32 v27, s28 :: v_dual_mov_b32 v28, s29
	s_or_b64 s[30:31], s[40:41], s[30:31]
	s_and_b32 s41, s21, 0xff00
	s_delay_alu instid0(SALU_CYCLE_1) | instskip(SKIP_1) | instid1(SALU_CYCLE_1)
	s_or_b64 s[30:31], s[30:31], s[40:41]
	s_and_b32 s41, s21, 0xff
	s_or_b64 s[26:27], s[30:31], s[40:41]
	s_delay_alu instid0(SALU_CYCLE_1)
	v_mov_b32_e32 v6, s27
	;;#ASMSTART
	global_store_dwordx4 v[27:28], v[5:8] off	
s_waitcnt vmcnt(0)
	;;#ASMEND
.LBB438_123:
	s_or_b32 exec_lo, exec_lo, s14
	v_xad_u32 v27, v77, -1, s15
	s_mov_b32 s26, 0
	s_mov_b32 s14, exec_lo
	s_delay_alu instid0(VALU_DEP_1) | instskip(NEXT) | instid1(VALU_DEP_1)
	v_add_nc_u32_e32 v7, 32, v27
	v_lshlrev_b64 v[6:7], 4, v[7:8]
	s_delay_alu instid0(VALU_DEP_1) | instskip(NEXT) | instid1(VALU_DEP_2)
	v_add_co_u32 v28, vcc_lo, s24, v6
	v_add_co_ci_u32_e32 v29, vcc_lo, s25, v7, vcc_lo
	;;#ASMSTART
	global_load_dwordx4 v[6:9], v[28:29] off glc	
s_waitcnt vmcnt(0)
	;;#ASMEND
	v_and_b32_e32 v9, 0xffffff, v6
	v_and_b32_e32 v6, 0xff000000, v6
	;; [unrolled: 1-line block ×4, first 2 shown]
	s_delay_alu instid0(VALU_DEP_3) | instskip(SKIP_1) | instid1(VALU_DEP_3)
	v_or_b32_e32 v6, v9, v6
	v_and_b32_e32 v9, 0xff, v8
	v_or3_b32 v7, 0, v30, v7
	s_delay_alu instid0(VALU_DEP_3) | instskip(NEXT) | instid1(VALU_DEP_3)
	v_or3_b32 v6, v6, 0, 0
	v_cmpx_eq_u16_e32 0, v9
	s_cbranch_execz .LBB438_126
.LBB438_124:                            ; =>This Inner Loop Header: Depth=1
	;;#ASMSTART
	global_load_dwordx4 v[6:9], v[28:29] off glc	
s_waitcnt vmcnt(0)
	;;#ASMEND
	v_and_b32_e32 v9, 0xff, v8
	s_delay_alu instid0(VALU_DEP_1) | instskip(SKIP_1) | instid1(SALU_CYCLE_1)
	v_cmp_ne_u16_e32 vcc_lo, 0, v9
	s_or_b32 s26, vcc_lo, s26
	s_and_not1_b32 exec_lo, exec_lo, s26
	s_cbranch_execnz .LBB438_124
; %bb.125:
	s_or_b32 exec_lo, exec_lo, s26
	v_and_b32_e32 v7, 0xffff, v7
.LBB438_126:
	s_or_b32 exec_lo, exec_lo, s14
	v_cmp_ne_u32_e32 vcc_lo, 31, v77
	v_cmp_eq_u32_e64 s14, 0, v6
	v_lshlrev_b32_e64 v35, v77, -1
	v_add_nc_u32_e32 v43, 8, v77
	v_add_nc_u32_e32 v45, 16, v77
	v_add_co_ci_u32_e32 v9, vcc_lo, 0, v77, vcc_lo
	s_delay_alu instid0(VALU_DEP_1) | instskip(SKIP_4) | instid1(VALU_DEP_1)
	v_lshlrev_b32_e32 v34, 2, v9
	ds_bpermute_b32 v9, v34, v7
	ds_bpermute_b32 v30, v34, v6
	s_waitcnt lgkmcnt(1)
	v_cndmask_b32_e64 v9, 0, v9, s14
	v_add_nc_u16 v9, v9, v7
	v_and_b32_e32 v28, 0xff, v8
	s_delay_alu instid0(VALU_DEP_2) | instskip(NEXT) | instid1(VALU_DEP_2)
	v_and_b32_e32 v37, 0xffff, v9
	v_cmp_eq_u16_e32 vcc_lo, 2, v28
	v_and_or_b32 v28, vcc_lo, v35, 0x80000000
	v_cmp_gt_u32_e32 vcc_lo, 30, v77
	s_delay_alu instid0(VALU_DEP_2) | instskip(SKIP_1) | instid1(VALU_DEP_2)
	v_ctz_i32_b32_e32 v28, v28
	v_cndmask_b32_e64 v29, 0, 1, vcc_lo
	v_cmp_lt_u32_e32 vcc_lo, v77, v28
	s_waitcnt lgkmcnt(0)
	s_delay_alu instid0(VALU_DEP_2) | instskip(NEXT) | instid1(VALU_DEP_1)
	v_dual_cndmask_b32 v30, 0, v30 :: v_dual_lshlrev_b32 v29, 1, v29
	v_add_lshl_u32 v36, v29, v77, 2
	v_cndmask_b32_e32 v9, v7, v9, vcc_lo
	v_cndmask_b32_e32 v7, v7, v37, vcc_lo
	v_add_nc_u32_e32 v37, 2, v77
	v_add_nc_u32_e32 v6, v30, v6
	ds_bpermute_b32 v29, v36, v7
	v_cmp_eq_u32_e32 vcc_lo, 0, v6
	ds_bpermute_b32 v39, v36, v6
	s_waitcnt lgkmcnt(1)
	v_cndmask_b32_e32 v29, 0, v29, vcc_lo
	v_cmp_gt_u32_e32 vcc_lo, 28, v77
	v_cndmask_b32_e64 v30, 0, 1, vcc_lo
	v_cmp_gt_u32_e32 vcc_lo, v37, v28
	s_delay_alu instid0(VALU_DEP_2) | instskip(SKIP_1) | instid1(VALU_DEP_2)
	v_lshlrev_b32_e32 v30, 2, v30
	v_add_nc_u16 v29, v29, v9
	v_add_lshl_u32 v38, v30, v77, 2
	s_delay_alu instid0(VALU_DEP_2) | instskip(SKIP_4) | instid1(VALU_DEP_3)
	v_and_b32_e32 v40, 0xffff, v29
	s_waitcnt lgkmcnt(0)
	v_cndmask_b32_e64 v30, v39, 0, vcc_lo
	v_cndmask_b32_e32 v9, v29, v9, vcc_lo
	v_add_nc_u32_e32 v39, 4, v77
	v_dual_cndmask_b32 v7, v40, v7 :: v_dual_add_nc_u32 v6, v6, v30
	ds_bpermute_b32 v29, v38, v7
	v_cmp_eq_u32_e32 vcc_lo, 0, v6
	ds_bpermute_b32 v40, v38, v6
	s_waitcnt lgkmcnt(1)
	v_cndmask_b32_e32 v29, 0, v29, vcc_lo
	v_cmp_gt_u32_e32 vcc_lo, 24, v77
	v_cndmask_b32_e64 v30, 0, 1, vcc_lo
	v_cmp_gt_u32_e32 vcc_lo, v39, v28
	s_delay_alu instid0(VALU_DEP_2) | instskip(SKIP_1) | instid1(VALU_DEP_2)
	v_lshlrev_b32_e32 v30, 3, v30
	v_add_nc_u16 v29, v9, v29
	v_add_lshl_u32 v41, v30, v77, 2
	s_delay_alu instid0(VALU_DEP_2) | instskip(SKIP_3) | instid1(VALU_DEP_3)
	v_and_b32_e32 v42, 0xffff, v29
	s_waitcnt lgkmcnt(0)
	v_cndmask_b32_e64 v30, v40, 0, vcc_lo
	v_cndmask_b32_e32 v9, v29, v9, vcc_lo
	v_cndmask_b32_e32 v7, v42, v7, vcc_lo
	s_delay_alu instid0(VALU_DEP_3)
	v_add_nc_u32_e32 v6, v6, v30
	ds_bpermute_b32 v29, v41, v7
	v_cmp_eq_u32_e32 vcc_lo, 0, v6
	ds_bpermute_b32 v30, v41, v6
	s_waitcnt lgkmcnt(1)
	v_cndmask_b32_e32 v29, 0, v29, vcc_lo
	v_cmp_gt_u32_e32 vcc_lo, 16, v77
	v_cndmask_b32_e64 v40, 0, 1, vcc_lo
	v_cmp_gt_u32_e32 vcc_lo, v43, v28
	s_delay_alu instid0(VALU_DEP_2) | instskip(SKIP_1) | instid1(VALU_DEP_2)
	v_lshlrev_b32_e32 v40, 4, v40
	v_add_nc_u16 v29, v9, v29
	v_add_lshl_u32 v44, v40, v77, 2
	s_delay_alu instid0(VALU_DEP_2) | instskip(SKIP_3) | instid1(VALU_DEP_3)
	v_and_b32_e32 v42, 0xffff, v29
	v_cndmask_b32_e32 v9, v29, v9, vcc_lo
	s_waitcnt lgkmcnt(0)
	v_cndmask_b32_e64 v29, v30, 0, vcc_lo
	v_cndmask_b32_e32 v7, v42, v7, vcc_lo
	s_delay_alu instid0(VALU_DEP_2)
	v_add_nc_u32_e32 v6, v6, v29
	ds_bpermute_b32 v7, v44, v7
	ds_bpermute_b32 v29, v44, v6
	v_cmp_eq_u32_e32 vcc_lo, 0, v6
	s_waitcnt lgkmcnt(1)
	v_cndmask_b32_e32 v7, 0, v7, vcc_lo
	v_cmp_gt_u32_e32 vcc_lo, v45, v28
	s_delay_alu instid0(VALU_DEP_2) | instskip(SKIP_2) | instid1(VALU_DEP_1)
	v_cndmask_b32_e64 v7, v7, 0, vcc_lo
	s_waitcnt lgkmcnt(0)
	v_cndmask_b32_e64 v28, v29, 0, vcc_lo
	v_add_nc_u32_e32 v6, v28, v6
	s_delay_alu instid0(VALU_DEP_3)
	v_add_nc_u16 v7, v9, v7
	v_mov_b32_e32 v28, 0
	s_branch .LBB438_128
.LBB438_127:                            ;   in Loop: Header=BB438_128 Depth=1
	s_or_b32 exec_lo, exec_lo, s14
	ds_bpermute_b32 v9, v34, v7
	ds_bpermute_b32 v30, v34, v6
	v_and_b32_e32 v29, 0xff, v8
	v_cmp_eq_u32_e64 s14, 0, v6
	v_subrev_nc_u32_e32 v27, 32, v27
	s_delay_alu instid0(VALU_DEP_3) | instskip(SKIP_1) | instid1(VALU_DEP_1)
	v_cmp_eq_u16_e32 vcc_lo, 2, v29
	v_and_or_b32 v29, vcc_lo, v35, 0x80000000
	v_ctz_i32_b32_e32 v29, v29
	s_waitcnt lgkmcnt(1)
	v_cndmask_b32_e64 v9, 0, v9, s14
	s_delay_alu instid0(VALU_DEP_2) | instskip(NEXT) | instid1(VALU_DEP_2)
	v_cmp_lt_u32_e32 vcc_lo, v77, v29
	v_add_nc_u16 v9, v9, v7
	s_waitcnt lgkmcnt(0)
	v_cndmask_b32_e32 v30, 0, v30, vcc_lo
	s_delay_alu instid0(VALU_DEP_2) | instskip(NEXT) | instid1(VALU_DEP_2)
	v_and_b32_e32 v46, 0xffff, v9
	v_dual_cndmask_b32 v9, v7, v9 :: v_dual_add_nc_u32 v6, v30, v6
	s_delay_alu instid0(VALU_DEP_2) | instskip(NEXT) | instid1(VALU_DEP_2)
	v_cndmask_b32_e32 v7, v7, v46, vcc_lo
	v_cmp_eq_u32_e32 vcc_lo, 0, v6
	ds_bpermute_b32 v46, v36, v7
	s_waitcnt lgkmcnt(0)
	v_cndmask_b32_e32 v30, 0, v46, vcc_lo
	ds_bpermute_b32 v46, v36, v6
	v_cmp_gt_u32_e32 vcc_lo, v37, v29
	v_add_nc_u16 v30, v30, v9
	s_delay_alu instid0(VALU_DEP_1) | instskip(SKIP_1) | instid1(VALU_DEP_2)
	v_and_b32_e32 v47, 0xffff, v30
	v_cndmask_b32_e32 v9, v30, v9, vcc_lo
	v_cndmask_b32_e32 v7, v47, v7, vcc_lo
	ds_bpermute_b32 v30, v38, v7
	s_waitcnt lgkmcnt(1)
	v_cndmask_b32_e64 v46, v46, 0, vcc_lo
	s_delay_alu instid0(VALU_DEP_1) | instskip(NEXT) | instid1(VALU_DEP_1)
	v_add_nc_u32_e32 v6, v6, v46
	v_cmp_eq_u32_e32 vcc_lo, 0, v6
	ds_bpermute_b32 v46, v38, v6
	s_waitcnt lgkmcnt(1)
	v_cndmask_b32_e32 v30, 0, v30, vcc_lo
	v_cmp_gt_u32_e32 vcc_lo, v39, v29
	s_delay_alu instid0(VALU_DEP_2) | instskip(NEXT) | instid1(VALU_DEP_1)
	v_add_nc_u16 v30, v9, v30
	v_and_b32_e32 v47, 0xffff, v30
	v_cndmask_b32_e32 v9, v30, v9, vcc_lo
	s_waitcnt lgkmcnt(0)
	v_cndmask_b32_e64 v46, v46, 0, vcc_lo
	s_delay_alu instid0(VALU_DEP_1)
	v_dual_cndmask_b32 v7, v47, v7 :: v_dual_add_nc_u32 v6, v6, v46
	ds_bpermute_b32 v30, v41, v7
	v_cmp_eq_u32_e32 vcc_lo, 0, v6
	ds_bpermute_b32 v46, v41, v6
	s_waitcnt lgkmcnt(1)
	v_cndmask_b32_e32 v30, 0, v30, vcc_lo
	v_cmp_gt_u32_e32 vcc_lo, v43, v29
	s_delay_alu instid0(VALU_DEP_2) | instskip(NEXT) | instid1(VALU_DEP_1)
	v_add_nc_u16 v30, v9, v30
	v_and_b32_e32 v47, 0xffff, v30
	v_cndmask_b32_e32 v9, v30, v9, vcc_lo
	s_waitcnt lgkmcnt(0)
	v_cndmask_b32_e64 v30, v46, 0, vcc_lo
	s_delay_alu instid0(VALU_DEP_1)
	v_dual_cndmask_b32 v7, v47, v7 :: v_dual_add_nc_u32 v6, v6, v30
	ds_bpermute_b32 v7, v44, v7
	ds_bpermute_b32 v30, v44, v6
	v_cmp_eq_u32_e32 vcc_lo, 0, v6
	s_waitcnt lgkmcnt(1)
	v_cndmask_b32_e32 v7, 0, v7, vcc_lo
	v_cmp_gt_u32_e32 vcc_lo, v45, v29
	s_delay_alu instid0(VALU_DEP_2) | instskip(NEXT) | instid1(VALU_DEP_1)
	v_cndmask_b32_e64 v7, v7, 0, vcc_lo
	v_add_nc_u16 v7, v9, v7
	s_waitcnt lgkmcnt(0)
	v_cndmask_b32_e64 v9, v30, 0, vcc_lo
	v_cmp_eq_u32_e32 vcc_lo, 0, v42
	s_delay_alu instid0(VALU_DEP_3) | instskip(NEXT) | instid1(VALU_DEP_3)
	v_cndmask_b32_e32 v7, 0, v7, vcc_lo
	v_add3_u32 v6, v6, v42, v9
	s_delay_alu instid0(VALU_DEP_2)
	v_add_nc_u16 v7, v7, v40
.LBB438_128:                            ; =>This Loop Header: Depth=1
                                        ;     Child Loop BB438_131 Depth 2
	v_and_b32_e32 v8, 0xff, v8
	s_delay_alu instid0(VALU_DEP_2) | instskip(NEXT) | instid1(VALU_DEP_4)
	v_mov_b32_e32 v40, v7
	v_mov_b32_e32 v42, v6
	s_delay_alu instid0(VALU_DEP_3) | instskip(SKIP_2) | instid1(VALU_DEP_1)
	v_cmp_ne_u16_e32 vcc_lo, 2, v8
	v_cndmask_b32_e64 v8, 0, 1, vcc_lo
	;;#ASMSTART
	;;#ASMEND
	v_cmp_ne_u32_e32 vcc_lo, 0, v8
	s_cmp_lg_u32 vcc_lo, exec_lo
	s_cbranch_scc1 .LBB438_133
; %bb.129:                              ;   in Loop: Header=BB438_128 Depth=1
	v_lshlrev_b64 v[6:7], 4, v[27:28]
	s_mov_b32 s14, exec_lo
	s_delay_alu instid0(VALU_DEP_1) | instskip(NEXT) | instid1(VALU_DEP_2)
	v_add_co_u32 v29, vcc_lo, s24, v6
	v_add_co_ci_u32_e32 v30, vcc_lo, s25, v7, vcc_lo
	;;#ASMSTART
	global_load_dwordx4 v[6:9], v[29:30] off glc	
s_waitcnt vmcnt(0)
	;;#ASMEND
	v_and_b32_e32 v9, 0xffffff, v6
	v_and_b32_e32 v6, 0xff000000, v6
	;; [unrolled: 1-line block ×4, first 2 shown]
	s_delay_alu instid0(VALU_DEP_3) | instskip(SKIP_1) | instid1(VALU_DEP_3)
	v_or_b32_e32 v6, v9, v6
	v_and_b32_e32 v9, 0xff, v8
	v_or3_b32 v7, 0, v46, v7
	s_delay_alu instid0(VALU_DEP_3) | instskip(NEXT) | instid1(VALU_DEP_3)
	v_or3_b32 v6, v6, 0, 0
	v_cmpx_eq_u16_e32 0, v9
	s_cbranch_execz .LBB438_127
; %bb.130:                              ;   in Loop: Header=BB438_128 Depth=1
	s_mov_b32 s26, 0
.LBB438_131:                            ;   Parent Loop BB438_128 Depth=1
                                        ; =>  This Inner Loop Header: Depth=2
	;;#ASMSTART
	global_load_dwordx4 v[6:9], v[29:30] off glc	
s_waitcnt vmcnt(0)
	;;#ASMEND
	v_and_b32_e32 v9, 0xff, v8
	s_delay_alu instid0(VALU_DEP_1) | instskip(SKIP_1) | instid1(SALU_CYCLE_1)
	v_cmp_ne_u16_e32 vcc_lo, 0, v9
	s_or_b32 s26, vcc_lo, s26
	s_and_not1_b32 exec_lo, exec_lo, s26
	s_cbranch_execnz .LBB438_131
; %bb.132:                              ;   in Loop: Header=BB438_128 Depth=1
	s_or_b32 exec_lo, exec_lo, s26
	v_and_b32_e32 v7, 0xffff, v7
	s_branch .LBB438_127
.LBB438_133:                            ;   in Loop: Header=BB438_128 Depth=1
                                        ; implicit-def: $vgpr7
                                        ; implicit-def: $vgpr6
                                        ; implicit-def: $vgpr8
	s_cbranch_execz .LBB438_128
; %bb.134:
	s_and_saveexec_b32 s14, s13
	s_cbranch_execz .LBB438_136
; %bb.135:
	v_cmp_eq_u32_e32 vcc_lo, 0, v5
	s_mov_b32 s27, 0
	s_add_i32 s26, s15, 32
	v_add_nc_u32_e64 v29, 0x400, 0
	s_lshl_b64 s[26:27], s[26:27], 4
	v_dual_cndmask_b32 v6, 0, v40 :: v_dual_mov_b32 v9, 0
	s_add_u32 s26, s24, s26
	s_addc_u32 s27, s25, s27
	v_mov_b32_e32 v30, s21
	s_delay_alu instid0(VALU_DEP_2) | instskip(SKIP_1) | instid1(VALU_DEP_2)
	v_add_nc_u16 v7, v6, s21
	v_add_nc_u32_e32 v6, v42, v5
	v_dual_mov_b32 v8, 2 :: v_dual_and_b32 v27, 0xff00, v7
	v_and_b32_e32 v7, 0xff, v7
	s_delay_alu instid0(VALU_DEP_1)
	v_or_b32_e32 v7, v27, v7
	v_dual_mov_b32 v28, s27 :: v_dual_mov_b32 v27, s26
	;;#ASMSTART
	global_store_dwordx4 v[27:28], v[6:9] off	
s_waitcnt vmcnt(0)
	;;#ASMEND
	ds_store_2addr_b32 v29, v5, v42 offset1:2
	ds_store_b16 v9, v30 offset:1028
	ds_store_b16 v9, v40 offset:1036
.LBB438_136:
	s_or_b32 exec_lo, exec_lo, s14
	v_cmp_eq_u32_e32 vcc_lo, 0, v0
	s_and_b32 exec_lo, exec_lo, vcc_lo
	s_cbranch_execz .LBB438_138
; %bb.137:
	v_mov_b32_e32 v5, 0
	ds_store_b32 v5, v42 offset:1096
	ds_store_b16 v5, v40 offset:1100
.LBB438_138:
	s_or_b32 exec_lo, exec_lo, s17
	v_mov_b32_e32 v7, 0
	s_waitcnt lgkmcnt(0)
	s_barrier
	buffer_gl0_inv
	v_cndmask_b32_e64 v8, v32, v31, s13
	ds_load_b64 v[5:6], v7 offset:1096
	v_cndmask_b32_e64 v9, v33, v19, s13
	v_cmp_eq_u32_e64 s13, 0, v25
	s_waitcnt lgkmcnt(0)
	v_cmp_eq_u32_e32 vcc_lo, 0, v8
	s_barrier
	buffer_gl0_inv
	v_cndmask_b32_e32 v19, 0, v6, vcc_lo
	v_cmp_eq_u32_e32 vcc_lo, 0, v0
	s_delay_alu instid0(VALU_DEP_2) | instskip(NEXT) | instid1(VALU_DEP_1)
	v_add_nc_u16 v9, v19, v9
	v_cndmask_b32_e32 v9, v9, v6, vcc_lo
	s_delay_alu instid0(VALU_DEP_1) | instskip(NEXT) | instid1(VALU_DEP_1)
	v_cndmask_b32_e64 v6, 0, v9, s13
	v_add_nc_u16 v19, v6, v74
	s_delay_alu instid0(VALU_DEP_1) | instskip(SKIP_2) | instid1(VALU_DEP_2)
	v_and_b32_e32 v50, 0xffff, v19
	v_cndmask_b32_e64 v6, 0, v19, s12
	v_and_b32_e32 v56, 0xffff, v9
	v_add_nc_u16 v27, v6, v73
	s_delay_alu instid0(VALU_DEP_1) | instskip(SKIP_1) | instid1(VALU_DEP_2)
	v_cndmask_b32_e64 v6, 0, v27, s11
	v_and_b32_e32 v52, 0xffff, v27
	v_add_nc_u16 v28, v6, v75
	s_delay_alu instid0(VALU_DEP_1) | instskip(SKIP_1) | instid1(VALU_DEP_2)
	;; [unrolled: 4-line block ×3, first 2 shown]
	v_cndmask_b32_e64 v6, 0, v29, s9
	v_and_b32_e32 v36, 0xffff, v29
	v_add_nc_u16 v30, v6, v72
	s_delay_alu instid0(VALU_DEP_1) | instskip(NEXT) | instid1(VALU_DEP_1)
	v_cndmask_b32_e64 v6, 0, v30, s8
	v_add_nc_u16 v34, v6, v69
	v_cndmask_b32_e64 v6, v8, 0, vcc_lo
	s_delay_alu instid0(VALU_DEP_2) | instskip(NEXT) | instid1(VALU_DEP_2)
	v_cndmask_b32_e64 v8, 0, v34, s7
	v_add_nc_u32_e32 v55, v5, v6
	v_and_b32_e32 v34, 0xffff, v34
	s_delay_alu instid0(VALU_DEP_3) | instskip(NEXT) | instid1(VALU_DEP_3)
	v_add_nc_u16 v38, v8, v70
	v_add_nc_u32_e32 v49, v55, v25
	s_delay_alu instid0(VALU_DEP_2) | instskip(NEXT) | instid1(VALU_DEP_2)
	v_cndmask_b32_e64 v5, 0, v38, s6
	v_add_nc_u32_e32 v51, v49, v26
	v_and_b32_e32 v54, 0xffff, v38
	s_delay_alu instid0(VALU_DEP_3) | instskip(NEXT) | instid1(VALU_DEP_3)
	v_add_nc_u16 v40, v5, v67
	v_add_nc_u32_e32 v47, v51, v23
	;; [unrolled: 7-line block ×4, first 2 shown]
	ds_load_b128 v[5:8], v7 offset:1024
	v_cndmask_b32_e64 v32, 0, v44, s3
	v_add_nc_u32_e32 v57, v53, v18
	v_and_b32_e32 v44, 0xffff, v44
	s_delay_alu instid0(VALU_DEP_3) | instskip(NEXT) | instid1(VALU_DEP_3)
	v_add_nc_u16 v81, v32, v65
	v_add_nc_u32_e32 v45, v57, v15
	s_delay_alu instid0(VALU_DEP_2) | instskip(NEXT) | instid1(VALU_DEP_2)
	v_cndmask_b32_e64 v32, 0, v81, s2
	v_add_nc_u32_e32 v43, v45, v16
	v_and_b32_e32 v38, 0xffff, v81
	s_delay_alu instid0(VALU_DEP_3) | instskip(NEXT) | instid1(VALU_DEP_3)
	v_add_nc_u16 v82, v32, v64
	v_add_nc_u32_e32 v37, v43, v13
	s_waitcnt lgkmcnt(0)
	v_cmp_eq_u32_e32 vcc_lo, 0, v5
	v_and_b32_e32 v32, 0xffff, v30
	v_cndmask_b32_e64 v9, 0, v82, s1
	v_dual_cndmask_b32 v8, 0, v8 :: v_dual_add_nc_u32 v41, v37, v14
	v_and_b32_e32 v42, 0xffff, v82
	s_delay_alu instid0(VALU_DEP_3) | instskip(NEXT) | instid1(VALU_DEP_3)
	v_add_nc_u16 v9, v9, v60
	v_add_nc_u32_e32 v39, v41, v62
	s_delay_alu instid0(VALU_DEP_2) | instskip(NEXT) | instid1(VALU_DEP_2)
	v_cndmask_b32_e64 v19, 0, v9, s0
	v_add_nc_u32_e32 v29, v39, v20
	v_and_b32_e32 v40, 0xffff, v9
	s_delay_alu instid0(VALU_DEP_3) | instskip(NEXT) | instid1(VALU_DEP_1)
	v_add_nc_u16 v19, v19, v59
	v_and_b32_e32 v30, 0xffff, v19
	v_add_nc_u32_e32 v19, v8, v6
	s_branch .LBB438_151
.LBB438_139:
                                        ; implicit-def: $vgpr5
                                        ; implicit-def: $vgpr19
                                        ; implicit-def: $vgpr55_vgpr56
                                        ; implicit-def: $vgpr49_vgpr50
                                        ; implicit-def: $vgpr51_vgpr52
                                        ; implicit-def: $vgpr47_vgpr48
                                        ; implicit-def: $vgpr35_vgpr36
                                        ; implicit-def: $vgpr31_vgpr32
                                        ; implicit-def: $vgpr33_vgpr34
                                        ; implicit-def: $vgpr53_vgpr54
                                        ; implicit-def: $vgpr57_vgpr58
                                        ; implicit-def: $vgpr45_vgpr46
                                        ; implicit-def: $vgpr43_vgpr44
                                        ; implicit-def: $vgpr37_vgpr38
                                        ; implicit-def: $vgpr41_vgpr42
                                        ; implicit-def: $vgpr39_vgpr40
                                        ; implicit-def: $vgpr29_vgpr30
	s_cbranch_execz .LBB438_151
; %bb.140:
	s_and_b32 s0, s16, exec_lo
	v_mov_b32_e32 v6, v74
	s_cselect_b32 s1, 0, s35
	s_cselect_b32 s0, 0, s34
	s_delay_alu instid0(SALU_CYCLE_1)
	s_cmp_eq_u64 s[0:1], 0
	s_cbranch_scc1 .LBB438_142
; %bb.141:
	v_mov_b32_e32 v5, 0
	global_load_u16 v6, v5, s[0:1]
.LBB438_142:
	v_cmp_eq_u32_e64 s11, 0, v26
	v_cmp_eq_u32_e64 s10, 0, v23
	;; [unrolled: 1-line block ×5, first 2 shown]
	v_cndmask_b32_e64 v5, 0, v74, s11
	v_cmp_eq_u32_e64 s7, 0, v17
	v_cmp_eq_u32_e64 s5, 0, v18
	;; [unrolled: 1-line block ×4, first 2 shown]
	v_add_nc_u16 v5, v5, v73
	v_cmp_eq_u32_e64 s2, 0, v13
	v_cmp_eq_u32_e64 s1, 0, v14
	;; [unrolled: 1-line block ×3, first 2 shown]
	v_cmp_eq_u32_e32 vcc_lo, 0, v20
	v_cndmask_b32_e64 v5, 0, v5, s10
	v_add3_u32 v7, v80, v22, v17
	v_cmp_eq_u32_e64 s12, 0, v61
	v_and_b32_e32 v19, 15, v77
	s_delay_alu instid0(VALU_DEP_4) | instskip(NEXT) | instid1(VALU_DEP_4)
	v_add_nc_u16 v5, v5, v75
	v_add3_u32 v7, v7, v18, v15
	s_delay_alu instid0(VALU_DEP_2) | instskip(NEXT) | instid1(VALU_DEP_2)
	v_cndmask_b32_e64 v5, 0, v5, s9
	v_add3_u32 v7, v7, v16, v13
	s_delay_alu instid0(VALU_DEP_2) | instskip(NEXT) | instid1(VALU_DEP_2)
	v_add_nc_u16 v5, v5, v71
	v_add3_u32 v7, v7, v14, v62
	s_delay_alu instid0(VALU_DEP_2) | instskip(NEXT) | instid1(VALU_DEP_2)
	v_cndmask_b32_e64 v5, 0, v5, s8
	v_add3_u32 v7, v7, v20, v61
	s_delay_alu instid0(VALU_DEP_2) | instskip(NEXT) | instid1(VALU_DEP_2)
	v_add_nc_u16 v5, v5, v72
	v_mov_b32_dpp v27, v7 row_shr:1 row_mask:0xf bank_mask:0xf
	s_delay_alu instid0(VALU_DEP_2) | instskip(NEXT) | instid1(VALU_DEP_1)
	v_cndmask_b32_e64 v5, 0, v5, s6
	v_add_nc_u16 v5, v5, v69
	s_delay_alu instid0(VALU_DEP_1) | instskip(NEXT) | instid1(VALU_DEP_1)
	v_cndmask_b32_e64 v5, 0, v5, s7
	v_add_nc_u16 v5, v5, v70
	s_delay_alu instid0(VALU_DEP_1) | instskip(NEXT) | instid1(VALU_DEP_1)
	;; [unrolled: 3-line block ×8, first 2 shown]
	v_cndmask_b32_e32 v5, 0, v5, vcc_lo
	v_add_nc_u16 v5, v5, v59
	s_delay_alu instid0(VALU_DEP_1) | instskip(SKIP_1) | instid1(VALU_DEP_2)
	v_cndmask_b32_e64 v5, 0, v5, s12
	v_cmp_eq_u32_e64 s12, 0, v7
	v_add_nc_u16 v5, v5, v76
	s_delay_alu instid0(VALU_DEP_1) | instskip(SKIP_1) | instid1(VALU_DEP_1)
	v_and_b32_e32 v8, 0xffff, v5
	s_waitcnt lgkmcnt(0)
	v_mov_b32_dpp v9, v8 row_shr:1 row_mask:0xf bank_mask:0xf
	s_delay_alu instid0(VALU_DEP_1) | instskip(SKIP_1) | instid1(VALU_DEP_2)
	v_cndmask_b32_e64 v9, 0, v9, s12
	v_cmp_eq_u32_e64 s12, 0, v19
	v_add_nc_u16 v9, v9, v5
	s_delay_alu instid0(VALU_DEP_2) | instskip(NEXT) | instid1(VALU_DEP_2)
	v_cndmask_b32_e64 v27, v27, 0, s12
	v_and_b32_e32 v28, 0xffff, v9
	s_delay_alu instid0(VALU_DEP_2) | instskip(SKIP_1) | instid1(VALU_DEP_3)
	v_add_nc_u32_e32 v7, v27, v7
	v_cndmask_b32_e64 v5, v9, v5, s12
	v_cndmask_b32_e64 v8, v28, v8, s12
	s_delay_alu instid0(VALU_DEP_3) | instskip(NEXT) | instid1(VALU_DEP_2)
	v_cmp_eq_u32_e64 s12, 0, v7
	v_mov_b32_dpp v27, v8 row_shr:2 row_mask:0xf bank_mask:0xf
	s_delay_alu instid0(VALU_DEP_1) | instskip(SKIP_2) | instid1(VALU_DEP_3)
	v_cndmask_b32_e64 v9, 0, v27, s12
	v_mov_b32_dpp v27, v7 row_shr:2 row_mask:0xf bank_mask:0xf
	v_cmp_lt_u32_e64 s12, 1, v19
	v_add_nc_u16 v9, v9, v5
	s_delay_alu instid0(VALU_DEP_1) | instskip(NEXT) | instid1(VALU_DEP_3)
	v_and_b32_e32 v28, 0xffff, v9
	v_cndmask_b32_e64 v5, v5, v9, s12
	v_cndmask_b32_e64 v9, 0, v27, s12
	s_delay_alu instid0(VALU_DEP_3) | instskip(NEXT) | instid1(VALU_DEP_2)
	v_cndmask_b32_e64 v8, v8, v28, s12
	v_add_nc_u32_e32 v7, v7, v9
	s_delay_alu instid0(VALU_DEP_2) | instskip(NEXT) | instid1(VALU_DEP_2)
	v_mov_b32_dpp v9, v8 row_shr:4 row_mask:0xf bank_mask:0xf
	v_cmp_eq_u32_e64 s12, 0, v7
	v_mov_b32_dpp v27, v7 row_shr:4 row_mask:0xf bank_mask:0xf
	s_delay_alu instid0(VALU_DEP_2) | instskip(SKIP_1) | instid1(VALU_DEP_2)
	v_cndmask_b32_e64 v9, 0, v9, s12
	v_cmp_lt_u32_e64 s12, 3, v19
	v_add_nc_u16 v9, v9, v5
	s_delay_alu instid0(VALU_DEP_1) | instskip(NEXT) | instid1(VALU_DEP_3)
	v_and_b32_e32 v28, 0xffff, v9
	v_cndmask_b32_e64 v5, v5, v9, s12
	v_cndmask_b32_e64 v9, 0, v27, s12
	s_delay_alu instid0(VALU_DEP_3) | instskip(NEXT) | instid1(VALU_DEP_2)
	v_cndmask_b32_e64 v8, v8, v28, s12
	v_add_nc_u32_e32 v7, v9, v7
	s_delay_alu instid0(VALU_DEP_2) | instskip(NEXT) | instid1(VALU_DEP_2)
	v_mov_b32_dpp v9, v8 row_shr:8 row_mask:0xf bank_mask:0xf
	v_cmp_eq_u32_e64 s12, 0, v7
	v_mov_b32_dpp v27, v7 row_shr:8 row_mask:0xf bank_mask:0xf
	s_delay_alu instid0(VALU_DEP_2) | instskip(SKIP_1) | instid1(VALU_DEP_2)
	v_cndmask_b32_e64 v9, 0, v9, s12
	v_cmp_lt_u32_e64 s12, 7, v19
	v_add_nc_u16 v9, v9, v5
	s_delay_alu instid0(VALU_DEP_1) | instskip(SKIP_3) | instid1(VALU_DEP_3)
	v_cndmask_b32_e64 v19, v5, v9, s12
	v_cndmask_b32_e64 v5, 0, v27, s12
	v_and_b32_e32 v9, 0xffff, v9
	v_bfe_i32 v27, v77, 4, 1
	v_add_nc_u32_e32 v5, v5, v7
	s_delay_alu instid0(VALU_DEP_3)
	v_cndmask_b32_e64 v7, v8, v9, s12
	v_and_b32_e32 v9, 16, v77
	ds_swizzle_b32 v8, v5 offset:swizzle(BROADCAST,32,15)
	ds_swizzle_b32 v7, v7 offset:swizzle(BROADCAST,32,15)
	v_cmp_ne_u32_e64 s12, 0, v9
	v_cmp_eq_u32_e64 s13, 0, v5
	v_lshlrev_b32_e32 v9, 3, v78
	s_delay_alu instid0(VALU_DEP_2)
	s_and_b32 s12, s12, s13
	s_mov_b32 s13, exec_lo
	s_waitcnt lgkmcnt(1)
	v_and_b32_e32 v8, v27, v8
	s_waitcnt lgkmcnt(0)
	v_cndmask_b32_e64 v7, 0, v7, s12
	s_delay_alu instid0(VALU_DEP_2) | instskip(NEXT) | instid1(VALU_DEP_2)
	v_add_nc_u32_e32 v5, v8, v5
	v_add_nc_u16 v8, v7, v19
	v_cmpx_eq_u32_e64 v79, v0
	s_cbranch_execz .LBB438_144
; %bb.143:
	ds_store_b32 v9, v5 offset:1040
	ds_store_b16 v9, v8 offset:1044
.LBB438_144:
	s_or_b32 exec_lo, exec_lo, s13
	s_delay_alu instid0(SALU_CYCLE_1)
	s_mov_b32 s14, exec_lo
	s_waitcnt vmcnt(0) lgkmcnt(0)
	s_barrier
	buffer_gl0_inv
	v_cmpx_gt_u32_e32 8, v0
	s_cbranch_execz .LBB438_146
; %bb.145:
	v_lshlrev_b32_e32 v7, 3, v0
	v_and_b32_e32 v31, 7, v77
	ds_load_b64 v[27:28], v7 offset:1040
	v_cmp_lt_u32_e64 s13, 3, v31
	s_waitcnt lgkmcnt(0)
	v_mov_b32_dpp v19, v28 row_shr:1 row_mask:0xf bank_mask:0xf
	v_cmp_eq_u32_e64 s12, 0, v27
	v_and_b32_e32 v29, 0xffff0000, v28
	v_mov_b32_dpp v32, v27 row_shr:1 row_mask:0xf bank_mask:0xf
	s_delay_alu instid0(VALU_DEP_3) | instskip(SKIP_1) | instid1(VALU_DEP_2)
	v_cndmask_b32_e64 v19, 0, v19, s12
	v_cmp_eq_u32_e64 s12, 0, v31
	v_add_nc_u16 v19, v19, v28
	s_delay_alu instid0(VALU_DEP_2) | instskip(NEXT) | instid1(VALU_DEP_2)
	v_cndmask_b32_e64 v32, v32, 0, s12
	v_and_b32_e32 v30, 0xffff, v19
	s_delay_alu instid0(VALU_DEP_2) | instskip(SKIP_1) | instid1(VALU_DEP_3)
	v_add_nc_u32_e32 v27, v32, v27
	v_cndmask_b32_e64 v19, v19, v28, s12
	v_or_b32_e32 v30, v29, v30
	s_delay_alu instid0(VALU_DEP_1) | instskip(NEXT) | instid1(VALU_DEP_4)
	v_cndmask_b32_e64 v30, v30, v28, s12
	v_cmp_eq_u32_e64 s12, 0, v27
	s_delay_alu instid0(VALU_DEP_2) | instskip(NEXT) | instid1(VALU_DEP_1)
	v_mov_b32_dpp v32, v30 row_shr:2 row_mask:0xf bank_mask:0xf
	v_cndmask_b32_e64 v28, 0, v32, s12
	v_mov_b32_dpp v32, v27 row_shr:2 row_mask:0xf bank_mask:0xf
	v_cmp_lt_u32_e64 s12, 1, v31
	s_delay_alu instid0(VALU_DEP_3) | instskip(NEXT) | instid1(VALU_DEP_1)
	v_add_nc_u16 v28, v28, v19
	v_and_b32_e32 v33, 0xffff, v28
	s_delay_alu instid0(VALU_DEP_3) | instskip(SKIP_1) | instid1(VALU_DEP_3)
	v_cndmask_b32_e64 v19, v19, v28, s12
	v_cndmask_b32_e64 v28, 0, v32, s12
	v_or_b32_e32 v29, v29, v33
	s_delay_alu instid0(VALU_DEP_2) | instskip(NEXT) | instid1(VALU_DEP_2)
	v_add_nc_u32_e32 v27, v28, v27
	v_cndmask_b32_e64 v28, v30, v29, s12
	s_delay_alu instid0(VALU_DEP_2) | instskip(SKIP_1) | instid1(VALU_DEP_3)
	v_cmp_eq_u32_e64 s12, 0, v27
	v_mov_b32_dpp v29, v27 row_shr:4 row_mask:0xf bank_mask:0xf
	v_mov_b32_dpp v28, v28 row_shr:4 row_mask:0xf bank_mask:0xf
	s_delay_alu instid0(VALU_DEP_3) | instskip(NEXT) | instid1(VALU_DEP_2)
	s_and_b32 s12, s13, s12
	v_cndmask_b32_e64 v29, 0, v29, s13
	s_delay_alu instid0(VALU_DEP_2) | instskip(NEXT) | instid1(VALU_DEP_2)
	v_cndmask_b32_e64 v28, 0, v28, s12
	v_add_nc_u32_e32 v27, v29, v27
	s_delay_alu instid0(VALU_DEP_2)
	v_add_nc_u16 v19, v19, v28
	ds_store_b32 v7, v27 offset:1040
	ds_store_b16 v7, v19 offset:1044
.LBB438_146:
	s_or_b32 exec_lo, exec_lo, s14
	v_mov_b32_e32 v7, 0
	v_mov_b32_e32 v19, 0
	;; [unrolled: 1-line block ×3, first 2 shown]
	s_mov_b32 s13, exec_lo
	s_waitcnt lgkmcnt(0)
	s_barrier
	buffer_gl0_inv
	v_cmpx_lt_u32_e32 31, v0
	s_cbranch_execz .LBB438_148
; %bb.147:
	ds_load_b32 v19, v9 offset:1032
	ds_load_u16 v9, v9 offset:1036
	s_waitcnt lgkmcnt(1)
	v_cmp_eq_u32_e64 s12, 0, v19
	s_delay_alu instid0(VALU_DEP_1) | instskip(SKIP_1) | instid1(VALU_DEP_1)
	v_cndmask_b32_e64 v27, 0, v6, s12
	s_waitcnt lgkmcnt(0)
	v_add_nc_u16 v27, v27, v9
.LBB438_148:
	s_or_b32 exec_lo, exec_lo, s13
	v_add_nc_u32_e32 v9, -1, v77
	v_cmp_eq_u32_e64 s12, 0, v5
	v_add_nc_u32_e32 v5, v19, v5
	v_cmp_eq_u32_e64 s13, 0, v25
	s_delay_alu instid0(VALU_DEP_3) | instskip(SKIP_1) | instid1(VALU_DEP_2)
	v_cndmask_b32_e64 v28, 0, v27, s12
	v_cmp_gt_i32_e64 s12, 0, v9
	v_add_nc_u16 v8, v28, v8
	s_delay_alu instid0(VALU_DEP_2) | instskip(SKIP_1) | instid1(VALU_DEP_3)
	v_cndmask_b32_e64 v9, v9, v77, s12
	v_cmp_eq_u32_e64 s12, 0, v77
	v_and_b32_e32 v8, 0xffff, v8
	s_delay_alu instid0(VALU_DEP_3)
	v_lshlrev_b32_e32 v9, 2, v9
	ds_bpermute_b32 v5, v9, v5
	ds_bpermute_b32 v8, v9, v8
	s_waitcnt lgkmcnt(1)
	v_cndmask_b32_e64 v5, v5, v19, s12
	s_waitcnt lgkmcnt(0)
	v_cndmask_b32_e64 v8, v8, v27, s12
	v_cmp_eq_u32_e64 s12, 0, v0
	s_delay_alu instid0(VALU_DEP_1) | instskip(SKIP_1) | instid1(VALU_DEP_2)
	v_cndmask_b32_e64 v8, v8, v6, s12
	v_cndmask_b32_e64 v55, v5, 0, s12
	;; [unrolled: 1-line block ×3, first 2 shown]
	s_delay_alu instid0(VALU_DEP_2) | instskip(SKIP_1) | instid1(VALU_DEP_3)
	v_add_nc_u32_e32 v49, v55, v25
	v_and_b32_e32 v56, 0xffff, v8
	v_add_nc_u16 v9, v9, v74
	s_delay_alu instid0(VALU_DEP_3) | instskip(NEXT) | instid1(VALU_DEP_2)
	v_add_nc_u32_e32 v51, v49, v26
	v_cndmask_b32_e64 v19, 0, v9, s11
	s_delay_alu instid0(VALU_DEP_2) | instskip(NEXT) | instid1(VALU_DEP_2)
	v_add_nc_u32_e32 v47, v51, v23
	v_add_nc_u16 v19, v19, v73
	s_delay_alu instid0(VALU_DEP_2) | instskip(NEXT) | instid1(VALU_DEP_2)
	v_add_nc_u32_e32 v35, v47, v24
	v_cndmask_b32_e64 v27, 0, v19, s10
	v_and_b32_e32 v52, 0xffff, v19
	s_delay_alu instid0(VALU_DEP_2) | instskip(NEXT) | instid1(VALU_DEP_1)
	v_add_nc_u16 v27, v27, v75
	v_cndmask_b32_e64 v28, 0, v27, s9
	v_and_b32_e32 v48, 0xffff, v27
	s_delay_alu instid0(VALU_DEP_2) | instskip(NEXT) | instid1(VALU_DEP_1)
	v_add_nc_u16 v28, v28, v71
	;; [unrolled: 4-line block ×3, first 2 shown]
	v_cndmask_b32_e64 v30, 0, v29, s6
	s_delay_alu instid0(VALU_DEP_1) | instskip(NEXT) | instid1(VALU_DEP_1)
	v_add_nc_u16 v30, v30, v69
	v_cndmask_b32_e64 v31, 0, v30, s7
	v_and_b32_e32 v34, 0xffff, v30
	s_delay_alu instid0(VALU_DEP_2) | instskip(SKIP_1) | instid1(VALU_DEP_2)
	v_add_nc_u16 v38, v31, v70
	v_add_nc_u32_e32 v31, v35, v21
	v_cndmask_b32_e64 v5, 0, v38, s5
	s_delay_alu instid0(VALU_DEP_2) | instskip(SKIP_1) | instid1(VALU_DEP_3)
	v_add_nc_u32_e32 v33, v31, v22
	v_and_b32_e32 v54, 0xffff, v38
	v_add_nc_u16 v40, v5, v67
	s_delay_alu instid0(VALU_DEP_3) | instskip(NEXT) | instid1(VALU_DEP_2)
	v_add_nc_u32_e32 v53, v33, v17
	v_cndmask_b32_e64 v5, 0, v40, s4
	s_delay_alu instid0(VALU_DEP_2) | instskip(SKIP_1) | instid1(VALU_DEP_3)
	v_add_nc_u32_e32 v57, v53, v18
	v_and_b32_e32 v58, 0xffff, v40
	v_add_nc_u16 v42, v5, v68
	s_delay_alu instid0(VALU_DEP_3) | instskip(NEXT) | instid1(VALU_DEP_2)
	v_add_nc_u32_e32 v45, v57, v15
	v_cndmask_b32_e64 v5, 0, v42, s3
	s_delay_alu instid0(VALU_DEP_2) | instskip(SKIP_1) | instid1(VALU_DEP_3)
	v_add_nc_u32_e32 v43, v45, v16
	v_and_b32_e32 v46, 0xffff, v42
	v_add_nc_u16 v44, v5, v66
	ds_load_b32 v5, v7 offset:1096
	ds_load_u16 v7, v7 offset:1100
	v_add_nc_u32_e32 v37, v43, v13
	v_cndmask_b32_e64 v32, 0, v44, s2
	v_and_b32_e32 v44, 0xffff, v44
	s_delay_alu instid0(VALU_DEP_3) | instskip(NEXT) | instid1(VALU_DEP_3)
	v_add_nc_u32_e32 v41, v37, v14
	v_add_nc_u16 v65, v32, v65
	s_delay_alu instid0(VALU_DEP_2) | instskip(NEXT) | instid1(VALU_DEP_2)
	v_add_nc_u32_e32 v39, v41, v62
	v_cndmask_b32_e64 v32, 0, v65, s1
	v_and_b32_e32 v38, 0xffff, v65
	s_delay_alu instid0(VALU_DEP_2)
	v_add_nc_u16 v64, v32, v64
	s_waitcnt lgkmcnt(1)
	v_cmp_eq_u32_e64 s1, 0, v5
	v_and_b32_e32 v32, 0xffff, v29
	v_add_nc_u32_e32 v29, v39, v20
	v_cndmask_b32_e64 v8, 0, v64, s0
	s_delay_alu instid0(VALU_DEP_4) | instskip(SKIP_1) | instid1(VALU_DEP_3)
	v_cndmask_b32_e64 v6, 0, v6, s1
	v_and_b32_e32 v42, 0xffff, v64
	v_add_nc_u16 v8, v8, v60
	v_and_b32_e32 v50, 0xffff, v9
	s_waitcnt lgkmcnt(0)
	v_add_nc_u16 v19, v6, v7
	s_delay_alu instid0(VALU_DEP_3) | instskip(SKIP_1) | instid1(VALU_DEP_2)
	v_cndmask_b32_e32 v9, 0, v8, vcc_lo
	v_and_b32_e32 v40, 0xffff, v8
	v_add_nc_u16 v9, v9, v59
	s_delay_alu instid0(VALU_DEP_1)
	v_and_b32_e32 v30, 0xffff, v9
	s_and_saveexec_b32 s0, s12
	s_cbranch_execz .LBB438_150
; %bb.149:
	v_and_b32_e32 v6, 0xff00, v19
	v_dual_mov_b32 v8, 0 :: v_dual_and_b32 v7, 0xff, v19
	s_add_u32 s2, s24, 0x200
	s_addc_u32 s3, s25, 0
	s_delay_alu instid0(VALU_DEP_1)
	v_or_b32_e32 v6, v6, v7
	v_dual_mov_b32 v7, 2 :: v_dual_mov_b32 v28, s3
	v_mov_b32_e32 v27, s2
	;;#ASMSTART
	global_store_dwordx4 v[27:28], v[5:8] off	
s_waitcnt vmcnt(0)
	;;#ASMEND
.LBB438_150:
	s_or_b32 exec_lo, exec_lo, s0
	v_mov_b32_e32 v7, 0
.LBB438_151:
	v_mov_b32_e32 v27, 0
	s_and_b32 s0, s16, exec_lo
	v_mov_b32_e32 v28, 0
	s_cselect_b32 s1, 0, s43
	s_cselect_b32 s0, 0, s42
	s_waitcnt lgkmcnt(0)
	s_cmp_eq_u64 s[0:1], 0
	s_barrier
	buffer_gl0_inv
	s_cbranch_scc1 .LBB438_153
; %bb.152:
	v_mov_b32_e32 v6, 0
	global_load_b64 v[27:28], v6, s[0:1]
.LBB438_153:
	v_cmp_eq_u32_e32 vcc_lo, 0, v25
	s_waitcnt vmcnt(0)
	v_lshlrev_b64 v[59:60], 1, v[27:28]
	v_cmp_ne_u32_e64 s14, 0, v25
	v_cmp_ne_u32_e64 s13, 0, v26
	;; [unrolled: 1-line block ×3, first 2 shown]
	v_cndmask_b32_e64 v6, 1, 2, vcc_lo
	v_cmp_eq_u32_e32 vcc_lo, 0, v26
	v_cmp_ne_u32_e64 s11, 0, v24
	v_cmp_ne_u32_e64 s10, 0, v21
	;; [unrolled: 1-line block ×4, first 2 shown]
	v_cndmask_b32_e64 v8, 1, 2, vcc_lo
	v_cmp_eq_u32_e32 vcc_lo, 0, v23
	v_cmp_ne_u32_e64 s5, 0, v18
	v_cmp_ne_u32_e64 s8, 0, v15
	v_cmp_ne_u32_e64 s6, 0, v16
	v_and_b32_e32 v6, v8, v6
	v_cndmask_b32_e64 v9, 1, 2, vcc_lo
	v_cmp_eq_u32_e32 vcc_lo, 0, v24
	v_cmp_ne_u32_e64 s4, 0, v13
	v_cmp_ne_u32_e64 s3, 0, v14
	;; [unrolled: 1-line block ×3, first 2 shown]
	v_and_b32_e32 v6, v6, v9
	v_cndmask_b32_e64 v8, 1, 2, vcc_lo
	v_cmp_eq_u32_e32 vcc_lo, 0, v21
	v_cmp_ne_u32_e64 s1, 0, v20
	v_cmp_ne_u32_e64 s0, 0, v61
	s_mov_b32 s16, -1
	v_and_b32_e32 v6, v6, v8
	v_cndmask_b32_e64 v9, 1, 2, vcc_lo
	v_cmp_eq_u32_e32 vcc_lo, 0, v22
	s_delay_alu instid0(VALU_DEP_2) | instskip(SKIP_2) | instid1(VALU_DEP_2)
	v_and_b32_e32 v6, v6, v9
	v_cndmask_b32_e64 v8, 1, 2, vcc_lo
	v_cmp_eq_u32_e32 vcc_lo, 0, v17
	v_and_b32_e32 v6, v6, v8
	v_cndmask_b32_e64 v9, 1, 2, vcc_lo
	v_cmp_eq_u32_e32 vcc_lo, 0, v18
	s_delay_alu instid0(VALU_DEP_2) | instskip(SKIP_2) | instid1(VALU_DEP_2)
	v_and_b32_e32 v6, v6, v9
	v_cndmask_b32_e64 v64, 1, 2, vcc_lo
	v_cmp_eq_u32_e32 vcc_lo, 0, v15
	v_and_b32_e32 v6, v6, v64
	v_cndmask_b32_e64 v9, 1, 2, vcc_lo
	v_cmp_eq_u32_e32 vcc_lo, 0, v16
	s_delay_alu instid0(VALU_DEP_2) | instskip(SKIP_2) | instid1(VALU_DEP_2)
	v_and_b32_e32 v6, v6, v9
	v_cndmask_b32_e64 v64, 1, 2, vcc_lo
	v_cmp_eq_u32_e32 vcc_lo, 0, v13
	v_and_b32_e32 v6, v6, v64
	v_cndmask_b32_e64 v9, 1, 2, vcc_lo
	v_cmp_eq_u32_e32 vcc_lo, 0, v14
	s_delay_alu instid0(VALU_DEP_2) | instskip(SKIP_2) | instid1(VALU_DEP_2)
	v_and_b32_e32 v6, v6, v9
	v_cndmask_b32_e64 v64, 1, 2, vcc_lo
	v_cmp_eq_u32_e32 vcc_lo, 0, v62
	v_and_b32_e32 v6, v6, v64
	v_cndmask_b32_e64 v65, 1, 2, vcc_lo
	v_mov_b32_e32 v8, 0
	v_cmp_eq_u32_e32 vcc_lo, 0, v20
	s_delay_alu instid0(VALU_DEP_3) | instskip(NEXT) | instid1(VALU_DEP_3)
	v_and_b32_e32 v65, v6, v65
	v_lshlrev_b64 v[8:9], 1, v[7:8]
	v_cndmask_b32_e64 v66, 1, 2, vcc_lo
	v_add_co_u32 v64, vcc_lo, s22, v59
	v_add_co_ci_u32_e32 v67, vcc_lo, s23, v60, vcc_lo
	s_delay_alu instid0(VALU_DEP_3) | instskip(NEXT) | instid1(VALU_DEP_3)
	v_and_b32_e32 v65, v65, v66
	v_add_co_u32 v6, vcc_lo, v64, v8
	s_delay_alu instid0(VALU_DEP_3) | instskip(SKIP_3) | instid1(VALU_DEP_2)
	v_add_co_ci_u32_e32 v64, vcc_lo, v67, v9, vcc_lo
	v_cmp_eq_u32_e32 vcc_lo, 0, v61
	v_cndmask_b32_e64 v66, 1, 2, vcc_lo
	v_cmp_gt_u32_e32 vcc_lo, 0x100, v5
	v_and_b32_e32 v65, v65, v66
	s_delay_alu instid0(VALU_DEP_1)
	v_cmp_gt_i16_e64 s15, 2, v65
	s_cbranch_vccz .LBB438_160
; %bb.154:
	s_delay_alu instid0(VALU_DEP_1)
	s_and_saveexec_b32 s16, s15
	s_cbranch_execz .LBB438_159
; %bb.155:
	s_mov_b32 s17, 0
	s_mov_b32 s15, exec_lo
	v_cmpx_ne_u16_e32 1, v65
	s_xor_b32 s15, exec_lo, s15
	s_cbranch_execnz .LBB438_249
; %bb.156:
	s_and_not1_saveexec_b32 s15, s15
	s_cbranch_execnz .LBB438_265
.LBB438_157:
	s_or_b32 exec_lo, exec_lo, s15
	s_delay_alu instid0(SALU_CYCLE_1)
	s_and_b32 exec_lo, exec_lo, s17
	s_cbranch_execz .LBB438_159
.LBB438_158:
	v_sub_nc_u32_e32 v66, v29, v7
	v_mov_b32_e32 v67, 0
	s_delay_alu instid0(VALU_DEP_1) | instskip(NEXT) | instid1(VALU_DEP_1)
	v_lshlrev_b64 v[66:67], 1, v[66:67]
	v_add_co_u32 v66, vcc_lo, v6, v66
	s_delay_alu instid0(VALU_DEP_2)
	v_add_co_ci_u32_e32 v67, vcc_lo, v64, v67, vcc_lo
	global_store_d16_hi_b16 v[66:67], v12, off
.LBB438_159:
	s_or_b32 exec_lo, exec_lo, s16
	s_mov_b32 s16, 0
.LBB438_160:
	s_delay_alu instid0(SALU_CYCLE_1)
	s_and_b32 vcc_lo, exec_lo, s16
	s_cbranch_vccz .LBB438_182
; %bb.161:
	s_mov_b32 s15, exec_lo
	v_cmpx_gt_i16_e32 2, v65
	s_cbranch_execz .LBB438_166
; %bb.162:
	s_mov_b32 s17, 0
	s_mov_b32 s16, exec_lo
	v_cmpx_ne_u16_e32 1, v65
	s_xor_b32 s16, exec_lo, s16
	s_cbranch_execnz .LBB438_266
; %bb.163:
	s_and_not1_saveexec_b32 s0, s16
	s_cbranch_execnz .LBB438_282
.LBB438_164:
	s_or_b32 exec_lo, exec_lo, s0
	s_delay_alu instid0(SALU_CYCLE_1)
	s_and_b32 exec_lo, exec_lo, s17
	s_cbranch_execz .LBB438_166
.LBB438_165:
	v_sub_nc_u32_e32 v1, v29, v7
	s_delay_alu instid0(VALU_DEP_1)
	v_lshlrev_b32_e32 v1, 1, v1
	ds_store_b16_d16_hi v1, v12
.LBB438_166:
	s_or_b32 exec_lo, exec_lo, s15
	s_delay_alu instid0(SALU_CYCLE_1)
	s_mov_b32 s1, exec_lo
	s_waitcnt lgkmcnt(0)
	s_waitcnt_vscnt null, 0x0
	s_barrier
	buffer_gl0_inv
	v_cmpx_lt_u32_e64 v0, v5
	s_cbranch_execz .LBB438_181
; %bb.167:
	v_xad_u32 v2, v0, -1, v5
	v_mov_b32_e32 v1, v0
	s_mov_b32 s0, -1
	s_mov_b32 s3, exec_lo
	s_delay_alu instid0(VALU_DEP_2)
	v_cmp_gt_u32_e64 s2, 0x1900, v2
	v_cmpx_lt_u32_e32 0x18ff, v2
	s_cbranch_execz .LBB438_178
; %bb.168:
	v_sub_nc_u32_e32 v1, v0, v5
	s_delay_alu instid0(VALU_DEP_1) | instskip(NEXT) | instid1(VALU_DEP_1)
	v_or_b32_e32 v1, 0xff, v1
	v_cmp_ge_u32_e32 vcc_lo, v1, v0
	v_mov_b32_e32 v1, v0
	s_and_saveexec_b32 s4, vcc_lo
	s_cbranch_execz .LBB438_177
; %bb.169:
	v_lshrrev_b32_e32 v4, 8, v2
	v_or_b32_e32 v1, 0x100, v0
	v_mov_b32_e32 v66, 0
	s_delay_alu instid0(VALU_DEP_3) | instskip(NEXT) | instid1(VALU_DEP_1)
	v_add_nc_u32_e32 v2, -1, v4
	v_lshrrev_b32_e32 v3, 1, v2
	v_cmp_lt_u32_e32 vcc_lo, 13, v2
	s_delay_alu instid0(VALU_DEP_2)
	v_dual_mov_b32 v3, v1 :: v_dual_add_nc_u32 v12, 1, v3
	v_mov_b32_e32 v2, v0
	s_and_saveexec_b32 s0, vcc_lo
	s_cbranch_execz .LBB438_173
; %bb.170:
	v_mov_b32_e32 v3, v1
	v_dual_mov_b32 v2, v0 :: v_dual_and_b32 v63, -8, v12
	v_lshlrev_b32_e32 v65, 1, v0
	v_mov_b32_e32 v11, 0
	s_mov_b32 s5, 0
	s_mov_b32 s6, 0
.LBB438_171:                            ; =>This Inner Loop Header: Depth=1
	v_dual_mov_b32 v10, v2 :: v_dual_add_nc_u32 v67, 0x200, v3
	s_add_i32 s6, s6, 16
	s_delay_alu instid0(SALU_CYCLE_1) | instskip(SKIP_1) | instid1(VALU_DEP_3)
	v_dual_mov_b32 v66, s6 :: v_dual_add_nc_u32 v63, -8, v63
	v_dual_mov_b32 v68, v11 :: v_dual_add_nc_u32 v69, 0x400, v3
	v_lshlrev_b64 v[81:82], 1, v[10:11]
	v_dual_mov_b32 v70, v11 :: v_dual_add_nc_u32 v71, 0x600, v3
	s_delay_alu instid0(VALU_DEP_4) | instskip(NEXT) | instid1(VALU_DEP_4)
	v_cmp_eq_u32_e32 vcc_lo, 0, v63
	v_lshlrev_b64 v[67:68], 1, v[67:68]
	v_dual_mov_b32 v72, v11 :: v_dual_add_nc_u32 v73, 0x800, v3
	s_delay_alu instid0(VALU_DEP_4)
	v_lshlrev_b64 v[69:70], 1, v[69:70]
	s_or_b32 s5, vcc_lo, s5
	v_add_co_u32 v81, vcc_lo, v6, v81
	v_dual_mov_b32 v74, v11 :: v_dual_add_nc_u32 v75, 0xa00, v3
	v_add_co_ci_u32_e32 v82, vcc_lo, v64, v82, vcc_lo
	v_lshlrev_b64 v[71:72], 1, v[71:72]
	v_add_co_u32 v67, vcc_lo, v6, v67
	v_dual_mov_b32 v76, v11 :: v_dual_add_nc_u32 v77, 0xc00, v3
	v_add_co_ci_u32_e32 v68, vcc_lo, v64, v68, vcc_lo
	v_lshlrev_b64 v[73:74], 1, v[73:74]
	;; [unrolled: 4-line block ×3, first 2 shown]
	v_add_co_u32 v71, vcc_lo, v6, v71
	v_mov_b32_e32 v80, v11
	v_dual_mov_b32 v10, v3 :: v_dual_add_nc_u32 v3, 0x1000, v3
	v_add_co_ci_u32_e32 v72, vcc_lo, v64, v72, vcc_lo
	v_lshlrev_b64 v[77:78], 1, v[77:78]
	v_add_co_u32 v73, vcc_lo, v6, v73
	ds_load_u16 v1, v65
	ds_load_u16 v87, v65 offset:512
	ds_load_u16 v88, v65 offset:1024
	;; [unrolled: 1-line block ×7, first 2 shown]
	v_add_co_ci_u32_e32 v74, vcc_lo, v64, v74, vcc_lo
	ds_load_u16 v94, v65 offset:4096
	ds_load_u16 v95, v65 offset:4608
	ds_load_u16 v96, v65 offset:5120
	ds_load_u16 v97, v65 offset:5632
	ds_load_u16 v98, v65 offset:6144
	ds_load_u16 v99, v65 offset:6656
	ds_load_u16 v100, v65 offset:7168
	ds_load_u16 v101, v65 offset:7680
	v_add_nc_u32_e32 v65, 0x2000, v65
	v_lshlrev_b64 v[79:80], 1, v[79:80]
	v_add_co_u32 v75, vcc_lo, v6, v75
	v_lshlrev_b64 v[83:84], 1, v[10:11]
	v_add_nc_u32_e32 v10, 0x200, v2
	v_add_co_ci_u32_e32 v76, vcc_lo, v64, v76, vcc_lo
	v_add_co_u32 v77, vcc_lo, v6, v77
	v_add_co_ci_u32_e32 v78, vcc_lo, v64, v78, vcc_lo
	v_add_co_u32 v79, vcc_lo, v6, v79
	v_lshlrev_b64 v[85:86], 1, v[10:11]
	v_add_nc_u32_e32 v10, 0x400, v2
	v_add_co_ci_u32_e32 v80, vcc_lo, v64, v80, vcc_lo
	v_add_co_u32 v83, vcc_lo, v6, v83
	v_add_co_ci_u32_e32 v84, vcc_lo, v64, v84, vcc_lo
	s_waitcnt lgkmcnt(15)
	global_store_b16 v[81:82], v1, off
	v_lshlrev_b64 v[81:82], 1, v[10:11]
	v_add_nc_u32_e32 v10, 0x600, v2
	v_add_co_u32 v85, vcc_lo, v6, v85
	v_add_co_ci_u32_e32 v86, vcc_lo, v64, v86, vcc_lo
	s_waitcnt lgkmcnt(14)
	global_store_b16 v[83:84], v87, off
	v_lshlrev_b64 v[83:84], 1, v[10:11]
	v_add_nc_u32_e32 v10, 0x800, v2
	s_waitcnt lgkmcnt(13)
	global_store_b16 v[85:86], v88, off
	s_waitcnt lgkmcnt(12)
	global_store_b16 v[67:68], v89, off
	v_add_co_u32 v67, vcc_lo, v6, v81
	v_add_co_ci_u32_e32 v68, vcc_lo, v64, v82, vcc_lo
	v_lshlrev_b64 v[81:82], 1, v[10:11]
	v_add_nc_u32_e32 v10, 0xa00, v2
	v_add_co_u32 v83, vcc_lo, v6, v83
	v_add_co_ci_u32_e32 v84, vcc_lo, v64, v84, vcc_lo
	s_waitcnt lgkmcnt(11)
	global_store_b16 v[67:68], v90, off
	s_waitcnt lgkmcnt(10)
	global_store_b16 v[69:70], v91, off
	v_lshlrev_b64 v[67:68], 1, v[10:11]
	v_add_nc_u32_e32 v10, 0xc00, v2
	v_add_co_u32 v69, vcc_lo, v6, v81
	s_waitcnt lgkmcnt(9)
	global_store_b16 v[83:84], v92, off
	s_waitcnt lgkmcnt(8)
	global_store_b16 v[71:72], v93, off
	v_add_co_ci_u32_e32 v70, vcc_lo, v64, v82, vcc_lo
	v_lshlrev_b64 v[71:72], 1, v[10:11]
	v_add_nc_u32_e32 v10, 0xe00, v2
	v_add_co_u32 v67, vcc_lo, v6, v67
	v_add_co_ci_u32_e32 v68, vcc_lo, v64, v68, vcc_lo
	s_waitcnt lgkmcnt(7)
	global_store_b16 v[69:70], v94, off
	s_waitcnt lgkmcnt(6)
	global_store_b16 v[73:74], v95, off
	v_lshlrev_b64 v[69:70], 1, v[10:11]
	v_add_nc_u32_e32 v2, 0x1000, v2
	s_waitcnt lgkmcnt(5)
	global_store_b16 v[67:68], v96, off
	v_add_co_u32 v67, vcc_lo, v6, v71
	v_add_co_ci_u32_e32 v68, vcc_lo, v64, v72, vcc_lo
	v_add_co_u32 v69, vcc_lo, v6, v69
	v_add_co_ci_u32_e32 v70, vcc_lo, v64, v70, vcc_lo
	s_waitcnt lgkmcnt(4)
	global_store_b16 v[75:76], v97, off
	s_waitcnt lgkmcnt(3)
	global_store_b16 v[67:68], v98, off
	;; [unrolled: 2-line block ×5, first 2 shown]
	s_and_not1_b32 exec_lo, exec_lo, s5
	s_cbranch_execnz .LBB438_171
; %bb.172:
	s_or_b32 exec_lo, exec_lo, s5
.LBB438_173:
	s_delay_alu instid0(SALU_CYCLE_1) | instskip(SKIP_3) | instid1(VALU_DEP_1)
	s_or_b32 exec_lo, exec_lo, s0
	v_and_b32_e32 v1, 7, v12
	s_mov_b32 s6, 0
	s_mov_b32 s5, exec_lo
	v_cmpx_ne_u32_e32 0, v1
	s_cbranch_execz .LBB438_176
; %bb.174:
	v_dual_mov_b32 v11, 0 :: v_dual_lshlrev_b32 v10, 1, v0
	s_delay_alu instid0(VALU_DEP_1)
	v_lshl_or_b32 v12, v66, 9, v10
	s_set_inst_prefetch_distance 0x1
	.p2align	6
.LBB438_175:                            ; =>This Inner Loop Header: Depth=1
	v_dual_mov_b32 v10, v2 :: v_dual_add_nc_u32 v1, -1, v1
	ds_load_u16 v63, v12
	ds_load_u16 v69, v12 offset:512
	v_add_nc_u32_e32 v2, 0x200, v2
	v_add_nc_u32_e32 v12, 0x400, v12
	v_lshlrev_b64 v[65:66], 1, v[10:11]
	v_dual_mov_b32 v10, v3 :: v_dual_add_nc_u32 v3, 0x200, v3
	v_cmp_eq_u32_e32 vcc_lo, 0, v1
	s_delay_alu instid0(VALU_DEP_2) | instskip(NEXT) | instid1(VALU_DEP_4)
	v_lshlrev_b64 v[67:68], 1, v[10:11]
	v_add_co_u32 v65, s0, v6, v65
	s_delay_alu instid0(VALU_DEP_1) | instskip(SKIP_1) | instid1(VALU_DEP_3)
	v_add_co_ci_u32_e64 v66, s0, v64, v66, s0
	s_or_b32 s6, vcc_lo, s6
	v_add_co_u32 v67, s0, v6, v67
	s_delay_alu instid0(VALU_DEP_1)
	v_add_co_ci_u32_e64 v68, s0, v64, v68, s0
	s_waitcnt lgkmcnt(1)
	global_store_b16 v[65:66], v63, off
	s_waitcnt lgkmcnt(0)
	global_store_b16 v[67:68], v69, off
	s_and_not1_b32 exec_lo, exec_lo, s6
	s_cbranch_execnz .LBB438_175
.LBB438_176:
	s_set_inst_prefetch_distance 0x2
	s_or_b32 exec_lo, exec_lo, s5
	v_add_nc_u32_e32 v1, 1, v4
	s_delay_alu instid0(VALU_DEP_1) | instskip(NEXT) | instid1(VALU_DEP_1)
	v_and_b32_e32 v2, 0x1fffffe, v1
	v_cmp_ne_u32_e32 vcc_lo, v1, v2
	v_lshl_or_b32 v1, v2, 8, v0
	s_or_not1_b32 s0, vcc_lo, exec_lo
.LBB438_177:
	s_or_b32 exec_lo, exec_lo, s4
	s_delay_alu instid0(SALU_CYCLE_1) | instskip(SKIP_1) | instid1(SALU_CYCLE_1)
	s_and_not1_b32 s2, s2, exec_lo
	s_and_b32 s0, s0, exec_lo
	s_or_b32 s2, s2, s0
.LBB438_178:
	s_or_b32 exec_lo, exec_lo, s3
	s_delay_alu instid0(VALU_DEP_2) | instid1(SALU_CYCLE_1)
	s_and_b32 exec_lo, exec_lo, s2
	s_cbranch_execz .LBB438_181
; %bb.179:
	v_dual_mov_b32 v2, 0 :: v_dual_lshlrev_b32 v3, 1, v1
	s_mov_b32 s2, 0
	.p2align	6
.LBB438_180:                            ; =>This Inner Loop Header: Depth=1
	ds_load_u16 v4, v3
	v_lshlrev_b64 v[10:11], 1, v[1:2]
	v_add_nc_u32_e32 v1, 0x100, v1
	v_add_nc_u32_e32 v3, 0x200, v3
	s_delay_alu instid0(VALU_DEP_2) | instskip(NEXT) | instid1(VALU_DEP_4)
	v_cmp_ge_u32_e32 vcc_lo, v1, v5
	v_add_co_u32 v10, s0, v6, v10
	s_delay_alu instid0(VALU_DEP_1)
	v_add_co_ci_u32_e64 v11, s0, v64, v11, s0
	s_or_b32 s2, vcc_lo, s2
	s_waitcnt lgkmcnt(0)
	global_store_b16 v[10:11], v4, off
	s_and_not1_b32 exec_lo, exec_lo, s2
	s_cbranch_execnz .LBB438_180
.LBB438_181:
	s_or_b32 exec_lo, exec_lo, s1
.LBB438_182:
	s_cmpk_lg_i32 s19, 0xf00
	v_cmp_eq_u32_e32 vcc_lo, 0, v0
	s_cselect_b32 s0, -1, 0
	v_cndmask_b32_e64 v2, 0, 1, s20
	s_and_b32 s0, s18, s0
	v_mad_i32_i24 v6, v0, -15, s19
	v_cndmask_b32_e64 v1, 0, 1, s0
	s_mul_hi_u32 s0, s19, 0x88888889
	s_and_b32 s1, vcc_lo, s20
	s_lshr_b32 s0, s0, 3
	v_sub_nc_u32_e32 v3, v5, v2
	v_cndmask_b32_e64 v10, v25, 0, s1
	v_cmp_eq_u32_e32 vcc_lo, s0, v0
	v_cmp_ne_u32_e64 s0, 0, v6
	s_mov_b32 s16, -1
	s_waitcnt_vscnt null, 0x0
	s_barrier
	s_and_b32 vcc_lo, s18, vcc_lo
	v_add_nc_u32_e32 v4, v3, v1
	v_cndmask_b32_e64 v3, 1, v10, s0
	v_cmp_ne_u32_e64 s0, 1, v6
	buffer_gl0_inv
	v_cndmask_b32_e64 v11, 1, v26, s0
	v_cmp_ne_u32_e64 s0, 14, v6
	s_delay_alu instid0(VALU_DEP_2) | instskip(NEXT) | instid1(VALU_DEP_2)
	v_cndmask_b32_e32 v26, v26, v11, vcc_lo
	v_cndmask_b32_e64 v12, 1, v61, s0
	v_cmp_ne_u32_e64 s0, 2, v6
	s_delay_alu instid0(VALU_DEP_2) | instskip(NEXT) | instid1(VALU_DEP_2)
	v_cndmask_b32_e32 v61, v61, v12, vcc_lo
	v_cndmask_b32_e64 v25, 1, v23, s0
	v_cmp_ne_u32_e64 s0, 3, v6
	s_delay_alu instid0(VALU_DEP_2) | instskip(NEXT) | instid1(VALU_DEP_2)
	v_dual_cndmask_b32 v64, v10, v3 :: v_dual_cndmask_b32 v23, v23, v25
	v_cndmask_b32_e64 v63, 1, v24, s0
	v_cmp_ne_u32_e64 s0, 4, v6
	s_delay_alu instid0(VALU_DEP_3) | instskip(NEXT) | instid1(VALU_DEP_4)
	v_cmp_ne_u32_e64 s14, 0, v64
	v_cmp_ne_u32_e64 s12, 0, v23
	s_delay_alu instid0(VALU_DEP_3) | instskip(SKIP_1) | instid1(VALU_DEP_1)
	v_cndmask_b32_e64 v3, 1, v21, s0
	v_cmp_ne_u32_e64 s0, 5, v6
	v_cndmask_b32_e64 v10, 1, v22, s0
	v_cmp_eq_u32_e64 s0, 0, v64
	s_delay_alu instid0(VALU_DEP_2) | instskip(NEXT) | instid1(VALU_DEP_2)
	v_cndmask_b32_e32 v22, v22, v10, vcc_lo
	v_cndmask_b32_e64 v11, 1, 2, s0
	v_cmp_eq_u32_e64 s0, 0, v26
	s_delay_alu instid0(VALU_DEP_3) | instskip(NEXT) | instid1(VALU_DEP_2)
	v_cmp_ne_u32_e64 s9, 0, v22
	v_cndmask_b32_e64 v12, 1, 2, s0
	v_cmp_ne_u32_e64 s0, 6, v6
	s_delay_alu instid0(VALU_DEP_2) | instskip(NEXT) | instid1(VALU_DEP_2)
	v_and_b32_e32 v11, v12, v11
	v_cndmask_b32_e64 v25, 1, v17, s0
	v_cmp_eq_u32_e64 s0, 0, v23
	s_delay_alu instid0(VALU_DEP_2) | instskip(NEXT) | instid1(VALU_DEP_2)
	v_dual_cndmask_b32 v24, v24, v63 :: v_dual_cndmask_b32 v17, v17, v25
	v_cndmask_b32_e64 v12, 1, 2, s0
	v_cmp_ne_u32_e64 s0, 7, v6
	s_delay_alu instid0(VALU_DEP_3) | instskip(NEXT) | instid1(VALU_DEP_4)
	v_cmp_ne_u32_e64 s11, 0, v24
	v_cmp_ne_u32_e64 s8, 0, v17
	s_delay_alu instid0(VALU_DEP_4) | instskip(NEXT) | instid1(VALU_DEP_4)
	v_and_b32_e32 v11, v11, v12
	v_cndmask_b32_e64 v63, 1, v18, s0
	v_cmp_ne_u32_e64 s0, 8, v6
	v_cmp_ne_u32_e64 s13, 0, v26
	s_delay_alu instid0(VALU_DEP_2) | instskip(SKIP_1) | instid1(VALU_DEP_2)
	v_cndmask_b32_e64 v65, 1, v15, s0
	v_cmp_eq_u32_e64 s0, 0, v24
	v_cndmask_b32_e32 v15, v15, v65, vcc_lo
	s_delay_alu instid0(VALU_DEP_2) | instskip(SKIP_2) | instid1(VALU_DEP_4)
	v_cndmask_b32_e64 v12, 1, 2, s0
	v_cndmask_b32_e32 v21, v21, v3, vcc_lo
	v_cmp_ne_u32_e64 s0, 9, v6
	v_cmp_ne_u32_e64 s6, 0, v15
	s_delay_alu instid0(VALU_DEP_4) | instskip(NEXT) | instid1(VALU_DEP_4)
	v_and_b32_e32 v10, v11, v12
	v_cmp_ne_u32_e64 s10, 0, v21
	s_delay_alu instid0(VALU_DEP_4) | instskip(SKIP_1) | instid1(VALU_DEP_2)
	v_cndmask_b32_e64 v3, 1, v16, s0
	v_cmp_eq_u32_e64 s0, 0, v21
	v_cndmask_b32_e32 v16, v16, v3, vcc_lo
	s_delay_alu instid0(VALU_DEP_2) | instskip(SKIP_1) | instid1(VALU_DEP_2)
	v_cndmask_b32_e64 v11, 1, 2, s0
	v_cmp_ne_u32_e64 s0, 10, v6
	v_and_b32_e32 v10, v10, v11
	s_delay_alu instid0(VALU_DEP_2) | instskip(SKIP_1) | instid1(VALU_DEP_2)
	v_cndmask_b32_e64 v12, 1, v13, s0
	v_cmp_ne_u32_e64 s0, 12, v6
	v_dual_cndmask_b32 v18, v18, v63 :: v_dual_cndmask_b32 v13, v13, v12
	s_delay_alu instid0(VALU_DEP_2) | instskip(SKIP_1) | instid1(VALU_DEP_3)
	v_cndmask_b32_e64 v66, 1, v62, s0
	v_cmp_eq_u32_e64 s0, 0, v22
	v_cmp_ne_u32_e64 s7, 0, v18
	s_delay_alu instid0(VALU_DEP_4) | instskip(NEXT) | instid1(VALU_DEP_3)
	v_cmp_ne_u32_e64 s4, 0, v13
	v_cndmask_b32_e64 v11, 1, 2, s0
	v_cmp_ne_u32_e64 s0, 13, v6
	s_delay_alu instid0(VALU_DEP_2) | instskip(NEXT) | instid1(VALU_DEP_2)
	v_and_b32_e32 v10, v10, v11
	v_cndmask_b32_e64 v25, 1, v20, s0
	v_cmp_eq_u32_e64 s0, 0, v17
	s_delay_alu instid0(VALU_DEP_2) | instskip(NEXT) | instid1(VALU_DEP_2)
	v_dual_cndmask_b32 v20, v20, v25 :: v_dual_cndmask_b32 v25, v62, v66
	v_cndmask_b32_e64 v11, 1, 2, s0
	v_cmp_ne_u32_e64 s0, 11, v6
	s_delay_alu instid0(VALU_DEP_3) | instskip(NEXT) | instid1(VALU_DEP_4)
	v_cmp_ne_u32_e64 s1, 0, v20
	v_cmp_ne_u32_e64 s2, 0, v25
	s_delay_alu instid0(VALU_DEP_4) | instskip(NEXT) | instid1(VALU_DEP_4)
	v_and_b32_e32 v10, v10, v11
	v_cndmask_b32_e64 v6, 1, v14, s0
	v_cmp_eq_u32_e64 s0, 0, v18
	s_delay_alu instid0(VALU_DEP_2) | instskip(NEXT) | instid1(VALU_DEP_2)
	v_cndmask_b32_e32 v14, v14, v6, vcc_lo
	v_cndmask_b32_e64 v11, 1, 2, s0
	v_cmp_eq_u32_e32 vcc_lo, 0, v15
	v_cmp_ne_u32_e64 s0, 0, v61
	s_delay_alu instid0(VALU_DEP_4) | instskip(NEXT) | instid1(VALU_DEP_4)
	v_cmp_ne_u32_e64 s3, 0, v14
	v_and_b32_e32 v3, v10, v11
	v_cndmask_b32_e64 v6, 1, 2, vcc_lo
	v_add_co_u32 v10, vcc_lo, s36, v59
	v_add_co_ci_u32_e32 v11, vcc_lo, s37, v60, vcc_lo
	s_delay_alu instid0(VALU_DEP_3)
	v_and_b32_e32 v3, v3, v6
	v_cmp_eq_u32_e32 vcc_lo, 0, v16
	v_cmp_ne_u32_e64 s5, 0, v16
	v_cndmask_b32_e64 v6, 1, 2, vcc_lo
	v_add_co_u32 v10, vcc_lo, v10, v8
	v_add_co_ci_u32_e32 v11, vcc_lo, v11, v9, vcc_lo
	v_lshlrev_b32_e32 v8, 1, v2
	v_cmp_eq_u32_e32 vcc_lo, 0, v13
	v_and_b32_e32 v3, v3, v6
	v_cndmask_b32_e64 v6, 1, 2, vcc_lo
	s_delay_alu instid0(VALU_DEP_4) | instskip(SKIP_2) | instid1(VALU_DEP_4)
	v_add_co_u32 v8, vcc_lo, v8, v10
	v_add_co_ci_u32_e32 v9, vcc_lo, 0, v11, vcc_lo
	v_cmp_eq_u32_e32 vcc_lo, 0, v14
	v_and_b32_e32 v59, v3, v6
	v_add_nc_u32_e32 v3, v7, v2
	v_cndmask_b32_e64 v60, 1, 2, vcc_lo
	v_add_co_u32 v6, vcc_lo, v8, -2
	v_add_co_ci_u32_e32 v12, vcc_lo, -1, v9, vcc_lo
	v_cmp_eq_u32_e32 vcc_lo, 0, v25
	s_delay_alu instid0(VALU_DEP_4) | instskip(SKIP_2) | instid1(VALU_DEP_2)
	v_and_b32_e32 v8, v59, v60
	v_cndmask_b32_e64 v9, 1, 2, vcc_lo
	v_cmp_eq_u32_e32 vcc_lo, 0, v20
	v_and_b32_e32 v8, v8, v9
	v_cndmask_b32_e64 v9, 1, 2, vcc_lo
	v_cmp_eq_u32_e32 vcc_lo, 0, v61
	s_delay_alu instid0(VALU_DEP_2) | instskip(SKIP_2) | instid1(VALU_DEP_2)
	v_and_b32_e32 v8, v8, v9
	v_cndmask_b32_e64 v9, 1, 2, vcc_lo
	v_cmp_gt_u32_e32 vcc_lo, 0x100, v4
	v_and_b32_e32 v8, v8, v9
	s_delay_alu instid0(VALU_DEP_1)
	v_cmp_gt_i16_e64 s15, 2, v8
	s_cbranch_vccnz .LBB438_186
; %bb.183:
	s_and_b32 vcc_lo, exec_lo, s16
	s_cbranch_vccnz .LBB438_192
.LBB438_184:
	v_cmp_eq_u32_e32 vcc_lo, 0xff, v0
	s_and_b32 s0, vcc_lo, s18
	s_delay_alu instid0(SALU_CYCLE_1)
	s_and_saveexec_b32 s1, s0
	s_cbranch_execnz .LBB438_213
.LBB438_185:
	s_nop 0
	s_sendmsg sendmsg(MSG_DEALLOC_VGPRS)
	s_endpgm
.LBB438_186:
	s_delay_alu instid0(VALU_DEP_1)
	s_and_saveexec_b32 s16, s15
	s_cbranch_execz .LBB438_191
; %bb.187:
	s_mov_b32 s17, 0
	s_mov_b32 s15, exec_lo
	v_cmpx_ne_u16_e32 1, v8
	s_xor_b32 s15, exec_lo, s15
	s_cbranch_execnz .LBB438_283
; %bb.188:
	s_and_not1_saveexec_b32 s15, s15
	s_cbranch_execnz .LBB438_299
.LBB438_189:
	s_or_b32 exec_lo, exec_lo, s15
	s_delay_alu instid0(SALU_CYCLE_1)
	s_and_b32 exec_lo, exec_lo, s17
	s_cbranch_execz .LBB438_191
.LBB438_190:
	v_sub_nc_u32_e32 v13, v29, v3
	v_mov_b32_e32 v14, 0
	s_delay_alu instid0(VALU_DEP_1) | instskip(NEXT) | instid1(VALU_DEP_1)
	v_lshlrev_b64 v[13:14], 1, v[13:14]
	v_add_co_u32 v13, vcc_lo, v6, v13
	s_delay_alu instid0(VALU_DEP_2)
	v_add_co_ci_u32_e32 v14, vcc_lo, v12, v14, vcc_lo
	global_store_b16 v[13:14], v30, off
.LBB438_191:
	s_or_b32 exec_lo, exec_lo, s16
	s_branch .LBB438_184
.LBB438_192:
	s_mov_b32 s15, exec_lo
	v_cmpx_gt_i16_e32 2, v8
	s_cbranch_execz .LBB438_197
; %bb.193:
	s_mov_b32 s17, 0
	s_mov_b32 s16, exec_lo
	v_cmpx_ne_u16_e32 1, v8
	s_xor_b32 s16, exec_lo, s16
	s_cbranch_execnz .LBB438_300
; %bb.194:
	s_and_not1_saveexec_b32 s0, s16
	s_cbranch_execnz .LBB438_316
.LBB438_195:
	s_or_b32 exec_lo, exec_lo, s0
	s_delay_alu instid0(SALU_CYCLE_1)
	s_and_b32 exec_lo, exec_lo, s17
	s_cbranch_execz .LBB438_197
.LBB438_196:
	v_sub_nc_u32_e32 v3, v29, v3
	s_delay_alu instid0(VALU_DEP_1)
	v_lshlrev_b32_e32 v3, 1, v3
	ds_store_b16 v3, v30
.LBB438_197:
	s_or_b32 exec_lo, exec_lo, s15
	s_delay_alu instid0(SALU_CYCLE_1)
	s_mov_b32 s1, exec_lo
	s_waitcnt lgkmcnt(0)
	s_waitcnt_vscnt null, 0x0
	s_barrier
	buffer_gl0_inv
	v_cmpx_lt_u32_e64 v0, v4
	s_cbranch_execz .LBB438_212
; %bb.198:
	v_add_nc_u32_e32 v8, v5, v1
	s_mov_b32 s0, -1
	s_mov_b32 s3, exec_lo
	s_delay_alu instid0(VALU_DEP_1) | instskip(NEXT) | instid1(VALU_DEP_1)
	v_xad_u32 v1, v0, -1, v8
	v_sub_nc_u32_e32 v3, v1, v2
	v_mov_b32_e32 v1, v0
	s_delay_alu instid0(VALU_DEP_2)
	v_cmp_gt_u32_e64 s2, 0x1b00, v3
	v_cmpx_lt_u32_e32 0x1aff, v3
	s_cbranch_execz .LBB438_209
; %bb.199:
	v_sub_nc_u32_e32 v1, v0, v8
	s_delay_alu instid0(VALU_DEP_1) | instskip(NEXT) | instid1(VALU_DEP_1)
	v_add_nc_u32_e32 v1, v1, v2
	v_or_b32_e32 v1, 0xff, v1
	s_delay_alu instid0(VALU_DEP_1)
	v_cmp_ge_u32_e32 vcc_lo, v1, v0
	v_mov_b32_e32 v1, v0
	s_and_saveexec_b32 s4, vcc_lo
	s_cbranch_execz .LBB438_208
; %bb.200:
	v_lshrrev_b32_e32 v13, 8, v3
	v_or_b32_e32 v1, 0x100, v0
	v_lshlrev_b32_e32 v14, 1, v0
	s_delay_alu instid0(VALU_DEP_3) | instskip(NEXT) | instid1(VALU_DEP_1)
	v_add_nc_u32_e32 v2, -1, v13
	v_lshrrev_b32_e32 v3, 1, v2
	v_mov_b32_e32 v18, 0
	v_cmp_lt_u32_e32 vcc_lo, 13, v2
	s_delay_alu instid0(VALU_DEP_3)
	v_add_nc_u32_e32 v15, 1, v3
	v_dual_mov_b32 v3, v1 :: v_dual_mov_b32 v2, v0
	s_and_saveexec_b32 s0, vcc_lo
	s_cbranch_execz .LBB438_204
; %bb.201:
	s_delay_alu instid0(VALU_DEP_2)
	v_dual_mov_b32 v3, v1 :: v_dual_and_b32 v16, -8, v15
	v_mov_b32_e32 v9, 0
	v_dual_mov_b32 v17, v14 :: v_dual_mov_b32 v2, v0
	s_mov_b32 s5, 0
	s_mov_b32 s6, 0
.LBB438_202:                            ; =>This Inner Loop Header: Depth=1
	s_delay_alu instid0(VALU_DEP_1) | instskip(SKIP_2) | instid1(VALU_DEP_3)
	v_dual_mov_b32 v8, v2 :: v_dual_mov_b32 v21, v9
	v_add_nc_u32_e32 v16, -8, v16
	v_dual_mov_b32 v23, v9 :: v_dual_add_nc_u32 v20, 0x200, v3
	v_lshlrev_b64 v[37:38], 1, v[8:9]
	v_dual_mov_b32 v25, v9 :: v_dual_add_nc_u32 v22, 0x400, v3
	s_delay_alu instid0(VALU_DEP_4) | instskip(NEXT) | instid1(VALU_DEP_4)
	v_cmp_eq_u32_e32 vcc_lo, 0, v16
	v_lshlrev_b64 v[20:21], 1, v[20:21]
	v_add_nc_u32_e32 v24, 0x600, v3
	s_add_i32 s6, s6, 16
	v_lshlrev_b64 v[22:23], 1, v[22:23]
	s_or_b32 s5, vcc_lo, s5
	v_add_co_u32 v37, vcc_lo, v6, v37
	v_dual_mov_b32 v30, v9 :: v_dual_add_nc_u32 v29, 0x800, v3
	v_add_co_ci_u32_e32 v38, vcc_lo, v12, v38, vcc_lo
	v_lshlrev_b64 v[24:25], 1, v[24:25]
	v_add_co_u32 v20, vcc_lo, v6, v20
	v_dual_mov_b32 v32, v9 :: v_dual_add_nc_u32 v31, 0xa00, v3
	v_add_co_ci_u32_e32 v21, vcc_lo, v12, v21, vcc_lo
	v_lshlrev_b64 v[29:30], 1, v[29:30]
	;; [unrolled: 4-line block ×3, first 2 shown]
	v_add_co_u32 v24, vcc_lo, v6, v24
	v_dual_mov_b32 v36, v9 :: v_dual_add_nc_u32 v35, 0xe00, v3
	v_dual_mov_b32 v8, v3 :: v_dual_add_nc_u32 v3, 0x1000, v3
	v_add_co_ci_u32_e32 v25, vcc_lo, v12, v25, vcc_lo
	v_lshlrev_b64 v[33:34], 1, v[33:34]
	v_add_co_u32 v29, vcc_lo, v6, v29
	ds_load_u16 v1, v17
	ds_load_u16 v26, v17 offset:512
	ds_load_u16 v43, v17 offset:1024
	;; [unrolled: 1-line block ×7, first 2 shown]
	v_add_co_ci_u32_e32 v30, vcc_lo, v12, v30, vcc_lo
	v_lshlrev_b64 v[35:36], 1, v[35:36]
	v_add_co_u32 v31, vcc_lo, v6, v31
	v_lshlrev_b64 v[39:40], 1, v[8:9]
	v_add_nc_u32_e32 v8, 0x200, v2
	v_add_co_ci_u32_e32 v32, vcc_lo, v12, v32, vcc_lo
	v_add_co_u32 v33, vcc_lo, v6, v33
	v_add_co_ci_u32_e32 v34, vcc_lo, v12, v34, vcc_lo
	v_add_co_u32 v35, vcc_lo, v6, v35
	v_lshlrev_b64 v[41:42], 1, v[8:9]
	v_add_nc_u32_e32 v8, 0x400, v2
	v_add_co_ci_u32_e32 v36, vcc_lo, v12, v36, vcc_lo
	v_add_co_u32 v39, vcc_lo, v6, v39
	ds_load_u16 v49, v17 offset:4096
	ds_load_u16 v50, v17 offset:4608
	;; [unrolled: 1-line block ×8, first 2 shown]
	v_add_co_ci_u32_e32 v40, vcc_lo, v12, v40, vcc_lo
	s_waitcnt lgkmcnt(15)
	global_store_b16 v[37:38], v1, off
	v_lshlrev_b64 v[37:38], 1, v[8:9]
	v_add_nc_u32_e32 v8, 0x600, v2
	v_add_co_u32 v41, vcc_lo, v6, v41
	v_add_co_ci_u32_e32 v42, vcc_lo, v12, v42, vcc_lo
	s_waitcnt lgkmcnt(14)
	global_store_b16 v[39:40], v26, off
	v_lshlrev_b64 v[39:40], 1, v[8:9]
	v_add_nc_u32_e32 v8, 0x800, v2
	s_waitcnt lgkmcnt(13)
	global_store_b16 v[41:42], v43, off
	s_waitcnt lgkmcnt(12)
	global_store_b16 v[20:21], v44, off
	v_add_co_u32 v20, vcc_lo, v6, v37
	v_add_co_ci_u32_e32 v21, vcc_lo, v12, v38, vcc_lo
	v_lshlrev_b64 v[37:38], 1, v[8:9]
	v_add_nc_u32_e32 v8, 0xa00, v2
	v_add_co_u32 v39, vcc_lo, v6, v39
	v_add_co_ci_u32_e32 v40, vcc_lo, v12, v40, vcc_lo
	s_waitcnt lgkmcnt(11)
	global_store_b16 v[20:21], v45, off
	s_waitcnt lgkmcnt(10)
	global_store_b16 v[22:23], v46, off
	v_lshlrev_b64 v[20:21], 1, v[8:9]
	v_add_nc_u32_e32 v8, 0xc00, v2
	v_add_co_u32 v22, vcc_lo, v6, v37
	s_waitcnt lgkmcnt(9)
	global_store_b16 v[39:40], v47, off
	s_waitcnt lgkmcnt(8)
	global_store_b16 v[24:25], v48, off
	v_add_co_ci_u32_e32 v23, vcc_lo, v12, v38, vcc_lo
	v_lshlrev_b64 v[24:25], 1, v[8:9]
	v_add_nc_u32_e32 v8, 0xe00, v2
	v_add_co_u32 v20, vcc_lo, v6, v20
	v_add_co_ci_u32_e32 v21, vcc_lo, v12, v21, vcc_lo
	s_waitcnt lgkmcnt(7)
	global_store_b16 v[22:23], v49, off
	s_waitcnt lgkmcnt(6)
	global_store_b16 v[29:30], v50, off
	v_lshlrev_b64 v[22:23], 1, v[8:9]
	v_dual_mov_b32 v18, s6 :: v_dual_add_nc_u32 v17, 0x2000, v17
	s_waitcnt lgkmcnt(5)
	global_store_b16 v[20:21], v51, off
	v_add_co_u32 v20, vcc_lo, v6, v24
	v_add_nc_u32_e32 v2, 0x1000, v2
	v_add_co_ci_u32_e32 v21, vcc_lo, v12, v25, vcc_lo
	v_add_co_u32 v22, vcc_lo, v6, v22
	v_add_co_ci_u32_e32 v23, vcc_lo, v12, v23, vcc_lo
	s_waitcnt lgkmcnt(4)
	global_store_b16 v[31:32], v52, off
	s_waitcnt lgkmcnt(3)
	global_store_b16 v[20:21], v53, off
	;; [unrolled: 2-line block ×5, first 2 shown]
	s_and_not1_b32 exec_lo, exec_lo, s5
	s_cbranch_execnz .LBB438_202
; %bb.203:
	s_or_b32 exec_lo, exec_lo, s5
.LBB438_204:
	s_delay_alu instid0(SALU_CYCLE_1) | instskip(SKIP_3) | instid1(VALU_DEP_1)
	s_or_b32 exec_lo, exec_lo, s0
	v_and_b32_e32 v1, 7, v15
	s_mov_b32 s6, 0
	s_mov_b32 s5, exec_lo
	v_cmpx_ne_u32_e32 0, v1
	s_cbranch_execz .LBB438_207
; %bb.205:
	v_lshl_or_b32 v14, v18, 9, v14
	v_mov_b32_e32 v9, 0
	s_set_inst_prefetch_distance 0x1
	.p2align	6
.LBB438_206:                            ; =>This Inner Loop Header: Depth=1
	v_dual_mov_b32 v8, v2 :: v_dual_add_nc_u32 v1, -1, v1
	ds_load_u16 v20, v14
	ds_load_u16 v21, v14 offset:512
	v_add_nc_u32_e32 v2, 0x200, v2
	v_add_nc_u32_e32 v14, 0x400, v14
	v_lshlrev_b64 v[15:16], 1, v[8:9]
	v_dual_mov_b32 v8, v3 :: v_dual_add_nc_u32 v3, 0x200, v3
	v_cmp_eq_u32_e32 vcc_lo, 0, v1
	s_delay_alu instid0(VALU_DEP_2) | instskip(NEXT) | instid1(VALU_DEP_4)
	v_lshlrev_b64 v[17:18], 1, v[8:9]
	v_add_co_u32 v15, s0, v6, v15
	s_delay_alu instid0(VALU_DEP_1) | instskip(SKIP_1) | instid1(VALU_DEP_3)
	v_add_co_ci_u32_e64 v16, s0, v12, v16, s0
	s_or_b32 s6, vcc_lo, s6
	v_add_co_u32 v17, s0, v6, v17
	s_delay_alu instid0(VALU_DEP_1)
	v_add_co_ci_u32_e64 v18, s0, v12, v18, s0
	s_waitcnt lgkmcnt(1)
	global_store_b16 v[15:16], v20, off
	s_waitcnt lgkmcnt(0)
	global_store_b16 v[17:18], v21, off
	s_and_not1_b32 exec_lo, exec_lo, s6
	s_cbranch_execnz .LBB438_206
.LBB438_207:
	s_set_inst_prefetch_distance 0x2
	s_or_b32 exec_lo, exec_lo, s5
	v_add_nc_u32_e32 v1, 1, v13
	s_delay_alu instid0(VALU_DEP_1) | instskip(NEXT) | instid1(VALU_DEP_1)
	v_and_b32_e32 v2, 0x1fffffe, v1
	v_cmp_ne_u32_e32 vcc_lo, v1, v2
	v_lshl_or_b32 v1, v2, 8, v0
	s_or_not1_b32 s0, vcc_lo, exec_lo
.LBB438_208:
	s_or_b32 exec_lo, exec_lo, s4
	s_delay_alu instid0(SALU_CYCLE_1) | instskip(SKIP_1) | instid1(SALU_CYCLE_1)
	s_and_not1_b32 s2, s2, exec_lo
	s_and_b32 s0, s0, exec_lo
	s_or_b32 s2, s2, s0
.LBB438_209:
	s_or_b32 exec_lo, exec_lo, s3
	s_delay_alu instid0(VALU_DEP_2) | instid1(SALU_CYCLE_1)
	s_and_b32 exec_lo, exec_lo, s2
	s_cbranch_execz .LBB438_212
; %bb.210:
	v_dual_mov_b32 v2, 0 :: v_dual_lshlrev_b32 v3, 1, v1
	s_mov_b32 s2, 0
	.p2align	6
.LBB438_211:                            ; =>This Inner Loop Header: Depth=1
	ds_load_u16 v13, v3
	v_lshlrev_b64 v[8:9], 1, v[1:2]
	v_add_nc_u32_e32 v1, 0x100, v1
	v_add_nc_u32_e32 v3, 0x200, v3
	s_delay_alu instid0(VALU_DEP_2) | instskip(NEXT) | instid1(VALU_DEP_4)
	v_cmp_ge_u32_e32 vcc_lo, v1, v4
	v_add_co_u32 v8, s0, v6, v8
	s_delay_alu instid0(VALU_DEP_1)
	v_add_co_ci_u32_e64 v9, s0, v12, v9, s0
	s_or_b32 s2, vcc_lo, s2
	s_waitcnt lgkmcnt(0)
	global_store_b16 v[8:9], v13, off
	s_and_not1_b32 exec_lo, exec_lo, s2
	s_cbranch_execnz .LBB438_211
.LBB438_212:
	s_or_b32 exec_lo, exec_lo, s1
	v_cmp_eq_u32_e32 vcc_lo, 0xff, v0
	s_and_b32 s0, vcc_lo, s18
	s_delay_alu instid0(SALU_CYCLE_1)
	s_and_saveexec_b32 s1, s0
	s_cbranch_execz .LBB438_185
.LBB438_213:
	v_add_co_u32 v0, s0, v5, v7
	s_delay_alu instid0(VALU_DEP_1) | instskip(SKIP_1) | instid1(VALU_DEP_3)
	v_add_co_ci_u32_e64 v1, null, 0, 0, s0
	v_mov_b32_e32 v6, 0
	v_add_co_u32 v0, vcc_lo, v0, v27
	s_delay_alu instid0(VALU_DEP_3)
	v_add_co_ci_u32_e32 v1, vcc_lo, v1, v28, vcc_lo
	s_cmpk_lg_i32 s19, 0xf00
	global_store_b64 v6, v[0:1], s[38:39]
	s_cbranch_scc1 .LBB438_185
; %bb.214:
	v_lshlrev_b64 v[0:1], 1, v[5:6]
	s_delay_alu instid0(VALU_DEP_1) | instskip(NEXT) | instid1(VALU_DEP_2)
	v_add_co_u32 v0, vcc_lo, v10, v0
	v_add_co_ci_u32_e32 v1, vcc_lo, v11, v1, vcc_lo
	global_store_b16 v[0:1], v19, off offset:-2
	s_nop 0
	s_sendmsg sendmsg(MSG_DEALLOC_VGPRS)
	s_endpgm
.LBB438_215:
                                        ; implicit-def: $sgpr2
                                        ; implicit-def: $vgpr61
                                        ; implicit-def: $vgpr7
                                        ; implicit-def: $vgpr62
                                        ; implicit-def: $vgpr14
                                        ; implicit-def: $vgpr13
                                        ; implicit-def: $vgpr16
                                        ; implicit-def: $vgpr15
                                        ; implicit-def: $vgpr18
                                        ; implicit-def: $vgpr17
                                        ; implicit-def: $vgpr22
                                        ; implicit-def: $vgpr21
                                        ; implicit-def: $vgpr24
                                        ; implicit-def: $vgpr23
                                        ; implicit-def: $vgpr26
	s_cbranch_execz .LBB438_110
; %bb.216:
	v_dual_mov_b32 v20, 0 :: v_dual_lshlrev_b32 v7, 1, v0
	v_mov_b32_e32 v61, 0
	s_mov_b32 s2, exec_lo
	ds_store_b16 v7, v8
	v_cmpx_gt_u64_e64 s[0:1], v[19:20]
; %bb.217:
	v_and_b32_e32 v6, 0xffff, v12
	v_and_b32_e32 v8, 0xffff, v8
	s_delay_alu instid0(VALU_DEP_2) | instskip(NEXT) | instid1(VALU_DEP_2)
	v_mul_u32_u24_e32 v6, 0xcccd, v6
	v_mul_u32_u24_e32 v8, 0xcccd, v8
	s_delay_alu instid0(VALU_DEP_2) | instskip(NEXT) | instid1(VALU_DEP_2)
	v_lshrrev_b32_e32 v6, 19, v6
	v_lshrrev_b32_e32 v8, 19, v8
	s_delay_alu instid0(VALU_DEP_1)
	v_cmp_ne_u16_e32 vcc_lo, v6, v8
	v_cndmask_b32_e64 v61, 0, 1, vcc_lo
; %bb.218:
	s_or_b32 exec_lo, exec_lo, s2
	v_add_nc_u32_e32 v19, 13, v5
	s_mov_b32 s2, exec_lo
	s_delay_alu instid0(VALU_DEP_1)
	v_cmpx_gt_u64_e64 s[0:1], v[19:20]
; %bb.219:
	v_lshrrev_b32_e32 v6, 16, v11
	v_and_b32_e32 v8, 0xffff, v12
	s_delay_alu instid0(VALU_DEP_2) | instskip(NEXT) | instid1(VALU_DEP_2)
	v_mul_u32_u24_e32 v6, 0xcccd, v6
	v_mul_u32_u24_e32 v8, 0xcccd, v8
	s_delay_alu instid0(VALU_DEP_2) | instskip(NEXT) | instid1(VALU_DEP_2)
	v_lshrrev_b32_e32 v6, 19, v6
	v_lshrrev_b32_e32 v8, 19, v8
	s_delay_alu instid0(VALU_DEP_1)
	v_cmp_ne_u16_e32 vcc_lo, v6, v8
	v_cndmask_b32_e64 v20, 0, 1, vcc_lo
; %bb.220:
	s_or_b32 exec_lo, exec_lo, s2
	v_dual_mov_b32 v14, 0 :: v_dual_add_nc_u32 v13, 12, v5
	v_mov_b32_e32 v62, 0
	s_mov_b32 s2, exec_lo
	s_delay_alu instid0(VALU_DEP_2)
	v_cmpx_gt_u64_e64 s[0:1], v[13:14]
; %bb.221:
	v_and_b32_e32 v6, 0xffff, v11
	v_lshrrev_b32_e32 v8, 16, v11
	s_delay_alu instid0(VALU_DEP_2) | instskip(NEXT) | instid1(VALU_DEP_2)
	v_mul_u32_u24_e32 v6, 0xcccd, v6
	v_mul_u32_u24_e32 v8, 0xcccd, v8
	s_delay_alu instid0(VALU_DEP_2) | instskip(NEXT) | instid1(VALU_DEP_2)
	v_lshrrev_b32_e32 v6, 19, v6
	v_lshrrev_b32_e32 v8, 19, v8
	s_delay_alu instid0(VALU_DEP_1)
	v_cmp_ne_u16_e32 vcc_lo, v6, v8
	v_cndmask_b32_e64 v62, 0, 1, vcc_lo
; %bb.222:
	s_or_b32 exec_lo, exec_lo, s2
	v_add_nc_u32_e32 v13, 11, v5
	s_mov_b32 s2, exec_lo
	s_delay_alu instid0(VALU_DEP_1)
	v_cmpx_gt_u64_e64 s[0:1], v[13:14]
; %bb.223:
	v_lshrrev_b32_e32 v6, 16, v10
	v_and_b32_e32 v8, 0xffff, v11
	s_delay_alu instid0(VALU_DEP_2) | instskip(NEXT) | instid1(VALU_DEP_2)
	v_mul_u32_u24_e32 v6, 0xcccd, v6
	v_mul_u32_u24_e32 v8, 0xcccd, v8
	s_delay_alu instid0(VALU_DEP_2) | instskip(NEXT) | instid1(VALU_DEP_2)
	v_lshrrev_b32_e32 v6, 19, v6
	v_lshrrev_b32_e32 v8, 19, v8
	s_delay_alu instid0(VALU_DEP_1)
	v_cmp_ne_u16_e32 vcc_lo, v6, v8
	v_cndmask_b32_e64 v14, 0, 1, vcc_lo
; %bb.224:
	s_or_b32 exec_lo, exec_lo, s2
	v_dual_mov_b32 v16, 0 :: v_dual_add_nc_u32 v15, 10, v5
	v_mov_b32_e32 v13, 0
	s_mov_b32 s2, exec_lo
	s_delay_alu instid0(VALU_DEP_2)
	v_cmpx_gt_u64_e64 s[0:1], v[15:16]
; %bb.225:
	v_and_b32_e32 v6, 0xffff, v10
	v_lshrrev_b32_e32 v8, 16, v10
	;; [unrolled: 37-line block ×6, first 2 shown]
	s_delay_alu instid0(VALU_DEP_2) | instskip(NEXT) | instid1(VALU_DEP_2)
	v_mul_u32_u24_e32 v6, 0xcccd, v6
	v_mul_u32_u24_e32 v8, 0xcccd, v8
	s_delay_alu instid0(VALU_DEP_2) | instskip(NEXT) | instid1(VALU_DEP_2)
	v_lshrrev_b32_e32 v6, 19, v6
	v_lshrrev_b32_e32 v8, 19, v8
	s_delay_alu instid0(VALU_DEP_1)
	v_cmp_ne_u16_e32 vcc_lo, v6, v8
	v_cndmask_b32_e64 v23, 0, 1, vcc_lo
; %bb.242:
	s_or_b32 exec_lo, exec_lo, s2
	v_add_nc_u32_e32 v25, 1, v5
	s_mov_b32 s2, exec_lo
	s_delay_alu instid0(VALU_DEP_1)
	v_cmpx_gt_u64_e64 s[0:1], v[25:26]
; %bb.243:
	v_and_b32_e32 v6, 0xffff, v63
	v_and_b32_e32 v8, 0xffff, v1
	s_delay_alu instid0(VALU_DEP_2) | instskip(NEXT) | instid1(VALU_DEP_2)
	v_mul_u32_u24_e32 v6, 0xcccd, v6
	v_mul_u32_u24_e32 v8, 0xcccd, v8
	s_delay_alu instid0(VALU_DEP_2) | instskip(NEXT) | instid1(VALU_DEP_2)
	v_lshrrev_b32_e32 v6, 19, v6
	v_lshrrev_b32_e32 v8, 19, v8
	s_delay_alu instid0(VALU_DEP_1)
	v_cmp_ne_u16_e32 vcc_lo, v6, v8
	v_cndmask_b32_e64 v26, 0, 1, vcc_lo
; %bb.244:
	s_or_b32 exec_lo, exec_lo, s2
	s_mov_b32 s4, 0
	s_mov_b32 s3, exec_lo
	s_waitcnt lgkmcnt(0)
	s_barrier
	buffer_gl0_inv
                                        ; implicit-def: $sgpr2
	v_cmpx_ne_u32_e32 0, v0
	s_cbranch_execz .LBB438_248
; %bb.245:
	v_mov_b32_e32 v6, 0
	s_delay_alu instid0(VALU_DEP_1)
	v_cmp_gt_u64_e32 vcc_lo, s[0:1], v[5:6]
	s_and_saveexec_b32 s0, vcc_lo
	s_cbranch_execz .LBB438_247
; %bb.246:
	v_add_nc_u32_e32 v5, -2, v7
	v_and_b32_e32 v6, 0xffff, v63
	ds_load_u16 v5, v5
	v_mul_u32_u24_e32 v6, 0xcccd, v6
	s_delay_alu instid0(VALU_DEP_1) | instskip(SKIP_2) | instid1(VALU_DEP_1)
	v_lshrrev_b32_e32 v6, 19, v6
	s_waitcnt lgkmcnt(0)
	v_mul_u32_u24_e32 v5, 0xcccd, v5
	v_lshrrev_b32_e32 v5, 19, v5
	s_delay_alu instid0(VALU_DEP_1)
	v_cmp_ne_u16_e32 vcc_lo, v5, v6
	s_and_b32 s4, vcc_lo, exec_lo
.LBB438_247:
	s_or_b32 exec_lo, exec_lo, s0
	s_delay_alu instid0(SALU_CYCLE_1)
	s_and_b32 s2, s4, exec_lo
	s_or_b32 s28, s28, exec_lo
.LBB438_248:
	s_or_b32 exec_lo, exec_lo, s3
	v_mov_b32_e32 v7, v20
	s_mov_b32 s0, 1
	s_delay_alu instid0(SALU_CYCLE_1)
	v_mov_b32_e32 v25, s0
	s_and_saveexec_b32 s0, s28
	s_cbranch_execnz .LBB438_112
	s_branch .LBB438_113
.LBB438_249:
	s_and_saveexec_b32 s17, s14
	s_cbranch_execnz .LBB438_317
; %bb.250:
	s_or_b32 exec_lo, exec_lo, s17
	s_and_saveexec_b32 s17, s13
	s_cbranch_execnz .LBB438_318
.LBB438_251:
	s_or_b32 exec_lo, exec_lo, s17
	s_and_saveexec_b32 s17, s12
	s_cbranch_execnz .LBB438_319
.LBB438_252:
	s_or_b32 exec_lo, exec_lo, s17
	s_and_saveexec_b32 s17, s11
	s_cbranch_execnz .LBB438_320
.LBB438_253:
	s_or_b32 exec_lo, exec_lo, s17
	s_and_saveexec_b32 s17, s10
	s_cbranch_execnz .LBB438_321
.LBB438_254:
	s_or_b32 exec_lo, exec_lo, s17
	s_and_saveexec_b32 s17, s9
	s_cbranch_execnz .LBB438_322
.LBB438_255:
	s_or_b32 exec_lo, exec_lo, s17
	s_and_saveexec_b32 s17, s7
	s_cbranch_execnz .LBB438_323
.LBB438_256:
	s_or_b32 exec_lo, exec_lo, s17
	s_and_saveexec_b32 s17, s5
	s_cbranch_execnz .LBB438_324
.LBB438_257:
	s_or_b32 exec_lo, exec_lo, s17
	s_and_saveexec_b32 s17, s8
	s_cbranch_execnz .LBB438_325
.LBB438_258:
	s_or_b32 exec_lo, exec_lo, s17
	s_and_saveexec_b32 s17, s6
	s_cbranch_execnz .LBB438_326
.LBB438_259:
	s_or_b32 exec_lo, exec_lo, s17
	s_and_saveexec_b32 s17, s4
	s_cbranch_execnz .LBB438_327
.LBB438_260:
	s_or_b32 exec_lo, exec_lo, s17
	s_and_saveexec_b32 s17, s3
	s_cbranch_execnz .LBB438_328
.LBB438_261:
	s_or_b32 exec_lo, exec_lo, s17
	s_and_saveexec_b32 s17, s2
	s_cbranch_execnz .LBB438_329
.LBB438_262:
	s_or_b32 exec_lo, exec_lo, s17
	s_and_saveexec_b32 s17, s1
	s_cbranch_execz .LBB438_264
.LBB438_263:
	v_sub_nc_u32_e32 v66, v39, v7
	v_mov_b32_e32 v67, 0
	s_delay_alu instid0(VALU_DEP_1) | instskip(NEXT) | instid1(VALU_DEP_1)
	v_lshlrev_b64 v[66:67], 1, v[66:67]
	v_add_co_u32 v66, vcc_lo, v6, v66
	s_delay_alu instid0(VALU_DEP_2)
	v_add_co_ci_u32_e32 v67, vcc_lo, v64, v67, vcc_lo
	global_store_b16 v[66:67], v12, off
.LBB438_264:
	s_or_b32 exec_lo, exec_lo, s17
	s_delay_alu instid0(SALU_CYCLE_1)
	s_and_b32 s17, s0, exec_lo
	s_and_not1_saveexec_b32 s15, s15
	s_cbranch_execz .LBB438_157
.LBB438_265:
	v_sub_nc_u32_e32 v66, v55, v7
	v_mov_b32_e32 v67, 0
	s_or_b32 s17, s17, exec_lo
	s_delay_alu instid0(VALU_DEP_1) | instskip(SKIP_1) | instid1(VALU_DEP_1)
	v_lshlrev_b64 v[68:69], 1, v[66:67]
	v_sub_nc_u32_e32 v66, v49, v7
	v_lshlrev_b64 v[70:71], 1, v[66:67]
	v_sub_nc_u32_e32 v66, v51, v7
	s_delay_alu instid0(VALU_DEP_4) | instskip(SKIP_1) | instid1(VALU_DEP_3)
	v_add_co_u32 v68, vcc_lo, v6, v68
	v_add_co_ci_u32_e32 v69, vcc_lo, v64, v69, vcc_lo
	v_lshlrev_b64 v[72:73], 1, v[66:67]
	v_sub_nc_u32_e32 v66, v47, v7
	v_add_co_u32 v70, vcc_lo, v6, v70
	v_add_co_ci_u32_e32 v71, vcc_lo, v64, v71, vcc_lo
	global_store_b16 v[68:69], v63, off
	v_lshlrev_b64 v[68:69], 1, v[66:67]
	v_sub_nc_u32_e32 v66, v35, v7
	global_store_b16 v[70:71], v1, off
	v_add_co_u32 v70, vcc_lo, v6, v72
	v_add_co_ci_u32_e32 v71, vcc_lo, v64, v73, vcc_lo
	v_lshlrev_b64 v[72:73], 1, v[66:67]
	v_sub_nc_u32_e32 v66, v31, v7
	v_add_co_u32 v68, vcc_lo, v6, v68
	v_add_co_ci_u32_e32 v69, vcc_lo, v64, v69, vcc_lo
	s_delay_alu instid0(VALU_DEP_3) | instskip(SKIP_3) | instid1(VALU_DEP_3)
	v_lshlrev_b64 v[74:75], 1, v[66:67]
	v_sub_nc_u32_e32 v66, v33, v7
	v_add_co_u32 v72, vcc_lo, v6, v72
	v_add_co_ci_u32_e32 v73, vcc_lo, v64, v73, vcc_lo
	v_lshlrev_b64 v[76:77], 1, v[66:67]
	v_sub_nc_u32_e32 v66, v53, v7
	v_add_co_u32 v74, vcc_lo, v6, v74
	v_add_co_ci_u32_e32 v75, vcc_lo, v64, v75, vcc_lo
	s_clause 0x3
	global_store_d16_hi_b16 v[70:71], v1, off
	global_store_b16 v[68:69], v2, off
	global_store_d16_hi_b16 v[72:73], v2, off
	global_store_b16 v[74:75], v3, off
	v_lshlrev_b64 v[68:69], 1, v[66:67]
	v_sub_nc_u32_e32 v66, v57, v7
	v_add_co_u32 v70, vcc_lo, v6, v76
	v_add_co_ci_u32_e32 v71, vcc_lo, v64, v77, vcc_lo
	s_delay_alu instid0(VALU_DEP_3) | instskip(SKIP_3) | instid1(VALU_DEP_3)
	v_lshlrev_b64 v[72:73], 1, v[66:67]
	v_sub_nc_u32_e32 v66, v45, v7
	v_add_co_u32 v68, vcc_lo, v6, v68
	v_add_co_ci_u32_e32 v69, vcc_lo, v64, v69, vcc_lo
	v_lshlrev_b64 v[74:75], 1, v[66:67]
	v_sub_nc_u32_e32 v66, v43, v7
	v_add_co_u32 v72, vcc_lo, v6, v72
	v_add_co_ci_u32_e32 v73, vcc_lo, v64, v73, vcc_lo
	s_delay_alu instid0(VALU_DEP_3)
	v_lshlrev_b64 v[76:77], 1, v[66:67]
	v_sub_nc_u32_e32 v66, v37, v7
	v_add_co_u32 v74, vcc_lo, v6, v74
	v_add_co_ci_u32_e32 v75, vcc_lo, v64, v75, vcc_lo
	s_clause 0x3
	global_store_d16_hi_b16 v[70:71], v3, off
	global_store_b16 v[68:69], v4, off
	global_store_d16_hi_b16 v[72:73], v4, off
	global_store_b16 v[74:75], v10, off
	v_lshlrev_b64 v[68:69], 1, v[66:67]
	v_sub_nc_u32_e32 v66, v41, v7
	v_add_co_u32 v70, vcc_lo, v6, v76
	v_add_co_ci_u32_e32 v71, vcc_lo, v64, v77, vcc_lo
	s_delay_alu instid0(VALU_DEP_3) | instskip(SKIP_3) | instid1(VALU_DEP_3)
	v_lshlrev_b64 v[72:73], 1, v[66:67]
	v_sub_nc_u32_e32 v66, v39, v7
	v_add_co_u32 v68, vcc_lo, v6, v68
	v_add_co_ci_u32_e32 v69, vcc_lo, v64, v69, vcc_lo
	v_lshlrev_b64 v[66:67], 1, v[66:67]
	v_add_co_u32 v72, vcc_lo, v6, v72
	v_add_co_ci_u32_e32 v73, vcc_lo, v64, v73, vcc_lo
	s_clause 0x2
	global_store_d16_hi_b16 v[70:71], v10, off
	global_store_b16 v[68:69], v11, off
	global_store_d16_hi_b16 v[72:73], v11, off
	v_add_co_u32 v66, vcc_lo, v6, v66
	v_add_co_ci_u32_e32 v67, vcc_lo, v64, v67, vcc_lo
	global_store_b16 v[66:67], v12, off
	s_or_b32 exec_lo, exec_lo, s15
	s_delay_alu instid0(SALU_CYCLE_1)
	s_and_b32 exec_lo, exec_lo, s17
	s_cbranch_execnz .LBB438_158
	s_branch .LBB438_159
.LBB438_266:
	s_and_saveexec_b32 s17, s14
	s_cbranch_execnz .LBB438_330
; %bb.267:
	s_or_b32 exec_lo, exec_lo, s17
	s_and_saveexec_b32 s14, s13
	s_cbranch_execnz .LBB438_331
.LBB438_268:
	s_or_b32 exec_lo, exec_lo, s14
	s_and_saveexec_b32 s13, s12
	s_cbranch_execnz .LBB438_332
.LBB438_269:
	s_or_b32 exec_lo, exec_lo, s13
	s_and_saveexec_b32 s12, s11
	s_cbranch_execnz .LBB438_333
.LBB438_270:
	s_or_b32 exec_lo, exec_lo, s12
	s_and_saveexec_b32 s11, s10
	s_cbranch_execnz .LBB438_334
.LBB438_271:
	s_or_b32 exec_lo, exec_lo, s11
	s_and_saveexec_b32 s10, s9
	s_cbranch_execnz .LBB438_335
.LBB438_272:
	s_or_b32 exec_lo, exec_lo, s10
	s_and_saveexec_b32 s9, s7
	s_cbranch_execnz .LBB438_336
.LBB438_273:
	s_or_b32 exec_lo, exec_lo, s9
	s_and_saveexec_b32 s7, s5
	s_cbranch_execnz .LBB438_337
.LBB438_274:
	s_or_b32 exec_lo, exec_lo, s7
	s_and_saveexec_b32 s5, s8
	s_cbranch_execnz .LBB438_338
.LBB438_275:
	s_or_b32 exec_lo, exec_lo, s5
	s_and_saveexec_b32 s5, s6
	s_cbranch_execnz .LBB438_339
.LBB438_276:
	s_or_b32 exec_lo, exec_lo, s5
	s_and_saveexec_b32 s5, s4
	s_cbranch_execnz .LBB438_340
.LBB438_277:
	s_or_b32 exec_lo, exec_lo, s5
	s_and_saveexec_b32 s4, s3
	s_cbranch_execnz .LBB438_341
.LBB438_278:
	s_or_b32 exec_lo, exec_lo, s4
	s_and_saveexec_b32 s3, s2
	s_cbranch_execnz .LBB438_342
.LBB438_279:
	s_or_b32 exec_lo, exec_lo, s3
	s_and_saveexec_b32 s2, s1
	s_cbranch_execz .LBB438_281
.LBB438_280:
	v_sub_nc_u32_e32 v1, v39, v7
	s_delay_alu instid0(VALU_DEP_1)
	v_lshlrev_b32_e32 v1, 1, v1
	ds_store_b16 v1, v12
.LBB438_281:
	s_or_b32 exec_lo, exec_lo, s2
	s_delay_alu instid0(SALU_CYCLE_1)
	s_and_b32 s17, s0, exec_lo
                                        ; implicit-def: $vgpr63
                                        ; implicit-def: $vgpr1
	s_and_not1_saveexec_b32 s0, s16
	s_cbranch_execz .LBB438_164
.LBB438_282:
	v_sub_nc_u32_e32 v65, v55, v7
	v_sub_nc_u32_e32 v66, v49, v7
	;; [unrolled: 1-line block ×4, first 2 shown]
	s_or_b32 s17, s17, exec_lo
	v_lshlrev_b32_e32 v65, 1, v65
	v_lshlrev_b32_e32 v66, 1, v66
	;; [unrolled: 1-line block ×4, first 2 shown]
	ds_store_b16 v65, v63
	ds_store_b16 v66, v1
	ds_store_b16_d16_hi v67, v1
	v_sub_nc_u32_e32 v1, v35, v7
	v_sub_nc_u32_e32 v63, v31, v7
	;; [unrolled: 1-line block ×5, first 2 shown]
	v_lshlrev_b32_e32 v1, 1, v1
	ds_store_b16 v68, v2
	v_lshlrev_b32_e32 v63, 1, v63
	v_lshlrev_b32_e32 v65, 1, v65
	;; [unrolled: 1-line block ×3, first 2 shown]
	ds_store_b16_d16_hi v1, v2
	v_lshlrev_b32_e32 v1, 1, v67
	v_sub_nc_u32_e32 v2, v45, v7
	ds_store_b16 v63, v3
	ds_store_b16_d16_hi v65, v3
	ds_store_b16 v66, v4
	v_sub_nc_u32_e32 v63, v39, v7
	v_sub_nc_u32_e32 v3, v37, v7
	ds_store_b16_d16_hi v1, v4
	v_sub_nc_u32_e32 v1, v43, v7
	v_lshlrev_b32_e32 v2, 1, v2
	v_sub_nc_u32_e32 v4, v41, v7
	v_lshlrev_b32_e32 v3, 1, v3
	s_delay_alu instid0(VALU_DEP_4)
	v_lshlrev_b32_e32 v1, 1, v1
	ds_store_b16 v2, v10
	v_lshlrev_b32_e32 v2, 1, v63
	v_lshlrev_b32_e32 v4, 1, v4
	ds_store_b16_d16_hi v1, v10
	ds_store_b16 v3, v11
	ds_store_b16_d16_hi v4, v11
	ds_store_b16 v2, v12
	s_or_b32 exec_lo, exec_lo, s0
	s_delay_alu instid0(SALU_CYCLE_1)
	s_and_b32 exec_lo, exec_lo, s17
	s_cbranch_execnz .LBB438_165
	s_branch .LBB438_166
.LBB438_283:
	s_and_saveexec_b32 s17, s14
	s_cbranch_execnz .LBB438_343
; %bb.284:
	s_or_b32 exec_lo, exec_lo, s17
	s_and_saveexec_b32 s17, s13
	s_cbranch_execnz .LBB438_344
.LBB438_285:
	s_or_b32 exec_lo, exec_lo, s17
	s_and_saveexec_b32 s17, s12
	s_cbranch_execnz .LBB438_345
.LBB438_286:
	s_or_b32 exec_lo, exec_lo, s17
	s_and_saveexec_b32 s17, s11
	s_cbranch_execnz .LBB438_346
.LBB438_287:
	s_or_b32 exec_lo, exec_lo, s17
	s_and_saveexec_b32 s17, s10
	s_cbranch_execnz .LBB438_347
.LBB438_288:
	s_or_b32 exec_lo, exec_lo, s17
	s_and_saveexec_b32 s17, s9
	s_cbranch_execnz .LBB438_348
.LBB438_289:
	s_or_b32 exec_lo, exec_lo, s17
	s_and_saveexec_b32 s17, s8
	s_cbranch_execnz .LBB438_349
.LBB438_290:
	s_or_b32 exec_lo, exec_lo, s17
	s_and_saveexec_b32 s17, s7
	s_cbranch_execnz .LBB438_350
.LBB438_291:
	s_or_b32 exec_lo, exec_lo, s17
	s_and_saveexec_b32 s17, s6
	s_cbranch_execnz .LBB438_351
.LBB438_292:
	s_or_b32 exec_lo, exec_lo, s17
	s_and_saveexec_b32 s17, s5
	s_cbranch_execnz .LBB438_352
.LBB438_293:
	s_or_b32 exec_lo, exec_lo, s17
	s_and_saveexec_b32 s17, s4
	s_cbranch_execnz .LBB438_353
.LBB438_294:
	s_or_b32 exec_lo, exec_lo, s17
	s_and_saveexec_b32 s17, s3
	s_cbranch_execnz .LBB438_354
.LBB438_295:
	s_or_b32 exec_lo, exec_lo, s17
	s_and_saveexec_b32 s17, s2
	s_cbranch_execnz .LBB438_355
.LBB438_296:
	s_or_b32 exec_lo, exec_lo, s17
	s_and_saveexec_b32 s17, s1
	s_cbranch_execz .LBB438_298
.LBB438_297:
	v_sub_nc_u32_e32 v13, v39, v3
	v_mov_b32_e32 v14, 0
	s_delay_alu instid0(VALU_DEP_1) | instskip(NEXT) | instid1(VALU_DEP_1)
	v_lshlrev_b64 v[13:14], 1, v[13:14]
	v_add_co_u32 v13, vcc_lo, v6, v13
	s_delay_alu instid0(VALU_DEP_2)
	v_add_co_ci_u32_e32 v14, vcc_lo, v12, v14, vcc_lo
	global_store_b16 v[13:14], v40, off
.LBB438_298:
	s_or_b32 exec_lo, exec_lo, s17
	s_delay_alu instid0(SALU_CYCLE_1)
	s_and_b32 s17, s0, exec_lo
	s_and_not1_saveexec_b32 s15, s15
	s_cbranch_execz .LBB438_189
.LBB438_299:
	v_sub_nc_u32_e32 v13, v55, v3
	v_mov_b32_e32 v14, 0
	s_or_b32 s17, s17, exec_lo
	s_delay_alu instid0(VALU_DEP_1) | instskip(SKIP_1) | instid1(VALU_DEP_1)
	v_lshlrev_b64 v[15:16], 1, v[13:14]
	v_sub_nc_u32_e32 v13, v49, v3
	v_lshlrev_b64 v[17:18], 1, v[13:14]
	v_sub_nc_u32_e32 v13, v51, v3
	s_delay_alu instid0(VALU_DEP_4) | instskip(SKIP_1) | instid1(VALU_DEP_3)
	v_add_co_u32 v15, vcc_lo, v6, v15
	v_add_co_ci_u32_e32 v16, vcc_lo, v12, v16, vcc_lo
	v_lshlrev_b64 v[20:21], 1, v[13:14]
	v_sub_nc_u32_e32 v13, v47, v3
	v_add_co_u32 v17, vcc_lo, v6, v17
	v_add_co_ci_u32_e32 v18, vcc_lo, v12, v18, vcc_lo
	global_store_b16 v[15:16], v56, off
	v_lshlrev_b64 v[15:16], 1, v[13:14]
	v_sub_nc_u32_e32 v13, v35, v3
	global_store_b16 v[17:18], v50, off
	v_add_co_u32 v17, vcc_lo, v6, v20
	v_add_co_ci_u32_e32 v18, vcc_lo, v12, v21, vcc_lo
	v_lshlrev_b64 v[20:21], 1, v[13:14]
	v_sub_nc_u32_e32 v13, v31, v3
	v_add_co_u32 v15, vcc_lo, v6, v15
	v_add_co_ci_u32_e32 v16, vcc_lo, v12, v16, vcc_lo
	s_delay_alu instid0(VALU_DEP_3) | instskip(SKIP_3) | instid1(VALU_DEP_3)
	v_lshlrev_b64 v[22:23], 1, v[13:14]
	v_sub_nc_u32_e32 v13, v33, v3
	v_add_co_u32 v20, vcc_lo, v6, v20
	v_add_co_ci_u32_e32 v21, vcc_lo, v12, v21, vcc_lo
	v_lshlrev_b64 v[24:25], 1, v[13:14]
	v_sub_nc_u32_e32 v13, v53, v3
	v_add_co_u32 v22, vcc_lo, v6, v22
	v_add_co_ci_u32_e32 v23, vcc_lo, v12, v23, vcc_lo
	s_clause 0x3
	global_store_b16 v[17:18], v52, off
	global_store_b16 v[15:16], v48, off
	;; [unrolled: 1-line block ×4, first 2 shown]
	v_lshlrev_b64 v[15:16], 1, v[13:14]
	v_sub_nc_u32_e32 v13, v57, v3
	v_add_co_u32 v17, vcc_lo, v6, v24
	v_add_co_ci_u32_e32 v18, vcc_lo, v12, v25, vcc_lo
	s_delay_alu instid0(VALU_DEP_3) | instskip(SKIP_3) | instid1(VALU_DEP_3)
	v_lshlrev_b64 v[20:21], 1, v[13:14]
	v_sub_nc_u32_e32 v13, v45, v3
	v_add_co_u32 v15, vcc_lo, v6, v15
	v_add_co_ci_u32_e32 v16, vcc_lo, v12, v16, vcc_lo
	v_lshlrev_b64 v[22:23], 1, v[13:14]
	v_sub_nc_u32_e32 v13, v43, v3
	v_add_co_u32 v20, vcc_lo, v6, v20
	v_add_co_ci_u32_e32 v21, vcc_lo, v12, v21, vcc_lo
	s_delay_alu instid0(VALU_DEP_3)
	v_lshlrev_b64 v[24:25], 1, v[13:14]
	v_sub_nc_u32_e32 v13, v37, v3
	v_add_co_u32 v22, vcc_lo, v6, v22
	v_add_co_ci_u32_e32 v23, vcc_lo, v12, v23, vcc_lo
	s_clause 0x3
	global_store_b16 v[17:18], v34, off
	global_store_b16 v[15:16], v54, off
	;; [unrolled: 1-line block ×4, first 2 shown]
	v_lshlrev_b64 v[15:16], 1, v[13:14]
	v_sub_nc_u32_e32 v13, v41, v3
	v_add_co_u32 v17, vcc_lo, v6, v24
	v_add_co_ci_u32_e32 v18, vcc_lo, v12, v25, vcc_lo
	s_delay_alu instid0(VALU_DEP_3) | instskip(SKIP_3) | instid1(VALU_DEP_3)
	v_lshlrev_b64 v[20:21], 1, v[13:14]
	v_sub_nc_u32_e32 v13, v39, v3
	v_add_co_u32 v15, vcc_lo, v6, v15
	v_add_co_ci_u32_e32 v16, vcc_lo, v12, v16, vcc_lo
	v_lshlrev_b64 v[13:14], 1, v[13:14]
	v_add_co_u32 v20, vcc_lo, v6, v20
	v_add_co_ci_u32_e32 v21, vcc_lo, v12, v21, vcc_lo
	s_clause 0x2
	global_store_b16 v[17:18], v44, off
	global_store_b16 v[15:16], v38, off
	;; [unrolled: 1-line block ×3, first 2 shown]
	v_add_co_u32 v13, vcc_lo, v6, v13
	v_add_co_ci_u32_e32 v14, vcc_lo, v12, v14, vcc_lo
	global_store_b16 v[13:14], v40, off
	s_or_b32 exec_lo, exec_lo, s15
	s_delay_alu instid0(SALU_CYCLE_1)
	s_and_b32 exec_lo, exec_lo, s17
	s_cbranch_execnz .LBB438_190
	s_branch .LBB438_191
.LBB438_300:
	s_and_saveexec_b32 s17, s14
	s_cbranch_execnz .LBB438_356
; %bb.301:
	s_or_b32 exec_lo, exec_lo, s17
	s_and_saveexec_b32 s14, s13
	s_cbranch_execnz .LBB438_357
.LBB438_302:
	s_or_b32 exec_lo, exec_lo, s14
	s_and_saveexec_b32 s13, s12
	s_cbranch_execnz .LBB438_358
.LBB438_303:
	s_or_b32 exec_lo, exec_lo, s13
	s_and_saveexec_b32 s12, s11
	s_cbranch_execnz .LBB438_359
.LBB438_304:
	s_or_b32 exec_lo, exec_lo, s12
	s_and_saveexec_b32 s11, s10
	s_cbranch_execnz .LBB438_360
.LBB438_305:
	s_or_b32 exec_lo, exec_lo, s11
	s_and_saveexec_b32 s10, s9
	s_cbranch_execnz .LBB438_361
.LBB438_306:
	s_or_b32 exec_lo, exec_lo, s10
	s_and_saveexec_b32 s9, s8
	s_cbranch_execnz .LBB438_362
.LBB438_307:
	s_or_b32 exec_lo, exec_lo, s9
	s_and_saveexec_b32 s8, s7
	s_cbranch_execnz .LBB438_363
.LBB438_308:
	s_or_b32 exec_lo, exec_lo, s8
	s_and_saveexec_b32 s7, s6
	s_cbranch_execnz .LBB438_364
.LBB438_309:
	s_or_b32 exec_lo, exec_lo, s7
	s_and_saveexec_b32 s6, s5
	s_cbranch_execnz .LBB438_365
.LBB438_310:
	s_or_b32 exec_lo, exec_lo, s6
	s_and_saveexec_b32 s5, s4
	s_cbranch_execnz .LBB438_366
.LBB438_311:
	s_or_b32 exec_lo, exec_lo, s5
	s_and_saveexec_b32 s4, s3
	s_cbranch_execnz .LBB438_367
.LBB438_312:
	s_or_b32 exec_lo, exec_lo, s4
	s_and_saveexec_b32 s3, s2
	s_cbranch_execnz .LBB438_368
.LBB438_313:
	s_or_b32 exec_lo, exec_lo, s3
	s_and_saveexec_b32 s2, s1
	s_cbranch_execz .LBB438_315
.LBB438_314:
	v_sub_nc_u32_e32 v8, v39, v3
	s_delay_alu instid0(VALU_DEP_1)
	v_lshlrev_b32_e32 v8, 1, v8
	ds_store_b16 v8, v40
.LBB438_315:
	s_or_b32 exec_lo, exec_lo, s2
	s_delay_alu instid0(SALU_CYCLE_1)
	s_and_b32 s17, s0, exec_lo
                                        ; implicit-def: $vgpr55_vgpr56
                                        ; implicit-def: $vgpr49_vgpr50
                                        ; implicit-def: $vgpr51_vgpr52
                                        ; implicit-def: $vgpr47_vgpr48
                                        ; implicit-def: $vgpr35_vgpr36
                                        ; implicit-def: $vgpr31_vgpr32
                                        ; implicit-def: $vgpr33_vgpr34
                                        ; implicit-def: $vgpr53_vgpr54
                                        ; implicit-def: $vgpr57_vgpr58
                                        ; implicit-def: $vgpr45_vgpr46
                                        ; implicit-def: $vgpr43_vgpr44
                                        ; implicit-def: $vgpr37_vgpr38
                                        ; implicit-def: $vgpr41_vgpr42
                                        ; implicit-def: $vgpr39_vgpr40
	s_and_not1_saveexec_b32 s0, s16
	s_cbranch_execz .LBB438_195
.LBB438_316:
	v_sub_nc_u32_e32 v8, v55, v3
	v_sub_nc_u32_e32 v9, v49, v3
	;; [unrolled: 1-line block ×5, first 2 shown]
	v_lshlrev_b32_e32 v8, 1, v8
	v_lshlrev_b32_e32 v9, 1, v9
	;; [unrolled: 1-line block ×4, first 2 shown]
	s_or_b32 s17, s17, exec_lo
	ds_store_b16 v8, v56
	ds_store_b16 v9, v50
	;; [unrolled: 1-line block ×3, first 2 shown]
	v_sub_nc_u32_e32 v8, v35, v3
	v_sub_nc_u32_e32 v9, v31, v3
	;; [unrolled: 1-line block ×3, first 2 shown]
	ds_store_b16 v14, v48
	v_sub_nc_u32_e32 v14, v53, v3
	v_lshlrev_b32_e32 v8, 1, v8
	v_lshlrev_b32_e32 v9, 1, v9
	;; [unrolled: 1-line block ×3, first 2 shown]
	s_delay_alu instid0(VALU_DEP_4)
	v_lshlrev_b32_e32 v14, 1, v14
	ds_store_b16 v8, v36
	v_lshlrev_b32_e32 v8, 1, v15
	ds_store_b16 v9, v32
	ds_store_b16 v13, v34
	;; [unrolled: 1-line block ×3, first 2 shown]
	v_sub_nc_u32_e32 v9, v45, v3
	v_sub_nc_u32_e32 v15, v39, v3
	;; [unrolled: 1-line block ×3, first 2 shown]
	ds_store_b16 v8, v58
	v_sub_nc_u32_e32 v8, v43, v3
	v_lshlrev_b32_e32 v9, 1, v9
	v_sub_nc_u32_e32 v14, v41, v3
	v_lshlrev_b32_e32 v13, 1, v13
	s_delay_alu instid0(VALU_DEP_4)
	v_lshlrev_b32_e32 v8, 1, v8
	ds_store_b16 v9, v46
	v_lshlrev_b32_e32 v9, 1, v15
	v_lshlrev_b32_e32 v14, 1, v14
	ds_store_b16 v8, v44
	ds_store_b16 v13, v38
	;; [unrolled: 1-line block ×4, first 2 shown]
	s_or_b32 exec_lo, exec_lo, s0
	s_delay_alu instid0(SALU_CYCLE_1)
	s_and_b32 exec_lo, exec_lo, s17
	s_cbranch_execnz .LBB438_196
	s_branch .LBB438_197
.LBB438_317:
	v_sub_nc_u32_e32 v66, v55, v7
	v_mov_b32_e32 v67, 0
	s_delay_alu instid0(VALU_DEP_1) | instskip(NEXT) | instid1(VALU_DEP_1)
	v_lshlrev_b64 v[66:67], 1, v[66:67]
	v_add_co_u32 v66, vcc_lo, v6, v66
	s_delay_alu instid0(VALU_DEP_2)
	v_add_co_ci_u32_e32 v67, vcc_lo, v64, v67, vcc_lo
	global_store_b16 v[66:67], v63, off
	s_or_b32 exec_lo, exec_lo, s17
	s_and_saveexec_b32 s17, s13
	s_cbranch_execz .LBB438_251
.LBB438_318:
	v_sub_nc_u32_e32 v66, v49, v7
	v_mov_b32_e32 v67, 0
	s_delay_alu instid0(VALU_DEP_1) | instskip(NEXT) | instid1(VALU_DEP_1)
	v_lshlrev_b64 v[66:67], 1, v[66:67]
	v_add_co_u32 v66, vcc_lo, v6, v66
	s_delay_alu instid0(VALU_DEP_2)
	v_add_co_ci_u32_e32 v67, vcc_lo, v64, v67, vcc_lo
	global_store_b16 v[66:67], v1, off
	s_or_b32 exec_lo, exec_lo, s17
	s_and_saveexec_b32 s17, s12
	s_cbranch_execz .LBB438_252
.LBB438_319:
	v_sub_nc_u32_e32 v66, v51, v7
	v_mov_b32_e32 v67, 0
	s_delay_alu instid0(VALU_DEP_1) | instskip(NEXT) | instid1(VALU_DEP_1)
	v_lshlrev_b64 v[66:67], 1, v[66:67]
	v_add_co_u32 v66, vcc_lo, v6, v66
	s_delay_alu instid0(VALU_DEP_2)
	v_add_co_ci_u32_e32 v67, vcc_lo, v64, v67, vcc_lo
	global_store_d16_hi_b16 v[66:67], v1, off
	s_or_b32 exec_lo, exec_lo, s17
	s_and_saveexec_b32 s17, s11
	s_cbranch_execz .LBB438_253
.LBB438_320:
	v_sub_nc_u32_e32 v66, v47, v7
	v_mov_b32_e32 v67, 0
	s_delay_alu instid0(VALU_DEP_1) | instskip(NEXT) | instid1(VALU_DEP_1)
	v_lshlrev_b64 v[66:67], 1, v[66:67]
	v_add_co_u32 v66, vcc_lo, v6, v66
	s_delay_alu instid0(VALU_DEP_2)
	v_add_co_ci_u32_e32 v67, vcc_lo, v64, v67, vcc_lo
	global_store_b16 v[66:67], v2, off
	s_or_b32 exec_lo, exec_lo, s17
	s_and_saveexec_b32 s17, s10
	s_cbranch_execz .LBB438_254
.LBB438_321:
	v_sub_nc_u32_e32 v66, v35, v7
	v_mov_b32_e32 v67, 0
	s_delay_alu instid0(VALU_DEP_1) | instskip(NEXT) | instid1(VALU_DEP_1)
	v_lshlrev_b64 v[66:67], 1, v[66:67]
	v_add_co_u32 v66, vcc_lo, v6, v66
	s_delay_alu instid0(VALU_DEP_2)
	v_add_co_ci_u32_e32 v67, vcc_lo, v64, v67, vcc_lo
	global_store_d16_hi_b16 v[66:67], v2, off
	s_or_b32 exec_lo, exec_lo, s17
	s_and_saveexec_b32 s17, s9
	s_cbranch_execz .LBB438_255
.LBB438_322:
	v_sub_nc_u32_e32 v66, v31, v7
	v_mov_b32_e32 v67, 0
	s_delay_alu instid0(VALU_DEP_1) | instskip(NEXT) | instid1(VALU_DEP_1)
	v_lshlrev_b64 v[66:67], 1, v[66:67]
	v_add_co_u32 v66, vcc_lo, v6, v66
	s_delay_alu instid0(VALU_DEP_2)
	v_add_co_ci_u32_e32 v67, vcc_lo, v64, v67, vcc_lo
	global_store_b16 v[66:67], v3, off
	s_or_b32 exec_lo, exec_lo, s17
	s_and_saveexec_b32 s17, s7
	s_cbranch_execz .LBB438_256
.LBB438_323:
	v_sub_nc_u32_e32 v66, v33, v7
	v_mov_b32_e32 v67, 0
	s_delay_alu instid0(VALU_DEP_1) | instskip(NEXT) | instid1(VALU_DEP_1)
	v_lshlrev_b64 v[66:67], 1, v[66:67]
	v_add_co_u32 v66, vcc_lo, v6, v66
	s_delay_alu instid0(VALU_DEP_2)
	v_add_co_ci_u32_e32 v67, vcc_lo, v64, v67, vcc_lo
	global_store_d16_hi_b16 v[66:67], v3, off
	s_or_b32 exec_lo, exec_lo, s17
	s_and_saveexec_b32 s17, s5
	s_cbranch_execz .LBB438_257
.LBB438_324:
	v_sub_nc_u32_e32 v66, v53, v7
	v_mov_b32_e32 v67, 0
	s_delay_alu instid0(VALU_DEP_1) | instskip(NEXT) | instid1(VALU_DEP_1)
	v_lshlrev_b64 v[66:67], 1, v[66:67]
	v_add_co_u32 v66, vcc_lo, v6, v66
	s_delay_alu instid0(VALU_DEP_2)
	v_add_co_ci_u32_e32 v67, vcc_lo, v64, v67, vcc_lo
	global_store_b16 v[66:67], v4, off
	s_or_b32 exec_lo, exec_lo, s17
	s_and_saveexec_b32 s17, s8
	s_cbranch_execz .LBB438_258
.LBB438_325:
	v_sub_nc_u32_e32 v66, v57, v7
	v_mov_b32_e32 v67, 0
	s_delay_alu instid0(VALU_DEP_1) | instskip(NEXT) | instid1(VALU_DEP_1)
	v_lshlrev_b64 v[66:67], 1, v[66:67]
	v_add_co_u32 v66, vcc_lo, v6, v66
	s_delay_alu instid0(VALU_DEP_2)
	v_add_co_ci_u32_e32 v67, vcc_lo, v64, v67, vcc_lo
	global_store_d16_hi_b16 v[66:67], v4, off
	s_or_b32 exec_lo, exec_lo, s17
	s_and_saveexec_b32 s17, s6
	s_cbranch_execz .LBB438_259
.LBB438_326:
	v_sub_nc_u32_e32 v66, v45, v7
	v_mov_b32_e32 v67, 0
	s_delay_alu instid0(VALU_DEP_1) | instskip(NEXT) | instid1(VALU_DEP_1)
	v_lshlrev_b64 v[66:67], 1, v[66:67]
	v_add_co_u32 v66, vcc_lo, v6, v66
	s_delay_alu instid0(VALU_DEP_2)
	v_add_co_ci_u32_e32 v67, vcc_lo, v64, v67, vcc_lo
	global_store_b16 v[66:67], v10, off
	s_or_b32 exec_lo, exec_lo, s17
	s_and_saveexec_b32 s17, s4
	s_cbranch_execz .LBB438_260
.LBB438_327:
	v_sub_nc_u32_e32 v66, v43, v7
	v_mov_b32_e32 v67, 0
	s_delay_alu instid0(VALU_DEP_1) | instskip(NEXT) | instid1(VALU_DEP_1)
	v_lshlrev_b64 v[66:67], 1, v[66:67]
	v_add_co_u32 v66, vcc_lo, v6, v66
	s_delay_alu instid0(VALU_DEP_2)
	v_add_co_ci_u32_e32 v67, vcc_lo, v64, v67, vcc_lo
	global_store_d16_hi_b16 v[66:67], v10, off
	s_or_b32 exec_lo, exec_lo, s17
	s_and_saveexec_b32 s17, s3
	s_cbranch_execz .LBB438_261
.LBB438_328:
	v_sub_nc_u32_e32 v66, v37, v7
	v_mov_b32_e32 v67, 0
	s_delay_alu instid0(VALU_DEP_1) | instskip(NEXT) | instid1(VALU_DEP_1)
	v_lshlrev_b64 v[66:67], 1, v[66:67]
	v_add_co_u32 v66, vcc_lo, v6, v66
	s_delay_alu instid0(VALU_DEP_2)
	v_add_co_ci_u32_e32 v67, vcc_lo, v64, v67, vcc_lo
	global_store_b16 v[66:67], v11, off
	s_or_b32 exec_lo, exec_lo, s17
	s_and_saveexec_b32 s17, s2
	s_cbranch_execz .LBB438_262
.LBB438_329:
	v_sub_nc_u32_e32 v66, v41, v7
	v_mov_b32_e32 v67, 0
	s_delay_alu instid0(VALU_DEP_1) | instskip(NEXT) | instid1(VALU_DEP_1)
	v_lshlrev_b64 v[66:67], 1, v[66:67]
	v_add_co_u32 v66, vcc_lo, v6, v66
	s_delay_alu instid0(VALU_DEP_2)
	v_add_co_ci_u32_e32 v67, vcc_lo, v64, v67, vcc_lo
	global_store_d16_hi_b16 v[66:67], v11, off
	s_or_b32 exec_lo, exec_lo, s17
	s_and_saveexec_b32 s17, s1
	s_cbranch_execnz .LBB438_263
	s_branch .LBB438_264
.LBB438_330:
	v_sub_nc_u32_e32 v65, v55, v7
	s_delay_alu instid0(VALU_DEP_1)
	v_lshlrev_b32_e32 v65, 1, v65
	ds_store_b16 v65, v63
	s_or_b32 exec_lo, exec_lo, s17
	s_and_saveexec_b32 s14, s13
	s_cbranch_execz .LBB438_268
.LBB438_331:
	v_sub_nc_u32_e32 v63, v49, v7
	s_delay_alu instid0(VALU_DEP_1)
	v_lshlrev_b32_e32 v63, 1, v63
	ds_store_b16 v63, v1
	s_or_b32 exec_lo, exec_lo, s14
	s_and_saveexec_b32 s13, s12
	s_cbranch_execz .LBB438_269
.LBB438_332:
	v_sub_nc_u32_e32 v63, v51, v7
	s_delay_alu instid0(VALU_DEP_1)
	v_lshlrev_b32_e32 v63, 1, v63
	ds_store_b16_d16_hi v63, v1
	s_or_b32 exec_lo, exec_lo, s13
	s_and_saveexec_b32 s12, s11
	s_cbranch_execz .LBB438_270
.LBB438_333:
	v_sub_nc_u32_e32 v1, v47, v7
	s_delay_alu instid0(VALU_DEP_1)
	v_lshlrev_b32_e32 v1, 1, v1
	ds_store_b16 v1, v2
	s_or_b32 exec_lo, exec_lo, s12
	s_and_saveexec_b32 s11, s10
	s_cbranch_execz .LBB438_271
.LBB438_334:
	v_sub_nc_u32_e32 v1, v35, v7
	s_delay_alu instid0(VALU_DEP_1)
	v_lshlrev_b32_e32 v1, 1, v1
	ds_store_b16_d16_hi v1, v2
	s_or_b32 exec_lo, exec_lo, s11
	s_and_saveexec_b32 s10, s9
	s_cbranch_execz .LBB438_272
.LBB438_335:
	v_sub_nc_u32_e32 v1, v31, v7
	s_delay_alu instid0(VALU_DEP_1)
	v_lshlrev_b32_e32 v1, 1, v1
	ds_store_b16 v1, v3
	s_or_b32 exec_lo, exec_lo, s10
	s_and_saveexec_b32 s9, s7
	s_cbranch_execz .LBB438_273
.LBB438_336:
	v_sub_nc_u32_e32 v1, v33, v7
	s_delay_alu instid0(VALU_DEP_1)
	v_lshlrev_b32_e32 v1, 1, v1
	ds_store_b16_d16_hi v1, v3
	s_or_b32 exec_lo, exec_lo, s9
	s_and_saveexec_b32 s7, s5
	s_cbranch_execz .LBB438_274
.LBB438_337:
	v_sub_nc_u32_e32 v1, v53, v7
	s_delay_alu instid0(VALU_DEP_1)
	v_lshlrev_b32_e32 v1, 1, v1
	ds_store_b16 v1, v4
	s_or_b32 exec_lo, exec_lo, s7
	s_and_saveexec_b32 s5, s8
	s_cbranch_execz .LBB438_275
.LBB438_338:
	v_sub_nc_u32_e32 v1, v57, v7
	s_delay_alu instid0(VALU_DEP_1)
	v_lshlrev_b32_e32 v1, 1, v1
	ds_store_b16_d16_hi v1, v4
	s_or_b32 exec_lo, exec_lo, s5
	s_and_saveexec_b32 s5, s6
	s_cbranch_execz .LBB438_276
.LBB438_339:
	v_sub_nc_u32_e32 v1, v45, v7
	s_delay_alu instid0(VALU_DEP_1)
	v_lshlrev_b32_e32 v1, 1, v1
	ds_store_b16 v1, v10
	s_or_b32 exec_lo, exec_lo, s5
	s_and_saveexec_b32 s5, s4
	s_cbranch_execz .LBB438_277
.LBB438_340:
	v_sub_nc_u32_e32 v1, v43, v7
	s_delay_alu instid0(VALU_DEP_1)
	v_lshlrev_b32_e32 v1, 1, v1
	ds_store_b16_d16_hi v1, v10
	s_or_b32 exec_lo, exec_lo, s5
	s_and_saveexec_b32 s4, s3
	s_cbranch_execz .LBB438_278
.LBB438_341:
	v_sub_nc_u32_e32 v1, v37, v7
	s_delay_alu instid0(VALU_DEP_1)
	v_lshlrev_b32_e32 v1, 1, v1
	ds_store_b16 v1, v11
	s_or_b32 exec_lo, exec_lo, s4
	s_and_saveexec_b32 s3, s2
	s_cbranch_execz .LBB438_279
.LBB438_342:
	v_sub_nc_u32_e32 v1, v41, v7
	s_delay_alu instid0(VALU_DEP_1)
	v_lshlrev_b32_e32 v1, 1, v1
	ds_store_b16_d16_hi v1, v11
	s_or_b32 exec_lo, exec_lo, s3
	s_and_saveexec_b32 s2, s1
	s_cbranch_execnz .LBB438_280
	s_branch .LBB438_281
.LBB438_343:
	v_sub_nc_u32_e32 v13, v55, v3
	v_mov_b32_e32 v14, 0
	s_delay_alu instid0(VALU_DEP_1) | instskip(NEXT) | instid1(VALU_DEP_1)
	v_lshlrev_b64 v[13:14], 1, v[13:14]
	v_add_co_u32 v13, vcc_lo, v6, v13
	s_delay_alu instid0(VALU_DEP_2)
	v_add_co_ci_u32_e32 v14, vcc_lo, v12, v14, vcc_lo
	global_store_b16 v[13:14], v56, off
	s_or_b32 exec_lo, exec_lo, s17
	s_and_saveexec_b32 s17, s13
	s_cbranch_execz .LBB438_285
.LBB438_344:
	v_sub_nc_u32_e32 v13, v49, v3
	v_mov_b32_e32 v14, 0
	s_delay_alu instid0(VALU_DEP_1) | instskip(NEXT) | instid1(VALU_DEP_1)
	v_lshlrev_b64 v[13:14], 1, v[13:14]
	v_add_co_u32 v13, vcc_lo, v6, v13
	s_delay_alu instid0(VALU_DEP_2)
	v_add_co_ci_u32_e32 v14, vcc_lo, v12, v14, vcc_lo
	global_store_b16 v[13:14], v50, off
	s_or_b32 exec_lo, exec_lo, s17
	s_and_saveexec_b32 s17, s12
	s_cbranch_execz .LBB438_286
.LBB438_345:
	v_sub_nc_u32_e32 v13, v51, v3
	v_mov_b32_e32 v14, 0
	s_delay_alu instid0(VALU_DEP_1) | instskip(NEXT) | instid1(VALU_DEP_1)
	v_lshlrev_b64 v[13:14], 1, v[13:14]
	v_add_co_u32 v13, vcc_lo, v6, v13
	s_delay_alu instid0(VALU_DEP_2)
	v_add_co_ci_u32_e32 v14, vcc_lo, v12, v14, vcc_lo
	global_store_b16 v[13:14], v52, off
	s_or_b32 exec_lo, exec_lo, s17
	s_and_saveexec_b32 s17, s11
	s_cbranch_execz .LBB438_287
.LBB438_346:
	v_sub_nc_u32_e32 v13, v47, v3
	v_mov_b32_e32 v14, 0
	s_delay_alu instid0(VALU_DEP_1) | instskip(NEXT) | instid1(VALU_DEP_1)
	v_lshlrev_b64 v[13:14], 1, v[13:14]
	v_add_co_u32 v13, vcc_lo, v6, v13
	s_delay_alu instid0(VALU_DEP_2)
	v_add_co_ci_u32_e32 v14, vcc_lo, v12, v14, vcc_lo
	global_store_b16 v[13:14], v48, off
	s_or_b32 exec_lo, exec_lo, s17
	s_and_saveexec_b32 s17, s10
	s_cbranch_execz .LBB438_288
.LBB438_347:
	v_sub_nc_u32_e32 v13, v35, v3
	v_mov_b32_e32 v14, 0
	s_delay_alu instid0(VALU_DEP_1) | instskip(NEXT) | instid1(VALU_DEP_1)
	v_lshlrev_b64 v[13:14], 1, v[13:14]
	v_add_co_u32 v13, vcc_lo, v6, v13
	s_delay_alu instid0(VALU_DEP_2)
	v_add_co_ci_u32_e32 v14, vcc_lo, v12, v14, vcc_lo
	global_store_b16 v[13:14], v36, off
	s_or_b32 exec_lo, exec_lo, s17
	s_and_saveexec_b32 s17, s9
	s_cbranch_execz .LBB438_289
.LBB438_348:
	v_sub_nc_u32_e32 v13, v31, v3
	v_mov_b32_e32 v14, 0
	s_delay_alu instid0(VALU_DEP_1) | instskip(NEXT) | instid1(VALU_DEP_1)
	v_lshlrev_b64 v[13:14], 1, v[13:14]
	v_add_co_u32 v13, vcc_lo, v6, v13
	s_delay_alu instid0(VALU_DEP_2)
	v_add_co_ci_u32_e32 v14, vcc_lo, v12, v14, vcc_lo
	global_store_b16 v[13:14], v32, off
	s_or_b32 exec_lo, exec_lo, s17
	s_and_saveexec_b32 s17, s8
	s_cbranch_execz .LBB438_290
.LBB438_349:
	v_sub_nc_u32_e32 v13, v33, v3
	v_mov_b32_e32 v14, 0
	s_delay_alu instid0(VALU_DEP_1) | instskip(NEXT) | instid1(VALU_DEP_1)
	v_lshlrev_b64 v[13:14], 1, v[13:14]
	v_add_co_u32 v13, vcc_lo, v6, v13
	s_delay_alu instid0(VALU_DEP_2)
	v_add_co_ci_u32_e32 v14, vcc_lo, v12, v14, vcc_lo
	global_store_b16 v[13:14], v34, off
	s_or_b32 exec_lo, exec_lo, s17
	s_and_saveexec_b32 s17, s7
	s_cbranch_execz .LBB438_291
.LBB438_350:
	v_sub_nc_u32_e32 v13, v53, v3
	v_mov_b32_e32 v14, 0
	s_delay_alu instid0(VALU_DEP_1) | instskip(NEXT) | instid1(VALU_DEP_1)
	v_lshlrev_b64 v[13:14], 1, v[13:14]
	v_add_co_u32 v13, vcc_lo, v6, v13
	s_delay_alu instid0(VALU_DEP_2)
	v_add_co_ci_u32_e32 v14, vcc_lo, v12, v14, vcc_lo
	global_store_b16 v[13:14], v54, off
	s_or_b32 exec_lo, exec_lo, s17
	s_and_saveexec_b32 s17, s6
	s_cbranch_execz .LBB438_292
.LBB438_351:
	v_sub_nc_u32_e32 v13, v57, v3
	v_mov_b32_e32 v14, 0
	s_delay_alu instid0(VALU_DEP_1) | instskip(NEXT) | instid1(VALU_DEP_1)
	v_lshlrev_b64 v[13:14], 1, v[13:14]
	v_add_co_u32 v13, vcc_lo, v6, v13
	s_delay_alu instid0(VALU_DEP_2)
	v_add_co_ci_u32_e32 v14, vcc_lo, v12, v14, vcc_lo
	global_store_b16 v[13:14], v58, off
	s_or_b32 exec_lo, exec_lo, s17
	s_and_saveexec_b32 s17, s5
	s_cbranch_execz .LBB438_293
.LBB438_352:
	v_sub_nc_u32_e32 v13, v45, v3
	v_mov_b32_e32 v14, 0
	s_delay_alu instid0(VALU_DEP_1) | instskip(NEXT) | instid1(VALU_DEP_1)
	v_lshlrev_b64 v[13:14], 1, v[13:14]
	v_add_co_u32 v13, vcc_lo, v6, v13
	s_delay_alu instid0(VALU_DEP_2)
	v_add_co_ci_u32_e32 v14, vcc_lo, v12, v14, vcc_lo
	global_store_b16 v[13:14], v46, off
	s_or_b32 exec_lo, exec_lo, s17
	s_and_saveexec_b32 s17, s4
	s_cbranch_execz .LBB438_294
.LBB438_353:
	v_sub_nc_u32_e32 v13, v43, v3
	v_mov_b32_e32 v14, 0
	s_delay_alu instid0(VALU_DEP_1) | instskip(NEXT) | instid1(VALU_DEP_1)
	v_lshlrev_b64 v[13:14], 1, v[13:14]
	v_add_co_u32 v13, vcc_lo, v6, v13
	s_delay_alu instid0(VALU_DEP_2)
	v_add_co_ci_u32_e32 v14, vcc_lo, v12, v14, vcc_lo
	global_store_b16 v[13:14], v44, off
	s_or_b32 exec_lo, exec_lo, s17
	s_and_saveexec_b32 s17, s3
	s_cbranch_execz .LBB438_295
.LBB438_354:
	v_sub_nc_u32_e32 v13, v37, v3
	v_mov_b32_e32 v14, 0
	s_delay_alu instid0(VALU_DEP_1) | instskip(NEXT) | instid1(VALU_DEP_1)
	v_lshlrev_b64 v[13:14], 1, v[13:14]
	v_add_co_u32 v13, vcc_lo, v6, v13
	s_delay_alu instid0(VALU_DEP_2)
	v_add_co_ci_u32_e32 v14, vcc_lo, v12, v14, vcc_lo
	global_store_b16 v[13:14], v38, off
	s_or_b32 exec_lo, exec_lo, s17
	s_and_saveexec_b32 s17, s2
	s_cbranch_execz .LBB438_296
.LBB438_355:
	v_sub_nc_u32_e32 v13, v41, v3
	v_mov_b32_e32 v14, 0
	s_delay_alu instid0(VALU_DEP_1) | instskip(NEXT) | instid1(VALU_DEP_1)
	v_lshlrev_b64 v[13:14], 1, v[13:14]
	v_add_co_u32 v13, vcc_lo, v6, v13
	s_delay_alu instid0(VALU_DEP_2)
	v_add_co_ci_u32_e32 v14, vcc_lo, v12, v14, vcc_lo
	global_store_b16 v[13:14], v42, off
	s_or_b32 exec_lo, exec_lo, s17
	s_and_saveexec_b32 s17, s1
	s_cbranch_execnz .LBB438_297
	s_branch .LBB438_298
.LBB438_356:
	v_sub_nc_u32_e32 v8, v55, v3
	s_delay_alu instid0(VALU_DEP_1)
	v_lshlrev_b32_e32 v8, 1, v8
	ds_store_b16 v8, v56
	s_or_b32 exec_lo, exec_lo, s17
	s_and_saveexec_b32 s14, s13
	s_cbranch_execz .LBB438_302
.LBB438_357:
	v_sub_nc_u32_e32 v8, v49, v3
	s_delay_alu instid0(VALU_DEP_1)
	v_lshlrev_b32_e32 v8, 1, v8
	ds_store_b16 v8, v50
	s_or_b32 exec_lo, exec_lo, s14
	s_and_saveexec_b32 s13, s12
	s_cbranch_execz .LBB438_303
.LBB438_358:
	v_sub_nc_u32_e32 v8, v51, v3
	s_delay_alu instid0(VALU_DEP_1)
	v_lshlrev_b32_e32 v8, 1, v8
	ds_store_b16 v8, v52
	s_or_b32 exec_lo, exec_lo, s13
	s_and_saveexec_b32 s12, s11
	s_cbranch_execz .LBB438_304
.LBB438_359:
	v_sub_nc_u32_e32 v8, v47, v3
	s_delay_alu instid0(VALU_DEP_1)
	v_lshlrev_b32_e32 v8, 1, v8
	ds_store_b16 v8, v48
	s_or_b32 exec_lo, exec_lo, s12
	s_and_saveexec_b32 s11, s10
	s_cbranch_execz .LBB438_305
.LBB438_360:
	v_sub_nc_u32_e32 v8, v35, v3
	s_delay_alu instid0(VALU_DEP_1)
	v_lshlrev_b32_e32 v8, 1, v8
	ds_store_b16 v8, v36
	s_or_b32 exec_lo, exec_lo, s11
	s_and_saveexec_b32 s10, s9
	s_cbranch_execz .LBB438_306
.LBB438_361:
	v_sub_nc_u32_e32 v8, v31, v3
	s_delay_alu instid0(VALU_DEP_1)
	v_lshlrev_b32_e32 v8, 1, v8
	ds_store_b16 v8, v32
	s_or_b32 exec_lo, exec_lo, s10
	s_and_saveexec_b32 s9, s8
	s_cbranch_execz .LBB438_307
.LBB438_362:
	v_sub_nc_u32_e32 v8, v33, v3
	s_delay_alu instid0(VALU_DEP_1)
	v_lshlrev_b32_e32 v8, 1, v8
	ds_store_b16 v8, v34
	s_or_b32 exec_lo, exec_lo, s9
	s_and_saveexec_b32 s8, s7
	s_cbranch_execz .LBB438_308
.LBB438_363:
	v_sub_nc_u32_e32 v8, v53, v3
	s_delay_alu instid0(VALU_DEP_1)
	v_lshlrev_b32_e32 v8, 1, v8
	ds_store_b16 v8, v54
	s_or_b32 exec_lo, exec_lo, s8
	s_and_saveexec_b32 s7, s6
	s_cbranch_execz .LBB438_309
.LBB438_364:
	v_sub_nc_u32_e32 v8, v57, v3
	s_delay_alu instid0(VALU_DEP_1)
	v_lshlrev_b32_e32 v8, 1, v8
	ds_store_b16 v8, v58
	s_or_b32 exec_lo, exec_lo, s7
	s_and_saveexec_b32 s6, s5
	s_cbranch_execz .LBB438_310
.LBB438_365:
	v_sub_nc_u32_e32 v8, v45, v3
	s_delay_alu instid0(VALU_DEP_1)
	v_lshlrev_b32_e32 v8, 1, v8
	ds_store_b16 v8, v46
	s_or_b32 exec_lo, exec_lo, s6
	s_and_saveexec_b32 s5, s4
	s_cbranch_execz .LBB438_311
.LBB438_366:
	v_sub_nc_u32_e32 v8, v43, v3
	s_delay_alu instid0(VALU_DEP_1)
	v_lshlrev_b32_e32 v8, 1, v8
	ds_store_b16 v8, v44
	s_or_b32 exec_lo, exec_lo, s5
	s_and_saveexec_b32 s4, s3
	s_cbranch_execz .LBB438_312
.LBB438_367:
	v_sub_nc_u32_e32 v8, v37, v3
	s_delay_alu instid0(VALU_DEP_1)
	v_lshlrev_b32_e32 v8, 1, v8
	ds_store_b16 v8, v38
	s_or_b32 exec_lo, exec_lo, s4
	s_and_saveexec_b32 s3, s2
	s_cbranch_execz .LBB438_313
.LBB438_368:
	v_sub_nc_u32_e32 v8, v41, v3
	s_delay_alu instid0(VALU_DEP_1)
	v_lshlrev_b32_e32 v8, 1, v8
	ds_store_b16 v8, v42
	s_or_b32 exec_lo, exec_lo, s3
	s_and_saveexec_b32 s2, s1
	s_cbranch_execnz .LBB438_314
	s_branch .LBB438_315
	.section	.rodata,"a",@progbits
	.p2align	6, 0x0
	.amdhsa_kernel _ZN7rocprim17ROCPRIM_400000_NS6detail17trampoline_kernelINS0_14default_configENS1_29reduce_by_key_config_selectorIttN6thrust23THRUST_200600_302600_NS4plusItEEEEZZNS1_33reduce_by_key_impl_wrapped_configILNS1_25lookback_scan_determinismE0ES3_S9_NS6_6detail15normal_iteratorINS6_10device_ptrItEEEESG_SG_SG_PmS8_22is_equal_div_10_reduceItEEE10hipError_tPvRmT2_T3_mT4_T5_T6_T7_T8_P12ihipStream_tbENKUlT_T0_E_clISt17integral_constantIbLb0EES11_EEDaSW_SX_EUlSW_E_NS1_11comp_targetILNS1_3genE9ELNS1_11target_archE1100ELNS1_3gpuE3ELNS1_3repE0EEENS1_30default_config_static_selectorELNS0_4arch9wavefront6targetE0EEEvT1_
		.amdhsa_group_segment_fixed_size 7680
		.amdhsa_private_segment_fixed_size 0
		.amdhsa_kernarg_size 120
		.amdhsa_user_sgpr_count 15
		.amdhsa_user_sgpr_dispatch_ptr 0
		.amdhsa_user_sgpr_queue_ptr 0
		.amdhsa_user_sgpr_kernarg_segment_ptr 1
		.amdhsa_user_sgpr_dispatch_id 0
		.amdhsa_user_sgpr_private_segment_size 0
		.amdhsa_wavefront_size32 1
		.amdhsa_uses_dynamic_stack 0
		.amdhsa_enable_private_segment 0
		.amdhsa_system_sgpr_workgroup_id_x 1
		.amdhsa_system_sgpr_workgroup_id_y 0
		.amdhsa_system_sgpr_workgroup_id_z 0
		.amdhsa_system_sgpr_workgroup_info 0
		.amdhsa_system_vgpr_workitem_id 0
		.amdhsa_next_free_vgpr 102
		.amdhsa_next_free_sgpr 44
		.amdhsa_reserve_vcc 1
		.amdhsa_float_round_mode_32 0
		.amdhsa_float_round_mode_16_64 0
		.amdhsa_float_denorm_mode_32 3
		.amdhsa_float_denorm_mode_16_64 3
		.amdhsa_dx10_clamp 1
		.amdhsa_ieee_mode 1
		.amdhsa_fp16_overflow 0
		.amdhsa_workgroup_processor_mode 1
		.amdhsa_memory_ordered 1
		.amdhsa_forward_progress 0
		.amdhsa_shared_vgpr_count 0
		.amdhsa_exception_fp_ieee_invalid_op 0
		.amdhsa_exception_fp_denorm_src 0
		.amdhsa_exception_fp_ieee_div_zero 0
		.amdhsa_exception_fp_ieee_overflow 0
		.amdhsa_exception_fp_ieee_underflow 0
		.amdhsa_exception_fp_ieee_inexact 0
		.amdhsa_exception_int_div_zero 0
	.end_amdhsa_kernel
	.section	.text._ZN7rocprim17ROCPRIM_400000_NS6detail17trampoline_kernelINS0_14default_configENS1_29reduce_by_key_config_selectorIttN6thrust23THRUST_200600_302600_NS4plusItEEEEZZNS1_33reduce_by_key_impl_wrapped_configILNS1_25lookback_scan_determinismE0ES3_S9_NS6_6detail15normal_iteratorINS6_10device_ptrItEEEESG_SG_SG_PmS8_22is_equal_div_10_reduceItEEE10hipError_tPvRmT2_T3_mT4_T5_T6_T7_T8_P12ihipStream_tbENKUlT_T0_E_clISt17integral_constantIbLb0EES11_EEDaSW_SX_EUlSW_E_NS1_11comp_targetILNS1_3genE9ELNS1_11target_archE1100ELNS1_3gpuE3ELNS1_3repE0EEENS1_30default_config_static_selectorELNS0_4arch9wavefront6targetE0EEEvT1_,"axG",@progbits,_ZN7rocprim17ROCPRIM_400000_NS6detail17trampoline_kernelINS0_14default_configENS1_29reduce_by_key_config_selectorIttN6thrust23THRUST_200600_302600_NS4plusItEEEEZZNS1_33reduce_by_key_impl_wrapped_configILNS1_25lookback_scan_determinismE0ES3_S9_NS6_6detail15normal_iteratorINS6_10device_ptrItEEEESG_SG_SG_PmS8_22is_equal_div_10_reduceItEEE10hipError_tPvRmT2_T3_mT4_T5_T6_T7_T8_P12ihipStream_tbENKUlT_T0_E_clISt17integral_constantIbLb0EES11_EEDaSW_SX_EUlSW_E_NS1_11comp_targetILNS1_3genE9ELNS1_11target_archE1100ELNS1_3gpuE3ELNS1_3repE0EEENS1_30default_config_static_selectorELNS0_4arch9wavefront6targetE0EEEvT1_,comdat
.Lfunc_end438:
	.size	_ZN7rocprim17ROCPRIM_400000_NS6detail17trampoline_kernelINS0_14default_configENS1_29reduce_by_key_config_selectorIttN6thrust23THRUST_200600_302600_NS4plusItEEEEZZNS1_33reduce_by_key_impl_wrapped_configILNS1_25lookback_scan_determinismE0ES3_S9_NS6_6detail15normal_iteratorINS6_10device_ptrItEEEESG_SG_SG_PmS8_22is_equal_div_10_reduceItEEE10hipError_tPvRmT2_T3_mT4_T5_T6_T7_T8_P12ihipStream_tbENKUlT_T0_E_clISt17integral_constantIbLb0EES11_EEDaSW_SX_EUlSW_E_NS1_11comp_targetILNS1_3genE9ELNS1_11target_archE1100ELNS1_3gpuE3ELNS1_3repE0EEENS1_30default_config_static_selectorELNS0_4arch9wavefront6targetE0EEEvT1_, .Lfunc_end438-_ZN7rocprim17ROCPRIM_400000_NS6detail17trampoline_kernelINS0_14default_configENS1_29reduce_by_key_config_selectorIttN6thrust23THRUST_200600_302600_NS4plusItEEEEZZNS1_33reduce_by_key_impl_wrapped_configILNS1_25lookback_scan_determinismE0ES3_S9_NS6_6detail15normal_iteratorINS6_10device_ptrItEEEESG_SG_SG_PmS8_22is_equal_div_10_reduceItEEE10hipError_tPvRmT2_T3_mT4_T5_T6_T7_T8_P12ihipStream_tbENKUlT_T0_E_clISt17integral_constantIbLb0EES11_EEDaSW_SX_EUlSW_E_NS1_11comp_targetILNS1_3genE9ELNS1_11target_archE1100ELNS1_3gpuE3ELNS1_3repE0EEENS1_30default_config_static_selectorELNS0_4arch9wavefront6targetE0EEEvT1_
                                        ; -- End function
	.section	.AMDGPU.csdata,"",@progbits
; Kernel info:
; codeLenInByte = 23192
; NumSgprs: 46
; NumVgprs: 102
; ScratchSize: 0
; MemoryBound: 0
; FloatMode: 240
; IeeeMode: 1
; LDSByteSize: 7680 bytes/workgroup (compile time only)
; SGPRBlocks: 5
; VGPRBlocks: 12
; NumSGPRsForWavesPerEU: 46
; NumVGPRsForWavesPerEU: 102
; Occupancy: 12
; WaveLimiterHint : 1
; COMPUTE_PGM_RSRC2:SCRATCH_EN: 0
; COMPUTE_PGM_RSRC2:USER_SGPR: 15
; COMPUTE_PGM_RSRC2:TRAP_HANDLER: 0
; COMPUTE_PGM_RSRC2:TGID_X_EN: 1
; COMPUTE_PGM_RSRC2:TGID_Y_EN: 0
; COMPUTE_PGM_RSRC2:TGID_Z_EN: 0
; COMPUTE_PGM_RSRC2:TIDIG_COMP_CNT: 0
	.section	.text._ZN7rocprim17ROCPRIM_400000_NS6detail17trampoline_kernelINS0_14default_configENS1_29reduce_by_key_config_selectorIttN6thrust23THRUST_200600_302600_NS4plusItEEEEZZNS1_33reduce_by_key_impl_wrapped_configILNS1_25lookback_scan_determinismE0ES3_S9_NS6_6detail15normal_iteratorINS6_10device_ptrItEEEESG_SG_SG_PmS8_22is_equal_div_10_reduceItEEE10hipError_tPvRmT2_T3_mT4_T5_T6_T7_T8_P12ihipStream_tbENKUlT_T0_E_clISt17integral_constantIbLb0EES11_EEDaSW_SX_EUlSW_E_NS1_11comp_targetILNS1_3genE8ELNS1_11target_archE1030ELNS1_3gpuE2ELNS1_3repE0EEENS1_30default_config_static_selectorELNS0_4arch9wavefront6targetE0EEEvT1_,"axG",@progbits,_ZN7rocprim17ROCPRIM_400000_NS6detail17trampoline_kernelINS0_14default_configENS1_29reduce_by_key_config_selectorIttN6thrust23THRUST_200600_302600_NS4plusItEEEEZZNS1_33reduce_by_key_impl_wrapped_configILNS1_25lookback_scan_determinismE0ES3_S9_NS6_6detail15normal_iteratorINS6_10device_ptrItEEEESG_SG_SG_PmS8_22is_equal_div_10_reduceItEEE10hipError_tPvRmT2_T3_mT4_T5_T6_T7_T8_P12ihipStream_tbENKUlT_T0_E_clISt17integral_constantIbLb0EES11_EEDaSW_SX_EUlSW_E_NS1_11comp_targetILNS1_3genE8ELNS1_11target_archE1030ELNS1_3gpuE2ELNS1_3repE0EEENS1_30default_config_static_selectorELNS0_4arch9wavefront6targetE0EEEvT1_,comdat
	.protected	_ZN7rocprim17ROCPRIM_400000_NS6detail17trampoline_kernelINS0_14default_configENS1_29reduce_by_key_config_selectorIttN6thrust23THRUST_200600_302600_NS4plusItEEEEZZNS1_33reduce_by_key_impl_wrapped_configILNS1_25lookback_scan_determinismE0ES3_S9_NS6_6detail15normal_iteratorINS6_10device_ptrItEEEESG_SG_SG_PmS8_22is_equal_div_10_reduceItEEE10hipError_tPvRmT2_T3_mT4_T5_T6_T7_T8_P12ihipStream_tbENKUlT_T0_E_clISt17integral_constantIbLb0EES11_EEDaSW_SX_EUlSW_E_NS1_11comp_targetILNS1_3genE8ELNS1_11target_archE1030ELNS1_3gpuE2ELNS1_3repE0EEENS1_30default_config_static_selectorELNS0_4arch9wavefront6targetE0EEEvT1_ ; -- Begin function _ZN7rocprim17ROCPRIM_400000_NS6detail17trampoline_kernelINS0_14default_configENS1_29reduce_by_key_config_selectorIttN6thrust23THRUST_200600_302600_NS4plusItEEEEZZNS1_33reduce_by_key_impl_wrapped_configILNS1_25lookback_scan_determinismE0ES3_S9_NS6_6detail15normal_iteratorINS6_10device_ptrItEEEESG_SG_SG_PmS8_22is_equal_div_10_reduceItEEE10hipError_tPvRmT2_T3_mT4_T5_T6_T7_T8_P12ihipStream_tbENKUlT_T0_E_clISt17integral_constantIbLb0EES11_EEDaSW_SX_EUlSW_E_NS1_11comp_targetILNS1_3genE8ELNS1_11target_archE1030ELNS1_3gpuE2ELNS1_3repE0EEENS1_30default_config_static_selectorELNS0_4arch9wavefront6targetE0EEEvT1_
	.globl	_ZN7rocprim17ROCPRIM_400000_NS6detail17trampoline_kernelINS0_14default_configENS1_29reduce_by_key_config_selectorIttN6thrust23THRUST_200600_302600_NS4plusItEEEEZZNS1_33reduce_by_key_impl_wrapped_configILNS1_25lookback_scan_determinismE0ES3_S9_NS6_6detail15normal_iteratorINS6_10device_ptrItEEEESG_SG_SG_PmS8_22is_equal_div_10_reduceItEEE10hipError_tPvRmT2_T3_mT4_T5_T6_T7_T8_P12ihipStream_tbENKUlT_T0_E_clISt17integral_constantIbLb0EES11_EEDaSW_SX_EUlSW_E_NS1_11comp_targetILNS1_3genE8ELNS1_11target_archE1030ELNS1_3gpuE2ELNS1_3repE0EEENS1_30default_config_static_selectorELNS0_4arch9wavefront6targetE0EEEvT1_
	.p2align	8
	.type	_ZN7rocprim17ROCPRIM_400000_NS6detail17trampoline_kernelINS0_14default_configENS1_29reduce_by_key_config_selectorIttN6thrust23THRUST_200600_302600_NS4plusItEEEEZZNS1_33reduce_by_key_impl_wrapped_configILNS1_25lookback_scan_determinismE0ES3_S9_NS6_6detail15normal_iteratorINS6_10device_ptrItEEEESG_SG_SG_PmS8_22is_equal_div_10_reduceItEEE10hipError_tPvRmT2_T3_mT4_T5_T6_T7_T8_P12ihipStream_tbENKUlT_T0_E_clISt17integral_constantIbLb0EES11_EEDaSW_SX_EUlSW_E_NS1_11comp_targetILNS1_3genE8ELNS1_11target_archE1030ELNS1_3gpuE2ELNS1_3repE0EEENS1_30default_config_static_selectorELNS0_4arch9wavefront6targetE0EEEvT1_,@function
_ZN7rocprim17ROCPRIM_400000_NS6detail17trampoline_kernelINS0_14default_configENS1_29reduce_by_key_config_selectorIttN6thrust23THRUST_200600_302600_NS4plusItEEEEZZNS1_33reduce_by_key_impl_wrapped_configILNS1_25lookback_scan_determinismE0ES3_S9_NS6_6detail15normal_iteratorINS6_10device_ptrItEEEESG_SG_SG_PmS8_22is_equal_div_10_reduceItEEE10hipError_tPvRmT2_T3_mT4_T5_T6_T7_T8_P12ihipStream_tbENKUlT_T0_E_clISt17integral_constantIbLb0EES11_EEDaSW_SX_EUlSW_E_NS1_11comp_targetILNS1_3genE8ELNS1_11target_archE1030ELNS1_3gpuE2ELNS1_3repE0EEENS1_30default_config_static_selectorELNS0_4arch9wavefront6targetE0EEEvT1_: ; @_ZN7rocprim17ROCPRIM_400000_NS6detail17trampoline_kernelINS0_14default_configENS1_29reduce_by_key_config_selectorIttN6thrust23THRUST_200600_302600_NS4plusItEEEEZZNS1_33reduce_by_key_impl_wrapped_configILNS1_25lookback_scan_determinismE0ES3_S9_NS6_6detail15normal_iteratorINS6_10device_ptrItEEEESG_SG_SG_PmS8_22is_equal_div_10_reduceItEEE10hipError_tPvRmT2_T3_mT4_T5_T6_T7_T8_P12ihipStream_tbENKUlT_T0_E_clISt17integral_constantIbLb0EES11_EEDaSW_SX_EUlSW_E_NS1_11comp_targetILNS1_3genE8ELNS1_11target_archE1030ELNS1_3gpuE2ELNS1_3repE0EEENS1_30default_config_static_selectorELNS0_4arch9wavefront6targetE0EEEvT1_
; %bb.0:
	.section	.rodata,"a",@progbits
	.p2align	6, 0x0
	.amdhsa_kernel _ZN7rocprim17ROCPRIM_400000_NS6detail17trampoline_kernelINS0_14default_configENS1_29reduce_by_key_config_selectorIttN6thrust23THRUST_200600_302600_NS4plusItEEEEZZNS1_33reduce_by_key_impl_wrapped_configILNS1_25lookback_scan_determinismE0ES3_S9_NS6_6detail15normal_iteratorINS6_10device_ptrItEEEESG_SG_SG_PmS8_22is_equal_div_10_reduceItEEE10hipError_tPvRmT2_T3_mT4_T5_T6_T7_T8_P12ihipStream_tbENKUlT_T0_E_clISt17integral_constantIbLb0EES11_EEDaSW_SX_EUlSW_E_NS1_11comp_targetILNS1_3genE8ELNS1_11target_archE1030ELNS1_3gpuE2ELNS1_3repE0EEENS1_30default_config_static_selectorELNS0_4arch9wavefront6targetE0EEEvT1_
		.amdhsa_group_segment_fixed_size 0
		.amdhsa_private_segment_fixed_size 0
		.amdhsa_kernarg_size 120
		.amdhsa_user_sgpr_count 15
		.amdhsa_user_sgpr_dispatch_ptr 0
		.amdhsa_user_sgpr_queue_ptr 0
		.amdhsa_user_sgpr_kernarg_segment_ptr 1
		.amdhsa_user_sgpr_dispatch_id 0
		.amdhsa_user_sgpr_private_segment_size 0
		.amdhsa_wavefront_size32 1
		.amdhsa_uses_dynamic_stack 0
		.amdhsa_enable_private_segment 0
		.amdhsa_system_sgpr_workgroup_id_x 1
		.amdhsa_system_sgpr_workgroup_id_y 0
		.amdhsa_system_sgpr_workgroup_id_z 0
		.amdhsa_system_sgpr_workgroup_info 0
		.amdhsa_system_vgpr_workitem_id 0
		.amdhsa_next_free_vgpr 1
		.amdhsa_next_free_sgpr 1
		.amdhsa_reserve_vcc 0
		.amdhsa_float_round_mode_32 0
		.amdhsa_float_round_mode_16_64 0
		.amdhsa_float_denorm_mode_32 3
		.amdhsa_float_denorm_mode_16_64 3
		.amdhsa_dx10_clamp 1
		.amdhsa_ieee_mode 1
		.amdhsa_fp16_overflow 0
		.amdhsa_workgroup_processor_mode 1
		.amdhsa_memory_ordered 1
		.amdhsa_forward_progress 0
		.amdhsa_shared_vgpr_count 0
		.amdhsa_exception_fp_ieee_invalid_op 0
		.amdhsa_exception_fp_denorm_src 0
		.amdhsa_exception_fp_ieee_div_zero 0
		.amdhsa_exception_fp_ieee_overflow 0
		.amdhsa_exception_fp_ieee_underflow 0
		.amdhsa_exception_fp_ieee_inexact 0
		.amdhsa_exception_int_div_zero 0
	.end_amdhsa_kernel
	.section	.text._ZN7rocprim17ROCPRIM_400000_NS6detail17trampoline_kernelINS0_14default_configENS1_29reduce_by_key_config_selectorIttN6thrust23THRUST_200600_302600_NS4plusItEEEEZZNS1_33reduce_by_key_impl_wrapped_configILNS1_25lookback_scan_determinismE0ES3_S9_NS6_6detail15normal_iteratorINS6_10device_ptrItEEEESG_SG_SG_PmS8_22is_equal_div_10_reduceItEEE10hipError_tPvRmT2_T3_mT4_T5_T6_T7_T8_P12ihipStream_tbENKUlT_T0_E_clISt17integral_constantIbLb0EES11_EEDaSW_SX_EUlSW_E_NS1_11comp_targetILNS1_3genE8ELNS1_11target_archE1030ELNS1_3gpuE2ELNS1_3repE0EEENS1_30default_config_static_selectorELNS0_4arch9wavefront6targetE0EEEvT1_,"axG",@progbits,_ZN7rocprim17ROCPRIM_400000_NS6detail17trampoline_kernelINS0_14default_configENS1_29reduce_by_key_config_selectorIttN6thrust23THRUST_200600_302600_NS4plusItEEEEZZNS1_33reduce_by_key_impl_wrapped_configILNS1_25lookback_scan_determinismE0ES3_S9_NS6_6detail15normal_iteratorINS6_10device_ptrItEEEESG_SG_SG_PmS8_22is_equal_div_10_reduceItEEE10hipError_tPvRmT2_T3_mT4_T5_T6_T7_T8_P12ihipStream_tbENKUlT_T0_E_clISt17integral_constantIbLb0EES11_EEDaSW_SX_EUlSW_E_NS1_11comp_targetILNS1_3genE8ELNS1_11target_archE1030ELNS1_3gpuE2ELNS1_3repE0EEENS1_30default_config_static_selectorELNS0_4arch9wavefront6targetE0EEEvT1_,comdat
.Lfunc_end439:
	.size	_ZN7rocprim17ROCPRIM_400000_NS6detail17trampoline_kernelINS0_14default_configENS1_29reduce_by_key_config_selectorIttN6thrust23THRUST_200600_302600_NS4plusItEEEEZZNS1_33reduce_by_key_impl_wrapped_configILNS1_25lookback_scan_determinismE0ES3_S9_NS6_6detail15normal_iteratorINS6_10device_ptrItEEEESG_SG_SG_PmS8_22is_equal_div_10_reduceItEEE10hipError_tPvRmT2_T3_mT4_T5_T6_T7_T8_P12ihipStream_tbENKUlT_T0_E_clISt17integral_constantIbLb0EES11_EEDaSW_SX_EUlSW_E_NS1_11comp_targetILNS1_3genE8ELNS1_11target_archE1030ELNS1_3gpuE2ELNS1_3repE0EEENS1_30default_config_static_selectorELNS0_4arch9wavefront6targetE0EEEvT1_, .Lfunc_end439-_ZN7rocprim17ROCPRIM_400000_NS6detail17trampoline_kernelINS0_14default_configENS1_29reduce_by_key_config_selectorIttN6thrust23THRUST_200600_302600_NS4plusItEEEEZZNS1_33reduce_by_key_impl_wrapped_configILNS1_25lookback_scan_determinismE0ES3_S9_NS6_6detail15normal_iteratorINS6_10device_ptrItEEEESG_SG_SG_PmS8_22is_equal_div_10_reduceItEEE10hipError_tPvRmT2_T3_mT4_T5_T6_T7_T8_P12ihipStream_tbENKUlT_T0_E_clISt17integral_constantIbLb0EES11_EEDaSW_SX_EUlSW_E_NS1_11comp_targetILNS1_3genE8ELNS1_11target_archE1030ELNS1_3gpuE2ELNS1_3repE0EEENS1_30default_config_static_selectorELNS0_4arch9wavefront6targetE0EEEvT1_
                                        ; -- End function
	.section	.AMDGPU.csdata,"",@progbits
; Kernel info:
; codeLenInByte = 0
; NumSgprs: 0
; NumVgprs: 0
; ScratchSize: 0
; MemoryBound: 0
; FloatMode: 240
; IeeeMode: 1
; LDSByteSize: 0 bytes/workgroup (compile time only)
; SGPRBlocks: 0
; VGPRBlocks: 0
; NumSGPRsForWavesPerEU: 1
; NumVGPRsForWavesPerEU: 1
; Occupancy: 16
; WaveLimiterHint : 0
; COMPUTE_PGM_RSRC2:SCRATCH_EN: 0
; COMPUTE_PGM_RSRC2:USER_SGPR: 15
; COMPUTE_PGM_RSRC2:TRAP_HANDLER: 0
; COMPUTE_PGM_RSRC2:TGID_X_EN: 1
; COMPUTE_PGM_RSRC2:TGID_Y_EN: 0
; COMPUTE_PGM_RSRC2:TGID_Z_EN: 0
; COMPUTE_PGM_RSRC2:TIDIG_COMP_CNT: 0
	.section	.text._ZN7rocprim17ROCPRIM_400000_NS6detail17trampoline_kernelINS0_14default_configENS1_29reduce_by_key_config_selectorIttN6thrust23THRUST_200600_302600_NS4plusItEEEEZZNS1_33reduce_by_key_impl_wrapped_configILNS1_25lookback_scan_determinismE0ES3_S9_NS6_6detail15normal_iteratorINS6_10device_ptrItEEEESG_SG_SG_PmS8_22is_equal_div_10_reduceItEEE10hipError_tPvRmT2_T3_mT4_T5_T6_T7_T8_P12ihipStream_tbENKUlT_T0_E_clISt17integral_constantIbLb1EES11_EEDaSW_SX_EUlSW_E_NS1_11comp_targetILNS1_3genE0ELNS1_11target_archE4294967295ELNS1_3gpuE0ELNS1_3repE0EEENS1_30default_config_static_selectorELNS0_4arch9wavefront6targetE0EEEvT1_,"axG",@progbits,_ZN7rocprim17ROCPRIM_400000_NS6detail17trampoline_kernelINS0_14default_configENS1_29reduce_by_key_config_selectorIttN6thrust23THRUST_200600_302600_NS4plusItEEEEZZNS1_33reduce_by_key_impl_wrapped_configILNS1_25lookback_scan_determinismE0ES3_S9_NS6_6detail15normal_iteratorINS6_10device_ptrItEEEESG_SG_SG_PmS8_22is_equal_div_10_reduceItEEE10hipError_tPvRmT2_T3_mT4_T5_T6_T7_T8_P12ihipStream_tbENKUlT_T0_E_clISt17integral_constantIbLb1EES11_EEDaSW_SX_EUlSW_E_NS1_11comp_targetILNS1_3genE0ELNS1_11target_archE4294967295ELNS1_3gpuE0ELNS1_3repE0EEENS1_30default_config_static_selectorELNS0_4arch9wavefront6targetE0EEEvT1_,comdat
	.protected	_ZN7rocprim17ROCPRIM_400000_NS6detail17trampoline_kernelINS0_14default_configENS1_29reduce_by_key_config_selectorIttN6thrust23THRUST_200600_302600_NS4plusItEEEEZZNS1_33reduce_by_key_impl_wrapped_configILNS1_25lookback_scan_determinismE0ES3_S9_NS6_6detail15normal_iteratorINS6_10device_ptrItEEEESG_SG_SG_PmS8_22is_equal_div_10_reduceItEEE10hipError_tPvRmT2_T3_mT4_T5_T6_T7_T8_P12ihipStream_tbENKUlT_T0_E_clISt17integral_constantIbLb1EES11_EEDaSW_SX_EUlSW_E_NS1_11comp_targetILNS1_3genE0ELNS1_11target_archE4294967295ELNS1_3gpuE0ELNS1_3repE0EEENS1_30default_config_static_selectorELNS0_4arch9wavefront6targetE0EEEvT1_ ; -- Begin function _ZN7rocprim17ROCPRIM_400000_NS6detail17trampoline_kernelINS0_14default_configENS1_29reduce_by_key_config_selectorIttN6thrust23THRUST_200600_302600_NS4plusItEEEEZZNS1_33reduce_by_key_impl_wrapped_configILNS1_25lookback_scan_determinismE0ES3_S9_NS6_6detail15normal_iteratorINS6_10device_ptrItEEEESG_SG_SG_PmS8_22is_equal_div_10_reduceItEEE10hipError_tPvRmT2_T3_mT4_T5_T6_T7_T8_P12ihipStream_tbENKUlT_T0_E_clISt17integral_constantIbLb1EES11_EEDaSW_SX_EUlSW_E_NS1_11comp_targetILNS1_3genE0ELNS1_11target_archE4294967295ELNS1_3gpuE0ELNS1_3repE0EEENS1_30default_config_static_selectorELNS0_4arch9wavefront6targetE0EEEvT1_
	.globl	_ZN7rocprim17ROCPRIM_400000_NS6detail17trampoline_kernelINS0_14default_configENS1_29reduce_by_key_config_selectorIttN6thrust23THRUST_200600_302600_NS4plusItEEEEZZNS1_33reduce_by_key_impl_wrapped_configILNS1_25lookback_scan_determinismE0ES3_S9_NS6_6detail15normal_iteratorINS6_10device_ptrItEEEESG_SG_SG_PmS8_22is_equal_div_10_reduceItEEE10hipError_tPvRmT2_T3_mT4_T5_T6_T7_T8_P12ihipStream_tbENKUlT_T0_E_clISt17integral_constantIbLb1EES11_EEDaSW_SX_EUlSW_E_NS1_11comp_targetILNS1_3genE0ELNS1_11target_archE4294967295ELNS1_3gpuE0ELNS1_3repE0EEENS1_30default_config_static_selectorELNS0_4arch9wavefront6targetE0EEEvT1_
	.p2align	8
	.type	_ZN7rocprim17ROCPRIM_400000_NS6detail17trampoline_kernelINS0_14default_configENS1_29reduce_by_key_config_selectorIttN6thrust23THRUST_200600_302600_NS4plusItEEEEZZNS1_33reduce_by_key_impl_wrapped_configILNS1_25lookback_scan_determinismE0ES3_S9_NS6_6detail15normal_iteratorINS6_10device_ptrItEEEESG_SG_SG_PmS8_22is_equal_div_10_reduceItEEE10hipError_tPvRmT2_T3_mT4_T5_T6_T7_T8_P12ihipStream_tbENKUlT_T0_E_clISt17integral_constantIbLb1EES11_EEDaSW_SX_EUlSW_E_NS1_11comp_targetILNS1_3genE0ELNS1_11target_archE4294967295ELNS1_3gpuE0ELNS1_3repE0EEENS1_30default_config_static_selectorELNS0_4arch9wavefront6targetE0EEEvT1_,@function
_ZN7rocprim17ROCPRIM_400000_NS6detail17trampoline_kernelINS0_14default_configENS1_29reduce_by_key_config_selectorIttN6thrust23THRUST_200600_302600_NS4plusItEEEEZZNS1_33reduce_by_key_impl_wrapped_configILNS1_25lookback_scan_determinismE0ES3_S9_NS6_6detail15normal_iteratorINS6_10device_ptrItEEEESG_SG_SG_PmS8_22is_equal_div_10_reduceItEEE10hipError_tPvRmT2_T3_mT4_T5_T6_T7_T8_P12ihipStream_tbENKUlT_T0_E_clISt17integral_constantIbLb1EES11_EEDaSW_SX_EUlSW_E_NS1_11comp_targetILNS1_3genE0ELNS1_11target_archE4294967295ELNS1_3gpuE0ELNS1_3repE0EEENS1_30default_config_static_selectorELNS0_4arch9wavefront6targetE0EEEvT1_: ; @_ZN7rocprim17ROCPRIM_400000_NS6detail17trampoline_kernelINS0_14default_configENS1_29reduce_by_key_config_selectorIttN6thrust23THRUST_200600_302600_NS4plusItEEEEZZNS1_33reduce_by_key_impl_wrapped_configILNS1_25lookback_scan_determinismE0ES3_S9_NS6_6detail15normal_iteratorINS6_10device_ptrItEEEESG_SG_SG_PmS8_22is_equal_div_10_reduceItEEE10hipError_tPvRmT2_T3_mT4_T5_T6_T7_T8_P12ihipStream_tbENKUlT_T0_E_clISt17integral_constantIbLb1EES11_EEDaSW_SX_EUlSW_E_NS1_11comp_targetILNS1_3genE0ELNS1_11target_archE4294967295ELNS1_3gpuE0ELNS1_3repE0EEENS1_30default_config_static_selectorELNS0_4arch9wavefront6targetE0EEEvT1_
; %bb.0:
	.section	.rodata,"a",@progbits
	.p2align	6, 0x0
	.amdhsa_kernel _ZN7rocprim17ROCPRIM_400000_NS6detail17trampoline_kernelINS0_14default_configENS1_29reduce_by_key_config_selectorIttN6thrust23THRUST_200600_302600_NS4plusItEEEEZZNS1_33reduce_by_key_impl_wrapped_configILNS1_25lookback_scan_determinismE0ES3_S9_NS6_6detail15normal_iteratorINS6_10device_ptrItEEEESG_SG_SG_PmS8_22is_equal_div_10_reduceItEEE10hipError_tPvRmT2_T3_mT4_T5_T6_T7_T8_P12ihipStream_tbENKUlT_T0_E_clISt17integral_constantIbLb1EES11_EEDaSW_SX_EUlSW_E_NS1_11comp_targetILNS1_3genE0ELNS1_11target_archE4294967295ELNS1_3gpuE0ELNS1_3repE0EEENS1_30default_config_static_selectorELNS0_4arch9wavefront6targetE0EEEvT1_
		.amdhsa_group_segment_fixed_size 0
		.amdhsa_private_segment_fixed_size 0
		.amdhsa_kernarg_size 120
		.amdhsa_user_sgpr_count 15
		.amdhsa_user_sgpr_dispatch_ptr 0
		.amdhsa_user_sgpr_queue_ptr 0
		.amdhsa_user_sgpr_kernarg_segment_ptr 1
		.amdhsa_user_sgpr_dispatch_id 0
		.amdhsa_user_sgpr_private_segment_size 0
		.amdhsa_wavefront_size32 1
		.amdhsa_uses_dynamic_stack 0
		.amdhsa_enable_private_segment 0
		.amdhsa_system_sgpr_workgroup_id_x 1
		.amdhsa_system_sgpr_workgroup_id_y 0
		.amdhsa_system_sgpr_workgroup_id_z 0
		.amdhsa_system_sgpr_workgroup_info 0
		.amdhsa_system_vgpr_workitem_id 0
		.amdhsa_next_free_vgpr 1
		.amdhsa_next_free_sgpr 1
		.amdhsa_reserve_vcc 0
		.amdhsa_float_round_mode_32 0
		.amdhsa_float_round_mode_16_64 0
		.amdhsa_float_denorm_mode_32 3
		.amdhsa_float_denorm_mode_16_64 3
		.amdhsa_dx10_clamp 1
		.amdhsa_ieee_mode 1
		.amdhsa_fp16_overflow 0
		.amdhsa_workgroup_processor_mode 1
		.amdhsa_memory_ordered 1
		.amdhsa_forward_progress 0
		.amdhsa_shared_vgpr_count 0
		.amdhsa_exception_fp_ieee_invalid_op 0
		.amdhsa_exception_fp_denorm_src 0
		.amdhsa_exception_fp_ieee_div_zero 0
		.amdhsa_exception_fp_ieee_overflow 0
		.amdhsa_exception_fp_ieee_underflow 0
		.amdhsa_exception_fp_ieee_inexact 0
		.amdhsa_exception_int_div_zero 0
	.end_amdhsa_kernel
	.section	.text._ZN7rocprim17ROCPRIM_400000_NS6detail17trampoline_kernelINS0_14default_configENS1_29reduce_by_key_config_selectorIttN6thrust23THRUST_200600_302600_NS4plusItEEEEZZNS1_33reduce_by_key_impl_wrapped_configILNS1_25lookback_scan_determinismE0ES3_S9_NS6_6detail15normal_iteratorINS6_10device_ptrItEEEESG_SG_SG_PmS8_22is_equal_div_10_reduceItEEE10hipError_tPvRmT2_T3_mT4_T5_T6_T7_T8_P12ihipStream_tbENKUlT_T0_E_clISt17integral_constantIbLb1EES11_EEDaSW_SX_EUlSW_E_NS1_11comp_targetILNS1_3genE0ELNS1_11target_archE4294967295ELNS1_3gpuE0ELNS1_3repE0EEENS1_30default_config_static_selectorELNS0_4arch9wavefront6targetE0EEEvT1_,"axG",@progbits,_ZN7rocprim17ROCPRIM_400000_NS6detail17trampoline_kernelINS0_14default_configENS1_29reduce_by_key_config_selectorIttN6thrust23THRUST_200600_302600_NS4plusItEEEEZZNS1_33reduce_by_key_impl_wrapped_configILNS1_25lookback_scan_determinismE0ES3_S9_NS6_6detail15normal_iteratorINS6_10device_ptrItEEEESG_SG_SG_PmS8_22is_equal_div_10_reduceItEEE10hipError_tPvRmT2_T3_mT4_T5_T6_T7_T8_P12ihipStream_tbENKUlT_T0_E_clISt17integral_constantIbLb1EES11_EEDaSW_SX_EUlSW_E_NS1_11comp_targetILNS1_3genE0ELNS1_11target_archE4294967295ELNS1_3gpuE0ELNS1_3repE0EEENS1_30default_config_static_selectorELNS0_4arch9wavefront6targetE0EEEvT1_,comdat
.Lfunc_end440:
	.size	_ZN7rocprim17ROCPRIM_400000_NS6detail17trampoline_kernelINS0_14default_configENS1_29reduce_by_key_config_selectorIttN6thrust23THRUST_200600_302600_NS4plusItEEEEZZNS1_33reduce_by_key_impl_wrapped_configILNS1_25lookback_scan_determinismE0ES3_S9_NS6_6detail15normal_iteratorINS6_10device_ptrItEEEESG_SG_SG_PmS8_22is_equal_div_10_reduceItEEE10hipError_tPvRmT2_T3_mT4_T5_T6_T7_T8_P12ihipStream_tbENKUlT_T0_E_clISt17integral_constantIbLb1EES11_EEDaSW_SX_EUlSW_E_NS1_11comp_targetILNS1_3genE0ELNS1_11target_archE4294967295ELNS1_3gpuE0ELNS1_3repE0EEENS1_30default_config_static_selectorELNS0_4arch9wavefront6targetE0EEEvT1_, .Lfunc_end440-_ZN7rocprim17ROCPRIM_400000_NS6detail17trampoline_kernelINS0_14default_configENS1_29reduce_by_key_config_selectorIttN6thrust23THRUST_200600_302600_NS4plusItEEEEZZNS1_33reduce_by_key_impl_wrapped_configILNS1_25lookback_scan_determinismE0ES3_S9_NS6_6detail15normal_iteratorINS6_10device_ptrItEEEESG_SG_SG_PmS8_22is_equal_div_10_reduceItEEE10hipError_tPvRmT2_T3_mT4_T5_T6_T7_T8_P12ihipStream_tbENKUlT_T0_E_clISt17integral_constantIbLb1EES11_EEDaSW_SX_EUlSW_E_NS1_11comp_targetILNS1_3genE0ELNS1_11target_archE4294967295ELNS1_3gpuE0ELNS1_3repE0EEENS1_30default_config_static_selectorELNS0_4arch9wavefront6targetE0EEEvT1_
                                        ; -- End function
	.section	.AMDGPU.csdata,"",@progbits
; Kernel info:
; codeLenInByte = 0
; NumSgprs: 0
; NumVgprs: 0
; ScratchSize: 0
; MemoryBound: 0
; FloatMode: 240
; IeeeMode: 1
; LDSByteSize: 0 bytes/workgroup (compile time only)
; SGPRBlocks: 0
; VGPRBlocks: 0
; NumSGPRsForWavesPerEU: 1
; NumVGPRsForWavesPerEU: 1
; Occupancy: 16
; WaveLimiterHint : 0
; COMPUTE_PGM_RSRC2:SCRATCH_EN: 0
; COMPUTE_PGM_RSRC2:USER_SGPR: 15
; COMPUTE_PGM_RSRC2:TRAP_HANDLER: 0
; COMPUTE_PGM_RSRC2:TGID_X_EN: 1
; COMPUTE_PGM_RSRC2:TGID_Y_EN: 0
; COMPUTE_PGM_RSRC2:TGID_Z_EN: 0
; COMPUTE_PGM_RSRC2:TIDIG_COMP_CNT: 0
	.section	.text._ZN7rocprim17ROCPRIM_400000_NS6detail17trampoline_kernelINS0_14default_configENS1_29reduce_by_key_config_selectorIttN6thrust23THRUST_200600_302600_NS4plusItEEEEZZNS1_33reduce_by_key_impl_wrapped_configILNS1_25lookback_scan_determinismE0ES3_S9_NS6_6detail15normal_iteratorINS6_10device_ptrItEEEESG_SG_SG_PmS8_22is_equal_div_10_reduceItEEE10hipError_tPvRmT2_T3_mT4_T5_T6_T7_T8_P12ihipStream_tbENKUlT_T0_E_clISt17integral_constantIbLb1EES11_EEDaSW_SX_EUlSW_E_NS1_11comp_targetILNS1_3genE5ELNS1_11target_archE942ELNS1_3gpuE9ELNS1_3repE0EEENS1_30default_config_static_selectorELNS0_4arch9wavefront6targetE0EEEvT1_,"axG",@progbits,_ZN7rocprim17ROCPRIM_400000_NS6detail17trampoline_kernelINS0_14default_configENS1_29reduce_by_key_config_selectorIttN6thrust23THRUST_200600_302600_NS4plusItEEEEZZNS1_33reduce_by_key_impl_wrapped_configILNS1_25lookback_scan_determinismE0ES3_S9_NS6_6detail15normal_iteratorINS6_10device_ptrItEEEESG_SG_SG_PmS8_22is_equal_div_10_reduceItEEE10hipError_tPvRmT2_T3_mT4_T5_T6_T7_T8_P12ihipStream_tbENKUlT_T0_E_clISt17integral_constantIbLb1EES11_EEDaSW_SX_EUlSW_E_NS1_11comp_targetILNS1_3genE5ELNS1_11target_archE942ELNS1_3gpuE9ELNS1_3repE0EEENS1_30default_config_static_selectorELNS0_4arch9wavefront6targetE0EEEvT1_,comdat
	.protected	_ZN7rocprim17ROCPRIM_400000_NS6detail17trampoline_kernelINS0_14default_configENS1_29reduce_by_key_config_selectorIttN6thrust23THRUST_200600_302600_NS4plusItEEEEZZNS1_33reduce_by_key_impl_wrapped_configILNS1_25lookback_scan_determinismE0ES3_S9_NS6_6detail15normal_iteratorINS6_10device_ptrItEEEESG_SG_SG_PmS8_22is_equal_div_10_reduceItEEE10hipError_tPvRmT2_T3_mT4_T5_T6_T7_T8_P12ihipStream_tbENKUlT_T0_E_clISt17integral_constantIbLb1EES11_EEDaSW_SX_EUlSW_E_NS1_11comp_targetILNS1_3genE5ELNS1_11target_archE942ELNS1_3gpuE9ELNS1_3repE0EEENS1_30default_config_static_selectorELNS0_4arch9wavefront6targetE0EEEvT1_ ; -- Begin function _ZN7rocprim17ROCPRIM_400000_NS6detail17trampoline_kernelINS0_14default_configENS1_29reduce_by_key_config_selectorIttN6thrust23THRUST_200600_302600_NS4plusItEEEEZZNS1_33reduce_by_key_impl_wrapped_configILNS1_25lookback_scan_determinismE0ES3_S9_NS6_6detail15normal_iteratorINS6_10device_ptrItEEEESG_SG_SG_PmS8_22is_equal_div_10_reduceItEEE10hipError_tPvRmT2_T3_mT4_T5_T6_T7_T8_P12ihipStream_tbENKUlT_T0_E_clISt17integral_constantIbLb1EES11_EEDaSW_SX_EUlSW_E_NS1_11comp_targetILNS1_3genE5ELNS1_11target_archE942ELNS1_3gpuE9ELNS1_3repE0EEENS1_30default_config_static_selectorELNS0_4arch9wavefront6targetE0EEEvT1_
	.globl	_ZN7rocprim17ROCPRIM_400000_NS6detail17trampoline_kernelINS0_14default_configENS1_29reduce_by_key_config_selectorIttN6thrust23THRUST_200600_302600_NS4plusItEEEEZZNS1_33reduce_by_key_impl_wrapped_configILNS1_25lookback_scan_determinismE0ES3_S9_NS6_6detail15normal_iteratorINS6_10device_ptrItEEEESG_SG_SG_PmS8_22is_equal_div_10_reduceItEEE10hipError_tPvRmT2_T3_mT4_T5_T6_T7_T8_P12ihipStream_tbENKUlT_T0_E_clISt17integral_constantIbLb1EES11_EEDaSW_SX_EUlSW_E_NS1_11comp_targetILNS1_3genE5ELNS1_11target_archE942ELNS1_3gpuE9ELNS1_3repE0EEENS1_30default_config_static_selectorELNS0_4arch9wavefront6targetE0EEEvT1_
	.p2align	8
	.type	_ZN7rocprim17ROCPRIM_400000_NS6detail17trampoline_kernelINS0_14default_configENS1_29reduce_by_key_config_selectorIttN6thrust23THRUST_200600_302600_NS4plusItEEEEZZNS1_33reduce_by_key_impl_wrapped_configILNS1_25lookback_scan_determinismE0ES3_S9_NS6_6detail15normal_iteratorINS6_10device_ptrItEEEESG_SG_SG_PmS8_22is_equal_div_10_reduceItEEE10hipError_tPvRmT2_T3_mT4_T5_T6_T7_T8_P12ihipStream_tbENKUlT_T0_E_clISt17integral_constantIbLb1EES11_EEDaSW_SX_EUlSW_E_NS1_11comp_targetILNS1_3genE5ELNS1_11target_archE942ELNS1_3gpuE9ELNS1_3repE0EEENS1_30default_config_static_selectorELNS0_4arch9wavefront6targetE0EEEvT1_,@function
_ZN7rocprim17ROCPRIM_400000_NS6detail17trampoline_kernelINS0_14default_configENS1_29reduce_by_key_config_selectorIttN6thrust23THRUST_200600_302600_NS4plusItEEEEZZNS1_33reduce_by_key_impl_wrapped_configILNS1_25lookback_scan_determinismE0ES3_S9_NS6_6detail15normal_iteratorINS6_10device_ptrItEEEESG_SG_SG_PmS8_22is_equal_div_10_reduceItEEE10hipError_tPvRmT2_T3_mT4_T5_T6_T7_T8_P12ihipStream_tbENKUlT_T0_E_clISt17integral_constantIbLb1EES11_EEDaSW_SX_EUlSW_E_NS1_11comp_targetILNS1_3genE5ELNS1_11target_archE942ELNS1_3gpuE9ELNS1_3repE0EEENS1_30default_config_static_selectorELNS0_4arch9wavefront6targetE0EEEvT1_: ; @_ZN7rocprim17ROCPRIM_400000_NS6detail17trampoline_kernelINS0_14default_configENS1_29reduce_by_key_config_selectorIttN6thrust23THRUST_200600_302600_NS4plusItEEEEZZNS1_33reduce_by_key_impl_wrapped_configILNS1_25lookback_scan_determinismE0ES3_S9_NS6_6detail15normal_iteratorINS6_10device_ptrItEEEESG_SG_SG_PmS8_22is_equal_div_10_reduceItEEE10hipError_tPvRmT2_T3_mT4_T5_T6_T7_T8_P12ihipStream_tbENKUlT_T0_E_clISt17integral_constantIbLb1EES11_EEDaSW_SX_EUlSW_E_NS1_11comp_targetILNS1_3genE5ELNS1_11target_archE942ELNS1_3gpuE9ELNS1_3repE0EEENS1_30default_config_static_selectorELNS0_4arch9wavefront6targetE0EEEvT1_
; %bb.0:
	.section	.rodata,"a",@progbits
	.p2align	6, 0x0
	.amdhsa_kernel _ZN7rocprim17ROCPRIM_400000_NS6detail17trampoline_kernelINS0_14default_configENS1_29reduce_by_key_config_selectorIttN6thrust23THRUST_200600_302600_NS4plusItEEEEZZNS1_33reduce_by_key_impl_wrapped_configILNS1_25lookback_scan_determinismE0ES3_S9_NS6_6detail15normal_iteratorINS6_10device_ptrItEEEESG_SG_SG_PmS8_22is_equal_div_10_reduceItEEE10hipError_tPvRmT2_T3_mT4_T5_T6_T7_T8_P12ihipStream_tbENKUlT_T0_E_clISt17integral_constantIbLb1EES11_EEDaSW_SX_EUlSW_E_NS1_11comp_targetILNS1_3genE5ELNS1_11target_archE942ELNS1_3gpuE9ELNS1_3repE0EEENS1_30default_config_static_selectorELNS0_4arch9wavefront6targetE0EEEvT1_
		.amdhsa_group_segment_fixed_size 0
		.amdhsa_private_segment_fixed_size 0
		.amdhsa_kernarg_size 120
		.amdhsa_user_sgpr_count 15
		.amdhsa_user_sgpr_dispatch_ptr 0
		.amdhsa_user_sgpr_queue_ptr 0
		.amdhsa_user_sgpr_kernarg_segment_ptr 1
		.amdhsa_user_sgpr_dispatch_id 0
		.amdhsa_user_sgpr_private_segment_size 0
		.amdhsa_wavefront_size32 1
		.amdhsa_uses_dynamic_stack 0
		.amdhsa_enable_private_segment 0
		.amdhsa_system_sgpr_workgroup_id_x 1
		.amdhsa_system_sgpr_workgroup_id_y 0
		.amdhsa_system_sgpr_workgroup_id_z 0
		.amdhsa_system_sgpr_workgroup_info 0
		.amdhsa_system_vgpr_workitem_id 0
		.amdhsa_next_free_vgpr 1
		.amdhsa_next_free_sgpr 1
		.amdhsa_reserve_vcc 0
		.amdhsa_float_round_mode_32 0
		.amdhsa_float_round_mode_16_64 0
		.amdhsa_float_denorm_mode_32 3
		.amdhsa_float_denorm_mode_16_64 3
		.amdhsa_dx10_clamp 1
		.amdhsa_ieee_mode 1
		.amdhsa_fp16_overflow 0
		.amdhsa_workgroup_processor_mode 1
		.amdhsa_memory_ordered 1
		.amdhsa_forward_progress 0
		.amdhsa_shared_vgpr_count 0
		.amdhsa_exception_fp_ieee_invalid_op 0
		.amdhsa_exception_fp_denorm_src 0
		.amdhsa_exception_fp_ieee_div_zero 0
		.amdhsa_exception_fp_ieee_overflow 0
		.amdhsa_exception_fp_ieee_underflow 0
		.amdhsa_exception_fp_ieee_inexact 0
		.amdhsa_exception_int_div_zero 0
	.end_amdhsa_kernel
	.section	.text._ZN7rocprim17ROCPRIM_400000_NS6detail17trampoline_kernelINS0_14default_configENS1_29reduce_by_key_config_selectorIttN6thrust23THRUST_200600_302600_NS4plusItEEEEZZNS1_33reduce_by_key_impl_wrapped_configILNS1_25lookback_scan_determinismE0ES3_S9_NS6_6detail15normal_iteratorINS6_10device_ptrItEEEESG_SG_SG_PmS8_22is_equal_div_10_reduceItEEE10hipError_tPvRmT2_T3_mT4_T5_T6_T7_T8_P12ihipStream_tbENKUlT_T0_E_clISt17integral_constantIbLb1EES11_EEDaSW_SX_EUlSW_E_NS1_11comp_targetILNS1_3genE5ELNS1_11target_archE942ELNS1_3gpuE9ELNS1_3repE0EEENS1_30default_config_static_selectorELNS0_4arch9wavefront6targetE0EEEvT1_,"axG",@progbits,_ZN7rocprim17ROCPRIM_400000_NS6detail17trampoline_kernelINS0_14default_configENS1_29reduce_by_key_config_selectorIttN6thrust23THRUST_200600_302600_NS4plusItEEEEZZNS1_33reduce_by_key_impl_wrapped_configILNS1_25lookback_scan_determinismE0ES3_S9_NS6_6detail15normal_iteratorINS6_10device_ptrItEEEESG_SG_SG_PmS8_22is_equal_div_10_reduceItEEE10hipError_tPvRmT2_T3_mT4_T5_T6_T7_T8_P12ihipStream_tbENKUlT_T0_E_clISt17integral_constantIbLb1EES11_EEDaSW_SX_EUlSW_E_NS1_11comp_targetILNS1_3genE5ELNS1_11target_archE942ELNS1_3gpuE9ELNS1_3repE0EEENS1_30default_config_static_selectorELNS0_4arch9wavefront6targetE0EEEvT1_,comdat
.Lfunc_end441:
	.size	_ZN7rocprim17ROCPRIM_400000_NS6detail17trampoline_kernelINS0_14default_configENS1_29reduce_by_key_config_selectorIttN6thrust23THRUST_200600_302600_NS4plusItEEEEZZNS1_33reduce_by_key_impl_wrapped_configILNS1_25lookback_scan_determinismE0ES3_S9_NS6_6detail15normal_iteratorINS6_10device_ptrItEEEESG_SG_SG_PmS8_22is_equal_div_10_reduceItEEE10hipError_tPvRmT2_T3_mT4_T5_T6_T7_T8_P12ihipStream_tbENKUlT_T0_E_clISt17integral_constantIbLb1EES11_EEDaSW_SX_EUlSW_E_NS1_11comp_targetILNS1_3genE5ELNS1_11target_archE942ELNS1_3gpuE9ELNS1_3repE0EEENS1_30default_config_static_selectorELNS0_4arch9wavefront6targetE0EEEvT1_, .Lfunc_end441-_ZN7rocprim17ROCPRIM_400000_NS6detail17trampoline_kernelINS0_14default_configENS1_29reduce_by_key_config_selectorIttN6thrust23THRUST_200600_302600_NS4plusItEEEEZZNS1_33reduce_by_key_impl_wrapped_configILNS1_25lookback_scan_determinismE0ES3_S9_NS6_6detail15normal_iteratorINS6_10device_ptrItEEEESG_SG_SG_PmS8_22is_equal_div_10_reduceItEEE10hipError_tPvRmT2_T3_mT4_T5_T6_T7_T8_P12ihipStream_tbENKUlT_T0_E_clISt17integral_constantIbLb1EES11_EEDaSW_SX_EUlSW_E_NS1_11comp_targetILNS1_3genE5ELNS1_11target_archE942ELNS1_3gpuE9ELNS1_3repE0EEENS1_30default_config_static_selectorELNS0_4arch9wavefront6targetE0EEEvT1_
                                        ; -- End function
	.section	.AMDGPU.csdata,"",@progbits
; Kernel info:
; codeLenInByte = 0
; NumSgprs: 0
; NumVgprs: 0
; ScratchSize: 0
; MemoryBound: 0
; FloatMode: 240
; IeeeMode: 1
; LDSByteSize: 0 bytes/workgroup (compile time only)
; SGPRBlocks: 0
; VGPRBlocks: 0
; NumSGPRsForWavesPerEU: 1
; NumVGPRsForWavesPerEU: 1
; Occupancy: 16
; WaveLimiterHint : 0
; COMPUTE_PGM_RSRC2:SCRATCH_EN: 0
; COMPUTE_PGM_RSRC2:USER_SGPR: 15
; COMPUTE_PGM_RSRC2:TRAP_HANDLER: 0
; COMPUTE_PGM_RSRC2:TGID_X_EN: 1
; COMPUTE_PGM_RSRC2:TGID_Y_EN: 0
; COMPUTE_PGM_RSRC2:TGID_Z_EN: 0
; COMPUTE_PGM_RSRC2:TIDIG_COMP_CNT: 0
	.section	.text._ZN7rocprim17ROCPRIM_400000_NS6detail17trampoline_kernelINS0_14default_configENS1_29reduce_by_key_config_selectorIttN6thrust23THRUST_200600_302600_NS4plusItEEEEZZNS1_33reduce_by_key_impl_wrapped_configILNS1_25lookback_scan_determinismE0ES3_S9_NS6_6detail15normal_iteratorINS6_10device_ptrItEEEESG_SG_SG_PmS8_22is_equal_div_10_reduceItEEE10hipError_tPvRmT2_T3_mT4_T5_T6_T7_T8_P12ihipStream_tbENKUlT_T0_E_clISt17integral_constantIbLb1EES11_EEDaSW_SX_EUlSW_E_NS1_11comp_targetILNS1_3genE4ELNS1_11target_archE910ELNS1_3gpuE8ELNS1_3repE0EEENS1_30default_config_static_selectorELNS0_4arch9wavefront6targetE0EEEvT1_,"axG",@progbits,_ZN7rocprim17ROCPRIM_400000_NS6detail17trampoline_kernelINS0_14default_configENS1_29reduce_by_key_config_selectorIttN6thrust23THRUST_200600_302600_NS4plusItEEEEZZNS1_33reduce_by_key_impl_wrapped_configILNS1_25lookback_scan_determinismE0ES3_S9_NS6_6detail15normal_iteratorINS6_10device_ptrItEEEESG_SG_SG_PmS8_22is_equal_div_10_reduceItEEE10hipError_tPvRmT2_T3_mT4_T5_T6_T7_T8_P12ihipStream_tbENKUlT_T0_E_clISt17integral_constantIbLb1EES11_EEDaSW_SX_EUlSW_E_NS1_11comp_targetILNS1_3genE4ELNS1_11target_archE910ELNS1_3gpuE8ELNS1_3repE0EEENS1_30default_config_static_selectorELNS0_4arch9wavefront6targetE0EEEvT1_,comdat
	.protected	_ZN7rocprim17ROCPRIM_400000_NS6detail17trampoline_kernelINS0_14default_configENS1_29reduce_by_key_config_selectorIttN6thrust23THRUST_200600_302600_NS4plusItEEEEZZNS1_33reduce_by_key_impl_wrapped_configILNS1_25lookback_scan_determinismE0ES3_S9_NS6_6detail15normal_iteratorINS6_10device_ptrItEEEESG_SG_SG_PmS8_22is_equal_div_10_reduceItEEE10hipError_tPvRmT2_T3_mT4_T5_T6_T7_T8_P12ihipStream_tbENKUlT_T0_E_clISt17integral_constantIbLb1EES11_EEDaSW_SX_EUlSW_E_NS1_11comp_targetILNS1_3genE4ELNS1_11target_archE910ELNS1_3gpuE8ELNS1_3repE0EEENS1_30default_config_static_selectorELNS0_4arch9wavefront6targetE0EEEvT1_ ; -- Begin function _ZN7rocprim17ROCPRIM_400000_NS6detail17trampoline_kernelINS0_14default_configENS1_29reduce_by_key_config_selectorIttN6thrust23THRUST_200600_302600_NS4plusItEEEEZZNS1_33reduce_by_key_impl_wrapped_configILNS1_25lookback_scan_determinismE0ES3_S9_NS6_6detail15normal_iteratorINS6_10device_ptrItEEEESG_SG_SG_PmS8_22is_equal_div_10_reduceItEEE10hipError_tPvRmT2_T3_mT4_T5_T6_T7_T8_P12ihipStream_tbENKUlT_T0_E_clISt17integral_constantIbLb1EES11_EEDaSW_SX_EUlSW_E_NS1_11comp_targetILNS1_3genE4ELNS1_11target_archE910ELNS1_3gpuE8ELNS1_3repE0EEENS1_30default_config_static_selectorELNS0_4arch9wavefront6targetE0EEEvT1_
	.globl	_ZN7rocprim17ROCPRIM_400000_NS6detail17trampoline_kernelINS0_14default_configENS1_29reduce_by_key_config_selectorIttN6thrust23THRUST_200600_302600_NS4plusItEEEEZZNS1_33reduce_by_key_impl_wrapped_configILNS1_25lookback_scan_determinismE0ES3_S9_NS6_6detail15normal_iteratorINS6_10device_ptrItEEEESG_SG_SG_PmS8_22is_equal_div_10_reduceItEEE10hipError_tPvRmT2_T3_mT4_T5_T6_T7_T8_P12ihipStream_tbENKUlT_T0_E_clISt17integral_constantIbLb1EES11_EEDaSW_SX_EUlSW_E_NS1_11comp_targetILNS1_3genE4ELNS1_11target_archE910ELNS1_3gpuE8ELNS1_3repE0EEENS1_30default_config_static_selectorELNS0_4arch9wavefront6targetE0EEEvT1_
	.p2align	8
	.type	_ZN7rocprim17ROCPRIM_400000_NS6detail17trampoline_kernelINS0_14default_configENS1_29reduce_by_key_config_selectorIttN6thrust23THRUST_200600_302600_NS4plusItEEEEZZNS1_33reduce_by_key_impl_wrapped_configILNS1_25lookback_scan_determinismE0ES3_S9_NS6_6detail15normal_iteratorINS6_10device_ptrItEEEESG_SG_SG_PmS8_22is_equal_div_10_reduceItEEE10hipError_tPvRmT2_T3_mT4_T5_T6_T7_T8_P12ihipStream_tbENKUlT_T0_E_clISt17integral_constantIbLb1EES11_EEDaSW_SX_EUlSW_E_NS1_11comp_targetILNS1_3genE4ELNS1_11target_archE910ELNS1_3gpuE8ELNS1_3repE0EEENS1_30default_config_static_selectorELNS0_4arch9wavefront6targetE0EEEvT1_,@function
_ZN7rocprim17ROCPRIM_400000_NS6detail17trampoline_kernelINS0_14default_configENS1_29reduce_by_key_config_selectorIttN6thrust23THRUST_200600_302600_NS4plusItEEEEZZNS1_33reduce_by_key_impl_wrapped_configILNS1_25lookback_scan_determinismE0ES3_S9_NS6_6detail15normal_iteratorINS6_10device_ptrItEEEESG_SG_SG_PmS8_22is_equal_div_10_reduceItEEE10hipError_tPvRmT2_T3_mT4_T5_T6_T7_T8_P12ihipStream_tbENKUlT_T0_E_clISt17integral_constantIbLb1EES11_EEDaSW_SX_EUlSW_E_NS1_11comp_targetILNS1_3genE4ELNS1_11target_archE910ELNS1_3gpuE8ELNS1_3repE0EEENS1_30default_config_static_selectorELNS0_4arch9wavefront6targetE0EEEvT1_: ; @_ZN7rocprim17ROCPRIM_400000_NS6detail17trampoline_kernelINS0_14default_configENS1_29reduce_by_key_config_selectorIttN6thrust23THRUST_200600_302600_NS4plusItEEEEZZNS1_33reduce_by_key_impl_wrapped_configILNS1_25lookback_scan_determinismE0ES3_S9_NS6_6detail15normal_iteratorINS6_10device_ptrItEEEESG_SG_SG_PmS8_22is_equal_div_10_reduceItEEE10hipError_tPvRmT2_T3_mT4_T5_T6_T7_T8_P12ihipStream_tbENKUlT_T0_E_clISt17integral_constantIbLb1EES11_EEDaSW_SX_EUlSW_E_NS1_11comp_targetILNS1_3genE4ELNS1_11target_archE910ELNS1_3gpuE8ELNS1_3repE0EEENS1_30default_config_static_selectorELNS0_4arch9wavefront6targetE0EEEvT1_
; %bb.0:
	.section	.rodata,"a",@progbits
	.p2align	6, 0x0
	.amdhsa_kernel _ZN7rocprim17ROCPRIM_400000_NS6detail17trampoline_kernelINS0_14default_configENS1_29reduce_by_key_config_selectorIttN6thrust23THRUST_200600_302600_NS4plusItEEEEZZNS1_33reduce_by_key_impl_wrapped_configILNS1_25lookback_scan_determinismE0ES3_S9_NS6_6detail15normal_iteratorINS6_10device_ptrItEEEESG_SG_SG_PmS8_22is_equal_div_10_reduceItEEE10hipError_tPvRmT2_T3_mT4_T5_T6_T7_T8_P12ihipStream_tbENKUlT_T0_E_clISt17integral_constantIbLb1EES11_EEDaSW_SX_EUlSW_E_NS1_11comp_targetILNS1_3genE4ELNS1_11target_archE910ELNS1_3gpuE8ELNS1_3repE0EEENS1_30default_config_static_selectorELNS0_4arch9wavefront6targetE0EEEvT1_
		.amdhsa_group_segment_fixed_size 0
		.amdhsa_private_segment_fixed_size 0
		.amdhsa_kernarg_size 120
		.amdhsa_user_sgpr_count 15
		.amdhsa_user_sgpr_dispatch_ptr 0
		.amdhsa_user_sgpr_queue_ptr 0
		.amdhsa_user_sgpr_kernarg_segment_ptr 1
		.amdhsa_user_sgpr_dispatch_id 0
		.amdhsa_user_sgpr_private_segment_size 0
		.amdhsa_wavefront_size32 1
		.amdhsa_uses_dynamic_stack 0
		.amdhsa_enable_private_segment 0
		.amdhsa_system_sgpr_workgroup_id_x 1
		.amdhsa_system_sgpr_workgroup_id_y 0
		.amdhsa_system_sgpr_workgroup_id_z 0
		.amdhsa_system_sgpr_workgroup_info 0
		.amdhsa_system_vgpr_workitem_id 0
		.amdhsa_next_free_vgpr 1
		.amdhsa_next_free_sgpr 1
		.amdhsa_reserve_vcc 0
		.amdhsa_float_round_mode_32 0
		.amdhsa_float_round_mode_16_64 0
		.amdhsa_float_denorm_mode_32 3
		.amdhsa_float_denorm_mode_16_64 3
		.amdhsa_dx10_clamp 1
		.amdhsa_ieee_mode 1
		.amdhsa_fp16_overflow 0
		.amdhsa_workgroup_processor_mode 1
		.amdhsa_memory_ordered 1
		.amdhsa_forward_progress 0
		.amdhsa_shared_vgpr_count 0
		.amdhsa_exception_fp_ieee_invalid_op 0
		.amdhsa_exception_fp_denorm_src 0
		.amdhsa_exception_fp_ieee_div_zero 0
		.amdhsa_exception_fp_ieee_overflow 0
		.amdhsa_exception_fp_ieee_underflow 0
		.amdhsa_exception_fp_ieee_inexact 0
		.amdhsa_exception_int_div_zero 0
	.end_amdhsa_kernel
	.section	.text._ZN7rocprim17ROCPRIM_400000_NS6detail17trampoline_kernelINS0_14default_configENS1_29reduce_by_key_config_selectorIttN6thrust23THRUST_200600_302600_NS4plusItEEEEZZNS1_33reduce_by_key_impl_wrapped_configILNS1_25lookback_scan_determinismE0ES3_S9_NS6_6detail15normal_iteratorINS6_10device_ptrItEEEESG_SG_SG_PmS8_22is_equal_div_10_reduceItEEE10hipError_tPvRmT2_T3_mT4_T5_T6_T7_T8_P12ihipStream_tbENKUlT_T0_E_clISt17integral_constantIbLb1EES11_EEDaSW_SX_EUlSW_E_NS1_11comp_targetILNS1_3genE4ELNS1_11target_archE910ELNS1_3gpuE8ELNS1_3repE0EEENS1_30default_config_static_selectorELNS0_4arch9wavefront6targetE0EEEvT1_,"axG",@progbits,_ZN7rocprim17ROCPRIM_400000_NS6detail17trampoline_kernelINS0_14default_configENS1_29reduce_by_key_config_selectorIttN6thrust23THRUST_200600_302600_NS4plusItEEEEZZNS1_33reduce_by_key_impl_wrapped_configILNS1_25lookback_scan_determinismE0ES3_S9_NS6_6detail15normal_iteratorINS6_10device_ptrItEEEESG_SG_SG_PmS8_22is_equal_div_10_reduceItEEE10hipError_tPvRmT2_T3_mT4_T5_T6_T7_T8_P12ihipStream_tbENKUlT_T0_E_clISt17integral_constantIbLb1EES11_EEDaSW_SX_EUlSW_E_NS1_11comp_targetILNS1_3genE4ELNS1_11target_archE910ELNS1_3gpuE8ELNS1_3repE0EEENS1_30default_config_static_selectorELNS0_4arch9wavefront6targetE0EEEvT1_,comdat
.Lfunc_end442:
	.size	_ZN7rocprim17ROCPRIM_400000_NS6detail17trampoline_kernelINS0_14default_configENS1_29reduce_by_key_config_selectorIttN6thrust23THRUST_200600_302600_NS4plusItEEEEZZNS1_33reduce_by_key_impl_wrapped_configILNS1_25lookback_scan_determinismE0ES3_S9_NS6_6detail15normal_iteratorINS6_10device_ptrItEEEESG_SG_SG_PmS8_22is_equal_div_10_reduceItEEE10hipError_tPvRmT2_T3_mT4_T5_T6_T7_T8_P12ihipStream_tbENKUlT_T0_E_clISt17integral_constantIbLb1EES11_EEDaSW_SX_EUlSW_E_NS1_11comp_targetILNS1_3genE4ELNS1_11target_archE910ELNS1_3gpuE8ELNS1_3repE0EEENS1_30default_config_static_selectorELNS0_4arch9wavefront6targetE0EEEvT1_, .Lfunc_end442-_ZN7rocprim17ROCPRIM_400000_NS6detail17trampoline_kernelINS0_14default_configENS1_29reduce_by_key_config_selectorIttN6thrust23THRUST_200600_302600_NS4plusItEEEEZZNS1_33reduce_by_key_impl_wrapped_configILNS1_25lookback_scan_determinismE0ES3_S9_NS6_6detail15normal_iteratorINS6_10device_ptrItEEEESG_SG_SG_PmS8_22is_equal_div_10_reduceItEEE10hipError_tPvRmT2_T3_mT4_T5_T6_T7_T8_P12ihipStream_tbENKUlT_T0_E_clISt17integral_constantIbLb1EES11_EEDaSW_SX_EUlSW_E_NS1_11comp_targetILNS1_3genE4ELNS1_11target_archE910ELNS1_3gpuE8ELNS1_3repE0EEENS1_30default_config_static_selectorELNS0_4arch9wavefront6targetE0EEEvT1_
                                        ; -- End function
	.section	.AMDGPU.csdata,"",@progbits
; Kernel info:
; codeLenInByte = 0
; NumSgprs: 0
; NumVgprs: 0
; ScratchSize: 0
; MemoryBound: 0
; FloatMode: 240
; IeeeMode: 1
; LDSByteSize: 0 bytes/workgroup (compile time only)
; SGPRBlocks: 0
; VGPRBlocks: 0
; NumSGPRsForWavesPerEU: 1
; NumVGPRsForWavesPerEU: 1
; Occupancy: 16
; WaveLimiterHint : 0
; COMPUTE_PGM_RSRC2:SCRATCH_EN: 0
; COMPUTE_PGM_RSRC2:USER_SGPR: 15
; COMPUTE_PGM_RSRC2:TRAP_HANDLER: 0
; COMPUTE_PGM_RSRC2:TGID_X_EN: 1
; COMPUTE_PGM_RSRC2:TGID_Y_EN: 0
; COMPUTE_PGM_RSRC2:TGID_Z_EN: 0
; COMPUTE_PGM_RSRC2:TIDIG_COMP_CNT: 0
	.section	.text._ZN7rocprim17ROCPRIM_400000_NS6detail17trampoline_kernelINS0_14default_configENS1_29reduce_by_key_config_selectorIttN6thrust23THRUST_200600_302600_NS4plusItEEEEZZNS1_33reduce_by_key_impl_wrapped_configILNS1_25lookback_scan_determinismE0ES3_S9_NS6_6detail15normal_iteratorINS6_10device_ptrItEEEESG_SG_SG_PmS8_22is_equal_div_10_reduceItEEE10hipError_tPvRmT2_T3_mT4_T5_T6_T7_T8_P12ihipStream_tbENKUlT_T0_E_clISt17integral_constantIbLb1EES11_EEDaSW_SX_EUlSW_E_NS1_11comp_targetILNS1_3genE3ELNS1_11target_archE908ELNS1_3gpuE7ELNS1_3repE0EEENS1_30default_config_static_selectorELNS0_4arch9wavefront6targetE0EEEvT1_,"axG",@progbits,_ZN7rocprim17ROCPRIM_400000_NS6detail17trampoline_kernelINS0_14default_configENS1_29reduce_by_key_config_selectorIttN6thrust23THRUST_200600_302600_NS4plusItEEEEZZNS1_33reduce_by_key_impl_wrapped_configILNS1_25lookback_scan_determinismE0ES3_S9_NS6_6detail15normal_iteratorINS6_10device_ptrItEEEESG_SG_SG_PmS8_22is_equal_div_10_reduceItEEE10hipError_tPvRmT2_T3_mT4_T5_T6_T7_T8_P12ihipStream_tbENKUlT_T0_E_clISt17integral_constantIbLb1EES11_EEDaSW_SX_EUlSW_E_NS1_11comp_targetILNS1_3genE3ELNS1_11target_archE908ELNS1_3gpuE7ELNS1_3repE0EEENS1_30default_config_static_selectorELNS0_4arch9wavefront6targetE0EEEvT1_,comdat
	.protected	_ZN7rocprim17ROCPRIM_400000_NS6detail17trampoline_kernelINS0_14default_configENS1_29reduce_by_key_config_selectorIttN6thrust23THRUST_200600_302600_NS4plusItEEEEZZNS1_33reduce_by_key_impl_wrapped_configILNS1_25lookback_scan_determinismE0ES3_S9_NS6_6detail15normal_iteratorINS6_10device_ptrItEEEESG_SG_SG_PmS8_22is_equal_div_10_reduceItEEE10hipError_tPvRmT2_T3_mT4_T5_T6_T7_T8_P12ihipStream_tbENKUlT_T0_E_clISt17integral_constantIbLb1EES11_EEDaSW_SX_EUlSW_E_NS1_11comp_targetILNS1_3genE3ELNS1_11target_archE908ELNS1_3gpuE7ELNS1_3repE0EEENS1_30default_config_static_selectorELNS0_4arch9wavefront6targetE0EEEvT1_ ; -- Begin function _ZN7rocprim17ROCPRIM_400000_NS6detail17trampoline_kernelINS0_14default_configENS1_29reduce_by_key_config_selectorIttN6thrust23THRUST_200600_302600_NS4plusItEEEEZZNS1_33reduce_by_key_impl_wrapped_configILNS1_25lookback_scan_determinismE0ES3_S9_NS6_6detail15normal_iteratorINS6_10device_ptrItEEEESG_SG_SG_PmS8_22is_equal_div_10_reduceItEEE10hipError_tPvRmT2_T3_mT4_T5_T6_T7_T8_P12ihipStream_tbENKUlT_T0_E_clISt17integral_constantIbLb1EES11_EEDaSW_SX_EUlSW_E_NS1_11comp_targetILNS1_3genE3ELNS1_11target_archE908ELNS1_3gpuE7ELNS1_3repE0EEENS1_30default_config_static_selectorELNS0_4arch9wavefront6targetE0EEEvT1_
	.globl	_ZN7rocprim17ROCPRIM_400000_NS6detail17trampoline_kernelINS0_14default_configENS1_29reduce_by_key_config_selectorIttN6thrust23THRUST_200600_302600_NS4plusItEEEEZZNS1_33reduce_by_key_impl_wrapped_configILNS1_25lookback_scan_determinismE0ES3_S9_NS6_6detail15normal_iteratorINS6_10device_ptrItEEEESG_SG_SG_PmS8_22is_equal_div_10_reduceItEEE10hipError_tPvRmT2_T3_mT4_T5_T6_T7_T8_P12ihipStream_tbENKUlT_T0_E_clISt17integral_constantIbLb1EES11_EEDaSW_SX_EUlSW_E_NS1_11comp_targetILNS1_3genE3ELNS1_11target_archE908ELNS1_3gpuE7ELNS1_3repE0EEENS1_30default_config_static_selectorELNS0_4arch9wavefront6targetE0EEEvT1_
	.p2align	8
	.type	_ZN7rocprim17ROCPRIM_400000_NS6detail17trampoline_kernelINS0_14default_configENS1_29reduce_by_key_config_selectorIttN6thrust23THRUST_200600_302600_NS4plusItEEEEZZNS1_33reduce_by_key_impl_wrapped_configILNS1_25lookback_scan_determinismE0ES3_S9_NS6_6detail15normal_iteratorINS6_10device_ptrItEEEESG_SG_SG_PmS8_22is_equal_div_10_reduceItEEE10hipError_tPvRmT2_T3_mT4_T5_T6_T7_T8_P12ihipStream_tbENKUlT_T0_E_clISt17integral_constantIbLb1EES11_EEDaSW_SX_EUlSW_E_NS1_11comp_targetILNS1_3genE3ELNS1_11target_archE908ELNS1_3gpuE7ELNS1_3repE0EEENS1_30default_config_static_selectorELNS0_4arch9wavefront6targetE0EEEvT1_,@function
_ZN7rocprim17ROCPRIM_400000_NS6detail17trampoline_kernelINS0_14default_configENS1_29reduce_by_key_config_selectorIttN6thrust23THRUST_200600_302600_NS4plusItEEEEZZNS1_33reduce_by_key_impl_wrapped_configILNS1_25lookback_scan_determinismE0ES3_S9_NS6_6detail15normal_iteratorINS6_10device_ptrItEEEESG_SG_SG_PmS8_22is_equal_div_10_reduceItEEE10hipError_tPvRmT2_T3_mT4_T5_T6_T7_T8_P12ihipStream_tbENKUlT_T0_E_clISt17integral_constantIbLb1EES11_EEDaSW_SX_EUlSW_E_NS1_11comp_targetILNS1_3genE3ELNS1_11target_archE908ELNS1_3gpuE7ELNS1_3repE0EEENS1_30default_config_static_selectorELNS0_4arch9wavefront6targetE0EEEvT1_: ; @_ZN7rocprim17ROCPRIM_400000_NS6detail17trampoline_kernelINS0_14default_configENS1_29reduce_by_key_config_selectorIttN6thrust23THRUST_200600_302600_NS4plusItEEEEZZNS1_33reduce_by_key_impl_wrapped_configILNS1_25lookback_scan_determinismE0ES3_S9_NS6_6detail15normal_iteratorINS6_10device_ptrItEEEESG_SG_SG_PmS8_22is_equal_div_10_reduceItEEE10hipError_tPvRmT2_T3_mT4_T5_T6_T7_T8_P12ihipStream_tbENKUlT_T0_E_clISt17integral_constantIbLb1EES11_EEDaSW_SX_EUlSW_E_NS1_11comp_targetILNS1_3genE3ELNS1_11target_archE908ELNS1_3gpuE7ELNS1_3repE0EEENS1_30default_config_static_selectorELNS0_4arch9wavefront6targetE0EEEvT1_
; %bb.0:
	.section	.rodata,"a",@progbits
	.p2align	6, 0x0
	.amdhsa_kernel _ZN7rocprim17ROCPRIM_400000_NS6detail17trampoline_kernelINS0_14default_configENS1_29reduce_by_key_config_selectorIttN6thrust23THRUST_200600_302600_NS4plusItEEEEZZNS1_33reduce_by_key_impl_wrapped_configILNS1_25lookback_scan_determinismE0ES3_S9_NS6_6detail15normal_iteratorINS6_10device_ptrItEEEESG_SG_SG_PmS8_22is_equal_div_10_reduceItEEE10hipError_tPvRmT2_T3_mT4_T5_T6_T7_T8_P12ihipStream_tbENKUlT_T0_E_clISt17integral_constantIbLb1EES11_EEDaSW_SX_EUlSW_E_NS1_11comp_targetILNS1_3genE3ELNS1_11target_archE908ELNS1_3gpuE7ELNS1_3repE0EEENS1_30default_config_static_selectorELNS0_4arch9wavefront6targetE0EEEvT1_
		.amdhsa_group_segment_fixed_size 0
		.amdhsa_private_segment_fixed_size 0
		.amdhsa_kernarg_size 120
		.amdhsa_user_sgpr_count 15
		.amdhsa_user_sgpr_dispatch_ptr 0
		.amdhsa_user_sgpr_queue_ptr 0
		.amdhsa_user_sgpr_kernarg_segment_ptr 1
		.amdhsa_user_sgpr_dispatch_id 0
		.amdhsa_user_sgpr_private_segment_size 0
		.amdhsa_wavefront_size32 1
		.amdhsa_uses_dynamic_stack 0
		.amdhsa_enable_private_segment 0
		.amdhsa_system_sgpr_workgroup_id_x 1
		.amdhsa_system_sgpr_workgroup_id_y 0
		.amdhsa_system_sgpr_workgroup_id_z 0
		.amdhsa_system_sgpr_workgroup_info 0
		.amdhsa_system_vgpr_workitem_id 0
		.amdhsa_next_free_vgpr 1
		.amdhsa_next_free_sgpr 1
		.amdhsa_reserve_vcc 0
		.amdhsa_float_round_mode_32 0
		.amdhsa_float_round_mode_16_64 0
		.amdhsa_float_denorm_mode_32 3
		.amdhsa_float_denorm_mode_16_64 3
		.amdhsa_dx10_clamp 1
		.amdhsa_ieee_mode 1
		.amdhsa_fp16_overflow 0
		.amdhsa_workgroup_processor_mode 1
		.amdhsa_memory_ordered 1
		.amdhsa_forward_progress 0
		.amdhsa_shared_vgpr_count 0
		.amdhsa_exception_fp_ieee_invalid_op 0
		.amdhsa_exception_fp_denorm_src 0
		.amdhsa_exception_fp_ieee_div_zero 0
		.amdhsa_exception_fp_ieee_overflow 0
		.amdhsa_exception_fp_ieee_underflow 0
		.amdhsa_exception_fp_ieee_inexact 0
		.amdhsa_exception_int_div_zero 0
	.end_amdhsa_kernel
	.section	.text._ZN7rocprim17ROCPRIM_400000_NS6detail17trampoline_kernelINS0_14default_configENS1_29reduce_by_key_config_selectorIttN6thrust23THRUST_200600_302600_NS4plusItEEEEZZNS1_33reduce_by_key_impl_wrapped_configILNS1_25lookback_scan_determinismE0ES3_S9_NS6_6detail15normal_iteratorINS6_10device_ptrItEEEESG_SG_SG_PmS8_22is_equal_div_10_reduceItEEE10hipError_tPvRmT2_T3_mT4_T5_T6_T7_T8_P12ihipStream_tbENKUlT_T0_E_clISt17integral_constantIbLb1EES11_EEDaSW_SX_EUlSW_E_NS1_11comp_targetILNS1_3genE3ELNS1_11target_archE908ELNS1_3gpuE7ELNS1_3repE0EEENS1_30default_config_static_selectorELNS0_4arch9wavefront6targetE0EEEvT1_,"axG",@progbits,_ZN7rocprim17ROCPRIM_400000_NS6detail17trampoline_kernelINS0_14default_configENS1_29reduce_by_key_config_selectorIttN6thrust23THRUST_200600_302600_NS4plusItEEEEZZNS1_33reduce_by_key_impl_wrapped_configILNS1_25lookback_scan_determinismE0ES3_S9_NS6_6detail15normal_iteratorINS6_10device_ptrItEEEESG_SG_SG_PmS8_22is_equal_div_10_reduceItEEE10hipError_tPvRmT2_T3_mT4_T5_T6_T7_T8_P12ihipStream_tbENKUlT_T0_E_clISt17integral_constantIbLb1EES11_EEDaSW_SX_EUlSW_E_NS1_11comp_targetILNS1_3genE3ELNS1_11target_archE908ELNS1_3gpuE7ELNS1_3repE0EEENS1_30default_config_static_selectorELNS0_4arch9wavefront6targetE0EEEvT1_,comdat
.Lfunc_end443:
	.size	_ZN7rocprim17ROCPRIM_400000_NS6detail17trampoline_kernelINS0_14default_configENS1_29reduce_by_key_config_selectorIttN6thrust23THRUST_200600_302600_NS4plusItEEEEZZNS1_33reduce_by_key_impl_wrapped_configILNS1_25lookback_scan_determinismE0ES3_S9_NS6_6detail15normal_iteratorINS6_10device_ptrItEEEESG_SG_SG_PmS8_22is_equal_div_10_reduceItEEE10hipError_tPvRmT2_T3_mT4_T5_T6_T7_T8_P12ihipStream_tbENKUlT_T0_E_clISt17integral_constantIbLb1EES11_EEDaSW_SX_EUlSW_E_NS1_11comp_targetILNS1_3genE3ELNS1_11target_archE908ELNS1_3gpuE7ELNS1_3repE0EEENS1_30default_config_static_selectorELNS0_4arch9wavefront6targetE0EEEvT1_, .Lfunc_end443-_ZN7rocprim17ROCPRIM_400000_NS6detail17trampoline_kernelINS0_14default_configENS1_29reduce_by_key_config_selectorIttN6thrust23THRUST_200600_302600_NS4plusItEEEEZZNS1_33reduce_by_key_impl_wrapped_configILNS1_25lookback_scan_determinismE0ES3_S9_NS6_6detail15normal_iteratorINS6_10device_ptrItEEEESG_SG_SG_PmS8_22is_equal_div_10_reduceItEEE10hipError_tPvRmT2_T3_mT4_T5_T6_T7_T8_P12ihipStream_tbENKUlT_T0_E_clISt17integral_constantIbLb1EES11_EEDaSW_SX_EUlSW_E_NS1_11comp_targetILNS1_3genE3ELNS1_11target_archE908ELNS1_3gpuE7ELNS1_3repE0EEENS1_30default_config_static_selectorELNS0_4arch9wavefront6targetE0EEEvT1_
                                        ; -- End function
	.section	.AMDGPU.csdata,"",@progbits
; Kernel info:
; codeLenInByte = 0
; NumSgprs: 0
; NumVgprs: 0
; ScratchSize: 0
; MemoryBound: 0
; FloatMode: 240
; IeeeMode: 1
; LDSByteSize: 0 bytes/workgroup (compile time only)
; SGPRBlocks: 0
; VGPRBlocks: 0
; NumSGPRsForWavesPerEU: 1
; NumVGPRsForWavesPerEU: 1
; Occupancy: 16
; WaveLimiterHint : 0
; COMPUTE_PGM_RSRC2:SCRATCH_EN: 0
; COMPUTE_PGM_RSRC2:USER_SGPR: 15
; COMPUTE_PGM_RSRC2:TRAP_HANDLER: 0
; COMPUTE_PGM_RSRC2:TGID_X_EN: 1
; COMPUTE_PGM_RSRC2:TGID_Y_EN: 0
; COMPUTE_PGM_RSRC2:TGID_Z_EN: 0
; COMPUTE_PGM_RSRC2:TIDIG_COMP_CNT: 0
	.section	.text._ZN7rocprim17ROCPRIM_400000_NS6detail17trampoline_kernelINS0_14default_configENS1_29reduce_by_key_config_selectorIttN6thrust23THRUST_200600_302600_NS4plusItEEEEZZNS1_33reduce_by_key_impl_wrapped_configILNS1_25lookback_scan_determinismE0ES3_S9_NS6_6detail15normal_iteratorINS6_10device_ptrItEEEESG_SG_SG_PmS8_22is_equal_div_10_reduceItEEE10hipError_tPvRmT2_T3_mT4_T5_T6_T7_T8_P12ihipStream_tbENKUlT_T0_E_clISt17integral_constantIbLb1EES11_EEDaSW_SX_EUlSW_E_NS1_11comp_targetILNS1_3genE2ELNS1_11target_archE906ELNS1_3gpuE6ELNS1_3repE0EEENS1_30default_config_static_selectorELNS0_4arch9wavefront6targetE0EEEvT1_,"axG",@progbits,_ZN7rocprim17ROCPRIM_400000_NS6detail17trampoline_kernelINS0_14default_configENS1_29reduce_by_key_config_selectorIttN6thrust23THRUST_200600_302600_NS4plusItEEEEZZNS1_33reduce_by_key_impl_wrapped_configILNS1_25lookback_scan_determinismE0ES3_S9_NS6_6detail15normal_iteratorINS6_10device_ptrItEEEESG_SG_SG_PmS8_22is_equal_div_10_reduceItEEE10hipError_tPvRmT2_T3_mT4_T5_T6_T7_T8_P12ihipStream_tbENKUlT_T0_E_clISt17integral_constantIbLb1EES11_EEDaSW_SX_EUlSW_E_NS1_11comp_targetILNS1_3genE2ELNS1_11target_archE906ELNS1_3gpuE6ELNS1_3repE0EEENS1_30default_config_static_selectorELNS0_4arch9wavefront6targetE0EEEvT1_,comdat
	.protected	_ZN7rocprim17ROCPRIM_400000_NS6detail17trampoline_kernelINS0_14default_configENS1_29reduce_by_key_config_selectorIttN6thrust23THRUST_200600_302600_NS4plusItEEEEZZNS1_33reduce_by_key_impl_wrapped_configILNS1_25lookback_scan_determinismE0ES3_S9_NS6_6detail15normal_iteratorINS6_10device_ptrItEEEESG_SG_SG_PmS8_22is_equal_div_10_reduceItEEE10hipError_tPvRmT2_T3_mT4_T5_T6_T7_T8_P12ihipStream_tbENKUlT_T0_E_clISt17integral_constantIbLb1EES11_EEDaSW_SX_EUlSW_E_NS1_11comp_targetILNS1_3genE2ELNS1_11target_archE906ELNS1_3gpuE6ELNS1_3repE0EEENS1_30default_config_static_selectorELNS0_4arch9wavefront6targetE0EEEvT1_ ; -- Begin function _ZN7rocprim17ROCPRIM_400000_NS6detail17trampoline_kernelINS0_14default_configENS1_29reduce_by_key_config_selectorIttN6thrust23THRUST_200600_302600_NS4plusItEEEEZZNS1_33reduce_by_key_impl_wrapped_configILNS1_25lookback_scan_determinismE0ES3_S9_NS6_6detail15normal_iteratorINS6_10device_ptrItEEEESG_SG_SG_PmS8_22is_equal_div_10_reduceItEEE10hipError_tPvRmT2_T3_mT4_T5_T6_T7_T8_P12ihipStream_tbENKUlT_T0_E_clISt17integral_constantIbLb1EES11_EEDaSW_SX_EUlSW_E_NS1_11comp_targetILNS1_3genE2ELNS1_11target_archE906ELNS1_3gpuE6ELNS1_3repE0EEENS1_30default_config_static_selectorELNS0_4arch9wavefront6targetE0EEEvT1_
	.globl	_ZN7rocprim17ROCPRIM_400000_NS6detail17trampoline_kernelINS0_14default_configENS1_29reduce_by_key_config_selectorIttN6thrust23THRUST_200600_302600_NS4plusItEEEEZZNS1_33reduce_by_key_impl_wrapped_configILNS1_25lookback_scan_determinismE0ES3_S9_NS6_6detail15normal_iteratorINS6_10device_ptrItEEEESG_SG_SG_PmS8_22is_equal_div_10_reduceItEEE10hipError_tPvRmT2_T3_mT4_T5_T6_T7_T8_P12ihipStream_tbENKUlT_T0_E_clISt17integral_constantIbLb1EES11_EEDaSW_SX_EUlSW_E_NS1_11comp_targetILNS1_3genE2ELNS1_11target_archE906ELNS1_3gpuE6ELNS1_3repE0EEENS1_30default_config_static_selectorELNS0_4arch9wavefront6targetE0EEEvT1_
	.p2align	8
	.type	_ZN7rocprim17ROCPRIM_400000_NS6detail17trampoline_kernelINS0_14default_configENS1_29reduce_by_key_config_selectorIttN6thrust23THRUST_200600_302600_NS4plusItEEEEZZNS1_33reduce_by_key_impl_wrapped_configILNS1_25lookback_scan_determinismE0ES3_S9_NS6_6detail15normal_iteratorINS6_10device_ptrItEEEESG_SG_SG_PmS8_22is_equal_div_10_reduceItEEE10hipError_tPvRmT2_T3_mT4_T5_T6_T7_T8_P12ihipStream_tbENKUlT_T0_E_clISt17integral_constantIbLb1EES11_EEDaSW_SX_EUlSW_E_NS1_11comp_targetILNS1_3genE2ELNS1_11target_archE906ELNS1_3gpuE6ELNS1_3repE0EEENS1_30default_config_static_selectorELNS0_4arch9wavefront6targetE0EEEvT1_,@function
_ZN7rocprim17ROCPRIM_400000_NS6detail17trampoline_kernelINS0_14default_configENS1_29reduce_by_key_config_selectorIttN6thrust23THRUST_200600_302600_NS4plusItEEEEZZNS1_33reduce_by_key_impl_wrapped_configILNS1_25lookback_scan_determinismE0ES3_S9_NS6_6detail15normal_iteratorINS6_10device_ptrItEEEESG_SG_SG_PmS8_22is_equal_div_10_reduceItEEE10hipError_tPvRmT2_T3_mT4_T5_T6_T7_T8_P12ihipStream_tbENKUlT_T0_E_clISt17integral_constantIbLb1EES11_EEDaSW_SX_EUlSW_E_NS1_11comp_targetILNS1_3genE2ELNS1_11target_archE906ELNS1_3gpuE6ELNS1_3repE0EEENS1_30default_config_static_selectorELNS0_4arch9wavefront6targetE0EEEvT1_: ; @_ZN7rocprim17ROCPRIM_400000_NS6detail17trampoline_kernelINS0_14default_configENS1_29reduce_by_key_config_selectorIttN6thrust23THRUST_200600_302600_NS4plusItEEEEZZNS1_33reduce_by_key_impl_wrapped_configILNS1_25lookback_scan_determinismE0ES3_S9_NS6_6detail15normal_iteratorINS6_10device_ptrItEEEESG_SG_SG_PmS8_22is_equal_div_10_reduceItEEE10hipError_tPvRmT2_T3_mT4_T5_T6_T7_T8_P12ihipStream_tbENKUlT_T0_E_clISt17integral_constantIbLb1EES11_EEDaSW_SX_EUlSW_E_NS1_11comp_targetILNS1_3genE2ELNS1_11target_archE906ELNS1_3gpuE6ELNS1_3repE0EEENS1_30default_config_static_selectorELNS0_4arch9wavefront6targetE0EEEvT1_
; %bb.0:
	.section	.rodata,"a",@progbits
	.p2align	6, 0x0
	.amdhsa_kernel _ZN7rocprim17ROCPRIM_400000_NS6detail17trampoline_kernelINS0_14default_configENS1_29reduce_by_key_config_selectorIttN6thrust23THRUST_200600_302600_NS4plusItEEEEZZNS1_33reduce_by_key_impl_wrapped_configILNS1_25lookback_scan_determinismE0ES3_S9_NS6_6detail15normal_iteratorINS6_10device_ptrItEEEESG_SG_SG_PmS8_22is_equal_div_10_reduceItEEE10hipError_tPvRmT2_T3_mT4_T5_T6_T7_T8_P12ihipStream_tbENKUlT_T0_E_clISt17integral_constantIbLb1EES11_EEDaSW_SX_EUlSW_E_NS1_11comp_targetILNS1_3genE2ELNS1_11target_archE906ELNS1_3gpuE6ELNS1_3repE0EEENS1_30default_config_static_selectorELNS0_4arch9wavefront6targetE0EEEvT1_
		.amdhsa_group_segment_fixed_size 0
		.amdhsa_private_segment_fixed_size 0
		.amdhsa_kernarg_size 120
		.amdhsa_user_sgpr_count 15
		.amdhsa_user_sgpr_dispatch_ptr 0
		.amdhsa_user_sgpr_queue_ptr 0
		.amdhsa_user_sgpr_kernarg_segment_ptr 1
		.amdhsa_user_sgpr_dispatch_id 0
		.amdhsa_user_sgpr_private_segment_size 0
		.amdhsa_wavefront_size32 1
		.amdhsa_uses_dynamic_stack 0
		.amdhsa_enable_private_segment 0
		.amdhsa_system_sgpr_workgroup_id_x 1
		.amdhsa_system_sgpr_workgroup_id_y 0
		.amdhsa_system_sgpr_workgroup_id_z 0
		.amdhsa_system_sgpr_workgroup_info 0
		.amdhsa_system_vgpr_workitem_id 0
		.amdhsa_next_free_vgpr 1
		.amdhsa_next_free_sgpr 1
		.amdhsa_reserve_vcc 0
		.amdhsa_float_round_mode_32 0
		.amdhsa_float_round_mode_16_64 0
		.amdhsa_float_denorm_mode_32 3
		.amdhsa_float_denorm_mode_16_64 3
		.amdhsa_dx10_clamp 1
		.amdhsa_ieee_mode 1
		.amdhsa_fp16_overflow 0
		.amdhsa_workgroup_processor_mode 1
		.amdhsa_memory_ordered 1
		.amdhsa_forward_progress 0
		.amdhsa_shared_vgpr_count 0
		.amdhsa_exception_fp_ieee_invalid_op 0
		.amdhsa_exception_fp_denorm_src 0
		.amdhsa_exception_fp_ieee_div_zero 0
		.amdhsa_exception_fp_ieee_overflow 0
		.amdhsa_exception_fp_ieee_underflow 0
		.amdhsa_exception_fp_ieee_inexact 0
		.amdhsa_exception_int_div_zero 0
	.end_amdhsa_kernel
	.section	.text._ZN7rocprim17ROCPRIM_400000_NS6detail17trampoline_kernelINS0_14default_configENS1_29reduce_by_key_config_selectorIttN6thrust23THRUST_200600_302600_NS4plusItEEEEZZNS1_33reduce_by_key_impl_wrapped_configILNS1_25lookback_scan_determinismE0ES3_S9_NS6_6detail15normal_iteratorINS6_10device_ptrItEEEESG_SG_SG_PmS8_22is_equal_div_10_reduceItEEE10hipError_tPvRmT2_T3_mT4_T5_T6_T7_T8_P12ihipStream_tbENKUlT_T0_E_clISt17integral_constantIbLb1EES11_EEDaSW_SX_EUlSW_E_NS1_11comp_targetILNS1_3genE2ELNS1_11target_archE906ELNS1_3gpuE6ELNS1_3repE0EEENS1_30default_config_static_selectorELNS0_4arch9wavefront6targetE0EEEvT1_,"axG",@progbits,_ZN7rocprim17ROCPRIM_400000_NS6detail17trampoline_kernelINS0_14default_configENS1_29reduce_by_key_config_selectorIttN6thrust23THRUST_200600_302600_NS4plusItEEEEZZNS1_33reduce_by_key_impl_wrapped_configILNS1_25lookback_scan_determinismE0ES3_S9_NS6_6detail15normal_iteratorINS6_10device_ptrItEEEESG_SG_SG_PmS8_22is_equal_div_10_reduceItEEE10hipError_tPvRmT2_T3_mT4_T5_T6_T7_T8_P12ihipStream_tbENKUlT_T0_E_clISt17integral_constantIbLb1EES11_EEDaSW_SX_EUlSW_E_NS1_11comp_targetILNS1_3genE2ELNS1_11target_archE906ELNS1_3gpuE6ELNS1_3repE0EEENS1_30default_config_static_selectorELNS0_4arch9wavefront6targetE0EEEvT1_,comdat
.Lfunc_end444:
	.size	_ZN7rocprim17ROCPRIM_400000_NS6detail17trampoline_kernelINS0_14default_configENS1_29reduce_by_key_config_selectorIttN6thrust23THRUST_200600_302600_NS4plusItEEEEZZNS1_33reduce_by_key_impl_wrapped_configILNS1_25lookback_scan_determinismE0ES3_S9_NS6_6detail15normal_iteratorINS6_10device_ptrItEEEESG_SG_SG_PmS8_22is_equal_div_10_reduceItEEE10hipError_tPvRmT2_T3_mT4_T5_T6_T7_T8_P12ihipStream_tbENKUlT_T0_E_clISt17integral_constantIbLb1EES11_EEDaSW_SX_EUlSW_E_NS1_11comp_targetILNS1_3genE2ELNS1_11target_archE906ELNS1_3gpuE6ELNS1_3repE0EEENS1_30default_config_static_selectorELNS0_4arch9wavefront6targetE0EEEvT1_, .Lfunc_end444-_ZN7rocprim17ROCPRIM_400000_NS6detail17trampoline_kernelINS0_14default_configENS1_29reduce_by_key_config_selectorIttN6thrust23THRUST_200600_302600_NS4plusItEEEEZZNS1_33reduce_by_key_impl_wrapped_configILNS1_25lookback_scan_determinismE0ES3_S9_NS6_6detail15normal_iteratorINS6_10device_ptrItEEEESG_SG_SG_PmS8_22is_equal_div_10_reduceItEEE10hipError_tPvRmT2_T3_mT4_T5_T6_T7_T8_P12ihipStream_tbENKUlT_T0_E_clISt17integral_constantIbLb1EES11_EEDaSW_SX_EUlSW_E_NS1_11comp_targetILNS1_3genE2ELNS1_11target_archE906ELNS1_3gpuE6ELNS1_3repE0EEENS1_30default_config_static_selectorELNS0_4arch9wavefront6targetE0EEEvT1_
                                        ; -- End function
	.section	.AMDGPU.csdata,"",@progbits
; Kernel info:
; codeLenInByte = 0
; NumSgprs: 0
; NumVgprs: 0
; ScratchSize: 0
; MemoryBound: 0
; FloatMode: 240
; IeeeMode: 1
; LDSByteSize: 0 bytes/workgroup (compile time only)
; SGPRBlocks: 0
; VGPRBlocks: 0
; NumSGPRsForWavesPerEU: 1
; NumVGPRsForWavesPerEU: 1
; Occupancy: 16
; WaveLimiterHint : 0
; COMPUTE_PGM_RSRC2:SCRATCH_EN: 0
; COMPUTE_PGM_RSRC2:USER_SGPR: 15
; COMPUTE_PGM_RSRC2:TRAP_HANDLER: 0
; COMPUTE_PGM_RSRC2:TGID_X_EN: 1
; COMPUTE_PGM_RSRC2:TGID_Y_EN: 0
; COMPUTE_PGM_RSRC2:TGID_Z_EN: 0
; COMPUTE_PGM_RSRC2:TIDIG_COMP_CNT: 0
	.section	.text._ZN7rocprim17ROCPRIM_400000_NS6detail17trampoline_kernelINS0_14default_configENS1_29reduce_by_key_config_selectorIttN6thrust23THRUST_200600_302600_NS4plusItEEEEZZNS1_33reduce_by_key_impl_wrapped_configILNS1_25lookback_scan_determinismE0ES3_S9_NS6_6detail15normal_iteratorINS6_10device_ptrItEEEESG_SG_SG_PmS8_22is_equal_div_10_reduceItEEE10hipError_tPvRmT2_T3_mT4_T5_T6_T7_T8_P12ihipStream_tbENKUlT_T0_E_clISt17integral_constantIbLb1EES11_EEDaSW_SX_EUlSW_E_NS1_11comp_targetILNS1_3genE10ELNS1_11target_archE1201ELNS1_3gpuE5ELNS1_3repE0EEENS1_30default_config_static_selectorELNS0_4arch9wavefront6targetE0EEEvT1_,"axG",@progbits,_ZN7rocprim17ROCPRIM_400000_NS6detail17trampoline_kernelINS0_14default_configENS1_29reduce_by_key_config_selectorIttN6thrust23THRUST_200600_302600_NS4plusItEEEEZZNS1_33reduce_by_key_impl_wrapped_configILNS1_25lookback_scan_determinismE0ES3_S9_NS6_6detail15normal_iteratorINS6_10device_ptrItEEEESG_SG_SG_PmS8_22is_equal_div_10_reduceItEEE10hipError_tPvRmT2_T3_mT4_T5_T6_T7_T8_P12ihipStream_tbENKUlT_T0_E_clISt17integral_constantIbLb1EES11_EEDaSW_SX_EUlSW_E_NS1_11comp_targetILNS1_3genE10ELNS1_11target_archE1201ELNS1_3gpuE5ELNS1_3repE0EEENS1_30default_config_static_selectorELNS0_4arch9wavefront6targetE0EEEvT1_,comdat
	.protected	_ZN7rocprim17ROCPRIM_400000_NS6detail17trampoline_kernelINS0_14default_configENS1_29reduce_by_key_config_selectorIttN6thrust23THRUST_200600_302600_NS4plusItEEEEZZNS1_33reduce_by_key_impl_wrapped_configILNS1_25lookback_scan_determinismE0ES3_S9_NS6_6detail15normal_iteratorINS6_10device_ptrItEEEESG_SG_SG_PmS8_22is_equal_div_10_reduceItEEE10hipError_tPvRmT2_T3_mT4_T5_T6_T7_T8_P12ihipStream_tbENKUlT_T0_E_clISt17integral_constantIbLb1EES11_EEDaSW_SX_EUlSW_E_NS1_11comp_targetILNS1_3genE10ELNS1_11target_archE1201ELNS1_3gpuE5ELNS1_3repE0EEENS1_30default_config_static_selectorELNS0_4arch9wavefront6targetE0EEEvT1_ ; -- Begin function _ZN7rocprim17ROCPRIM_400000_NS6detail17trampoline_kernelINS0_14default_configENS1_29reduce_by_key_config_selectorIttN6thrust23THRUST_200600_302600_NS4plusItEEEEZZNS1_33reduce_by_key_impl_wrapped_configILNS1_25lookback_scan_determinismE0ES3_S9_NS6_6detail15normal_iteratorINS6_10device_ptrItEEEESG_SG_SG_PmS8_22is_equal_div_10_reduceItEEE10hipError_tPvRmT2_T3_mT4_T5_T6_T7_T8_P12ihipStream_tbENKUlT_T0_E_clISt17integral_constantIbLb1EES11_EEDaSW_SX_EUlSW_E_NS1_11comp_targetILNS1_3genE10ELNS1_11target_archE1201ELNS1_3gpuE5ELNS1_3repE0EEENS1_30default_config_static_selectorELNS0_4arch9wavefront6targetE0EEEvT1_
	.globl	_ZN7rocprim17ROCPRIM_400000_NS6detail17trampoline_kernelINS0_14default_configENS1_29reduce_by_key_config_selectorIttN6thrust23THRUST_200600_302600_NS4plusItEEEEZZNS1_33reduce_by_key_impl_wrapped_configILNS1_25lookback_scan_determinismE0ES3_S9_NS6_6detail15normal_iteratorINS6_10device_ptrItEEEESG_SG_SG_PmS8_22is_equal_div_10_reduceItEEE10hipError_tPvRmT2_T3_mT4_T5_T6_T7_T8_P12ihipStream_tbENKUlT_T0_E_clISt17integral_constantIbLb1EES11_EEDaSW_SX_EUlSW_E_NS1_11comp_targetILNS1_3genE10ELNS1_11target_archE1201ELNS1_3gpuE5ELNS1_3repE0EEENS1_30default_config_static_selectorELNS0_4arch9wavefront6targetE0EEEvT1_
	.p2align	8
	.type	_ZN7rocprim17ROCPRIM_400000_NS6detail17trampoline_kernelINS0_14default_configENS1_29reduce_by_key_config_selectorIttN6thrust23THRUST_200600_302600_NS4plusItEEEEZZNS1_33reduce_by_key_impl_wrapped_configILNS1_25lookback_scan_determinismE0ES3_S9_NS6_6detail15normal_iteratorINS6_10device_ptrItEEEESG_SG_SG_PmS8_22is_equal_div_10_reduceItEEE10hipError_tPvRmT2_T3_mT4_T5_T6_T7_T8_P12ihipStream_tbENKUlT_T0_E_clISt17integral_constantIbLb1EES11_EEDaSW_SX_EUlSW_E_NS1_11comp_targetILNS1_3genE10ELNS1_11target_archE1201ELNS1_3gpuE5ELNS1_3repE0EEENS1_30default_config_static_selectorELNS0_4arch9wavefront6targetE0EEEvT1_,@function
_ZN7rocprim17ROCPRIM_400000_NS6detail17trampoline_kernelINS0_14default_configENS1_29reduce_by_key_config_selectorIttN6thrust23THRUST_200600_302600_NS4plusItEEEEZZNS1_33reduce_by_key_impl_wrapped_configILNS1_25lookback_scan_determinismE0ES3_S9_NS6_6detail15normal_iteratorINS6_10device_ptrItEEEESG_SG_SG_PmS8_22is_equal_div_10_reduceItEEE10hipError_tPvRmT2_T3_mT4_T5_T6_T7_T8_P12ihipStream_tbENKUlT_T0_E_clISt17integral_constantIbLb1EES11_EEDaSW_SX_EUlSW_E_NS1_11comp_targetILNS1_3genE10ELNS1_11target_archE1201ELNS1_3gpuE5ELNS1_3repE0EEENS1_30default_config_static_selectorELNS0_4arch9wavefront6targetE0EEEvT1_: ; @_ZN7rocprim17ROCPRIM_400000_NS6detail17trampoline_kernelINS0_14default_configENS1_29reduce_by_key_config_selectorIttN6thrust23THRUST_200600_302600_NS4plusItEEEEZZNS1_33reduce_by_key_impl_wrapped_configILNS1_25lookback_scan_determinismE0ES3_S9_NS6_6detail15normal_iteratorINS6_10device_ptrItEEEESG_SG_SG_PmS8_22is_equal_div_10_reduceItEEE10hipError_tPvRmT2_T3_mT4_T5_T6_T7_T8_P12ihipStream_tbENKUlT_T0_E_clISt17integral_constantIbLb1EES11_EEDaSW_SX_EUlSW_E_NS1_11comp_targetILNS1_3genE10ELNS1_11target_archE1201ELNS1_3gpuE5ELNS1_3repE0EEENS1_30default_config_static_selectorELNS0_4arch9wavefront6targetE0EEEvT1_
; %bb.0:
	.section	.rodata,"a",@progbits
	.p2align	6, 0x0
	.amdhsa_kernel _ZN7rocprim17ROCPRIM_400000_NS6detail17trampoline_kernelINS0_14default_configENS1_29reduce_by_key_config_selectorIttN6thrust23THRUST_200600_302600_NS4plusItEEEEZZNS1_33reduce_by_key_impl_wrapped_configILNS1_25lookback_scan_determinismE0ES3_S9_NS6_6detail15normal_iteratorINS6_10device_ptrItEEEESG_SG_SG_PmS8_22is_equal_div_10_reduceItEEE10hipError_tPvRmT2_T3_mT4_T5_T6_T7_T8_P12ihipStream_tbENKUlT_T0_E_clISt17integral_constantIbLb1EES11_EEDaSW_SX_EUlSW_E_NS1_11comp_targetILNS1_3genE10ELNS1_11target_archE1201ELNS1_3gpuE5ELNS1_3repE0EEENS1_30default_config_static_selectorELNS0_4arch9wavefront6targetE0EEEvT1_
		.amdhsa_group_segment_fixed_size 0
		.amdhsa_private_segment_fixed_size 0
		.amdhsa_kernarg_size 120
		.amdhsa_user_sgpr_count 15
		.amdhsa_user_sgpr_dispatch_ptr 0
		.amdhsa_user_sgpr_queue_ptr 0
		.amdhsa_user_sgpr_kernarg_segment_ptr 1
		.amdhsa_user_sgpr_dispatch_id 0
		.amdhsa_user_sgpr_private_segment_size 0
		.amdhsa_wavefront_size32 1
		.amdhsa_uses_dynamic_stack 0
		.amdhsa_enable_private_segment 0
		.amdhsa_system_sgpr_workgroup_id_x 1
		.amdhsa_system_sgpr_workgroup_id_y 0
		.amdhsa_system_sgpr_workgroup_id_z 0
		.amdhsa_system_sgpr_workgroup_info 0
		.amdhsa_system_vgpr_workitem_id 0
		.amdhsa_next_free_vgpr 1
		.amdhsa_next_free_sgpr 1
		.amdhsa_reserve_vcc 0
		.amdhsa_float_round_mode_32 0
		.amdhsa_float_round_mode_16_64 0
		.amdhsa_float_denorm_mode_32 3
		.amdhsa_float_denorm_mode_16_64 3
		.amdhsa_dx10_clamp 1
		.amdhsa_ieee_mode 1
		.amdhsa_fp16_overflow 0
		.amdhsa_workgroup_processor_mode 1
		.amdhsa_memory_ordered 1
		.amdhsa_forward_progress 0
		.amdhsa_shared_vgpr_count 0
		.amdhsa_exception_fp_ieee_invalid_op 0
		.amdhsa_exception_fp_denorm_src 0
		.amdhsa_exception_fp_ieee_div_zero 0
		.amdhsa_exception_fp_ieee_overflow 0
		.amdhsa_exception_fp_ieee_underflow 0
		.amdhsa_exception_fp_ieee_inexact 0
		.amdhsa_exception_int_div_zero 0
	.end_amdhsa_kernel
	.section	.text._ZN7rocprim17ROCPRIM_400000_NS6detail17trampoline_kernelINS0_14default_configENS1_29reduce_by_key_config_selectorIttN6thrust23THRUST_200600_302600_NS4plusItEEEEZZNS1_33reduce_by_key_impl_wrapped_configILNS1_25lookback_scan_determinismE0ES3_S9_NS6_6detail15normal_iteratorINS6_10device_ptrItEEEESG_SG_SG_PmS8_22is_equal_div_10_reduceItEEE10hipError_tPvRmT2_T3_mT4_T5_T6_T7_T8_P12ihipStream_tbENKUlT_T0_E_clISt17integral_constantIbLb1EES11_EEDaSW_SX_EUlSW_E_NS1_11comp_targetILNS1_3genE10ELNS1_11target_archE1201ELNS1_3gpuE5ELNS1_3repE0EEENS1_30default_config_static_selectorELNS0_4arch9wavefront6targetE0EEEvT1_,"axG",@progbits,_ZN7rocprim17ROCPRIM_400000_NS6detail17trampoline_kernelINS0_14default_configENS1_29reduce_by_key_config_selectorIttN6thrust23THRUST_200600_302600_NS4plusItEEEEZZNS1_33reduce_by_key_impl_wrapped_configILNS1_25lookback_scan_determinismE0ES3_S9_NS6_6detail15normal_iteratorINS6_10device_ptrItEEEESG_SG_SG_PmS8_22is_equal_div_10_reduceItEEE10hipError_tPvRmT2_T3_mT4_T5_T6_T7_T8_P12ihipStream_tbENKUlT_T0_E_clISt17integral_constantIbLb1EES11_EEDaSW_SX_EUlSW_E_NS1_11comp_targetILNS1_3genE10ELNS1_11target_archE1201ELNS1_3gpuE5ELNS1_3repE0EEENS1_30default_config_static_selectorELNS0_4arch9wavefront6targetE0EEEvT1_,comdat
.Lfunc_end445:
	.size	_ZN7rocprim17ROCPRIM_400000_NS6detail17trampoline_kernelINS0_14default_configENS1_29reduce_by_key_config_selectorIttN6thrust23THRUST_200600_302600_NS4plusItEEEEZZNS1_33reduce_by_key_impl_wrapped_configILNS1_25lookback_scan_determinismE0ES3_S9_NS6_6detail15normal_iteratorINS6_10device_ptrItEEEESG_SG_SG_PmS8_22is_equal_div_10_reduceItEEE10hipError_tPvRmT2_T3_mT4_T5_T6_T7_T8_P12ihipStream_tbENKUlT_T0_E_clISt17integral_constantIbLb1EES11_EEDaSW_SX_EUlSW_E_NS1_11comp_targetILNS1_3genE10ELNS1_11target_archE1201ELNS1_3gpuE5ELNS1_3repE0EEENS1_30default_config_static_selectorELNS0_4arch9wavefront6targetE0EEEvT1_, .Lfunc_end445-_ZN7rocprim17ROCPRIM_400000_NS6detail17trampoline_kernelINS0_14default_configENS1_29reduce_by_key_config_selectorIttN6thrust23THRUST_200600_302600_NS4plusItEEEEZZNS1_33reduce_by_key_impl_wrapped_configILNS1_25lookback_scan_determinismE0ES3_S9_NS6_6detail15normal_iteratorINS6_10device_ptrItEEEESG_SG_SG_PmS8_22is_equal_div_10_reduceItEEE10hipError_tPvRmT2_T3_mT4_T5_T6_T7_T8_P12ihipStream_tbENKUlT_T0_E_clISt17integral_constantIbLb1EES11_EEDaSW_SX_EUlSW_E_NS1_11comp_targetILNS1_3genE10ELNS1_11target_archE1201ELNS1_3gpuE5ELNS1_3repE0EEENS1_30default_config_static_selectorELNS0_4arch9wavefront6targetE0EEEvT1_
                                        ; -- End function
	.section	.AMDGPU.csdata,"",@progbits
; Kernel info:
; codeLenInByte = 0
; NumSgprs: 0
; NumVgprs: 0
; ScratchSize: 0
; MemoryBound: 0
; FloatMode: 240
; IeeeMode: 1
; LDSByteSize: 0 bytes/workgroup (compile time only)
; SGPRBlocks: 0
; VGPRBlocks: 0
; NumSGPRsForWavesPerEU: 1
; NumVGPRsForWavesPerEU: 1
; Occupancy: 16
; WaveLimiterHint : 0
; COMPUTE_PGM_RSRC2:SCRATCH_EN: 0
; COMPUTE_PGM_RSRC2:USER_SGPR: 15
; COMPUTE_PGM_RSRC2:TRAP_HANDLER: 0
; COMPUTE_PGM_RSRC2:TGID_X_EN: 1
; COMPUTE_PGM_RSRC2:TGID_Y_EN: 0
; COMPUTE_PGM_RSRC2:TGID_Z_EN: 0
; COMPUTE_PGM_RSRC2:TIDIG_COMP_CNT: 0
	.section	.text._ZN7rocprim17ROCPRIM_400000_NS6detail17trampoline_kernelINS0_14default_configENS1_29reduce_by_key_config_selectorIttN6thrust23THRUST_200600_302600_NS4plusItEEEEZZNS1_33reduce_by_key_impl_wrapped_configILNS1_25lookback_scan_determinismE0ES3_S9_NS6_6detail15normal_iteratorINS6_10device_ptrItEEEESG_SG_SG_PmS8_22is_equal_div_10_reduceItEEE10hipError_tPvRmT2_T3_mT4_T5_T6_T7_T8_P12ihipStream_tbENKUlT_T0_E_clISt17integral_constantIbLb1EES11_EEDaSW_SX_EUlSW_E_NS1_11comp_targetILNS1_3genE10ELNS1_11target_archE1200ELNS1_3gpuE4ELNS1_3repE0EEENS1_30default_config_static_selectorELNS0_4arch9wavefront6targetE0EEEvT1_,"axG",@progbits,_ZN7rocprim17ROCPRIM_400000_NS6detail17trampoline_kernelINS0_14default_configENS1_29reduce_by_key_config_selectorIttN6thrust23THRUST_200600_302600_NS4plusItEEEEZZNS1_33reduce_by_key_impl_wrapped_configILNS1_25lookback_scan_determinismE0ES3_S9_NS6_6detail15normal_iteratorINS6_10device_ptrItEEEESG_SG_SG_PmS8_22is_equal_div_10_reduceItEEE10hipError_tPvRmT2_T3_mT4_T5_T6_T7_T8_P12ihipStream_tbENKUlT_T0_E_clISt17integral_constantIbLb1EES11_EEDaSW_SX_EUlSW_E_NS1_11comp_targetILNS1_3genE10ELNS1_11target_archE1200ELNS1_3gpuE4ELNS1_3repE0EEENS1_30default_config_static_selectorELNS0_4arch9wavefront6targetE0EEEvT1_,comdat
	.protected	_ZN7rocprim17ROCPRIM_400000_NS6detail17trampoline_kernelINS0_14default_configENS1_29reduce_by_key_config_selectorIttN6thrust23THRUST_200600_302600_NS4plusItEEEEZZNS1_33reduce_by_key_impl_wrapped_configILNS1_25lookback_scan_determinismE0ES3_S9_NS6_6detail15normal_iteratorINS6_10device_ptrItEEEESG_SG_SG_PmS8_22is_equal_div_10_reduceItEEE10hipError_tPvRmT2_T3_mT4_T5_T6_T7_T8_P12ihipStream_tbENKUlT_T0_E_clISt17integral_constantIbLb1EES11_EEDaSW_SX_EUlSW_E_NS1_11comp_targetILNS1_3genE10ELNS1_11target_archE1200ELNS1_3gpuE4ELNS1_3repE0EEENS1_30default_config_static_selectorELNS0_4arch9wavefront6targetE0EEEvT1_ ; -- Begin function _ZN7rocprim17ROCPRIM_400000_NS6detail17trampoline_kernelINS0_14default_configENS1_29reduce_by_key_config_selectorIttN6thrust23THRUST_200600_302600_NS4plusItEEEEZZNS1_33reduce_by_key_impl_wrapped_configILNS1_25lookback_scan_determinismE0ES3_S9_NS6_6detail15normal_iteratorINS6_10device_ptrItEEEESG_SG_SG_PmS8_22is_equal_div_10_reduceItEEE10hipError_tPvRmT2_T3_mT4_T5_T6_T7_T8_P12ihipStream_tbENKUlT_T0_E_clISt17integral_constantIbLb1EES11_EEDaSW_SX_EUlSW_E_NS1_11comp_targetILNS1_3genE10ELNS1_11target_archE1200ELNS1_3gpuE4ELNS1_3repE0EEENS1_30default_config_static_selectorELNS0_4arch9wavefront6targetE0EEEvT1_
	.globl	_ZN7rocprim17ROCPRIM_400000_NS6detail17trampoline_kernelINS0_14default_configENS1_29reduce_by_key_config_selectorIttN6thrust23THRUST_200600_302600_NS4plusItEEEEZZNS1_33reduce_by_key_impl_wrapped_configILNS1_25lookback_scan_determinismE0ES3_S9_NS6_6detail15normal_iteratorINS6_10device_ptrItEEEESG_SG_SG_PmS8_22is_equal_div_10_reduceItEEE10hipError_tPvRmT2_T3_mT4_T5_T6_T7_T8_P12ihipStream_tbENKUlT_T0_E_clISt17integral_constantIbLb1EES11_EEDaSW_SX_EUlSW_E_NS1_11comp_targetILNS1_3genE10ELNS1_11target_archE1200ELNS1_3gpuE4ELNS1_3repE0EEENS1_30default_config_static_selectorELNS0_4arch9wavefront6targetE0EEEvT1_
	.p2align	8
	.type	_ZN7rocprim17ROCPRIM_400000_NS6detail17trampoline_kernelINS0_14default_configENS1_29reduce_by_key_config_selectorIttN6thrust23THRUST_200600_302600_NS4plusItEEEEZZNS1_33reduce_by_key_impl_wrapped_configILNS1_25lookback_scan_determinismE0ES3_S9_NS6_6detail15normal_iteratorINS6_10device_ptrItEEEESG_SG_SG_PmS8_22is_equal_div_10_reduceItEEE10hipError_tPvRmT2_T3_mT4_T5_T6_T7_T8_P12ihipStream_tbENKUlT_T0_E_clISt17integral_constantIbLb1EES11_EEDaSW_SX_EUlSW_E_NS1_11comp_targetILNS1_3genE10ELNS1_11target_archE1200ELNS1_3gpuE4ELNS1_3repE0EEENS1_30default_config_static_selectorELNS0_4arch9wavefront6targetE0EEEvT1_,@function
_ZN7rocprim17ROCPRIM_400000_NS6detail17trampoline_kernelINS0_14default_configENS1_29reduce_by_key_config_selectorIttN6thrust23THRUST_200600_302600_NS4plusItEEEEZZNS1_33reduce_by_key_impl_wrapped_configILNS1_25lookback_scan_determinismE0ES3_S9_NS6_6detail15normal_iteratorINS6_10device_ptrItEEEESG_SG_SG_PmS8_22is_equal_div_10_reduceItEEE10hipError_tPvRmT2_T3_mT4_T5_T6_T7_T8_P12ihipStream_tbENKUlT_T0_E_clISt17integral_constantIbLb1EES11_EEDaSW_SX_EUlSW_E_NS1_11comp_targetILNS1_3genE10ELNS1_11target_archE1200ELNS1_3gpuE4ELNS1_3repE0EEENS1_30default_config_static_selectorELNS0_4arch9wavefront6targetE0EEEvT1_: ; @_ZN7rocprim17ROCPRIM_400000_NS6detail17trampoline_kernelINS0_14default_configENS1_29reduce_by_key_config_selectorIttN6thrust23THRUST_200600_302600_NS4plusItEEEEZZNS1_33reduce_by_key_impl_wrapped_configILNS1_25lookback_scan_determinismE0ES3_S9_NS6_6detail15normal_iteratorINS6_10device_ptrItEEEESG_SG_SG_PmS8_22is_equal_div_10_reduceItEEE10hipError_tPvRmT2_T3_mT4_T5_T6_T7_T8_P12ihipStream_tbENKUlT_T0_E_clISt17integral_constantIbLb1EES11_EEDaSW_SX_EUlSW_E_NS1_11comp_targetILNS1_3genE10ELNS1_11target_archE1200ELNS1_3gpuE4ELNS1_3repE0EEENS1_30default_config_static_selectorELNS0_4arch9wavefront6targetE0EEEvT1_
; %bb.0:
	.section	.rodata,"a",@progbits
	.p2align	6, 0x0
	.amdhsa_kernel _ZN7rocprim17ROCPRIM_400000_NS6detail17trampoline_kernelINS0_14default_configENS1_29reduce_by_key_config_selectorIttN6thrust23THRUST_200600_302600_NS4plusItEEEEZZNS1_33reduce_by_key_impl_wrapped_configILNS1_25lookback_scan_determinismE0ES3_S9_NS6_6detail15normal_iteratorINS6_10device_ptrItEEEESG_SG_SG_PmS8_22is_equal_div_10_reduceItEEE10hipError_tPvRmT2_T3_mT4_T5_T6_T7_T8_P12ihipStream_tbENKUlT_T0_E_clISt17integral_constantIbLb1EES11_EEDaSW_SX_EUlSW_E_NS1_11comp_targetILNS1_3genE10ELNS1_11target_archE1200ELNS1_3gpuE4ELNS1_3repE0EEENS1_30default_config_static_selectorELNS0_4arch9wavefront6targetE0EEEvT1_
		.amdhsa_group_segment_fixed_size 0
		.amdhsa_private_segment_fixed_size 0
		.amdhsa_kernarg_size 120
		.amdhsa_user_sgpr_count 15
		.amdhsa_user_sgpr_dispatch_ptr 0
		.amdhsa_user_sgpr_queue_ptr 0
		.amdhsa_user_sgpr_kernarg_segment_ptr 1
		.amdhsa_user_sgpr_dispatch_id 0
		.amdhsa_user_sgpr_private_segment_size 0
		.amdhsa_wavefront_size32 1
		.amdhsa_uses_dynamic_stack 0
		.amdhsa_enable_private_segment 0
		.amdhsa_system_sgpr_workgroup_id_x 1
		.amdhsa_system_sgpr_workgroup_id_y 0
		.amdhsa_system_sgpr_workgroup_id_z 0
		.amdhsa_system_sgpr_workgroup_info 0
		.amdhsa_system_vgpr_workitem_id 0
		.amdhsa_next_free_vgpr 1
		.amdhsa_next_free_sgpr 1
		.amdhsa_reserve_vcc 0
		.amdhsa_float_round_mode_32 0
		.amdhsa_float_round_mode_16_64 0
		.amdhsa_float_denorm_mode_32 3
		.amdhsa_float_denorm_mode_16_64 3
		.amdhsa_dx10_clamp 1
		.amdhsa_ieee_mode 1
		.amdhsa_fp16_overflow 0
		.amdhsa_workgroup_processor_mode 1
		.amdhsa_memory_ordered 1
		.amdhsa_forward_progress 0
		.amdhsa_shared_vgpr_count 0
		.amdhsa_exception_fp_ieee_invalid_op 0
		.amdhsa_exception_fp_denorm_src 0
		.amdhsa_exception_fp_ieee_div_zero 0
		.amdhsa_exception_fp_ieee_overflow 0
		.amdhsa_exception_fp_ieee_underflow 0
		.amdhsa_exception_fp_ieee_inexact 0
		.amdhsa_exception_int_div_zero 0
	.end_amdhsa_kernel
	.section	.text._ZN7rocprim17ROCPRIM_400000_NS6detail17trampoline_kernelINS0_14default_configENS1_29reduce_by_key_config_selectorIttN6thrust23THRUST_200600_302600_NS4plusItEEEEZZNS1_33reduce_by_key_impl_wrapped_configILNS1_25lookback_scan_determinismE0ES3_S9_NS6_6detail15normal_iteratorINS6_10device_ptrItEEEESG_SG_SG_PmS8_22is_equal_div_10_reduceItEEE10hipError_tPvRmT2_T3_mT4_T5_T6_T7_T8_P12ihipStream_tbENKUlT_T0_E_clISt17integral_constantIbLb1EES11_EEDaSW_SX_EUlSW_E_NS1_11comp_targetILNS1_3genE10ELNS1_11target_archE1200ELNS1_3gpuE4ELNS1_3repE0EEENS1_30default_config_static_selectorELNS0_4arch9wavefront6targetE0EEEvT1_,"axG",@progbits,_ZN7rocprim17ROCPRIM_400000_NS6detail17trampoline_kernelINS0_14default_configENS1_29reduce_by_key_config_selectorIttN6thrust23THRUST_200600_302600_NS4plusItEEEEZZNS1_33reduce_by_key_impl_wrapped_configILNS1_25lookback_scan_determinismE0ES3_S9_NS6_6detail15normal_iteratorINS6_10device_ptrItEEEESG_SG_SG_PmS8_22is_equal_div_10_reduceItEEE10hipError_tPvRmT2_T3_mT4_T5_T6_T7_T8_P12ihipStream_tbENKUlT_T0_E_clISt17integral_constantIbLb1EES11_EEDaSW_SX_EUlSW_E_NS1_11comp_targetILNS1_3genE10ELNS1_11target_archE1200ELNS1_3gpuE4ELNS1_3repE0EEENS1_30default_config_static_selectorELNS0_4arch9wavefront6targetE0EEEvT1_,comdat
.Lfunc_end446:
	.size	_ZN7rocprim17ROCPRIM_400000_NS6detail17trampoline_kernelINS0_14default_configENS1_29reduce_by_key_config_selectorIttN6thrust23THRUST_200600_302600_NS4plusItEEEEZZNS1_33reduce_by_key_impl_wrapped_configILNS1_25lookback_scan_determinismE0ES3_S9_NS6_6detail15normal_iteratorINS6_10device_ptrItEEEESG_SG_SG_PmS8_22is_equal_div_10_reduceItEEE10hipError_tPvRmT2_T3_mT4_T5_T6_T7_T8_P12ihipStream_tbENKUlT_T0_E_clISt17integral_constantIbLb1EES11_EEDaSW_SX_EUlSW_E_NS1_11comp_targetILNS1_3genE10ELNS1_11target_archE1200ELNS1_3gpuE4ELNS1_3repE0EEENS1_30default_config_static_selectorELNS0_4arch9wavefront6targetE0EEEvT1_, .Lfunc_end446-_ZN7rocprim17ROCPRIM_400000_NS6detail17trampoline_kernelINS0_14default_configENS1_29reduce_by_key_config_selectorIttN6thrust23THRUST_200600_302600_NS4plusItEEEEZZNS1_33reduce_by_key_impl_wrapped_configILNS1_25lookback_scan_determinismE0ES3_S9_NS6_6detail15normal_iteratorINS6_10device_ptrItEEEESG_SG_SG_PmS8_22is_equal_div_10_reduceItEEE10hipError_tPvRmT2_T3_mT4_T5_T6_T7_T8_P12ihipStream_tbENKUlT_T0_E_clISt17integral_constantIbLb1EES11_EEDaSW_SX_EUlSW_E_NS1_11comp_targetILNS1_3genE10ELNS1_11target_archE1200ELNS1_3gpuE4ELNS1_3repE0EEENS1_30default_config_static_selectorELNS0_4arch9wavefront6targetE0EEEvT1_
                                        ; -- End function
	.section	.AMDGPU.csdata,"",@progbits
; Kernel info:
; codeLenInByte = 0
; NumSgprs: 0
; NumVgprs: 0
; ScratchSize: 0
; MemoryBound: 0
; FloatMode: 240
; IeeeMode: 1
; LDSByteSize: 0 bytes/workgroup (compile time only)
; SGPRBlocks: 0
; VGPRBlocks: 0
; NumSGPRsForWavesPerEU: 1
; NumVGPRsForWavesPerEU: 1
; Occupancy: 16
; WaveLimiterHint : 0
; COMPUTE_PGM_RSRC2:SCRATCH_EN: 0
; COMPUTE_PGM_RSRC2:USER_SGPR: 15
; COMPUTE_PGM_RSRC2:TRAP_HANDLER: 0
; COMPUTE_PGM_RSRC2:TGID_X_EN: 1
; COMPUTE_PGM_RSRC2:TGID_Y_EN: 0
; COMPUTE_PGM_RSRC2:TGID_Z_EN: 0
; COMPUTE_PGM_RSRC2:TIDIG_COMP_CNT: 0
	.section	.text._ZN7rocprim17ROCPRIM_400000_NS6detail17trampoline_kernelINS0_14default_configENS1_29reduce_by_key_config_selectorIttN6thrust23THRUST_200600_302600_NS4plusItEEEEZZNS1_33reduce_by_key_impl_wrapped_configILNS1_25lookback_scan_determinismE0ES3_S9_NS6_6detail15normal_iteratorINS6_10device_ptrItEEEESG_SG_SG_PmS8_22is_equal_div_10_reduceItEEE10hipError_tPvRmT2_T3_mT4_T5_T6_T7_T8_P12ihipStream_tbENKUlT_T0_E_clISt17integral_constantIbLb1EES11_EEDaSW_SX_EUlSW_E_NS1_11comp_targetILNS1_3genE9ELNS1_11target_archE1100ELNS1_3gpuE3ELNS1_3repE0EEENS1_30default_config_static_selectorELNS0_4arch9wavefront6targetE0EEEvT1_,"axG",@progbits,_ZN7rocprim17ROCPRIM_400000_NS6detail17trampoline_kernelINS0_14default_configENS1_29reduce_by_key_config_selectorIttN6thrust23THRUST_200600_302600_NS4plusItEEEEZZNS1_33reduce_by_key_impl_wrapped_configILNS1_25lookback_scan_determinismE0ES3_S9_NS6_6detail15normal_iteratorINS6_10device_ptrItEEEESG_SG_SG_PmS8_22is_equal_div_10_reduceItEEE10hipError_tPvRmT2_T3_mT4_T5_T6_T7_T8_P12ihipStream_tbENKUlT_T0_E_clISt17integral_constantIbLb1EES11_EEDaSW_SX_EUlSW_E_NS1_11comp_targetILNS1_3genE9ELNS1_11target_archE1100ELNS1_3gpuE3ELNS1_3repE0EEENS1_30default_config_static_selectorELNS0_4arch9wavefront6targetE0EEEvT1_,comdat
	.protected	_ZN7rocprim17ROCPRIM_400000_NS6detail17trampoline_kernelINS0_14default_configENS1_29reduce_by_key_config_selectorIttN6thrust23THRUST_200600_302600_NS4plusItEEEEZZNS1_33reduce_by_key_impl_wrapped_configILNS1_25lookback_scan_determinismE0ES3_S9_NS6_6detail15normal_iteratorINS6_10device_ptrItEEEESG_SG_SG_PmS8_22is_equal_div_10_reduceItEEE10hipError_tPvRmT2_T3_mT4_T5_T6_T7_T8_P12ihipStream_tbENKUlT_T0_E_clISt17integral_constantIbLb1EES11_EEDaSW_SX_EUlSW_E_NS1_11comp_targetILNS1_3genE9ELNS1_11target_archE1100ELNS1_3gpuE3ELNS1_3repE0EEENS1_30default_config_static_selectorELNS0_4arch9wavefront6targetE0EEEvT1_ ; -- Begin function _ZN7rocprim17ROCPRIM_400000_NS6detail17trampoline_kernelINS0_14default_configENS1_29reduce_by_key_config_selectorIttN6thrust23THRUST_200600_302600_NS4plusItEEEEZZNS1_33reduce_by_key_impl_wrapped_configILNS1_25lookback_scan_determinismE0ES3_S9_NS6_6detail15normal_iteratorINS6_10device_ptrItEEEESG_SG_SG_PmS8_22is_equal_div_10_reduceItEEE10hipError_tPvRmT2_T3_mT4_T5_T6_T7_T8_P12ihipStream_tbENKUlT_T0_E_clISt17integral_constantIbLb1EES11_EEDaSW_SX_EUlSW_E_NS1_11comp_targetILNS1_3genE9ELNS1_11target_archE1100ELNS1_3gpuE3ELNS1_3repE0EEENS1_30default_config_static_selectorELNS0_4arch9wavefront6targetE0EEEvT1_
	.globl	_ZN7rocprim17ROCPRIM_400000_NS6detail17trampoline_kernelINS0_14default_configENS1_29reduce_by_key_config_selectorIttN6thrust23THRUST_200600_302600_NS4plusItEEEEZZNS1_33reduce_by_key_impl_wrapped_configILNS1_25lookback_scan_determinismE0ES3_S9_NS6_6detail15normal_iteratorINS6_10device_ptrItEEEESG_SG_SG_PmS8_22is_equal_div_10_reduceItEEE10hipError_tPvRmT2_T3_mT4_T5_T6_T7_T8_P12ihipStream_tbENKUlT_T0_E_clISt17integral_constantIbLb1EES11_EEDaSW_SX_EUlSW_E_NS1_11comp_targetILNS1_3genE9ELNS1_11target_archE1100ELNS1_3gpuE3ELNS1_3repE0EEENS1_30default_config_static_selectorELNS0_4arch9wavefront6targetE0EEEvT1_
	.p2align	8
	.type	_ZN7rocprim17ROCPRIM_400000_NS6detail17trampoline_kernelINS0_14default_configENS1_29reduce_by_key_config_selectorIttN6thrust23THRUST_200600_302600_NS4plusItEEEEZZNS1_33reduce_by_key_impl_wrapped_configILNS1_25lookback_scan_determinismE0ES3_S9_NS6_6detail15normal_iteratorINS6_10device_ptrItEEEESG_SG_SG_PmS8_22is_equal_div_10_reduceItEEE10hipError_tPvRmT2_T3_mT4_T5_T6_T7_T8_P12ihipStream_tbENKUlT_T0_E_clISt17integral_constantIbLb1EES11_EEDaSW_SX_EUlSW_E_NS1_11comp_targetILNS1_3genE9ELNS1_11target_archE1100ELNS1_3gpuE3ELNS1_3repE0EEENS1_30default_config_static_selectorELNS0_4arch9wavefront6targetE0EEEvT1_,@function
_ZN7rocprim17ROCPRIM_400000_NS6detail17trampoline_kernelINS0_14default_configENS1_29reduce_by_key_config_selectorIttN6thrust23THRUST_200600_302600_NS4plusItEEEEZZNS1_33reduce_by_key_impl_wrapped_configILNS1_25lookback_scan_determinismE0ES3_S9_NS6_6detail15normal_iteratorINS6_10device_ptrItEEEESG_SG_SG_PmS8_22is_equal_div_10_reduceItEEE10hipError_tPvRmT2_T3_mT4_T5_T6_T7_T8_P12ihipStream_tbENKUlT_T0_E_clISt17integral_constantIbLb1EES11_EEDaSW_SX_EUlSW_E_NS1_11comp_targetILNS1_3genE9ELNS1_11target_archE1100ELNS1_3gpuE3ELNS1_3repE0EEENS1_30default_config_static_selectorELNS0_4arch9wavefront6targetE0EEEvT1_: ; @_ZN7rocprim17ROCPRIM_400000_NS6detail17trampoline_kernelINS0_14default_configENS1_29reduce_by_key_config_selectorIttN6thrust23THRUST_200600_302600_NS4plusItEEEEZZNS1_33reduce_by_key_impl_wrapped_configILNS1_25lookback_scan_determinismE0ES3_S9_NS6_6detail15normal_iteratorINS6_10device_ptrItEEEESG_SG_SG_PmS8_22is_equal_div_10_reduceItEEE10hipError_tPvRmT2_T3_mT4_T5_T6_T7_T8_P12ihipStream_tbENKUlT_T0_E_clISt17integral_constantIbLb1EES11_EEDaSW_SX_EUlSW_E_NS1_11comp_targetILNS1_3genE9ELNS1_11target_archE1100ELNS1_3gpuE3ELNS1_3repE0EEENS1_30default_config_static_selectorELNS0_4arch9wavefront6targetE0EEEvT1_
; %bb.0:
	s_clause 0x4
	s_load_b256 s[12:19], s[0:1], 0x0
	s_load_b128 s[28:31], s[0:1], 0x20
	s_load_b256 s[20:27], s[0:1], 0x38
	s_load_b64 s[34:35], s[0:1], 0x68
	s_load_b128 s[36:39], s[0:1], 0x58
	v_cmp_ne_u32_e64 s3, 0, v0
	v_cmp_eq_u32_e64 s2, 0, v0
	s_delay_alu instid0(VALU_DEP_1)
	s_and_saveexec_b32 s4, s2
	s_cbranch_execz .LBB447_4
; %bb.1:
	s_mov_b32 s6, exec_lo
	s_mov_b32 s5, exec_lo
	v_mbcnt_lo_u32_b32 v1, s6, 0
                                        ; implicit-def: $vgpr2
	s_delay_alu instid0(VALU_DEP_1)
	v_cmpx_eq_u32_e32 0, v1
	s_cbranch_execz .LBB447_3
; %bb.2:
	s_load_b64 s[0:1], s[0:1], 0x70
	s_bcnt1_i32_b32 s6, s6
	s_delay_alu instid0(SALU_CYCLE_1)
	v_dual_mov_b32 v2, 0 :: v_dual_mov_b32 v3, s6
	s_waitcnt lgkmcnt(0)
	global_atomic_add_u32 v2, v2, v3, s[0:1] glc
.LBB447_3:
	s_or_b32 exec_lo, exec_lo, s5
	s_waitcnt vmcnt(0)
	v_readfirstlane_b32 s0, v2
	s_delay_alu instid0(VALU_DEP_1)
	v_dual_mov_b32 v2, 0 :: v_dual_add_nc_u32 v1, s0, v1
	ds_store_b32 v2, v1
.LBB447_4:
	s_or_b32 exec_lo, exec_lo, s4
	v_mov_b32_e32 v2, 0
	s_waitcnt lgkmcnt(0)
	s_barrier
	buffer_gl0_inv
	s_lshl_b64 s[4:5], s[14:15], 1
	ds_load_b32 v1, v2
	s_add_u32 s9, s12, s4
	s_mul_i32 s1, s24, s23
	s_mul_hi_u32 s6, s24, s22
	s_addc_u32 s10, s13, s5
	s_add_u32 s11, s16, s4
	s_mul_i32 s7, s25, s22
	s_addc_u32 s12, s17, s5
	s_add_i32 s1, s6, s1
	s_mul_i32 s8, s24, s22
	s_add_i32 s1, s1, s7
	s_mov_b32 s0, 0
	s_waitcnt lgkmcnt(0)
	s_barrier
	buffer_gl0_inv
	v_readfirstlane_b32 s33, v1
	v_mul_lo_u32 v1, 0xf00, v1
	s_delay_alu instid0(VALU_DEP_2) | instskip(SKIP_3) | instid1(VALU_DEP_1)
	s_add_u32 s24, s8, s33
	s_addc_u32 s25, s1, 0
	s_add_u32 s4, s26, -1
	s_addc_u32 s5, s27, -1
	v_lshlrev_b64 v[1:2], 1, v[1:2]
	s_cmp_eq_u64 s[24:25], s[4:5]
	s_mul_i32 s26, s4, 0xfffff100
	s_cselect_b32 s17, -1, 0
	s_cmp_lg_u64 s[24:25], s[4:5]
	s_delay_alu instid0(VALU_DEP_1)
	v_add_co_u32 v5, vcc_lo, s9, v1
	v_add_co_ci_u32_e32 v6, vcc_lo, s10, v2, vcc_lo
	v_add_co_u32 v7, vcc_lo, s11, v1
	v_add_co_ci_u32_e32 v8, vcc_lo, s12, v2, vcc_lo
	s_cselect_b32 s40, -1, 0
	s_and_b32 vcc_lo, exec_lo, s17
	s_cbranch_vccnz .LBB447_6
; %bb.5:
	v_lshlrev_b32_e32 v17, 1, v0
	s_delay_alu instid0(VALU_DEP_1) | instskip(SKIP_2) | instid1(VALU_DEP_3)
	v_add_co_u32 v1, vcc_lo, v5, v17
	v_add_co_ci_u32_e32 v2, vcc_lo, 0, v6, vcc_lo
	v_mad_u32_u24 v9, v0, 28, v17
	v_add_co_u32 v3, vcc_lo, 0x1000, v1
	s_delay_alu instid0(VALU_DEP_3)
	v_add_co_ci_u32_e32 v4, vcc_lo, 0, v2, vcc_lo
	s_clause 0xe
	flat_load_u16 v10, v[1:2]
	flat_load_u16 v11, v[1:2] offset:512
	flat_load_u16 v12, v[1:2] offset:1024
	;; [unrolled: 1-line block ×7, first 2 shown]
	flat_load_u16 v2, v[3:4]
	flat_load_u16 v22, v[3:4] offset:512
	flat_load_u16 v23, v[3:4] offset:1024
	;; [unrolled: 1-line block ×6, first 2 shown]
	v_add_co_u32 v13, vcc_lo, v7, v17
	v_add_co_ci_u32_e32 v14, vcc_lo, 0, v8, vcc_lo
	s_waitcnt vmcnt(14) lgkmcnt(14)
	ds_store_b16 v17, v10
	s_waitcnt vmcnt(13) lgkmcnt(14)
	ds_store_b16 v17, v11 offset:512
	s_waitcnt vmcnt(12) lgkmcnt(14)
	ds_store_b16 v17, v12 offset:1024
	s_waitcnt vmcnt(11) lgkmcnt(14)
	ds_store_b16 v17, v18 offset:1536
	s_waitcnt vmcnt(10) lgkmcnt(14)
	ds_store_b16 v17, v19 offset:2048
	s_waitcnt vmcnt(9) lgkmcnt(14)
	ds_store_b16 v17, v20 offset:2560
	s_waitcnt vmcnt(8) lgkmcnt(14)
	ds_store_b16 v17, v21 offset:3072
	s_waitcnt vmcnt(7) lgkmcnt(14)
	ds_store_b16 v17, v1 offset:3584
	s_waitcnt vmcnt(6) lgkmcnt(14)
	ds_store_b16 v17, v2 offset:4096
	s_waitcnt vmcnt(5) lgkmcnt(14)
	ds_store_b16 v17, v22 offset:4608
	s_waitcnt vmcnt(4) lgkmcnt(14)
	ds_store_b16 v17, v23 offset:5120
	s_waitcnt vmcnt(3) lgkmcnt(14)
	ds_store_b16 v17, v24 offset:5632
	s_waitcnt vmcnt(2) lgkmcnt(14)
	ds_store_b16 v17, v25 offset:6144
	s_waitcnt vmcnt(1) lgkmcnt(14)
	ds_store_b16 v17, v26 offset:6656
	s_waitcnt vmcnt(0) lgkmcnt(14)
	ds_store_b16 v17, v3 offset:7168
	v_add_co_u32 v15, vcc_lo, 0x1000, v13
	v_add_co_ci_u32_e32 v16, vcc_lo, 0, v14, vcc_lo
	s_waitcnt lgkmcnt(0)
	s_barrier
	buffer_gl0_inv
	ds_load_u16 v62, v9
	ds_load_b128 v[1:4], v9 offset:2
	ds_load_b96 v[10:12], v9 offset:18
	s_waitcnt lgkmcnt(0)
	s_barrier
	buffer_gl0_inv
	s_clause 0xe
	flat_load_u16 v18, v[13:14]
	flat_load_u16 v19, v[13:14] offset:512
	flat_load_u16 v20, v[13:14] offset:1024
	;; [unrolled: 1-line block ×7, first 2 shown]
	flat_load_u16 v25, v[15:16]
	flat_load_u16 v26, v[15:16] offset:512
	flat_load_u16 v27, v[15:16] offset:1024
	;; [unrolled: 1-line block ×6, first 2 shown]
	v_mul_u32_u24_e32 v14, 15, v0
	s_waitcnt vmcnt(14) lgkmcnt(14)
	ds_store_b16 v17, v18
	s_waitcnt vmcnt(13) lgkmcnt(14)
	ds_store_b16 v17, v19 offset:512
	s_waitcnt vmcnt(12) lgkmcnt(14)
	ds_store_b16 v17, v20 offset:1024
	;; [unrolled: 2-line block ×14, first 2 shown]
	s_waitcnt lgkmcnt(0)
	s_barrier
	s_and_not1_b32 vcc_lo, exec_lo, s0
	s_add_i32 s26, s26, s36
	s_cbranch_vccz .LBB447_7
	s_branch .LBB447_54
.LBB447_6:
                                        ; implicit-def: $vgpr1
                                        ; implicit-def: $vgpr10
                                        ; implicit-def: $vgpr14
                                        ; implicit-def: $vgpr9
                                        ; implicit-def: $vgpr62
	s_add_i32 s26, s26, s36
.LBB447_7:
	s_delay_alu instid0(SALU_CYCLE_1)
	v_cmp_gt_u32_e32 vcc_lo, s26, v0
                                        ; implicit-def: $vgpr1
	s_and_saveexec_b32 s1, vcc_lo
	s_cbranch_execz .LBB447_9
; %bb.8:
	v_lshlrev_b32_e32 v1, 1, v0
	s_delay_alu instid0(VALU_DEP_1) | instskip(NEXT) | instid1(VALU_DEP_1)
	v_add_co_u32 v1, s0, v5, v1
	v_add_co_ci_u32_e64 v2, s0, 0, v6, s0
	flat_load_u16 v1, v[1:2]
.LBB447_9:
	s_or_b32 exec_lo, exec_lo, s1
	v_or_b32_e32 v2, 0x100, v0
	s_delay_alu instid0(VALU_DEP_1) | instskip(NEXT) | instid1(VALU_DEP_1)
	v_cmp_gt_u32_e64 s0, s26, v2
                                        ; implicit-def: $vgpr2
	s_and_saveexec_b32 s4, s0
	s_cbranch_execz .LBB447_11
; %bb.10:
	v_lshlrev_b32_e32 v2, 1, v0
	s_delay_alu instid0(VALU_DEP_1) | instskip(NEXT) | instid1(VALU_DEP_1)
	v_add_co_u32 v2, s1, v5, v2
	v_add_co_ci_u32_e64 v3, s1, 0, v6, s1
	flat_load_u16 v2, v[2:3] offset:512
.LBB447_11:
	s_or_b32 exec_lo, exec_lo, s4
	v_or_b32_e32 v3, 0x200, v0
	s_delay_alu instid0(VALU_DEP_1) | instskip(NEXT) | instid1(VALU_DEP_1)
	v_cmp_gt_u32_e64 s1, s26, v3
                                        ; implicit-def: $vgpr3
	s_and_saveexec_b32 s5, s1
	s_cbranch_execz .LBB447_13
; %bb.12:
	v_lshlrev_b32_e32 v3, 1, v0
	s_delay_alu instid0(VALU_DEP_1) | instskip(NEXT) | instid1(VALU_DEP_1)
	v_add_co_u32 v3, s4, v5, v3
	v_add_co_ci_u32_e64 v4, s4, 0, v6, s4
	flat_load_u16 v3, v[3:4] offset:1024
.LBB447_13:
	s_or_b32 exec_lo, exec_lo, s5
	v_or_b32_e32 v4, 0x300, v0
	s_delay_alu instid0(VALU_DEP_1) | instskip(NEXT) | instid1(VALU_DEP_1)
	v_cmp_gt_u32_e64 s4, s26, v4
                                        ; implicit-def: $vgpr4
	s_and_saveexec_b32 s6, s4
	s_cbranch_execz .LBB447_15
; %bb.14:
	v_lshlrev_b32_e32 v4, 1, v0
	s_delay_alu instid0(VALU_DEP_1) | instskip(NEXT) | instid1(VALU_DEP_1)
	v_add_co_u32 v9, s5, v5, v4
	v_add_co_ci_u32_e64 v10, s5, 0, v6, s5
	flat_load_u16 v4, v[9:10] offset:1536
.LBB447_15:
	s_or_b32 exec_lo, exec_lo, s6
	v_or_b32_e32 v9, 0x400, v0
	s_delay_alu instid0(VALU_DEP_1) | instskip(NEXT) | instid1(VALU_DEP_1)
	v_cmp_gt_u32_e64 s5, s26, v9
                                        ; implicit-def: $vgpr9
	s_and_saveexec_b32 s7, s5
	s_cbranch_execz .LBB447_17
; %bb.16:
	v_lshlrev_b32_e32 v9, 1, v0
	s_delay_alu instid0(VALU_DEP_1) | instskip(NEXT) | instid1(VALU_DEP_1)
	v_add_co_u32 v9, s6, v5, v9
	v_add_co_ci_u32_e64 v10, s6, 0, v6, s6
	flat_load_u16 v9, v[9:10] offset:2048
.LBB447_17:
	s_or_b32 exec_lo, exec_lo, s7
	v_or_b32_e32 v10, 0x500, v0
	s_delay_alu instid0(VALU_DEP_1) | instskip(NEXT) | instid1(VALU_DEP_1)
	v_cmp_gt_u32_e64 s6, s26, v10
                                        ; implicit-def: $vgpr10
	s_and_saveexec_b32 s8, s6
	s_cbranch_execz .LBB447_19
; %bb.18:
	v_lshlrev_b32_e32 v10, 1, v0
	s_delay_alu instid0(VALU_DEP_1) | instskip(NEXT) | instid1(VALU_DEP_1)
	v_add_co_u32 v10, s7, v5, v10
	v_add_co_ci_u32_e64 v11, s7, 0, v6, s7
	flat_load_u16 v10, v[10:11] offset:2560
.LBB447_19:
	s_or_b32 exec_lo, exec_lo, s8
	v_or_b32_e32 v11, 0x600, v0
	s_delay_alu instid0(VALU_DEP_1) | instskip(NEXT) | instid1(VALU_DEP_1)
	v_cmp_gt_u32_e64 s7, s26, v11
                                        ; implicit-def: $vgpr11
	s_and_saveexec_b32 s9, s7
	s_cbranch_execz .LBB447_21
; %bb.20:
	v_lshlrev_b32_e32 v11, 1, v0
	s_delay_alu instid0(VALU_DEP_1) | instskip(NEXT) | instid1(VALU_DEP_1)
	v_add_co_u32 v11, s8, v5, v11
	v_add_co_ci_u32_e64 v12, s8, 0, v6, s8
	flat_load_u16 v11, v[11:12] offset:3072
.LBB447_21:
	s_or_b32 exec_lo, exec_lo, s9
	v_or_b32_e32 v12, 0x700, v0
	s_delay_alu instid0(VALU_DEP_1) | instskip(NEXT) | instid1(VALU_DEP_1)
	v_cmp_gt_u32_e64 s8, s26, v12
                                        ; implicit-def: $vgpr12
	s_and_saveexec_b32 s10, s8
	s_cbranch_execz .LBB447_23
; %bb.22:
	v_lshlrev_b32_e32 v12, 1, v0
	s_delay_alu instid0(VALU_DEP_1) | instskip(NEXT) | instid1(VALU_DEP_1)
	v_add_co_u32 v12, s9, v5, v12
	v_add_co_ci_u32_e64 v13, s9, 0, v6, s9
	flat_load_u16 v12, v[12:13] offset:3584
.LBB447_23:
	s_or_b32 exec_lo, exec_lo, s10
	v_or_b32_e32 v14, 0x800, v0
                                        ; implicit-def: $vgpr21
	s_delay_alu instid0(VALU_DEP_1) | instskip(NEXT) | instid1(VALU_DEP_1)
	v_cmp_gt_u32_e64 s9, s26, v14
	s_and_saveexec_b32 s11, s9
	s_cbranch_execz .LBB447_25
; %bb.24:
	v_lshlrev_b32_e32 v13, 1, v14
	s_delay_alu instid0(VALU_DEP_1) | instskip(NEXT) | instid1(VALU_DEP_1)
	v_add_co_u32 v15, s10, v5, v13
	v_add_co_ci_u32_e64 v16, s10, 0, v6, s10
	flat_load_u16 v21, v[15:16]
.LBB447_25:
	s_or_b32 exec_lo, exec_lo, s11
	v_or_b32_e32 v15, 0x900, v0
                                        ; implicit-def: $vgpr22
	s_delay_alu instid0(VALU_DEP_1) | instskip(NEXT) | instid1(VALU_DEP_1)
	v_cmp_gt_u32_e64 s10, s26, v15
	s_and_saveexec_b32 s12, s10
	s_cbranch_execz .LBB447_27
; %bb.26:
	v_lshlrev_b32_e32 v13, 1, v15
	s_delay_alu instid0(VALU_DEP_1) | instskip(NEXT) | instid1(VALU_DEP_1)
	v_add_co_u32 v16, s11, v5, v13
	v_add_co_ci_u32_e64 v17, s11, 0, v6, s11
	flat_load_u16 v22, v[16:17]
.LBB447_27:
	s_or_b32 exec_lo, exec_lo, s12
	v_or_b32_e32 v16, 0xa00, v0
                                        ; implicit-def: $vgpr23
	s_delay_alu instid0(VALU_DEP_1) | instskip(NEXT) | instid1(VALU_DEP_1)
	v_cmp_gt_u32_e64 s11, s26, v16
	s_and_saveexec_b32 s13, s11
	s_cbranch_execz .LBB447_29
; %bb.28:
	v_lshlrev_b32_e32 v13, 1, v16
	s_delay_alu instid0(VALU_DEP_1) | instskip(NEXT) | instid1(VALU_DEP_1)
	v_add_co_u32 v17, s12, v5, v13
	v_add_co_ci_u32_e64 v18, s12, 0, v6, s12
	flat_load_u16 v23, v[17:18]
.LBB447_29:
	s_or_b32 exec_lo, exec_lo, s13
	v_or_b32_e32 v17, 0xb00, v0
                                        ; implicit-def: $vgpr24
	s_delay_alu instid0(VALU_DEP_1) | instskip(NEXT) | instid1(VALU_DEP_1)
	v_cmp_gt_u32_e64 s12, s26, v17
	s_and_saveexec_b32 s14, s12
	s_cbranch_execz .LBB447_31
; %bb.30:
	v_lshlrev_b32_e32 v13, 1, v17
	s_delay_alu instid0(VALU_DEP_1) | instskip(NEXT) | instid1(VALU_DEP_1)
	v_add_co_u32 v18, s13, v5, v13
	v_add_co_ci_u32_e64 v19, s13, 0, v6, s13
	flat_load_u16 v24, v[18:19]
.LBB447_31:
	s_or_b32 exec_lo, exec_lo, s14
	v_or_b32_e32 v18, 0xc00, v0
                                        ; implicit-def: $vgpr25
	s_delay_alu instid0(VALU_DEP_1) | instskip(NEXT) | instid1(VALU_DEP_1)
	v_cmp_gt_u32_e64 s13, s26, v18
	s_and_saveexec_b32 s15, s13
	s_cbranch_execz .LBB447_33
; %bb.32:
	v_lshlrev_b32_e32 v13, 1, v18
	s_delay_alu instid0(VALU_DEP_1) | instskip(NEXT) | instid1(VALU_DEP_1)
	v_add_co_u32 v19, s14, v5, v13
	v_add_co_ci_u32_e64 v20, s14, 0, v6, s14
	flat_load_u16 v25, v[19:20]
.LBB447_33:
	s_or_b32 exec_lo, exec_lo, s15
	v_or_b32_e32 v19, 0xd00, v0
                                        ; implicit-def: $vgpr26
	s_delay_alu instid0(VALU_DEP_1) | instskip(NEXT) | instid1(VALU_DEP_1)
	v_cmp_gt_u32_e64 s14, s26, v19
	s_and_saveexec_b32 s16, s14
	s_cbranch_execz .LBB447_35
; %bb.34:
	v_lshlrev_b32_e32 v13, 1, v19
	s_delay_alu instid0(VALU_DEP_1) | instskip(NEXT) | instid1(VALU_DEP_1)
	v_add_co_u32 v26, s15, v5, v13
	v_add_co_ci_u32_e64 v27, s15, 0, v6, s15
	flat_load_u16 v26, v[26:27]
.LBB447_35:
	s_or_b32 exec_lo, exec_lo, s16
	v_or_b32_e32 v20, 0xe00, v0
                                        ; implicit-def: $vgpr27
	s_delay_alu instid0(VALU_DEP_1) | instskip(NEXT) | instid1(VALU_DEP_1)
	v_cmp_gt_u32_e64 s15, s26, v20
	s_and_saveexec_b32 s27, s15
	s_cbranch_execz .LBB447_37
; %bb.36:
	v_lshlrev_b32_e32 v13, 1, v20
	s_delay_alu instid0(VALU_DEP_1) | instskip(NEXT) | instid1(VALU_DEP_1)
	v_add_co_u32 v27, s16, v5, v13
	v_add_co_ci_u32_e64 v28, s16, 0, v6, s16
	flat_load_u16 v27, v[27:28]
.LBB447_37:
	s_or_b32 exec_lo, exec_lo, s27
	v_lshlrev_b32_e32 v13, 1, v0
	s_waitcnt vmcnt(0) lgkmcnt(0)
	ds_store_b16 v13, v1
	ds_store_b16 v13, v2 offset:512
	ds_store_b16 v13, v3 offset:1024
	;; [unrolled: 1-line block ×7, first 2 shown]
	v_mad_u32_u24 v9, v0, 28, v13
	ds_store_b16 v13, v21 offset:4096
	ds_store_b16 v13, v22 offset:4608
	;; [unrolled: 1-line block ×7, first 2 shown]
	s_waitcnt lgkmcnt(0)
	s_barrier
	buffer_gl0_inv
	ds_load_u16 v62, v9
	ds_load_b128 v[1:4], v9 offset:2
	ds_load_b96 v[10:12], v9 offset:18
	s_waitcnt lgkmcnt(0)
	s_barrier
	buffer_gl0_inv
                                        ; implicit-def: $vgpr21
	s_and_saveexec_b32 s16, vcc_lo
	s_cbranch_execnz .LBB447_61
; %bb.38:
	s_or_b32 exec_lo, exec_lo, s16
                                        ; implicit-def: $vgpr22
	s_and_saveexec_b32 s16, s0
	s_cbranch_execnz .LBB447_62
.LBB447_39:
	s_or_b32 exec_lo, exec_lo, s16
                                        ; implicit-def: $vgpr23
	s_and_saveexec_b32 s0, s1
	s_cbranch_execnz .LBB447_63
.LBB447_40:
	s_or_b32 exec_lo, exec_lo, s0
                                        ; implicit-def: $vgpr24
	s_and_saveexec_b32 s0, s4
	s_cbranch_execnz .LBB447_64
.LBB447_41:
	s_or_b32 exec_lo, exec_lo, s0
                                        ; implicit-def: $vgpr25
	s_and_saveexec_b32 s0, s5
	s_cbranch_execnz .LBB447_65
.LBB447_42:
	s_or_b32 exec_lo, exec_lo, s0
                                        ; implicit-def: $vgpr26
	s_and_saveexec_b32 s0, s6
	s_cbranch_execnz .LBB447_66
.LBB447_43:
	s_or_b32 exec_lo, exec_lo, s0
                                        ; implicit-def: $vgpr27
	s_and_saveexec_b32 s0, s7
	s_cbranch_execnz .LBB447_67
.LBB447_44:
	s_or_b32 exec_lo, exec_lo, s0
                                        ; implicit-def: $vgpr28
	s_and_saveexec_b32 s0, s8
	s_cbranch_execnz .LBB447_68
.LBB447_45:
	s_or_b32 exec_lo, exec_lo, s0
                                        ; implicit-def: $vgpr29
	s_and_saveexec_b32 s0, s9
	s_cbranch_execnz .LBB447_69
.LBB447_46:
	s_or_b32 exec_lo, exec_lo, s0
                                        ; implicit-def: $vgpr30
	s_and_saveexec_b32 s0, s10
	s_cbranch_execnz .LBB447_70
.LBB447_47:
	s_or_b32 exec_lo, exec_lo, s0
                                        ; implicit-def: $vgpr15
	s_and_saveexec_b32 s0, s11
	s_cbranch_execnz .LBB447_71
.LBB447_48:
	s_or_b32 exec_lo, exec_lo, s0
                                        ; implicit-def: $vgpr16
	s_and_saveexec_b32 s0, s12
	s_cbranch_execnz .LBB447_72
.LBB447_49:
	s_or_b32 exec_lo, exec_lo, s0
                                        ; implicit-def: $vgpr17
	s_and_saveexec_b32 s0, s13
	s_cbranch_execnz .LBB447_73
.LBB447_50:
	s_or_b32 exec_lo, exec_lo, s0
                                        ; implicit-def: $vgpr18
	s_and_saveexec_b32 s0, s14
	s_cbranch_execnz .LBB447_74
.LBB447_51:
	s_or_b32 exec_lo, exec_lo, s0
                                        ; implicit-def: $vgpr19
	s_and_saveexec_b32 s0, s15
	s_cbranch_execz .LBB447_53
.LBB447_52:
	v_lshlrev_b32_e32 v14, 1, v20
	s_delay_alu instid0(VALU_DEP_1)
	v_add_co_u32 v7, vcc_lo, v7, v14
	v_add_co_ci_u32_e32 v8, vcc_lo, 0, v8, vcc_lo
	flat_load_u16 v19, v[7:8]
.LBB447_53:
	s_or_b32 exec_lo, exec_lo, s0
	v_mul_u32_u24_e32 v14, 15, v0
	s_waitcnt vmcnt(0) lgkmcnt(0)
	ds_store_b16 v13, v21
	ds_store_b16 v13, v22 offset:512
	ds_store_b16 v13, v23 offset:1024
	;; [unrolled: 1-line block ×14, first 2 shown]
	s_waitcnt lgkmcnt(0)
	s_barrier
.LBB447_54:
	v_lshlrev_b32_e32 v7, 1, v14
	buffer_gl0_inv
	ds_load_u16 v73, v9
	ds_load_u16 v72, v9 offset:2
	ds_load_u16 v70, v9 offset:6
	;; [unrolled: 1-line block ×14, first 2 shown]
	s_cmp_eq_u64 s[24:25], 0
	s_waitcnt lgkmcnt(0)
	s_cselect_b32 s27, -1, 0
	s_cmp_lg_u64 s[24:25], 0
	s_barrier
	s_cselect_b32 s16, -1, 0
	s_and_b32 vcc_lo, exec_lo, s40
	buffer_gl0_inv
	s_cbranch_vccz .LBB447_60
; %bb.55:
	s_and_b32 vcc_lo, exec_lo, s16
	s_cbranch_vccz .LBB447_75
; %bb.56:
	v_add_co_u32 v7, vcc_lo, -2, v5
	v_add_co_ci_u32_e32 v8, vcc_lo, -1, v6, vcc_lo
	v_lshrrev_b32_e32 v13, 16, v12
	v_lshrrev_b32_e32 v9, 16, v11
	v_and_b32_e32 v14, 0xffff, v11
	flat_load_u16 v7, v[7:8]
	v_and_b32_e32 v8, 0xffff, v12
	v_lshrrev_b32_e32 v15, 16, v10
	v_mul_u32_u24_e32 v16, 0xcccd, v13
	v_mul_u32_u24_e32 v9, 0xcccd, v9
	;; [unrolled: 1-line block ×5, first 2 shown]
	v_lshrrev_b32_e32 v16, 19, v16
	v_lshrrev_b32_e32 v9, 19, v9
	;; [unrolled: 1-line block ×5, first 2 shown]
	v_and_b32_e32 v18, 0xffff, v3
	v_lshlrev_b32_e32 v8, 1, v0
	v_cmp_ne_u16_e32 vcc_lo, v14, v9
	v_cmp_ne_u16_e64 s1, v17, v16
	v_cmp_ne_u16_e64 s4, v9, v17
	;; [unrolled: 1-line block ×3, first 2 shown]
	v_and_b32_e32 v9, 0xffff, v10
	v_lshrrev_b32_e32 v14, 16, v4
	v_and_b32_e32 v16, 0xffff, v4
	v_lshrrev_b32_e32 v17, 16, v3
	v_mul_u32_u24_e32 v18, 0xcccd, v18
	v_mul_u32_u24_e32 v9, 0xcccd, v9
	;; [unrolled: 1-line block ×5, first 2 shown]
	v_lshrrev_b32_e32 v18, 19, v18
	v_lshrrev_b32_e32 v9, 19, v9
	;; [unrolled: 1-line block ×5, first 2 shown]
	s_mov_b32 s15, -1
	v_cmp_ne_u16_e64 s8, v9, v15
	v_cmp_ne_u16_e64 s9, v14, v9
	;; [unrolled: 1-line block ×5, first 2 shown]
	v_lshrrev_b32_e32 v9, 16, v2
	v_and_b32_e32 v14, 0xffff, v2
	v_lshrrev_b32_e32 v15, 16, v1
	v_and_b32_e32 v16, 0xffff, v1
	v_and_b32_e32 v17, 0xffff, v62
	v_mul_u32_u24_e32 v9, 0xcccd, v9
	v_mul_u32_u24_e32 v14, 0xcccd, v14
	;; [unrolled: 1-line block ×5, first 2 shown]
	v_lshrrev_b32_e32 v19, 19, v9
	v_lshrrev_b32_e32 v14, 19, v14
	;; [unrolled: 1-line block ×5, first 2 shown]
	v_cmp_ne_u16_e64 s14, v19, v18
	v_cmp_ne_u16_e64 s10, v14, v19
	;; [unrolled: 1-line block ×5, first 2 shown]
	ds_store_b16 v8, v13
	s_waitcnt vmcnt(0) lgkmcnt(0)
	s_barrier
	buffer_gl0_inv
	s_and_saveexec_b32 s40, s3
	s_cbranch_execz .LBB447_58
; %bb.57:
	v_add_nc_u32_e32 v7, -2, v8
	ds_load_u16 v7, v7
.LBB447_58:
	s_or_b32 exec_lo, exec_lo, s40
	s_waitcnt lgkmcnt(0)
	v_and_b32_e32 v7, 0xffff, v7
	v_cndmask_b32_e64 v61, 0, 1, s1
	v_cndmask_b32_e64 v14, 0, 1, s4
	v_cndmask_b32_e64 v13, 0, 1, vcc_lo
	v_cndmask_b32_e64 v16, 0, 1, s0
	v_mul_u32_u24_e32 v7, 0xcccd, v7
	v_cndmask_b32_e64 v15, 0, 1, s8
	v_cndmask_b32_e64 v18, 0, 1, s9
	;; [unrolled: 1-line block ×4, first 2 shown]
	v_lshrrev_b32_e32 v7, 19, v7
	v_cndmask_b32_e64 v19, 0, 1, s7
	v_cndmask_b32_e64 v22, 0, 1, s14
	;; [unrolled: 1-line block ×6, first 2 shown]
	v_cmp_ne_u16_e64 s4, v7, v9
.LBB447_59:
                                        ; implicit-def: $sgpr0
	s_branch .LBB447_114
.LBB447_60:
	s_mov_b32 s15, 0
                                        ; implicit-def: $sgpr4
                                        ; implicit-def: $vgpr61
                                        ; implicit-def: $vgpr14
                                        ; implicit-def: $vgpr13
                                        ; implicit-def: $vgpr16
                                        ; implicit-def: $vgpr15
                                        ; implicit-def: $vgpr18
                                        ; implicit-def: $vgpr17
                                        ; implicit-def: $vgpr20
                                        ; implicit-def: $vgpr19
                                        ; implicit-def: $vgpr22
                                        ; implicit-def: $vgpr21
                                        ; implicit-def: $vgpr24
                                        ; implicit-def: $vgpr23
                                        ; implicit-def: $vgpr26
                                        ; implicit-def: $sgpr0
	s_cbranch_execnz .LBB447_79
	s_branch .LBB447_114
.LBB447_61:
	v_add_co_u32 v21, vcc_lo, v7, v13
	v_add_co_ci_u32_e32 v22, vcc_lo, 0, v8, vcc_lo
	flat_load_u16 v21, v[21:22]
	s_or_b32 exec_lo, exec_lo, s16
                                        ; implicit-def: $vgpr22
	s_and_saveexec_b32 s16, s0
	s_cbranch_execz .LBB447_39
.LBB447_62:
	v_add_co_u32 v22, vcc_lo, v7, v13
	v_add_co_ci_u32_e32 v23, vcc_lo, 0, v8, vcc_lo
	flat_load_u16 v22, v[22:23] offset:512
	s_or_b32 exec_lo, exec_lo, s16
                                        ; implicit-def: $vgpr23
	s_and_saveexec_b32 s0, s1
	s_cbranch_execz .LBB447_40
.LBB447_63:
	v_add_co_u32 v23, vcc_lo, v7, v13
	v_add_co_ci_u32_e32 v24, vcc_lo, 0, v8, vcc_lo
	flat_load_u16 v23, v[23:24] offset:1024
	s_or_b32 exec_lo, exec_lo, s0
                                        ; implicit-def: $vgpr24
	s_and_saveexec_b32 s0, s4
	s_cbranch_execz .LBB447_41
.LBB447_64:
	v_add_co_u32 v24, vcc_lo, v7, v13
	v_add_co_ci_u32_e32 v25, vcc_lo, 0, v8, vcc_lo
	flat_load_u16 v24, v[24:25] offset:1536
	s_or_b32 exec_lo, exec_lo, s0
                                        ; implicit-def: $vgpr25
	s_and_saveexec_b32 s0, s5
	s_cbranch_execz .LBB447_42
.LBB447_65:
	v_add_co_u32 v25, vcc_lo, v7, v13
	v_add_co_ci_u32_e32 v26, vcc_lo, 0, v8, vcc_lo
	flat_load_u16 v25, v[25:26] offset:2048
	s_or_b32 exec_lo, exec_lo, s0
                                        ; implicit-def: $vgpr26
	s_and_saveexec_b32 s0, s6
	s_cbranch_execz .LBB447_43
.LBB447_66:
	v_add_co_u32 v26, vcc_lo, v7, v13
	v_add_co_ci_u32_e32 v27, vcc_lo, 0, v8, vcc_lo
	flat_load_u16 v26, v[26:27] offset:2560
	s_or_b32 exec_lo, exec_lo, s0
                                        ; implicit-def: $vgpr27
	s_and_saveexec_b32 s0, s7
	s_cbranch_execz .LBB447_44
.LBB447_67:
	v_add_co_u32 v27, vcc_lo, v7, v13
	v_add_co_ci_u32_e32 v28, vcc_lo, 0, v8, vcc_lo
	flat_load_u16 v27, v[27:28] offset:3072
	s_or_b32 exec_lo, exec_lo, s0
                                        ; implicit-def: $vgpr28
	s_and_saveexec_b32 s0, s8
	s_cbranch_execz .LBB447_45
.LBB447_68:
	v_add_co_u32 v28, vcc_lo, v7, v13
	v_add_co_ci_u32_e32 v29, vcc_lo, 0, v8, vcc_lo
	flat_load_u16 v28, v[28:29] offset:3584
	s_or_b32 exec_lo, exec_lo, s0
                                        ; implicit-def: $vgpr29
	s_and_saveexec_b32 s0, s9
	s_cbranch_execz .LBB447_46
.LBB447_69:
	v_lshlrev_b32_e32 v14, 1, v14
	s_delay_alu instid0(VALU_DEP_1)
	v_add_co_u32 v29, vcc_lo, v7, v14
	v_add_co_ci_u32_e32 v30, vcc_lo, 0, v8, vcc_lo
	flat_load_u16 v29, v[29:30]
	s_or_b32 exec_lo, exec_lo, s0
                                        ; implicit-def: $vgpr30
	s_and_saveexec_b32 s0, s10
	s_cbranch_execz .LBB447_47
.LBB447_70:
	v_lshlrev_b32_e32 v14, 1, v15
	s_delay_alu instid0(VALU_DEP_1)
	v_add_co_u32 v14, vcc_lo, v7, v14
	v_add_co_ci_u32_e32 v15, vcc_lo, 0, v8, vcc_lo
	flat_load_u16 v30, v[14:15]
	s_or_b32 exec_lo, exec_lo, s0
                                        ; implicit-def: $vgpr15
	s_and_saveexec_b32 s0, s11
	s_cbranch_execz .LBB447_48
.LBB447_71:
	v_lshlrev_b32_e32 v14, 1, v16
	s_delay_alu instid0(VALU_DEP_1)
	v_add_co_u32 v14, vcc_lo, v7, v14
	v_add_co_ci_u32_e32 v15, vcc_lo, 0, v8, vcc_lo
	flat_load_u16 v15, v[14:15]
	s_or_b32 exec_lo, exec_lo, s0
                                        ; implicit-def: $vgpr16
	s_and_saveexec_b32 s0, s12
	s_cbranch_execz .LBB447_49
.LBB447_72:
	v_lshlrev_b32_e32 v14, 1, v17
	s_delay_alu instid0(VALU_DEP_1)
	v_add_co_u32 v16, vcc_lo, v7, v14
	v_add_co_ci_u32_e32 v17, vcc_lo, 0, v8, vcc_lo
	flat_load_u16 v16, v[16:17]
	s_or_b32 exec_lo, exec_lo, s0
                                        ; implicit-def: $vgpr17
	s_and_saveexec_b32 s0, s13
	s_cbranch_execz .LBB447_50
.LBB447_73:
	v_lshlrev_b32_e32 v14, 1, v18
	s_delay_alu instid0(VALU_DEP_1)
	v_add_co_u32 v17, vcc_lo, v7, v14
	v_add_co_ci_u32_e32 v18, vcc_lo, 0, v8, vcc_lo
	flat_load_u16 v17, v[17:18]
	s_or_b32 exec_lo, exec_lo, s0
                                        ; implicit-def: $vgpr18
	s_and_saveexec_b32 s0, s14
	s_cbranch_execz .LBB447_51
.LBB447_74:
	v_lshlrev_b32_e32 v14, 1, v19
	s_delay_alu instid0(VALU_DEP_1)
	v_add_co_u32 v18, vcc_lo, v7, v14
	v_add_co_ci_u32_e32 v19, vcc_lo, 0, v8, vcc_lo
	flat_load_u16 v18, v[18:19]
	s_or_b32 exec_lo, exec_lo, s0
                                        ; implicit-def: $vgpr19
	s_and_saveexec_b32 s0, s15
	s_cbranch_execnz .LBB447_52
	s_branch .LBB447_53
.LBB447_75:
	s_mov_b32 s15, 0
                                        ; implicit-def: $sgpr4
                                        ; implicit-def: $vgpr61
                                        ; implicit-def: $vgpr14
                                        ; implicit-def: $vgpr13
                                        ; implicit-def: $vgpr16
                                        ; implicit-def: $vgpr15
                                        ; implicit-def: $vgpr18
                                        ; implicit-def: $vgpr17
                                        ; implicit-def: $vgpr20
                                        ; implicit-def: $vgpr19
                                        ; implicit-def: $vgpr22
                                        ; implicit-def: $vgpr21
                                        ; implicit-def: $vgpr24
                                        ; implicit-def: $vgpr23
                                        ; implicit-def: $vgpr26
	s_cbranch_execz .LBB447_59
; %bb.76:
	v_and_b32_e32 v7, 0xffff, v12
	v_lshrrev_b32_e32 v9, 16, v12
	v_lshrrev_b32_e32 v8, 16, v11
	v_and_b32_e32 v14, 0xffff, v11
	v_lshrrev_b32_e32 v16, 16, v10
	v_mul_u32_u24_e32 v7, 0xcccd, v7
	v_mul_u32_u24_e32 v13, 0xcccd, v9
	;; [unrolled: 1-line block ×5, first 2 shown]
	v_lshrrev_b32_e32 v15, 19, v7
	v_lshrrev_b32_e32 v13, 19, v13
	;; [unrolled: 1-line block ×6, first 2 shown]
	v_cmp_ne_u16_e32 vcc_lo, v15, v13
	v_and_b32_e32 v13, 0xffff, v10
	v_lshrrev_b32_e32 v22, 16, v2
	v_and_b32_e32 v23, 0xffff, v2
	v_and_b32_e32 v26, 0xffff, v62
	v_cndmask_b32_e64 v61, 0, 1, vcc_lo
	v_cmp_ne_u16_e32 vcc_lo, v8, v15
	v_mul_u32_u24_e32 v15, 0xcccd, v13
	v_lshlrev_b32_e32 v7, 1, v0
	s_mov_b32 s0, 1
                                        ; implicit-def: $sgpr4
	v_cndmask_b32_e64 v14, 0, 1, vcc_lo
	v_cmp_ne_u16_e32 vcc_lo, v17, v8
	v_lshrrev_b32_e32 v8, 19, v15
	v_mul_u32_u24_e32 v15, 0xcccd, v18
	v_and_b32_e32 v18, 0xffff, v4
	ds_store_b16 v7, v9
	v_cndmask_b32_e64 v13, 0, 1, vcc_lo
	v_cmp_ne_u16_e32 vcc_lo, v19, v17
	v_lshrrev_b32_e32 v17, 16, v3
	v_lshrrev_b32_e32 v20, 19, v15
	v_mul_u32_u24_e32 v18, 0xcccd, v18
	s_waitcnt lgkmcnt(0)
	v_cndmask_b32_e64 v16, 0, 1, vcc_lo
	v_cmp_ne_u16_e32 vcc_lo, v8, v19
	v_mul_u32_u24_e32 v17, 0xcccd, v17
	v_and_b32_e32 v19, 0xffff, v3
	v_lshrrev_b32_e32 v21, 19, v18
	s_barrier
	v_cndmask_b32_e64 v15, 0, 1, vcc_lo
	v_cmp_ne_u16_e32 vcc_lo, v20, v8
	v_lshrrev_b32_e32 v8, 19, v17
	v_mul_u32_u24_e32 v19, 0xcccd, v19
	buffer_gl0_inv
	v_cndmask_b32_e64 v18, 0, 1, vcc_lo
	v_cmp_ne_u16_e32 vcc_lo, v21, v20
	v_lshrrev_b32_e32 v24, 19, v19
	v_cndmask_b32_e64 v17, 0, 1, vcc_lo
	v_cmp_ne_u16_e32 vcc_lo, v8, v21
	v_mul_u32_u24_e32 v21, 0xcccd, v22
	v_mul_u32_u24_e32 v22, 0xcccd, v23
	v_and_b32_e32 v23, 0xffff, v1
	v_cndmask_b32_e64 v20, 0, 1, vcc_lo
	v_cmp_ne_u16_e32 vcc_lo, v24, v8
	v_lshrrev_b32_e32 v8, 16, v1
	v_lshrrev_b32_e32 v21, 19, v21
	v_lshrrev_b32_e32 v25, 19, v22
	v_mul_u32_u24_e32 v23, 0xcccd, v23
	v_cndmask_b32_e64 v19, 0, 1, vcc_lo
	v_mul_u32_u24_e32 v8, 0xcccd, v8
	v_cmp_ne_u16_e32 vcc_lo, v21, v24
	v_mul_u32_u24_e32 v24, 0xcccd, v26
	v_lshrrev_b32_e32 v27, 19, v23
	s_delay_alu instid0(VALU_DEP_4)
	v_lshrrev_b32_e32 v26, 19, v8
	v_cndmask_b32_e64 v22, 0, 1, vcc_lo
	v_cmp_ne_u16_e32 vcc_lo, v25, v21
	v_lshrrev_b32_e32 v8, 19, v24
	v_cndmask_b32_e64 v21, 0, 1, vcc_lo
	v_cmp_ne_u16_e32 vcc_lo, v26, v25
	v_cndmask_b32_e64 v24, 0, 1, vcc_lo
	v_cmp_ne_u16_e32 vcc_lo, v27, v26
	;; [unrolled: 2-line block ×3, first 2 shown]
	v_cndmask_b32_e64 v26, 0, 1, vcc_lo
	s_and_saveexec_b32 s1, s3
	s_delay_alu instid0(SALU_CYCLE_1)
	s_xor_b32 s1, exec_lo, s1
	s_cbranch_execz .LBB447_78
; %bb.77:
	v_add_nc_u32_e32 v7, -2, v7
	s_or_b32 s15, s15, exec_lo
	ds_load_u16 v7, v7
	s_waitcnt lgkmcnt(0)
	v_mul_u32_u24_e32 v7, 0xcccd, v7
	s_delay_alu instid0(VALU_DEP_1) | instskip(NEXT) | instid1(VALU_DEP_1)
	v_lshrrev_b32_e32 v7, 19, v7
	v_cmp_ne_u16_e32 vcc_lo, v7, v8
	s_and_b32 s4, vcc_lo, exec_lo
.LBB447_78:
	s_or_b32 exec_lo, exec_lo, s1
	s_branch .LBB447_114
.LBB447_79:
	s_mul_hi_u32 s0, s24, 0xfffff100
	s_mul_i32 s1, s25, 0xfffff100
	s_sub_i32 s0, s0, s24
	s_mul_i32 s4, s24, 0xfffff100
	s_add_i32 s1, s0, s1
	s_add_u32 s0, s4, s36
	s_addc_u32 s1, s1, s37
	s_and_b32 vcc_lo, exec_lo, s16
	s_cbranch_vccz .LBB447_223
; %bb.80:
	v_add_co_u32 v5, vcc_lo, -2, v5
	v_add_co_ci_u32_e32 v6, vcc_lo, -1, v6, vcc_lo
	v_mad_u32_u24 v13, v0, 15, 14
	v_dual_mov_b32 v14, 0 :: v_dual_mov_b32 v61, 0
	flat_load_u16 v7, v[5:6]
	v_lshlrev_b32_e32 v6, 1, v0
	v_lshrrev_b32_e32 v8, 16, v12
	v_mul_u32_u24_e32 v5, 15, v0
	s_mov_b32 s4, exec_lo
	ds_store_b16 v6, v8
	v_cmpx_gt_u64_e64 s[0:1], v[13:14]
; %bb.81:
	v_and_b32_e32 v9, 0xffff, v12
	v_and_b32_e32 v8, 0xffff, v8
	s_delay_alu instid0(VALU_DEP_2) | instskip(NEXT) | instid1(VALU_DEP_2)
	v_mul_u32_u24_e32 v9, 0xcccd, v9
	v_mul_u32_u24_e32 v8, 0xcccd, v8
	s_delay_alu instid0(VALU_DEP_2) | instskip(NEXT) | instid1(VALU_DEP_2)
	v_lshrrev_b32_e32 v9, 19, v9
	v_lshrrev_b32_e32 v8, 19, v8
	s_delay_alu instid0(VALU_DEP_1)
	v_cmp_ne_u16_e32 vcc_lo, v9, v8
	v_cndmask_b32_e64 v61, 0, 1, vcc_lo
; %bb.82:
	s_or_b32 exec_lo, exec_lo, s4
	v_add_nc_u32_e32 v13, 13, v5
	s_mov_b32 s4, exec_lo
	s_delay_alu instid0(VALU_DEP_1)
	v_cmpx_gt_u64_e64 s[0:1], v[13:14]
; %bb.83:
	v_lshrrev_b32_e32 v8, 16, v11
	v_and_b32_e32 v9, 0xffff, v12
	s_delay_alu instid0(VALU_DEP_2) | instskip(NEXT) | instid1(VALU_DEP_2)
	v_mul_u32_u24_e32 v8, 0xcccd, v8
	v_mul_u32_u24_e32 v9, 0xcccd, v9
	s_delay_alu instid0(VALU_DEP_2) | instskip(NEXT) | instid1(VALU_DEP_2)
	v_lshrrev_b32_e32 v8, 19, v8
	v_lshrrev_b32_e32 v9, 19, v9
	s_delay_alu instid0(VALU_DEP_1)
	v_cmp_ne_u16_e32 vcc_lo, v8, v9
	v_cndmask_b32_e64 v14, 0, 1, vcc_lo
; %bb.84:
	s_or_b32 exec_lo, exec_lo, s4
	v_dual_mov_b32 v16, 0 :: v_dual_add_nc_u32 v15, 12, v5
	v_mov_b32_e32 v13, 0
	s_mov_b32 s4, exec_lo
	s_delay_alu instid0(VALU_DEP_2)
	v_cmpx_gt_u64_e64 s[0:1], v[15:16]
; %bb.85:
	v_and_b32_e32 v8, 0xffff, v11
	v_lshrrev_b32_e32 v9, 16, v11
	s_delay_alu instid0(VALU_DEP_2) | instskip(NEXT) | instid1(VALU_DEP_2)
	v_mul_u32_u24_e32 v8, 0xcccd, v8
	v_mul_u32_u24_e32 v9, 0xcccd, v9
	s_delay_alu instid0(VALU_DEP_2) | instskip(NEXT) | instid1(VALU_DEP_2)
	v_lshrrev_b32_e32 v8, 19, v8
	v_lshrrev_b32_e32 v9, 19, v9
	s_delay_alu instid0(VALU_DEP_1)
	v_cmp_ne_u16_e32 vcc_lo, v8, v9
	v_cndmask_b32_e64 v13, 0, 1, vcc_lo
; %bb.86:
	s_or_b32 exec_lo, exec_lo, s4
	v_add_nc_u32_e32 v15, 11, v5
	s_mov_b32 s4, exec_lo
	s_delay_alu instid0(VALU_DEP_1)
	v_cmpx_gt_u64_e64 s[0:1], v[15:16]
; %bb.87:
	v_lshrrev_b32_e32 v8, 16, v10
	v_and_b32_e32 v9, 0xffff, v11
	s_delay_alu instid0(VALU_DEP_2) | instskip(NEXT) | instid1(VALU_DEP_2)
	v_mul_u32_u24_e32 v8, 0xcccd, v8
	v_mul_u32_u24_e32 v9, 0xcccd, v9
	s_delay_alu instid0(VALU_DEP_2) | instskip(NEXT) | instid1(VALU_DEP_2)
	v_lshrrev_b32_e32 v8, 19, v8
	v_lshrrev_b32_e32 v9, 19, v9
	s_delay_alu instid0(VALU_DEP_1)
	v_cmp_ne_u16_e32 vcc_lo, v8, v9
	v_cndmask_b32_e64 v16, 0, 1, vcc_lo
; %bb.88:
	s_or_b32 exec_lo, exec_lo, s4
	v_dual_mov_b32 v18, 0 :: v_dual_add_nc_u32 v17, 10, v5
	v_mov_b32_e32 v15, 0
	s_mov_b32 s4, exec_lo
	s_delay_alu instid0(VALU_DEP_2)
	v_cmpx_gt_u64_e64 s[0:1], v[17:18]
; %bb.89:
	v_and_b32_e32 v8, 0xffff, v10
	v_lshrrev_b32_e32 v9, 16, v10
	;; [unrolled: 37-line block ×6, first 2 shown]
	s_delay_alu instid0(VALU_DEP_2) | instskip(NEXT) | instid1(VALU_DEP_2)
	v_mul_u32_u24_e32 v8, 0xcccd, v8
	v_mul_u32_u24_e32 v9, 0xcccd, v9
	s_delay_alu instid0(VALU_DEP_2) | instskip(NEXT) | instid1(VALU_DEP_2)
	v_lshrrev_b32_e32 v8, 19, v8
	v_lshrrev_b32_e32 v9, 19, v9
	s_delay_alu instid0(VALU_DEP_1)
	v_cmp_ne_u16_e32 vcc_lo, v8, v9
	v_cndmask_b32_e64 v23, 0, 1, vcc_lo
; %bb.106:
	s_or_b32 exec_lo, exec_lo, s4
	v_add_nc_u32_e32 v25, 1, v5
	s_mov_b32 s4, exec_lo
	s_delay_alu instid0(VALU_DEP_1)
	v_cmpx_gt_u64_e64 s[0:1], v[25:26]
; %bb.107:
	v_and_b32_e32 v8, 0xffff, v62
	v_and_b32_e32 v9, 0xffff, v1
	s_delay_alu instid0(VALU_DEP_2) | instskip(NEXT) | instid1(VALU_DEP_2)
	v_mul_u32_u24_e32 v8, 0xcccd, v8
	v_mul_u32_u24_e32 v9, 0xcccd, v9
	s_delay_alu instid0(VALU_DEP_2) | instskip(NEXT) | instid1(VALU_DEP_2)
	v_lshrrev_b32_e32 v8, 19, v8
	v_lshrrev_b32_e32 v9, 19, v9
	s_delay_alu instid0(VALU_DEP_1)
	v_cmp_ne_u16_e32 vcc_lo, v8, v9
	v_cndmask_b32_e64 v26, 0, 1, vcc_lo
; %bb.108:
	s_or_b32 exec_lo, exec_lo, s4
	s_waitcnt vmcnt(0) lgkmcnt(0)
	s_barrier
	buffer_gl0_inv
	s_and_saveexec_b32 s4, s3
	s_cbranch_execz .LBB447_110
; %bb.109:
	v_add_nc_u32_e32 v6, -2, v6
	ds_load_u16 v7, v6
.LBB447_110:
	s_or_b32 exec_lo, exec_lo, s4
	v_mov_b32_e32 v6, 0
	s_mov_b32 s5, 0
	s_mov_b32 s4, 0
	s_mov_b32 s6, exec_lo
	s_delay_alu instid0(VALU_DEP_1)
	v_cmpx_gt_u64_e64 s[0:1], v[5:6]
	s_cbranch_execz .LBB447_112
; %bb.111:
	s_waitcnt lgkmcnt(0)
	v_and_b32_e32 v5, 0xffff, v7
	v_and_b32_e32 v6, 0xffff, v62
	s_delay_alu instid0(VALU_DEP_2) | instskip(NEXT) | instid1(VALU_DEP_2)
	v_mul_u32_u24_e32 v5, 0xcccd, v5
	v_mul_u32_u24_e32 v6, 0xcccd, v6
	s_delay_alu instid0(VALU_DEP_2) | instskip(NEXT) | instid1(VALU_DEP_2)
	v_lshrrev_b32_e32 v5, 19, v5
	v_lshrrev_b32_e32 v6, 19, v6
	s_delay_alu instid0(VALU_DEP_1)
	v_cmp_ne_u16_e32 vcc_lo, v5, v6
	s_and_b32 s4, vcc_lo, exec_lo
.LBB447_112:
	s_or_b32 exec_lo, exec_lo, s6
	s_mov_b32 s15, -1
	s_and_b32 vcc_lo, exec_lo, s5
	s_cbranch_vccnz .LBB447_224
.LBB447_113:
                                        ; implicit-def: $sgpr0
.LBB447_114:
	v_mov_b32_e32 v76, s0
	s_and_saveexec_b32 s0, s15
.LBB447_115:
	s_delay_alu instid0(VALU_DEP_2)
	v_cndmask_b32_e64 v76, 0, 1, s4
.LBB447_116:
	s_or_b32 exec_lo, exec_lo, s0
	s_delay_alu instid0(VALU_DEP_1)
	v_add3_u32 v5, v26, v76, v23
	v_cmp_eq_u32_e64 s13, 0, v26
	v_cmp_eq_u32_e64 s12, 0, v23
	;; [unrolled: 1-line block ×4, first 2 shown]
	v_add3_u32 v80, v5, v24, v21
	v_cmp_eq_u32_e64 s9, 0, v22
	v_cmp_eq_u32_e64 s8, 0, v19
	;; [unrolled: 1-line block ×9, first 2 shown]
	v_cmp_eq_u32_e32 vcc_lo, 0, v61
	v_mbcnt_lo_u32_b32 v77, -1, 0
	v_lshrrev_b32_e32 v78, 5, v0
	v_or_b32_e32 v79, 31, v0
	s_cmp_eq_u64 s[22:23], 0
	s_cselect_b32 s16, -1, 0
	s_cmp_lg_u32 s33, 0
	s_cbranch_scc0 .LBB447_147
; %bb.117:
	v_cndmask_b32_e64 v5, 0, v73, s13
	v_add3_u32 v6, v80, v22, v19
	v_and_b32_e32 v9, 15, v77
	s_delay_alu instid0(VALU_DEP_3) | instskip(NEXT) | instid1(VALU_DEP_3)
	v_add_nc_u16 v5, v5, v72
	v_add3_u32 v6, v6, v20, v17
	s_delay_alu instid0(VALU_DEP_2) | instskip(NEXT) | instid1(VALU_DEP_2)
	v_cndmask_b32_e64 v5, 0, v5, s12
	v_add3_u32 v6, v6, v18, v15
	s_delay_alu instid0(VALU_DEP_2) | instskip(NEXT) | instid1(VALU_DEP_2)
	v_add_nc_u16 v5, v5, v74
	v_add3_u32 v6, v6, v16, v13
	s_delay_alu instid0(VALU_DEP_2) | instskip(NEXT) | instid1(VALU_DEP_2)
	v_cndmask_b32_e64 v5, 0, v5, s11
	v_add3_u32 v6, v6, v14, v61
	s_delay_alu instid0(VALU_DEP_2) | instskip(NEXT) | instid1(VALU_DEP_2)
	v_add_nc_u16 v5, v5, v70
	v_mov_b32_dpp v25, v6 row_shr:1 row_mask:0xf bank_mask:0xf
	s_delay_alu instid0(VALU_DEP_2) | instskip(NEXT) | instid1(VALU_DEP_1)
	v_cndmask_b32_e64 v5, 0, v5, s10
	v_add_nc_u16 v5, v5, v71
	s_delay_alu instid0(VALU_DEP_1) | instskip(NEXT) | instid1(VALU_DEP_1)
	v_cndmask_b32_e64 v5, 0, v5, s9
	v_add_nc_u16 v5, v5, v68
	s_delay_alu instid0(VALU_DEP_1) | instskip(NEXT) | instid1(VALU_DEP_1)
	;; [unrolled: 3-line block ×9, first 2 shown]
	v_cndmask_b32_e64 v5, 0, v5, s0
	v_add_nc_u16 v5, v5, v59
	s_delay_alu instid0(VALU_DEP_1) | instskip(SKIP_1) | instid1(VALU_DEP_2)
	v_cndmask_b32_e32 v5, 0, v5, vcc_lo
	v_cmp_eq_u32_e32 vcc_lo, 0, v6
	v_add_nc_u16 v5, v5, v75
	s_waitcnt lgkmcnt(0)
	s_delay_alu instid0(VALU_DEP_1) | instskip(NEXT) | instid1(VALU_DEP_1)
	v_and_b32_e32 v7, 0xffff, v5
	v_mov_b32_dpp v8, v7 row_shr:1 row_mask:0xf bank_mask:0xf
	s_delay_alu instid0(VALU_DEP_1) | instskip(SKIP_1) | instid1(VALU_DEP_2)
	v_cndmask_b32_e32 v8, 0, v8, vcc_lo
	v_cmp_eq_u32_e32 vcc_lo, 0, v9
	v_add_nc_u16 v8, v8, v5
	v_cndmask_b32_e64 v25, v25, 0, vcc_lo
	s_delay_alu instid0(VALU_DEP_2) | instskip(NEXT) | instid1(VALU_DEP_2)
	v_and_b32_e32 v27, 0xffff, v8
	v_dual_cndmask_b32 v5, v8, v5 :: v_dual_add_nc_u32 v6, v25, v6
	s_delay_alu instid0(VALU_DEP_2) | instskip(NEXT) | instid1(VALU_DEP_2)
	v_cndmask_b32_e32 v7, v27, v7, vcc_lo
	v_cmp_eq_u32_e32 vcc_lo, 0, v6
	s_delay_alu instid0(VALU_DEP_2) | instskip(NEXT) | instid1(VALU_DEP_1)
	v_mov_b32_dpp v25, v7 row_shr:2 row_mask:0xf bank_mask:0xf
	v_cndmask_b32_e32 v8, 0, v25, vcc_lo
	v_mov_b32_dpp v25, v6 row_shr:2 row_mask:0xf bank_mask:0xf
	v_cmp_lt_u32_e32 vcc_lo, 1, v9
	s_delay_alu instid0(VALU_DEP_3) | instskip(NEXT) | instid1(VALU_DEP_1)
	v_add_nc_u16 v8, v8, v5
	v_and_b32_e32 v27, 0xffff, v8
	s_delay_alu instid0(VALU_DEP_4) | instskip(NEXT) | instid1(VALU_DEP_1)
	v_dual_cndmask_b32 v5, v5, v8 :: v_dual_cndmask_b32 v8, 0, v25
	v_dual_cndmask_b32 v7, v7, v27 :: v_dual_add_nc_u32 v6, v6, v8
	s_delay_alu instid0(VALU_DEP_1) | instskip(NEXT) | instid1(VALU_DEP_2)
	v_cmp_eq_u32_e32 vcc_lo, 0, v6
	v_mov_b32_dpp v8, v7 row_shr:4 row_mask:0xf bank_mask:0xf
	v_mov_b32_dpp v25, v6 row_shr:4 row_mask:0xf bank_mask:0xf
	s_delay_alu instid0(VALU_DEP_2) | instskip(SKIP_1) | instid1(VALU_DEP_2)
	v_cndmask_b32_e32 v8, 0, v8, vcc_lo
	v_cmp_lt_u32_e32 vcc_lo, 3, v9
	v_add_nc_u16 v8, v8, v5
	s_delay_alu instid0(VALU_DEP_1) | instskip(SKIP_1) | instid1(VALU_DEP_1)
	v_and_b32_e32 v27, 0xffff, v8
	v_dual_cndmask_b32 v5, v5, v8 :: v_dual_cndmask_b32 v8, 0, v25
	v_dual_cndmask_b32 v7, v7, v27 :: v_dual_add_nc_u32 v6, v8, v6
	s_delay_alu instid0(VALU_DEP_1) | instskip(NEXT) | instid1(VALU_DEP_2)
	v_cmp_eq_u32_e32 vcc_lo, 0, v6
	v_mov_b32_dpp v8, v7 row_shr:8 row_mask:0xf bank_mask:0xf
	v_mov_b32_dpp v25, v6 row_shr:8 row_mask:0xf bank_mask:0xf
	s_delay_alu instid0(VALU_DEP_2) | instskip(SKIP_1) | instid1(VALU_DEP_2)
	v_cndmask_b32_e32 v8, 0, v8, vcc_lo
	v_cmp_lt_u32_e32 vcc_lo, 7, v9
	v_add_nc_u16 v8, v8, v5
	s_delay_alu instid0(VALU_DEP_4) | instskip(SKIP_1) | instid1(VALU_DEP_3)
	v_cndmask_b32_e32 v9, 0, v25, vcc_lo
	v_bfe_i32 v25, v77, 4, 1
	v_cndmask_b32_e32 v5, v5, v8, vcc_lo
	v_and_b32_e32 v8, 0xffff, v8
	s_delay_alu instid0(VALU_DEP_4) | instskip(SKIP_1) | instid1(VALU_DEP_3)
	v_add_nc_u32_e32 v6, v9, v6
	v_and_b32_e32 v9, 16, v77
	v_cndmask_b32_e32 v7, v7, v8, vcc_lo
	ds_swizzle_b32 v8, v6 offset:swizzle(BROADCAST,32,15)
	v_cmp_ne_u32_e32 vcc_lo, 0, v9
	v_cmp_eq_u32_e64 s14, 0, v6
	ds_swizzle_b32 v7, v7 offset:swizzle(BROADCAST,32,15)
	s_and_b32 vcc_lo, vcc_lo, s14
	s_mov_b32 s14, exec_lo
	s_waitcnt lgkmcnt(0)
	v_dual_cndmask_b32 v7, 0, v7 :: v_dual_and_b32 v8, v25, v8
	s_delay_alu instid0(VALU_DEP_1) | instskip(NEXT) | instid1(VALU_DEP_2)
	v_add_nc_u32_e32 v6, v8, v6
	v_add_nc_u16 v5, v7, v5
	v_lshlrev_b32_e32 v7, 3, v78
	v_cmpx_eq_u32_e64 v79, v0
	s_cbranch_execz .LBB447_119
; %bb.118:
	ds_store_b32 v7, v6 offset:1040
	ds_store_b16 v7, v5 offset:1044
.LBB447_119:
	s_or_b32 exec_lo, exec_lo, s14
	s_delay_alu instid0(SALU_CYCLE_1)
	s_mov_b32 s15, exec_lo
	s_waitcnt lgkmcnt(0)
	s_barrier
	buffer_gl0_inv
	v_cmpx_gt_u32_e32 8, v0
	s_cbranch_execz .LBB447_121
; %bb.120:
	v_lshlrev_b32_e32 v25, 3, v0
	v_and_b32_e32 v30, 7, v77
	ds_load_b64 v[8:9], v25 offset:1040
	s_waitcnt lgkmcnt(0)
	v_mov_b32_dpp v27, v9 row_shr:1 row_mask:0xf bank_mask:0xf
	v_cmp_eq_u32_e32 vcc_lo, 0, v8
	v_mov_b32_dpp v31, v8 row_shr:1 row_mask:0xf bank_mask:0xf
	s_delay_alu instid0(VALU_DEP_3) | instskip(SKIP_1) | instid1(VALU_DEP_2)
	v_dual_cndmask_b32 v27, 0, v27 :: v_dual_and_b32 v28, 0xffff0000, v9
	v_cmp_eq_u32_e32 vcc_lo, 0, v30
	v_add_nc_u16 v27, v27, v9
	s_delay_alu instid0(VALU_DEP_4) | instskip(NEXT) | instid1(VALU_DEP_2)
	v_cndmask_b32_e64 v31, v31, 0, vcc_lo
	v_and_b32_e32 v29, 0xffff, v27
	s_delay_alu instid0(VALU_DEP_2) | instskip(NEXT) | instid1(VALU_DEP_2)
	v_add_nc_u32_e32 v8, v31, v8
	v_or_b32_e32 v29, v28, v29
	s_delay_alu instid0(VALU_DEP_1) | instskip(SKIP_1) | instid1(VALU_DEP_4)
	v_cndmask_b32_e32 v29, v29, v9, vcc_lo
	v_cndmask_b32_e32 v9, v27, v9, vcc_lo
	v_cmp_eq_u32_e32 vcc_lo, 0, v8
	s_delay_alu instid0(VALU_DEP_3) | instskip(NEXT) | instid1(VALU_DEP_1)
	v_mov_b32_dpp v31, v29 row_shr:2 row_mask:0xf bank_mask:0xf
	v_cndmask_b32_e32 v27, 0, v31, vcc_lo
	v_mov_b32_dpp v31, v8 row_shr:2 row_mask:0xf bank_mask:0xf
	v_cmp_lt_u32_e32 vcc_lo, 1, v30
	v_cmp_lt_u32_e64 s14, 3, v30
	s_delay_alu instid0(VALU_DEP_4) | instskip(NEXT) | instid1(VALU_DEP_1)
	v_add_nc_u16 v27, v27, v9
	v_and_b32_e32 v32, 0xffff, v27
	v_cndmask_b32_e32 v9, v9, v27, vcc_lo
	v_cndmask_b32_e32 v27, 0, v31, vcc_lo
	s_delay_alu instid0(VALU_DEP_3) | instskip(NEXT) | instid1(VALU_DEP_2)
	v_or_b32_e32 v28, v28, v32
	v_add_nc_u32_e32 v8, v27, v8
	s_delay_alu instid0(VALU_DEP_2) | instskip(NEXT) | instid1(VALU_DEP_2)
	v_cndmask_b32_e32 v27, v29, v28, vcc_lo
	v_cmp_eq_u32_e32 vcc_lo, 0, v8
	v_mov_b32_dpp v28, v8 row_shr:4 row_mask:0xf bank_mask:0xf
	s_delay_alu instid0(VALU_DEP_3) | instskip(SKIP_1) | instid1(VALU_DEP_2)
	v_mov_b32_dpp v27, v27 row_shr:4 row_mask:0xf bank_mask:0xf
	s_and_b32 vcc_lo, s14, vcc_lo
	v_cndmask_b32_e64 v28, 0, v28, s14
	s_delay_alu instid0(VALU_DEP_1) | instskip(NEXT) | instid1(VALU_DEP_1)
	v_dual_cndmask_b32 v27, 0, v27 :: v_dual_add_nc_u32 v8, v28, v8
	v_add_nc_u16 v9, v9, v27
	ds_store_b32 v25, v8 offset:1040
	ds_store_b16 v25, v9 offset:1044
.LBB447_121:
	s_or_b32 exec_lo, exec_lo, s15
	v_cmp_gt_u32_e32 vcc_lo, 32, v0
	v_mov_b32_e32 v31, 0
	v_mov_b32_e32 v25, 0
	s_mov_b32 s15, exec_lo
	s_waitcnt lgkmcnt(0)
	s_barrier
	buffer_gl0_inv
	v_cmpx_lt_u32_e32 31, v0
	s_cbranch_execz .LBB447_123
; %bb.122:
	ds_load_u16 v25, v7 offset:1036
	ds_load_b32 v31, v7 offset:1032
	v_cmp_eq_u32_e64 s14, 0, v6
	s_waitcnt lgkmcnt(1)
	s_delay_alu instid0(VALU_DEP_1) | instskip(SKIP_2) | instid1(VALU_DEP_2)
	v_cndmask_b32_e64 v7, 0, v25, s14
	s_waitcnt lgkmcnt(0)
	v_add_nc_u32_e32 v6, v31, v6
	v_add_nc_u16 v5, v7, v5
.LBB447_123:
	s_or_b32 exec_lo, exec_lo, s15
	v_add_nc_u32_e32 v7, -1, v77
	s_delay_alu instid0(VALU_DEP_2) | instskip(NEXT) | instid1(VALU_DEP_2)
	v_and_b32_e32 v5, 0xffff, v5
	v_cmp_gt_i32_e64 s14, 0, v7
	s_delay_alu instid0(VALU_DEP_1) | instskip(SKIP_1) | instid1(VALU_DEP_2)
	v_cndmask_b32_e64 v7, v7, v77, s14
	v_cmp_eq_u32_e64 s14, 0, v77
	v_lshlrev_b32_e32 v7, 2, v7
	ds_bpermute_b32 v32, v7, v6
	ds_bpermute_b32 v33, v7, v5
	s_and_saveexec_b32 s22, vcc_lo
	s_cbranch_execz .LBB447_146
; %bb.124:
	v_mov_b32_e32 v8, 0
	ds_load_b64 v[5:6], v8 offset:1096
	s_waitcnt lgkmcnt(0)
	v_readfirstlane_b32 s23, v6
	s_and_saveexec_b32 s15, s14
	s_cbranch_execz .LBB447_126
; %bb.125:
	s_add_i32 s24, s33, 32
	s_mov_b32 s25, 0
	v_mov_b32_e32 v7, 1
	s_lshl_b64 s[36:37], s[24:25], 4
	s_mov_b32 s40, s25
	s_add_u32 s36, s20, s36
	s_addc_u32 s37, s21, s37
	s_and_b32 s41, s23, 0xff000000
	s_and_b32 s43, s23, 0xff0000
	s_mov_b32 s42, s25
	v_dual_mov_b32 v27, s36 :: v_dual_mov_b32 v28, s37
	s_or_b64 s[40:41], s[42:43], s[40:41]
	s_and_b32 s43, s23, 0xff00
	s_delay_alu instid0(SALU_CYCLE_1) | instskip(SKIP_1) | instid1(SALU_CYCLE_1)
	s_or_b64 s[40:41], s[40:41], s[42:43]
	s_and_b32 s43, s23, 0xff
	s_or_b64 s[24:25], s[40:41], s[42:43]
	s_delay_alu instid0(SALU_CYCLE_1)
	v_mov_b32_e32 v6, s25
	;;#ASMSTART
	global_store_dwordx4 v[27:28], v[5:8] off	
s_waitcnt vmcnt(0)
	;;#ASMEND
.LBB447_126:
	s_or_b32 exec_lo, exec_lo, s15
	v_xad_u32 v27, v77, -1, s33
	s_mov_b32 s24, 0
	s_mov_b32 s15, exec_lo
	s_delay_alu instid0(VALU_DEP_1) | instskip(NEXT) | instid1(VALU_DEP_1)
	v_add_nc_u32_e32 v7, 32, v27
	v_lshlrev_b64 v[6:7], 4, v[7:8]
	s_delay_alu instid0(VALU_DEP_1) | instskip(NEXT) | instid1(VALU_DEP_2)
	v_add_co_u32 v28, vcc_lo, s20, v6
	v_add_co_ci_u32_e32 v29, vcc_lo, s21, v7, vcc_lo
	;;#ASMSTART
	global_load_dwordx4 v[6:9], v[28:29] off glc	
s_waitcnt vmcnt(0)
	;;#ASMEND
	v_and_b32_e32 v9, 0xffffff, v6
	v_and_b32_e32 v6, 0xff000000, v6
	;; [unrolled: 1-line block ×4, first 2 shown]
	s_delay_alu instid0(VALU_DEP_3) | instskip(SKIP_1) | instid1(VALU_DEP_3)
	v_or_b32_e32 v6, v9, v6
	v_and_b32_e32 v9, 0xff, v8
	v_or3_b32 v7, 0, v30, v7
	s_delay_alu instid0(VALU_DEP_3) | instskip(NEXT) | instid1(VALU_DEP_3)
	v_or3_b32 v6, v6, 0, 0
	v_cmpx_eq_u16_e32 0, v9
	s_cbranch_execz .LBB447_132
; %bb.127:
	s_mov_b32 s25, 1
	.p2align	6
.LBB447_128:                            ; =>This Loop Header: Depth=1
                                        ;     Child Loop BB447_129 Depth 2
	s_delay_alu instid0(SALU_CYCLE_1)
	s_max_u32 s36, s25, 1
.LBB447_129:                            ;   Parent Loop BB447_128 Depth=1
                                        ; =>  This Inner Loop Header: Depth=2
	s_delay_alu instid0(SALU_CYCLE_1)
	s_add_i32 s36, s36, -1
	s_sleep 1
	s_cmp_eq_u32 s36, 0
	s_cbranch_scc0 .LBB447_129
; %bb.130:                              ;   in Loop: Header=BB447_128 Depth=1
	;;#ASMSTART
	global_load_dwordx4 v[6:9], v[28:29] off glc	
s_waitcnt vmcnt(0)
	;;#ASMEND
	v_and_b32_e32 v9, 0xff, v8
	s_cmp_lt_u32 s25, 32
	s_cselect_b32 s36, -1, 0
	s_delay_alu instid0(SALU_CYCLE_1) | instskip(NEXT) | instid1(VALU_DEP_1)
	s_cmp_lg_u32 s36, 0
	v_cmp_ne_u16_e32 vcc_lo, 0, v9
	s_addc_u32 s25, s25, 0
	s_or_b32 s24, vcc_lo, s24
	s_delay_alu instid0(SALU_CYCLE_1)
	s_and_not1_b32 exec_lo, exec_lo, s24
	s_cbranch_execnz .LBB447_128
; %bb.131:
	s_or_b32 exec_lo, exec_lo, s24
	v_and_b32_e32 v7, 0xffff, v7
.LBB447_132:
	s_or_b32 exec_lo, exec_lo, s15
	v_cmp_ne_u32_e32 vcc_lo, 31, v77
	v_cmp_eq_u32_e64 s15, 0, v6
	v_lshlrev_b32_e64 v35, v77, -1
	v_add_nc_u32_e32 v43, 8, v77
	v_add_nc_u32_e32 v45, 16, v77
	v_add_co_ci_u32_e32 v9, vcc_lo, 0, v77, vcc_lo
	s_delay_alu instid0(VALU_DEP_1) | instskip(SKIP_4) | instid1(VALU_DEP_1)
	v_lshlrev_b32_e32 v34, 2, v9
	ds_bpermute_b32 v9, v34, v7
	ds_bpermute_b32 v30, v34, v6
	s_waitcnt lgkmcnt(1)
	v_cndmask_b32_e64 v9, 0, v9, s15
	v_add_nc_u16 v9, v9, v7
	v_and_b32_e32 v28, 0xff, v8
	s_delay_alu instid0(VALU_DEP_2) | instskip(NEXT) | instid1(VALU_DEP_2)
	v_and_b32_e32 v37, 0xffff, v9
	v_cmp_eq_u16_e32 vcc_lo, 2, v28
	v_and_or_b32 v28, vcc_lo, v35, 0x80000000
	v_cmp_gt_u32_e32 vcc_lo, 30, v77
	s_delay_alu instid0(VALU_DEP_2) | instskip(SKIP_1) | instid1(VALU_DEP_2)
	v_ctz_i32_b32_e32 v28, v28
	v_cndmask_b32_e64 v29, 0, 1, vcc_lo
	v_cmp_lt_u32_e32 vcc_lo, v77, v28
	s_waitcnt lgkmcnt(0)
	s_delay_alu instid0(VALU_DEP_2) | instskip(NEXT) | instid1(VALU_DEP_1)
	v_dual_cndmask_b32 v30, 0, v30 :: v_dual_lshlrev_b32 v29, 1, v29
	v_add_lshl_u32 v36, v29, v77, 2
	v_cndmask_b32_e32 v9, v7, v9, vcc_lo
	v_cndmask_b32_e32 v7, v7, v37, vcc_lo
	v_add_nc_u32_e32 v37, 2, v77
	v_add_nc_u32_e32 v6, v30, v6
	ds_bpermute_b32 v29, v36, v7
	v_cmp_eq_u32_e32 vcc_lo, 0, v6
	ds_bpermute_b32 v39, v36, v6
	s_waitcnt lgkmcnt(1)
	v_cndmask_b32_e32 v29, 0, v29, vcc_lo
	v_cmp_gt_u32_e32 vcc_lo, 28, v77
	v_cndmask_b32_e64 v30, 0, 1, vcc_lo
	v_cmp_gt_u32_e32 vcc_lo, v37, v28
	s_delay_alu instid0(VALU_DEP_2) | instskip(SKIP_1) | instid1(VALU_DEP_2)
	v_lshlrev_b32_e32 v30, 2, v30
	v_add_nc_u16 v29, v29, v9
	v_add_lshl_u32 v38, v30, v77, 2
	s_delay_alu instid0(VALU_DEP_2) | instskip(SKIP_4) | instid1(VALU_DEP_3)
	v_and_b32_e32 v40, 0xffff, v29
	s_waitcnt lgkmcnt(0)
	v_cndmask_b32_e64 v30, v39, 0, vcc_lo
	v_cndmask_b32_e32 v9, v29, v9, vcc_lo
	v_add_nc_u32_e32 v39, 4, v77
	v_dual_cndmask_b32 v7, v40, v7 :: v_dual_add_nc_u32 v6, v6, v30
	ds_bpermute_b32 v29, v38, v7
	v_cmp_eq_u32_e32 vcc_lo, 0, v6
	ds_bpermute_b32 v41, v38, v6
	s_waitcnt lgkmcnt(1)
	v_cndmask_b32_e32 v29, 0, v29, vcc_lo
	v_cmp_gt_u32_e32 vcc_lo, 24, v77
	v_cndmask_b32_e64 v30, 0, 1, vcc_lo
	v_cmp_gt_u32_e32 vcc_lo, v39, v28
	s_delay_alu instid0(VALU_DEP_2) | instskip(SKIP_1) | instid1(VALU_DEP_2)
	v_lshlrev_b32_e32 v30, 3, v30
	v_add_nc_u16 v29, v9, v29
	v_add_lshl_u32 v40, v30, v77, 2
	s_delay_alu instid0(VALU_DEP_2) | instskip(SKIP_3) | instid1(VALU_DEP_3)
	v_and_b32_e32 v42, 0xffff, v29
	s_waitcnt lgkmcnt(0)
	v_cndmask_b32_e64 v30, v41, 0, vcc_lo
	v_cndmask_b32_e32 v9, v29, v9, vcc_lo
	v_cndmask_b32_e32 v7, v42, v7, vcc_lo
	s_delay_alu instid0(VALU_DEP_3)
	v_add_nc_u32_e32 v6, v6, v30
	ds_bpermute_b32 v29, v40, v7
	ds_bpermute_b32 v30, v40, v6
	v_cmp_eq_u32_e32 vcc_lo, 0, v6
	s_waitcnt lgkmcnt(1)
	v_cndmask_b32_e32 v29, 0, v29, vcc_lo
	v_cmp_gt_u32_e32 vcc_lo, 16, v77
	s_delay_alu instid0(VALU_DEP_2) | instskip(SKIP_2) | instid1(VALU_DEP_3)
	v_add_nc_u16 v29, v9, v29
	v_cndmask_b32_e64 v41, 0, 1, vcc_lo
	v_cmp_gt_u32_e32 vcc_lo, v43, v28
	v_and_b32_e32 v42, 0xffff, v29
	s_delay_alu instid0(VALU_DEP_3)
	v_lshlrev_b32_e32 v41, 4, v41
	v_cndmask_b32_e32 v9, v29, v9, vcc_lo
	s_waitcnt lgkmcnt(0)
	v_cndmask_b32_e64 v29, v30, 0, vcc_lo
	v_cndmask_b32_e32 v7, v42, v7, vcc_lo
	v_add_lshl_u32 v44, v41, v77, 2
	s_delay_alu instid0(VALU_DEP_3)
	v_add_nc_u32_e32 v6, v6, v29
	ds_bpermute_b32 v7, v44, v7
	ds_bpermute_b32 v29, v44, v6
	v_cmp_eq_u32_e32 vcc_lo, 0, v6
	s_waitcnt lgkmcnt(1)
	v_cndmask_b32_e32 v7, 0, v7, vcc_lo
	v_cmp_gt_u32_e32 vcc_lo, v45, v28
	s_delay_alu instid0(VALU_DEP_2) | instskip(SKIP_2) | instid1(VALU_DEP_2)
	v_cndmask_b32_e64 v7, v7, 0, vcc_lo
	s_waitcnt lgkmcnt(0)
	v_cndmask_b32_e64 v28, v29, 0, vcc_lo
	v_add_nc_u16 v7, v9, v7
	s_delay_alu instid0(VALU_DEP_2)
	v_add_nc_u32_e32 v6, v28, v6
	v_mov_b32_e32 v28, 0
	s_branch .LBB447_134
.LBB447_133:                            ;   in Loop: Header=BB447_134 Depth=1
	s_or_b32 exec_lo, exec_lo, s15
	ds_bpermute_b32 v9, v34, v7
	ds_bpermute_b32 v30, v34, v6
	v_and_b32_e32 v29, 0xff, v8
	v_cmp_eq_u32_e64 s15, 0, v6
	v_subrev_nc_u32_e32 v27, 32, v27
	s_delay_alu instid0(VALU_DEP_3) | instskip(SKIP_1) | instid1(VALU_DEP_1)
	v_cmp_eq_u16_e32 vcc_lo, 2, v29
	v_and_or_b32 v29, vcc_lo, v35, 0x80000000
	v_ctz_i32_b32_e32 v29, v29
	s_waitcnt lgkmcnt(1)
	v_cndmask_b32_e64 v9, 0, v9, s15
	s_delay_alu instid0(VALU_DEP_2) | instskip(NEXT) | instid1(VALU_DEP_2)
	v_cmp_lt_u32_e32 vcc_lo, v77, v29
	v_add_nc_u16 v9, v9, v7
	s_waitcnt lgkmcnt(0)
	v_cndmask_b32_e32 v30, 0, v30, vcc_lo
	s_delay_alu instid0(VALU_DEP_2) | instskip(NEXT) | instid1(VALU_DEP_2)
	v_and_b32_e32 v46, 0xffff, v9
	v_dual_cndmask_b32 v9, v7, v9 :: v_dual_add_nc_u32 v6, v30, v6
	s_delay_alu instid0(VALU_DEP_2) | instskip(NEXT) | instid1(VALU_DEP_2)
	v_cndmask_b32_e32 v7, v7, v46, vcc_lo
	v_cmp_eq_u32_e32 vcc_lo, 0, v6
	ds_bpermute_b32 v46, v36, v7
	s_waitcnt lgkmcnt(0)
	v_cndmask_b32_e32 v30, 0, v46, vcc_lo
	ds_bpermute_b32 v46, v36, v6
	v_cmp_gt_u32_e32 vcc_lo, v37, v29
	v_add_nc_u16 v30, v30, v9
	s_delay_alu instid0(VALU_DEP_1) | instskip(SKIP_1) | instid1(VALU_DEP_2)
	v_and_b32_e32 v47, 0xffff, v30
	v_cndmask_b32_e32 v9, v30, v9, vcc_lo
	v_cndmask_b32_e32 v7, v47, v7, vcc_lo
	ds_bpermute_b32 v30, v38, v7
	s_waitcnt lgkmcnt(1)
	v_cndmask_b32_e64 v46, v46, 0, vcc_lo
	s_delay_alu instid0(VALU_DEP_1) | instskip(NEXT) | instid1(VALU_DEP_1)
	v_add_nc_u32_e32 v6, v6, v46
	v_cmp_eq_u32_e32 vcc_lo, 0, v6
	ds_bpermute_b32 v46, v38, v6
	s_waitcnt lgkmcnt(1)
	v_cndmask_b32_e32 v30, 0, v30, vcc_lo
	v_cmp_gt_u32_e32 vcc_lo, v39, v29
	s_delay_alu instid0(VALU_DEP_2) | instskip(NEXT) | instid1(VALU_DEP_1)
	v_add_nc_u16 v30, v9, v30
	v_and_b32_e32 v47, 0xffff, v30
	v_cndmask_b32_e32 v9, v30, v9, vcc_lo
	s_waitcnt lgkmcnt(0)
	v_cndmask_b32_e64 v46, v46, 0, vcc_lo
	s_delay_alu instid0(VALU_DEP_1)
	v_dual_cndmask_b32 v7, v47, v7 :: v_dual_add_nc_u32 v6, v6, v46
	ds_bpermute_b32 v30, v40, v7
	v_cmp_eq_u32_e32 vcc_lo, 0, v6
	ds_bpermute_b32 v46, v40, v6
	s_waitcnt lgkmcnt(1)
	v_cndmask_b32_e32 v30, 0, v30, vcc_lo
	v_cmp_gt_u32_e32 vcc_lo, v43, v29
	s_delay_alu instid0(VALU_DEP_2) | instskip(NEXT) | instid1(VALU_DEP_1)
	v_add_nc_u16 v30, v9, v30
	v_and_b32_e32 v47, 0xffff, v30
	v_cndmask_b32_e32 v9, v30, v9, vcc_lo
	s_waitcnt lgkmcnt(0)
	v_cndmask_b32_e64 v30, v46, 0, vcc_lo
	s_delay_alu instid0(VALU_DEP_1)
	v_dual_cndmask_b32 v7, v47, v7 :: v_dual_add_nc_u32 v6, v6, v30
	ds_bpermute_b32 v7, v44, v7
	ds_bpermute_b32 v30, v44, v6
	v_cmp_eq_u32_e32 vcc_lo, 0, v6
	s_waitcnt lgkmcnt(1)
	v_cndmask_b32_e32 v7, 0, v7, vcc_lo
	v_cmp_gt_u32_e32 vcc_lo, v45, v29
	s_delay_alu instid0(VALU_DEP_2) | instskip(NEXT) | instid1(VALU_DEP_1)
	v_cndmask_b32_e64 v7, v7, 0, vcc_lo
	v_add_nc_u16 v7, v9, v7
	s_waitcnt lgkmcnt(0)
	v_cndmask_b32_e64 v9, v30, 0, vcc_lo
	v_cmp_eq_u32_e32 vcc_lo, 0, v42
	s_delay_alu instid0(VALU_DEP_3) | instskip(NEXT) | instid1(VALU_DEP_3)
	v_cndmask_b32_e32 v7, 0, v7, vcc_lo
	v_add3_u32 v6, v6, v42, v9
	s_delay_alu instid0(VALU_DEP_2)
	v_add_nc_u16 v7, v7, v41
.LBB447_134:                            ; =>This Loop Header: Depth=1
                                        ;     Child Loop BB447_137 Depth 2
                                        ;       Child Loop BB447_138 Depth 3
	s_delay_alu instid0(VALU_DEP_1) | instskip(NEXT) | instid1(VALU_DEP_3)
	v_dual_mov_b32 v41, v7 :: v_dual_and_b32 v8, 0xff, v8
	v_mov_b32_e32 v42, v6
	s_delay_alu instid0(VALU_DEP_2) | instskip(SKIP_2) | instid1(VALU_DEP_1)
	v_cmp_ne_u16_e32 vcc_lo, 2, v8
	v_cndmask_b32_e64 v8, 0, 1, vcc_lo
	;;#ASMSTART
	;;#ASMEND
	v_cmp_ne_u32_e32 vcc_lo, 0, v8
	s_cmp_lg_u32 vcc_lo, exec_lo
	s_cbranch_scc1 .LBB447_141
; %bb.135:                              ;   in Loop: Header=BB447_134 Depth=1
	v_lshlrev_b64 v[6:7], 4, v[27:28]
	s_mov_b32 s15, exec_lo
	s_delay_alu instid0(VALU_DEP_1) | instskip(NEXT) | instid1(VALU_DEP_2)
	v_add_co_u32 v29, vcc_lo, s20, v6
	v_add_co_ci_u32_e32 v30, vcc_lo, s21, v7, vcc_lo
	;;#ASMSTART
	global_load_dwordx4 v[6:9], v[29:30] off glc	
s_waitcnt vmcnt(0)
	;;#ASMEND
	v_and_b32_e32 v9, 0xffffff, v6
	v_and_b32_e32 v6, 0xff000000, v6
	;; [unrolled: 1-line block ×4, first 2 shown]
	s_delay_alu instid0(VALU_DEP_3) | instskip(SKIP_1) | instid1(VALU_DEP_3)
	v_or_b32_e32 v6, v9, v6
	v_and_b32_e32 v9, 0xff, v8
	v_or3_b32 v7, 0, v46, v7
	s_delay_alu instid0(VALU_DEP_3) | instskip(NEXT) | instid1(VALU_DEP_3)
	v_or3_b32 v6, v6, 0, 0
	v_cmpx_eq_u16_e32 0, v9
	s_cbranch_execz .LBB447_133
; %bb.136:                              ;   in Loop: Header=BB447_134 Depth=1
	s_mov_b32 s25, 1
	s_mov_b32 s24, 0
	.p2align	6
.LBB447_137:                            ;   Parent Loop BB447_134 Depth=1
                                        ; =>  This Loop Header: Depth=2
                                        ;       Child Loop BB447_138 Depth 3
	s_max_u32 s36, s25, 1
.LBB447_138:                            ;   Parent Loop BB447_134 Depth=1
                                        ;     Parent Loop BB447_137 Depth=2
                                        ; =>    This Inner Loop Header: Depth=3
	s_delay_alu instid0(SALU_CYCLE_1)
	s_add_i32 s36, s36, -1
	s_sleep 1
	s_cmp_eq_u32 s36, 0
	s_cbranch_scc0 .LBB447_138
; %bb.139:                              ;   in Loop: Header=BB447_137 Depth=2
	;;#ASMSTART
	global_load_dwordx4 v[6:9], v[29:30] off glc	
s_waitcnt vmcnt(0)
	;;#ASMEND
	v_and_b32_e32 v9, 0xff, v8
	s_cmp_lt_u32 s25, 32
	s_cselect_b32 s36, -1, 0
	s_delay_alu instid0(SALU_CYCLE_1) | instskip(NEXT) | instid1(VALU_DEP_1)
	s_cmp_lg_u32 s36, 0
	v_cmp_ne_u16_e32 vcc_lo, 0, v9
	s_addc_u32 s25, s25, 0
	s_or_b32 s24, vcc_lo, s24
	s_delay_alu instid0(SALU_CYCLE_1)
	s_and_not1_b32 exec_lo, exec_lo, s24
	s_cbranch_execnz .LBB447_137
; %bb.140:                              ;   in Loop: Header=BB447_134 Depth=1
	s_or_b32 exec_lo, exec_lo, s24
	v_and_b32_e32 v7, 0xffff, v7
	s_branch .LBB447_133
.LBB447_141:                            ;   in Loop: Header=BB447_134 Depth=1
                                        ; implicit-def: $vgpr7
                                        ; implicit-def: $vgpr6
                                        ; implicit-def: $vgpr8
	s_cbranch_execz .LBB447_134
; %bb.142:
	s_and_saveexec_b32 s15, s14
	s_cbranch_execz .LBB447_144
; %bb.143:
	v_cmp_eq_u32_e32 vcc_lo, 0, v5
	s_mov_b32 s25, 0
	s_add_i32 s24, s33, 32
	v_add_nc_u32_e64 v29, 0x400, 0
	s_lshl_b64 s[24:25], s[24:25], 4
	v_dual_cndmask_b32 v6, 0, v41 :: v_dual_mov_b32 v9, 0
	s_add_u32 s24, s20, s24
	s_addc_u32 s25, s21, s25
	v_mov_b32_e32 v30, s23
	s_delay_alu instid0(VALU_DEP_2) | instskip(SKIP_1) | instid1(VALU_DEP_2)
	v_add_nc_u16 v7, v6, s23
	v_add_nc_u32_e32 v6, v42, v5
	v_dual_mov_b32 v8, 2 :: v_dual_and_b32 v27, 0xff00, v7
	v_and_b32_e32 v7, 0xff, v7
	s_delay_alu instid0(VALU_DEP_1)
	v_or_b32_e32 v7, v27, v7
	v_dual_mov_b32 v28, s25 :: v_dual_mov_b32 v27, s24
	;;#ASMSTART
	global_store_dwordx4 v[27:28], v[6:9] off	
s_waitcnt vmcnt(0)
	;;#ASMEND
	ds_store_2addr_b32 v29, v5, v42 offset1:2
	ds_store_b16 v9, v30 offset:1028
	ds_store_b16 v9, v41 offset:1036
.LBB447_144:
	s_or_b32 exec_lo, exec_lo, s15
	s_delay_alu instid0(SALU_CYCLE_1)
	s_and_b32 exec_lo, exec_lo, s2
	s_cbranch_execz .LBB447_146
; %bb.145:
	v_mov_b32_e32 v5, 0
	ds_store_b32 v5, v42 offset:1096
	ds_store_b16 v5, v41 offset:1100
.LBB447_146:
	s_or_b32 exec_lo, exec_lo, s22
	v_mov_b32_e32 v7, 0
	s_waitcnt lgkmcnt(0)
	s_barrier
	buffer_gl0_inv
	v_cndmask_b32_e64 v8, v32, v31, s14
	ds_load_b64 v[5:6], v7 offset:1096
	v_cndmask_b32_e64 v9, v33, v25, s14
	s_waitcnt lgkmcnt(0)
	s_barrier
	v_cmp_eq_u32_e32 vcc_lo, 0, v8
	v_cndmask_b32_e64 v8, v8, 0, s2
	buffer_gl0_inv
	v_cndmask_b32_e32 v25, 0, v6, vcc_lo
	v_cmp_eq_u32_e32 vcc_lo, 0, v76
	v_add_nc_u32_e32 v55, v5, v8
	s_delay_alu instid0(VALU_DEP_3) | instskip(NEXT) | instid1(VALU_DEP_2)
	v_add_nc_u16 v9, v25, v9
	v_add_nc_u32_e32 v51, v55, v76
	s_delay_alu instid0(VALU_DEP_2) | instskip(NEXT) | instid1(VALU_DEP_1)
	v_cndmask_b32_e64 v9, v9, v6, s2
	v_dual_cndmask_b32 v6, 0, v9 :: v_dual_add_nc_u32 v49, v51, v26
	v_and_b32_e32 v56, 0xffff, v9
	s_delay_alu instid0(VALU_DEP_2) | instskip(NEXT) | instid1(VALU_DEP_3)
	v_add_nc_u32_e32 v47, v49, v23
	v_add_nc_u16 v25, v6, v73
	s_delay_alu instid0(VALU_DEP_2) | instskip(NEXT) | instid1(VALU_DEP_2)
	v_add_nc_u32_e32 v35, v47, v24
	v_cndmask_b32_e64 v6, 0, v25, s13
	v_and_b32_e32 v52, 0xffff, v25
	s_delay_alu instid0(VALU_DEP_3) | instskip(NEXT) | instid1(VALU_DEP_3)
	v_add_nc_u32_e32 v33, v35, v21
	v_add_nc_u16 v27, v6, v72
	s_delay_alu instid0(VALU_DEP_2) | instskip(NEXT) | instid1(VALU_DEP_2)
	v_add_nc_u32_e32 v31, v33, v22
	v_cndmask_b32_e64 v6, 0, v27, s12
	v_and_b32_e32 v50, 0xffff, v27
	s_delay_alu instid0(VALU_DEP_3) | instskip(NEXT) | instid1(VALU_DEP_3)
	;; [unrolled: 7-line block ×4, first 2 shown]
	v_add_nc_u32_e32 v39, v43, v15
	v_add_nc_u16 v30, v6, v71
	s_delay_alu instid0(VALU_DEP_2) | instskip(NEXT) | instid1(VALU_DEP_2)
	v_add_nc_u32_e32 v41, v39, v16
	v_cndmask_b32_e64 v6, 0, v30, s9
	s_delay_alu instid0(VALU_DEP_2) | instskip(NEXT) | instid1(VALU_DEP_2)
	v_add_nc_u32_e32 v37, v41, v13
	v_add_nc_u16 v32, v6, v68
	s_delay_alu instid0(VALU_DEP_2) | instskip(NEXT) | instid1(VALU_DEP_2)
	v_add_nc_u32_e32 v29, v37, v14
	v_cndmask_b32_e64 v5, 0, v32, s8
	v_and_b32_e32 v32, 0xffff, v32
	s_delay_alu instid0(VALU_DEP_2) | instskip(NEXT) | instid1(VALU_DEP_1)
	v_add_nc_u16 v38, v5, v69
	v_cndmask_b32_e64 v5, 0, v38, s7
	v_and_b32_e32 v54, 0xffff, v38
	s_delay_alu instid0(VALU_DEP_2) | instskip(NEXT) | instid1(VALU_DEP_1)
	v_add_nc_u16 v40, v5, v66
	;; [unrolled: 4-line block ×3, first 2 shown]
	v_cndmask_b32_e64 v5, 0, v42, s5
	v_and_b32_e32 v46, 0xffff, v42
	s_delay_alu instid0(VALU_DEP_2) | instskip(SKIP_3) | instid1(VALU_DEP_2)
	v_add_nc_u16 v44, v5, v65
	ds_load_b128 v[5:8], v7 offset:1024
	v_cndmask_b32_e64 v34, 0, v44, s4
	v_and_b32_e32 v44, 0xffff, v44
	v_add_nc_u16 v81, v34, v64
	s_delay_alu instid0(VALU_DEP_1) | instskip(SKIP_1) | instid1(VALU_DEP_2)
	v_cndmask_b32_e64 v34, 0, v81, s3
	v_and_b32_e32 v40, 0xffff, v81
	v_add_nc_u16 v82, v34, v63
	s_waitcnt lgkmcnt(0)
	v_cmp_eq_u32_e32 vcc_lo, 0, v5
	s_delay_alu instid0(VALU_DEP_2) | instskip(SKIP_2) | instid1(VALU_DEP_3)
	v_cndmask_b32_e64 v34, 0, v82, s1
	v_cndmask_b32_e32 v8, 0, v8, vcc_lo
	v_and_b32_e32 v42, 0xffff, v82
	v_add_nc_u16 v9, v34, v60
	v_and_b32_e32 v34, 0xffff, v30
	s_delay_alu instid0(VALU_DEP_2) | instskip(SKIP_1) | instid1(VALU_DEP_2)
	v_cndmask_b32_e64 v25, 0, v9, s0
	v_and_b32_e32 v38, 0xffff, v9
	v_add_nc_u16 v25, v25, v59
	s_delay_alu instid0(VALU_DEP_1)
	v_and_b32_e32 v30, 0xffff, v25
	v_add_nc_u32_e32 v25, v8, v6
	s_branch .LBB447_159
.LBB447_147:
                                        ; implicit-def: $vgpr5
                                        ; implicit-def: $vgpr25
                                        ; implicit-def: $vgpr55_vgpr56
                                        ; implicit-def: $vgpr51_vgpr52
                                        ; implicit-def: $vgpr49_vgpr50
                                        ; implicit-def: $vgpr47_vgpr48
                                        ; implicit-def: $vgpr35_vgpr36
                                        ; implicit-def: $vgpr33_vgpr34
                                        ; implicit-def: $vgpr31_vgpr32
                                        ; implicit-def: $vgpr53_vgpr54
                                        ; implicit-def: $vgpr57_vgpr58
                                        ; implicit-def: $vgpr45_vgpr46
                                        ; implicit-def: $vgpr43_vgpr44
                                        ; implicit-def: $vgpr39_vgpr40
                                        ; implicit-def: $vgpr41_vgpr42
                                        ; implicit-def: $vgpr37_vgpr38
                                        ; implicit-def: $vgpr29_vgpr30
	s_cbranch_execz .LBB447_159
; %bb.148:
	s_and_b32 s0, s16, exec_lo
	v_mov_b32_e32 v6, v73
	s_cselect_b32 s1, 0, s35
	s_cselect_b32 s0, 0, s34
	s_delay_alu instid0(SALU_CYCLE_1)
	s_cmp_eq_u64 s[0:1], 0
	s_cbranch_scc1 .LBB447_150
; %bb.149:
	v_mov_b32_e32 v5, 0
	global_load_u16 v6, v5, s[0:1]
.LBB447_150:
	v_cmp_eq_u32_e64 s12, 0, v26
	v_cmp_eq_u32_e64 s11, 0, v23
	;; [unrolled: 1-line block ×5, first 2 shown]
	v_cndmask_b32_e64 v5, 0, v73, s12
	v_cmp_eq_u32_e64 s8, 0, v19
	v_cmp_eq_u32_e64 s6, 0, v20
	v_cmp_eq_u32_e64 s5, 0, v17
	v_cmp_eq_u32_e64 s4, 0, v18
	v_add_nc_u16 v5, v5, v72
	v_cmp_eq_u32_e64 s3, 0, v15
	v_cmp_eq_u32_e64 s1, 0, v16
	v_cmp_eq_u32_e64 s0, 0, v13
	v_cmp_eq_u32_e32 vcc_lo, 0, v14
	v_cndmask_b32_e64 v5, 0, v5, s11
	s_waitcnt lgkmcnt(0)
	v_add3_u32 v7, v80, v22, v19
	v_cmp_eq_u32_e64 s13, 0, v61
	v_and_b32_e32 v25, 15, v77
	v_add_nc_u16 v5, v5, v74
	s_delay_alu instid0(VALU_DEP_4) | instskip(NEXT) | instid1(VALU_DEP_2)
	v_add3_u32 v7, v7, v20, v17
	v_cndmask_b32_e64 v5, 0, v5, s10
	s_delay_alu instid0(VALU_DEP_2) | instskip(NEXT) | instid1(VALU_DEP_2)
	v_add3_u32 v7, v7, v18, v15
	v_add_nc_u16 v5, v5, v70
	s_delay_alu instid0(VALU_DEP_2) | instskip(NEXT) | instid1(VALU_DEP_2)
	v_add3_u32 v7, v7, v16, v13
	v_cndmask_b32_e64 v5, 0, v5, s9
	s_delay_alu instid0(VALU_DEP_2) | instskip(NEXT) | instid1(VALU_DEP_2)
	v_add3_u32 v7, v7, v14, v61
	v_add_nc_u16 v5, v5, v71
	s_delay_alu instid0(VALU_DEP_2) | instskip(NEXT) | instid1(VALU_DEP_2)
	v_mov_b32_dpp v27, v7 row_shr:1 row_mask:0xf bank_mask:0xf
	v_cndmask_b32_e64 v5, 0, v5, s7
	s_delay_alu instid0(VALU_DEP_1) | instskip(NEXT) | instid1(VALU_DEP_1)
	v_add_nc_u16 v5, v5, v68
	v_cndmask_b32_e64 v5, 0, v5, s8
	s_delay_alu instid0(VALU_DEP_1) | instskip(NEXT) | instid1(VALU_DEP_1)
	v_add_nc_u16 v5, v5, v69
	;; [unrolled: 3-line block ×8, first 2 shown]
	v_cndmask_b32_e32 v5, 0, v5, vcc_lo
	s_delay_alu instid0(VALU_DEP_1) | instskip(NEXT) | instid1(VALU_DEP_1)
	v_add_nc_u16 v5, v5, v59
	v_cndmask_b32_e64 v5, 0, v5, s13
	v_cmp_eq_u32_e64 s13, 0, v7
	s_delay_alu instid0(VALU_DEP_2) | instskip(NEXT) | instid1(VALU_DEP_1)
	v_add_nc_u16 v5, v5, v75
	v_and_b32_e32 v8, 0xffff, v5
	s_delay_alu instid0(VALU_DEP_1) | instskip(NEXT) | instid1(VALU_DEP_1)
	v_mov_b32_dpp v9, v8 row_shr:1 row_mask:0xf bank_mask:0xf
	v_cndmask_b32_e64 v9, 0, v9, s13
	v_cmp_eq_u32_e64 s13, 0, v25
	s_delay_alu instid0(VALU_DEP_2) | instskip(NEXT) | instid1(VALU_DEP_2)
	v_add_nc_u16 v9, v9, v5
	v_cndmask_b32_e64 v27, v27, 0, s13
	s_delay_alu instid0(VALU_DEP_2) | instskip(NEXT) | instid1(VALU_DEP_2)
	v_and_b32_e32 v28, 0xffff, v9
	v_add_nc_u32_e32 v7, v27, v7
	v_cndmask_b32_e64 v5, v9, v5, s13
	s_delay_alu instid0(VALU_DEP_3) | instskip(NEXT) | instid1(VALU_DEP_3)
	v_cndmask_b32_e64 v8, v28, v8, s13
	v_cmp_eq_u32_e64 s13, 0, v7
	s_delay_alu instid0(VALU_DEP_2) | instskip(NEXT) | instid1(VALU_DEP_1)
	v_mov_b32_dpp v27, v8 row_shr:2 row_mask:0xf bank_mask:0xf
	v_cndmask_b32_e64 v9, 0, v27, s13
	v_mov_b32_dpp v27, v7 row_shr:2 row_mask:0xf bank_mask:0xf
	v_cmp_lt_u32_e64 s13, 1, v25
	s_delay_alu instid0(VALU_DEP_3) | instskip(NEXT) | instid1(VALU_DEP_1)
	v_add_nc_u16 v9, v9, v5
	v_and_b32_e32 v28, 0xffff, v9
	s_delay_alu instid0(VALU_DEP_3) | instskip(SKIP_1) | instid1(VALU_DEP_3)
	v_cndmask_b32_e64 v5, v5, v9, s13
	v_cndmask_b32_e64 v9, 0, v27, s13
	;; [unrolled: 1-line block ×3, first 2 shown]
	s_delay_alu instid0(VALU_DEP_2) | instskip(NEXT) | instid1(VALU_DEP_2)
	v_add_nc_u32_e32 v7, v7, v9
	v_mov_b32_dpp v9, v8 row_shr:4 row_mask:0xf bank_mask:0xf
	s_delay_alu instid0(VALU_DEP_2) | instskip(SKIP_1) | instid1(VALU_DEP_2)
	v_cmp_eq_u32_e64 s13, 0, v7
	v_mov_b32_dpp v27, v7 row_shr:4 row_mask:0xf bank_mask:0xf
	v_cndmask_b32_e64 v9, 0, v9, s13
	v_cmp_lt_u32_e64 s13, 3, v25
	s_delay_alu instid0(VALU_DEP_2) | instskip(NEXT) | instid1(VALU_DEP_1)
	v_add_nc_u16 v9, v9, v5
	v_and_b32_e32 v28, 0xffff, v9
	s_delay_alu instid0(VALU_DEP_3) | instskip(SKIP_1) | instid1(VALU_DEP_3)
	v_cndmask_b32_e64 v5, v5, v9, s13
	v_cndmask_b32_e64 v9, 0, v27, s13
	;; [unrolled: 1-line block ×3, first 2 shown]
	s_delay_alu instid0(VALU_DEP_2) | instskip(NEXT) | instid1(VALU_DEP_2)
	v_add_nc_u32_e32 v7, v9, v7
	v_mov_b32_dpp v9, v8 row_shr:8 row_mask:0xf bank_mask:0xf
	s_delay_alu instid0(VALU_DEP_2) | instskip(SKIP_1) | instid1(VALU_DEP_2)
	v_cmp_eq_u32_e64 s13, 0, v7
	v_mov_b32_dpp v27, v7 row_shr:8 row_mask:0xf bank_mask:0xf
	v_cndmask_b32_e64 v9, 0, v9, s13
	v_cmp_lt_u32_e64 s13, 7, v25
	s_delay_alu instid0(VALU_DEP_2) | instskip(NEXT) | instid1(VALU_DEP_1)
	v_add_nc_u16 v9, v9, v5
	v_cndmask_b32_e64 v25, v5, v9, s13
	v_cndmask_b32_e64 v5, 0, v27, s13
	v_and_b32_e32 v9, 0xffff, v9
	v_bfe_i32 v27, v77, 4, 1
	s_delay_alu instid0(VALU_DEP_3) | instskip(NEXT) | instid1(VALU_DEP_3)
	v_add_nc_u32_e32 v5, v5, v7
	v_cndmask_b32_e64 v7, v8, v9, s13
	v_and_b32_e32 v9, 16, v77
	ds_swizzle_b32 v8, v5 offset:swizzle(BROADCAST,32,15)
	ds_swizzle_b32 v7, v7 offset:swizzle(BROADCAST,32,15)
	v_cmp_ne_u32_e64 s13, 0, v9
	v_cmp_eq_u32_e64 s14, 0, v5
	s_delay_alu instid0(VALU_DEP_1)
	s_and_b32 s13, s13, s14
	s_mov_b32 s14, exec_lo
	s_waitcnt lgkmcnt(1)
	v_and_b32_e32 v8, v27, v8
	s_waitcnt lgkmcnt(0)
	v_cndmask_b32_e64 v7, 0, v7, s13
	s_delay_alu instid0(VALU_DEP_2) | instskip(NEXT) | instid1(VALU_DEP_2)
	v_add_nc_u32_e32 v5, v8, v5
	v_add_nc_u16 v7, v7, v25
	v_cmpx_eq_u32_e64 v79, v0
	s_cbranch_execz .LBB447_152
; %bb.151:
	v_lshlrev_b32_e32 v8, 3, v78
	ds_store_b32 v8, v5 offset:1040
	ds_store_b16 v8, v7 offset:1044
.LBB447_152:
	s_or_b32 exec_lo, exec_lo, s14
	s_delay_alu instid0(SALU_CYCLE_1)
	s_mov_b32 s15, exec_lo
	s_waitcnt vmcnt(0) lgkmcnt(0)
	s_barrier
	buffer_gl0_inv
	v_cmpx_gt_u32_e32 8, v0
	s_cbranch_execz .LBB447_154
; %bb.153:
	v_lshlrev_b32_e32 v25, 3, v0
	v_and_b32_e32 v30, 7, v77
	ds_load_b64 v[8:9], v25 offset:1040
	v_cmp_lt_u32_e64 s14, 3, v30
	s_waitcnt lgkmcnt(0)
	v_mov_b32_dpp v27, v9 row_shr:1 row_mask:0xf bank_mask:0xf
	v_cmp_eq_u32_e64 s13, 0, v8
	v_and_b32_e32 v28, 0xffff0000, v9
	v_mov_b32_dpp v31, v8 row_shr:1 row_mask:0xf bank_mask:0xf
	s_delay_alu instid0(VALU_DEP_3) | instskip(SKIP_1) | instid1(VALU_DEP_2)
	v_cndmask_b32_e64 v27, 0, v27, s13
	v_cmp_eq_u32_e64 s13, 0, v30
	v_add_nc_u16 v27, v27, v9
	s_delay_alu instid0(VALU_DEP_2) | instskip(NEXT) | instid1(VALU_DEP_2)
	v_cndmask_b32_e64 v31, v31, 0, s13
	v_and_b32_e32 v29, 0xffff, v27
	s_delay_alu instid0(VALU_DEP_2) | instskip(NEXT) | instid1(VALU_DEP_2)
	v_add_nc_u32_e32 v8, v31, v8
	v_or_b32_e32 v29, v28, v29
	s_delay_alu instid0(VALU_DEP_1) | instskip(SKIP_1) | instid1(VALU_DEP_4)
	v_cndmask_b32_e64 v29, v29, v9, s13
	v_cndmask_b32_e64 v9, v27, v9, s13
	v_cmp_eq_u32_e64 s13, 0, v8
	s_delay_alu instid0(VALU_DEP_3) | instskip(NEXT) | instid1(VALU_DEP_1)
	v_mov_b32_dpp v31, v29 row_shr:2 row_mask:0xf bank_mask:0xf
	v_cndmask_b32_e64 v27, 0, v31, s13
	v_mov_b32_dpp v31, v8 row_shr:2 row_mask:0xf bank_mask:0xf
	v_cmp_lt_u32_e64 s13, 1, v30
	s_delay_alu instid0(VALU_DEP_3) | instskip(NEXT) | instid1(VALU_DEP_1)
	v_add_nc_u16 v27, v27, v9
	v_and_b32_e32 v32, 0xffff, v27
	s_delay_alu instid0(VALU_DEP_3) | instskip(SKIP_1) | instid1(VALU_DEP_3)
	v_cndmask_b32_e64 v9, v9, v27, s13
	v_cndmask_b32_e64 v27, 0, v31, s13
	v_or_b32_e32 v28, v28, v32
	s_delay_alu instid0(VALU_DEP_2) | instskip(NEXT) | instid1(VALU_DEP_2)
	v_add_nc_u32_e32 v8, v27, v8
	v_cndmask_b32_e64 v27, v29, v28, s13
	s_delay_alu instid0(VALU_DEP_2) | instskip(SKIP_1) | instid1(VALU_DEP_3)
	v_cmp_eq_u32_e64 s13, 0, v8
	v_mov_b32_dpp v28, v8 row_shr:4 row_mask:0xf bank_mask:0xf
	v_mov_b32_dpp v27, v27 row_shr:4 row_mask:0xf bank_mask:0xf
	s_delay_alu instid0(VALU_DEP_3) | instskip(NEXT) | instid1(VALU_DEP_2)
	s_and_b32 s13, s14, s13
	v_cndmask_b32_e64 v28, 0, v28, s14
	s_delay_alu instid0(VALU_DEP_2) | instskip(NEXT) | instid1(VALU_DEP_2)
	v_cndmask_b32_e64 v27, 0, v27, s13
	v_add_nc_u32_e32 v8, v28, v8
	s_delay_alu instid0(VALU_DEP_2)
	v_add_nc_u16 v9, v9, v27
	ds_store_b32 v25, v8 offset:1040
	ds_store_b16 v25, v9 offset:1044
.LBB447_154:
	s_or_b32 exec_lo, exec_lo, s15
	v_dual_mov_b32 v8, 0 :: v_dual_mov_b32 v9, 0
	v_mov_b32_e32 v25, v6
	s_mov_b32 s14, exec_lo
	s_waitcnt lgkmcnt(0)
	s_barrier
	buffer_gl0_inv
	v_cmpx_lt_u32_e32 31, v0
	s_cbranch_execz .LBB447_156
; %bb.155:
	v_lshlrev_b32_e32 v25, 3, v78
	ds_load_b32 v9, v25 offset:1032
	ds_load_u16 v25, v25 offset:1036
	s_waitcnt lgkmcnt(1)
	v_cmp_eq_u32_e64 s13, 0, v9
	s_delay_alu instid0(VALU_DEP_1) | instskip(SKIP_1) | instid1(VALU_DEP_1)
	v_cndmask_b32_e64 v27, 0, v6, s13
	s_waitcnt lgkmcnt(0)
	v_add_nc_u16 v25, v27, v25
.LBB447_156:
	s_or_b32 exec_lo, exec_lo, s14
	v_add_nc_u32_e32 v27, -1, v77
	v_cmp_eq_u32_e64 s13, 0, v5
	v_add_nc_u32_e32 v5, v9, v5
	s_delay_alu instid0(VALU_DEP_2) | instskip(NEXT) | instid1(VALU_DEP_4)
	v_cndmask_b32_e64 v28, 0, v25, s13
	v_cmp_gt_i32_e64 s13, 0, v27
	s_delay_alu instid0(VALU_DEP_2) | instskip(NEXT) | instid1(VALU_DEP_2)
	v_add_nc_u16 v7, v28, v7
	v_cndmask_b32_e64 v27, v27, v77, s13
	v_cmp_eq_u32_e64 s13, 0, v77
	s_delay_alu instid0(VALU_DEP_3) | instskip(NEXT) | instid1(VALU_DEP_3)
	v_and_b32_e32 v7, 0xffff, v7
	v_lshlrev_b32_e32 v27, 2, v27
	ds_bpermute_b32 v7, v27, v7
	ds_bpermute_b32 v5, v27, v5
	s_waitcnt lgkmcnt(1)
	v_cndmask_b32_e64 v7, v7, v25, s13
	s_waitcnt lgkmcnt(0)
	v_cndmask_b32_e64 v5, v5, v9, s13
	v_cmp_eq_u32_e64 s13, 0, v76
	s_delay_alu instid0(VALU_DEP_3) | instskip(NEXT) | instid1(VALU_DEP_3)
	v_cndmask_b32_e64 v7, v7, v6, s2
	v_cndmask_b32_e64 v55, v5, 0, s2
	s_delay_alu instid0(VALU_DEP_2) | instskip(NEXT) | instid1(VALU_DEP_2)
	v_cndmask_b32_e64 v9, 0, v7, s13
	v_add_nc_u32_e32 v51, v55, v76
	v_and_b32_e32 v56, 0xffff, v7
	s_delay_alu instid0(VALU_DEP_3) | instskip(NEXT) | instid1(VALU_DEP_3)
	v_add_nc_u16 v9, v9, v73
	v_add_nc_u32_e32 v49, v51, v26
	s_delay_alu instid0(VALU_DEP_2) | instskip(NEXT) | instid1(VALU_DEP_2)
	v_cndmask_b32_e64 v25, 0, v9, s12
	v_add_nc_u32_e32 v47, v49, v23
	s_delay_alu instid0(VALU_DEP_2) | instskip(NEXT) | instid1(VALU_DEP_2)
	v_add_nc_u16 v25, v25, v72
	v_add_nc_u32_e32 v35, v47, v24
	s_delay_alu instid0(VALU_DEP_2) | instskip(NEXT) | instid1(VALU_DEP_2)
	v_cndmask_b32_e64 v27, 0, v25, s11
	v_add_nc_u32_e32 v33, v35, v21
	v_and_b32_e32 v50, 0xffff, v25
	s_delay_alu instid0(VALU_DEP_3) | instskip(NEXT) | instid1(VALU_DEP_1)
	v_add_nc_u16 v27, v27, v74
	v_cndmask_b32_e64 v28, 0, v27, s10
	v_and_b32_e32 v48, 0xffff, v27
	s_delay_alu instid0(VALU_DEP_2) | instskip(NEXT) | instid1(VALU_DEP_1)
	v_add_nc_u16 v28, v28, v70
	v_cndmask_b32_e64 v29, 0, v28, s9
	v_and_b32_e32 v36, 0xffff, v28
	s_delay_alu instid0(VALU_DEP_2) | instskip(NEXT) | instid1(VALU_DEP_1)
	;; [unrolled: 4-line block ×3, first 2 shown]
	v_add_nc_u16 v30, v30, v68
	v_cndmask_b32_e64 v31, 0, v30, s8
	s_delay_alu instid0(VALU_DEP_1) | instskip(SKIP_1) | instid1(VALU_DEP_2)
	v_add_nc_u16 v38, v31, v69
	v_add_nc_u32_e32 v31, v33, v22
	v_cndmask_b32_e64 v5, 0, v38, s6
	s_delay_alu instid0(VALU_DEP_2) | instskip(SKIP_1) | instid1(VALU_DEP_3)
	v_add_nc_u32_e32 v53, v31, v19
	v_and_b32_e32 v54, 0xffff, v38
	v_add_nc_u16 v40, v5, v66
	s_delay_alu instid0(VALU_DEP_3) | instskip(NEXT) | instid1(VALU_DEP_2)
	v_add_nc_u32_e32 v57, v53, v20
	v_cndmask_b32_e64 v5, 0, v40, s5
	s_delay_alu instid0(VALU_DEP_2) | instskip(SKIP_1) | instid1(VALU_DEP_3)
	v_add_nc_u32_e32 v45, v57, v17
	v_and_b32_e32 v58, 0xffff, v40
	v_add_nc_u16 v42, v5, v67
	s_delay_alu instid0(VALU_DEP_3) | instskip(NEXT) | instid1(VALU_DEP_2)
	v_add_nc_u32_e32 v43, v45, v18
	v_cndmask_b32_e64 v5, 0, v42, s4
	s_delay_alu instid0(VALU_DEP_2) | instskip(SKIP_1) | instid1(VALU_DEP_3)
	v_add_nc_u32_e32 v39, v43, v15
	v_and_b32_e32 v46, 0xffff, v42
	v_add_nc_u16 v44, v5, v65
	ds_load_b32 v5, v8 offset:1096
	ds_load_u16 v8, v8 offset:1100
	v_add_nc_u32_e32 v41, v39, v16
	v_cndmask_b32_e64 v32, 0, v44, s3
	v_and_b32_e32 v44, 0xffff, v44
	s_delay_alu instid0(VALU_DEP_3) | instskip(NEXT) | instid1(VALU_DEP_3)
	v_add_nc_u32_e32 v37, v41, v13
	v_add_nc_u16 v64, v32, v64
	s_delay_alu instid0(VALU_DEP_2) | instskip(NEXT) | instid1(VALU_DEP_2)
	v_add_nc_u32_e32 v29, v37, v14
	v_cndmask_b32_e64 v32, 0, v64, s1
	v_and_b32_e32 v40, 0xffff, v64
	s_delay_alu instid0(VALU_DEP_2) | instskip(SKIP_3) | instid1(VALU_DEP_3)
	v_add_nc_u16 v63, v32, v63
	s_waitcnt lgkmcnt(1)
	v_cmp_eq_u32_e64 s1, 0, v5
	v_and_b32_e32 v32, 0xffff, v30
	v_cndmask_b32_e64 v7, 0, v63, s0
	s_delay_alu instid0(VALU_DEP_3) | instskip(SKIP_1) | instid1(VALU_DEP_3)
	v_cndmask_b32_e64 v6, 0, v6, s1
	v_and_b32_e32 v42, 0xffff, v63
	v_add_nc_u16 v7, v7, v60
	v_and_b32_e32 v52, 0xffff, v9
	s_waitcnt lgkmcnt(0)
	v_add_nc_u16 v25, v6, v8
	s_delay_alu instid0(VALU_DEP_3) | instskip(SKIP_1) | instid1(VALU_DEP_2)
	v_cndmask_b32_e32 v9, 0, v7, vcc_lo
	v_and_b32_e32 v38, 0xffff, v7
	v_add_nc_u16 v9, v9, v59
	s_delay_alu instid0(VALU_DEP_1)
	v_and_b32_e32 v30, 0xffff, v9
	s_and_saveexec_b32 s0, s2
	s_cbranch_execz .LBB447_158
; %bb.157:
	v_and_b32_e32 v6, 0xff00, v25
	v_dual_mov_b32 v8, 0 :: v_dual_and_b32 v7, 0xff, v25
	s_add_u32 s4, s20, 0x200
	s_addc_u32 s5, s21, 0
	s_delay_alu instid0(VALU_DEP_1)
	v_or_b32_e32 v6, v6, v7
	v_dual_mov_b32 v7, 2 :: v_dual_mov_b32 v28, s5
	v_mov_b32_e32 v27, s4
	;;#ASMSTART
	global_store_dwordx4 v[27:28], v[5:8] off	
s_waitcnt vmcnt(0)
	;;#ASMEND
.LBB447_158:
	s_or_b32 exec_lo, exec_lo, s0
	v_mov_b32_e32 v7, 0
.LBB447_159:
	v_mov_b32_e32 v27, 0
	s_and_b32 s0, s16, exec_lo
	v_mov_b32_e32 v28, 0
	s_cselect_b32 s1, 0, s39
	s_cselect_b32 s0, 0, s38
	s_waitcnt lgkmcnt(0)
	s_cmp_eq_u64 s[0:1], 0
	s_barrier
	buffer_gl0_inv
	s_cbranch_scc1 .LBB447_161
; %bb.160:
	v_mov_b32_e32 v6, 0
	global_load_b64 v[27:28], v6, s[0:1]
.LBB447_161:
	v_cmp_eq_u32_e32 vcc_lo, 0, v76
	s_waitcnt vmcnt(0)
	v_lshlrev_b64 v[59:60], 1, v[27:28]
	v_cmp_ne_u32_e64 s15, 0, v76
	v_cmp_ne_u32_e64 s14, 0, v26
	;; [unrolled: 1-line block ×3, first 2 shown]
	v_cndmask_b32_e64 v6, 1, 2, vcc_lo
	v_cmp_eq_u32_e32 vcc_lo, 0, v26
	v_cmp_ne_u32_e64 s12, 0, v24
	v_cmp_ne_u32_e64 s11, 0, v21
	;; [unrolled: 1-line block ×4, first 2 shown]
	v_cndmask_b32_e64 v8, 1, 2, vcc_lo
	v_cmp_eq_u32_e32 vcc_lo, 0, v23
	v_cmp_ne_u32_e64 s6, 0, v20
	v_cmp_ne_u32_e64 s9, 0, v17
	;; [unrolled: 1-line block ×3, first 2 shown]
	v_and_b32_e32 v6, v8, v6
	v_cndmask_b32_e64 v9, 1, 2, vcc_lo
	v_cmp_eq_u32_e32 vcc_lo, 0, v24
	v_cmp_ne_u32_e64 s5, 0, v15
	v_cmp_ne_u32_e64 s4, 0, v16
	;; [unrolled: 1-line block ×3, first 2 shown]
	v_and_b32_e32 v6, v6, v9
	v_cndmask_b32_e64 v8, 1, 2, vcc_lo
	v_cmp_eq_u32_e32 vcc_lo, 0, v21
	v_cmp_ne_u32_e64 s1, 0, v14
	v_cmp_ne_u32_e64 s0, 0, v61
	s_delay_alu instid0(VALU_DEP_4) | instskip(SKIP_2) | instid1(VALU_DEP_2)
	v_and_b32_e32 v6, v6, v8
	v_cndmask_b32_e64 v9, 1, 2, vcc_lo
	v_cmp_eq_u32_e32 vcc_lo, 0, v22
	v_and_b32_e32 v6, v6, v9
	v_cndmask_b32_e64 v8, 1, 2, vcc_lo
	v_cmp_eq_u32_e32 vcc_lo, 0, v19
	s_delay_alu instid0(VALU_DEP_2) | instskip(SKIP_3) | instid1(VALU_DEP_3)
	v_and_b32_e32 v6, v6, v8
	v_cndmask_b32_e64 v9, 1, 2, vcc_lo
	v_cmp_eq_u32_e32 vcc_lo, 0, v20
	v_mov_b32_e32 v8, 0
	v_and_b32_e32 v6, v6, v9
	v_cndmask_b32_e64 v63, 1, 2, vcc_lo
	v_cmp_eq_u32_e32 vcc_lo, 0, v17
	s_delay_alu instid0(VALU_DEP_2) | instskip(SKIP_2) | instid1(VALU_DEP_2)
	v_and_b32_e32 v6, v6, v63
	v_cndmask_b32_e64 v9, 1, 2, vcc_lo
	v_cmp_eq_u32_e32 vcc_lo, 0, v18
	v_and_b32_e32 v6, v6, v9
	v_cndmask_b32_e64 v63, 1, 2, vcc_lo
	v_cmp_eq_u32_e32 vcc_lo, 0, v15
	s_delay_alu instid0(VALU_DEP_2) | instskip(SKIP_2) | instid1(VALU_DEP_2)
	v_and_b32_e32 v6, v6, v63
	v_cndmask_b32_e64 v9, 1, 2, vcc_lo
	v_cmp_eq_u32_e32 vcc_lo, 0, v16
	v_and_b32_e32 v6, v6, v9
	v_cndmask_b32_e64 v63, 1, 2, vcc_lo
	v_cmp_eq_u32_e32 vcc_lo, 0, v13
	v_lshlrev_b64 v[8:9], 1, v[7:8]
	s_delay_alu instid0(VALU_DEP_3) | instskip(SKIP_2) | instid1(VALU_DEP_2)
	v_and_b32_e32 v6, v6, v63
	v_cndmask_b32_e64 v64, 1, 2, vcc_lo
	v_cmp_eq_u32_e32 vcc_lo, 0, v14
	v_and_b32_e32 v64, v6, v64
	v_cndmask_b32_e64 v65, 1, 2, vcc_lo
	v_add_co_u32 v63, vcc_lo, s18, v59
	v_add_co_ci_u32_e32 v66, vcc_lo, s19, v60, vcc_lo
	s_delay_alu instid0(VALU_DEP_3) | instskip(NEXT) | instid1(VALU_DEP_3)
	v_and_b32_e32 v64, v64, v65
	v_add_co_u32 v6, vcc_lo, v63, v8
	s_delay_alu instid0(VALU_DEP_3) | instskip(SKIP_4) | instid1(VALU_DEP_2)
	v_add_co_ci_u32_e32 v63, vcc_lo, v66, v9, vcc_lo
	v_cmp_eq_u32_e32 vcc_lo, 0, v61
	s_mov_b32 s18, -1
	v_cndmask_b32_e64 v65, 1, 2, vcc_lo
	v_cmp_gt_u32_e32 vcc_lo, 0x100, v5
	v_and_b32_e32 v64, v64, v65
	s_delay_alu instid0(VALU_DEP_1)
	v_cmp_gt_i16_e64 s16, 2, v64
	s_cbranch_vccz .LBB447_168
; %bb.162:
	s_delay_alu instid0(VALU_DEP_1)
	s_and_saveexec_b32 s18, s16
	s_cbranch_execz .LBB447_167
; %bb.163:
	s_mov_b32 s19, 0
	s_mov_b32 s16, exec_lo
	v_cmpx_ne_u16_e32 1, v64
	s_xor_b32 s16, exec_lo, s16
	s_cbranch_execnz .LBB447_257
; %bb.164:
	s_and_not1_saveexec_b32 s16, s16
	s_cbranch_execnz .LBB447_273
.LBB447_165:
	s_or_b32 exec_lo, exec_lo, s16
	s_delay_alu instid0(SALU_CYCLE_1)
	s_and_b32 exec_lo, exec_lo, s19
	s_cbranch_execz .LBB447_167
.LBB447_166:
	v_sub_nc_u32_e32 v65, v29, v7
	v_mov_b32_e32 v66, 0
	s_delay_alu instid0(VALU_DEP_1) | instskip(NEXT) | instid1(VALU_DEP_1)
	v_lshlrev_b64 v[65:66], 1, v[65:66]
	v_add_co_u32 v65, vcc_lo, v6, v65
	s_delay_alu instid0(VALU_DEP_2)
	v_add_co_ci_u32_e32 v66, vcc_lo, v63, v66, vcc_lo
	global_store_d16_hi_b16 v[65:66], v12, off
.LBB447_167:
	s_or_b32 exec_lo, exec_lo, s18
	s_mov_b32 s18, 0
.LBB447_168:
	s_delay_alu instid0(SALU_CYCLE_1)
	s_and_b32 vcc_lo, exec_lo, s18
	s_cbranch_vccz .LBB447_190
; %bb.169:
	s_mov_b32 s16, exec_lo
	v_cmpx_gt_i16_e32 2, v64
	s_cbranch_execz .LBB447_174
; %bb.170:
	s_mov_b32 s19, 0
	s_mov_b32 s18, exec_lo
	v_cmpx_ne_u16_e32 1, v64
	s_xor_b32 s18, exec_lo, s18
	s_cbranch_execnz .LBB447_274
; %bb.171:
	s_and_not1_saveexec_b32 s0, s18
	s_cbranch_execnz .LBB447_290
.LBB447_172:
	s_or_b32 exec_lo, exec_lo, s0
	s_delay_alu instid0(SALU_CYCLE_1)
	s_and_b32 exec_lo, exec_lo, s19
	s_cbranch_execz .LBB447_174
.LBB447_173:
	v_sub_nc_u32_e32 v1, v29, v7
	s_delay_alu instid0(VALU_DEP_1)
	v_lshlrev_b32_e32 v1, 1, v1
	ds_store_b16_d16_hi v1, v12
.LBB447_174:
	s_or_b32 exec_lo, exec_lo, s16
	s_delay_alu instid0(SALU_CYCLE_1)
	s_mov_b32 s1, exec_lo
	s_waitcnt lgkmcnt(0)
	s_waitcnt_vscnt null, 0x0
	s_barrier
	buffer_gl0_inv
	v_cmpx_lt_u32_e64 v0, v5
	s_cbranch_execz .LBB447_189
; %bb.175:
	v_xad_u32 v2, v0, -1, v5
	v_mov_b32_e32 v1, v0
	s_mov_b32 s0, -1
	s_mov_b32 s4, exec_lo
	s_delay_alu instid0(VALU_DEP_2)
	v_cmp_gt_u32_e64 s3, 0x1900, v2
	v_cmpx_lt_u32_e32 0x18ff, v2
	s_cbranch_execz .LBB447_186
; %bb.176:
	v_sub_nc_u32_e32 v1, v0, v5
	s_delay_alu instid0(VALU_DEP_1) | instskip(NEXT) | instid1(VALU_DEP_1)
	v_or_b32_e32 v1, 0xff, v1
	v_cmp_ge_u32_e32 vcc_lo, v1, v0
	v_mov_b32_e32 v1, v0
	s_and_saveexec_b32 s5, vcc_lo
	s_cbranch_execz .LBB447_185
; %bb.177:
	v_lshrrev_b32_e32 v4, 8, v2
	v_or_b32_e32 v1, 0x100, v0
	s_delay_alu instid0(VALU_DEP_2) | instskip(NEXT) | instid1(VALU_DEP_1)
	v_dual_mov_b32 v65, 0 :: v_dual_add_nc_u32 v2, -1, v4
	v_lshrrev_b32_e32 v3, 1, v2
	v_cmp_lt_u32_e32 vcc_lo, 13, v2
	s_delay_alu instid0(VALU_DEP_2)
	v_dual_mov_b32 v3, v1 :: v_dual_add_nc_u32 v12, 1, v3
	v_mov_b32_e32 v2, v0
	s_and_saveexec_b32 s0, vcc_lo
	s_cbranch_execz .LBB447_181
; %bb.178:
	v_dual_mov_b32 v3, v1 :: v_dual_lshlrev_b32 v64, 1, v0
	v_dual_mov_b32 v11, 0 :: v_dual_and_b32 v62, -8, v12
	v_mov_b32_e32 v2, v0
	s_mov_b32 s6, 0
	s_mov_b32 s7, 0
.LBB447_179:                            ; =>This Inner Loop Header: Depth=1
	s_delay_alu instid0(VALU_DEP_1) | instskip(SKIP_2) | instid1(VALU_DEP_3)
	v_dual_mov_b32 v10, v2 :: v_dual_mov_b32 v67, v11
	v_add_nc_u32_e32 v62, -8, v62
	v_dual_mov_b32 v69, v11 :: v_dual_add_nc_u32 v66, 0x200, v3
	v_lshlrev_b64 v[81:82], 1, v[10:11]
	v_dual_mov_b32 v71, v11 :: v_dual_add_nc_u32 v68, 0x400, v3
	s_delay_alu instid0(VALU_DEP_4) | instskip(NEXT) | instid1(VALU_DEP_4)
	v_cmp_eq_u32_e32 vcc_lo, 0, v62
	v_lshlrev_b64 v[66:67], 1, v[66:67]
	v_dual_mov_b32 v73, v11 :: v_dual_add_nc_u32 v70, 0x600, v3
	s_add_i32 s7, s7, 16
	v_lshlrev_b64 v[68:69], 1, v[68:69]
	s_or_b32 s6, vcc_lo, s6
	v_add_co_u32 v81, vcc_lo, v6, v81
	v_dual_mov_b32 v75, v11 :: v_dual_add_nc_u32 v72, 0x800, v3
	v_add_co_ci_u32_e32 v82, vcc_lo, v63, v82, vcc_lo
	v_lshlrev_b64 v[70:71], 1, v[70:71]
	v_add_co_u32 v66, vcc_lo, v6, v66
	v_dual_mov_b32 v65, s7 :: v_dual_add_nc_u32 v74, 0xa00, v3
	v_add_co_ci_u32_e32 v67, vcc_lo, v63, v67, vcc_lo
	v_lshlrev_b64 v[72:73], 1, v[72:73]
	;; [unrolled: 4-line block ×3, first 2 shown]
	v_add_co_u32 v70, vcc_lo, v6, v70
	v_dual_mov_b32 v80, v11 :: v_dual_add_nc_u32 v79, 0xe00, v3
	v_dual_mov_b32 v10, v3 :: v_dual_add_nc_u32 v3, 0x1000, v3
	v_add_co_ci_u32_e32 v71, vcc_lo, v63, v71, vcc_lo
	v_lshlrev_b64 v[77:78], 1, v[77:78]
	v_add_co_u32 v72, vcc_lo, v6, v72
	ds_load_u16 v1, v64
	ds_load_u16 v87, v64 offset:512
	ds_load_u16 v88, v64 offset:1024
	;; [unrolled: 1-line block ×7, first 2 shown]
	v_add_co_ci_u32_e32 v73, vcc_lo, v63, v73, vcc_lo
	v_lshlrev_b64 v[79:80], 1, v[79:80]
	v_add_co_u32 v74, vcc_lo, v6, v74
	v_lshlrev_b64 v[83:84], 1, v[10:11]
	v_add_nc_u32_e32 v10, 0x200, v2
	v_add_co_ci_u32_e32 v75, vcc_lo, v63, v75, vcc_lo
	v_add_co_u32 v77, vcc_lo, v6, v77
	v_add_co_ci_u32_e32 v78, vcc_lo, v63, v78, vcc_lo
	v_add_co_u32 v79, vcc_lo, v6, v79
	v_lshlrev_b64 v[85:86], 1, v[10:11]
	v_add_nc_u32_e32 v10, 0x400, v2
	v_add_co_ci_u32_e32 v80, vcc_lo, v63, v80, vcc_lo
	v_add_co_u32 v83, vcc_lo, v6, v83
	ds_load_u16 v94, v64 offset:4096
	ds_load_u16 v95, v64 offset:4608
	;; [unrolled: 1-line block ×8, first 2 shown]
	v_add_co_ci_u32_e32 v84, vcc_lo, v63, v84, vcc_lo
	s_waitcnt lgkmcnt(15)
	global_store_b16 v[81:82], v1, off
	v_lshlrev_b64 v[81:82], 1, v[10:11]
	v_add_nc_u32_e32 v10, 0x600, v2
	v_add_co_u32 v85, vcc_lo, v6, v85
	v_add_co_ci_u32_e32 v86, vcc_lo, v63, v86, vcc_lo
	s_waitcnt lgkmcnt(14)
	global_store_b16 v[83:84], v87, off
	v_lshlrev_b64 v[83:84], 1, v[10:11]
	v_add_nc_u32_e32 v10, 0x800, v2
	s_waitcnt lgkmcnt(13)
	global_store_b16 v[85:86], v88, off
	s_waitcnt lgkmcnt(12)
	global_store_b16 v[66:67], v89, off
	v_add_co_u32 v66, vcc_lo, v6, v81
	v_add_co_ci_u32_e32 v67, vcc_lo, v63, v82, vcc_lo
	v_lshlrev_b64 v[81:82], 1, v[10:11]
	v_add_nc_u32_e32 v10, 0xa00, v2
	v_add_co_u32 v83, vcc_lo, v6, v83
	v_add_co_ci_u32_e32 v84, vcc_lo, v63, v84, vcc_lo
	s_waitcnt lgkmcnt(11)
	global_store_b16 v[66:67], v90, off
	s_waitcnt lgkmcnt(10)
	global_store_b16 v[68:69], v91, off
	v_lshlrev_b64 v[66:67], 1, v[10:11]
	v_add_nc_u32_e32 v10, 0xc00, v2
	v_add_co_u32 v68, vcc_lo, v6, v81
	s_waitcnt lgkmcnt(9)
	global_store_b16 v[83:84], v92, off
	s_waitcnt lgkmcnt(8)
	global_store_b16 v[70:71], v93, off
	v_add_co_ci_u32_e32 v69, vcc_lo, v63, v82, vcc_lo
	v_lshlrev_b64 v[70:71], 1, v[10:11]
	v_add_nc_u32_e32 v10, 0xe00, v2
	v_add_co_u32 v66, vcc_lo, v6, v66
	v_add_co_ci_u32_e32 v67, vcc_lo, v63, v67, vcc_lo
	s_waitcnt lgkmcnt(7)
	global_store_b16 v[68:69], v94, off
	s_waitcnt lgkmcnt(6)
	global_store_b16 v[72:73], v95, off
	v_lshlrev_b64 v[68:69], 1, v[10:11]
	v_add_nc_u32_e32 v64, 0x2000, v64
	s_waitcnt lgkmcnt(5)
	global_store_b16 v[66:67], v96, off
	v_add_co_u32 v66, vcc_lo, v6, v70
	v_add_nc_u32_e32 v2, 0x1000, v2
	v_add_co_ci_u32_e32 v67, vcc_lo, v63, v71, vcc_lo
	v_add_co_u32 v68, vcc_lo, v6, v68
	v_add_co_ci_u32_e32 v69, vcc_lo, v63, v69, vcc_lo
	s_waitcnt lgkmcnt(4)
	global_store_b16 v[74:75], v97, off
	s_waitcnt lgkmcnt(3)
	global_store_b16 v[66:67], v98, off
	;; [unrolled: 2-line block ×5, first 2 shown]
	s_and_not1_b32 exec_lo, exec_lo, s6
	s_cbranch_execnz .LBB447_179
; %bb.180:
	s_or_b32 exec_lo, exec_lo, s6
.LBB447_181:
	s_delay_alu instid0(SALU_CYCLE_1) | instskip(SKIP_3) | instid1(VALU_DEP_1)
	s_or_b32 exec_lo, exec_lo, s0
	v_and_b32_e32 v1, 7, v12
	s_mov_b32 s7, 0
	s_mov_b32 s6, exec_lo
	v_cmpx_ne_u32_e32 0, v1
	s_cbranch_execz .LBB447_184
; %bb.182:
	v_dual_mov_b32 v11, 0 :: v_dual_lshlrev_b32 v10, 1, v0
	s_delay_alu instid0(VALU_DEP_1)
	v_lshl_or_b32 v12, v65, 9, v10
	s_set_inst_prefetch_distance 0x1
	.p2align	6
.LBB447_183:                            ; =>This Inner Loop Header: Depth=1
	v_dual_mov_b32 v10, v2 :: v_dual_add_nc_u32 v1, -1, v1
	ds_load_u16 v62, v12
	ds_load_u16 v68, v12 offset:512
	v_add_nc_u32_e32 v2, 0x200, v2
	v_add_nc_u32_e32 v12, 0x400, v12
	v_lshlrev_b64 v[64:65], 1, v[10:11]
	v_dual_mov_b32 v10, v3 :: v_dual_add_nc_u32 v3, 0x200, v3
	v_cmp_eq_u32_e32 vcc_lo, 0, v1
	s_delay_alu instid0(VALU_DEP_2) | instskip(NEXT) | instid1(VALU_DEP_4)
	v_lshlrev_b64 v[66:67], 1, v[10:11]
	v_add_co_u32 v64, s0, v6, v64
	s_delay_alu instid0(VALU_DEP_1) | instskip(SKIP_1) | instid1(VALU_DEP_3)
	v_add_co_ci_u32_e64 v65, s0, v63, v65, s0
	s_or_b32 s7, vcc_lo, s7
	v_add_co_u32 v66, s0, v6, v66
	s_delay_alu instid0(VALU_DEP_1)
	v_add_co_ci_u32_e64 v67, s0, v63, v67, s0
	s_waitcnt lgkmcnt(1)
	global_store_b16 v[64:65], v62, off
	s_waitcnt lgkmcnt(0)
	global_store_b16 v[66:67], v68, off
	s_and_not1_b32 exec_lo, exec_lo, s7
	s_cbranch_execnz .LBB447_183
.LBB447_184:
	s_set_inst_prefetch_distance 0x2
	s_or_b32 exec_lo, exec_lo, s6
	v_add_nc_u32_e32 v1, 1, v4
	s_delay_alu instid0(VALU_DEP_1) | instskip(NEXT) | instid1(VALU_DEP_1)
	v_and_b32_e32 v2, 0x1fffffe, v1
	v_cmp_ne_u32_e32 vcc_lo, v1, v2
	v_lshl_or_b32 v1, v2, 8, v0
	s_or_not1_b32 s0, vcc_lo, exec_lo
.LBB447_185:
	s_or_b32 exec_lo, exec_lo, s5
	s_delay_alu instid0(SALU_CYCLE_1) | instskip(SKIP_1) | instid1(SALU_CYCLE_1)
	s_and_not1_b32 s3, s3, exec_lo
	s_and_b32 s0, s0, exec_lo
	s_or_b32 s3, s3, s0
.LBB447_186:
	s_or_b32 exec_lo, exec_lo, s4
	s_delay_alu instid0(VALU_DEP_2) | instid1(SALU_CYCLE_1)
	s_and_b32 exec_lo, exec_lo, s3
	s_cbranch_execz .LBB447_189
; %bb.187:
	v_dual_mov_b32 v2, 0 :: v_dual_lshlrev_b32 v3, 1, v1
	s_mov_b32 s3, 0
	.p2align	6
.LBB447_188:                            ; =>This Inner Loop Header: Depth=1
	ds_load_u16 v4, v3
	v_lshlrev_b64 v[10:11], 1, v[1:2]
	v_add_nc_u32_e32 v1, 0x100, v1
	v_add_nc_u32_e32 v3, 0x200, v3
	s_delay_alu instid0(VALU_DEP_2) | instskip(NEXT) | instid1(VALU_DEP_4)
	v_cmp_ge_u32_e32 vcc_lo, v1, v5
	v_add_co_u32 v10, s0, v6, v10
	s_delay_alu instid0(VALU_DEP_1)
	v_add_co_ci_u32_e64 v11, s0, v63, v11, s0
	s_or_b32 s3, vcc_lo, s3
	s_waitcnt lgkmcnt(0)
	global_store_b16 v[10:11], v4, off
	s_and_not1_b32 exec_lo, exec_lo, s3
	s_cbranch_execnz .LBB447_188
.LBB447_189:
	s_or_b32 exec_lo, exec_lo, s1
.LBB447_190:
	s_cmpk_lg_i32 s26, 0xf00
	v_cndmask_b32_e64 v2, 0, 1, s27
	s_cselect_b32 s0, -1, 0
	v_mad_i32_i24 v6, v0, -15, s26
	s_and_b32 s0, s0, s17
	s_and_b32 s1, s2, s27
	v_cndmask_b32_e64 v1, 0, 1, s0
	s_mul_hi_u32 s0, s26, 0x88888889
	v_sub_nc_u32_e32 v3, v5, v2
	s_lshr_b32 s0, s0, 3
	v_cndmask_b32_e64 v10, v76, 0, s1
	v_cmp_eq_u32_e32 vcc_lo, s0, v0
	v_cmp_ne_u32_e64 s0, 0, v6
	s_mov_b32 s16, -1
	s_waitcnt_vscnt null, 0x0
	s_barrier
	s_and_b32 vcc_lo, vcc_lo, s17
	v_add_nc_u32_e32 v4, v3, v1
	v_cndmask_b32_e64 v3, 1, v10, s0
	v_cmp_ne_u32_e64 s0, 1, v6
	buffer_gl0_inv
	v_cndmask_b32_e64 v11, 1, v26, s0
	v_cmp_ne_u32_e64 s0, 14, v6
	s_delay_alu instid0(VALU_DEP_2) | instskip(NEXT) | instid1(VALU_DEP_2)
	v_cndmask_b32_e32 v26, v26, v11, vcc_lo
	v_cndmask_b32_e64 v12, 1, v61, s0
	v_cmp_ne_u32_e64 s0, 2, v6
	s_delay_alu instid0(VALU_DEP_2) | instskip(NEXT) | instid1(VALU_DEP_2)
	v_cndmask_b32_e32 v61, v61, v12, vcc_lo
	v_cndmask_b32_e64 v62, 1, v23, s0
	v_cmp_ne_u32_e64 s0, 3, v6
	s_delay_alu instid0(VALU_DEP_2) | instskip(NEXT) | instid1(VALU_DEP_2)
	v_dual_cndmask_b32 v64, v10, v3 :: v_dual_cndmask_b32 v23, v23, v62
	v_cndmask_b32_e64 v63, 1, v24, s0
	v_cmp_ne_u32_e64 s0, 4, v6
	s_delay_alu instid0(VALU_DEP_3) | instskip(NEXT) | instid1(VALU_DEP_4)
	v_cmp_ne_u32_e64 s14, 0, v64
	v_cmp_ne_u32_e64 s12, 0, v23
	s_delay_alu instid0(VALU_DEP_3) | instskip(SKIP_1) | instid1(VALU_DEP_1)
	v_cndmask_b32_e64 v3, 1, v21, s0
	v_cmp_ne_u32_e64 s0, 5, v6
	v_cndmask_b32_e64 v10, 1, v22, s0
	v_cmp_eq_u32_e64 s0, 0, v64
	s_delay_alu instid0(VALU_DEP_2) | instskip(NEXT) | instid1(VALU_DEP_2)
	v_cndmask_b32_e32 v22, v22, v10, vcc_lo
	v_cndmask_b32_e64 v11, 1, 2, s0
	v_cmp_eq_u32_e64 s0, 0, v26
	s_delay_alu instid0(VALU_DEP_3) | instskip(NEXT) | instid1(VALU_DEP_2)
	v_cmp_ne_u32_e64 s9, 0, v22
	v_cndmask_b32_e64 v12, 1, 2, s0
	v_cmp_ne_u32_e64 s0, 6, v6
	s_delay_alu instid0(VALU_DEP_2) | instskip(NEXT) | instid1(VALU_DEP_2)
	v_and_b32_e32 v11, v12, v11
	v_cndmask_b32_e64 v62, 1, v19, s0
	v_cmp_eq_u32_e64 s0, 0, v23
	s_delay_alu instid0(VALU_DEP_2) | instskip(NEXT) | instid1(VALU_DEP_2)
	v_dual_cndmask_b32 v24, v24, v63 :: v_dual_cndmask_b32 v19, v19, v62
	v_cndmask_b32_e64 v12, 1, 2, s0
	v_cmp_ne_u32_e64 s0, 7, v6
	s_delay_alu instid0(VALU_DEP_3) | instskip(NEXT) | instid1(VALU_DEP_4)
	v_cmp_ne_u32_e64 s11, 0, v24
	v_cmp_ne_u32_e64 s8, 0, v19
	s_delay_alu instid0(VALU_DEP_4) | instskip(NEXT) | instid1(VALU_DEP_4)
	v_and_b32_e32 v11, v11, v12
	v_cndmask_b32_e64 v63, 1, v20, s0
	v_cmp_ne_u32_e64 s0, 8, v6
	v_cmp_ne_u32_e64 s13, 0, v26
	s_delay_alu instid0(VALU_DEP_2) | instskip(SKIP_1) | instid1(VALU_DEP_2)
	v_cndmask_b32_e64 v65, 1, v17, s0
	v_cmp_eq_u32_e64 s0, 0, v24
	v_dual_cndmask_b32 v20, v20, v63 :: v_dual_cndmask_b32 v17, v17, v65
	s_delay_alu instid0(VALU_DEP_2) | instskip(SKIP_2) | instid1(VALU_DEP_4)
	v_cndmask_b32_e64 v12, 1, 2, s0
	v_cndmask_b32_e32 v21, v21, v3, vcc_lo
	v_cmp_ne_u32_e64 s0, 9, v6
	v_cmp_ne_u32_e64 s7, 0, v20
	;; [unrolled: 1-line block ×3, first 2 shown]
	v_and_b32_e32 v10, v11, v12
	v_cmp_ne_u32_e64 s10, 0, v21
	v_cndmask_b32_e64 v3, 1, v18, s0
	v_cmp_eq_u32_e64 s0, 0, v21
	s_delay_alu instid0(VALU_DEP_2) | instskip(NEXT) | instid1(VALU_DEP_2)
	v_cndmask_b32_e32 v18, v18, v3, vcc_lo
	v_cndmask_b32_e64 v11, 1, 2, s0
	v_cmp_ne_u32_e64 s0, 10, v6
	s_delay_alu instid0(VALU_DEP_1) | instskip(SKIP_1) | instid1(VALU_DEP_2)
	v_cndmask_b32_e64 v12, 1, v15, s0
	v_cmp_ne_u32_e64 s0, 12, v6
	v_cndmask_b32_e32 v15, v15, v12, vcc_lo
	s_delay_alu instid0(VALU_DEP_2) | instskip(SKIP_2) | instid1(VALU_DEP_4)
	v_cndmask_b32_e64 v66, 1, v13, s0
	v_cmp_eq_u32_e64 s0, 0, v22
	v_and_b32_e32 v10, v10, v11
	v_cmp_ne_u32_e64 s4, 0, v15
	s_delay_alu instid0(VALU_DEP_4) | instskip(NEXT) | instid1(VALU_DEP_4)
	v_cndmask_b32_e32 v13, v13, v66, vcc_lo
	v_cndmask_b32_e64 v11, 1, 2, s0
	v_cmp_ne_u32_e64 s0, 13, v6
	s_delay_alu instid0(VALU_DEP_3) | instskip(NEXT) | instid1(VALU_DEP_3)
	v_cmp_ne_u32_e64 s2, 0, v13
	v_and_b32_e32 v10, v10, v11
	s_delay_alu instid0(VALU_DEP_3) | instskip(SKIP_1) | instid1(VALU_DEP_2)
	v_cndmask_b32_e64 v62, 1, v14, s0
	v_cmp_eq_u32_e64 s0, 0, v19
	v_cndmask_b32_e32 v14, v14, v62, vcc_lo
	s_delay_alu instid0(VALU_DEP_2) | instskip(SKIP_1) | instid1(VALU_DEP_3)
	v_cndmask_b32_e64 v11, 1, 2, s0
	v_cmp_ne_u32_e64 s0, 11, v6
	v_cmp_ne_u32_e64 s1, 0, v14
	s_delay_alu instid0(VALU_DEP_3) | instskip(NEXT) | instid1(VALU_DEP_3)
	v_and_b32_e32 v10, v10, v11
	v_cndmask_b32_e64 v6, 1, v16, s0
	v_cmp_eq_u32_e64 s0, 0, v20
	s_delay_alu instid0(VALU_DEP_1) | instskip(NEXT) | instid1(VALU_DEP_3)
	v_cndmask_b32_e64 v11, 1, 2, s0
	v_cndmask_b32_e32 v16, v16, v6, vcc_lo
	v_cmp_eq_u32_e32 vcc_lo, 0, v17
	v_cmp_ne_u32_e64 s0, 0, v61
	s_delay_alu instid0(VALU_DEP_4) | instskip(NEXT) | instid1(VALU_DEP_4)
	v_and_b32_e32 v3, v10, v11
	v_cmp_ne_u32_e64 s3, 0, v16
	v_cndmask_b32_e64 v6, 1, 2, vcc_lo
	v_add_co_u32 v10, vcc_lo, s28, v59
	v_add_co_ci_u32_e32 v11, vcc_lo, s29, v60, vcc_lo
	s_delay_alu instid0(VALU_DEP_3)
	v_and_b32_e32 v3, v3, v6
	v_cmp_eq_u32_e32 vcc_lo, 0, v18
	v_cmp_ne_u32_e64 s5, 0, v18
	v_cndmask_b32_e64 v6, 1, 2, vcc_lo
	v_add_co_u32 v10, vcc_lo, v10, v8
	v_add_co_ci_u32_e32 v11, vcc_lo, v11, v9, vcc_lo
	v_lshlrev_b32_e32 v8, 1, v2
	v_cmp_eq_u32_e32 vcc_lo, 0, v15
	v_and_b32_e32 v3, v3, v6
	v_cndmask_b32_e64 v6, 1, 2, vcc_lo
	s_delay_alu instid0(VALU_DEP_4) | instskip(SKIP_2) | instid1(VALU_DEP_4)
	v_add_co_u32 v8, vcc_lo, v8, v10
	v_add_co_ci_u32_e32 v9, vcc_lo, 0, v11, vcc_lo
	v_cmp_eq_u32_e32 vcc_lo, 0, v16
	v_and_b32_e32 v59, v3, v6
	v_add_nc_u32_e32 v3, v7, v2
	v_cndmask_b32_e64 v60, 1, 2, vcc_lo
	v_add_co_u32 v6, vcc_lo, v8, -2
	v_add_co_ci_u32_e32 v12, vcc_lo, -1, v9, vcc_lo
	v_cmp_eq_u32_e32 vcc_lo, 0, v13
	s_delay_alu instid0(VALU_DEP_4) | instskip(SKIP_2) | instid1(VALU_DEP_2)
	v_and_b32_e32 v8, v59, v60
	v_cndmask_b32_e64 v9, 1, 2, vcc_lo
	v_cmp_eq_u32_e32 vcc_lo, 0, v14
	v_and_b32_e32 v8, v8, v9
	v_cndmask_b32_e64 v9, 1, 2, vcc_lo
	v_cmp_eq_u32_e32 vcc_lo, 0, v61
	s_delay_alu instid0(VALU_DEP_2) | instskip(SKIP_2) | instid1(VALU_DEP_2)
	v_and_b32_e32 v8, v8, v9
	v_cndmask_b32_e64 v9, 1, 2, vcc_lo
	v_cmp_gt_u32_e32 vcc_lo, 0x100, v4
	v_and_b32_e32 v8, v8, v9
	s_delay_alu instid0(VALU_DEP_1)
	v_cmp_gt_i16_e64 s15, 2, v8
	s_cbranch_vccnz .LBB447_194
; %bb.191:
	s_and_b32 vcc_lo, exec_lo, s16
	s_cbranch_vccnz .LBB447_200
.LBB447_192:
	v_cmp_eq_u32_e32 vcc_lo, 0xff, v0
	s_and_b32 s0, vcc_lo, s17
	s_delay_alu instid0(SALU_CYCLE_1)
	s_and_saveexec_b32 s1, s0
	s_cbranch_execnz .LBB447_221
.LBB447_193:
	s_nop 0
	s_sendmsg sendmsg(MSG_DEALLOC_VGPRS)
	s_endpgm
.LBB447_194:
	s_delay_alu instid0(VALU_DEP_1)
	s_and_saveexec_b32 s16, s15
	s_cbranch_execz .LBB447_199
; %bb.195:
	s_mov_b32 s18, 0
	s_mov_b32 s15, exec_lo
	v_cmpx_ne_u16_e32 1, v8
	s_xor_b32 s15, exec_lo, s15
	s_cbranch_execnz .LBB447_291
; %bb.196:
	s_and_not1_saveexec_b32 s15, s15
	s_cbranch_execnz .LBB447_307
.LBB447_197:
	s_or_b32 exec_lo, exec_lo, s15
	s_delay_alu instid0(SALU_CYCLE_1)
	s_and_b32 exec_lo, exec_lo, s18
	s_cbranch_execz .LBB447_199
.LBB447_198:
	v_sub_nc_u32_e32 v13, v29, v3
	v_mov_b32_e32 v14, 0
	s_delay_alu instid0(VALU_DEP_1) | instskip(NEXT) | instid1(VALU_DEP_1)
	v_lshlrev_b64 v[13:14], 1, v[13:14]
	v_add_co_u32 v13, vcc_lo, v6, v13
	s_delay_alu instid0(VALU_DEP_2)
	v_add_co_ci_u32_e32 v14, vcc_lo, v12, v14, vcc_lo
	global_store_b16 v[13:14], v30, off
.LBB447_199:
	s_or_b32 exec_lo, exec_lo, s16
	s_branch .LBB447_192
.LBB447_200:
	s_mov_b32 s15, exec_lo
	v_cmpx_gt_i16_e32 2, v8
	s_cbranch_execz .LBB447_205
; %bb.201:
	s_mov_b32 s18, 0
	s_mov_b32 s16, exec_lo
	v_cmpx_ne_u16_e32 1, v8
	s_xor_b32 s16, exec_lo, s16
	s_cbranch_execnz .LBB447_308
; %bb.202:
	s_and_not1_saveexec_b32 s0, s16
	s_cbranch_execnz .LBB447_324
.LBB447_203:
	s_or_b32 exec_lo, exec_lo, s0
	s_delay_alu instid0(SALU_CYCLE_1)
	s_and_b32 exec_lo, exec_lo, s18
	s_cbranch_execz .LBB447_205
.LBB447_204:
	v_sub_nc_u32_e32 v3, v29, v3
	s_delay_alu instid0(VALU_DEP_1)
	v_lshlrev_b32_e32 v3, 1, v3
	ds_store_b16 v3, v30
.LBB447_205:
	s_or_b32 exec_lo, exec_lo, s15
	s_delay_alu instid0(SALU_CYCLE_1)
	s_mov_b32 s1, exec_lo
	s_waitcnt lgkmcnt(0)
	s_waitcnt_vscnt null, 0x0
	s_barrier
	buffer_gl0_inv
	v_cmpx_lt_u32_e64 v0, v4
	s_cbranch_execz .LBB447_220
; %bb.206:
	v_add_nc_u32_e32 v8, v5, v1
	s_mov_b32 s0, -1
	s_mov_b32 s3, exec_lo
	s_delay_alu instid0(VALU_DEP_1) | instskip(NEXT) | instid1(VALU_DEP_1)
	v_xad_u32 v1, v0, -1, v8
	v_sub_nc_u32_e32 v3, v1, v2
	v_mov_b32_e32 v1, v0
	s_delay_alu instid0(VALU_DEP_2)
	v_cmp_gt_u32_e64 s2, 0x1b00, v3
	v_cmpx_lt_u32_e32 0x1aff, v3
	s_cbranch_execz .LBB447_217
; %bb.207:
	v_sub_nc_u32_e32 v1, v0, v8
	s_delay_alu instid0(VALU_DEP_1) | instskip(NEXT) | instid1(VALU_DEP_1)
	v_add_nc_u32_e32 v1, v1, v2
	v_or_b32_e32 v1, 0xff, v1
	s_delay_alu instid0(VALU_DEP_1)
	v_cmp_ge_u32_e32 vcc_lo, v1, v0
	v_mov_b32_e32 v1, v0
	s_and_saveexec_b32 s4, vcc_lo
	s_cbranch_execz .LBB447_216
; %bb.208:
	v_lshrrev_b32_e32 v13, 8, v3
	v_or_b32_e32 v1, 0x100, v0
	v_lshlrev_b32_e32 v14, 1, v0
	s_delay_alu instid0(VALU_DEP_3) | instskip(NEXT) | instid1(VALU_DEP_1)
	v_add_nc_u32_e32 v2, -1, v13
	v_lshrrev_b32_e32 v3, 1, v2
	v_mov_b32_e32 v18, 0
	v_cmp_lt_u32_e32 vcc_lo, 13, v2
	s_delay_alu instid0(VALU_DEP_3)
	v_add_nc_u32_e32 v15, 1, v3
	v_dual_mov_b32 v3, v1 :: v_dual_mov_b32 v2, v0
	s_and_saveexec_b32 s0, vcc_lo
	s_cbranch_execz .LBB447_212
; %bb.209:
	s_delay_alu instid0(VALU_DEP_2)
	v_dual_mov_b32 v3, v1 :: v_dual_and_b32 v16, -8, v15
	v_mov_b32_e32 v9, 0
	v_dual_mov_b32 v17, v14 :: v_dual_mov_b32 v2, v0
	s_mov_b32 s5, 0
	s_mov_b32 s6, 0
.LBB447_210:                            ; =>This Inner Loop Header: Depth=1
	s_delay_alu instid0(VALU_DEP_1) | instskip(SKIP_2) | instid1(VALU_DEP_3)
	v_dual_mov_b32 v8, v2 :: v_dual_add_nc_u32 v19, 0x200, v3
	v_add_nc_u32_e32 v16, -8, v16
	v_dual_mov_b32 v20, v9 :: v_dual_add_nc_u32 v21, 0x400, v3
	v_lshlrev_b64 v[37:38], 1, v[8:9]
	v_dual_mov_b32 v22, v9 :: v_dual_add_nc_u32 v23, 0x600, v3
	s_delay_alu instid0(VALU_DEP_4) | instskip(NEXT) | instid1(VALU_DEP_4)
	v_cmp_eq_u32_e32 vcc_lo, 0, v16
	v_lshlrev_b64 v[19:20], 1, v[19:20]
	v_dual_mov_b32 v24, v9 :: v_dual_add_nc_u32 v29, 0x800, v3
	s_add_i32 s6, s6, 16
	v_lshlrev_b64 v[21:22], 1, v[21:22]
	s_or_b32 s5, vcc_lo, s5
	v_add_co_u32 v37, vcc_lo, v6, v37
	v_dual_mov_b32 v30, v9 :: v_dual_add_nc_u32 v31, 0xa00, v3
	v_add_co_ci_u32_e32 v38, vcc_lo, v12, v38, vcc_lo
	v_lshlrev_b64 v[23:24], 1, v[23:24]
	v_add_co_u32 v19, vcc_lo, v6, v19
	v_dual_mov_b32 v32, v9 :: v_dual_add_nc_u32 v33, 0xc00, v3
	v_add_co_ci_u32_e32 v20, vcc_lo, v12, v20, vcc_lo
	v_lshlrev_b64 v[29:30], 1, v[29:30]
	;; [unrolled: 4-line block ×3, first 2 shown]
	v_add_co_u32 v23, vcc_lo, v6, v23
	v_mov_b32_e32 v36, v9
	v_mov_b32_e32 v8, v3
	v_add_co_ci_u32_e32 v24, vcc_lo, v12, v24, vcc_lo
	v_lshlrev_b64 v[33:34], 1, v[33:34]
	v_add_co_u32 v29, vcc_lo, v6, v29
	ds_load_u16 v1, v17
	ds_load_u16 v26, v17 offset:512
	ds_load_u16 v43, v17 offset:1024
	;; [unrolled: 1-line block ×7, first 2 shown]
	v_add_co_ci_u32_e32 v30, vcc_lo, v12, v30, vcc_lo
	ds_load_u16 v49, v17 offset:4096
	ds_load_u16 v50, v17 offset:4608
	;; [unrolled: 1-line block ×8, first 2 shown]
	v_add_nc_u32_e32 v17, 0x2000, v17
	v_lshlrev_b64 v[35:36], 1, v[35:36]
	v_add_co_u32 v31, vcc_lo, v6, v31
	v_lshlrev_b64 v[39:40], 1, v[8:9]
	v_add_nc_u32_e32 v8, 0x200, v2
	v_add_co_ci_u32_e32 v32, vcc_lo, v12, v32, vcc_lo
	v_add_co_u32 v33, vcc_lo, v6, v33
	v_add_co_ci_u32_e32 v34, vcc_lo, v12, v34, vcc_lo
	v_add_co_u32 v35, vcc_lo, v6, v35
	v_lshlrev_b64 v[41:42], 1, v[8:9]
	v_add_nc_u32_e32 v8, 0x400, v2
	v_add_co_ci_u32_e32 v36, vcc_lo, v12, v36, vcc_lo
	v_add_co_u32 v39, vcc_lo, v6, v39
	v_add_co_ci_u32_e32 v40, vcc_lo, v12, v40, vcc_lo
	s_waitcnt lgkmcnt(15)
	global_store_b16 v[37:38], v1, off
	v_lshlrev_b64 v[37:38], 1, v[8:9]
	v_add_nc_u32_e32 v8, 0x600, v2
	v_add_co_u32 v41, vcc_lo, v6, v41
	v_add_co_ci_u32_e32 v42, vcc_lo, v12, v42, vcc_lo
	s_waitcnt lgkmcnt(14)
	global_store_b16 v[39:40], v26, off
	v_lshlrev_b64 v[39:40], 1, v[8:9]
	v_add_nc_u32_e32 v8, 0x800, v2
	s_waitcnt lgkmcnt(13)
	global_store_b16 v[41:42], v43, off
	s_waitcnt lgkmcnt(12)
	global_store_b16 v[19:20], v44, off
	v_add_co_u32 v19, vcc_lo, v6, v37
	v_add_co_ci_u32_e32 v20, vcc_lo, v12, v38, vcc_lo
	v_lshlrev_b64 v[37:38], 1, v[8:9]
	v_add_nc_u32_e32 v8, 0xa00, v2
	v_add_co_u32 v39, vcc_lo, v6, v39
	v_add_co_ci_u32_e32 v40, vcc_lo, v12, v40, vcc_lo
	s_waitcnt lgkmcnt(11)
	global_store_b16 v[19:20], v45, off
	s_waitcnt lgkmcnt(10)
	global_store_b16 v[21:22], v46, off
	v_lshlrev_b64 v[19:20], 1, v[8:9]
	v_add_nc_u32_e32 v8, 0xc00, v2
	v_add_co_u32 v21, vcc_lo, v6, v37
	s_waitcnt lgkmcnt(9)
	global_store_b16 v[39:40], v47, off
	s_waitcnt lgkmcnt(8)
	global_store_b16 v[23:24], v48, off
	v_add_co_ci_u32_e32 v22, vcc_lo, v12, v38, vcc_lo
	v_lshlrev_b64 v[23:24], 1, v[8:9]
	v_add_nc_u32_e32 v8, 0xe00, v2
	v_add_co_u32 v19, vcc_lo, v6, v19
	v_add_co_ci_u32_e32 v20, vcc_lo, v12, v20, vcc_lo
	s_waitcnt lgkmcnt(7)
	global_store_b16 v[21:22], v49, off
	s_waitcnt lgkmcnt(6)
	global_store_b16 v[29:30], v50, off
	v_lshlrev_b64 v[21:22], 1, v[8:9]
	v_dual_mov_b32 v18, s6 :: v_dual_add_nc_u32 v3, 0x1000, v3
	s_waitcnt lgkmcnt(5)
	global_store_b16 v[19:20], v51, off
	v_add_co_u32 v19, vcc_lo, v6, v23
	v_add_nc_u32_e32 v2, 0x1000, v2
	v_add_co_ci_u32_e32 v20, vcc_lo, v12, v24, vcc_lo
	v_add_co_u32 v21, vcc_lo, v6, v21
	v_add_co_ci_u32_e32 v22, vcc_lo, v12, v22, vcc_lo
	s_waitcnt lgkmcnt(4)
	global_store_b16 v[31:32], v52, off
	s_waitcnt lgkmcnt(3)
	global_store_b16 v[19:20], v53, off
	;; [unrolled: 2-line block ×5, first 2 shown]
	s_and_not1_b32 exec_lo, exec_lo, s5
	s_cbranch_execnz .LBB447_210
; %bb.211:
	s_or_b32 exec_lo, exec_lo, s5
.LBB447_212:
	s_delay_alu instid0(SALU_CYCLE_1) | instskip(SKIP_3) | instid1(VALU_DEP_1)
	s_or_b32 exec_lo, exec_lo, s0
	v_and_b32_e32 v1, 7, v15
	s_mov_b32 s6, 0
	s_mov_b32 s5, exec_lo
	v_cmpx_ne_u32_e32 0, v1
	s_cbranch_execz .LBB447_215
; %bb.213:
	v_lshl_or_b32 v14, v18, 9, v14
	v_mov_b32_e32 v9, 0
	s_set_inst_prefetch_distance 0x1
	.p2align	6
.LBB447_214:                            ; =>This Inner Loop Header: Depth=1
	v_dual_mov_b32 v8, v2 :: v_dual_add_nc_u32 v1, -1, v1
	ds_load_u16 v19, v14
	ds_load_u16 v20, v14 offset:512
	v_add_nc_u32_e32 v2, 0x200, v2
	v_add_nc_u32_e32 v14, 0x400, v14
	v_lshlrev_b64 v[15:16], 1, v[8:9]
	v_dual_mov_b32 v8, v3 :: v_dual_add_nc_u32 v3, 0x200, v3
	v_cmp_eq_u32_e32 vcc_lo, 0, v1
	s_delay_alu instid0(VALU_DEP_2) | instskip(NEXT) | instid1(VALU_DEP_4)
	v_lshlrev_b64 v[17:18], 1, v[8:9]
	v_add_co_u32 v15, s0, v6, v15
	s_delay_alu instid0(VALU_DEP_1) | instskip(SKIP_1) | instid1(VALU_DEP_3)
	v_add_co_ci_u32_e64 v16, s0, v12, v16, s0
	s_or_b32 s6, vcc_lo, s6
	v_add_co_u32 v17, s0, v6, v17
	s_delay_alu instid0(VALU_DEP_1)
	v_add_co_ci_u32_e64 v18, s0, v12, v18, s0
	s_waitcnt lgkmcnt(1)
	global_store_b16 v[15:16], v19, off
	s_waitcnt lgkmcnt(0)
	global_store_b16 v[17:18], v20, off
	s_and_not1_b32 exec_lo, exec_lo, s6
	s_cbranch_execnz .LBB447_214
.LBB447_215:
	s_set_inst_prefetch_distance 0x2
	s_or_b32 exec_lo, exec_lo, s5
	v_add_nc_u32_e32 v1, 1, v13
	s_delay_alu instid0(VALU_DEP_1) | instskip(NEXT) | instid1(VALU_DEP_1)
	v_and_b32_e32 v2, 0x1fffffe, v1
	v_cmp_ne_u32_e32 vcc_lo, v1, v2
	v_lshl_or_b32 v1, v2, 8, v0
	s_or_not1_b32 s0, vcc_lo, exec_lo
.LBB447_216:
	s_or_b32 exec_lo, exec_lo, s4
	s_delay_alu instid0(SALU_CYCLE_1) | instskip(SKIP_1) | instid1(SALU_CYCLE_1)
	s_and_not1_b32 s2, s2, exec_lo
	s_and_b32 s0, s0, exec_lo
	s_or_b32 s2, s2, s0
.LBB447_217:
	s_or_b32 exec_lo, exec_lo, s3
	s_delay_alu instid0(VALU_DEP_2) | instid1(SALU_CYCLE_1)
	s_and_b32 exec_lo, exec_lo, s2
	s_cbranch_execz .LBB447_220
; %bb.218:
	v_dual_mov_b32 v2, 0 :: v_dual_lshlrev_b32 v3, 1, v1
	s_mov_b32 s2, 0
	.p2align	6
.LBB447_219:                            ; =>This Inner Loop Header: Depth=1
	ds_load_u16 v13, v3
	v_lshlrev_b64 v[8:9], 1, v[1:2]
	v_add_nc_u32_e32 v1, 0x100, v1
	v_add_nc_u32_e32 v3, 0x200, v3
	s_delay_alu instid0(VALU_DEP_2) | instskip(NEXT) | instid1(VALU_DEP_4)
	v_cmp_ge_u32_e32 vcc_lo, v1, v4
	v_add_co_u32 v8, s0, v6, v8
	s_delay_alu instid0(VALU_DEP_1)
	v_add_co_ci_u32_e64 v9, s0, v12, v9, s0
	s_or_b32 s2, vcc_lo, s2
	s_waitcnt lgkmcnt(0)
	global_store_b16 v[8:9], v13, off
	s_and_not1_b32 exec_lo, exec_lo, s2
	s_cbranch_execnz .LBB447_219
.LBB447_220:
	s_or_b32 exec_lo, exec_lo, s1
	v_cmp_eq_u32_e32 vcc_lo, 0xff, v0
	s_and_b32 s0, vcc_lo, s17
	s_delay_alu instid0(SALU_CYCLE_1)
	s_and_saveexec_b32 s1, s0
	s_cbranch_execz .LBB447_193
.LBB447_221:
	v_add_co_u32 v0, s0, v5, v7
	s_delay_alu instid0(VALU_DEP_1) | instskip(SKIP_1) | instid1(VALU_DEP_3)
	v_add_co_ci_u32_e64 v1, null, 0, 0, s0
	v_mov_b32_e32 v6, 0
	v_add_co_u32 v0, vcc_lo, v0, v27
	s_delay_alu instid0(VALU_DEP_3)
	v_add_co_ci_u32_e32 v1, vcc_lo, v1, v28, vcc_lo
	s_cmpk_lg_i32 s26, 0xf00
	global_store_b64 v6, v[0:1], s[30:31]
	s_cbranch_scc1 .LBB447_193
; %bb.222:
	v_lshlrev_b64 v[0:1], 1, v[5:6]
	s_delay_alu instid0(VALU_DEP_1) | instskip(NEXT) | instid1(VALU_DEP_2)
	v_add_co_u32 v0, vcc_lo, v10, v0
	v_add_co_ci_u32_e32 v1, vcc_lo, v11, v1, vcc_lo
	global_store_b16 v[0:1], v25, off offset:-2
	s_nop 0
	s_sendmsg sendmsg(MSG_DEALLOC_VGPRS)
	s_endpgm
.LBB447_223:
                                        ; implicit-def: $sgpr4
                                        ; implicit-def: $vgpr61
                                        ; implicit-def: $vgpr14
                                        ; implicit-def: $vgpr13
                                        ; implicit-def: $vgpr16
                                        ; implicit-def: $vgpr15
                                        ; implicit-def: $vgpr18
                                        ; implicit-def: $vgpr17
                                        ; implicit-def: $vgpr20
                                        ; implicit-def: $vgpr19
                                        ; implicit-def: $vgpr22
                                        ; implicit-def: $vgpr21
                                        ; implicit-def: $vgpr24
                                        ; implicit-def: $vgpr23
                                        ; implicit-def: $vgpr26
	s_cbranch_execz .LBB447_113
.LBB447_224:
	v_mad_u32_u24 v13, v0, 15, 14
	s_waitcnt lgkmcnt(0)
	v_dual_mov_b32 v14, 0 :: v_dual_lshlrev_b32 v7, 1, v0
	v_lshrrev_b32_e32 v6, 16, v12
	v_mul_u32_u24_e32 v5, 15, v0
	v_mov_b32_e32 v61, 0
	s_mov_b32 s4, exec_lo
	ds_store_b16 v7, v6
	v_cmpx_gt_u64_e64 s[0:1], v[13:14]
; %bb.225:
	v_and_b32_e32 v8, 0xffff, v12
	v_and_b32_e32 v6, 0xffff, v6
	s_delay_alu instid0(VALU_DEP_2) | instskip(NEXT) | instid1(VALU_DEP_2)
	v_mul_u32_u24_e32 v8, 0xcccd, v8
	v_mul_u32_u24_e32 v6, 0xcccd, v6
	s_delay_alu instid0(VALU_DEP_2) | instskip(NEXT) | instid1(VALU_DEP_2)
	v_lshrrev_b32_e32 v8, 19, v8
	v_lshrrev_b32_e32 v6, 19, v6
	s_delay_alu instid0(VALU_DEP_1)
	v_cmp_ne_u16_e32 vcc_lo, v8, v6
	v_cndmask_b32_e64 v61, 0, 1, vcc_lo
; %bb.226:
	s_or_b32 exec_lo, exec_lo, s4
	v_add_nc_u32_e32 v13, 13, v5
	s_mov_b32 s4, exec_lo
	s_delay_alu instid0(VALU_DEP_1)
	v_cmpx_gt_u64_e64 s[0:1], v[13:14]
; %bb.227:
	v_lshrrev_b32_e32 v6, 16, v11
	v_and_b32_e32 v8, 0xffff, v12
	s_delay_alu instid0(VALU_DEP_2) | instskip(NEXT) | instid1(VALU_DEP_2)
	v_mul_u32_u24_e32 v6, 0xcccd, v6
	v_mul_u32_u24_e32 v8, 0xcccd, v8
	s_delay_alu instid0(VALU_DEP_2) | instskip(NEXT) | instid1(VALU_DEP_2)
	v_lshrrev_b32_e32 v6, 19, v6
	v_lshrrev_b32_e32 v8, 19, v8
	s_delay_alu instid0(VALU_DEP_1)
	v_cmp_ne_u16_e32 vcc_lo, v6, v8
	v_cndmask_b32_e64 v14, 0, 1, vcc_lo
; %bb.228:
	s_or_b32 exec_lo, exec_lo, s4
	v_dual_mov_b32 v16, 0 :: v_dual_add_nc_u32 v15, 12, v5
	v_mov_b32_e32 v13, 0
	s_mov_b32 s4, exec_lo
	s_delay_alu instid0(VALU_DEP_2)
	v_cmpx_gt_u64_e64 s[0:1], v[15:16]
; %bb.229:
	v_and_b32_e32 v6, 0xffff, v11
	v_lshrrev_b32_e32 v8, 16, v11
	s_delay_alu instid0(VALU_DEP_2) | instskip(NEXT) | instid1(VALU_DEP_2)
	v_mul_u32_u24_e32 v6, 0xcccd, v6
	v_mul_u32_u24_e32 v8, 0xcccd, v8
	s_delay_alu instid0(VALU_DEP_2) | instskip(NEXT) | instid1(VALU_DEP_2)
	v_lshrrev_b32_e32 v6, 19, v6
	v_lshrrev_b32_e32 v8, 19, v8
	s_delay_alu instid0(VALU_DEP_1)
	v_cmp_ne_u16_e32 vcc_lo, v6, v8
	v_cndmask_b32_e64 v13, 0, 1, vcc_lo
; %bb.230:
	s_or_b32 exec_lo, exec_lo, s4
	v_add_nc_u32_e32 v15, 11, v5
	s_mov_b32 s4, exec_lo
	s_delay_alu instid0(VALU_DEP_1)
	v_cmpx_gt_u64_e64 s[0:1], v[15:16]
; %bb.231:
	v_lshrrev_b32_e32 v6, 16, v10
	v_and_b32_e32 v8, 0xffff, v11
	s_delay_alu instid0(VALU_DEP_2) | instskip(NEXT) | instid1(VALU_DEP_2)
	v_mul_u32_u24_e32 v6, 0xcccd, v6
	v_mul_u32_u24_e32 v8, 0xcccd, v8
	s_delay_alu instid0(VALU_DEP_2) | instskip(NEXT) | instid1(VALU_DEP_2)
	v_lshrrev_b32_e32 v6, 19, v6
	v_lshrrev_b32_e32 v8, 19, v8
	s_delay_alu instid0(VALU_DEP_1)
	v_cmp_ne_u16_e32 vcc_lo, v6, v8
	v_cndmask_b32_e64 v16, 0, 1, vcc_lo
; %bb.232:
	s_or_b32 exec_lo, exec_lo, s4
	v_dual_mov_b32 v18, 0 :: v_dual_add_nc_u32 v17, 10, v5
	v_mov_b32_e32 v15, 0
	s_mov_b32 s4, exec_lo
	s_delay_alu instid0(VALU_DEP_2)
	v_cmpx_gt_u64_e64 s[0:1], v[17:18]
; %bb.233:
	v_and_b32_e32 v6, 0xffff, v10
	v_lshrrev_b32_e32 v8, 16, v10
	s_delay_alu instid0(VALU_DEP_2) | instskip(NEXT) | instid1(VALU_DEP_2)
	v_mul_u32_u24_e32 v6, 0xcccd, v6
	v_mul_u32_u24_e32 v8, 0xcccd, v8
	s_delay_alu instid0(VALU_DEP_2) | instskip(NEXT) | instid1(VALU_DEP_2)
	v_lshrrev_b32_e32 v6, 19, v6
	v_lshrrev_b32_e32 v8, 19, v8
	s_delay_alu instid0(VALU_DEP_1)
	v_cmp_ne_u16_e32 vcc_lo, v6, v8
	v_cndmask_b32_e64 v15, 0, 1, vcc_lo
; %bb.234:
	s_or_b32 exec_lo, exec_lo, s4
	v_add_nc_u32_e32 v17, 9, v5
	s_mov_b32 s4, exec_lo
	s_delay_alu instid0(VALU_DEP_1)
	v_cmpx_gt_u64_e64 s[0:1], v[17:18]
; %bb.235:
	v_lshrrev_b32_e32 v6, 16, v4
	v_and_b32_e32 v8, 0xffff, v10
	s_delay_alu instid0(VALU_DEP_2) | instskip(NEXT) | instid1(VALU_DEP_2)
	v_mul_u32_u24_e32 v6, 0xcccd, v6
	v_mul_u32_u24_e32 v8, 0xcccd, v8
	s_delay_alu instid0(VALU_DEP_2) | instskip(NEXT) | instid1(VALU_DEP_2)
	v_lshrrev_b32_e32 v6, 19, v6
	v_lshrrev_b32_e32 v8, 19, v8
	s_delay_alu instid0(VALU_DEP_1)
	v_cmp_ne_u16_e32 vcc_lo, v6, v8
	v_cndmask_b32_e64 v18, 0, 1, vcc_lo
; %bb.236:
	s_or_b32 exec_lo, exec_lo, s4
	v_dual_mov_b32 v20, 0 :: v_dual_add_nc_u32 v19, 8, v5
	v_mov_b32_e32 v17, 0
	s_mov_b32 s4, exec_lo
	s_delay_alu instid0(VALU_DEP_2)
	v_cmpx_gt_u64_e64 s[0:1], v[19:20]
; %bb.237:
	v_and_b32_e32 v6, 0xffff, v4
	v_lshrrev_b32_e32 v8, 16, v4
	s_delay_alu instid0(VALU_DEP_2) | instskip(NEXT) | instid1(VALU_DEP_2)
	v_mul_u32_u24_e32 v6, 0xcccd, v6
	v_mul_u32_u24_e32 v8, 0xcccd, v8
	s_delay_alu instid0(VALU_DEP_2) | instskip(NEXT) | instid1(VALU_DEP_2)
	v_lshrrev_b32_e32 v6, 19, v6
	v_lshrrev_b32_e32 v8, 19, v8
	s_delay_alu instid0(VALU_DEP_1)
	v_cmp_ne_u16_e32 vcc_lo, v6, v8
	v_cndmask_b32_e64 v17, 0, 1, vcc_lo
; %bb.238:
	s_or_b32 exec_lo, exec_lo, s4
	v_add_nc_u32_e32 v19, 7, v5
	s_mov_b32 s4, exec_lo
	s_delay_alu instid0(VALU_DEP_1)
	v_cmpx_gt_u64_e64 s[0:1], v[19:20]
; %bb.239:
	v_lshrrev_b32_e32 v6, 16, v3
	v_and_b32_e32 v8, 0xffff, v4
	s_delay_alu instid0(VALU_DEP_2) | instskip(NEXT) | instid1(VALU_DEP_2)
	v_mul_u32_u24_e32 v6, 0xcccd, v6
	v_mul_u32_u24_e32 v8, 0xcccd, v8
	s_delay_alu instid0(VALU_DEP_2) | instskip(NEXT) | instid1(VALU_DEP_2)
	v_lshrrev_b32_e32 v6, 19, v6
	v_lshrrev_b32_e32 v8, 19, v8
	s_delay_alu instid0(VALU_DEP_1)
	v_cmp_ne_u16_e32 vcc_lo, v6, v8
	v_cndmask_b32_e64 v20, 0, 1, vcc_lo
; %bb.240:
	s_or_b32 exec_lo, exec_lo, s4
	v_dual_mov_b32 v22, 0 :: v_dual_add_nc_u32 v21, 6, v5
	v_mov_b32_e32 v19, 0
	s_mov_b32 s4, exec_lo
	s_delay_alu instid0(VALU_DEP_2)
	v_cmpx_gt_u64_e64 s[0:1], v[21:22]
; %bb.241:
	v_and_b32_e32 v6, 0xffff, v3
	v_lshrrev_b32_e32 v8, 16, v3
	s_delay_alu instid0(VALU_DEP_2) | instskip(NEXT) | instid1(VALU_DEP_2)
	v_mul_u32_u24_e32 v6, 0xcccd, v6
	v_mul_u32_u24_e32 v8, 0xcccd, v8
	s_delay_alu instid0(VALU_DEP_2) | instskip(NEXT) | instid1(VALU_DEP_2)
	v_lshrrev_b32_e32 v6, 19, v6
	v_lshrrev_b32_e32 v8, 19, v8
	s_delay_alu instid0(VALU_DEP_1)
	v_cmp_ne_u16_e32 vcc_lo, v6, v8
	v_cndmask_b32_e64 v19, 0, 1, vcc_lo
; %bb.242:
	s_or_b32 exec_lo, exec_lo, s4
	v_add_nc_u32_e32 v21, 5, v5
	s_mov_b32 s4, exec_lo
	s_delay_alu instid0(VALU_DEP_1)
	v_cmpx_gt_u64_e64 s[0:1], v[21:22]
; %bb.243:
	v_lshrrev_b32_e32 v6, 16, v2
	v_and_b32_e32 v8, 0xffff, v3
	s_delay_alu instid0(VALU_DEP_2) | instskip(NEXT) | instid1(VALU_DEP_2)
	v_mul_u32_u24_e32 v6, 0xcccd, v6
	v_mul_u32_u24_e32 v8, 0xcccd, v8
	s_delay_alu instid0(VALU_DEP_2) | instskip(NEXT) | instid1(VALU_DEP_2)
	v_lshrrev_b32_e32 v6, 19, v6
	v_lshrrev_b32_e32 v8, 19, v8
	s_delay_alu instid0(VALU_DEP_1)
	v_cmp_ne_u16_e32 vcc_lo, v6, v8
	v_cndmask_b32_e64 v22, 0, 1, vcc_lo
; %bb.244:
	s_or_b32 exec_lo, exec_lo, s4
	v_dual_mov_b32 v24, 0 :: v_dual_add_nc_u32 v23, 4, v5
	v_mov_b32_e32 v21, 0
	s_mov_b32 s4, exec_lo
	s_delay_alu instid0(VALU_DEP_2)
	v_cmpx_gt_u64_e64 s[0:1], v[23:24]
; %bb.245:
	v_and_b32_e32 v6, 0xffff, v2
	v_lshrrev_b32_e32 v8, 16, v2
	s_delay_alu instid0(VALU_DEP_2) | instskip(NEXT) | instid1(VALU_DEP_2)
	v_mul_u32_u24_e32 v6, 0xcccd, v6
	v_mul_u32_u24_e32 v8, 0xcccd, v8
	s_delay_alu instid0(VALU_DEP_2) | instskip(NEXT) | instid1(VALU_DEP_2)
	v_lshrrev_b32_e32 v6, 19, v6
	v_lshrrev_b32_e32 v8, 19, v8
	s_delay_alu instid0(VALU_DEP_1)
	v_cmp_ne_u16_e32 vcc_lo, v6, v8
	v_cndmask_b32_e64 v21, 0, 1, vcc_lo
; %bb.246:
	s_or_b32 exec_lo, exec_lo, s4
	v_add_nc_u32_e32 v23, 3, v5
	s_mov_b32 s4, exec_lo
	s_delay_alu instid0(VALU_DEP_1)
	v_cmpx_gt_u64_e64 s[0:1], v[23:24]
; %bb.247:
	v_lshrrev_b32_e32 v6, 16, v1
	v_and_b32_e32 v8, 0xffff, v2
	s_delay_alu instid0(VALU_DEP_2) | instskip(NEXT) | instid1(VALU_DEP_2)
	v_mul_u32_u24_e32 v6, 0xcccd, v6
	v_mul_u32_u24_e32 v8, 0xcccd, v8
	s_delay_alu instid0(VALU_DEP_2) | instskip(NEXT) | instid1(VALU_DEP_2)
	v_lshrrev_b32_e32 v6, 19, v6
	v_lshrrev_b32_e32 v8, 19, v8
	s_delay_alu instid0(VALU_DEP_1)
	v_cmp_ne_u16_e32 vcc_lo, v6, v8
	v_cndmask_b32_e64 v24, 0, 1, vcc_lo
; %bb.248:
	s_or_b32 exec_lo, exec_lo, s4
	v_dual_mov_b32 v26, 0 :: v_dual_add_nc_u32 v25, 2, v5
	v_mov_b32_e32 v23, 0
	s_mov_b32 s4, exec_lo
	s_delay_alu instid0(VALU_DEP_2)
	v_cmpx_gt_u64_e64 s[0:1], v[25:26]
; %bb.249:
	v_and_b32_e32 v6, 0xffff, v1
	v_lshrrev_b32_e32 v8, 16, v1
	s_delay_alu instid0(VALU_DEP_2) | instskip(NEXT) | instid1(VALU_DEP_2)
	v_mul_u32_u24_e32 v6, 0xcccd, v6
	v_mul_u32_u24_e32 v8, 0xcccd, v8
	s_delay_alu instid0(VALU_DEP_2) | instskip(NEXT) | instid1(VALU_DEP_2)
	v_lshrrev_b32_e32 v6, 19, v6
	v_lshrrev_b32_e32 v8, 19, v8
	s_delay_alu instid0(VALU_DEP_1)
	v_cmp_ne_u16_e32 vcc_lo, v6, v8
	v_cndmask_b32_e64 v23, 0, 1, vcc_lo
; %bb.250:
	s_or_b32 exec_lo, exec_lo, s4
	v_add_nc_u32_e32 v25, 1, v5
	s_mov_b32 s4, exec_lo
	s_delay_alu instid0(VALU_DEP_1)
	v_cmpx_gt_u64_e64 s[0:1], v[25:26]
; %bb.251:
	v_and_b32_e32 v6, 0xffff, v62
	v_and_b32_e32 v8, 0xffff, v1
	s_delay_alu instid0(VALU_DEP_2) | instskip(NEXT) | instid1(VALU_DEP_2)
	v_mul_u32_u24_e32 v6, 0xcccd, v6
	v_mul_u32_u24_e32 v8, 0xcccd, v8
	s_delay_alu instid0(VALU_DEP_2) | instskip(NEXT) | instid1(VALU_DEP_2)
	v_lshrrev_b32_e32 v6, 19, v6
	v_lshrrev_b32_e32 v8, 19, v8
	s_delay_alu instid0(VALU_DEP_1)
	v_cmp_ne_u16_e32 vcc_lo, v6, v8
	v_cndmask_b32_e64 v26, 0, 1, vcc_lo
; %bb.252:
	s_or_b32 exec_lo, exec_lo, s4
	s_waitcnt lgkmcnt(0)
	s_barrier
	buffer_gl0_inv
                                        ; implicit-def: $sgpr4
	s_and_saveexec_b32 s5, s3
	s_cbranch_execz .LBB447_256
; %bb.253:
	v_mov_b32_e32 v6, 0
	s_delay_alu instid0(VALU_DEP_1)
	v_cmp_gt_u64_e32 vcc_lo, s[0:1], v[5:6]
	s_mov_b32 s1, 0
	s_and_saveexec_b32 s0, vcc_lo
	s_cbranch_execz .LBB447_255
; %bb.254:
	v_add_nc_u32_e32 v5, -2, v7
	v_and_b32_e32 v6, 0xffff, v62
	ds_load_u16 v5, v5
	v_mul_u32_u24_e32 v6, 0xcccd, v6
	s_delay_alu instid0(VALU_DEP_1) | instskip(SKIP_2) | instid1(VALU_DEP_1)
	v_lshrrev_b32_e32 v6, 19, v6
	s_waitcnt lgkmcnt(0)
	v_mul_u32_u24_e32 v5, 0xcccd, v5
	v_lshrrev_b32_e32 v5, 19, v5
	s_delay_alu instid0(VALU_DEP_1)
	v_cmp_ne_u16_e32 vcc_lo, v5, v6
	s_and_b32 s1, vcc_lo, exec_lo
.LBB447_255:
	s_or_b32 exec_lo, exec_lo, s0
	s_delay_alu instid0(SALU_CYCLE_1)
	s_and_b32 s4, s1, exec_lo
	s_or_b32 s15, s15, exec_lo
.LBB447_256:
	s_or_b32 exec_lo, exec_lo, s5
	s_mov_b32 s0, 1
	s_delay_alu instid0(SALU_CYCLE_1)
	v_mov_b32_e32 v76, s0
	s_and_saveexec_b32 s0, s15
	s_cbranch_execnz .LBB447_115
	s_branch .LBB447_116
.LBB447_257:
	s_and_saveexec_b32 s19, s15
	s_cbranch_execnz .LBB447_325
; %bb.258:
	s_or_b32 exec_lo, exec_lo, s19
	s_and_saveexec_b32 s19, s14
	s_cbranch_execnz .LBB447_326
.LBB447_259:
	s_or_b32 exec_lo, exec_lo, s19
	s_and_saveexec_b32 s19, s13
	s_cbranch_execnz .LBB447_327
.LBB447_260:
	s_or_b32 exec_lo, exec_lo, s19
	s_and_saveexec_b32 s19, s12
	s_cbranch_execnz .LBB447_328
.LBB447_261:
	s_or_b32 exec_lo, exec_lo, s19
	s_and_saveexec_b32 s19, s11
	s_cbranch_execnz .LBB447_329
.LBB447_262:
	s_or_b32 exec_lo, exec_lo, s19
	s_and_saveexec_b32 s19, s10
	s_cbranch_execnz .LBB447_330
.LBB447_263:
	s_or_b32 exec_lo, exec_lo, s19
	s_and_saveexec_b32 s19, s8
	s_cbranch_execnz .LBB447_331
.LBB447_264:
	s_or_b32 exec_lo, exec_lo, s19
	s_and_saveexec_b32 s19, s6
	s_cbranch_execnz .LBB447_332
.LBB447_265:
	s_or_b32 exec_lo, exec_lo, s19
	s_and_saveexec_b32 s19, s9
	s_cbranch_execnz .LBB447_333
.LBB447_266:
	s_or_b32 exec_lo, exec_lo, s19
	s_and_saveexec_b32 s19, s7
	s_cbranch_execnz .LBB447_334
.LBB447_267:
	s_or_b32 exec_lo, exec_lo, s19
	s_and_saveexec_b32 s19, s5
	s_cbranch_execnz .LBB447_335
.LBB447_268:
	s_or_b32 exec_lo, exec_lo, s19
	s_and_saveexec_b32 s19, s4
	s_cbranch_execnz .LBB447_336
.LBB447_269:
	s_or_b32 exec_lo, exec_lo, s19
	s_and_saveexec_b32 s19, s3
	s_cbranch_execnz .LBB447_337
.LBB447_270:
	s_or_b32 exec_lo, exec_lo, s19
	s_and_saveexec_b32 s19, s1
	s_cbranch_execz .LBB447_272
.LBB447_271:
	v_sub_nc_u32_e32 v65, v37, v7
	v_mov_b32_e32 v66, 0
	s_delay_alu instid0(VALU_DEP_1) | instskip(NEXT) | instid1(VALU_DEP_1)
	v_lshlrev_b64 v[65:66], 1, v[65:66]
	v_add_co_u32 v65, vcc_lo, v6, v65
	s_delay_alu instid0(VALU_DEP_2)
	v_add_co_ci_u32_e32 v66, vcc_lo, v63, v66, vcc_lo
	global_store_b16 v[65:66], v12, off
.LBB447_272:
	s_or_b32 exec_lo, exec_lo, s19
	s_delay_alu instid0(SALU_CYCLE_1)
	s_and_b32 s19, s0, exec_lo
	s_and_not1_saveexec_b32 s16, s16
	s_cbranch_execz .LBB447_165
.LBB447_273:
	v_sub_nc_u32_e32 v65, v55, v7
	v_mov_b32_e32 v66, 0
	s_or_b32 s19, s19, exec_lo
	s_delay_alu instid0(VALU_DEP_1) | instskip(SKIP_1) | instid1(VALU_DEP_1)
	v_lshlrev_b64 v[67:68], 1, v[65:66]
	v_sub_nc_u32_e32 v65, v51, v7
	v_lshlrev_b64 v[69:70], 1, v[65:66]
	v_sub_nc_u32_e32 v65, v49, v7
	s_delay_alu instid0(VALU_DEP_4) | instskip(SKIP_1) | instid1(VALU_DEP_3)
	v_add_co_u32 v67, vcc_lo, v6, v67
	v_add_co_ci_u32_e32 v68, vcc_lo, v63, v68, vcc_lo
	v_lshlrev_b64 v[71:72], 1, v[65:66]
	v_sub_nc_u32_e32 v65, v47, v7
	v_add_co_u32 v69, vcc_lo, v6, v69
	v_add_co_ci_u32_e32 v70, vcc_lo, v63, v70, vcc_lo
	global_store_b16 v[67:68], v62, off
	v_lshlrev_b64 v[67:68], 1, v[65:66]
	v_sub_nc_u32_e32 v65, v35, v7
	global_store_b16 v[69:70], v1, off
	v_add_co_u32 v69, vcc_lo, v6, v71
	v_add_co_ci_u32_e32 v70, vcc_lo, v63, v72, vcc_lo
	v_lshlrev_b64 v[71:72], 1, v[65:66]
	v_sub_nc_u32_e32 v65, v33, v7
	v_add_co_u32 v67, vcc_lo, v6, v67
	v_add_co_ci_u32_e32 v68, vcc_lo, v63, v68, vcc_lo
	s_delay_alu instid0(VALU_DEP_3) | instskip(SKIP_3) | instid1(VALU_DEP_3)
	v_lshlrev_b64 v[73:74], 1, v[65:66]
	v_sub_nc_u32_e32 v65, v31, v7
	v_add_co_u32 v71, vcc_lo, v6, v71
	v_add_co_ci_u32_e32 v72, vcc_lo, v63, v72, vcc_lo
	v_lshlrev_b64 v[77:78], 1, v[65:66]
	v_sub_nc_u32_e32 v65, v53, v7
	v_add_co_u32 v73, vcc_lo, v6, v73
	v_add_co_ci_u32_e32 v74, vcc_lo, v63, v74, vcc_lo
	s_clause 0x3
	global_store_d16_hi_b16 v[69:70], v1, off
	global_store_b16 v[67:68], v2, off
	global_store_d16_hi_b16 v[71:72], v2, off
	global_store_b16 v[73:74], v3, off
	v_lshlrev_b64 v[67:68], 1, v[65:66]
	v_sub_nc_u32_e32 v65, v57, v7
	v_add_co_u32 v69, vcc_lo, v6, v77
	v_add_co_ci_u32_e32 v70, vcc_lo, v63, v78, vcc_lo
	s_delay_alu instid0(VALU_DEP_3) | instskip(SKIP_3) | instid1(VALU_DEP_3)
	v_lshlrev_b64 v[71:72], 1, v[65:66]
	v_sub_nc_u32_e32 v65, v45, v7
	v_add_co_u32 v67, vcc_lo, v6, v67
	v_add_co_ci_u32_e32 v68, vcc_lo, v63, v68, vcc_lo
	v_lshlrev_b64 v[73:74], 1, v[65:66]
	v_sub_nc_u32_e32 v65, v43, v7
	v_add_co_u32 v71, vcc_lo, v6, v71
	v_add_co_ci_u32_e32 v72, vcc_lo, v63, v72, vcc_lo
	s_delay_alu instid0(VALU_DEP_3)
	v_lshlrev_b64 v[77:78], 1, v[65:66]
	v_sub_nc_u32_e32 v65, v39, v7
	v_add_co_u32 v73, vcc_lo, v6, v73
	v_add_co_ci_u32_e32 v74, vcc_lo, v63, v74, vcc_lo
	s_clause 0x3
	global_store_d16_hi_b16 v[69:70], v3, off
	global_store_b16 v[67:68], v4, off
	global_store_d16_hi_b16 v[71:72], v4, off
	global_store_b16 v[73:74], v10, off
	v_lshlrev_b64 v[67:68], 1, v[65:66]
	v_sub_nc_u32_e32 v65, v41, v7
	v_add_co_u32 v69, vcc_lo, v6, v77
	v_add_co_ci_u32_e32 v70, vcc_lo, v63, v78, vcc_lo
	s_delay_alu instid0(VALU_DEP_3) | instskip(SKIP_3) | instid1(VALU_DEP_3)
	v_lshlrev_b64 v[71:72], 1, v[65:66]
	v_sub_nc_u32_e32 v65, v37, v7
	v_add_co_u32 v67, vcc_lo, v6, v67
	v_add_co_ci_u32_e32 v68, vcc_lo, v63, v68, vcc_lo
	v_lshlrev_b64 v[65:66], 1, v[65:66]
	v_add_co_u32 v71, vcc_lo, v6, v71
	v_add_co_ci_u32_e32 v72, vcc_lo, v63, v72, vcc_lo
	s_clause 0x2
	global_store_d16_hi_b16 v[69:70], v10, off
	global_store_b16 v[67:68], v11, off
	global_store_d16_hi_b16 v[71:72], v11, off
	v_add_co_u32 v65, vcc_lo, v6, v65
	v_add_co_ci_u32_e32 v66, vcc_lo, v63, v66, vcc_lo
	global_store_b16 v[65:66], v12, off
	s_or_b32 exec_lo, exec_lo, s16
	s_delay_alu instid0(SALU_CYCLE_1)
	s_and_b32 exec_lo, exec_lo, s19
	s_cbranch_execnz .LBB447_166
	s_branch .LBB447_167
.LBB447_274:
	s_and_saveexec_b32 s19, s15
	s_cbranch_execnz .LBB447_338
; %bb.275:
	s_or_b32 exec_lo, exec_lo, s19
	s_and_saveexec_b32 s15, s14
	s_cbranch_execnz .LBB447_339
.LBB447_276:
	s_or_b32 exec_lo, exec_lo, s15
	s_and_saveexec_b32 s14, s13
	s_cbranch_execnz .LBB447_340
.LBB447_277:
	s_or_b32 exec_lo, exec_lo, s14
	s_and_saveexec_b32 s13, s12
	s_cbranch_execnz .LBB447_341
.LBB447_278:
	s_or_b32 exec_lo, exec_lo, s13
	s_and_saveexec_b32 s12, s11
	s_cbranch_execnz .LBB447_342
.LBB447_279:
	s_or_b32 exec_lo, exec_lo, s12
	s_and_saveexec_b32 s11, s10
	s_cbranch_execnz .LBB447_343
.LBB447_280:
	s_or_b32 exec_lo, exec_lo, s11
	s_and_saveexec_b32 s10, s8
	s_cbranch_execnz .LBB447_344
.LBB447_281:
	s_or_b32 exec_lo, exec_lo, s10
	s_and_saveexec_b32 s8, s6
	s_cbranch_execnz .LBB447_345
.LBB447_282:
	s_or_b32 exec_lo, exec_lo, s8
	s_and_saveexec_b32 s6, s9
	s_cbranch_execnz .LBB447_346
.LBB447_283:
	s_or_b32 exec_lo, exec_lo, s6
	s_and_saveexec_b32 s6, s7
	s_cbranch_execnz .LBB447_347
.LBB447_284:
	s_or_b32 exec_lo, exec_lo, s6
	s_and_saveexec_b32 s6, s5
	s_cbranch_execnz .LBB447_348
.LBB447_285:
	s_or_b32 exec_lo, exec_lo, s6
	s_and_saveexec_b32 s5, s4
	s_cbranch_execnz .LBB447_349
.LBB447_286:
	s_or_b32 exec_lo, exec_lo, s5
	s_and_saveexec_b32 s4, s3
	s_cbranch_execnz .LBB447_350
.LBB447_287:
	s_or_b32 exec_lo, exec_lo, s4
	s_and_saveexec_b32 s3, s1
	s_cbranch_execz .LBB447_289
.LBB447_288:
	v_sub_nc_u32_e32 v1, v37, v7
	s_delay_alu instid0(VALU_DEP_1)
	v_lshlrev_b32_e32 v1, 1, v1
	ds_store_b16 v1, v12
.LBB447_289:
	s_or_b32 exec_lo, exec_lo, s3
	s_delay_alu instid0(SALU_CYCLE_1)
	s_and_b32 s19, s0, exec_lo
                                        ; implicit-def: $vgpr62
                                        ; implicit-def: $vgpr1
	s_and_not1_saveexec_b32 s0, s18
	s_cbranch_execz .LBB447_172
.LBB447_290:
	v_sub_nc_u32_e32 v64, v55, v7
	v_sub_nc_u32_e32 v65, v51, v7
	;; [unrolled: 1-line block ×4, first 2 shown]
	s_or_b32 s19, s19, exec_lo
	v_lshlrev_b32_e32 v64, 1, v64
	v_lshlrev_b32_e32 v65, 1, v65
	v_lshlrev_b32_e32 v66, 1, v66
	v_lshlrev_b32_e32 v67, 1, v67
	ds_store_b16 v64, v62
	ds_store_b16 v65, v1
	ds_store_b16_d16_hi v66, v1
	v_sub_nc_u32_e32 v1, v35, v7
	v_sub_nc_u32_e32 v62, v33, v7
	;; [unrolled: 1-line block ×5, first 2 shown]
	v_lshlrev_b32_e32 v1, 1, v1
	ds_store_b16 v67, v2
	v_lshlrev_b32_e32 v62, 1, v62
	v_lshlrev_b32_e32 v64, 1, v64
	;; [unrolled: 1-line block ×3, first 2 shown]
	ds_store_b16_d16_hi v1, v2
	v_lshlrev_b32_e32 v1, 1, v66
	v_sub_nc_u32_e32 v2, v45, v7
	ds_store_b16 v62, v3
	ds_store_b16_d16_hi v64, v3
	ds_store_b16 v65, v4
	v_sub_nc_u32_e32 v62, v37, v7
	v_sub_nc_u32_e32 v3, v39, v7
	ds_store_b16_d16_hi v1, v4
	v_sub_nc_u32_e32 v1, v43, v7
	v_lshlrev_b32_e32 v2, 1, v2
	v_sub_nc_u32_e32 v4, v41, v7
	v_lshlrev_b32_e32 v3, 1, v3
	s_delay_alu instid0(VALU_DEP_4)
	v_lshlrev_b32_e32 v1, 1, v1
	ds_store_b16 v2, v10
	v_lshlrev_b32_e32 v2, 1, v62
	v_lshlrev_b32_e32 v4, 1, v4
	ds_store_b16_d16_hi v1, v10
	ds_store_b16 v3, v11
	ds_store_b16_d16_hi v4, v11
	ds_store_b16 v2, v12
	s_or_b32 exec_lo, exec_lo, s0
	s_delay_alu instid0(SALU_CYCLE_1)
	s_and_b32 exec_lo, exec_lo, s19
	s_cbranch_execnz .LBB447_173
	s_branch .LBB447_174
.LBB447_291:
	s_and_saveexec_b32 s18, s14
	s_cbranch_execnz .LBB447_351
; %bb.292:
	s_or_b32 exec_lo, exec_lo, s18
	s_and_saveexec_b32 s18, s13
	s_cbranch_execnz .LBB447_352
.LBB447_293:
	s_or_b32 exec_lo, exec_lo, s18
	s_and_saveexec_b32 s18, s12
	s_cbranch_execnz .LBB447_353
.LBB447_294:
	s_or_b32 exec_lo, exec_lo, s18
	s_and_saveexec_b32 s18, s11
	s_cbranch_execnz .LBB447_354
.LBB447_295:
	s_or_b32 exec_lo, exec_lo, s18
	s_and_saveexec_b32 s18, s10
	s_cbranch_execnz .LBB447_355
.LBB447_296:
	s_or_b32 exec_lo, exec_lo, s18
	s_and_saveexec_b32 s18, s9
	s_cbranch_execnz .LBB447_356
.LBB447_297:
	s_or_b32 exec_lo, exec_lo, s18
	s_and_saveexec_b32 s18, s8
	s_cbranch_execnz .LBB447_357
.LBB447_298:
	s_or_b32 exec_lo, exec_lo, s18
	s_and_saveexec_b32 s18, s7
	s_cbranch_execnz .LBB447_358
.LBB447_299:
	s_or_b32 exec_lo, exec_lo, s18
	s_and_saveexec_b32 s18, s6
	s_cbranch_execnz .LBB447_359
.LBB447_300:
	s_or_b32 exec_lo, exec_lo, s18
	s_and_saveexec_b32 s18, s5
	s_cbranch_execnz .LBB447_360
.LBB447_301:
	s_or_b32 exec_lo, exec_lo, s18
	s_and_saveexec_b32 s18, s4
	s_cbranch_execnz .LBB447_361
.LBB447_302:
	s_or_b32 exec_lo, exec_lo, s18
	s_and_saveexec_b32 s18, s3
	s_cbranch_execnz .LBB447_362
.LBB447_303:
	s_or_b32 exec_lo, exec_lo, s18
	s_and_saveexec_b32 s18, s2
	s_cbranch_execnz .LBB447_363
.LBB447_304:
	s_or_b32 exec_lo, exec_lo, s18
	s_and_saveexec_b32 s18, s1
	s_cbranch_execz .LBB447_306
.LBB447_305:
	v_sub_nc_u32_e32 v13, v37, v3
	v_mov_b32_e32 v14, 0
	s_delay_alu instid0(VALU_DEP_1) | instskip(NEXT) | instid1(VALU_DEP_1)
	v_lshlrev_b64 v[13:14], 1, v[13:14]
	v_add_co_u32 v13, vcc_lo, v6, v13
	s_delay_alu instid0(VALU_DEP_2)
	v_add_co_ci_u32_e32 v14, vcc_lo, v12, v14, vcc_lo
	global_store_b16 v[13:14], v38, off
.LBB447_306:
	s_or_b32 exec_lo, exec_lo, s18
	s_delay_alu instid0(SALU_CYCLE_1)
	s_and_b32 s18, s0, exec_lo
	s_and_not1_saveexec_b32 s15, s15
	s_cbranch_execz .LBB447_197
.LBB447_307:
	v_sub_nc_u32_e32 v13, v55, v3
	v_mov_b32_e32 v14, 0
	s_or_b32 s18, s18, exec_lo
	s_delay_alu instid0(VALU_DEP_1) | instskip(SKIP_1) | instid1(VALU_DEP_1)
	v_lshlrev_b64 v[15:16], 1, v[13:14]
	v_sub_nc_u32_e32 v13, v51, v3
	v_lshlrev_b64 v[17:18], 1, v[13:14]
	v_sub_nc_u32_e32 v13, v49, v3
	s_delay_alu instid0(VALU_DEP_4) | instskip(SKIP_1) | instid1(VALU_DEP_3)
	v_add_co_u32 v15, vcc_lo, v6, v15
	v_add_co_ci_u32_e32 v16, vcc_lo, v12, v16, vcc_lo
	v_lshlrev_b64 v[19:20], 1, v[13:14]
	v_sub_nc_u32_e32 v13, v47, v3
	v_add_co_u32 v17, vcc_lo, v6, v17
	v_add_co_ci_u32_e32 v18, vcc_lo, v12, v18, vcc_lo
	global_store_b16 v[15:16], v56, off
	v_lshlrev_b64 v[15:16], 1, v[13:14]
	v_sub_nc_u32_e32 v13, v35, v3
	global_store_b16 v[17:18], v52, off
	v_add_co_u32 v17, vcc_lo, v6, v19
	v_add_co_ci_u32_e32 v18, vcc_lo, v12, v20, vcc_lo
	v_lshlrev_b64 v[19:20], 1, v[13:14]
	v_sub_nc_u32_e32 v13, v33, v3
	v_add_co_u32 v15, vcc_lo, v6, v15
	v_add_co_ci_u32_e32 v16, vcc_lo, v12, v16, vcc_lo
	s_delay_alu instid0(VALU_DEP_3) | instskip(SKIP_3) | instid1(VALU_DEP_3)
	v_lshlrev_b64 v[21:22], 1, v[13:14]
	v_sub_nc_u32_e32 v13, v31, v3
	v_add_co_u32 v19, vcc_lo, v6, v19
	v_add_co_ci_u32_e32 v20, vcc_lo, v12, v20, vcc_lo
	v_lshlrev_b64 v[23:24], 1, v[13:14]
	v_sub_nc_u32_e32 v13, v53, v3
	v_add_co_u32 v21, vcc_lo, v6, v21
	v_add_co_ci_u32_e32 v22, vcc_lo, v12, v22, vcc_lo
	s_clause 0x3
	global_store_b16 v[17:18], v50, off
	global_store_b16 v[15:16], v48, off
	;; [unrolled: 1-line block ×4, first 2 shown]
	v_lshlrev_b64 v[15:16], 1, v[13:14]
	v_sub_nc_u32_e32 v13, v57, v3
	v_add_co_u32 v17, vcc_lo, v6, v23
	v_add_co_ci_u32_e32 v18, vcc_lo, v12, v24, vcc_lo
	s_delay_alu instid0(VALU_DEP_3) | instskip(SKIP_3) | instid1(VALU_DEP_3)
	v_lshlrev_b64 v[19:20], 1, v[13:14]
	v_sub_nc_u32_e32 v13, v45, v3
	v_add_co_u32 v15, vcc_lo, v6, v15
	v_add_co_ci_u32_e32 v16, vcc_lo, v12, v16, vcc_lo
	v_lshlrev_b64 v[21:22], 1, v[13:14]
	v_sub_nc_u32_e32 v13, v43, v3
	v_add_co_u32 v19, vcc_lo, v6, v19
	v_add_co_ci_u32_e32 v20, vcc_lo, v12, v20, vcc_lo
	s_delay_alu instid0(VALU_DEP_3)
	v_lshlrev_b64 v[23:24], 1, v[13:14]
	v_sub_nc_u32_e32 v13, v39, v3
	v_add_co_u32 v21, vcc_lo, v6, v21
	v_add_co_ci_u32_e32 v22, vcc_lo, v12, v22, vcc_lo
	s_clause 0x3
	global_store_b16 v[17:18], v32, off
	global_store_b16 v[15:16], v54, off
	global_store_b16 v[19:20], v58, off
	global_store_b16 v[21:22], v46, off
	v_lshlrev_b64 v[15:16], 1, v[13:14]
	v_sub_nc_u32_e32 v13, v41, v3
	v_add_co_u32 v17, vcc_lo, v6, v23
	v_add_co_ci_u32_e32 v18, vcc_lo, v12, v24, vcc_lo
	s_delay_alu instid0(VALU_DEP_3) | instskip(SKIP_3) | instid1(VALU_DEP_3)
	v_lshlrev_b64 v[19:20], 1, v[13:14]
	v_sub_nc_u32_e32 v13, v37, v3
	v_add_co_u32 v15, vcc_lo, v6, v15
	v_add_co_ci_u32_e32 v16, vcc_lo, v12, v16, vcc_lo
	v_lshlrev_b64 v[13:14], 1, v[13:14]
	v_add_co_u32 v19, vcc_lo, v6, v19
	v_add_co_ci_u32_e32 v20, vcc_lo, v12, v20, vcc_lo
	s_clause 0x2
	global_store_b16 v[17:18], v44, off
	global_store_b16 v[15:16], v40, off
	;; [unrolled: 1-line block ×3, first 2 shown]
	v_add_co_u32 v13, vcc_lo, v6, v13
	v_add_co_ci_u32_e32 v14, vcc_lo, v12, v14, vcc_lo
	global_store_b16 v[13:14], v38, off
	s_or_b32 exec_lo, exec_lo, s15
	s_delay_alu instid0(SALU_CYCLE_1)
	s_and_b32 exec_lo, exec_lo, s18
	s_cbranch_execnz .LBB447_198
	s_branch .LBB447_199
.LBB447_308:
	s_and_saveexec_b32 s18, s14
	s_cbranch_execnz .LBB447_364
; %bb.309:
	s_or_b32 exec_lo, exec_lo, s18
	s_and_saveexec_b32 s14, s13
	s_cbranch_execnz .LBB447_365
.LBB447_310:
	s_or_b32 exec_lo, exec_lo, s14
	s_and_saveexec_b32 s13, s12
	s_cbranch_execnz .LBB447_366
.LBB447_311:
	s_or_b32 exec_lo, exec_lo, s13
	s_and_saveexec_b32 s12, s11
	s_cbranch_execnz .LBB447_367
.LBB447_312:
	s_or_b32 exec_lo, exec_lo, s12
	s_and_saveexec_b32 s11, s10
	s_cbranch_execnz .LBB447_368
.LBB447_313:
	s_or_b32 exec_lo, exec_lo, s11
	s_and_saveexec_b32 s10, s9
	s_cbranch_execnz .LBB447_369
.LBB447_314:
	s_or_b32 exec_lo, exec_lo, s10
	s_and_saveexec_b32 s9, s8
	s_cbranch_execnz .LBB447_370
.LBB447_315:
	s_or_b32 exec_lo, exec_lo, s9
	s_and_saveexec_b32 s8, s7
	s_cbranch_execnz .LBB447_371
.LBB447_316:
	s_or_b32 exec_lo, exec_lo, s8
	s_and_saveexec_b32 s7, s6
	s_cbranch_execnz .LBB447_372
.LBB447_317:
	s_or_b32 exec_lo, exec_lo, s7
	s_and_saveexec_b32 s6, s5
	s_cbranch_execnz .LBB447_373
.LBB447_318:
	s_or_b32 exec_lo, exec_lo, s6
	s_and_saveexec_b32 s5, s4
	s_cbranch_execnz .LBB447_374
.LBB447_319:
	s_or_b32 exec_lo, exec_lo, s5
	s_and_saveexec_b32 s4, s3
	s_cbranch_execnz .LBB447_375
.LBB447_320:
	s_or_b32 exec_lo, exec_lo, s4
	s_and_saveexec_b32 s3, s2
	s_cbranch_execnz .LBB447_376
.LBB447_321:
	s_or_b32 exec_lo, exec_lo, s3
	s_and_saveexec_b32 s2, s1
	s_cbranch_execz .LBB447_323
.LBB447_322:
	v_sub_nc_u32_e32 v8, v37, v3
	s_delay_alu instid0(VALU_DEP_1)
	v_lshlrev_b32_e32 v8, 1, v8
	ds_store_b16 v8, v38
.LBB447_323:
	s_or_b32 exec_lo, exec_lo, s2
	s_delay_alu instid0(SALU_CYCLE_1)
	s_and_b32 s18, s0, exec_lo
                                        ; implicit-def: $vgpr55_vgpr56
                                        ; implicit-def: $vgpr51_vgpr52
                                        ; implicit-def: $vgpr49_vgpr50
                                        ; implicit-def: $vgpr47_vgpr48
                                        ; implicit-def: $vgpr35_vgpr36
                                        ; implicit-def: $vgpr33_vgpr34
                                        ; implicit-def: $vgpr31_vgpr32
                                        ; implicit-def: $vgpr53_vgpr54
                                        ; implicit-def: $vgpr57_vgpr58
                                        ; implicit-def: $vgpr45_vgpr46
                                        ; implicit-def: $vgpr43_vgpr44
                                        ; implicit-def: $vgpr39_vgpr40
                                        ; implicit-def: $vgpr41_vgpr42
                                        ; implicit-def: $vgpr37_vgpr38
	s_and_not1_saveexec_b32 s0, s16
	s_cbranch_execz .LBB447_203
.LBB447_324:
	v_sub_nc_u32_e32 v8, v55, v3
	v_sub_nc_u32_e32 v9, v51, v3
	;; [unrolled: 1-line block ×5, first 2 shown]
	v_lshlrev_b32_e32 v8, 1, v8
	v_lshlrev_b32_e32 v9, 1, v9
	;; [unrolled: 1-line block ×4, first 2 shown]
	s_or_b32 s18, s18, exec_lo
	ds_store_b16 v8, v56
	ds_store_b16 v9, v52
	;; [unrolled: 1-line block ×3, first 2 shown]
	v_sub_nc_u32_e32 v8, v35, v3
	v_sub_nc_u32_e32 v9, v33, v3
	;; [unrolled: 1-line block ×3, first 2 shown]
	ds_store_b16 v14, v48
	v_sub_nc_u32_e32 v14, v53, v3
	v_lshlrev_b32_e32 v8, 1, v8
	v_lshlrev_b32_e32 v9, 1, v9
	;; [unrolled: 1-line block ×3, first 2 shown]
	s_delay_alu instid0(VALU_DEP_4)
	v_lshlrev_b32_e32 v14, 1, v14
	ds_store_b16 v8, v36
	v_lshlrev_b32_e32 v8, 1, v15
	ds_store_b16 v9, v34
	ds_store_b16 v13, v32
	;; [unrolled: 1-line block ×3, first 2 shown]
	v_sub_nc_u32_e32 v9, v45, v3
	v_sub_nc_u32_e32 v15, v37, v3
	;; [unrolled: 1-line block ×3, first 2 shown]
	ds_store_b16 v8, v58
	v_sub_nc_u32_e32 v8, v43, v3
	v_lshlrev_b32_e32 v9, 1, v9
	v_sub_nc_u32_e32 v14, v41, v3
	v_lshlrev_b32_e32 v13, 1, v13
	s_delay_alu instid0(VALU_DEP_4)
	v_lshlrev_b32_e32 v8, 1, v8
	ds_store_b16 v9, v46
	v_lshlrev_b32_e32 v9, 1, v15
	v_lshlrev_b32_e32 v14, 1, v14
	ds_store_b16 v8, v44
	ds_store_b16 v13, v40
	;; [unrolled: 1-line block ×4, first 2 shown]
	s_or_b32 exec_lo, exec_lo, s0
	s_delay_alu instid0(SALU_CYCLE_1)
	s_and_b32 exec_lo, exec_lo, s18
	s_cbranch_execnz .LBB447_204
	s_branch .LBB447_205
.LBB447_325:
	v_sub_nc_u32_e32 v65, v55, v7
	v_mov_b32_e32 v66, 0
	s_delay_alu instid0(VALU_DEP_1) | instskip(NEXT) | instid1(VALU_DEP_1)
	v_lshlrev_b64 v[65:66], 1, v[65:66]
	v_add_co_u32 v65, vcc_lo, v6, v65
	s_delay_alu instid0(VALU_DEP_2)
	v_add_co_ci_u32_e32 v66, vcc_lo, v63, v66, vcc_lo
	global_store_b16 v[65:66], v62, off
	s_or_b32 exec_lo, exec_lo, s19
	s_and_saveexec_b32 s19, s14
	s_cbranch_execz .LBB447_259
.LBB447_326:
	v_sub_nc_u32_e32 v65, v51, v7
	v_mov_b32_e32 v66, 0
	s_delay_alu instid0(VALU_DEP_1) | instskip(NEXT) | instid1(VALU_DEP_1)
	v_lshlrev_b64 v[65:66], 1, v[65:66]
	v_add_co_u32 v65, vcc_lo, v6, v65
	s_delay_alu instid0(VALU_DEP_2)
	v_add_co_ci_u32_e32 v66, vcc_lo, v63, v66, vcc_lo
	global_store_b16 v[65:66], v1, off
	s_or_b32 exec_lo, exec_lo, s19
	s_and_saveexec_b32 s19, s13
	s_cbranch_execz .LBB447_260
.LBB447_327:
	v_sub_nc_u32_e32 v65, v49, v7
	v_mov_b32_e32 v66, 0
	s_delay_alu instid0(VALU_DEP_1) | instskip(NEXT) | instid1(VALU_DEP_1)
	v_lshlrev_b64 v[65:66], 1, v[65:66]
	v_add_co_u32 v65, vcc_lo, v6, v65
	s_delay_alu instid0(VALU_DEP_2)
	v_add_co_ci_u32_e32 v66, vcc_lo, v63, v66, vcc_lo
	global_store_d16_hi_b16 v[65:66], v1, off
	s_or_b32 exec_lo, exec_lo, s19
	s_and_saveexec_b32 s19, s12
	s_cbranch_execz .LBB447_261
.LBB447_328:
	v_sub_nc_u32_e32 v65, v47, v7
	v_mov_b32_e32 v66, 0
	s_delay_alu instid0(VALU_DEP_1) | instskip(NEXT) | instid1(VALU_DEP_1)
	v_lshlrev_b64 v[65:66], 1, v[65:66]
	v_add_co_u32 v65, vcc_lo, v6, v65
	s_delay_alu instid0(VALU_DEP_2)
	v_add_co_ci_u32_e32 v66, vcc_lo, v63, v66, vcc_lo
	global_store_b16 v[65:66], v2, off
	s_or_b32 exec_lo, exec_lo, s19
	s_and_saveexec_b32 s19, s11
	s_cbranch_execz .LBB447_262
.LBB447_329:
	v_sub_nc_u32_e32 v65, v35, v7
	v_mov_b32_e32 v66, 0
	s_delay_alu instid0(VALU_DEP_1) | instskip(NEXT) | instid1(VALU_DEP_1)
	v_lshlrev_b64 v[65:66], 1, v[65:66]
	v_add_co_u32 v65, vcc_lo, v6, v65
	s_delay_alu instid0(VALU_DEP_2)
	v_add_co_ci_u32_e32 v66, vcc_lo, v63, v66, vcc_lo
	global_store_d16_hi_b16 v[65:66], v2, off
	s_or_b32 exec_lo, exec_lo, s19
	s_and_saveexec_b32 s19, s10
	s_cbranch_execz .LBB447_263
.LBB447_330:
	v_sub_nc_u32_e32 v65, v33, v7
	v_mov_b32_e32 v66, 0
	s_delay_alu instid0(VALU_DEP_1) | instskip(NEXT) | instid1(VALU_DEP_1)
	v_lshlrev_b64 v[65:66], 1, v[65:66]
	v_add_co_u32 v65, vcc_lo, v6, v65
	s_delay_alu instid0(VALU_DEP_2)
	v_add_co_ci_u32_e32 v66, vcc_lo, v63, v66, vcc_lo
	global_store_b16 v[65:66], v3, off
	s_or_b32 exec_lo, exec_lo, s19
	s_and_saveexec_b32 s19, s8
	s_cbranch_execz .LBB447_264
.LBB447_331:
	v_sub_nc_u32_e32 v65, v31, v7
	v_mov_b32_e32 v66, 0
	s_delay_alu instid0(VALU_DEP_1) | instskip(NEXT) | instid1(VALU_DEP_1)
	v_lshlrev_b64 v[65:66], 1, v[65:66]
	v_add_co_u32 v65, vcc_lo, v6, v65
	s_delay_alu instid0(VALU_DEP_2)
	v_add_co_ci_u32_e32 v66, vcc_lo, v63, v66, vcc_lo
	global_store_d16_hi_b16 v[65:66], v3, off
	s_or_b32 exec_lo, exec_lo, s19
	s_and_saveexec_b32 s19, s6
	s_cbranch_execz .LBB447_265
.LBB447_332:
	v_sub_nc_u32_e32 v65, v53, v7
	v_mov_b32_e32 v66, 0
	s_delay_alu instid0(VALU_DEP_1) | instskip(NEXT) | instid1(VALU_DEP_1)
	v_lshlrev_b64 v[65:66], 1, v[65:66]
	v_add_co_u32 v65, vcc_lo, v6, v65
	s_delay_alu instid0(VALU_DEP_2)
	v_add_co_ci_u32_e32 v66, vcc_lo, v63, v66, vcc_lo
	global_store_b16 v[65:66], v4, off
	s_or_b32 exec_lo, exec_lo, s19
	s_and_saveexec_b32 s19, s9
	s_cbranch_execz .LBB447_266
.LBB447_333:
	v_sub_nc_u32_e32 v65, v57, v7
	v_mov_b32_e32 v66, 0
	s_delay_alu instid0(VALU_DEP_1) | instskip(NEXT) | instid1(VALU_DEP_1)
	v_lshlrev_b64 v[65:66], 1, v[65:66]
	v_add_co_u32 v65, vcc_lo, v6, v65
	s_delay_alu instid0(VALU_DEP_2)
	v_add_co_ci_u32_e32 v66, vcc_lo, v63, v66, vcc_lo
	global_store_d16_hi_b16 v[65:66], v4, off
	s_or_b32 exec_lo, exec_lo, s19
	s_and_saveexec_b32 s19, s7
	s_cbranch_execz .LBB447_267
.LBB447_334:
	v_sub_nc_u32_e32 v65, v45, v7
	v_mov_b32_e32 v66, 0
	s_delay_alu instid0(VALU_DEP_1) | instskip(NEXT) | instid1(VALU_DEP_1)
	v_lshlrev_b64 v[65:66], 1, v[65:66]
	v_add_co_u32 v65, vcc_lo, v6, v65
	s_delay_alu instid0(VALU_DEP_2)
	v_add_co_ci_u32_e32 v66, vcc_lo, v63, v66, vcc_lo
	global_store_b16 v[65:66], v10, off
	s_or_b32 exec_lo, exec_lo, s19
	s_and_saveexec_b32 s19, s5
	s_cbranch_execz .LBB447_268
.LBB447_335:
	v_sub_nc_u32_e32 v65, v43, v7
	v_mov_b32_e32 v66, 0
	s_delay_alu instid0(VALU_DEP_1) | instskip(NEXT) | instid1(VALU_DEP_1)
	v_lshlrev_b64 v[65:66], 1, v[65:66]
	v_add_co_u32 v65, vcc_lo, v6, v65
	s_delay_alu instid0(VALU_DEP_2)
	v_add_co_ci_u32_e32 v66, vcc_lo, v63, v66, vcc_lo
	global_store_d16_hi_b16 v[65:66], v10, off
	s_or_b32 exec_lo, exec_lo, s19
	s_and_saveexec_b32 s19, s4
	s_cbranch_execz .LBB447_269
.LBB447_336:
	v_sub_nc_u32_e32 v65, v39, v7
	v_mov_b32_e32 v66, 0
	s_delay_alu instid0(VALU_DEP_1) | instskip(NEXT) | instid1(VALU_DEP_1)
	v_lshlrev_b64 v[65:66], 1, v[65:66]
	v_add_co_u32 v65, vcc_lo, v6, v65
	s_delay_alu instid0(VALU_DEP_2)
	v_add_co_ci_u32_e32 v66, vcc_lo, v63, v66, vcc_lo
	global_store_b16 v[65:66], v11, off
	s_or_b32 exec_lo, exec_lo, s19
	s_and_saveexec_b32 s19, s3
	s_cbranch_execz .LBB447_270
.LBB447_337:
	v_sub_nc_u32_e32 v65, v41, v7
	v_mov_b32_e32 v66, 0
	s_delay_alu instid0(VALU_DEP_1) | instskip(NEXT) | instid1(VALU_DEP_1)
	v_lshlrev_b64 v[65:66], 1, v[65:66]
	v_add_co_u32 v65, vcc_lo, v6, v65
	s_delay_alu instid0(VALU_DEP_2)
	v_add_co_ci_u32_e32 v66, vcc_lo, v63, v66, vcc_lo
	global_store_d16_hi_b16 v[65:66], v11, off
	s_or_b32 exec_lo, exec_lo, s19
	s_and_saveexec_b32 s19, s1
	s_cbranch_execnz .LBB447_271
	s_branch .LBB447_272
.LBB447_338:
	v_sub_nc_u32_e32 v64, v55, v7
	s_delay_alu instid0(VALU_DEP_1)
	v_lshlrev_b32_e32 v64, 1, v64
	ds_store_b16 v64, v62
	s_or_b32 exec_lo, exec_lo, s19
	s_and_saveexec_b32 s15, s14
	s_cbranch_execz .LBB447_276
.LBB447_339:
	v_sub_nc_u32_e32 v62, v51, v7
	s_delay_alu instid0(VALU_DEP_1)
	v_lshlrev_b32_e32 v62, 1, v62
	ds_store_b16 v62, v1
	s_or_b32 exec_lo, exec_lo, s15
	s_and_saveexec_b32 s14, s13
	s_cbranch_execz .LBB447_277
.LBB447_340:
	v_sub_nc_u32_e32 v62, v49, v7
	s_delay_alu instid0(VALU_DEP_1)
	v_lshlrev_b32_e32 v62, 1, v62
	ds_store_b16_d16_hi v62, v1
	s_or_b32 exec_lo, exec_lo, s14
	s_and_saveexec_b32 s13, s12
	s_cbranch_execz .LBB447_278
.LBB447_341:
	v_sub_nc_u32_e32 v1, v47, v7
	s_delay_alu instid0(VALU_DEP_1)
	v_lshlrev_b32_e32 v1, 1, v1
	ds_store_b16 v1, v2
	s_or_b32 exec_lo, exec_lo, s13
	s_and_saveexec_b32 s12, s11
	s_cbranch_execz .LBB447_279
.LBB447_342:
	v_sub_nc_u32_e32 v1, v35, v7
	s_delay_alu instid0(VALU_DEP_1)
	v_lshlrev_b32_e32 v1, 1, v1
	ds_store_b16_d16_hi v1, v2
	s_or_b32 exec_lo, exec_lo, s12
	s_and_saveexec_b32 s11, s10
	s_cbranch_execz .LBB447_280
.LBB447_343:
	v_sub_nc_u32_e32 v1, v33, v7
	s_delay_alu instid0(VALU_DEP_1)
	v_lshlrev_b32_e32 v1, 1, v1
	ds_store_b16 v1, v3
	s_or_b32 exec_lo, exec_lo, s11
	s_and_saveexec_b32 s10, s8
	s_cbranch_execz .LBB447_281
.LBB447_344:
	v_sub_nc_u32_e32 v1, v31, v7
	s_delay_alu instid0(VALU_DEP_1)
	v_lshlrev_b32_e32 v1, 1, v1
	ds_store_b16_d16_hi v1, v3
	s_or_b32 exec_lo, exec_lo, s10
	s_and_saveexec_b32 s8, s6
	s_cbranch_execz .LBB447_282
.LBB447_345:
	v_sub_nc_u32_e32 v1, v53, v7
	s_delay_alu instid0(VALU_DEP_1)
	v_lshlrev_b32_e32 v1, 1, v1
	ds_store_b16 v1, v4
	s_or_b32 exec_lo, exec_lo, s8
	s_and_saveexec_b32 s6, s9
	s_cbranch_execz .LBB447_283
.LBB447_346:
	v_sub_nc_u32_e32 v1, v57, v7
	s_delay_alu instid0(VALU_DEP_1)
	v_lshlrev_b32_e32 v1, 1, v1
	ds_store_b16_d16_hi v1, v4
	s_or_b32 exec_lo, exec_lo, s6
	s_and_saveexec_b32 s6, s7
	s_cbranch_execz .LBB447_284
.LBB447_347:
	v_sub_nc_u32_e32 v1, v45, v7
	s_delay_alu instid0(VALU_DEP_1)
	v_lshlrev_b32_e32 v1, 1, v1
	ds_store_b16 v1, v10
	s_or_b32 exec_lo, exec_lo, s6
	s_and_saveexec_b32 s6, s5
	s_cbranch_execz .LBB447_285
.LBB447_348:
	v_sub_nc_u32_e32 v1, v43, v7
	s_delay_alu instid0(VALU_DEP_1)
	v_lshlrev_b32_e32 v1, 1, v1
	ds_store_b16_d16_hi v1, v10
	s_or_b32 exec_lo, exec_lo, s6
	s_and_saveexec_b32 s5, s4
	s_cbranch_execz .LBB447_286
.LBB447_349:
	v_sub_nc_u32_e32 v1, v39, v7
	s_delay_alu instid0(VALU_DEP_1)
	v_lshlrev_b32_e32 v1, 1, v1
	ds_store_b16 v1, v11
	s_or_b32 exec_lo, exec_lo, s5
	s_and_saveexec_b32 s4, s3
	s_cbranch_execz .LBB447_287
.LBB447_350:
	v_sub_nc_u32_e32 v1, v41, v7
	s_delay_alu instid0(VALU_DEP_1)
	v_lshlrev_b32_e32 v1, 1, v1
	ds_store_b16_d16_hi v1, v11
	s_or_b32 exec_lo, exec_lo, s4
	s_and_saveexec_b32 s3, s1
	s_cbranch_execnz .LBB447_288
	s_branch .LBB447_289
.LBB447_351:
	v_sub_nc_u32_e32 v13, v55, v3
	v_mov_b32_e32 v14, 0
	s_delay_alu instid0(VALU_DEP_1) | instskip(NEXT) | instid1(VALU_DEP_1)
	v_lshlrev_b64 v[13:14], 1, v[13:14]
	v_add_co_u32 v13, vcc_lo, v6, v13
	s_delay_alu instid0(VALU_DEP_2)
	v_add_co_ci_u32_e32 v14, vcc_lo, v12, v14, vcc_lo
	global_store_b16 v[13:14], v56, off
	s_or_b32 exec_lo, exec_lo, s18
	s_and_saveexec_b32 s18, s13
	s_cbranch_execz .LBB447_293
.LBB447_352:
	v_sub_nc_u32_e32 v13, v51, v3
	v_mov_b32_e32 v14, 0
	s_delay_alu instid0(VALU_DEP_1) | instskip(NEXT) | instid1(VALU_DEP_1)
	v_lshlrev_b64 v[13:14], 1, v[13:14]
	v_add_co_u32 v13, vcc_lo, v6, v13
	s_delay_alu instid0(VALU_DEP_2)
	v_add_co_ci_u32_e32 v14, vcc_lo, v12, v14, vcc_lo
	global_store_b16 v[13:14], v52, off
	s_or_b32 exec_lo, exec_lo, s18
	s_and_saveexec_b32 s18, s12
	s_cbranch_execz .LBB447_294
.LBB447_353:
	v_sub_nc_u32_e32 v13, v49, v3
	v_mov_b32_e32 v14, 0
	s_delay_alu instid0(VALU_DEP_1) | instskip(NEXT) | instid1(VALU_DEP_1)
	v_lshlrev_b64 v[13:14], 1, v[13:14]
	v_add_co_u32 v13, vcc_lo, v6, v13
	s_delay_alu instid0(VALU_DEP_2)
	v_add_co_ci_u32_e32 v14, vcc_lo, v12, v14, vcc_lo
	global_store_b16 v[13:14], v50, off
	s_or_b32 exec_lo, exec_lo, s18
	s_and_saveexec_b32 s18, s11
	s_cbranch_execz .LBB447_295
.LBB447_354:
	v_sub_nc_u32_e32 v13, v47, v3
	v_mov_b32_e32 v14, 0
	s_delay_alu instid0(VALU_DEP_1) | instskip(NEXT) | instid1(VALU_DEP_1)
	v_lshlrev_b64 v[13:14], 1, v[13:14]
	v_add_co_u32 v13, vcc_lo, v6, v13
	s_delay_alu instid0(VALU_DEP_2)
	v_add_co_ci_u32_e32 v14, vcc_lo, v12, v14, vcc_lo
	global_store_b16 v[13:14], v48, off
	s_or_b32 exec_lo, exec_lo, s18
	s_and_saveexec_b32 s18, s10
	s_cbranch_execz .LBB447_296
.LBB447_355:
	v_sub_nc_u32_e32 v13, v35, v3
	v_mov_b32_e32 v14, 0
	s_delay_alu instid0(VALU_DEP_1) | instskip(NEXT) | instid1(VALU_DEP_1)
	v_lshlrev_b64 v[13:14], 1, v[13:14]
	v_add_co_u32 v13, vcc_lo, v6, v13
	s_delay_alu instid0(VALU_DEP_2)
	v_add_co_ci_u32_e32 v14, vcc_lo, v12, v14, vcc_lo
	global_store_b16 v[13:14], v36, off
	s_or_b32 exec_lo, exec_lo, s18
	s_and_saveexec_b32 s18, s9
	s_cbranch_execz .LBB447_297
.LBB447_356:
	v_sub_nc_u32_e32 v13, v33, v3
	v_mov_b32_e32 v14, 0
	s_delay_alu instid0(VALU_DEP_1) | instskip(NEXT) | instid1(VALU_DEP_1)
	v_lshlrev_b64 v[13:14], 1, v[13:14]
	v_add_co_u32 v13, vcc_lo, v6, v13
	s_delay_alu instid0(VALU_DEP_2)
	v_add_co_ci_u32_e32 v14, vcc_lo, v12, v14, vcc_lo
	global_store_b16 v[13:14], v34, off
	s_or_b32 exec_lo, exec_lo, s18
	s_and_saveexec_b32 s18, s8
	s_cbranch_execz .LBB447_298
.LBB447_357:
	v_sub_nc_u32_e32 v13, v31, v3
	v_mov_b32_e32 v14, 0
	s_delay_alu instid0(VALU_DEP_1) | instskip(NEXT) | instid1(VALU_DEP_1)
	v_lshlrev_b64 v[13:14], 1, v[13:14]
	v_add_co_u32 v13, vcc_lo, v6, v13
	s_delay_alu instid0(VALU_DEP_2)
	v_add_co_ci_u32_e32 v14, vcc_lo, v12, v14, vcc_lo
	global_store_b16 v[13:14], v32, off
	s_or_b32 exec_lo, exec_lo, s18
	s_and_saveexec_b32 s18, s7
	s_cbranch_execz .LBB447_299
.LBB447_358:
	v_sub_nc_u32_e32 v13, v53, v3
	v_mov_b32_e32 v14, 0
	s_delay_alu instid0(VALU_DEP_1) | instskip(NEXT) | instid1(VALU_DEP_1)
	v_lshlrev_b64 v[13:14], 1, v[13:14]
	v_add_co_u32 v13, vcc_lo, v6, v13
	s_delay_alu instid0(VALU_DEP_2)
	v_add_co_ci_u32_e32 v14, vcc_lo, v12, v14, vcc_lo
	global_store_b16 v[13:14], v54, off
	s_or_b32 exec_lo, exec_lo, s18
	s_and_saveexec_b32 s18, s6
	s_cbranch_execz .LBB447_300
.LBB447_359:
	v_sub_nc_u32_e32 v13, v57, v3
	v_mov_b32_e32 v14, 0
	s_delay_alu instid0(VALU_DEP_1) | instskip(NEXT) | instid1(VALU_DEP_1)
	v_lshlrev_b64 v[13:14], 1, v[13:14]
	v_add_co_u32 v13, vcc_lo, v6, v13
	s_delay_alu instid0(VALU_DEP_2)
	v_add_co_ci_u32_e32 v14, vcc_lo, v12, v14, vcc_lo
	global_store_b16 v[13:14], v58, off
	s_or_b32 exec_lo, exec_lo, s18
	s_and_saveexec_b32 s18, s5
	s_cbranch_execz .LBB447_301
.LBB447_360:
	v_sub_nc_u32_e32 v13, v45, v3
	v_mov_b32_e32 v14, 0
	s_delay_alu instid0(VALU_DEP_1) | instskip(NEXT) | instid1(VALU_DEP_1)
	v_lshlrev_b64 v[13:14], 1, v[13:14]
	v_add_co_u32 v13, vcc_lo, v6, v13
	s_delay_alu instid0(VALU_DEP_2)
	v_add_co_ci_u32_e32 v14, vcc_lo, v12, v14, vcc_lo
	global_store_b16 v[13:14], v46, off
	s_or_b32 exec_lo, exec_lo, s18
	s_and_saveexec_b32 s18, s4
	s_cbranch_execz .LBB447_302
.LBB447_361:
	v_sub_nc_u32_e32 v13, v43, v3
	v_mov_b32_e32 v14, 0
	s_delay_alu instid0(VALU_DEP_1) | instskip(NEXT) | instid1(VALU_DEP_1)
	v_lshlrev_b64 v[13:14], 1, v[13:14]
	v_add_co_u32 v13, vcc_lo, v6, v13
	s_delay_alu instid0(VALU_DEP_2)
	v_add_co_ci_u32_e32 v14, vcc_lo, v12, v14, vcc_lo
	global_store_b16 v[13:14], v44, off
	s_or_b32 exec_lo, exec_lo, s18
	s_and_saveexec_b32 s18, s3
	s_cbranch_execz .LBB447_303
.LBB447_362:
	v_sub_nc_u32_e32 v13, v39, v3
	v_mov_b32_e32 v14, 0
	s_delay_alu instid0(VALU_DEP_1) | instskip(NEXT) | instid1(VALU_DEP_1)
	v_lshlrev_b64 v[13:14], 1, v[13:14]
	v_add_co_u32 v13, vcc_lo, v6, v13
	s_delay_alu instid0(VALU_DEP_2)
	v_add_co_ci_u32_e32 v14, vcc_lo, v12, v14, vcc_lo
	global_store_b16 v[13:14], v40, off
	s_or_b32 exec_lo, exec_lo, s18
	s_and_saveexec_b32 s18, s2
	s_cbranch_execz .LBB447_304
.LBB447_363:
	v_sub_nc_u32_e32 v13, v41, v3
	v_mov_b32_e32 v14, 0
	s_delay_alu instid0(VALU_DEP_1) | instskip(NEXT) | instid1(VALU_DEP_1)
	v_lshlrev_b64 v[13:14], 1, v[13:14]
	v_add_co_u32 v13, vcc_lo, v6, v13
	s_delay_alu instid0(VALU_DEP_2)
	v_add_co_ci_u32_e32 v14, vcc_lo, v12, v14, vcc_lo
	global_store_b16 v[13:14], v42, off
	s_or_b32 exec_lo, exec_lo, s18
	s_and_saveexec_b32 s18, s1
	s_cbranch_execnz .LBB447_305
	s_branch .LBB447_306
.LBB447_364:
	v_sub_nc_u32_e32 v8, v55, v3
	s_delay_alu instid0(VALU_DEP_1)
	v_lshlrev_b32_e32 v8, 1, v8
	ds_store_b16 v8, v56
	s_or_b32 exec_lo, exec_lo, s18
	s_and_saveexec_b32 s14, s13
	s_cbranch_execz .LBB447_310
.LBB447_365:
	v_sub_nc_u32_e32 v8, v51, v3
	s_delay_alu instid0(VALU_DEP_1)
	v_lshlrev_b32_e32 v8, 1, v8
	ds_store_b16 v8, v52
	s_or_b32 exec_lo, exec_lo, s14
	s_and_saveexec_b32 s13, s12
	s_cbranch_execz .LBB447_311
.LBB447_366:
	v_sub_nc_u32_e32 v8, v49, v3
	s_delay_alu instid0(VALU_DEP_1)
	v_lshlrev_b32_e32 v8, 1, v8
	ds_store_b16 v8, v50
	s_or_b32 exec_lo, exec_lo, s13
	s_and_saveexec_b32 s12, s11
	s_cbranch_execz .LBB447_312
.LBB447_367:
	v_sub_nc_u32_e32 v8, v47, v3
	s_delay_alu instid0(VALU_DEP_1)
	v_lshlrev_b32_e32 v8, 1, v8
	ds_store_b16 v8, v48
	s_or_b32 exec_lo, exec_lo, s12
	s_and_saveexec_b32 s11, s10
	s_cbranch_execz .LBB447_313
.LBB447_368:
	v_sub_nc_u32_e32 v8, v35, v3
	s_delay_alu instid0(VALU_DEP_1)
	v_lshlrev_b32_e32 v8, 1, v8
	ds_store_b16 v8, v36
	s_or_b32 exec_lo, exec_lo, s11
	s_and_saveexec_b32 s10, s9
	s_cbranch_execz .LBB447_314
.LBB447_369:
	v_sub_nc_u32_e32 v8, v33, v3
	s_delay_alu instid0(VALU_DEP_1)
	v_lshlrev_b32_e32 v8, 1, v8
	ds_store_b16 v8, v34
	s_or_b32 exec_lo, exec_lo, s10
	s_and_saveexec_b32 s9, s8
	s_cbranch_execz .LBB447_315
.LBB447_370:
	v_sub_nc_u32_e32 v8, v31, v3
	s_delay_alu instid0(VALU_DEP_1)
	v_lshlrev_b32_e32 v8, 1, v8
	ds_store_b16 v8, v32
	s_or_b32 exec_lo, exec_lo, s9
	s_and_saveexec_b32 s8, s7
	s_cbranch_execz .LBB447_316
.LBB447_371:
	v_sub_nc_u32_e32 v8, v53, v3
	s_delay_alu instid0(VALU_DEP_1)
	v_lshlrev_b32_e32 v8, 1, v8
	ds_store_b16 v8, v54
	s_or_b32 exec_lo, exec_lo, s8
	s_and_saveexec_b32 s7, s6
	s_cbranch_execz .LBB447_317
.LBB447_372:
	v_sub_nc_u32_e32 v8, v57, v3
	s_delay_alu instid0(VALU_DEP_1)
	v_lshlrev_b32_e32 v8, 1, v8
	ds_store_b16 v8, v58
	s_or_b32 exec_lo, exec_lo, s7
	s_and_saveexec_b32 s6, s5
	s_cbranch_execz .LBB447_318
.LBB447_373:
	v_sub_nc_u32_e32 v8, v45, v3
	s_delay_alu instid0(VALU_DEP_1)
	v_lshlrev_b32_e32 v8, 1, v8
	ds_store_b16 v8, v46
	s_or_b32 exec_lo, exec_lo, s6
	s_and_saveexec_b32 s5, s4
	s_cbranch_execz .LBB447_319
.LBB447_374:
	v_sub_nc_u32_e32 v8, v43, v3
	s_delay_alu instid0(VALU_DEP_1)
	v_lshlrev_b32_e32 v8, 1, v8
	ds_store_b16 v8, v44
	s_or_b32 exec_lo, exec_lo, s5
	s_and_saveexec_b32 s4, s3
	s_cbranch_execz .LBB447_320
.LBB447_375:
	v_sub_nc_u32_e32 v8, v39, v3
	s_delay_alu instid0(VALU_DEP_1)
	v_lshlrev_b32_e32 v8, 1, v8
	ds_store_b16 v8, v40
	s_or_b32 exec_lo, exec_lo, s4
	s_and_saveexec_b32 s3, s2
	s_cbranch_execz .LBB447_321
.LBB447_376:
	v_sub_nc_u32_e32 v8, v41, v3
	s_delay_alu instid0(VALU_DEP_1)
	v_lshlrev_b32_e32 v8, 1, v8
	ds_store_b16 v8, v42
	s_or_b32 exec_lo, exec_lo, s3
	s_and_saveexec_b32 s2, s1
	s_cbranch_execnz .LBB447_322
	s_branch .LBB447_323
	.section	.rodata,"a",@progbits
	.p2align	6, 0x0
	.amdhsa_kernel _ZN7rocprim17ROCPRIM_400000_NS6detail17trampoline_kernelINS0_14default_configENS1_29reduce_by_key_config_selectorIttN6thrust23THRUST_200600_302600_NS4plusItEEEEZZNS1_33reduce_by_key_impl_wrapped_configILNS1_25lookback_scan_determinismE0ES3_S9_NS6_6detail15normal_iteratorINS6_10device_ptrItEEEESG_SG_SG_PmS8_22is_equal_div_10_reduceItEEE10hipError_tPvRmT2_T3_mT4_T5_T6_T7_T8_P12ihipStream_tbENKUlT_T0_E_clISt17integral_constantIbLb1EES11_EEDaSW_SX_EUlSW_E_NS1_11comp_targetILNS1_3genE9ELNS1_11target_archE1100ELNS1_3gpuE3ELNS1_3repE0EEENS1_30default_config_static_selectorELNS0_4arch9wavefront6targetE0EEEvT1_
		.amdhsa_group_segment_fixed_size 7680
		.amdhsa_private_segment_fixed_size 0
		.amdhsa_kernarg_size 120
		.amdhsa_user_sgpr_count 15
		.amdhsa_user_sgpr_dispatch_ptr 0
		.amdhsa_user_sgpr_queue_ptr 0
		.amdhsa_user_sgpr_kernarg_segment_ptr 1
		.amdhsa_user_sgpr_dispatch_id 0
		.amdhsa_user_sgpr_private_segment_size 0
		.amdhsa_wavefront_size32 1
		.amdhsa_uses_dynamic_stack 0
		.amdhsa_enable_private_segment 0
		.amdhsa_system_sgpr_workgroup_id_x 1
		.amdhsa_system_sgpr_workgroup_id_y 0
		.amdhsa_system_sgpr_workgroup_id_z 0
		.amdhsa_system_sgpr_workgroup_info 0
		.amdhsa_system_vgpr_workitem_id 0
		.amdhsa_next_free_vgpr 102
		.amdhsa_next_free_sgpr 44
		.amdhsa_reserve_vcc 1
		.amdhsa_float_round_mode_32 0
		.amdhsa_float_round_mode_16_64 0
		.amdhsa_float_denorm_mode_32 3
		.amdhsa_float_denorm_mode_16_64 3
		.amdhsa_dx10_clamp 1
		.amdhsa_ieee_mode 1
		.amdhsa_fp16_overflow 0
		.amdhsa_workgroup_processor_mode 1
		.amdhsa_memory_ordered 1
		.amdhsa_forward_progress 0
		.amdhsa_shared_vgpr_count 0
		.amdhsa_exception_fp_ieee_invalid_op 0
		.amdhsa_exception_fp_denorm_src 0
		.amdhsa_exception_fp_ieee_div_zero 0
		.amdhsa_exception_fp_ieee_overflow 0
		.amdhsa_exception_fp_ieee_underflow 0
		.amdhsa_exception_fp_ieee_inexact 0
		.amdhsa_exception_int_div_zero 0
	.end_amdhsa_kernel
	.section	.text._ZN7rocprim17ROCPRIM_400000_NS6detail17trampoline_kernelINS0_14default_configENS1_29reduce_by_key_config_selectorIttN6thrust23THRUST_200600_302600_NS4plusItEEEEZZNS1_33reduce_by_key_impl_wrapped_configILNS1_25lookback_scan_determinismE0ES3_S9_NS6_6detail15normal_iteratorINS6_10device_ptrItEEEESG_SG_SG_PmS8_22is_equal_div_10_reduceItEEE10hipError_tPvRmT2_T3_mT4_T5_T6_T7_T8_P12ihipStream_tbENKUlT_T0_E_clISt17integral_constantIbLb1EES11_EEDaSW_SX_EUlSW_E_NS1_11comp_targetILNS1_3genE9ELNS1_11target_archE1100ELNS1_3gpuE3ELNS1_3repE0EEENS1_30default_config_static_selectorELNS0_4arch9wavefront6targetE0EEEvT1_,"axG",@progbits,_ZN7rocprim17ROCPRIM_400000_NS6detail17trampoline_kernelINS0_14default_configENS1_29reduce_by_key_config_selectorIttN6thrust23THRUST_200600_302600_NS4plusItEEEEZZNS1_33reduce_by_key_impl_wrapped_configILNS1_25lookback_scan_determinismE0ES3_S9_NS6_6detail15normal_iteratorINS6_10device_ptrItEEEESG_SG_SG_PmS8_22is_equal_div_10_reduceItEEE10hipError_tPvRmT2_T3_mT4_T5_T6_T7_T8_P12ihipStream_tbENKUlT_T0_E_clISt17integral_constantIbLb1EES11_EEDaSW_SX_EUlSW_E_NS1_11comp_targetILNS1_3genE9ELNS1_11target_archE1100ELNS1_3gpuE3ELNS1_3repE0EEENS1_30default_config_static_selectorELNS0_4arch9wavefront6targetE0EEEvT1_,comdat
.Lfunc_end447:
	.size	_ZN7rocprim17ROCPRIM_400000_NS6detail17trampoline_kernelINS0_14default_configENS1_29reduce_by_key_config_selectorIttN6thrust23THRUST_200600_302600_NS4plusItEEEEZZNS1_33reduce_by_key_impl_wrapped_configILNS1_25lookback_scan_determinismE0ES3_S9_NS6_6detail15normal_iteratorINS6_10device_ptrItEEEESG_SG_SG_PmS8_22is_equal_div_10_reduceItEEE10hipError_tPvRmT2_T3_mT4_T5_T6_T7_T8_P12ihipStream_tbENKUlT_T0_E_clISt17integral_constantIbLb1EES11_EEDaSW_SX_EUlSW_E_NS1_11comp_targetILNS1_3genE9ELNS1_11target_archE1100ELNS1_3gpuE3ELNS1_3repE0EEENS1_30default_config_static_selectorELNS0_4arch9wavefront6targetE0EEEvT1_, .Lfunc_end447-_ZN7rocprim17ROCPRIM_400000_NS6detail17trampoline_kernelINS0_14default_configENS1_29reduce_by_key_config_selectorIttN6thrust23THRUST_200600_302600_NS4plusItEEEEZZNS1_33reduce_by_key_impl_wrapped_configILNS1_25lookback_scan_determinismE0ES3_S9_NS6_6detail15normal_iteratorINS6_10device_ptrItEEEESG_SG_SG_PmS8_22is_equal_div_10_reduceItEEE10hipError_tPvRmT2_T3_mT4_T5_T6_T7_T8_P12ihipStream_tbENKUlT_T0_E_clISt17integral_constantIbLb1EES11_EEDaSW_SX_EUlSW_E_NS1_11comp_targetILNS1_3genE9ELNS1_11target_archE1100ELNS1_3gpuE3ELNS1_3repE0EEENS1_30default_config_static_selectorELNS0_4arch9wavefront6targetE0EEEvT1_
                                        ; -- End function
	.section	.AMDGPU.csdata,"",@progbits
; Kernel info:
; codeLenInByte = 23360
; NumSgprs: 46
; NumVgprs: 102
; ScratchSize: 0
; MemoryBound: 0
; FloatMode: 240
; IeeeMode: 1
; LDSByteSize: 7680 bytes/workgroup (compile time only)
; SGPRBlocks: 5
; VGPRBlocks: 12
; NumSGPRsForWavesPerEU: 46
; NumVGPRsForWavesPerEU: 102
; Occupancy: 12
; WaveLimiterHint : 1
; COMPUTE_PGM_RSRC2:SCRATCH_EN: 0
; COMPUTE_PGM_RSRC2:USER_SGPR: 15
; COMPUTE_PGM_RSRC2:TRAP_HANDLER: 0
; COMPUTE_PGM_RSRC2:TGID_X_EN: 1
; COMPUTE_PGM_RSRC2:TGID_Y_EN: 0
; COMPUTE_PGM_RSRC2:TGID_Z_EN: 0
; COMPUTE_PGM_RSRC2:TIDIG_COMP_CNT: 0
	.section	.text._ZN7rocprim17ROCPRIM_400000_NS6detail17trampoline_kernelINS0_14default_configENS1_29reduce_by_key_config_selectorIttN6thrust23THRUST_200600_302600_NS4plusItEEEEZZNS1_33reduce_by_key_impl_wrapped_configILNS1_25lookback_scan_determinismE0ES3_S9_NS6_6detail15normal_iteratorINS6_10device_ptrItEEEESG_SG_SG_PmS8_22is_equal_div_10_reduceItEEE10hipError_tPvRmT2_T3_mT4_T5_T6_T7_T8_P12ihipStream_tbENKUlT_T0_E_clISt17integral_constantIbLb1EES11_EEDaSW_SX_EUlSW_E_NS1_11comp_targetILNS1_3genE8ELNS1_11target_archE1030ELNS1_3gpuE2ELNS1_3repE0EEENS1_30default_config_static_selectorELNS0_4arch9wavefront6targetE0EEEvT1_,"axG",@progbits,_ZN7rocprim17ROCPRIM_400000_NS6detail17trampoline_kernelINS0_14default_configENS1_29reduce_by_key_config_selectorIttN6thrust23THRUST_200600_302600_NS4plusItEEEEZZNS1_33reduce_by_key_impl_wrapped_configILNS1_25lookback_scan_determinismE0ES3_S9_NS6_6detail15normal_iteratorINS6_10device_ptrItEEEESG_SG_SG_PmS8_22is_equal_div_10_reduceItEEE10hipError_tPvRmT2_T3_mT4_T5_T6_T7_T8_P12ihipStream_tbENKUlT_T0_E_clISt17integral_constantIbLb1EES11_EEDaSW_SX_EUlSW_E_NS1_11comp_targetILNS1_3genE8ELNS1_11target_archE1030ELNS1_3gpuE2ELNS1_3repE0EEENS1_30default_config_static_selectorELNS0_4arch9wavefront6targetE0EEEvT1_,comdat
	.protected	_ZN7rocprim17ROCPRIM_400000_NS6detail17trampoline_kernelINS0_14default_configENS1_29reduce_by_key_config_selectorIttN6thrust23THRUST_200600_302600_NS4plusItEEEEZZNS1_33reduce_by_key_impl_wrapped_configILNS1_25lookback_scan_determinismE0ES3_S9_NS6_6detail15normal_iteratorINS6_10device_ptrItEEEESG_SG_SG_PmS8_22is_equal_div_10_reduceItEEE10hipError_tPvRmT2_T3_mT4_T5_T6_T7_T8_P12ihipStream_tbENKUlT_T0_E_clISt17integral_constantIbLb1EES11_EEDaSW_SX_EUlSW_E_NS1_11comp_targetILNS1_3genE8ELNS1_11target_archE1030ELNS1_3gpuE2ELNS1_3repE0EEENS1_30default_config_static_selectorELNS0_4arch9wavefront6targetE0EEEvT1_ ; -- Begin function _ZN7rocprim17ROCPRIM_400000_NS6detail17trampoline_kernelINS0_14default_configENS1_29reduce_by_key_config_selectorIttN6thrust23THRUST_200600_302600_NS4plusItEEEEZZNS1_33reduce_by_key_impl_wrapped_configILNS1_25lookback_scan_determinismE0ES3_S9_NS6_6detail15normal_iteratorINS6_10device_ptrItEEEESG_SG_SG_PmS8_22is_equal_div_10_reduceItEEE10hipError_tPvRmT2_T3_mT4_T5_T6_T7_T8_P12ihipStream_tbENKUlT_T0_E_clISt17integral_constantIbLb1EES11_EEDaSW_SX_EUlSW_E_NS1_11comp_targetILNS1_3genE8ELNS1_11target_archE1030ELNS1_3gpuE2ELNS1_3repE0EEENS1_30default_config_static_selectorELNS0_4arch9wavefront6targetE0EEEvT1_
	.globl	_ZN7rocprim17ROCPRIM_400000_NS6detail17trampoline_kernelINS0_14default_configENS1_29reduce_by_key_config_selectorIttN6thrust23THRUST_200600_302600_NS4plusItEEEEZZNS1_33reduce_by_key_impl_wrapped_configILNS1_25lookback_scan_determinismE0ES3_S9_NS6_6detail15normal_iteratorINS6_10device_ptrItEEEESG_SG_SG_PmS8_22is_equal_div_10_reduceItEEE10hipError_tPvRmT2_T3_mT4_T5_T6_T7_T8_P12ihipStream_tbENKUlT_T0_E_clISt17integral_constantIbLb1EES11_EEDaSW_SX_EUlSW_E_NS1_11comp_targetILNS1_3genE8ELNS1_11target_archE1030ELNS1_3gpuE2ELNS1_3repE0EEENS1_30default_config_static_selectorELNS0_4arch9wavefront6targetE0EEEvT1_
	.p2align	8
	.type	_ZN7rocprim17ROCPRIM_400000_NS6detail17trampoline_kernelINS0_14default_configENS1_29reduce_by_key_config_selectorIttN6thrust23THRUST_200600_302600_NS4plusItEEEEZZNS1_33reduce_by_key_impl_wrapped_configILNS1_25lookback_scan_determinismE0ES3_S9_NS6_6detail15normal_iteratorINS6_10device_ptrItEEEESG_SG_SG_PmS8_22is_equal_div_10_reduceItEEE10hipError_tPvRmT2_T3_mT4_T5_T6_T7_T8_P12ihipStream_tbENKUlT_T0_E_clISt17integral_constantIbLb1EES11_EEDaSW_SX_EUlSW_E_NS1_11comp_targetILNS1_3genE8ELNS1_11target_archE1030ELNS1_3gpuE2ELNS1_3repE0EEENS1_30default_config_static_selectorELNS0_4arch9wavefront6targetE0EEEvT1_,@function
_ZN7rocprim17ROCPRIM_400000_NS6detail17trampoline_kernelINS0_14default_configENS1_29reduce_by_key_config_selectorIttN6thrust23THRUST_200600_302600_NS4plusItEEEEZZNS1_33reduce_by_key_impl_wrapped_configILNS1_25lookback_scan_determinismE0ES3_S9_NS6_6detail15normal_iteratorINS6_10device_ptrItEEEESG_SG_SG_PmS8_22is_equal_div_10_reduceItEEE10hipError_tPvRmT2_T3_mT4_T5_T6_T7_T8_P12ihipStream_tbENKUlT_T0_E_clISt17integral_constantIbLb1EES11_EEDaSW_SX_EUlSW_E_NS1_11comp_targetILNS1_3genE8ELNS1_11target_archE1030ELNS1_3gpuE2ELNS1_3repE0EEENS1_30default_config_static_selectorELNS0_4arch9wavefront6targetE0EEEvT1_: ; @_ZN7rocprim17ROCPRIM_400000_NS6detail17trampoline_kernelINS0_14default_configENS1_29reduce_by_key_config_selectorIttN6thrust23THRUST_200600_302600_NS4plusItEEEEZZNS1_33reduce_by_key_impl_wrapped_configILNS1_25lookback_scan_determinismE0ES3_S9_NS6_6detail15normal_iteratorINS6_10device_ptrItEEEESG_SG_SG_PmS8_22is_equal_div_10_reduceItEEE10hipError_tPvRmT2_T3_mT4_T5_T6_T7_T8_P12ihipStream_tbENKUlT_T0_E_clISt17integral_constantIbLb1EES11_EEDaSW_SX_EUlSW_E_NS1_11comp_targetILNS1_3genE8ELNS1_11target_archE1030ELNS1_3gpuE2ELNS1_3repE0EEENS1_30default_config_static_selectorELNS0_4arch9wavefront6targetE0EEEvT1_
; %bb.0:
	.section	.rodata,"a",@progbits
	.p2align	6, 0x0
	.amdhsa_kernel _ZN7rocprim17ROCPRIM_400000_NS6detail17trampoline_kernelINS0_14default_configENS1_29reduce_by_key_config_selectorIttN6thrust23THRUST_200600_302600_NS4plusItEEEEZZNS1_33reduce_by_key_impl_wrapped_configILNS1_25lookback_scan_determinismE0ES3_S9_NS6_6detail15normal_iteratorINS6_10device_ptrItEEEESG_SG_SG_PmS8_22is_equal_div_10_reduceItEEE10hipError_tPvRmT2_T3_mT4_T5_T6_T7_T8_P12ihipStream_tbENKUlT_T0_E_clISt17integral_constantIbLb1EES11_EEDaSW_SX_EUlSW_E_NS1_11comp_targetILNS1_3genE8ELNS1_11target_archE1030ELNS1_3gpuE2ELNS1_3repE0EEENS1_30default_config_static_selectorELNS0_4arch9wavefront6targetE0EEEvT1_
		.amdhsa_group_segment_fixed_size 0
		.amdhsa_private_segment_fixed_size 0
		.amdhsa_kernarg_size 120
		.amdhsa_user_sgpr_count 15
		.amdhsa_user_sgpr_dispatch_ptr 0
		.amdhsa_user_sgpr_queue_ptr 0
		.amdhsa_user_sgpr_kernarg_segment_ptr 1
		.amdhsa_user_sgpr_dispatch_id 0
		.amdhsa_user_sgpr_private_segment_size 0
		.amdhsa_wavefront_size32 1
		.amdhsa_uses_dynamic_stack 0
		.amdhsa_enable_private_segment 0
		.amdhsa_system_sgpr_workgroup_id_x 1
		.amdhsa_system_sgpr_workgroup_id_y 0
		.amdhsa_system_sgpr_workgroup_id_z 0
		.amdhsa_system_sgpr_workgroup_info 0
		.amdhsa_system_vgpr_workitem_id 0
		.amdhsa_next_free_vgpr 1
		.amdhsa_next_free_sgpr 1
		.amdhsa_reserve_vcc 0
		.amdhsa_float_round_mode_32 0
		.amdhsa_float_round_mode_16_64 0
		.amdhsa_float_denorm_mode_32 3
		.amdhsa_float_denorm_mode_16_64 3
		.amdhsa_dx10_clamp 1
		.amdhsa_ieee_mode 1
		.amdhsa_fp16_overflow 0
		.amdhsa_workgroup_processor_mode 1
		.amdhsa_memory_ordered 1
		.amdhsa_forward_progress 0
		.amdhsa_shared_vgpr_count 0
		.amdhsa_exception_fp_ieee_invalid_op 0
		.amdhsa_exception_fp_denorm_src 0
		.amdhsa_exception_fp_ieee_div_zero 0
		.amdhsa_exception_fp_ieee_overflow 0
		.amdhsa_exception_fp_ieee_underflow 0
		.amdhsa_exception_fp_ieee_inexact 0
		.amdhsa_exception_int_div_zero 0
	.end_amdhsa_kernel
	.section	.text._ZN7rocprim17ROCPRIM_400000_NS6detail17trampoline_kernelINS0_14default_configENS1_29reduce_by_key_config_selectorIttN6thrust23THRUST_200600_302600_NS4plusItEEEEZZNS1_33reduce_by_key_impl_wrapped_configILNS1_25lookback_scan_determinismE0ES3_S9_NS6_6detail15normal_iteratorINS6_10device_ptrItEEEESG_SG_SG_PmS8_22is_equal_div_10_reduceItEEE10hipError_tPvRmT2_T3_mT4_T5_T6_T7_T8_P12ihipStream_tbENKUlT_T0_E_clISt17integral_constantIbLb1EES11_EEDaSW_SX_EUlSW_E_NS1_11comp_targetILNS1_3genE8ELNS1_11target_archE1030ELNS1_3gpuE2ELNS1_3repE0EEENS1_30default_config_static_selectorELNS0_4arch9wavefront6targetE0EEEvT1_,"axG",@progbits,_ZN7rocprim17ROCPRIM_400000_NS6detail17trampoline_kernelINS0_14default_configENS1_29reduce_by_key_config_selectorIttN6thrust23THRUST_200600_302600_NS4plusItEEEEZZNS1_33reduce_by_key_impl_wrapped_configILNS1_25lookback_scan_determinismE0ES3_S9_NS6_6detail15normal_iteratorINS6_10device_ptrItEEEESG_SG_SG_PmS8_22is_equal_div_10_reduceItEEE10hipError_tPvRmT2_T3_mT4_T5_T6_T7_T8_P12ihipStream_tbENKUlT_T0_E_clISt17integral_constantIbLb1EES11_EEDaSW_SX_EUlSW_E_NS1_11comp_targetILNS1_3genE8ELNS1_11target_archE1030ELNS1_3gpuE2ELNS1_3repE0EEENS1_30default_config_static_selectorELNS0_4arch9wavefront6targetE0EEEvT1_,comdat
.Lfunc_end448:
	.size	_ZN7rocprim17ROCPRIM_400000_NS6detail17trampoline_kernelINS0_14default_configENS1_29reduce_by_key_config_selectorIttN6thrust23THRUST_200600_302600_NS4plusItEEEEZZNS1_33reduce_by_key_impl_wrapped_configILNS1_25lookback_scan_determinismE0ES3_S9_NS6_6detail15normal_iteratorINS6_10device_ptrItEEEESG_SG_SG_PmS8_22is_equal_div_10_reduceItEEE10hipError_tPvRmT2_T3_mT4_T5_T6_T7_T8_P12ihipStream_tbENKUlT_T0_E_clISt17integral_constantIbLb1EES11_EEDaSW_SX_EUlSW_E_NS1_11comp_targetILNS1_3genE8ELNS1_11target_archE1030ELNS1_3gpuE2ELNS1_3repE0EEENS1_30default_config_static_selectorELNS0_4arch9wavefront6targetE0EEEvT1_, .Lfunc_end448-_ZN7rocprim17ROCPRIM_400000_NS6detail17trampoline_kernelINS0_14default_configENS1_29reduce_by_key_config_selectorIttN6thrust23THRUST_200600_302600_NS4plusItEEEEZZNS1_33reduce_by_key_impl_wrapped_configILNS1_25lookback_scan_determinismE0ES3_S9_NS6_6detail15normal_iteratorINS6_10device_ptrItEEEESG_SG_SG_PmS8_22is_equal_div_10_reduceItEEE10hipError_tPvRmT2_T3_mT4_T5_T6_T7_T8_P12ihipStream_tbENKUlT_T0_E_clISt17integral_constantIbLb1EES11_EEDaSW_SX_EUlSW_E_NS1_11comp_targetILNS1_3genE8ELNS1_11target_archE1030ELNS1_3gpuE2ELNS1_3repE0EEENS1_30default_config_static_selectorELNS0_4arch9wavefront6targetE0EEEvT1_
                                        ; -- End function
	.section	.AMDGPU.csdata,"",@progbits
; Kernel info:
; codeLenInByte = 0
; NumSgprs: 0
; NumVgprs: 0
; ScratchSize: 0
; MemoryBound: 0
; FloatMode: 240
; IeeeMode: 1
; LDSByteSize: 0 bytes/workgroup (compile time only)
; SGPRBlocks: 0
; VGPRBlocks: 0
; NumSGPRsForWavesPerEU: 1
; NumVGPRsForWavesPerEU: 1
; Occupancy: 16
; WaveLimiterHint : 0
; COMPUTE_PGM_RSRC2:SCRATCH_EN: 0
; COMPUTE_PGM_RSRC2:USER_SGPR: 15
; COMPUTE_PGM_RSRC2:TRAP_HANDLER: 0
; COMPUTE_PGM_RSRC2:TGID_X_EN: 1
; COMPUTE_PGM_RSRC2:TGID_Y_EN: 0
; COMPUTE_PGM_RSRC2:TGID_Z_EN: 0
; COMPUTE_PGM_RSRC2:TIDIG_COMP_CNT: 0
	.section	.text._ZN7rocprim17ROCPRIM_400000_NS6detail17trampoline_kernelINS0_14default_configENS1_29reduce_by_key_config_selectorIttN6thrust23THRUST_200600_302600_NS4plusItEEEEZZNS1_33reduce_by_key_impl_wrapped_configILNS1_25lookback_scan_determinismE0ES3_S9_NS6_6detail15normal_iteratorINS6_10device_ptrItEEEESG_SG_SG_PmS8_22is_equal_div_10_reduceItEEE10hipError_tPvRmT2_T3_mT4_T5_T6_T7_T8_P12ihipStream_tbENKUlT_T0_E_clISt17integral_constantIbLb1EES10_IbLb0EEEEDaSW_SX_EUlSW_E_NS1_11comp_targetILNS1_3genE0ELNS1_11target_archE4294967295ELNS1_3gpuE0ELNS1_3repE0EEENS1_30default_config_static_selectorELNS0_4arch9wavefront6targetE0EEEvT1_,"axG",@progbits,_ZN7rocprim17ROCPRIM_400000_NS6detail17trampoline_kernelINS0_14default_configENS1_29reduce_by_key_config_selectorIttN6thrust23THRUST_200600_302600_NS4plusItEEEEZZNS1_33reduce_by_key_impl_wrapped_configILNS1_25lookback_scan_determinismE0ES3_S9_NS6_6detail15normal_iteratorINS6_10device_ptrItEEEESG_SG_SG_PmS8_22is_equal_div_10_reduceItEEE10hipError_tPvRmT2_T3_mT4_T5_T6_T7_T8_P12ihipStream_tbENKUlT_T0_E_clISt17integral_constantIbLb1EES10_IbLb0EEEEDaSW_SX_EUlSW_E_NS1_11comp_targetILNS1_3genE0ELNS1_11target_archE4294967295ELNS1_3gpuE0ELNS1_3repE0EEENS1_30default_config_static_selectorELNS0_4arch9wavefront6targetE0EEEvT1_,comdat
	.protected	_ZN7rocprim17ROCPRIM_400000_NS6detail17trampoline_kernelINS0_14default_configENS1_29reduce_by_key_config_selectorIttN6thrust23THRUST_200600_302600_NS4plusItEEEEZZNS1_33reduce_by_key_impl_wrapped_configILNS1_25lookback_scan_determinismE0ES3_S9_NS6_6detail15normal_iteratorINS6_10device_ptrItEEEESG_SG_SG_PmS8_22is_equal_div_10_reduceItEEE10hipError_tPvRmT2_T3_mT4_T5_T6_T7_T8_P12ihipStream_tbENKUlT_T0_E_clISt17integral_constantIbLb1EES10_IbLb0EEEEDaSW_SX_EUlSW_E_NS1_11comp_targetILNS1_3genE0ELNS1_11target_archE4294967295ELNS1_3gpuE0ELNS1_3repE0EEENS1_30default_config_static_selectorELNS0_4arch9wavefront6targetE0EEEvT1_ ; -- Begin function _ZN7rocprim17ROCPRIM_400000_NS6detail17trampoline_kernelINS0_14default_configENS1_29reduce_by_key_config_selectorIttN6thrust23THRUST_200600_302600_NS4plusItEEEEZZNS1_33reduce_by_key_impl_wrapped_configILNS1_25lookback_scan_determinismE0ES3_S9_NS6_6detail15normal_iteratorINS6_10device_ptrItEEEESG_SG_SG_PmS8_22is_equal_div_10_reduceItEEE10hipError_tPvRmT2_T3_mT4_T5_T6_T7_T8_P12ihipStream_tbENKUlT_T0_E_clISt17integral_constantIbLb1EES10_IbLb0EEEEDaSW_SX_EUlSW_E_NS1_11comp_targetILNS1_3genE0ELNS1_11target_archE4294967295ELNS1_3gpuE0ELNS1_3repE0EEENS1_30default_config_static_selectorELNS0_4arch9wavefront6targetE0EEEvT1_
	.globl	_ZN7rocprim17ROCPRIM_400000_NS6detail17trampoline_kernelINS0_14default_configENS1_29reduce_by_key_config_selectorIttN6thrust23THRUST_200600_302600_NS4plusItEEEEZZNS1_33reduce_by_key_impl_wrapped_configILNS1_25lookback_scan_determinismE0ES3_S9_NS6_6detail15normal_iteratorINS6_10device_ptrItEEEESG_SG_SG_PmS8_22is_equal_div_10_reduceItEEE10hipError_tPvRmT2_T3_mT4_T5_T6_T7_T8_P12ihipStream_tbENKUlT_T0_E_clISt17integral_constantIbLb1EES10_IbLb0EEEEDaSW_SX_EUlSW_E_NS1_11comp_targetILNS1_3genE0ELNS1_11target_archE4294967295ELNS1_3gpuE0ELNS1_3repE0EEENS1_30default_config_static_selectorELNS0_4arch9wavefront6targetE0EEEvT1_
	.p2align	8
	.type	_ZN7rocprim17ROCPRIM_400000_NS6detail17trampoline_kernelINS0_14default_configENS1_29reduce_by_key_config_selectorIttN6thrust23THRUST_200600_302600_NS4plusItEEEEZZNS1_33reduce_by_key_impl_wrapped_configILNS1_25lookback_scan_determinismE0ES3_S9_NS6_6detail15normal_iteratorINS6_10device_ptrItEEEESG_SG_SG_PmS8_22is_equal_div_10_reduceItEEE10hipError_tPvRmT2_T3_mT4_T5_T6_T7_T8_P12ihipStream_tbENKUlT_T0_E_clISt17integral_constantIbLb1EES10_IbLb0EEEEDaSW_SX_EUlSW_E_NS1_11comp_targetILNS1_3genE0ELNS1_11target_archE4294967295ELNS1_3gpuE0ELNS1_3repE0EEENS1_30default_config_static_selectorELNS0_4arch9wavefront6targetE0EEEvT1_,@function
_ZN7rocprim17ROCPRIM_400000_NS6detail17trampoline_kernelINS0_14default_configENS1_29reduce_by_key_config_selectorIttN6thrust23THRUST_200600_302600_NS4plusItEEEEZZNS1_33reduce_by_key_impl_wrapped_configILNS1_25lookback_scan_determinismE0ES3_S9_NS6_6detail15normal_iteratorINS6_10device_ptrItEEEESG_SG_SG_PmS8_22is_equal_div_10_reduceItEEE10hipError_tPvRmT2_T3_mT4_T5_T6_T7_T8_P12ihipStream_tbENKUlT_T0_E_clISt17integral_constantIbLb1EES10_IbLb0EEEEDaSW_SX_EUlSW_E_NS1_11comp_targetILNS1_3genE0ELNS1_11target_archE4294967295ELNS1_3gpuE0ELNS1_3repE0EEENS1_30default_config_static_selectorELNS0_4arch9wavefront6targetE0EEEvT1_: ; @_ZN7rocprim17ROCPRIM_400000_NS6detail17trampoline_kernelINS0_14default_configENS1_29reduce_by_key_config_selectorIttN6thrust23THRUST_200600_302600_NS4plusItEEEEZZNS1_33reduce_by_key_impl_wrapped_configILNS1_25lookback_scan_determinismE0ES3_S9_NS6_6detail15normal_iteratorINS6_10device_ptrItEEEESG_SG_SG_PmS8_22is_equal_div_10_reduceItEEE10hipError_tPvRmT2_T3_mT4_T5_T6_T7_T8_P12ihipStream_tbENKUlT_T0_E_clISt17integral_constantIbLb1EES10_IbLb0EEEEDaSW_SX_EUlSW_E_NS1_11comp_targetILNS1_3genE0ELNS1_11target_archE4294967295ELNS1_3gpuE0ELNS1_3repE0EEENS1_30default_config_static_selectorELNS0_4arch9wavefront6targetE0EEEvT1_
; %bb.0:
	.section	.rodata,"a",@progbits
	.p2align	6, 0x0
	.amdhsa_kernel _ZN7rocprim17ROCPRIM_400000_NS6detail17trampoline_kernelINS0_14default_configENS1_29reduce_by_key_config_selectorIttN6thrust23THRUST_200600_302600_NS4plusItEEEEZZNS1_33reduce_by_key_impl_wrapped_configILNS1_25lookback_scan_determinismE0ES3_S9_NS6_6detail15normal_iteratorINS6_10device_ptrItEEEESG_SG_SG_PmS8_22is_equal_div_10_reduceItEEE10hipError_tPvRmT2_T3_mT4_T5_T6_T7_T8_P12ihipStream_tbENKUlT_T0_E_clISt17integral_constantIbLb1EES10_IbLb0EEEEDaSW_SX_EUlSW_E_NS1_11comp_targetILNS1_3genE0ELNS1_11target_archE4294967295ELNS1_3gpuE0ELNS1_3repE0EEENS1_30default_config_static_selectorELNS0_4arch9wavefront6targetE0EEEvT1_
		.amdhsa_group_segment_fixed_size 0
		.amdhsa_private_segment_fixed_size 0
		.amdhsa_kernarg_size 120
		.amdhsa_user_sgpr_count 15
		.amdhsa_user_sgpr_dispatch_ptr 0
		.amdhsa_user_sgpr_queue_ptr 0
		.amdhsa_user_sgpr_kernarg_segment_ptr 1
		.amdhsa_user_sgpr_dispatch_id 0
		.amdhsa_user_sgpr_private_segment_size 0
		.amdhsa_wavefront_size32 1
		.amdhsa_uses_dynamic_stack 0
		.amdhsa_enable_private_segment 0
		.amdhsa_system_sgpr_workgroup_id_x 1
		.amdhsa_system_sgpr_workgroup_id_y 0
		.amdhsa_system_sgpr_workgroup_id_z 0
		.amdhsa_system_sgpr_workgroup_info 0
		.amdhsa_system_vgpr_workitem_id 0
		.amdhsa_next_free_vgpr 1
		.amdhsa_next_free_sgpr 1
		.amdhsa_reserve_vcc 0
		.amdhsa_float_round_mode_32 0
		.amdhsa_float_round_mode_16_64 0
		.amdhsa_float_denorm_mode_32 3
		.amdhsa_float_denorm_mode_16_64 3
		.amdhsa_dx10_clamp 1
		.amdhsa_ieee_mode 1
		.amdhsa_fp16_overflow 0
		.amdhsa_workgroup_processor_mode 1
		.amdhsa_memory_ordered 1
		.amdhsa_forward_progress 0
		.amdhsa_shared_vgpr_count 0
		.amdhsa_exception_fp_ieee_invalid_op 0
		.amdhsa_exception_fp_denorm_src 0
		.amdhsa_exception_fp_ieee_div_zero 0
		.amdhsa_exception_fp_ieee_overflow 0
		.amdhsa_exception_fp_ieee_underflow 0
		.amdhsa_exception_fp_ieee_inexact 0
		.amdhsa_exception_int_div_zero 0
	.end_amdhsa_kernel
	.section	.text._ZN7rocprim17ROCPRIM_400000_NS6detail17trampoline_kernelINS0_14default_configENS1_29reduce_by_key_config_selectorIttN6thrust23THRUST_200600_302600_NS4plusItEEEEZZNS1_33reduce_by_key_impl_wrapped_configILNS1_25lookback_scan_determinismE0ES3_S9_NS6_6detail15normal_iteratorINS6_10device_ptrItEEEESG_SG_SG_PmS8_22is_equal_div_10_reduceItEEE10hipError_tPvRmT2_T3_mT4_T5_T6_T7_T8_P12ihipStream_tbENKUlT_T0_E_clISt17integral_constantIbLb1EES10_IbLb0EEEEDaSW_SX_EUlSW_E_NS1_11comp_targetILNS1_3genE0ELNS1_11target_archE4294967295ELNS1_3gpuE0ELNS1_3repE0EEENS1_30default_config_static_selectorELNS0_4arch9wavefront6targetE0EEEvT1_,"axG",@progbits,_ZN7rocprim17ROCPRIM_400000_NS6detail17trampoline_kernelINS0_14default_configENS1_29reduce_by_key_config_selectorIttN6thrust23THRUST_200600_302600_NS4plusItEEEEZZNS1_33reduce_by_key_impl_wrapped_configILNS1_25lookback_scan_determinismE0ES3_S9_NS6_6detail15normal_iteratorINS6_10device_ptrItEEEESG_SG_SG_PmS8_22is_equal_div_10_reduceItEEE10hipError_tPvRmT2_T3_mT4_T5_T6_T7_T8_P12ihipStream_tbENKUlT_T0_E_clISt17integral_constantIbLb1EES10_IbLb0EEEEDaSW_SX_EUlSW_E_NS1_11comp_targetILNS1_3genE0ELNS1_11target_archE4294967295ELNS1_3gpuE0ELNS1_3repE0EEENS1_30default_config_static_selectorELNS0_4arch9wavefront6targetE0EEEvT1_,comdat
.Lfunc_end449:
	.size	_ZN7rocprim17ROCPRIM_400000_NS6detail17trampoline_kernelINS0_14default_configENS1_29reduce_by_key_config_selectorIttN6thrust23THRUST_200600_302600_NS4plusItEEEEZZNS1_33reduce_by_key_impl_wrapped_configILNS1_25lookback_scan_determinismE0ES3_S9_NS6_6detail15normal_iteratorINS6_10device_ptrItEEEESG_SG_SG_PmS8_22is_equal_div_10_reduceItEEE10hipError_tPvRmT2_T3_mT4_T5_T6_T7_T8_P12ihipStream_tbENKUlT_T0_E_clISt17integral_constantIbLb1EES10_IbLb0EEEEDaSW_SX_EUlSW_E_NS1_11comp_targetILNS1_3genE0ELNS1_11target_archE4294967295ELNS1_3gpuE0ELNS1_3repE0EEENS1_30default_config_static_selectorELNS0_4arch9wavefront6targetE0EEEvT1_, .Lfunc_end449-_ZN7rocprim17ROCPRIM_400000_NS6detail17trampoline_kernelINS0_14default_configENS1_29reduce_by_key_config_selectorIttN6thrust23THRUST_200600_302600_NS4plusItEEEEZZNS1_33reduce_by_key_impl_wrapped_configILNS1_25lookback_scan_determinismE0ES3_S9_NS6_6detail15normal_iteratorINS6_10device_ptrItEEEESG_SG_SG_PmS8_22is_equal_div_10_reduceItEEE10hipError_tPvRmT2_T3_mT4_T5_T6_T7_T8_P12ihipStream_tbENKUlT_T0_E_clISt17integral_constantIbLb1EES10_IbLb0EEEEDaSW_SX_EUlSW_E_NS1_11comp_targetILNS1_3genE0ELNS1_11target_archE4294967295ELNS1_3gpuE0ELNS1_3repE0EEENS1_30default_config_static_selectorELNS0_4arch9wavefront6targetE0EEEvT1_
                                        ; -- End function
	.section	.AMDGPU.csdata,"",@progbits
; Kernel info:
; codeLenInByte = 0
; NumSgprs: 0
; NumVgprs: 0
; ScratchSize: 0
; MemoryBound: 0
; FloatMode: 240
; IeeeMode: 1
; LDSByteSize: 0 bytes/workgroup (compile time only)
; SGPRBlocks: 0
; VGPRBlocks: 0
; NumSGPRsForWavesPerEU: 1
; NumVGPRsForWavesPerEU: 1
; Occupancy: 16
; WaveLimiterHint : 0
; COMPUTE_PGM_RSRC2:SCRATCH_EN: 0
; COMPUTE_PGM_RSRC2:USER_SGPR: 15
; COMPUTE_PGM_RSRC2:TRAP_HANDLER: 0
; COMPUTE_PGM_RSRC2:TGID_X_EN: 1
; COMPUTE_PGM_RSRC2:TGID_Y_EN: 0
; COMPUTE_PGM_RSRC2:TGID_Z_EN: 0
; COMPUTE_PGM_RSRC2:TIDIG_COMP_CNT: 0
	.section	.text._ZN7rocprim17ROCPRIM_400000_NS6detail17trampoline_kernelINS0_14default_configENS1_29reduce_by_key_config_selectorIttN6thrust23THRUST_200600_302600_NS4plusItEEEEZZNS1_33reduce_by_key_impl_wrapped_configILNS1_25lookback_scan_determinismE0ES3_S9_NS6_6detail15normal_iteratorINS6_10device_ptrItEEEESG_SG_SG_PmS8_22is_equal_div_10_reduceItEEE10hipError_tPvRmT2_T3_mT4_T5_T6_T7_T8_P12ihipStream_tbENKUlT_T0_E_clISt17integral_constantIbLb1EES10_IbLb0EEEEDaSW_SX_EUlSW_E_NS1_11comp_targetILNS1_3genE5ELNS1_11target_archE942ELNS1_3gpuE9ELNS1_3repE0EEENS1_30default_config_static_selectorELNS0_4arch9wavefront6targetE0EEEvT1_,"axG",@progbits,_ZN7rocprim17ROCPRIM_400000_NS6detail17trampoline_kernelINS0_14default_configENS1_29reduce_by_key_config_selectorIttN6thrust23THRUST_200600_302600_NS4plusItEEEEZZNS1_33reduce_by_key_impl_wrapped_configILNS1_25lookback_scan_determinismE0ES3_S9_NS6_6detail15normal_iteratorINS6_10device_ptrItEEEESG_SG_SG_PmS8_22is_equal_div_10_reduceItEEE10hipError_tPvRmT2_T3_mT4_T5_T6_T7_T8_P12ihipStream_tbENKUlT_T0_E_clISt17integral_constantIbLb1EES10_IbLb0EEEEDaSW_SX_EUlSW_E_NS1_11comp_targetILNS1_3genE5ELNS1_11target_archE942ELNS1_3gpuE9ELNS1_3repE0EEENS1_30default_config_static_selectorELNS0_4arch9wavefront6targetE0EEEvT1_,comdat
	.protected	_ZN7rocprim17ROCPRIM_400000_NS6detail17trampoline_kernelINS0_14default_configENS1_29reduce_by_key_config_selectorIttN6thrust23THRUST_200600_302600_NS4plusItEEEEZZNS1_33reduce_by_key_impl_wrapped_configILNS1_25lookback_scan_determinismE0ES3_S9_NS6_6detail15normal_iteratorINS6_10device_ptrItEEEESG_SG_SG_PmS8_22is_equal_div_10_reduceItEEE10hipError_tPvRmT2_T3_mT4_T5_T6_T7_T8_P12ihipStream_tbENKUlT_T0_E_clISt17integral_constantIbLb1EES10_IbLb0EEEEDaSW_SX_EUlSW_E_NS1_11comp_targetILNS1_3genE5ELNS1_11target_archE942ELNS1_3gpuE9ELNS1_3repE0EEENS1_30default_config_static_selectorELNS0_4arch9wavefront6targetE0EEEvT1_ ; -- Begin function _ZN7rocprim17ROCPRIM_400000_NS6detail17trampoline_kernelINS0_14default_configENS1_29reduce_by_key_config_selectorIttN6thrust23THRUST_200600_302600_NS4plusItEEEEZZNS1_33reduce_by_key_impl_wrapped_configILNS1_25lookback_scan_determinismE0ES3_S9_NS6_6detail15normal_iteratorINS6_10device_ptrItEEEESG_SG_SG_PmS8_22is_equal_div_10_reduceItEEE10hipError_tPvRmT2_T3_mT4_T5_T6_T7_T8_P12ihipStream_tbENKUlT_T0_E_clISt17integral_constantIbLb1EES10_IbLb0EEEEDaSW_SX_EUlSW_E_NS1_11comp_targetILNS1_3genE5ELNS1_11target_archE942ELNS1_3gpuE9ELNS1_3repE0EEENS1_30default_config_static_selectorELNS0_4arch9wavefront6targetE0EEEvT1_
	.globl	_ZN7rocprim17ROCPRIM_400000_NS6detail17trampoline_kernelINS0_14default_configENS1_29reduce_by_key_config_selectorIttN6thrust23THRUST_200600_302600_NS4plusItEEEEZZNS1_33reduce_by_key_impl_wrapped_configILNS1_25lookback_scan_determinismE0ES3_S9_NS6_6detail15normal_iteratorINS6_10device_ptrItEEEESG_SG_SG_PmS8_22is_equal_div_10_reduceItEEE10hipError_tPvRmT2_T3_mT4_T5_T6_T7_T8_P12ihipStream_tbENKUlT_T0_E_clISt17integral_constantIbLb1EES10_IbLb0EEEEDaSW_SX_EUlSW_E_NS1_11comp_targetILNS1_3genE5ELNS1_11target_archE942ELNS1_3gpuE9ELNS1_3repE0EEENS1_30default_config_static_selectorELNS0_4arch9wavefront6targetE0EEEvT1_
	.p2align	8
	.type	_ZN7rocprim17ROCPRIM_400000_NS6detail17trampoline_kernelINS0_14default_configENS1_29reduce_by_key_config_selectorIttN6thrust23THRUST_200600_302600_NS4plusItEEEEZZNS1_33reduce_by_key_impl_wrapped_configILNS1_25lookback_scan_determinismE0ES3_S9_NS6_6detail15normal_iteratorINS6_10device_ptrItEEEESG_SG_SG_PmS8_22is_equal_div_10_reduceItEEE10hipError_tPvRmT2_T3_mT4_T5_T6_T7_T8_P12ihipStream_tbENKUlT_T0_E_clISt17integral_constantIbLb1EES10_IbLb0EEEEDaSW_SX_EUlSW_E_NS1_11comp_targetILNS1_3genE5ELNS1_11target_archE942ELNS1_3gpuE9ELNS1_3repE0EEENS1_30default_config_static_selectorELNS0_4arch9wavefront6targetE0EEEvT1_,@function
_ZN7rocprim17ROCPRIM_400000_NS6detail17trampoline_kernelINS0_14default_configENS1_29reduce_by_key_config_selectorIttN6thrust23THRUST_200600_302600_NS4plusItEEEEZZNS1_33reduce_by_key_impl_wrapped_configILNS1_25lookback_scan_determinismE0ES3_S9_NS6_6detail15normal_iteratorINS6_10device_ptrItEEEESG_SG_SG_PmS8_22is_equal_div_10_reduceItEEE10hipError_tPvRmT2_T3_mT4_T5_T6_T7_T8_P12ihipStream_tbENKUlT_T0_E_clISt17integral_constantIbLb1EES10_IbLb0EEEEDaSW_SX_EUlSW_E_NS1_11comp_targetILNS1_3genE5ELNS1_11target_archE942ELNS1_3gpuE9ELNS1_3repE0EEENS1_30default_config_static_selectorELNS0_4arch9wavefront6targetE0EEEvT1_: ; @_ZN7rocprim17ROCPRIM_400000_NS6detail17trampoline_kernelINS0_14default_configENS1_29reduce_by_key_config_selectorIttN6thrust23THRUST_200600_302600_NS4plusItEEEEZZNS1_33reduce_by_key_impl_wrapped_configILNS1_25lookback_scan_determinismE0ES3_S9_NS6_6detail15normal_iteratorINS6_10device_ptrItEEEESG_SG_SG_PmS8_22is_equal_div_10_reduceItEEE10hipError_tPvRmT2_T3_mT4_T5_T6_T7_T8_P12ihipStream_tbENKUlT_T0_E_clISt17integral_constantIbLb1EES10_IbLb0EEEEDaSW_SX_EUlSW_E_NS1_11comp_targetILNS1_3genE5ELNS1_11target_archE942ELNS1_3gpuE9ELNS1_3repE0EEENS1_30default_config_static_selectorELNS0_4arch9wavefront6targetE0EEEvT1_
; %bb.0:
	.section	.rodata,"a",@progbits
	.p2align	6, 0x0
	.amdhsa_kernel _ZN7rocprim17ROCPRIM_400000_NS6detail17trampoline_kernelINS0_14default_configENS1_29reduce_by_key_config_selectorIttN6thrust23THRUST_200600_302600_NS4plusItEEEEZZNS1_33reduce_by_key_impl_wrapped_configILNS1_25lookback_scan_determinismE0ES3_S9_NS6_6detail15normal_iteratorINS6_10device_ptrItEEEESG_SG_SG_PmS8_22is_equal_div_10_reduceItEEE10hipError_tPvRmT2_T3_mT4_T5_T6_T7_T8_P12ihipStream_tbENKUlT_T0_E_clISt17integral_constantIbLb1EES10_IbLb0EEEEDaSW_SX_EUlSW_E_NS1_11comp_targetILNS1_3genE5ELNS1_11target_archE942ELNS1_3gpuE9ELNS1_3repE0EEENS1_30default_config_static_selectorELNS0_4arch9wavefront6targetE0EEEvT1_
		.amdhsa_group_segment_fixed_size 0
		.amdhsa_private_segment_fixed_size 0
		.amdhsa_kernarg_size 120
		.amdhsa_user_sgpr_count 15
		.amdhsa_user_sgpr_dispatch_ptr 0
		.amdhsa_user_sgpr_queue_ptr 0
		.amdhsa_user_sgpr_kernarg_segment_ptr 1
		.amdhsa_user_sgpr_dispatch_id 0
		.amdhsa_user_sgpr_private_segment_size 0
		.amdhsa_wavefront_size32 1
		.amdhsa_uses_dynamic_stack 0
		.amdhsa_enable_private_segment 0
		.amdhsa_system_sgpr_workgroup_id_x 1
		.amdhsa_system_sgpr_workgroup_id_y 0
		.amdhsa_system_sgpr_workgroup_id_z 0
		.amdhsa_system_sgpr_workgroup_info 0
		.amdhsa_system_vgpr_workitem_id 0
		.amdhsa_next_free_vgpr 1
		.amdhsa_next_free_sgpr 1
		.amdhsa_reserve_vcc 0
		.amdhsa_float_round_mode_32 0
		.amdhsa_float_round_mode_16_64 0
		.amdhsa_float_denorm_mode_32 3
		.amdhsa_float_denorm_mode_16_64 3
		.amdhsa_dx10_clamp 1
		.amdhsa_ieee_mode 1
		.amdhsa_fp16_overflow 0
		.amdhsa_workgroup_processor_mode 1
		.amdhsa_memory_ordered 1
		.amdhsa_forward_progress 0
		.amdhsa_shared_vgpr_count 0
		.amdhsa_exception_fp_ieee_invalid_op 0
		.amdhsa_exception_fp_denorm_src 0
		.amdhsa_exception_fp_ieee_div_zero 0
		.amdhsa_exception_fp_ieee_overflow 0
		.amdhsa_exception_fp_ieee_underflow 0
		.amdhsa_exception_fp_ieee_inexact 0
		.amdhsa_exception_int_div_zero 0
	.end_amdhsa_kernel
	.section	.text._ZN7rocprim17ROCPRIM_400000_NS6detail17trampoline_kernelINS0_14default_configENS1_29reduce_by_key_config_selectorIttN6thrust23THRUST_200600_302600_NS4plusItEEEEZZNS1_33reduce_by_key_impl_wrapped_configILNS1_25lookback_scan_determinismE0ES3_S9_NS6_6detail15normal_iteratorINS6_10device_ptrItEEEESG_SG_SG_PmS8_22is_equal_div_10_reduceItEEE10hipError_tPvRmT2_T3_mT4_T5_T6_T7_T8_P12ihipStream_tbENKUlT_T0_E_clISt17integral_constantIbLb1EES10_IbLb0EEEEDaSW_SX_EUlSW_E_NS1_11comp_targetILNS1_3genE5ELNS1_11target_archE942ELNS1_3gpuE9ELNS1_3repE0EEENS1_30default_config_static_selectorELNS0_4arch9wavefront6targetE0EEEvT1_,"axG",@progbits,_ZN7rocprim17ROCPRIM_400000_NS6detail17trampoline_kernelINS0_14default_configENS1_29reduce_by_key_config_selectorIttN6thrust23THRUST_200600_302600_NS4plusItEEEEZZNS1_33reduce_by_key_impl_wrapped_configILNS1_25lookback_scan_determinismE0ES3_S9_NS6_6detail15normal_iteratorINS6_10device_ptrItEEEESG_SG_SG_PmS8_22is_equal_div_10_reduceItEEE10hipError_tPvRmT2_T3_mT4_T5_T6_T7_T8_P12ihipStream_tbENKUlT_T0_E_clISt17integral_constantIbLb1EES10_IbLb0EEEEDaSW_SX_EUlSW_E_NS1_11comp_targetILNS1_3genE5ELNS1_11target_archE942ELNS1_3gpuE9ELNS1_3repE0EEENS1_30default_config_static_selectorELNS0_4arch9wavefront6targetE0EEEvT1_,comdat
.Lfunc_end450:
	.size	_ZN7rocprim17ROCPRIM_400000_NS6detail17trampoline_kernelINS0_14default_configENS1_29reduce_by_key_config_selectorIttN6thrust23THRUST_200600_302600_NS4plusItEEEEZZNS1_33reduce_by_key_impl_wrapped_configILNS1_25lookback_scan_determinismE0ES3_S9_NS6_6detail15normal_iteratorINS6_10device_ptrItEEEESG_SG_SG_PmS8_22is_equal_div_10_reduceItEEE10hipError_tPvRmT2_T3_mT4_T5_T6_T7_T8_P12ihipStream_tbENKUlT_T0_E_clISt17integral_constantIbLb1EES10_IbLb0EEEEDaSW_SX_EUlSW_E_NS1_11comp_targetILNS1_3genE5ELNS1_11target_archE942ELNS1_3gpuE9ELNS1_3repE0EEENS1_30default_config_static_selectorELNS0_4arch9wavefront6targetE0EEEvT1_, .Lfunc_end450-_ZN7rocprim17ROCPRIM_400000_NS6detail17trampoline_kernelINS0_14default_configENS1_29reduce_by_key_config_selectorIttN6thrust23THRUST_200600_302600_NS4plusItEEEEZZNS1_33reduce_by_key_impl_wrapped_configILNS1_25lookback_scan_determinismE0ES3_S9_NS6_6detail15normal_iteratorINS6_10device_ptrItEEEESG_SG_SG_PmS8_22is_equal_div_10_reduceItEEE10hipError_tPvRmT2_T3_mT4_T5_T6_T7_T8_P12ihipStream_tbENKUlT_T0_E_clISt17integral_constantIbLb1EES10_IbLb0EEEEDaSW_SX_EUlSW_E_NS1_11comp_targetILNS1_3genE5ELNS1_11target_archE942ELNS1_3gpuE9ELNS1_3repE0EEENS1_30default_config_static_selectorELNS0_4arch9wavefront6targetE0EEEvT1_
                                        ; -- End function
	.section	.AMDGPU.csdata,"",@progbits
; Kernel info:
; codeLenInByte = 0
; NumSgprs: 0
; NumVgprs: 0
; ScratchSize: 0
; MemoryBound: 0
; FloatMode: 240
; IeeeMode: 1
; LDSByteSize: 0 bytes/workgroup (compile time only)
; SGPRBlocks: 0
; VGPRBlocks: 0
; NumSGPRsForWavesPerEU: 1
; NumVGPRsForWavesPerEU: 1
; Occupancy: 16
; WaveLimiterHint : 0
; COMPUTE_PGM_RSRC2:SCRATCH_EN: 0
; COMPUTE_PGM_RSRC2:USER_SGPR: 15
; COMPUTE_PGM_RSRC2:TRAP_HANDLER: 0
; COMPUTE_PGM_RSRC2:TGID_X_EN: 1
; COMPUTE_PGM_RSRC2:TGID_Y_EN: 0
; COMPUTE_PGM_RSRC2:TGID_Z_EN: 0
; COMPUTE_PGM_RSRC2:TIDIG_COMP_CNT: 0
	.section	.text._ZN7rocprim17ROCPRIM_400000_NS6detail17trampoline_kernelINS0_14default_configENS1_29reduce_by_key_config_selectorIttN6thrust23THRUST_200600_302600_NS4plusItEEEEZZNS1_33reduce_by_key_impl_wrapped_configILNS1_25lookback_scan_determinismE0ES3_S9_NS6_6detail15normal_iteratorINS6_10device_ptrItEEEESG_SG_SG_PmS8_22is_equal_div_10_reduceItEEE10hipError_tPvRmT2_T3_mT4_T5_T6_T7_T8_P12ihipStream_tbENKUlT_T0_E_clISt17integral_constantIbLb1EES10_IbLb0EEEEDaSW_SX_EUlSW_E_NS1_11comp_targetILNS1_3genE4ELNS1_11target_archE910ELNS1_3gpuE8ELNS1_3repE0EEENS1_30default_config_static_selectorELNS0_4arch9wavefront6targetE0EEEvT1_,"axG",@progbits,_ZN7rocprim17ROCPRIM_400000_NS6detail17trampoline_kernelINS0_14default_configENS1_29reduce_by_key_config_selectorIttN6thrust23THRUST_200600_302600_NS4plusItEEEEZZNS1_33reduce_by_key_impl_wrapped_configILNS1_25lookback_scan_determinismE0ES3_S9_NS6_6detail15normal_iteratorINS6_10device_ptrItEEEESG_SG_SG_PmS8_22is_equal_div_10_reduceItEEE10hipError_tPvRmT2_T3_mT4_T5_T6_T7_T8_P12ihipStream_tbENKUlT_T0_E_clISt17integral_constantIbLb1EES10_IbLb0EEEEDaSW_SX_EUlSW_E_NS1_11comp_targetILNS1_3genE4ELNS1_11target_archE910ELNS1_3gpuE8ELNS1_3repE0EEENS1_30default_config_static_selectorELNS0_4arch9wavefront6targetE0EEEvT1_,comdat
	.protected	_ZN7rocprim17ROCPRIM_400000_NS6detail17trampoline_kernelINS0_14default_configENS1_29reduce_by_key_config_selectorIttN6thrust23THRUST_200600_302600_NS4plusItEEEEZZNS1_33reduce_by_key_impl_wrapped_configILNS1_25lookback_scan_determinismE0ES3_S9_NS6_6detail15normal_iteratorINS6_10device_ptrItEEEESG_SG_SG_PmS8_22is_equal_div_10_reduceItEEE10hipError_tPvRmT2_T3_mT4_T5_T6_T7_T8_P12ihipStream_tbENKUlT_T0_E_clISt17integral_constantIbLb1EES10_IbLb0EEEEDaSW_SX_EUlSW_E_NS1_11comp_targetILNS1_3genE4ELNS1_11target_archE910ELNS1_3gpuE8ELNS1_3repE0EEENS1_30default_config_static_selectorELNS0_4arch9wavefront6targetE0EEEvT1_ ; -- Begin function _ZN7rocprim17ROCPRIM_400000_NS6detail17trampoline_kernelINS0_14default_configENS1_29reduce_by_key_config_selectorIttN6thrust23THRUST_200600_302600_NS4plusItEEEEZZNS1_33reduce_by_key_impl_wrapped_configILNS1_25lookback_scan_determinismE0ES3_S9_NS6_6detail15normal_iteratorINS6_10device_ptrItEEEESG_SG_SG_PmS8_22is_equal_div_10_reduceItEEE10hipError_tPvRmT2_T3_mT4_T5_T6_T7_T8_P12ihipStream_tbENKUlT_T0_E_clISt17integral_constantIbLb1EES10_IbLb0EEEEDaSW_SX_EUlSW_E_NS1_11comp_targetILNS1_3genE4ELNS1_11target_archE910ELNS1_3gpuE8ELNS1_3repE0EEENS1_30default_config_static_selectorELNS0_4arch9wavefront6targetE0EEEvT1_
	.globl	_ZN7rocprim17ROCPRIM_400000_NS6detail17trampoline_kernelINS0_14default_configENS1_29reduce_by_key_config_selectorIttN6thrust23THRUST_200600_302600_NS4plusItEEEEZZNS1_33reduce_by_key_impl_wrapped_configILNS1_25lookback_scan_determinismE0ES3_S9_NS6_6detail15normal_iteratorINS6_10device_ptrItEEEESG_SG_SG_PmS8_22is_equal_div_10_reduceItEEE10hipError_tPvRmT2_T3_mT4_T5_T6_T7_T8_P12ihipStream_tbENKUlT_T0_E_clISt17integral_constantIbLb1EES10_IbLb0EEEEDaSW_SX_EUlSW_E_NS1_11comp_targetILNS1_3genE4ELNS1_11target_archE910ELNS1_3gpuE8ELNS1_3repE0EEENS1_30default_config_static_selectorELNS0_4arch9wavefront6targetE0EEEvT1_
	.p2align	8
	.type	_ZN7rocprim17ROCPRIM_400000_NS6detail17trampoline_kernelINS0_14default_configENS1_29reduce_by_key_config_selectorIttN6thrust23THRUST_200600_302600_NS4plusItEEEEZZNS1_33reduce_by_key_impl_wrapped_configILNS1_25lookback_scan_determinismE0ES3_S9_NS6_6detail15normal_iteratorINS6_10device_ptrItEEEESG_SG_SG_PmS8_22is_equal_div_10_reduceItEEE10hipError_tPvRmT2_T3_mT4_T5_T6_T7_T8_P12ihipStream_tbENKUlT_T0_E_clISt17integral_constantIbLb1EES10_IbLb0EEEEDaSW_SX_EUlSW_E_NS1_11comp_targetILNS1_3genE4ELNS1_11target_archE910ELNS1_3gpuE8ELNS1_3repE0EEENS1_30default_config_static_selectorELNS0_4arch9wavefront6targetE0EEEvT1_,@function
_ZN7rocprim17ROCPRIM_400000_NS6detail17trampoline_kernelINS0_14default_configENS1_29reduce_by_key_config_selectorIttN6thrust23THRUST_200600_302600_NS4plusItEEEEZZNS1_33reduce_by_key_impl_wrapped_configILNS1_25lookback_scan_determinismE0ES3_S9_NS6_6detail15normal_iteratorINS6_10device_ptrItEEEESG_SG_SG_PmS8_22is_equal_div_10_reduceItEEE10hipError_tPvRmT2_T3_mT4_T5_T6_T7_T8_P12ihipStream_tbENKUlT_T0_E_clISt17integral_constantIbLb1EES10_IbLb0EEEEDaSW_SX_EUlSW_E_NS1_11comp_targetILNS1_3genE4ELNS1_11target_archE910ELNS1_3gpuE8ELNS1_3repE0EEENS1_30default_config_static_selectorELNS0_4arch9wavefront6targetE0EEEvT1_: ; @_ZN7rocprim17ROCPRIM_400000_NS6detail17trampoline_kernelINS0_14default_configENS1_29reduce_by_key_config_selectorIttN6thrust23THRUST_200600_302600_NS4plusItEEEEZZNS1_33reduce_by_key_impl_wrapped_configILNS1_25lookback_scan_determinismE0ES3_S9_NS6_6detail15normal_iteratorINS6_10device_ptrItEEEESG_SG_SG_PmS8_22is_equal_div_10_reduceItEEE10hipError_tPvRmT2_T3_mT4_T5_T6_T7_T8_P12ihipStream_tbENKUlT_T0_E_clISt17integral_constantIbLb1EES10_IbLb0EEEEDaSW_SX_EUlSW_E_NS1_11comp_targetILNS1_3genE4ELNS1_11target_archE910ELNS1_3gpuE8ELNS1_3repE0EEENS1_30default_config_static_selectorELNS0_4arch9wavefront6targetE0EEEvT1_
; %bb.0:
	.section	.rodata,"a",@progbits
	.p2align	6, 0x0
	.amdhsa_kernel _ZN7rocprim17ROCPRIM_400000_NS6detail17trampoline_kernelINS0_14default_configENS1_29reduce_by_key_config_selectorIttN6thrust23THRUST_200600_302600_NS4plusItEEEEZZNS1_33reduce_by_key_impl_wrapped_configILNS1_25lookback_scan_determinismE0ES3_S9_NS6_6detail15normal_iteratorINS6_10device_ptrItEEEESG_SG_SG_PmS8_22is_equal_div_10_reduceItEEE10hipError_tPvRmT2_T3_mT4_T5_T6_T7_T8_P12ihipStream_tbENKUlT_T0_E_clISt17integral_constantIbLb1EES10_IbLb0EEEEDaSW_SX_EUlSW_E_NS1_11comp_targetILNS1_3genE4ELNS1_11target_archE910ELNS1_3gpuE8ELNS1_3repE0EEENS1_30default_config_static_selectorELNS0_4arch9wavefront6targetE0EEEvT1_
		.amdhsa_group_segment_fixed_size 0
		.amdhsa_private_segment_fixed_size 0
		.amdhsa_kernarg_size 120
		.amdhsa_user_sgpr_count 15
		.amdhsa_user_sgpr_dispatch_ptr 0
		.amdhsa_user_sgpr_queue_ptr 0
		.amdhsa_user_sgpr_kernarg_segment_ptr 1
		.amdhsa_user_sgpr_dispatch_id 0
		.amdhsa_user_sgpr_private_segment_size 0
		.amdhsa_wavefront_size32 1
		.amdhsa_uses_dynamic_stack 0
		.amdhsa_enable_private_segment 0
		.amdhsa_system_sgpr_workgroup_id_x 1
		.amdhsa_system_sgpr_workgroup_id_y 0
		.amdhsa_system_sgpr_workgroup_id_z 0
		.amdhsa_system_sgpr_workgroup_info 0
		.amdhsa_system_vgpr_workitem_id 0
		.amdhsa_next_free_vgpr 1
		.amdhsa_next_free_sgpr 1
		.amdhsa_reserve_vcc 0
		.amdhsa_float_round_mode_32 0
		.amdhsa_float_round_mode_16_64 0
		.amdhsa_float_denorm_mode_32 3
		.amdhsa_float_denorm_mode_16_64 3
		.amdhsa_dx10_clamp 1
		.amdhsa_ieee_mode 1
		.amdhsa_fp16_overflow 0
		.amdhsa_workgroup_processor_mode 1
		.amdhsa_memory_ordered 1
		.amdhsa_forward_progress 0
		.amdhsa_shared_vgpr_count 0
		.amdhsa_exception_fp_ieee_invalid_op 0
		.amdhsa_exception_fp_denorm_src 0
		.amdhsa_exception_fp_ieee_div_zero 0
		.amdhsa_exception_fp_ieee_overflow 0
		.amdhsa_exception_fp_ieee_underflow 0
		.amdhsa_exception_fp_ieee_inexact 0
		.amdhsa_exception_int_div_zero 0
	.end_amdhsa_kernel
	.section	.text._ZN7rocprim17ROCPRIM_400000_NS6detail17trampoline_kernelINS0_14default_configENS1_29reduce_by_key_config_selectorIttN6thrust23THRUST_200600_302600_NS4plusItEEEEZZNS1_33reduce_by_key_impl_wrapped_configILNS1_25lookback_scan_determinismE0ES3_S9_NS6_6detail15normal_iteratorINS6_10device_ptrItEEEESG_SG_SG_PmS8_22is_equal_div_10_reduceItEEE10hipError_tPvRmT2_T3_mT4_T5_T6_T7_T8_P12ihipStream_tbENKUlT_T0_E_clISt17integral_constantIbLb1EES10_IbLb0EEEEDaSW_SX_EUlSW_E_NS1_11comp_targetILNS1_3genE4ELNS1_11target_archE910ELNS1_3gpuE8ELNS1_3repE0EEENS1_30default_config_static_selectorELNS0_4arch9wavefront6targetE0EEEvT1_,"axG",@progbits,_ZN7rocprim17ROCPRIM_400000_NS6detail17trampoline_kernelINS0_14default_configENS1_29reduce_by_key_config_selectorIttN6thrust23THRUST_200600_302600_NS4plusItEEEEZZNS1_33reduce_by_key_impl_wrapped_configILNS1_25lookback_scan_determinismE0ES3_S9_NS6_6detail15normal_iteratorINS6_10device_ptrItEEEESG_SG_SG_PmS8_22is_equal_div_10_reduceItEEE10hipError_tPvRmT2_T3_mT4_T5_T6_T7_T8_P12ihipStream_tbENKUlT_T0_E_clISt17integral_constantIbLb1EES10_IbLb0EEEEDaSW_SX_EUlSW_E_NS1_11comp_targetILNS1_3genE4ELNS1_11target_archE910ELNS1_3gpuE8ELNS1_3repE0EEENS1_30default_config_static_selectorELNS0_4arch9wavefront6targetE0EEEvT1_,comdat
.Lfunc_end451:
	.size	_ZN7rocprim17ROCPRIM_400000_NS6detail17trampoline_kernelINS0_14default_configENS1_29reduce_by_key_config_selectorIttN6thrust23THRUST_200600_302600_NS4plusItEEEEZZNS1_33reduce_by_key_impl_wrapped_configILNS1_25lookback_scan_determinismE0ES3_S9_NS6_6detail15normal_iteratorINS6_10device_ptrItEEEESG_SG_SG_PmS8_22is_equal_div_10_reduceItEEE10hipError_tPvRmT2_T3_mT4_T5_T6_T7_T8_P12ihipStream_tbENKUlT_T0_E_clISt17integral_constantIbLb1EES10_IbLb0EEEEDaSW_SX_EUlSW_E_NS1_11comp_targetILNS1_3genE4ELNS1_11target_archE910ELNS1_3gpuE8ELNS1_3repE0EEENS1_30default_config_static_selectorELNS0_4arch9wavefront6targetE0EEEvT1_, .Lfunc_end451-_ZN7rocprim17ROCPRIM_400000_NS6detail17trampoline_kernelINS0_14default_configENS1_29reduce_by_key_config_selectorIttN6thrust23THRUST_200600_302600_NS4plusItEEEEZZNS1_33reduce_by_key_impl_wrapped_configILNS1_25lookback_scan_determinismE0ES3_S9_NS6_6detail15normal_iteratorINS6_10device_ptrItEEEESG_SG_SG_PmS8_22is_equal_div_10_reduceItEEE10hipError_tPvRmT2_T3_mT4_T5_T6_T7_T8_P12ihipStream_tbENKUlT_T0_E_clISt17integral_constantIbLb1EES10_IbLb0EEEEDaSW_SX_EUlSW_E_NS1_11comp_targetILNS1_3genE4ELNS1_11target_archE910ELNS1_3gpuE8ELNS1_3repE0EEENS1_30default_config_static_selectorELNS0_4arch9wavefront6targetE0EEEvT1_
                                        ; -- End function
	.section	.AMDGPU.csdata,"",@progbits
; Kernel info:
; codeLenInByte = 0
; NumSgprs: 0
; NumVgprs: 0
; ScratchSize: 0
; MemoryBound: 0
; FloatMode: 240
; IeeeMode: 1
; LDSByteSize: 0 bytes/workgroup (compile time only)
; SGPRBlocks: 0
; VGPRBlocks: 0
; NumSGPRsForWavesPerEU: 1
; NumVGPRsForWavesPerEU: 1
; Occupancy: 16
; WaveLimiterHint : 0
; COMPUTE_PGM_RSRC2:SCRATCH_EN: 0
; COMPUTE_PGM_RSRC2:USER_SGPR: 15
; COMPUTE_PGM_RSRC2:TRAP_HANDLER: 0
; COMPUTE_PGM_RSRC2:TGID_X_EN: 1
; COMPUTE_PGM_RSRC2:TGID_Y_EN: 0
; COMPUTE_PGM_RSRC2:TGID_Z_EN: 0
; COMPUTE_PGM_RSRC2:TIDIG_COMP_CNT: 0
	.section	.text._ZN7rocprim17ROCPRIM_400000_NS6detail17trampoline_kernelINS0_14default_configENS1_29reduce_by_key_config_selectorIttN6thrust23THRUST_200600_302600_NS4plusItEEEEZZNS1_33reduce_by_key_impl_wrapped_configILNS1_25lookback_scan_determinismE0ES3_S9_NS6_6detail15normal_iteratorINS6_10device_ptrItEEEESG_SG_SG_PmS8_22is_equal_div_10_reduceItEEE10hipError_tPvRmT2_T3_mT4_T5_T6_T7_T8_P12ihipStream_tbENKUlT_T0_E_clISt17integral_constantIbLb1EES10_IbLb0EEEEDaSW_SX_EUlSW_E_NS1_11comp_targetILNS1_3genE3ELNS1_11target_archE908ELNS1_3gpuE7ELNS1_3repE0EEENS1_30default_config_static_selectorELNS0_4arch9wavefront6targetE0EEEvT1_,"axG",@progbits,_ZN7rocprim17ROCPRIM_400000_NS6detail17trampoline_kernelINS0_14default_configENS1_29reduce_by_key_config_selectorIttN6thrust23THRUST_200600_302600_NS4plusItEEEEZZNS1_33reduce_by_key_impl_wrapped_configILNS1_25lookback_scan_determinismE0ES3_S9_NS6_6detail15normal_iteratorINS6_10device_ptrItEEEESG_SG_SG_PmS8_22is_equal_div_10_reduceItEEE10hipError_tPvRmT2_T3_mT4_T5_T6_T7_T8_P12ihipStream_tbENKUlT_T0_E_clISt17integral_constantIbLb1EES10_IbLb0EEEEDaSW_SX_EUlSW_E_NS1_11comp_targetILNS1_3genE3ELNS1_11target_archE908ELNS1_3gpuE7ELNS1_3repE0EEENS1_30default_config_static_selectorELNS0_4arch9wavefront6targetE0EEEvT1_,comdat
	.protected	_ZN7rocprim17ROCPRIM_400000_NS6detail17trampoline_kernelINS0_14default_configENS1_29reduce_by_key_config_selectorIttN6thrust23THRUST_200600_302600_NS4plusItEEEEZZNS1_33reduce_by_key_impl_wrapped_configILNS1_25lookback_scan_determinismE0ES3_S9_NS6_6detail15normal_iteratorINS6_10device_ptrItEEEESG_SG_SG_PmS8_22is_equal_div_10_reduceItEEE10hipError_tPvRmT2_T3_mT4_T5_T6_T7_T8_P12ihipStream_tbENKUlT_T0_E_clISt17integral_constantIbLb1EES10_IbLb0EEEEDaSW_SX_EUlSW_E_NS1_11comp_targetILNS1_3genE3ELNS1_11target_archE908ELNS1_3gpuE7ELNS1_3repE0EEENS1_30default_config_static_selectorELNS0_4arch9wavefront6targetE0EEEvT1_ ; -- Begin function _ZN7rocprim17ROCPRIM_400000_NS6detail17trampoline_kernelINS0_14default_configENS1_29reduce_by_key_config_selectorIttN6thrust23THRUST_200600_302600_NS4plusItEEEEZZNS1_33reduce_by_key_impl_wrapped_configILNS1_25lookback_scan_determinismE0ES3_S9_NS6_6detail15normal_iteratorINS6_10device_ptrItEEEESG_SG_SG_PmS8_22is_equal_div_10_reduceItEEE10hipError_tPvRmT2_T3_mT4_T5_T6_T7_T8_P12ihipStream_tbENKUlT_T0_E_clISt17integral_constantIbLb1EES10_IbLb0EEEEDaSW_SX_EUlSW_E_NS1_11comp_targetILNS1_3genE3ELNS1_11target_archE908ELNS1_3gpuE7ELNS1_3repE0EEENS1_30default_config_static_selectorELNS0_4arch9wavefront6targetE0EEEvT1_
	.globl	_ZN7rocprim17ROCPRIM_400000_NS6detail17trampoline_kernelINS0_14default_configENS1_29reduce_by_key_config_selectorIttN6thrust23THRUST_200600_302600_NS4plusItEEEEZZNS1_33reduce_by_key_impl_wrapped_configILNS1_25lookback_scan_determinismE0ES3_S9_NS6_6detail15normal_iteratorINS6_10device_ptrItEEEESG_SG_SG_PmS8_22is_equal_div_10_reduceItEEE10hipError_tPvRmT2_T3_mT4_T5_T6_T7_T8_P12ihipStream_tbENKUlT_T0_E_clISt17integral_constantIbLb1EES10_IbLb0EEEEDaSW_SX_EUlSW_E_NS1_11comp_targetILNS1_3genE3ELNS1_11target_archE908ELNS1_3gpuE7ELNS1_3repE0EEENS1_30default_config_static_selectorELNS0_4arch9wavefront6targetE0EEEvT1_
	.p2align	8
	.type	_ZN7rocprim17ROCPRIM_400000_NS6detail17trampoline_kernelINS0_14default_configENS1_29reduce_by_key_config_selectorIttN6thrust23THRUST_200600_302600_NS4plusItEEEEZZNS1_33reduce_by_key_impl_wrapped_configILNS1_25lookback_scan_determinismE0ES3_S9_NS6_6detail15normal_iteratorINS6_10device_ptrItEEEESG_SG_SG_PmS8_22is_equal_div_10_reduceItEEE10hipError_tPvRmT2_T3_mT4_T5_T6_T7_T8_P12ihipStream_tbENKUlT_T0_E_clISt17integral_constantIbLb1EES10_IbLb0EEEEDaSW_SX_EUlSW_E_NS1_11comp_targetILNS1_3genE3ELNS1_11target_archE908ELNS1_3gpuE7ELNS1_3repE0EEENS1_30default_config_static_selectorELNS0_4arch9wavefront6targetE0EEEvT1_,@function
_ZN7rocprim17ROCPRIM_400000_NS6detail17trampoline_kernelINS0_14default_configENS1_29reduce_by_key_config_selectorIttN6thrust23THRUST_200600_302600_NS4plusItEEEEZZNS1_33reduce_by_key_impl_wrapped_configILNS1_25lookback_scan_determinismE0ES3_S9_NS6_6detail15normal_iteratorINS6_10device_ptrItEEEESG_SG_SG_PmS8_22is_equal_div_10_reduceItEEE10hipError_tPvRmT2_T3_mT4_T5_T6_T7_T8_P12ihipStream_tbENKUlT_T0_E_clISt17integral_constantIbLb1EES10_IbLb0EEEEDaSW_SX_EUlSW_E_NS1_11comp_targetILNS1_3genE3ELNS1_11target_archE908ELNS1_3gpuE7ELNS1_3repE0EEENS1_30default_config_static_selectorELNS0_4arch9wavefront6targetE0EEEvT1_: ; @_ZN7rocprim17ROCPRIM_400000_NS6detail17trampoline_kernelINS0_14default_configENS1_29reduce_by_key_config_selectorIttN6thrust23THRUST_200600_302600_NS4plusItEEEEZZNS1_33reduce_by_key_impl_wrapped_configILNS1_25lookback_scan_determinismE0ES3_S9_NS6_6detail15normal_iteratorINS6_10device_ptrItEEEESG_SG_SG_PmS8_22is_equal_div_10_reduceItEEE10hipError_tPvRmT2_T3_mT4_T5_T6_T7_T8_P12ihipStream_tbENKUlT_T0_E_clISt17integral_constantIbLb1EES10_IbLb0EEEEDaSW_SX_EUlSW_E_NS1_11comp_targetILNS1_3genE3ELNS1_11target_archE908ELNS1_3gpuE7ELNS1_3repE0EEENS1_30default_config_static_selectorELNS0_4arch9wavefront6targetE0EEEvT1_
; %bb.0:
	.section	.rodata,"a",@progbits
	.p2align	6, 0x0
	.amdhsa_kernel _ZN7rocprim17ROCPRIM_400000_NS6detail17trampoline_kernelINS0_14default_configENS1_29reduce_by_key_config_selectorIttN6thrust23THRUST_200600_302600_NS4plusItEEEEZZNS1_33reduce_by_key_impl_wrapped_configILNS1_25lookback_scan_determinismE0ES3_S9_NS6_6detail15normal_iteratorINS6_10device_ptrItEEEESG_SG_SG_PmS8_22is_equal_div_10_reduceItEEE10hipError_tPvRmT2_T3_mT4_T5_T6_T7_T8_P12ihipStream_tbENKUlT_T0_E_clISt17integral_constantIbLb1EES10_IbLb0EEEEDaSW_SX_EUlSW_E_NS1_11comp_targetILNS1_3genE3ELNS1_11target_archE908ELNS1_3gpuE7ELNS1_3repE0EEENS1_30default_config_static_selectorELNS0_4arch9wavefront6targetE0EEEvT1_
		.amdhsa_group_segment_fixed_size 0
		.amdhsa_private_segment_fixed_size 0
		.amdhsa_kernarg_size 120
		.amdhsa_user_sgpr_count 15
		.amdhsa_user_sgpr_dispatch_ptr 0
		.amdhsa_user_sgpr_queue_ptr 0
		.amdhsa_user_sgpr_kernarg_segment_ptr 1
		.amdhsa_user_sgpr_dispatch_id 0
		.amdhsa_user_sgpr_private_segment_size 0
		.amdhsa_wavefront_size32 1
		.amdhsa_uses_dynamic_stack 0
		.amdhsa_enable_private_segment 0
		.amdhsa_system_sgpr_workgroup_id_x 1
		.amdhsa_system_sgpr_workgroup_id_y 0
		.amdhsa_system_sgpr_workgroup_id_z 0
		.amdhsa_system_sgpr_workgroup_info 0
		.amdhsa_system_vgpr_workitem_id 0
		.amdhsa_next_free_vgpr 1
		.amdhsa_next_free_sgpr 1
		.amdhsa_reserve_vcc 0
		.amdhsa_float_round_mode_32 0
		.amdhsa_float_round_mode_16_64 0
		.amdhsa_float_denorm_mode_32 3
		.amdhsa_float_denorm_mode_16_64 3
		.amdhsa_dx10_clamp 1
		.amdhsa_ieee_mode 1
		.amdhsa_fp16_overflow 0
		.amdhsa_workgroup_processor_mode 1
		.amdhsa_memory_ordered 1
		.amdhsa_forward_progress 0
		.amdhsa_shared_vgpr_count 0
		.amdhsa_exception_fp_ieee_invalid_op 0
		.amdhsa_exception_fp_denorm_src 0
		.amdhsa_exception_fp_ieee_div_zero 0
		.amdhsa_exception_fp_ieee_overflow 0
		.amdhsa_exception_fp_ieee_underflow 0
		.amdhsa_exception_fp_ieee_inexact 0
		.amdhsa_exception_int_div_zero 0
	.end_amdhsa_kernel
	.section	.text._ZN7rocprim17ROCPRIM_400000_NS6detail17trampoline_kernelINS0_14default_configENS1_29reduce_by_key_config_selectorIttN6thrust23THRUST_200600_302600_NS4plusItEEEEZZNS1_33reduce_by_key_impl_wrapped_configILNS1_25lookback_scan_determinismE0ES3_S9_NS6_6detail15normal_iteratorINS6_10device_ptrItEEEESG_SG_SG_PmS8_22is_equal_div_10_reduceItEEE10hipError_tPvRmT2_T3_mT4_T5_T6_T7_T8_P12ihipStream_tbENKUlT_T0_E_clISt17integral_constantIbLb1EES10_IbLb0EEEEDaSW_SX_EUlSW_E_NS1_11comp_targetILNS1_3genE3ELNS1_11target_archE908ELNS1_3gpuE7ELNS1_3repE0EEENS1_30default_config_static_selectorELNS0_4arch9wavefront6targetE0EEEvT1_,"axG",@progbits,_ZN7rocprim17ROCPRIM_400000_NS6detail17trampoline_kernelINS0_14default_configENS1_29reduce_by_key_config_selectorIttN6thrust23THRUST_200600_302600_NS4plusItEEEEZZNS1_33reduce_by_key_impl_wrapped_configILNS1_25lookback_scan_determinismE0ES3_S9_NS6_6detail15normal_iteratorINS6_10device_ptrItEEEESG_SG_SG_PmS8_22is_equal_div_10_reduceItEEE10hipError_tPvRmT2_T3_mT4_T5_T6_T7_T8_P12ihipStream_tbENKUlT_T0_E_clISt17integral_constantIbLb1EES10_IbLb0EEEEDaSW_SX_EUlSW_E_NS1_11comp_targetILNS1_3genE3ELNS1_11target_archE908ELNS1_3gpuE7ELNS1_3repE0EEENS1_30default_config_static_selectorELNS0_4arch9wavefront6targetE0EEEvT1_,comdat
.Lfunc_end452:
	.size	_ZN7rocprim17ROCPRIM_400000_NS6detail17trampoline_kernelINS0_14default_configENS1_29reduce_by_key_config_selectorIttN6thrust23THRUST_200600_302600_NS4plusItEEEEZZNS1_33reduce_by_key_impl_wrapped_configILNS1_25lookback_scan_determinismE0ES3_S9_NS6_6detail15normal_iteratorINS6_10device_ptrItEEEESG_SG_SG_PmS8_22is_equal_div_10_reduceItEEE10hipError_tPvRmT2_T3_mT4_T5_T6_T7_T8_P12ihipStream_tbENKUlT_T0_E_clISt17integral_constantIbLb1EES10_IbLb0EEEEDaSW_SX_EUlSW_E_NS1_11comp_targetILNS1_3genE3ELNS1_11target_archE908ELNS1_3gpuE7ELNS1_3repE0EEENS1_30default_config_static_selectorELNS0_4arch9wavefront6targetE0EEEvT1_, .Lfunc_end452-_ZN7rocprim17ROCPRIM_400000_NS6detail17trampoline_kernelINS0_14default_configENS1_29reduce_by_key_config_selectorIttN6thrust23THRUST_200600_302600_NS4plusItEEEEZZNS1_33reduce_by_key_impl_wrapped_configILNS1_25lookback_scan_determinismE0ES3_S9_NS6_6detail15normal_iteratorINS6_10device_ptrItEEEESG_SG_SG_PmS8_22is_equal_div_10_reduceItEEE10hipError_tPvRmT2_T3_mT4_T5_T6_T7_T8_P12ihipStream_tbENKUlT_T0_E_clISt17integral_constantIbLb1EES10_IbLb0EEEEDaSW_SX_EUlSW_E_NS1_11comp_targetILNS1_3genE3ELNS1_11target_archE908ELNS1_3gpuE7ELNS1_3repE0EEENS1_30default_config_static_selectorELNS0_4arch9wavefront6targetE0EEEvT1_
                                        ; -- End function
	.section	.AMDGPU.csdata,"",@progbits
; Kernel info:
; codeLenInByte = 0
; NumSgprs: 0
; NumVgprs: 0
; ScratchSize: 0
; MemoryBound: 0
; FloatMode: 240
; IeeeMode: 1
; LDSByteSize: 0 bytes/workgroup (compile time only)
; SGPRBlocks: 0
; VGPRBlocks: 0
; NumSGPRsForWavesPerEU: 1
; NumVGPRsForWavesPerEU: 1
; Occupancy: 16
; WaveLimiterHint : 0
; COMPUTE_PGM_RSRC2:SCRATCH_EN: 0
; COMPUTE_PGM_RSRC2:USER_SGPR: 15
; COMPUTE_PGM_RSRC2:TRAP_HANDLER: 0
; COMPUTE_PGM_RSRC2:TGID_X_EN: 1
; COMPUTE_PGM_RSRC2:TGID_Y_EN: 0
; COMPUTE_PGM_RSRC2:TGID_Z_EN: 0
; COMPUTE_PGM_RSRC2:TIDIG_COMP_CNT: 0
	.section	.text._ZN7rocprim17ROCPRIM_400000_NS6detail17trampoline_kernelINS0_14default_configENS1_29reduce_by_key_config_selectorIttN6thrust23THRUST_200600_302600_NS4plusItEEEEZZNS1_33reduce_by_key_impl_wrapped_configILNS1_25lookback_scan_determinismE0ES3_S9_NS6_6detail15normal_iteratorINS6_10device_ptrItEEEESG_SG_SG_PmS8_22is_equal_div_10_reduceItEEE10hipError_tPvRmT2_T3_mT4_T5_T6_T7_T8_P12ihipStream_tbENKUlT_T0_E_clISt17integral_constantIbLb1EES10_IbLb0EEEEDaSW_SX_EUlSW_E_NS1_11comp_targetILNS1_3genE2ELNS1_11target_archE906ELNS1_3gpuE6ELNS1_3repE0EEENS1_30default_config_static_selectorELNS0_4arch9wavefront6targetE0EEEvT1_,"axG",@progbits,_ZN7rocprim17ROCPRIM_400000_NS6detail17trampoline_kernelINS0_14default_configENS1_29reduce_by_key_config_selectorIttN6thrust23THRUST_200600_302600_NS4plusItEEEEZZNS1_33reduce_by_key_impl_wrapped_configILNS1_25lookback_scan_determinismE0ES3_S9_NS6_6detail15normal_iteratorINS6_10device_ptrItEEEESG_SG_SG_PmS8_22is_equal_div_10_reduceItEEE10hipError_tPvRmT2_T3_mT4_T5_T6_T7_T8_P12ihipStream_tbENKUlT_T0_E_clISt17integral_constantIbLb1EES10_IbLb0EEEEDaSW_SX_EUlSW_E_NS1_11comp_targetILNS1_3genE2ELNS1_11target_archE906ELNS1_3gpuE6ELNS1_3repE0EEENS1_30default_config_static_selectorELNS0_4arch9wavefront6targetE0EEEvT1_,comdat
	.protected	_ZN7rocprim17ROCPRIM_400000_NS6detail17trampoline_kernelINS0_14default_configENS1_29reduce_by_key_config_selectorIttN6thrust23THRUST_200600_302600_NS4plusItEEEEZZNS1_33reduce_by_key_impl_wrapped_configILNS1_25lookback_scan_determinismE0ES3_S9_NS6_6detail15normal_iteratorINS6_10device_ptrItEEEESG_SG_SG_PmS8_22is_equal_div_10_reduceItEEE10hipError_tPvRmT2_T3_mT4_T5_T6_T7_T8_P12ihipStream_tbENKUlT_T0_E_clISt17integral_constantIbLb1EES10_IbLb0EEEEDaSW_SX_EUlSW_E_NS1_11comp_targetILNS1_3genE2ELNS1_11target_archE906ELNS1_3gpuE6ELNS1_3repE0EEENS1_30default_config_static_selectorELNS0_4arch9wavefront6targetE0EEEvT1_ ; -- Begin function _ZN7rocprim17ROCPRIM_400000_NS6detail17trampoline_kernelINS0_14default_configENS1_29reduce_by_key_config_selectorIttN6thrust23THRUST_200600_302600_NS4plusItEEEEZZNS1_33reduce_by_key_impl_wrapped_configILNS1_25lookback_scan_determinismE0ES3_S9_NS6_6detail15normal_iteratorINS6_10device_ptrItEEEESG_SG_SG_PmS8_22is_equal_div_10_reduceItEEE10hipError_tPvRmT2_T3_mT4_T5_T6_T7_T8_P12ihipStream_tbENKUlT_T0_E_clISt17integral_constantIbLb1EES10_IbLb0EEEEDaSW_SX_EUlSW_E_NS1_11comp_targetILNS1_3genE2ELNS1_11target_archE906ELNS1_3gpuE6ELNS1_3repE0EEENS1_30default_config_static_selectorELNS0_4arch9wavefront6targetE0EEEvT1_
	.globl	_ZN7rocprim17ROCPRIM_400000_NS6detail17trampoline_kernelINS0_14default_configENS1_29reduce_by_key_config_selectorIttN6thrust23THRUST_200600_302600_NS4plusItEEEEZZNS1_33reduce_by_key_impl_wrapped_configILNS1_25lookback_scan_determinismE0ES3_S9_NS6_6detail15normal_iteratorINS6_10device_ptrItEEEESG_SG_SG_PmS8_22is_equal_div_10_reduceItEEE10hipError_tPvRmT2_T3_mT4_T5_T6_T7_T8_P12ihipStream_tbENKUlT_T0_E_clISt17integral_constantIbLb1EES10_IbLb0EEEEDaSW_SX_EUlSW_E_NS1_11comp_targetILNS1_3genE2ELNS1_11target_archE906ELNS1_3gpuE6ELNS1_3repE0EEENS1_30default_config_static_selectorELNS0_4arch9wavefront6targetE0EEEvT1_
	.p2align	8
	.type	_ZN7rocprim17ROCPRIM_400000_NS6detail17trampoline_kernelINS0_14default_configENS1_29reduce_by_key_config_selectorIttN6thrust23THRUST_200600_302600_NS4plusItEEEEZZNS1_33reduce_by_key_impl_wrapped_configILNS1_25lookback_scan_determinismE0ES3_S9_NS6_6detail15normal_iteratorINS6_10device_ptrItEEEESG_SG_SG_PmS8_22is_equal_div_10_reduceItEEE10hipError_tPvRmT2_T3_mT4_T5_T6_T7_T8_P12ihipStream_tbENKUlT_T0_E_clISt17integral_constantIbLb1EES10_IbLb0EEEEDaSW_SX_EUlSW_E_NS1_11comp_targetILNS1_3genE2ELNS1_11target_archE906ELNS1_3gpuE6ELNS1_3repE0EEENS1_30default_config_static_selectorELNS0_4arch9wavefront6targetE0EEEvT1_,@function
_ZN7rocprim17ROCPRIM_400000_NS6detail17trampoline_kernelINS0_14default_configENS1_29reduce_by_key_config_selectorIttN6thrust23THRUST_200600_302600_NS4plusItEEEEZZNS1_33reduce_by_key_impl_wrapped_configILNS1_25lookback_scan_determinismE0ES3_S9_NS6_6detail15normal_iteratorINS6_10device_ptrItEEEESG_SG_SG_PmS8_22is_equal_div_10_reduceItEEE10hipError_tPvRmT2_T3_mT4_T5_T6_T7_T8_P12ihipStream_tbENKUlT_T0_E_clISt17integral_constantIbLb1EES10_IbLb0EEEEDaSW_SX_EUlSW_E_NS1_11comp_targetILNS1_3genE2ELNS1_11target_archE906ELNS1_3gpuE6ELNS1_3repE0EEENS1_30default_config_static_selectorELNS0_4arch9wavefront6targetE0EEEvT1_: ; @_ZN7rocprim17ROCPRIM_400000_NS6detail17trampoline_kernelINS0_14default_configENS1_29reduce_by_key_config_selectorIttN6thrust23THRUST_200600_302600_NS4plusItEEEEZZNS1_33reduce_by_key_impl_wrapped_configILNS1_25lookback_scan_determinismE0ES3_S9_NS6_6detail15normal_iteratorINS6_10device_ptrItEEEESG_SG_SG_PmS8_22is_equal_div_10_reduceItEEE10hipError_tPvRmT2_T3_mT4_T5_T6_T7_T8_P12ihipStream_tbENKUlT_T0_E_clISt17integral_constantIbLb1EES10_IbLb0EEEEDaSW_SX_EUlSW_E_NS1_11comp_targetILNS1_3genE2ELNS1_11target_archE906ELNS1_3gpuE6ELNS1_3repE0EEENS1_30default_config_static_selectorELNS0_4arch9wavefront6targetE0EEEvT1_
; %bb.0:
	.section	.rodata,"a",@progbits
	.p2align	6, 0x0
	.amdhsa_kernel _ZN7rocprim17ROCPRIM_400000_NS6detail17trampoline_kernelINS0_14default_configENS1_29reduce_by_key_config_selectorIttN6thrust23THRUST_200600_302600_NS4plusItEEEEZZNS1_33reduce_by_key_impl_wrapped_configILNS1_25lookback_scan_determinismE0ES3_S9_NS6_6detail15normal_iteratorINS6_10device_ptrItEEEESG_SG_SG_PmS8_22is_equal_div_10_reduceItEEE10hipError_tPvRmT2_T3_mT4_T5_T6_T7_T8_P12ihipStream_tbENKUlT_T0_E_clISt17integral_constantIbLb1EES10_IbLb0EEEEDaSW_SX_EUlSW_E_NS1_11comp_targetILNS1_3genE2ELNS1_11target_archE906ELNS1_3gpuE6ELNS1_3repE0EEENS1_30default_config_static_selectorELNS0_4arch9wavefront6targetE0EEEvT1_
		.amdhsa_group_segment_fixed_size 0
		.amdhsa_private_segment_fixed_size 0
		.amdhsa_kernarg_size 120
		.amdhsa_user_sgpr_count 15
		.amdhsa_user_sgpr_dispatch_ptr 0
		.amdhsa_user_sgpr_queue_ptr 0
		.amdhsa_user_sgpr_kernarg_segment_ptr 1
		.amdhsa_user_sgpr_dispatch_id 0
		.amdhsa_user_sgpr_private_segment_size 0
		.amdhsa_wavefront_size32 1
		.amdhsa_uses_dynamic_stack 0
		.amdhsa_enable_private_segment 0
		.amdhsa_system_sgpr_workgroup_id_x 1
		.amdhsa_system_sgpr_workgroup_id_y 0
		.amdhsa_system_sgpr_workgroup_id_z 0
		.amdhsa_system_sgpr_workgroup_info 0
		.amdhsa_system_vgpr_workitem_id 0
		.amdhsa_next_free_vgpr 1
		.amdhsa_next_free_sgpr 1
		.amdhsa_reserve_vcc 0
		.amdhsa_float_round_mode_32 0
		.amdhsa_float_round_mode_16_64 0
		.amdhsa_float_denorm_mode_32 3
		.amdhsa_float_denorm_mode_16_64 3
		.amdhsa_dx10_clamp 1
		.amdhsa_ieee_mode 1
		.amdhsa_fp16_overflow 0
		.amdhsa_workgroup_processor_mode 1
		.amdhsa_memory_ordered 1
		.amdhsa_forward_progress 0
		.amdhsa_shared_vgpr_count 0
		.amdhsa_exception_fp_ieee_invalid_op 0
		.amdhsa_exception_fp_denorm_src 0
		.amdhsa_exception_fp_ieee_div_zero 0
		.amdhsa_exception_fp_ieee_overflow 0
		.amdhsa_exception_fp_ieee_underflow 0
		.amdhsa_exception_fp_ieee_inexact 0
		.amdhsa_exception_int_div_zero 0
	.end_amdhsa_kernel
	.section	.text._ZN7rocprim17ROCPRIM_400000_NS6detail17trampoline_kernelINS0_14default_configENS1_29reduce_by_key_config_selectorIttN6thrust23THRUST_200600_302600_NS4plusItEEEEZZNS1_33reduce_by_key_impl_wrapped_configILNS1_25lookback_scan_determinismE0ES3_S9_NS6_6detail15normal_iteratorINS6_10device_ptrItEEEESG_SG_SG_PmS8_22is_equal_div_10_reduceItEEE10hipError_tPvRmT2_T3_mT4_T5_T6_T7_T8_P12ihipStream_tbENKUlT_T0_E_clISt17integral_constantIbLb1EES10_IbLb0EEEEDaSW_SX_EUlSW_E_NS1_11comp_targetILNS1_3genE2ELNS1_11target_archE906ELNS1_3gpuE6ELNS1_3repE0EEENS1_30default_config_static_selectorELNS0_4arch9wavefront6targetE0EEEvT1_,"axG",@progbits,_ZN7rocprim17ROCPRIM_400000_NS6detail17trampoline_kernelINS0_14default_configENS1_29reduce_by_key_config_selectorIttN6thrust23THRUST_200600_302600_NS4plusItEEEEZZNS1_33reduce_by_key_impl_wrapped_configILNS1_25lookback_scan_determinismE0ES3_S9_NS6_6detail15normal_iteratorINS6_10device_ptrItEEEESG_SG_SG_PmS8_22is_equal_div_10_reduceItEEE10hipError_tPvRmT2_T3_mT4_T5_T6_T7_T8_P12ihipStream_tbENKUlT_T0_E_clISt17integral_constantIbLb1EES10_IbLb0EEEEDaSW_SX_EUlSW_E_NS1_11comp_targetILNS1_3genE2ELNS1_11target_archE906ELNS1_3gpuE6ELNS1_3repE0EEENS1_30default_config_static_selectorELNS0_4arch9wavefront6targetE0EEEvT1_,comdat
.Lfunc_end453:
	.size	_ZN7rocprim17ROCPRIM_400000_NS6detail17trampoline_kernelINS0_14default_configENS1_29reduce_by_key_config_selectorIttN6thrust23THRUST_200600_302600_NS4plusItEEEEZZNS1_33reduce_by_key_impl_wrapped_configILNS1_25lookback_scan_determinismE0ES3_S9_NS6_6detail15normal_iteratorINS6_10device_ptrItEEEESG_SG_SG_PmS8_22is_equal_div_10_reduceItEEE10hipError_tPvRmT2_T3_mT4_T5_T6_T7_T8_P12ihipStream_tbENKUlT_T0_E_clISt17integral_constantIbLb1EES10_IbLb0EEEEDaSW_SX_EUlSW_E_NS1_11comp_targetILNS1_3genE2ELNS1_11target_archE906ELNS1_3gpuE6ELNS1_3repE0EEENS1_30default_config_static_selectorELNS0_4arch9wavefront6targetE0EEEvT1_, .Lfunc_end453-_ZN7rocprim17ROCPRIM_400000_NS6detail17trampoline_kernelINS0_14default_configENS1_29reduce_by_key_config_selectorIttN6thrust23THRUST_200600_302600_NS4plusItEEEEZZNS1_33reduce_by_key_impl_wrapped_configILNS1_25lookback_scan_determinismE0ES3_S9_NS6_6detail15normal_iteratorINS6_10device_ptrItEEEESG_SG_SG_PmS8_22is_equal_div_10_reduceItEEE10hipError_tPvRmT2_T3_mT4_T5_T6_T7_T8_P12ihipStream_tbENKUlT_T0_E_clISt17integral_constantIbLb1EES10_IbLb0EEEEDaSW_SX_EUlSW_E_NS1_11comp_targetILNS1_3genE2ELNS1_11target_archE906ELNS1_3gpuE6ELNS1_3repE0EEENS1_30default_config_static_selectorELNS0_4arch9wavefront6targetE0EEEvT1_
                                        ; -- End function
	.section	.AMDGPU.csdata,"",@progbits
; Kernel info:
; codeLenInByte = 0
; NumSgprs: 0
; NumVgprs: 0
; ScratchSize: 0
; MemoryBound: 0
; FloatMode: 240
; IeeeMode: 1
; LDSByteSize: 0 bytes/workgroup (compile time only)
; SGPRBlocks: 0
; VGPRBlocks: 0
; NumSGPRsForWavesPerEU: 1
; NumVGPRsForWavesPerEU: 1
; Occupancy: 16
; WaveLimiterHint : 0
; COMPUTE_PGM_RSRC2:SCRATCH_EN: 0
; COMPUTE_PGM_RSRC2:USER_SGPR: 15
; COMPUTE_PGM_RSRC2:TRAP_HANDLER: 0
; COMPUTE_PGM_RSRC2:TGID_X_EN: 1
; COMPUTE_PGM_RSRC2:TGID_Y_EN: 0
; COMPUTE_PGM_RSRC2:TGID_Z_EN: 0
; COMPUTE_PGM_RSRC2:TIDIG_COMP_CNT: 0
	.section	.text._ZN7rocprim17ROCPRIM_400000_NS6detail17trampoline_kernelINS0_14default_configENS1_29reduce_by_key_config_selectorIttN6thrust23THRUST_200600_302600_NS4plusItEEEEZZNS1_33reduce_by_key_impl_wrapped_configILNS1_25lookback_scan_determinismE0ES3_S9_NS6_6detail15normal_iteratorINS6_10device_ptrItEEEESG_SG_SG_PmS8_22is_equal_div_10_reduceItEEE10hipError_tPvRmT2_T3_mT4_T5_T6_T7_T8_P12ihipStream_tbENKUlT_T0_E_clISt17integral_constantIbLb1EES10_IbLb0EEEEDaSW_SX_EUlSW_E_NS1_11comp_targetILNS1_3genE10ELNS1_11target_archE1201ELNS1_3gpuE5ELNS1_3repE0EEENS1_30default_config_static_selectorELNS0_4arch9wavefront6targetE0EEEvT1_,"axG",@progbits,_ZN7rocprim17ROCPRIM_400000_NS6detail17trampoline_kernelINS0_14default_configENS1_29reduce_by_key_config_selectorIttN6thrust23THRUST_200600_302600_NS4plusItEEEEZZNS1_33reduce_by_key_impl_wrapped_configILNS1_25lookback_scan_determinismE0ES3_S9_NS6_6detail15normal_iteratorINS6_10device_ptrItEEEESG_SG_SG_PmS8_22is_equal_div_10_reduceItEEE10hipError_tPvRmT2_T3_mT4_T5_T6_T7_T8_P12ihipStream_tbENKUlT_T0_E_clISt17integral_constantIbLb1EES10_IbLb0EEEEDaSW_SX_EUlSW_E_NS1_11comp_targetILNS1_3genE10ELNS1_11target_archE1201ELNS1_3gpuE5ELNS1_3repE0EEENS1_30default_config_static_selectorELNS0_4arch9wavefront6targetE0EEEvT1_,comdat
	.protected	_ZN7rocprim17ROCPRIM_400000_NS6detail17trampoline_kernelINS0_14default_configENS1_29reduce_by_key_config_selectorIttN6thrust23THRUST_200600_302600_NS4plusItEEEEZZNS1_33reduce_by_key_impl_wrapped_configILNS1_25lookback_scan_determinismE0ES3_S9_NS6_6detail15normal_iteratorINS6_10device_ptrItEEEESG_SG_SG_PmS8_22is_equal_div_10_reduceItEEE10hipError_tPvRmT2_T3_mT4_T5_T6_T7_T8_P12ihipStream_tbENKUlT_T0_E_clISt17integral_constantIbLb1EES10_IbLb0EEEEDaSW_SX_EUlSW_E_NS1_11comp_targetILNS1_3genE10ELNS1_11target_archE1201ELNS1_3gpuE5ELNS1_3repE0EEENS1_30default_config_static_selectorELNS0_4arch9wavefront6targetE0EEEvT1_ ; -- Begin function _ZN7rocprim17ROCPRIM_400000_NS6detail17trampoline_kernelINS0_14default_configENS1_29reduce_by_key_config_selectorIttN6thrust23THRUST_200600_302600_NS4plusItEEEEZZNS1_33reduce_by_key_impl_wrapped_configILNS1_25lookback_scan_determinismE0ES3_S9_NS6_6detail15normal_iteratorINS6_10device_ptrItEEEESG_SG_SG_PmS8_22is_equal_div_10_reduceItEEE10hipError_tPvRmT2_T3_mT4_T5_T6_T7_T8_P12ihipStream_tbENKUlT_T0_E_clISt17integral_constantIbLb1EES10_IbLb0EEEEDaSW_SX_EUlSW_E_NS1_11comp_targetILNS1_3genE10ELNS1_11target_archE1201ELNS1_3gpuE5ELNS1_3repE0EEENS1_30default_config_static_selectorELNS0_4arch9wavefront6targetE0EEEvT1_
	.globl	_ZN7rocprim17ROCPRIM_400000_NS6detail17trampoline_kernelINS0_14default_configENS1_29reduce_by_key_config_selectorIttN6thrust23THRUST_200600_302600_NS4plusItEEEEZZNS1_33reduce_by_key_impl_wrapped_configILNS1_25lookback_scan_determinismE0ES3_S9_NS6_6detail15normal_iteratorINS6_10device_ptrItEEEESG_SG_SG_PmS8_22is_equal_div_10_reduceItEEE10hipError_tPvRmT2_T3_mT4_T5_T6_T7_T8_P12ihipStream_tbENKUlT_T0_E_clISt17integral_constantIbLb1EES10_IbLb0EEEEDaSW_SX_EUlSW_E_NS1_11comp_targetILNS1_3genE10ELNS1_11target_archE1201ELNS1_3gpuE5ELNS1_3repE0EEENS1_30default_config_static_selectorELNS0_4arch9wavefront6targetE0EEEvT1_
	.p2align	8
	.type	_ZN7rocprim17ROCPRIM_400000_NS6detail17trampoline_kernelINS0_14default_configENS1_29reduce_by_key_config_selectorIttN6thrust23THRUST_200600_302600_NS4plusItEEEEZZNS1_33reduce_by_key_impl_wrapped_configILNS1_25lookback_scan_determinismE0ES3_S9_NS6_6detail15normal_iteratorINS6_10device_ptrItEEEESG_SG_SG_PmS8_22is_equal_div_10_reduceItEEE10hipError_tPvRmT2_T3_mT4_T5_T6_T7_T8_P12ihipStream_tbENKUlT_T0_E_clISt17integral_constantIbLb1EES10_IbLb0EEEEDaSW_SX_EUlSW_E_NS1_11comp_targetILNS1_3genE10ELNS1_11target_archE1201ELNS1_3gpuE5ELNS1_3repE0EEENS1_30default_config_static_selectorELNS0_4arch9wavefront6targetE0EEEvT1_,@function
_ZN7rocprim17ROCPRIM_400000_NS6detail17trampoline_kernelINS0_14default_configENS1_29reduce_by_key_config_selectorIttN6thrust23THRUST_200600_302600_NS4plusItEEEEZZNS1_33reduce_by_key_impl_wrapped_configILNS1_25lookback_scan_determinismE0ES3_S9_NS6_6detail15normal_iteratorINS6_10device_ptrItEEEESG_SG_SG_PmS8_22is_equal_div_10_reduceItEEE10hipError_tPvRmT2_T3_mT4_T5_T6_T7_T8_P12ihipStream_tbENKUlT_T0_E_clISt17integral_constantIbLb1EES10_IbLb0EEEEDaSW_SX_EUlSW_E_NS1_11comp_targetILNS1_3genE10ELNS1_11target_archE1201ELNS1_3gpuE5ELNS1_3repE0EEENS1_30default_config_static_selectorELNS0_4arch9wavefront6targetE0EEEvT1_: ; @_ZN7rocprim17ROCPRIM_400000_NS6detail17trampoline_kernelINS0_14default_configENS1_29reduce_by_key_config_selectorIttN6thrust23THRUST_200600_302600_NS4plusItEEEEZZNS1_33reduce_by_key_impl_wrapped_configILNS1_25lookback_scan_determinismE0ES3_S9_NS6_6detail15normal_iteratorINS6_10device_ptrItEEEESG_SG_SG_PmS8_22is_equal_div_10_reduceItEEE10hipError_tPvRmT2_T3_mT4_T5_T6_T7_T8_P12ihipStream_tbENKUlT_T0_E_clISt17integral_constantIbLb1EES10_IbLb0EEEEDaSW_SX_EUlSW_E_NS1_11comp_targetILNS1_3genE10ELNS1_11target_archE1201ELNS1_3gpuE5ELNS1_3repE0EEENS1_30default_config_static_selectorELNS0_4arch9wavefront6targetE0EEEvT1_
; %bb.0:
	.section	.rodata,"a",@progbits
	.p2align	6, 0x0
	.amdhsa_kernel _ZN7rocprim17ROCPRIM_400000_NS6detail17trampoline_kernelINS0_14default_configENS1_29reduce_by_key_config_selectorIttN6thrust23THRUST_200600_302600_NS4plusItEEEEZZNS1_33reduce_by_key_impl_wrapped_configILNS1_25lookback_scan_determinismE0ES3_S9_NS6_6detail15normal_iteratorINS6_10device_ptrItEEEESG_SG_SG_PmS8_22is_equal_div_10_reduceItEEE10hipError_tPvRmT2_T3_mT4_T5_T6_T7_T8_P12ihipStream_tbENKUlT_T0_E_clISt17integral_constantIbLb1EES10_IbLb0EEEEDaSW_SX_EUlSW_E_NS1_11comp_targetILNS1_3genE10ELNS1_11target_archE1201ELNS1_3gpuE5ELNS1_3repE0EEENS1_30default_config_static_selectorELNS0_4arch9wavefront6targetE0EEEvT1_
		.amdhsa_group_segment_fixed_size 0
		.amdhsa_private_segment_fixed_size 0
		.amdhsa_kernarg_size 120
		.amdhsa_user_sgpr_count 15
		.amdhsa_user_sgpr_dispatch_ptr 0
		.amdhsa_user_sgpr_queue_ptr 0
		.amdhsa_user_sgpr_kernarg_segment_ptr 1
		.amdhsa_user_sgpr_dispatch_id 0
		.amdhsa_user_sgpr_private_segment_size 0
		.amdhsa_wavefront_size32 1
		.amdhsa_uses_dynamic_stack 0
		.amdhsa_enable_private_segment 0
		.amdhsa_system_sgpr_workgroup_id_x 1
		.amdhsa_system_sgpr_workgroup_id_y 0
		.amdhsa_system_sgpr_workgroup_id_z 0
		.amdhsa_system_sgpr_workgroup_info 0
		.amdhsa_system_vgpr_workitem_id 0
		.amdhsa_next_free_vgpr 1
		.amdhsa_next_free_sgpr 1
		.amdhsa_reserve_vcc 0
		.amdhsa_float_round_mode_32 0
		.amdhsa_float_round_mode_16_64 0
		.amdhsa_float_denorm_mode_32 3
		.amdhsa_float_denorm_mode_16_64 3
		.amdhsa_dx10_clamp 1
		.amdhsa_ieee_mode 1
		.amdhsa_fp16_overflow 0
		.amdhsa_workgroup_processor_mode 1
		.amdhsa_memory_ordered 1
		.amdhsa_forward_progress 0
		.amdhsa_shared_vgpr_count 0
		.amdhsa_exception_fp_ieee_invalid_op 0
		.amdhsa_exception_fp_denorm_src 0
		.amdhsa_exception_fp_ieee_div_zero 0
		.amdhsa_exception_fp_ieee_overflow 0
		.amdhsa_exception_fp_ieee_underflow 0
		.amdhsa_exception_fp_ieee_inexact 0
		.amdhsa_exception_int_div_zero 0
	.end_amdhsa_kernel
	.section	.text._ZN7rocprim17ROCPRIM_400000_NS6detail17trampoline_kernelINS0_14default_configENS1_29reduce_by_key_config_selectorIttN6thrust23THRUST_200600_302600_NS4plusItEEEEZZNS1_33reduce_by_key_impl_wrapped_configILNS1_25lookback_scan_determinismE0ES3_S9_NS6_6detail15normal_iteratorINS6_10device_ptrItEEEESG_SG_SG_PmS8_22is_equal_div_10_reduceItEEE10hipError_tPvRmT2_T3_mT4_T5_T6_T7_T8_P12ihipStream_tbENKUlT_T0_E_clISt17integral_constantIbLb1EES10_IbLb0EEEEDaSW_SX_EUlSW_E_NS1_11comp_targetILNS1_3genE10ELNS1_11target_archE1201ELNS1_3gpuE5ELNS1_3repE0EEENS1_30default_config_static_selectorELNS0_4arch9wavefront6targetE0EEEvT1_,"axG",@progbits,_ZN7rocprim17ROCPRIM_400000_NS6detail17trampoline_kernelINS0_14default_configENS1_29reduce_by_key_config_selectorIttN6thrust23THRUST_200600_302600_NS4plusItEEEEZZNS1_33reduce_by_key_impl_wrapped_configILNS1_25lookback_scan_determinismE0ES3_S9_NS6_6detail15normal_iteratorINS6_10device_ptrItEEEESG_SG_SG_PmS8_22is_equal_div_10_reduceItEEE10hipError_tPvRmT2_T3_mT4_T5_T6_T7_T8_P12ihipStream_tbENKUlT_T0_E_clISt17integral_constantIbLb1EES10_IbLb0EEEEDaSW_SX_EUlSW_E_NS1_11comp_targetILNS1_3genE10ELNS1_11target_archE1201ELNS1_3gpuE5ELNS1_3repE0EEENS1_30default_config_static_selectorELNS0_4arch9wavefront6targetE0EEEvT1_,comdat
.Lfunc_end454:
	.size	_ZN7rocprim17ROCPRIM_400000_NS6detail17trampoline_kernelINS0_14default_configENS1_29reduce_by_key_config_selectorIttN6thrust23THRUST_200600_302600_NS4plusItEEEEZZNS1_33reduce_by_key_impl_wrapped_configILNS1_25lookback_scan_determinismE0ES3_S9_NS6_6detail15normal_iteratorINS6_10device_ptrItEEEESG_SG_SG_PmS8_22is_equal_div_10_reduceItEEE10hipError_tPvRmT2_T3_mT4_T5_T6_T7_T8_P12ihipStream_tbENKUlT_T0_E_clISt17integral_constantIbLb1EES10_IbLb0EEEEDaSW_SX_EUlSW_E_NS1_11comp_targetILNS1_3genE10ELNS1_11target_archE1201ELNS1_3gpuE5ELNS1_3repE0EEENS1_30default_config_static_selectorELNS0_4arch9wavefront6targetE0EEEvT1_, .Lfunc_end454-_ZN7rocprim17ROCPRIM_400000_NS6detail17trampoline_kernelINS0_14default_configENS1_29reduce_by_key_config_selectorIttN6thrust23THRUST_200600_302600_NS4plusItEEEEZZNS1_33reduce_by_key_impl_wrapped_configILNS1_25lookback_scan_determinismE0ES3_S9_NS6_6detail15normal_iteratorINS6_10device_ptrItEEEESG_SG_SG_PmS8_22is_equal_div_10_reduceItEEE10hipError_tPvRmT2_T3_mT4_T5_T6_T7_T8_P12ihipStream_tbENKUlT_T0_E_clISt17integral_constantIbLb1EES10_IbLb0EEEEDaSW_SX_EUlSW_E_NS1_11comp_targetILNS1_3genE10ELNS1_11target_archE1201ELNS1_3gpuE5ELNS1_3repE0EEENS1_30default_config_static_selectorELNS0_4arch9wavefront6targetE0EEEvT1_
                                        ; -- End function
	.section	.AMDGPU.csdata,"",@progbits
; Kernel info:
; codeLenInByte = 0
; NumSgprs: 0
; NumVgprs: 0
; ScratchSize: 0
; MemoryBound: 0
; FloatMode: 240
; IeeeMode: 1
; LDSByteSize: 0 bytes/workgroup (compile time only)
; SGPRBlocks: 0
; VGPRBlocks: 0
; NumSGPRsForWavesPerEU: 1
; NumVGPRsForWavesPerEU: 1
; Occupancy: 16
; WaveLimiterHint : 0
; COMPUTE_PGM_RSRC2:SCRATCH_EN: 0
; COMPUTE_PGM_RSRC2:USER_SGPR: 15
; COMPUTE_PGM_RSRC2:TRAP_HANDLER: 0
; COMPUTE_PGM_RSRC2:TGID_X_EN: 1
; COMPUTE_PGM_RSRC2:TGID_Y_EN: 0
; COMPUTE_PGM_RSRC2:TGID_Z_EN: 0
; COMPUTE_PGM_RSRC2:TIDIG_COMP_CNT: 0
	.section	.text._ZN7rocprim17ROCPRIM_400000_NS6detail17trampoline_kernelINS0_14default_configENS1_29reduce_by_key_config_selectorIttN6thrust23THRUST_200600_302600_NS4plusItEEEEZZNS1_33reduce_by_key_impl_wrapped_configILNS1_25lookback_scan_determinismE0ES3_S9_NS6_6detail15normal_iteratorINS6_10device_ptrItEEEESG_SG_SG_PmS8_22is_equal_div_10_reduceItEEE10hipError_tPvRmT2_T3_mT4_T5_T6_T7_T8_P12ihipStream_tbENKUlT_T0_E_clISt17integral_constantIbLb1EES10_IbLb0EEEEDaSW_SX_EUlSW_E_NS1_11comp_targetILNS1_3genE10ELNS1_11target_archE1200ELNS1_3gpuE4ELNS1_3repE0EEENS1_30default_config_static_selectorELNS0_4arch9wavefront6targetE0EEEvT1_,"axG",@progbits,_ZN7rocprim17ROCPRIM_400000_NS6detail17trampoline_kernelINS0_14default_configENS1_29reduce_by_key_config_selectorIttN6thrust23THRUST_200600_302600_NS4plusItEEEEZZNS1_33reduce_by_key_impl_wrapped_configILNS1_25lookback_scan_determinismE0ES3_S9_NS6_6detail15normal_iteratorINS6_10device_ptrItEEEESG_SG_SG_PmS8_22is_equal_div_10_reduceItEEE10hipError_tPvRmT2_T3_mT4_T5_T6_T7_T8_P12ihipStream_tbENKUlT_T0_E_clISt17integral_constantIbLb1EES10_IbLb0EEEEDaSW_SX_EUlSW_E_NS1_11comp_targetILNS1_3genE10ELNS1_11target_archE1200ELNS1_3gpuE4ELNS1_3repE0EEENS1_30default_config_static_selectorELNS0_4arch9wavefront6targetE0EEEvT1_,comdat
	.protected	_ZN7rocprim17ROCPRIM_400000_NS6detail17trampoline_kernelINS0_14default_configENS1_29reduce_by_key_config_selectorIttN6thrust23THRUST_200600_302600_NS4plusItEEEEZZNS1_33reduce_by_key_impl_wrapped_configILNS1_25lookback_scan_determinismE0ES3_S9_NS6_6detail15normal_iteratorINS6_10device_ptrItEEEESG_SG_SG_PmS8_22is_equal_div_10_reduceItEEE10hipError_tPvRmT2_T3_mT4_T5_T6_T7_T8_P12ihipStream_tbENKUlT_T0_E_clISt17integral_constantIbLb1EES10_IbLb0EEEEDaSW_SX_EUlSW_E_NS1_11comp_targetILNS1_3genE10ELNS1_11target_archE1200ELNS1_3gpuE4ELNS1_3repE0EEENS1_30default_config_static_selectorELNS0_4arch9wavefront6targetE0EEEvT1_ ; -- Begin function _ZN7rocprim17ROCPRIM_400000_NS6detail17trampoline_kernelINS0_14default_configENS1_29reduce_by_key_config_selectorIttN6thrust23THRUST_200600_302600_NS4plusItEEEEZZNS1_33reduce_by_key_impl_wrapped_configILNS1_25lookback_scan_determinismE0ES3_S9_NS6_6detail15normal_iteratorINS6_10device_ptrItEEEESG_SG_SG_PmS8_22is_equal_div_10_reduceItEEE10hipError_tPvRmT2_T3_mT4_T5_T6_T7_T8_P12ihipStream_tbENKUlT_T0_E_clISt17integral_constantIbLb1EES10_IbLb0EEEEDaSW_SX_EUlSW_E_NS1_11comp_targetILNS1_3genE10ELNS1_11target_archE1200ELNS1_3gpuE4ELNS1_3repE0EEENS1_30default_config_static_selectorELNS0_4arch9wavefront6targetE0EEEvT1_
	.globl	_ZN7rocprim17ROCPRIM_400000_NS6detail17trampoline_kernelINS0_14default_configENS1_29reduce_by_key_config_selectorIttN6thrust23THRUST_200600_302600_NS4plusItEEEEZZNS1_33reduce_by_key_impl_wrapped_configILNS1_25lookback_scan_determinismE0ES3_S9_NS6_6detail15normal_iteratorINS6_10device_ptrItEEEESG_SG_SG_PmS8_22is_equal_div_10_reduceItEEE10hipError_tPvRmT2_T3_mT4_T5_T6_T7_T8_P12ihipStream_tbENKUlT_T0_E_clISt17integral_constantIbLb1EES10_IbLb0EEEEDaSW_SX_EUlSW_E_NS1_11comp_targetILNS1_3genE10ELNS1_11target_archE1200ELNS1_3gpuE4ELNS1_3repE0EEENS1_30default_config_static_selectorELNS0_4arch9wavefront6targetE0EEEvT1_
	.p2align	8
	.type	_ZN7rocprim17ROCPRIM_400000_NS6detail17trampoline_kernelINS0_14default_configENS1_29reduce_by_key_config_selectorIttN6thrust23THRUST_200600_302600_NS4plusItEEEEZZNS1_33reduce_by_key_impl_wrapped_configILNS1_25lookback_scan_determinismE0ES3_S9_NS6_6detail15normal_iteratorINS6_10device_ptrItEEEESG_SG_SG_PmS8_22is_equal_div_10_reduceItEEE10hipError_tPvRmT2_T3_mT4_T5_T6_T7_T8_P12ihipStream_tbENKUlT_T0_E_clISt17integral_constantIbLb1EES10_IbLb0EEEEDaSW_SX_EUlSW_E_NS1_11comp_targetILNS1_3genE10ELNS1_11target_archE1200ELNS1_3gpuE4ELNS1_3repE0EEENS1_30default_config_static_selectorELNS0_4arch9wavefront6targetE0EEEvT1_,@function
_ZN7rocprim17ROCPRIM_400000_NS6detail17trampoline_kernelINS0_14default_configENS1_29reduce_by_key_config_selectorIttN6thrust23THRUST_200600_302600_NS4plusItEEEEZZNS1_33reduce_by_key_impl_wrapped_configILNS1_25lookback_scan_determinismE0ES3_S9_NS6_6detail15normal_iteratorINS6_10device_ptrItEEEESG_SG_SG_PmS8_22is_equal_div_10_reduceItEEE10hipError_tPvRmT2_T3_mT4_T5_T6_T7_T8_P12ihipStream_tbENKUlT_T0_E_clISt17integral_constantIbLb1EES10_IbLb0EEEEDaSW_SX_EUlSW_E_NS1_11comp_targetILNS1_3genE10ELNS1_11target_archE1200ELNS1_3gpuE4ELNS1_3repE0EEENS1_30default_config_static_selectorELNS0_4arch9wavefront6targetE0EEEvT1_: ; @_ZN7rocprim17ROCPRIM_400000_NS6detail17trampoline_kernelINS0_14default_configENS1_29reduce_by_key_config_selectorIttN6thrust23THRUST_200600_302600_NS4plusItEEEEZZNS1_33reduce_by_key_impl_wrapped_configILNS1_25lookback_scan_determinismE0ES3_S9_NS6_6detail15normal_iteratorINS6_10device_ptrItEEEESG_SG_SG_PmS8_22is_equal_div_10_reduceItEEE10hipError_tPvRmT2_T3_mT4_T5_T6_T7_T8_P12ihipStream_tbENKUlT_T0_E_clISt17integral_constantIbLb1EES10_IbLb0EEEEDaSW_SX_EUlSW_E_NS1_11comp_targetILNS1_3genE10ELNS1_11target_archE1200ELNS1_3gpuE4ELNS1_3repE0EEENS1_30default_config_static_selectorELNS0_4arch9wavefront6targetE0EEEvT1_
; %bb.0:
	.section	.rodata,"a",@progbits
	.p2align	6, 0x0
	.amdhsa_kernel _ZN7rocprim17ROCPRIM_400000_NS6detail17trampoline_kernelINS0_14default_configENS1_29reduce_by_key_config_selectorIttN6thrust23THRUST_200600_302600_NS4plusItEEEEZZNS1_33reduce_by_key_impl_wrapped_configILNS1_25lookback_scan_determinismE0ES3_S9_NS6_6detail15normal_iteratorINS6_10device_ptrItEEEESG_SG_SG_PmS8_22is_equal_div_10_reduceItEEE10hipError_tPvRmT2_T3_mT4_T5_T6_T7_T8_P12ihipStream_tbENKUlT_T0_E_clISt17integral_constantIbLb1EES10_IbLb0EEEEDaSW_SX_EUlSW_E_NS1_11comp_targetILNS1_3genE10ELNS1_11target_archE1200ELNS1_3gpuE4ELNS1_3repE0EEENS1_30default_config_static_selectorELNS0_4arch9wavefront6targetE0EEEvT1_
		.amdhsa_group_segment_fixed_size 0
		.amdhsa_private_segment_fixed_size 0
		.amdhsa_kernarg_size 120
		.amdhsa_user_sgpr_count 15
		.amdhsa_user_sgpr_dispatch_ptr 0
		.amdhsa_user_sgpr_queue_ptr 0
		.amdhsa_user_sgpr_kernarg_segment_ptr 1
		.amdhsa_user_sgpr_dispatch_id 0
		.amdhsa_user_sgpr_private_segment_size 0
		.amdhsa_wavefront_size32 1
		.amdhsa_uses_dynamic_stack 0
		.amdhsa_enable_private_segment 0
		.amdhsa_system_sgpr_workgroup_id_x 1
		.amdhsa_system_sgpr_workgroup_id_y 0
		.amdhsa_system_sgpr_workgroup_id_z 0
		.amdhsa_system_sgpr_workgroup_info 0
		.amdhsa_system_vgpr_workitem_id 0
		.amdhsa_next_free_vgpr 1
		.amdhsa_next_free_sgpr 1
		.amdhsa_reserve_vcc 0
		.amdhsa_float_round_mode_32 0
		.amdhsa_float_round_mode_16_64 0
		.amdhsa_float_denorm_mode_32 3
		.amdhsa_float_denorm_mode_16_64 3
		.amdhsa_dx10_clamp 1
		.amdhsa_ieee_mode 1
		.amdhsa_fp16_overflow 0
		.amdhsa_workgroup_processor_mode 1
		.amdhsa_memory_ordered 1
		.amdhsa_forward_progress 0
		.amdhsa_shared_vgpr_count 0
		.amdhsa_exception_fp_ieee_invalid_op 0
		.amdhsa_exception_fp_denorm_src 0
		.amdhsa_exception_fp_ieee_div_zero 0
		.amdhsa_exception_fp_ieee_overflow 0
		.amdhsa_exception_fp_ieee_underflow 0
		.amdhsa_exception_fp_ieee_inexact 0
		.amdhsa_exception_int_div_zero 0
	.end_amdhsa_kernel
	.section	.text._ZN7rocprim17ROCPRIM_400000_NS6detail17trampoline_kernelINS0_14default_configENS1_29reduce_by_key_config_selectorIttN6thrust23THRUST_200600_302600_NS4plusItEEEEZZNS1_33reduce_by_key_impl_wrapped_configILNS1_25lookback_scan_determinismE0ES3_S9_NS6_6detail15normal_iteratorINS6_10device_ptrItEEEESG_SG_SG_PmS8_22is_equal_div_10_reduceItEEE10hipError_tPvRmT2_T3_mT4_T5_T6_T7_T8_P12ihipStream_tbENKUlT_T0_E_clISt17integral_constantIbLb1EES10_IbLb0EEEEDaSW_SX_EUlSW_E_NS1_11comp_targetILNS1_3genE10ELNS1_11target_archE1200ELNS1_3gpuE4ELNS1_3repE0EEENS1_30default_config_static_selectorELNS0_4arch9wavefront6targetE0EEEvT1_,"axG",@progbits,_ZN7rocprim17ROCPRIM_400000_NS6detail17trampoline_kernelINS0_14default_configENS1_29reduce_by_key_config_selectorIttN6thrust23THRUST_200600_302600_NS4plusItEEEEZZNS1_33reduce_by_key_impl_wrapped_configILNS1_25lookback_scan_determinismE0ES3_S9_NS6_6detail15normal_iteratorINS6_10device_ptrItEEEESG_SG_SG_PmS8_22is_equal_div_10_reduceItEEE10hipError_tPvRmT2_T3_mT4_T5_T6_T7_T8_P12ihipStream_tbENKUlT_T0_E_clISt17integral_constantIbLb1EES10_IbLb0EEEEDaSW_SX_EUlSW_E_NS1_11comp_targetILNS1_3genE10ELNS1_11target_archE1200ELNS1_3gpuE4ELNS1_3repE0EEENS1_30default_config_static_selectorELNS0_4arch9wavefront6targetE0EEEvT1_,comdat
.Lfunc_end455:
	.size	_ZN7rocprim17ROCPRIM_400000_NS6detail17trampoline_kernelINS0_14default_configENS1_29reduce_by_key_config_selectorIttN6thrust23THRUST_200600_302600_NS4plusItEEEEZZNS1_33reduce_by_key_impl_wrapped_configILNS1_25lookback_scan_determinismE0ES3_S9_NS6_6detail15normal_iteratorINS6_10device_ptrItEEEESG_SG_SG_PmS8_22is_equal_div_10_reduceItEEE10hipError_tPvRmT2_T3_mT4_T5_T6_T7_T8_P12ihipStream_tbENKUlT_T0_E_clISt17integral_constantIbLb1EES10_IbLb0EEEEDaSW_SX_EUlSW_E_NS1_11comp_targetILNS1_3genE10ELNS1_11target_archE1200ELNS1_3gpuE4ELNS1_3repE0EEENS1_30default_config_static_selectorELNS0_4arch9wavefront6targetE0EEEvT1_, .Lfunc_end455-_ZN7rocprim17ROCPRIM_400000_NS6detail17trampoline_kernelINS0_14default_configENS1_29reduce_by_key_config_selectorIttN6thrust23THRUST_200600_302600_NS4plusItEEEEZZNS1_33reduce_by_key_impl_wrapped_configILNS1_25lookback_scan_determinismE0ES3_S9_NS6_6detail15normal_iteratorINS6_10device_ptrItEEEESG_SG_SG_PmS8_22is_equal_div_10_reduceItEEE10hipError_tPvRmT2_T3_mT4_T5_T6_T7_T8_P12ihipStream_tbENKUlT_T0_E_clISt17integral_constantIbLb1EES10_IbLb0EEEEDaSW_SX_EUlSW_E_NS1_11comp_targetILNS1_3genE10ELNS1_11target_archE1200ELNS1_3gpuE4ELNS1_3repE0EEENS1_30default_config_static_selectorELNS0_4arch9wavefront6targetE0EEEvT1_
                                        ; -- End function
	.section	.AMDGPU.csdata,"",@progbits
; Kernel info:
; codeLenInByte = 0
; NumSgprs: 0
; NumVgprs: 0
; ScratchSize: 0
; MemoryBound: 0
; FloatMode: 240
; IeeeMode: 1
; LDSByteSize: 0 bytes/workgroup (compile time only)
; SGPRBlocks: 0
; VGPRBlocks: 0
; NumSGPRsForWavesPerEU: 1
; NumVGPRsForWavesPerEU: 1
; Occupancy: 16
; WaveLimiterHint : 0
; COMPUTE_PGM_RSRC2:SCRATCH_EN: 0
; COMPUTE_PGM_RSRC2:USER_SGPR: 15
; COMPUTE_PGM_RSRC2:TRAP_HANDLER: 0
; COMPUTE_PGM_RSRC2:TGID_X_EN: 1
; COMPUTE_PGM_RSRC2:TGID_Y_EN: 0
; COMPUTE_PGM_RSRC2:TGID_Z_EN: 0
; COMPUTE_PGM_RSRC2:TIDIG_COMP_CNT: 0
	.section	.text._ZN7rocprim17ROCPRIM_400000_NS6detail17trampoline_kernelINS0_14default_configENS1_29reduce_by_key_config_selectorIttN6thrust23THRUST_200600_302600_NS4plusItEEEEZZNS1_33reduce_by_key_impl_wrapped_configILNS1_25lookback_scan_determinismE0ES3_S9_NS6_6detail15normal_iteratorINS6_10device_ptrItEEEESG_SG_SG_PmS8_22is_equal_div_10_reduceItEEE10hipError_tPvRmT2_T3_mT4_T5_T6_T7_T8_P12ihipStream_tbENKUlT_T0_E_clISt17integral_constantIbLb1EES10_IbLb0EEEEDaSW_SX_EUlSW_E_NS1_11comp_targetILNS1_3genE9ELNS1_11target_archE1100ELNS1_3gpuE3ELNS1_3repE0EEENS1_30default_config_static_selectorELNS0_4arch9wavefront6targetE0EEEvT1_,"axG",@progbits,_ZN7rocprim17ROCPRIM_400000_NS6detail17trampoline_kernelINS0_14default_configENS1_29reduce_by_key_config_selectorIttN6thrust23THRUST_200600_302600_NS4plusItEEEEZZNS1_33reduce_by_key_impl_wrapped_configILNS1_25lookback_scan_determinismE0ES3_S9_NS6_6detail15normal_iteratorINS6_10device_ptrItEEEESG_SG_SG_PmS8_22is_equal_div_10_reduceItEEE10hipError_tPvRmT2_T3_mT4_T5_T6_T7_T8_P12ihipStream_tbENKUlT_T0_E_clISt17integral_constantIbLb1EES10_IbLb0EEEEDaSW_SX_EUlSW_E_NS1_11comp_targetILNS1_3genE9ELNS1_11target_archE1100ELNS1_3gpuE3ELNS1_3repE0EEENS1_30default_config_static_selectorELNS0_4arch9wavefront6targetE0EEEvT1_,comdat
	.protected	_ZN7rocprim17ROCPRIM_400000_NS6detail17trampoline_kernelINS0_14default_configENS1_29reduce_by_key_config_selectorIttN6thrust23THRUST_200600_302600_NS4plusItEEEEZZNS1_33reduce_by_key_impl_wrapped_configILNS1_25lookback_scan_determinismE0ES3_S9_NS6_6detail15normal_iteratorINS6_10device_ptrItEEEESG_SG_SG_PmS8_22is_equal_div_10_reduceItEEE10hipError_tPvRmT2_T3_mT4_T5_T6_T7_T8_P12ihipStream_tbENKUlT_T0_E_clISt17integral_constantIbLb1EES10_IbLb0EEEEDaSW_SX_EUlSW_E_NS1_11comp_targetILNS1_3genE9ELNS1_11target_archE1100ELNS1_3gpuE3ELNS1_3repE0EEENS1_30default_config_static_selectorELNS0_4arch9wavefront6targetE0EEEvT1_ ; -- Begin function _ZN7rocprim17ROCPRIM_400000_NS6detail17trampoline_kernelINS0_14default_configENS1_29reduce_by_key_config_selectorIttN6thrust23THRUST_200600_302600_NS4plusItEEEEZZNS1_33reduce_by_key_impl_wrapped_configILNS1_25lookback_scan_determinismE0ES3_S9_NS6_6detail15normal_iteratorINS6_10device_ptrItEEEESG_SG_SG_PmS8_22is_equal_div_10_reduceItEEE10hipError_tPvRmT2_T3_mT4_T5_T6_T7_T8_P12ihipStream_tbENKUlT_T0_E_clISt17integral_constantIbLb1EES10_IbLb0EEEEDaSW_SX_EUlSW_E_NS1_11comp_targetILNS1_3genE9ELNS1_11target_archE1100ELNS1_3gpuE3ELNS1_3repE0EEENS1_30default_config_static_selectorELNS0_4arch9wavefront6targetE0EEEvT1_
	.globl	_ZN7rocprim17ROCPRIM_400000_NS6detail17trampoline_kernelINS0_14default_configENS1_29reduce_by_key_config_selectorIttN6thrust23THRUST_200600_302600_NS4plusItEEEEZZNS1_33reduce_by_key_impl_wrapped_configILNS1_25lookback_scan_determinismE0ES3_S9_NS6_6detail15normal_iteratorINS6_10device_ptrItEEEESG_SG_SG_PmS8_22is_equal_div_10_reduceItEEE10hipError_tPvRmT2_T3_mT4_T5_T6_T7_T8_P12ihipStream_tbENKUlT_T0_E_clISt17integral_constantIbLb1EES10_IbLb0EEEEDaSW_SX_EUlSW_E_NS1_11comp_targetILNS1_3genE9ELNS1_11target_archE1100ELNS1_3gpuE3ELNS1_3repE0EEENS1_30default_config_static_selectorELNS0_4arch9wavefront6targetE0EEEvT1_
	.p2align	8
	.type	_ZN7rocprim17ROCPRIM_400000_NS6detail17trampoline_kernelINS0_14default_configENS1_29reduce_by_key_config_selectorIttN6thrust23THRUST_200600_302600_NS4plusItEEEEZZNS1_33reduce_by_key_impl_wrapped_configILNS1_25lookback_scan_determinismE0ES3_S9_NS6_6detail15normal_iteratorINS6_10device_ptrItEEEESG_SG_SG_PmS8_22is_equal_div_10_reduceItEEE10hipError_tPvRmT2_T3_mT4_T5_T6_T7_T8_P12ihipStream_tbENKUlT_T0_E_clISt17integral_constantIbLb1EES10_IbLb0EEEEDaSW_SX_EUlSW_E_NS1_11comp_targetILNS1_3genE9ELNS1_11target_archE1100ELNS1_3gpuE3ELNS1_3repE0EEENS1_30default_config_static_selectorELNS0_4arch9wavefront6targetE0EEEvT1_,@function
_ZN7rocprim17ROCPRIM_400000_NS6detail17trampoline_kernelINS0_14default_configENS1_29reduce_by_key_config_selectorIttN6thrust23THRUST_200600_302600_NS4plusItEEEEZZNS1_33reduce_by_key_impl_wrapped_configILNS1_25lookback_scan_determinismE0ES3_S9_NS6_6detail15normal_iteratorINS6_10device_ptrItEEEESG_SG_SG_PmS8_22is_equal_div_10_reduceItEEE10hipError_tPvRmT2_T3_mT4_T5_T6_T7_T8_P12ihipStream_tbENKUlT_T0_E_clISt17integral_constantIbLb1EES10_IbLb0EEEEDaSW_SX_EUlSW_E_NS1_11comp_targetILNS1_3genE9ELNS1_11target_archE1100ELNS1_3gpuE3ELNS1_3repE0EEENS1_30default_config_static_selectorELNS0_4arch9wavefront6targetE0EEEvT1_: ; @_ZN7rocprim17ROCPRIM_400000_NS6detail17trampoline_kernelINS0_14default_configENS1_29reduce_by_key_config_selectorIttN6thrust23THRUST_200600_302600_NS4plusItEEEEZZNS1_33reduce_by_key_impl_wrapped_configILNS1_25lookback_scan_determinismE0ES3_S9_NS6_6detail15normal_iteratorINS6_10device_ptrItEEEESG_SG_SG_PmS8_22is_equal_div_10_reduceItEEE10hipError_tPvRmT2_T3_mT4_T5_T6_T7_T8_P12ihipStream_tbENKUlT_T0_E_clISt17integral_constantIbLb1EES10_IbLb0EEEEDaSW_SX_EUlSW_E_NS1_11comp_targetILNS1_3genE9ELNS1_11target_archE1100ELNS1_3gpuE3ELNS1_3repE0EEENS1_30default_config_static_selectorELNS0_4arch9wavefront6targetE0EEEvT1_
; %bb.0:
	s_clause 0x4
	s_load_b256 s[16:23], s[0:1], 0x0
	s_load_b256 s[24:31], s[0:1], 0x38
	s_load_b128 s[36:39], s[0:1], 0x20
	s_load_b64 s[34:35], s[0:1], 0x68
	s_load_b128 s[40:43], s[0:1], 0x58
	s_mov_b32 s3, 0
	s_mul_i32 s2, s15, 0xf00
	s_waitcnt lgkmcnt(0)
	s_lshl_b64 s[0:1], s[18:19], 1
	s_mul_i32 s4, s28, s27
	s_add_u32 s8, s16, s0
	s_mul_hi_u32 s5, s28, s26
	s_addc_u32 s9, s17, s1
	s_add_u32 s10, s20, s0
	s_mul_i32 s6, s29, s26
	s_addc_u32 s11, s21, s1
	s_add_i32 s4, s5, s4
	s_lshl_b64 s[0:1], s[2:3], 1
	s_add_i32 s4, s4, s6
	s_add_u32 s14, s8, s0
	s_addc_u32 s21, s9, s1
	s_mul_i32 s7, s28, s26
	s_add_u32 s20, s10, s0
	s_addc_u32 s29, s11, s1
	s_add_u32 s16, s7, s15
	s_addc_u32 s17, s4, 0
	s_add_u32 s0, s30, -1
	s_addc_u32 s1, s31, -1
	s_mul_i32 s19, s0, 0xfffff100
	s_cmp_eq_u64 s[16:17], s[0:1]
	s_cselect_b32 s18, -1, 0
	s_cmp_lg_u64 s[16:17], s[0:1]
	s_cselect_b32 s28, -1, 0
	s_and_b32 vcc_lo, exec_lo, s18
	s_cbranch_vccnz .LBB456_2
; %bb.1:
	v_lshlrev_b32_e32 v13, 1, v0
	s_delay_alu instid0(VALU_DEP_1) | instskip(NEXT) | instid1(VALU_DEP_1)
	v_add_co_u32 v1, s0, s14, v13
	v_add_co_ci_u32_e64 v2, null, s21, 0, s0
	v_add_co_u32 v6, s0, s20, v13
	s_delay_alu instid0(VALU_DEP_3) | instskip(NEXT) | instid1(VALU_DEP_3)
	v_add_co_u32 v3, vcc_lo, 0x1000, v1
	v_add_co_ci_u32_e32 v4, vcc_lo, 0, v2, vcc_lo
	s_clause 0xe
	flat_load_u16 v10, v[1:2]
	flat_load_u16 v11, v[1:2] offset:512
	flat_load_u16 v12, v[1:2] offset:1024
	;; [unrolled: 1-line block ×7, first 2 shown]
	flat_load_u16 v2, v[3:4]
	flat_load_u16 v18, v[3:4] offset:512
	flat_load_u16 v19, v[3:4] offset:1024
	;; [unrolled: 1-line block ×6, first 2 shown]
	v_add_co_ci_u32_e64 v7, null, s29, 0, s0
	v_mad_u32_u24 v5, v0, 28, v13
	v_add_co_u32 v8, vcc_lo, 0x1000, v6
	s_delay_alu instid0(VALU_DEP_3)
	v_add_co_ci_u32_e32 v9, vcc_lo, 0, v7, vcc_lo
	s_waitcnt vmcnt(14) lgkmcnt(14)
	ds_store_b16 v13, v10
	s_waitcnt vmcnt(13) lgkmcnt(14)
	ds_store_b16 v13, v11 offset:512
	s_waitcnt vmcnt(12) lgkmcnt(14)
	ds_store_b16 v13, v12 offset:1024
	;; [unrolled: 2-line block ×14, first 2 shown]
	s_waitcnt lgkmcnt(0)
	s_barrier
	buffer_gl0_inv
	ds_load_u16 v62, v5
	ds_load_b128 v[1:4], v5 offset:2
	ds_load_b96 v[10:12], v5 offset:18
	s_waitcnt lgkmcnt(0)
	s_barrier
	buffer_gl0_inv
	s_clause 0xe
	flat_load_u16 v14, v[6:7]
	flat_load_u16 v15, v[6:7] offset:512
	flat_load_u16 v16, v[6:7] offset:1024
	;; [unrolled: 1-line block ×7, first 2 shown]
	flat_load_u16 v21, v[8:9]
	flat_load_u16 v22, v[8:9] offset:512
	flat_load_u16 v23, v[8:9] offset:1024
	;; [unrolled: 1-line block ×6, first 2 shown]
	v_mul_u32_u24_e32 v7, 15, v0
	s_waitcnt vmcnt(14) lgkmcnt(14)
	ds_store_b16 v13, v14
	s_waitcnt vmcnt(13) lgkmcnt(14)
	ds_store_b16 v13, v15 offset:512
	s_waitcnt vmcnt(12) lgkmcnt(14)
	ds_store_b16 v13, v16 offset:1024
	;; [unrolled: 2-line block ×14, first 2 shown]
	s_waitcnt lgkmcnt(0)
	s_barrier
	s_and_not1_b32 vcc_lo, exec_lo, s3
	s_add_i32 s19, s19, s40
	s_cbranch_vccz .LBB456_3
	s_branch .LBB456_50
.LBB456_2:
                                        ; implicit-def: $vgpr1
                                        ; implicit-def: $vgpr10
                                        ; implicit-def: $vgpr7
                                        ; implicit-def: $vgpr5
                                        ; implicit-def: $vgpr62
	s_add_i32 s19, s19, s40
.LBB456_3:
	s_delay_alu instid0(SALU_CYCLE_1)
	v_cmp_gt_u32_e32 vcc_lo, s19, v0
                                        ; implicit-def: $vgpr1
	s_and_saveexec_b32 s0, vcc_lo
	s_cbranch_execz .LBB456_5
; %bb.4:
	v_lshlrev_b32_e32 v1, 1, v0
	s_delay_alu instid0(VALU_DEP_1) | instskip(NEXT) | instid1(VALU_DEP_1)
	v_add_co_u32 v1, s1, s14, v1
	v_add_co_ci_u32_e64 v2, null, s21, 0, s1
	flat_load_u16 v1, v[1:2]
.LBB456_5:
	s_or_b32 exec_lo, exec_lo, s0
	v_or_b32_e32 v2, 0x100, v0
	s_delay_alu instid0(VALU_DEP_1) | instskip(NEXT) | instid1(VALU_DEP_1)
	v_cmp_gt_u32_e64 s0, s19, v2
                                        ; implicit-def: $vgpr2
	s_and_saveexec_b32 s1, s0
	s_cbranch_execz .LBB456_7
; %bb.6:
	v_lshlrev_b32_e32 v2, 1, v0
	s_delay_alu instid0(VALU_DEP_1) | instskip(NEXT) | instid1(VALU_DEP_1)
	v_add_co_u32 v2, s2, s14, v2
	v_add_co_ci_u32_e64 v3, null, s21, 0, s2
	flat_load_u16 v2, v[2:3] offset:512
.LBB456_7:
	s_or_b32 exec_lo, exec_lo, s1
	v_or_b32_e32 v3, 0x200, v0
	s_delay_alu instid0(VALU_DEP_1) | instskip(NEXT) | instid1(VALU_DEP_1)
	v_cmp_gt_u32_e64 s1, s19, v3
                                        ; implicit-def: $vgpr3
	s_and_saveexec_b32 s2, s1
	s_cbranch_execz .LBB456_9
; %bb.8:
	v_lshlrev_b32_e32 v3, 1, v0
	s_delay_alu instid0(VALU_DEP_1) | instskip(NEXT) | instid1(VALU_DEP_1)
	v_add_co_u32 v3, s3, s14, v3
	v_add_co_ci_u32_e64 v4, null, s21, 0, s3
	flat_load_u16 v3, v[3:4] offset:1024
.LBB456_9:
	s_or_b32 exec_lo, exec_lo, s2
	v_or_b32_e32 v4, 0x300, v0
	s_delay_alu instid0(VALU_DEP_1) | instskip(NEXT) | instid1(VALU_DEP_1)
	v_cmp_gt_u32_e64 s2, s19, v4
                                        ; implicit-def: $vgpr4
	s_and_saveexec_b32 s3, s2
	s_cbranch_execz .LBB456_11
; %bb.10:
	v_lshlrev_b32_e32 v4, 1, v0
	s_delay_alu instid0(VALU_DEP_1) | instskip(NEXT) | instid1(VALU_DEP_1)
	v_add_co_u32 v4, s4, s14, v4
	v_add_co_ci_u32_e64 v5, null, s21, 0, s4
	flat_load_u16 v4, v[4:5] offset:1536
.LBB456_11:
	s_or_b32 exec_lo, exec_lo, s3
	v_or_b32_e32 v5, 0x400, v0
	s_delay_alu instid0(VALU_DEP_1) | instskip(NEXT) | instid1(VALU_DEP_1)
	v_cmp_gt_u32_e64 s3, s19, v5
                                        ; implicit-def: $vgpr5
	s_and_saveexec_b32 s4, s3
	s_cbranch_execz .LBB456_13
; %bb.12:
	v_lshlrev_b32_e32 v5, 1, v0
	s_delay_alu instid0(VALU_DEP_1) | instskip(NEXT) | instid1(VALU_DEP_1)
	v_add_co_u32 v5, s5, s14, v5
	v_add_co_ci_u32_e64 v6, null, s21, 0, s5
	flat_load_u16 v5, v[5:6] offset:2048
.LBB456_13:
	s_or_b32 exec_lo, exec_lo, s4
	v_or_b32_e32 v6, 0x500, v0
                                        ; implicit-def: $vgpr10
	s_delay_alu instid0(VALU_DEP_1) | instskip(NEXT) | instid1(VALU_DEP_1)
	v_cmp_gt_u32_e64 s4, s19, v6
	s_and_saveexec_b32 s5, s4
	s_cbranch_execz .LBB456_15
; %bb.14:
	v_lshlrev_b32_e32 v6, 1, v0
	s_delay_alu instid0(VALU_DEP_1) | instskip(NEXT) | instid1(VALU_DEP_1)
	v_add_co_u32 v6, s6, s14, v6
	v_add_co_ci_u32_e64 v7, null, s21, 0, s6
	flat_load_u16 v10, v[6:7] offset:2560
.LBB456_15:
	s_or_b32 exec_lo, exec_lo, s5
	v_or_b32_e32 v6, 0x600, v0
                                        ; implicit-def: $vgpr11
	s_delay_alu instid0(VALU_DEP_1) | instskip(NEXT) | instid1(VALU_DEP_1)
	v_cmp_gt_u32_e64 s5, s19, v6
	s_and_saveexec_b32 s6, s5
	s_cbranch_execz .LBB456_17
; %bb.16:
	v_lshlrev_b32_e32 v6, 1, v0
	s_delay_alu instid0(VALU_DEP_1) | instskip(NEXT) | instid1(VALU_DEP_1)
	v_add_co_u32 v6, s7, s14, v6
	v_add_co_ci_u32_e64 v7, null, s21, 0, s7
	flat_load_u16 v11, v[6:7] offset:3072
.LBB456_17:
	s_or_b32 exec_lo, exec_lo, s6
	v_or_b32_e32 v6, 0x700, v0
                                        ; implicit-def: $vgpr12
	s_delay_alu instid0(VALU_DEP_1) | instskip(NEXT) | instid1(VALU_DEP_1)
	v_cmp_gt_u32_e64 s6, s19, v6
	s_and_saveexec_b32 s7, s6
	s_cbranch_execz .LBB456_19
; %bb.18:
	v_lshlrev_b32_e32 v6, 1, v0
	s_delay_alu instid0(VALU_DEP_1) | instskip(NEXT) | instid1(VALU_DEP_1)
	v_add_co_u32 v6, s8, s14, v6
	v_add_co_ci_u32_e64 v7, null, s21, 0, s8
	flat_load_u16 v12, v[6:7] offset:3584
.LBB456_19:
	s_or_b32 exec_lo, exec_lo, s7
	v_or_b32_e32 v7, 0x800, v0
                                        ; implicit-def: $vgpr17
	s_delay_alu instid0(VALU_DEP_1) | instskip(NEXT) | instid1(VALU_DEP_1)
	v_cmp_gt_u32_e64 s7, s19, v7
	s_and_saveexec_b32 s8, s7
	s_cbranch_execz .LBB456_21
; %bb.20:
	v_lshlrev_b32_e32 v6, 1, v7
	s_delay_alu instid0(VALU_DEP_1) | instskip(NEXT) | instid1(VALU_DEP_1)
	v_add_co_u32 v8, s9, s14, v6
	v_add_co_ci_u32_e64 v9, null, s21, 0, s9
	flat_load_u16 v17, v[8:9]
.LBB456_21:
	s_or_b32 exec_lo, exec_lo, s8
	v_or_b32_e32 v8, 0x900, v0
                                        ; implicit-def: $vgpr18
	s_delay_alu instid0(VALU_DEP_1) | instskip(NEXT) | instid1(VALU_DEP_1)
	v_cmp_gt_u32_e64 s8, s19, v8
	s_and_saveexec_b32 s9, s8
	s_cbranch_execz .LBB456_23
; %bb.22:
	v_lshlrev_b32_e32 v6, 1, v8
	s_delay_alu instid0(VALU_DEP_1) | instskip(NEXT) | instid1(VALU_DEP_1)
	v_add_co_u32 v13, s10, s14, v6
	v_add_co_ci_u32_e64 v14, null, s21, 0, s10
	flat_load_u16 v18, v[13:14]
.LBB456_23:
	s_or_b32 exec_lo, exec_lo, s9
	v_or_b32_e32 v9, 0xa00, v0
                                        ; implicit-def: $vgpr19
	s_delay_alu instid0(VALU_DEP_1) | instskip(NEXT) | instid1(VALU_DEP_1)
	v_cmp_gt_u32_e64 s9, s19, v9
	s_and_saveexec_b32 s10, s9
	s_cbranch_execz .LBB456_25
; %bb.24:
	v_lshlrev_b32_e32 v6, 1, v9
	s_delay_alu instid0(VALU_DEP_1) | instskip(NEXT) | instid1(VALU_DEP_1)
	v_add_co_u32 v13, s11, s14, v6
	v_add_co_ci_u32_e64 v14, null, s21, 0, s11
	flat_load_u16 v19, v[13:14]
.LBB456_25:
	s_or_b32 exec_lo, exec_lo, s10
	v_or_b32_e32 v13, 0xb00, v0
                                        ; implicit-def: $vgpr20
	s_delay_alu instid0(VALU_DEP_1) | instskip(NEXT) | instid1(VALU_DEP_1)
	v_cmp_gt_u32_e64 s10, s19, v13
	s_and_saveexec_b32 s11, s10
	s_cbranch_execz .LBB456_27
; %bb.26:
	v_lshlrev_b32_e32 v6, 1, v13
	s_delay_alu instid0(VALU_DEP_1) | instskip(NEXT) | instid1(VALU_DEP_1)
	v_add_co_u32 v14, s12, s14, v6
	v_add_co_ci_u32_e64 v15, null, s21, 0, s12
	flat_load_u16 v20, v[14:15]
.LBB456_27:
	s_or_b32 exec_lo, exec_lo, s11
	v_or_b32_e32 v14, 0xc00, v0
                                        ; implicit-def: $vgpr21
	s_delay_alu instid0(VALU_DEP_1) | instskip(NEXT) | instid1(VALU_DEP_1)
	v_cmp_gt_u32_e64 s11, s19, v14
	s_and_saveexec_b32 s12, s11
	s_cbranch_execz .LBB456_29
; %bb.28:
	v_lshlrev_b32_e32 v6, 1, v14
	s_delay_alu instid0(VALU_DEP_1) | instskip(NEXT) | instid1(VALU_DEP_1)
	v_add_co_u32 v15, s13, s14, v6
	v_add_co_ci_u32_e64 v16, null, s21, 0, s13
	flat_load_u16 v21, v[15:16]
.LBB456_29:
	s_or_b32 exec_lo, exec_lo, s12
	v_or_b32_e32 v15, 0xd00, v0
                                        ; implicit-def: $vgpr22
	s_delay_alu instid0(VALU_DEP_1) | instskip(NEXT) | instid1(VALU_DEP_1)
	v_cmp_gt_u32_e64 s12, s19, v15
	s_and_saveexec_b32 s13, s12
	s_cbranch_execz .LBB456_31
; %bb.30:
	v_lshlrev_b32_e32 v6, 1, v15
	s_delay_alu instid0(VALU_DEP_1) | instskip(NEXT) | instid1(VALU_DEP_1)
	v_add_co_u32 v22, s30, s14, v6
	v_add_co_ci_u32_e64 v23, null, s21, 0, s30
	flat_load_u16 v22, v[22:23]
.LBB456_31:
	s_or_b32 exec_lo, exec_lo, s13
	v_or_b32_e32 v16, 0xe00, v0
                                        ; implicit-def: $vgpr23
	s_delay_alu instid0(VALU_DEP_1) | instskip(NEXT) | instid1(VALU_DEP_1)
	v_cmp_gt_u32_e64 s13, s19, v16
	s_and_saveexec_b32 s30, s13
	s_cbranch_execz .LBB456_33
; %bb.32:
	v_lshlrev_b32_e32 v6, 1, v16
	s_delay_alu instid0(VALU_DEP_1) | instskip(NEXT) | instid1(VALU_DEP_1)
	v_add_co_u32 v23, s31, s14, v6
	v_add_co_ci_u32_e64 v24, null, s21, 0, s31
	flat_load_u16 v23, v[23:24]
.LBB456_33:
	s_or_b32 exec_lo, exec_lo, s30
	v_lshlrev_b32_e32 v6, 1, v0
	s_waitcnt vmcnt(0) lgkmcnt(0)
	ds_store_b16 v6, v1
	ds_store_b16 v6, v2 offset:512
	ds_store_b16 v6, v3 offset:1024
	ds_store_b16 v6, v4 offset:1536
	ds_store_b16 v6, v5 offset:2048
	ds_store_b16 v6, v10 offset:2560
	ds_store_b16 v6, v11 offset:3072
	ds_store_b16 v6, v12 offset:3584
	v_mad_u32_u24 v5, v0, 28, v6
	ds_store_b16 v6, v17 offset:4096
	ds_store_b16 v6, v18 offset:4608
	;; [unrolled: 1-line block ×7, first 2 shown]
	s_waitcnt lgkmcnt(0)
	s_barrier
	buffer_gl0_inv
	ds_load_u16 v62, v5
	ds_load_b128 v[1:4], v5 offset:2
	ds_load_b96 v[10:12], v5 offset:18
	s_waitcnt lgkmcnt(0)
	s_barrier
	buffer_gl0_inv
                                        ; implicit-def: $vgpr17
	s_and_saveexec_b32 s30, vcc_lo
	s_cbranch_execnz .LBB456_57
; %bb.34:
	s_or_b32 exec_lo, exec_lo, s30
                                        ; implicit-def: $vgpr18
	s_and_saveexec_b32 s30, s0
	s_cbranch_execnz .LBB456_58
.LBB456_35:
	s_or_b32 exec_lo, exec_lo, s30
                                        ; implicit-def: $vgpr19
	s_and_saveexec_b32 s0, s1
	s_cbranch_execnz .LBB456_59
.LBB456_36:
	s_or_b32 exec_lo, exec_lo, s0
                                        ; implicit-def: $vgpr20
	s_and_saveexec_b32 s0, s2
	s_cbranch_execnz .LBB456_60
.LBB456_37:
	s_or_b32 exec_lo, exec_lo, s0
                                        ; implicit-def: $vgpr21
	s_and_saveexec_b32 s0, s3
	s_cbranch_execnz .LBB456_61
.LBB456_38:
	s_or_b32 exec_lo, exec_lo, s0
                                        ; implicit-def: $vgpr22
	s_and_saveexec_b32 s0, s4
	s_cbranch_execnz .LBB456_62
.LBB456_39:
	s_or_b32 exec_lo, exec_lo, s0
                                        ; implicit-def: $vgpr23
	s_and_saveexec_b32 s0, s5
	s_cbranch_execnz .LBB456_63
.LBB456_40:
	s_or_b32 exec_lo, exec_lo, s0
                                        ; implicit-def: $vgpr24
	s_and_saveexec_b32 s0, s6
	s_cbranch_execnz .LBB456_64
.LBB456_41:
	s_or_b32 exec_lo, exec_lo, s0
                                        ; implicit-def: $vgpr25
	s_and_saveexec_b32 s0, s7
	s_cbranch_execnz .LBB456_65
.LBB456_42:
	s_or_b32 exec_lo, exec_lo, s0
                                        ; implicit-def: $vgpr26
	s_and_saveexec_b32 s0, s8
	s_cbranch_execnz .LBB456_66
.LBB456_43:
	s_or_b32 exec_lo, exec_lo, s0
                                        ; implicit-def: $vgpr8
	s_and_saveexec_b32 s0, s9
	s_cbranch_execnz .LBB456_67
.LBB456_44:
	s_or_b32 exec_lo, exec_lo, s0
                                        ; implicit-def: $vgpr9
	s_and_saveexec_b32 s0, s10
	s_cbranch_execnz .LBB456_68
.LBB456_45:
	s_or_b32 exec_lo, exec_lo, s0
                                        ; implicit-def: $vgpr13
	s_and_saveexec_b32 s0, s11
	s_cbranch_execnz .LBB456_69
.LBB456_46:
	s_or_b32 exec_lo, exec_lo, s0
                                        ; implicit-def: $vgpr14
	s_and_saveexec_b32 s0, s12
	s_cbranch_execnz .LBB456_70
.LBB456_47:
	s_or_b32 exec_lo, exec_lo, s0
                                        ; implicit-def: $vgpr15
	s_and_saveexec_b32 s0, s13
	s_cbranch_execz .LBB456_49
.LBB456_48:
	v_lshlrev_b32_e32 v7, 1, v16
	s_delay_alu instid0(VALU_DEP_1) | instskip(NEXT) | instid1(VALU_DEP_1)
	v_add_co_u32 v15, s1, s20, v7
	v_add_co_ci_u32_e64 v16, null, s29, 0, s1
	flat_load_u16 v15, v[15:16]
.LBB456_49:
	s_or_b32 exec_lo, exec_lo, s0
	v_mul_u32_u24_e32 v7, 15, v0
	s_waitcnt vmcnt(0) lgkmcnt(0)
	ds_store_b16 v6, v17
	ds_store_b16 v6, v18 offset:512
	ds_store_b16 v6, v19 offset:1024
	ds_store_b16 v6, v20 offset:1536
	ds_store_b16 v6, v21 offset:2048
	ds_store_b16 v6, v22 offset:2560
	ds_store_b16 v6, v23 offset:3072
	ds_store_b16 v6, v24 offset:3584
	ds_store_b16 v6, v25 offset:4096
	ds_store_b16 v6, v26 offset:4608
	ds_store_b16 v6, v8 offset:5120
	ds_store_b16 v6, v9 offset:5632
	ds_store_b16 v6, v13 offset:6144
	ds_store_b16 v6, v14 offset:6656
	ds_store_b16 v6, v15 offset:7168
	s_waitcnt lgkmcnt(0)
	s_barrier
.LBB456_50:
	v_lshlrev_b32_e32 v6, 1, v7
	buffer_gl0_inv
	ds_load_u16 v73, v5
	ds_load_u16 v72, v5 offset:2
	ds_load_u16 v70, v5 offset:6
	;; [unrolled: 1-line block ×14, first 2 shown]
	s_cmp_eq_u64 s[16:17], 0
	s_waitcnt lgkmcnt(0)
	s_cselect_b32 s20, -1, 0
	s_cmp_lg_u64 s[16:17], 0
	s_barrier
	s_cselect_b32 s29, -1, 0
	s_and_b32 vcc_lo, exec_lo, s28
	buffer_gl0_inv
	s_cbranch_vccz .LBB456_56
; %bb.51:
	s_and_b32 vcc_lo, exec_lo, s29
	s_cbranch_vccz .LBB456_71
; %bb.52:
	v_add_co_u32 v5, s0, -2, s14
	s_delay_alu instid0(VALU_DEP_1)
	v_add_co_ci_u32_e64 v6, null, -1, s21, s0
	v_and_b32_e32 v7, 0xffff, v12
	v_lshrrev_b32_e32 v8, 16, v12
	v_lshrrev_b32_e32 v9, 16, v11
	flat_load_u16 v5, v[5:6]
	v_and_b32_e32 v13, 0xffff, v11
	v_lshrrev_b32_e32 v14, 16, v10
	v_mul_u32_u24_e32 v7, 0xcccd, v7
	v_mul_u32_u24_e32 v15, 0xcccd, v8
	;; [unrolled: 1-line block ×5, first 2 shown]
	v_lshlrev_b32_e32 v6, 1, v0
	v_lshrrev_b32_e32 v7, 19, v7
	v_lshrrev_b32_e32 v15, 19, v15
	;; [unrolled: 1-line block ×5, first 2 shown]
	ds_store_b16 v6, v8
	v_cmp_ne_u16_e64 s1, v7, v15
	v_cmp_ne_u16_e64 s2, v9, v7
	v_cmp_ne_u16_e32 vcc_lo, v13, v9
	v_cmp_ne_u16_e64 s0, v14, v13
	v_and_b32_e32 v7, 0xffff, v10
	v_lshrrev_b32_e32 v8, 16, v4
	v_and_b32_e32 v9, 0xffff, v4
	v_lshrrev_b32_e32 v13, 16, v3
	v_and_b32_e32 v15, 0xffff, v3
	v_mul_u32_u24_e32 v7, 0xcccd, v7
	v_mul_u32_u24_e32 v8, 0xcccd, v8
	;; [unrolled: 1-line block ×5, first 2 shown]
	v_lshrrev_b32_e32 v7, 19, v7
	v_lshrrev_b32_e32 v8, 19, v8
	;; [unrolled: 1-line block ×5, first 2 shown]
	v_cmp_ne_u16_e64 s6, v7, v14
	v_cmp_ne_u16_e64 s7, v8, v7
	v_cmp_ne_u16_e64 s3, v9, v8
	v_cmp_ne_u16_e64 s4, v13, v9
	v_cmp_ne_u16_e64 s5, v15, v13
	v_lshrrev_b32_e32 v7, 16, v2
	v_and_b32_e32 v8, 0xffff, v2
	v_lshrrev_b32_e32 v9, 16, v1
	v_and_b32_e32 v13, 0xffff, v1
	v_and_b32_e32 v14, 0xffff, v62
	v_mul_u32_u24_e32 v7, 0xcccd, v7
	v_mul_u32_u24_e32 v8, 0xcccd, v8
	;; [unrolled: 1-line block ×5, first 2 shown]
	v_lshrrev_b32_e32 v16, 19, v7
	v_lshrrev_b32_e32 v8, 19, v8
	v_lshrrev_b32_e32 v9, 19, v9
	v_lshrrev_b32_e32 v13, 19, v13
	v_lshrrev_b32_e32 v7, 19, v14
	v_cmp_ne_u16_e64 s12, v16, v15
	v_cmp_ne_u16_e64 s8, v8, v16
	v_cmp_ne_u16_e64 s9, v9, v8
	v_cmp_ne_u16_e64 s10, v13, v9
	v_cmp_ne_u16_e64 s11, v7, v13
	s_mov_b32 s28, -1
	s_mov_b32 s30, 0
	s_mov_b32 s31, exec_lo
	s_waitcnt vmcnt(0) lgkmcnt(0)
	s_barrier
	buffer_gl0_inv
	v_cmpx_ne_u32_e32 0, v0
	s_cbranch_execz .LBB456_54
; %bb.53:
	v_add_nc_u32_e32 v5, -2, v6
	ds_load_u16 v5, v5
.LBB456_54:
	s_or_b32 exec_lo, exec_lo, s31
	s_waitcnt lgkmcnt(0)
	v_and_b32_e32 v5, 0xffff, v5
	v_cndmask_b32_e64 v61, 0, 1, s1
	v_cndmask_b32_e64 v14, 0, 1, s2
	v_cndmask_b32_e64 v13, 0, 1, vcc_lo
	v_cndmask_b32_e64 v16, 0, 1, s0
	v_mul_u32_u24_e32 v5, 0xcccd, v5
	v_cndmask_b32_e64 v15, 0, 1, s6
	v_cndmask_b32_e64 v18, 0, 1, s7
	;; [unrolled: 1-line block ×4, first 2 shown]
	v_lshrrev_b32_e32 v5, 19, v5
	v_cndmask_b32_e64 v19, 0, 1, s5
	v_cndmask_b32_e64 v22, 0, 1, s12
	;; [unrolled: 1-line block ×6, first 2 shown]
	v_cmp_ne_u16_e64 s2, v5, v7
	s_and_b32 vcc_lo, exec_lo, s30
	s_cbranch_vccnz .LBB456_72
.LBB456_55:
                                        ; implicit-def: $sgpr0
	s_branch .LBB456_110
.LBB456_56:
	s_mov_b32 s28, 0
                                        ; implicit-def: $sgpr2
                                        ; implicit-def: $vgpr61
                                        ; implicit-def: $vgpr14
                                        ; implicit-def: $vgpr13
                                        ; implicit-def: $vgpr16
                                        ; implicit-def: $vgpr15
                                        ; implicit-def: $vgpr18
                                        ; implicit-def: $vgpr17
                                        ; implicit-def: $vgpr20
                                        ; implicit-def: $vgpr19
                                        ; implicit-def: $vgpr22
                                        ; implicit-def: $vgpr21
                                        ; implicit-def: $vgpr24
                                        ; implicit-def: $vgpr23
                                        ; implicit-def: $vgpr26
                                        ; implicit-def: $sgpr0
	s_cbranch_execnz .LBB456_75
	s_branch .LBB456_110
.LBB456_57:
	v_add_co_u32 v17, s31, s20, v6
	s_delay_alu instid0(VALU_DEP_1)
	v_add_co_ci_u32_e64 v18, null, s29, 0, s31
	flat_load_u16 v17, v[17:18]
	s_or_b32 exec_lo, exec_lo, s30
                                        ; implicit-def: $vgpr18
	s_and_saveexec_b32 s30, s0
	s_cbranch_execz .LBB456_35
.LBB456_58:
	v_add_co_u32 v18, s0, s20, v6
	s_delay_alu instid0(VALU_DEP_1)
	v_add_co_ci_u32_e64 v19, null, s29, 0, s0
	flat_load_u16 v18, v[18:19] offset:512
	s_or_b32 exec_lo, exec_lo, s30
                                        ; implicit-def: $vgpr19
	s_and_saveexec_b32 s0, s1
	s_cbranch_execz .LBB456_36
.LBB456_59:
	v_add_co_u32 v19, s1, s20, v6
	s_delay_alu instid0(VALU_DEP_1)
	v_add_co_ci_u32_e64 v20, null, s29, 0, s1
	flat_load_u16 v19, v[19:20] offset:1024
	s_or_b32 exec_lo, exec_lo, s0
                                        ; implicit-def: $vgpr20
	s_and_saveexec_b32 s0, s2
	s_cbranch_execz .LBB456_37
.LBB456_60:
	v_add_co_u32 v20, s1, s20, v6
	s_delay_alu instid0(VALU_DEP_1)
	v_add_co_ci_u32_e64 v21, null, s29, 0, s1
	flat_load_u16 v20, v[20:21] offset:1536
	s_or_b32 exec_lo, exec_lo, s0
                                        ; implicit-def: $vgpr21
	s_and_saveexec_b32 s0, s3
	s_cbranch_execz .LBB456_38
.LBB456_61:
	v_add_co_u32 v21, s1, s20, v6
	s_delay_alu instid0(VALU_DEP_1)
	v_add_co_ci_u32_e64 v22, null, s29, 0, s1
	flat_load_u16 v21, v[21:22] offset:2048
	s_or_b32 exec_lo, exec_lo, s0
                                        ; implicit-def: $vgpr22
	s_and_saveexec_b32 s0, s4
	s_cbranch_execz .LBB456_39
.LBB456_62:
	v_add_co_u32 v22, s1, s20, v6
	s_delay_alu instid0(VALU_DEP_1)
	v_add_co_ci_u32_e64 v23, null, s29, 0, s1
	flat_load_u16 v22, v[22:23] offset:2560
	s_or_b32 exec_lo, exec_lo, s0
                                        ; implicit-def: $vgpr23
	s_and_saveexec_b32 s0, s5
	s_cbranch_execz .LBB456_40
.LBB456_63:
	v_add_co_u32 v23, s1, s20, v6
	s_delay_alu instid0(VALU_DEP_1)
	v_add_co_ci_u32_e64 v24, null, s29, 0, s1
	flat_load_u16 v23, v[23:24] offset:3072
	s_or_b32 exec_lo, exec_lo, s0
                                        ; implicit-def: $vgpr24
	s_and_saveexec_b32 s0, s6
	s_cbranch_execz .LBB456_41
.LBB456_64:
	v_add_co_u32 v24, s1, s20, v6
	s_delay_alu instid0(VALU_DEP_1)
	v_add_co_ci_u32_e64 v25, null, s29, 0, s1
	flat_load_u16 v24, v[24:25] offset:3584
	s_or_b32 exec_lo, exec_lo, s0
                                        ; implicit-def: $vgpr25
	s_and_saveexec_b32 s0, s7
	s_cbranch_execz .LBB456_42
.LBB456_65:
	v_lshlrev_b32_e32 v7, 1, v7
	s_delay_alu instid0(VALU_DEP_1) | instskip(NEXT) | instid1(VALU_DEP_1)
	v_add_co_u32 v25, s1, s20, v7
	v_add_co_ci_u32_e64 v26, null, s29, 0, s1
	flat_load_u16 v25, v[25:26]
	s_or_b32 exec_lo, exec_lo, s0
                                        ; implicit-def: $vgpr26
	s_and_saveexec_b32 s0, s8
	s_cbranch_execz .LBB456_43
.LBB456_66:
	v_lshlrev_b32_e32 v7, 1, v8
	s_delay_alu instid0(VALU_DEP_1) | instskip(NEXT) | instid1(VALU_DEP_1)
	v_add_co_u32 v7, s1, s20, v7
	v_add_co_ci_u32_e64 v8, null, s29, 0, s1
	flat_load_u16 v26, v[7:8]
	s_or_b32 exec_lo, exec_lo, s0
                                        ; implicit-def: $vgpr8
	s_and_saveexec_b32 s0, s9
	s_cbranch_execz .LBB456_44
.LBB456_67:
	v_lshlrev_b32_e32 v7, 1, v9
	s_delay_alu instid0(VALU_DEP_1) | instskip(NEXT) | instid1(VALU_DEP_1)
	v_add_co_u32 v7, s1, s20, v7
	v_add_co_ci_u32_e64 v8, null, s29, 0, s1
	flat_load_u16 v8, v[7:8]
	s_or_b32 exec_lo, exec_lo, s0
                                        ; implicit-def: $vgpr9
	s_and_saveexec_b32 s0, s10
	s_cbranch_execz .LBB456_45
.LBB456_68:
	v_lshlrev_b32_e32 v7, 1, v13
	s_delay_alu instid0(VALU_DEP_1) | instskip(NEXT) | instid1(VALU_DEP_1)
	v_add_co_u32 v27, s1, s20, v7
	v_add_co_ci_u32_e64 v28, null, s29, 0, s1
	flat_load_u16 v9, v[27:28]
	s_or_b32 exec_lo, exec_lo, s0
                                        ; implicit-def: $vgpr13
	s_and_saveexec_b32 s0, s11
	s_cbranch_execz .LBB456_46
.LBB456_69:
	v_lshlrev_b32_e32 v7, 1, v14
	s_delay_alu instid0(VALU_DEP_1) | instskip(NEXT) | instid1(VALU_DEP_1)
	v_add_co_u32 v13, s1, s20, v7
	v_add_co_ci_u32_e64 v14, null, s29, 0, s1
	flat_load_u16 v13, v[13:14]
	s_or_b32 exec_lo, exec_lo, s0
                                        ; implicit-def: $vgpr14
	s_and_saveexec_b32 s0, s12
	s_cbranch_execz .LBB456_47
.LBB456_70:
	v_lshlrev_b32_e32 v7, 1, v15
	s_delay_alu instid0(VALU_DEP_1) | instskip(NEXT) | instid1(VALU_DEP_1)
	v_add_co_u32 v14, s1, s20, v7
	v_add_co_ci_u32_e64 v15, null, s29, 0, s1
	flat_load_u16 v14, v[14:15]
	s_or_b32 exec_lo, exec_lo, s0
                                        ; implicit-def: $vgpr15
	s_and_saveexec_b32 s0, s13
	s_cbranch_execnz .LBB456_48
	s_branch .LBB456_49
.LBB456_71:
	s_mov_b32 s28, 0
                                        ; implicit-def: $sgpr2
                                        ; implicit-def: $vgpr61
                                        ; implicit-def: $vgpr14
                                        ; implicit-def: $vgpr13
                                        ; implicit-def: $vgpr16
                                        ; implicit-def: $vgpr15
                                        ; implicit-def: $vgpr18
                                        ; implicit-def: $vgpr17
                                        ; implicit-def: $vgpr20
                                        ; implicit-def: $vgpr19
                                        ; implicit-def: $vgpr22
                                        ; implicit-def: $vgpr21
                                        ; implicit-def: $vgpr24
                                        ; implicit-def: $vgpr23
                                        ; implicit-def: $vgpr26
	s_cbranch_execz .LBB456_55
.LBB456_72:
	v_and_b32_e32 v5, 0xffff, v12
	v_lshrrev_b32_e32 v7, 16, v12
	v_lshrrev_b32_e32 v6, 16, v11
	v_and_b32_e32 v9, 0xffff, v11
	v_lshrrev_b32_e32 v14, 16, v10
	v_mul_u32_u24_e32 v5, 0xcccd, v5
	v_mul_u32_u24_e32 v8, 0xcccd, v7
	;; [unrolled: 1-line block ×5, first 2 shown]
	v_lshrrev_b32_e32 v13, 19, v5
	v_lshrrev_b32_e32 v8, 19, v8
	;; [unrolled: 1-line block ×6, first 2 shown]
	v_cmp_ne_u16_e32 vcc_lo, v13, v8
	v_and_b32_e32 v8, 0xffff, v10
	v_and_b32_e32 v17, 0xffff, v4
	;; [unrolled: 1-line block ×4, first 2 shown]
	v_cndmask_b32_e64 v61, 0, 1, vcc_lo
	v_cmp_ne_u16_e32 vcc_lo, v6, v13
	v_mul_u32_u24_e32 v8, 0xcccd, v8
	v_mul_u32_u24_e32 v17, 0xcccd, v17
	;; [unrolled: 1-line block ×3, first 2 shown]
	v_lshlrev_b32_e32 v5, 1, v0
	v_cndmask_b32_e64 v14, 0, 1, vcc_lo
	v_cmp_ne_u16_e32 vcc_lo, v9, v6
	v_lshrrev_b32_e32 v6, 19, v8
	v_mul_u32_u24_e32 v8, 0xcccd, v16
	v_lshrrev_b32_e32 v20, 19, v17
	v_lshrrev_b32_e32 v26, 19, v24
	v_cndmask_b32_e64 v13, 0, 1, vcc_lo
	v_cmp_ne_u16_e32 vcc_lo, v15, v9
	v_lshrrev_b32_e32 v9, 16, v3
	v_lshrrev_b32_e32 v8, 19, v8
	s_mov_b32 s0, 1
	s_mov_b32 s1, exec_lo
	v_cndmask_b32_e64 v16, 0, 1, vcc_lo
	v_cmp_ne_u16_e32 vcc_lo, v6, v15
	v_mul_u32_u24_e32 v9, 0xcccd, v9
	ds_store_b16 v5, v7
	s_waitcnt lgkmcnt(0)
	s_barrier
	v_cndmask_b32_e64 v15, 0, 1, vcc_lo
	v_cmp_ne_u16_e32 vcc_lo, v8, v6
	v_lshrrev_b32_e32 v6, 19, v9
	v_mul_u32_u24_e32 v9, 0xcccd, v19
	v_and_b32_e32 v19, 0xffff, v2
	buffer_gl0_inv
	v_cndmask_b32_e64 v18, 0, 1, vcc_lo
	v_cmp_ne_u16_e32 vcc_lo, v20, v8
	v_lshrrev_b32_e32 v8, 16, v2
	v_lshrrev_b32_e32 v9, 19, v9
	v_mul_u32_u24_e32 v21, 0xcccd, v19
                                        ; implicit-def: $sgpr2
	v_cndmask_b32_e64 v17, 0, 1, vcc_lo
	v_cmp_ne_u16_e32 vcc_lo, v6, v20
	v_mul_u32_u24_e32 v8, 0xcccd, v8
	s_delay_alu instid0(VALU_DEP_4)
	v_lshrrev_b32_e32 v23, 19, v21
	v_and_b32_e32 v21, 0xffff, v62
	v_cndmask_b32_e64 v20, 0, 1, vcc_lo
	v_cmp_ne_u16_e32 vcc_lo, v9, v6
	v_lshrrev_b32_e32 v6, 16, v1
	v_lshrrev_b32_e32 v8, 19, v8
	v_cndmask_b32_e64 v19, 0, 1, vcc_lo
	s_delay_alu instid0(VALU_DEP_3) | instskip(NEXT) | instid1(VALU_DEP_3)
	v_mul_u32_u24_e32 v6, 0xcccd, v6
	v_cmp_ne_u16_e32 vcc_lo, v8, v9
	v_mul_u32_u24_e32 v9, 0xcccd, v21
	s_delay_alu instid0(VALU_DEP_3) | instskip(SKIP_2) | instid1(VALU_DEP_4)
	v_lshrrev_b32_e32 v25, 19, v6
	v_cndmask_b32_e64 v22, 0, 1, vcc_lo
	v_cmp_ne_u16_e32 vcc_lo, v23, v8
	v_lshrrev_b32_e32 v6, 19, v9
	v_cndmask_b32_e64 v21, 0, 1, vcc_lo
	v_cmp_ne_u16_e32 vcc_lo, v25, v23
	v_cndmask_b32_e64 v24, 0, 1, vcc_lo
	v_cmp_ne_u16_e32 vcc_lo, v26, v25
	;; [unrolled: 2-line block ×3, first 2 shown]
	v_cndmask_b32_e64 v26, 0, 1, vcc_lo
	v_cmpx_ne_u32_e32 0, v0
	s_xor_b32 s1, exec_lo, s1
	s_cbranch_execz .LBB456_74
; %bb.73:
	v_add_nc_u32_e32 v5, -2, v5
	s_or_b32 s28, s28, exec_lo
	ds_load_u16 v5, v5
	s_waitcnt lgkmcnt(0)
	v_mul_u32_u24_e32 v5, 0xcccd, v5
	s_delay_alu instid0(VALU_DEP_1) | instskip(NEXT) | instid1(VALU_DEP_1)
	v_lshrrev_b32_e32 v5, 19, v5
	v_cmp_ne_u16_e32 vcc_lo, v5, v6
	s_and_b32 s2, vcc_lo, exec_lo
.LBB456_74:
	s_or_b32 exec_lo, exec_lo, s1
	s_branch .LBB456_110
.LBB456_75:
	s_mul_hi_u32 s0, s16, 0xfffff100
	s_mul_i32 s1, s17, 0xfffff100
	s_sub_i32 s0, s0, s16
	s_mul_i32 s2, s16, 0xfffff100
	s_add_i32 s1, s0, s1
	s_add_u32 s0, s2, s40
	s_addc_u32 s1, s1, s41
	s_and_b32 vcc_lo, exec_lo, s29
	s_cbranch_vccz .LBB456_219
; %bb.76:
	v_add_co_u32 v5, s2, -2, s14
	s_delay_alu instid0(VALU_DEP_1)
	v_add_co_ci_u32_e64 v6, null, -1, s21, s2
	v_mad_u32_u24 v13, v0, 15, 14
	v_dual_mov_b32 v14, 0 :: v_dual_mov_b32 v61, 0
	flat_load_u16 v7, v[5:6]
	v_lshlrev_b32_e32 v6, 1, v0
	v_lshrrev_b32_e32 v8, 16, v12
	v_mul_u32_u24_e32 v5, 15, v0
	s_mov_b32 s2, exec_lo
	ds_store_b16 v6, v8
	v_cmpx_gt_u64_e64 s[0:1], v[13:14]
; %bb.77:
	v_and_b32_e32 v9, 0xffff, v12
	v_and_b32_e32 v8, 0xffff, v8
	s_delay_alu instid0(VALU_DEP_2) | instskip(NEXT) | instid1(VALU_DEP_2)
	v_mul_u32_u24_e32 v9, 0xcccd, v9
	v_mul_u32_u24_e32 v8, 0xcccd, v8
	s_delay_alu instid0(VALU_DEP_2) | instskip(NEXT) | instid1(VALU_DEP_2)
	v_lshrrev_b32_e32 v9, 19, v9
	v_lshrrev_b32_e32 v8, 19, v8
	s_delay_alu instid0(VALU_DEP_1)
	v_cmp_ne_u16_e32 vcc_lo, v9, v8
	v_cndmask_b32_e64 v61, 0, 1, vcc_lo
; %bb.78:
	s_or_b32 exec_lo, exec_lo, s2
	v_add_nc_u32_e32 v13, 13, v5
	s_mov_b32 s2, exec_lo
	s_delay_alu instid0(VALU_DEP_1)
	v_cmpx_gt_u64_e64 s[0:1], v[13:14]
; %bb.79:
	v_lshrrev_b32_e32 v8, 16, v11
	v_and_b32_e32 v9, 0xffff, v12
	s_delay_alu instid0(VALU_DEP_2) | instskip(NEXT) | instid1(VALU_DEP_2)
	v_mul_u32_u24_e32 v8, 0xcccd, v8
	v_mul_u32_u24_e32 v9, 0xcccd, v9
	s_delay_alu instid0(VALU_DEP_2) | instskip(NEXT) | instid1(VALU_DEP_2)
	v_lshrrev_b32_e32 v8, 19, v8
	v_lshrrev_b32_e32 v9, 19, v9
	s_delay_alu instid0(VALU_DEP_1)
	v_cmp_ne_u16_e32 vcc_lo, v8, v9
	v_cndmask_b32_e64 v14, 0, 1, vcc_lo
; %bb.80:
	s_or_b32 exec_lo, exec_lo, s2
	v_dual_mov_b32 v16, 0 :: v_dual_add_nc_u32 v15, 12, v5
	v_mov_b32_e32 v13, 0
	s_mov_b32 s2, exec_lo
	s_delay_alu instid0(VALU_DEP_2)
	v_cmpx_gt_u64_e64 s[0:1], v[15:16]
; %bb.81:
	v_and_b32_e32 v8, 0xffff, v11
	v_lshrrev_b32_e32 v9, 16, v11
	s_delay_alu instid0(VALU_DEP_2) | instskip(NEXT) | instid1(VALU_DEP_2)
	v_mul_u32_u24_e32 v8, 0xcccd, v8
	v_mul_u32_u24_e32 v9, 0xcccd, v9
	s_delay_alu instid0(VALU_DEP_2) | instskip(NEXT) | instid1(VALU_DEP_2)
	v_lshrrev_b32_e32 v8, 19, v8
	v_lshrrev_b32_e32 v9, 19, v9
	s_delay_alu instid0(VALU_DEP_1)
	v_cmp_ne_u16_e32 vcc_lo, v8, v9
	v_cndmask_b32_e64 v13, 0, 1, vcc_lo
; %bb.82:
	s_or_b32 exec_lo, exec_lo, s2
	v_add_nc_u32_e32 v15, 11, v5
	s_mov_b32 s2, exec_lo
	s_delay_alu instid0(VALU_DEP_1)
	v_cmpx_gt_u64_e64 s[0:1], v[15:16]
; %bb.83:
	v_lshrrev_b32_e32 v8, 16, v10
	v_and_b32_e32 v9, 0xffff, v11
	s_delay_alu instid0(VALU_DEP_2) | instskip(NEXT) | instid1(VALU_DEP_2)
	v_mul_u32_u24_e32 v8, 0xcccd, v8
	v_mul_u32_u24_e32 v9, 0xcccd, v9
	s_delay_alu instid0(VALU_DEP_2) | instskip(NEXT) | instid1(VALU_DEP_2)
	v_lshrrev_b32_e32 v8, 19, v8
	v_lshrrev_b32_e32 v9, 19, v9
	s_delay_alu instid0(VALU_DEP_1)
	v_cmp_ne_u16_e32 vcc_lo, v8, v9
	v_cndmask_b32_e64 v16, 0, 1, vcc_lo
; %bb.84:
	s_or_b32 exec_lo, exec_lo, s2
	v_dual_mov_b32 v18, 0 :: v_dual_add_nc_u32 v17, 10, v5
	v_mov_b32_e32 v15, 0
	s_mov_b32 s2, exec_lo
	s_delay_alu instid0(VALU_DEP_2)
	v_cmpx_gt_u64_e64 s[0:1], v[17:18]
; %bb.85:
	v_and_b32_e32 v8, 0xffff, v10
	v_lshrrev_b32_e32 v9, 16, v10
	;; [unrolled: 37-line block ×6, first 2 shown]
	s_delay_alu instid0(VALU_DEP_2) | instskip(NEXT) | instid1(VALU_DEP_2)
	v_mul_u32_u24_e32 v8, 0xcccd, v8
	v_mul_u32_u24_e32 v9, 0xcccd, v9
	s_delay_alu instid0(VALU_DEP_2) | instskip(NEXT) | instid1(VALU_DEP_2)
	v_lshrrev_b32_e32 v8, 19, v8
	v_lshrrev_b32_e32 v9, 19, v9
	s_delay_alu instid0(VALU_DEP_1)
	v_cmp_ne_u16_e32 vcc_lo, v8, v9
	v_cndmask_b32_e64 v23, 0, 1, vcc_lo
; %bb.102:
	s_or_b32 exec_lo, exec_lo, s2
	v_add_nc_u32_e32 v25, 1, v5
	s_mov_b32 s2, exec_lo
	s_delay_alu instid0(VALU_DEP_1)
	v_cmpx_gt_u64_e64 s[0:1], v[25:26]
; %bb.103:
	v_and_b32_e32 v8, 0xffff, v62
	v_and_b32_e32 v9, 0xffff, v1
	s_delay_alu instid0(VALU_DEP_2) | instskip(NEXT) | instid1(VALU_DEP_2)
	v_mul_u32_u24_e32 v8, 0xcccd, v8
	v_mul_u32_u24_e32 v9, 0xcccd, v9
	s_delay_alu instid0(VALU_DEP_2) | instskip(NEXT) | instid1(VALU_DEP_2)
	v_lshrrev_b32_e32 v8, 19, v8
	v_lshrrev_b32_e32 v9, 19, v9
	s_delay_alu instid0(VALU_DEP_1)
	v_cmp_ne_u16_e32 vcc_lo, v8, v9
	v_cndmask_b32_e64 v26, 0, 1, vcc_lo
; %bb.104:
	s_or_b32 exec_lo, exec_lo, s2
	s_mov_b32 s2, 0
	s_mov_b32 s3, exec_lo
	s_waitcnt vmcnt(0) lgkmcnt(0)
	s_barrier
	buffer_gl0_inv
	v_cmpx_ne_u32_e32 0, v0
	s_cbranch_execz .LBB456_106
; %bb.105:
	v_add_nc_u32_e32 v6, -2, v6
	ds_load_u16 v7, v6
.LBB456_106:
	s_or_b32 exec_lo, exec_lo, s3
	v_mov_b32_e32 v6, 0
	s_mov_b32 s3, exec_lo
	s_delay_alu instid0(VALU_DEP_1)
	v_cmpx_gt_u64_e64 s[0:1], v[5:6]
	s_cbranch_execz .LBB456_108
; %bb.107:
	s_waitcnt lgkmcnt(0)
	v_and_b32_e32 v5, 0xffff, v7
	v_and_b32_e32 v6, 0xffff, v62
	s_delay_alu instid0(VALU_DEP_2) | instskip(NEXT) | instid1(VALU_DEP_2)
	v_mul_u32_u24_e32 v5, 0xcccd, v5
	v_mul_u32_u24_e32 v6, 0xcccd, v6
	s_delay_alu instid0(VALU_DEP_2) | instskip(NEXT) | instid1(VALU_DEP_2)
	v_lshrrev_b32_e32 v5, 19, v5
	v_lshrrev_b32_e32 v6, 19, v6
	s_delay_alu instid0(VALU_DEP_1)
	v_cmp_ne_u16_e32 vcc_lo, v5, v6
	s_and_b32 s2, vcc_lo, exec_lo
.LBB456_108:
	s_or_b32 exec_lo, exec_lo, s3
	s_mov_b32 s28, -1
.LBB456_109:
                                        ; implicit-def: $sgpr0
.LBB456_110:
	v_mov_b32_e32 v76, s0
	s_and_saveexec_b32 s0, s28
.LBB456_111:
	v_cndmask_b32_e64 v76, 0, 1, s2
.LBB456_112:
	s_or_b32 exec_lo, exec_lo, s0
	s_delay_alu instid0(VALU_DEP_1)
	v_add3_u32 v5, v26, v76, v23
	v_cmp_eq_u32_e64 s12, 0, v26
	v_cmp_eq_u32_e64 s11, 0, v23
	;; [unrolled: 1-line block ×4, first 2 shown]
	v_add3_u32 v80, v5, v24, v21
	v_cmp_eq_u32_e64 s8, 0, v22
	v_cmp_eq_u32_e64 s7, 0, v19
	;; [unrolled: 1-line block ×9, first 2 shown]
	v_cmp_eq_u32_e32 vcc_lo, 0, v61
	v_mbcnt_lo_u32_b32 v77, -1, 0
	v_lshrrev_b32_e32 v78, 5, v0
	v_or_b32_e32 v79, 31, v0
	s_cmp_eq_u64 s[26:27], 0
	s_cselect_b32 s16, -1, 0
	s_cmp_lg_u32 s15, 0
	s_cbranch_scc0 .LBB456_143
; %bb.113:
	v_cndmask_b32_e64 v5, 0, v73, s12
	v_add3_u32 v6, v80, v22, v19
	v_and_b32_e32 v9, 15, v77
	s_delay_alu instid0(VALU_DEP_3) | instskip(NEXT) | instid1(VALU_DEP_3)
	v_add_nc_u16 v5, v5, v72
	v_add3_u32 v6, v6, v20, v17
	s_delay_alu instid0(VALU_DEP_2) | instskip(NEXT) | instid1(VALU_DEP_2)
	v_cndmask_b32_e64 v5, 0, v5, s11
	v_add3_u32 v6, v6, v18, v15
	s_delay_alu instid0(VALU_DEP_2) | instskip(NEXT) | instid1(VALU_DEP_2)
	v_add_nc_u16 v5, v5, v74
	v_add3_u32 v6, v6, v16, v13
	s_delay_alu instid0(VALU_DEP_2) | instskip(NEXT) | instid1(VALU_DEP_2)
	v_cndmask_b32_e64 v5, 0, v5, s10
	v_add3_u32 v6, v6, v14, v61
	s_delay_alu instid0(VALU_DEP_2) | instskip(NEXT) | instid1(VALU_DEP_2)
	v_add_nc_u16 v5, v5, v70
	v_mov_b32_dpp v25, v6 row_shr:1 row_mask:0xf bank_mask:0xf
	s_delay_alu instid0(VALU_DEP_2) | instskip(NEXT) | instid1(VALU_DEP_1)
	v_cndmask_b32_e64 v5, 0, v5, s9
	v_add_nc_u16 v5, v5, v71
	s_delay_alu instid0(VALU_DEP_1) | instskip(NEXT) | instid1(VALU_DEP_1)
	v_cndmask_b32_e64 v5, 0, v5, s8
	v_add_nc_u16 v5, v5, v68
	s_delay_alu instid0(VALU_DEP_1) | instskip(NEXT) | instid1(VALU_DEP_1)
	;; [unrolled: 3-line block ×9, first 2 shown]
	v_cndmask_b32_e64 v5, 0, v5, s0
	v_add_nc_u16 v5, v5, v59
	s_delay_alu instid0(VALU_DEP_1) | instskip(SKIP_1) | instid1(VALU_DEP_2)
	v_cndmask_b32_e32 v5, 0, v5, vcc_lo
	v_cmp_eq_u32_e32 vcc_lo, 0, v6
	v_add_nc_u16 v5, v5, v75
	s_waitcnt lgkmcnt(0)
	s_delay_alu instid0(VALU_DEP_1) | instskip(NEXT) | instid1(VALU_DEP_1)
	v_and_b32_e32 v7, 0xffff, v5
	v_mov_b32_dpp v8, v7 row_shr:1 row_mask:0xf bank_mask:0xf
	s_delay_alu instid0(VALU_DEP_1) | instskip(SKIP_1) | instid1(VALU_DEP_2)
	v_cndmask_b32_e32 v8, 0, v8, vcc_lo
	v_cmp_eq_u32_e32 vcc_lo, 0, v9
	v_add_nc_u16 v8, v8, v5
	v_cndmask_b32_e64 v25, v25, 0, vcc_lo
	s_delay_alu instid0(VALU_DEP_2) | instskip(NEXT) | instid1(VALU_DEP_2)
	v_and_b32_e32 v27, 0xffff, v8
	v_dual_cndmask_b32 v5, v8, v5 :: v_dual_add_nc_u32 v6, v25, v6
	s_delay_alu instid0(VALU_DEP_2) | instskip(NEXT) | instid1(VALU_DEP_2)
	v_cndmask_b32_e32 v7, v27, v7, vcc_lo
	v_cmp_eq_u32_e32 vcc_lo, 0, v6
	s_delay_alu instid0(VALU_DEP_2) | instskip(NEXT) | instid1(VALU_DEP_1)
	v_mov_b32_dpp v25, v7 row_shr:2 row_mask:0xf bank_mask:0xf
	v_cndmask_b32_e32 v8, 0, v25, vcc_lo
	v_mov_b32_dpp v25, v6 row_shr:2 row_mask:0xf bank_mask:0xf
	v_cmp_lt_u32_e32 vcc_lo, 1, v9
	s_delay_alu instid0(VALU_DEP_3) | instskip(NEXT) | instid1(VALU_DEP_1)
	v_add_nc_u16 v8, v8, v5
	v_and_b32_e32 v27, 0xffff, v8
	s_delay_alu instid0(VALU_DEP_4) | instskip(NEXT) | instid1(VALU_DEP_1)
	v_dual_cndmask_b32 v5, v5, v8 :: v_dual_cndmask_b32 v8, 0, v25
	v_dual_cndmask_b32 v7, v7, v27 :: v_dual_add_nc_u32 v6, v6, v8
	s_delay_alu instid0(VALU_DEP_1) | instskip(NEXT) | instid1(VALU_DEP_2)
	v_cmp_eq_u32_e32 vcc_lo, 0, v6
	v_mov_b32_dpp v8, v7 row_shr:4 row_mask:0xf bank_mask:0xf
	v_mov_b32_dpp v25, v6 row_shr:4 row_mask:0xf bank_mask:0xf
	s_delay_alu instid0(VALU_DEP_2) | instskip(SKIP_1) | instid1(VALU_DEP_2)
	v_cndmask_b32_e32 v8, 0, v8, vcc_lo
	v_cmp_lt_u32_e32 vcc_lo, 3, v9
	v_add_nc_u16 v8, v8, v5
	s_delay_alu instid0(VALU_DEP_1) | instskip(SKIP_1) | instid1(VALU_DEP_1)
	v_and_b32_e32 v27, 0xffff, v8
	v_dual_cndmask_b32 v5, v5, v8 :: v_dual_cndmask_b32 v8, 0, v25
	v_dual_cndmask_b32 v7, v7, v27 :: v_dual_add_nc_u32 v6, v8, v6
	s_delay_alu instid0(VALU_DEP_1) | instskip(NEXT) | instid1(VALU_DEP_2)
	v_cmp_eq_u32_e32 vcc_lo, 0, v6
	v_mov_b32_dpp v8, v7 row_shr:8 row_mask:0xf bank_mask:0xf
	v_mov_b32_dpp v25, v6 row_shr:8 row_mask:0xf bank_mask:0xf
	s_delay_alu instid0(VALU_DEP_2) | instskip(SKIP_1) | instid1(VALU_DEP_2)
	v_cndmask_b32_e32 v8, 0, v8, vcc_lo
	v_cmp_lt_u32_e32 vcc_lo, 7, v9
	v_add_nc_u16 v8, v8, v5
	s_delay_alu instid0(VALU_DEP_4) | instskip(SKIP_1) | instid1(VALU_DEP_3)
	v_cndmask_b32_e32 v9, 0, v25, vcc_lo
	v_bfe_i32 v25, v77, 4, 1
	v_cndmask_b32_e32 v5, v5, v8, vcc_lo
	v_and_b32_e32 v8, 0xffff, v8
	s_delay_alu instid0(VALU_DEP_4) | instskip(SKIP_1) | instid1(VALU_DEP_3)
	v_add_nc_u32_e32 v6, v9, v6
	v_and_b32_e32 v9, 16, v77
	v_cndmask_b32_e32 v7, v7, v8, vcc_lo
	ds_swizzle_b32 v8, v6 offset:swizzle(BROADCAST,32,15)
	v_cmp_ne_u32_e32 vcc_lo, 0, v9
	v_cmp_eq_u32_e64 s13, 0, v6
	ds_swizzle_b32 v7, v7 offset:swizzle(BROADCAST,32,15)
	s_and_b32 vcc_lo, vcc_lo, s13
	s_mov_b32 s13, exec_lo
	s_waitcnt lgkmcnt(0)
	v_dual_cndmask_b32 v7, 0, v7 :: v_dual_and_b32 v8, v25, v8
	s_delay_alu instid0(VALU_DEP_1) | instskip(NEXT) | instid1(VALU_DEP_2)
	v_add_nc_u32_e32 v6, v8, v6
	v_add_nc_u16 v5, v7, v5
	v_lshlrev_b32_e32 v7, 3, v78
	v_cmpx_eq_u32_e64 v79, v0
	s_cbranch_execz .LBB456_115
; %bb.114:
	ds_store_b32 v7, v6 offset:1040
	ds_store_b16 v7, v5 offset:1044
.LBB456_115:
	s_or_b32 exec_lo, exec_lo, s13
	s_delay_alu instid0(SALU_CYCLE_1)
	s_mov_b32 s14, exec_lo
	s_waitcnt lgkmcnt(0)
	s_barrier
	buffer_gl0_inv
	v_cmpx_gt_u32_e32 8, v0
	s_cbranch_execz .LBB456_117
; %bb.116:
	v_lshlrev_b32_e32 v25, 3, v0
	v_and_b32_e32 v30, 7, v77
	ds_load_b64 v[8:9], v25 offset:1040
	s_waitcnt lgkmcnt(0)
	v_mov_b32_dpp v27, v9 row_shr:1 row_mask:0xf bank_mask:0xf
	v_cmp_eq_u32_e32 vcc_lo, 0, v8
	v_mov_b32_dpp v31, v8 row_shr:1 row_mask:0xf bank_mask:0xf
	s_delay_alu instid0(VALU_DEP_3) | instskip(SKIP_1) | instid1(VALU_DEP_2)
	v_dual_cndmask_b32 v27, 0, v27 :: v_dual_and_b32 v28, 0xffff0000, v9
	v_cmp_eq_u32_e32 vcc_lo, 0, v30
	v_add_nc_u16 v27, v27, v9
	s_delay_alu instid0(VALU_DEP_4) | instskip(NEXT) | instid1(VALU_DEP_2)
	v_cndmask_b32_e64 v31, v31, 0, vcc_lo
	v_and_b32_e32 v29, 0xffff, v27
	s_delay_alu instid0(VALU_DEP_2) | instskip(NEXT) | instid1(VALU_DEP_2)
	v_add_nc_u32_e32 v8, v31, v8
	v_or_b32_e32 v29, v28, v29
	s_delay_alu instid0(VALU_DEP_1) | instskip(SKIP_1) | instid1(VALU_DEP_4)
	v_cndmask_b32_e32 v29, v29, v9, vcc_lo
	v_cndmask_b32_e32 v9, v27, v9, vcc_lo
	v_cmp_eq_u32_e32 vcc_lo, 0, v8
	s_delay_alu instid0(VALU_DEP_3) | instskip(NEXT) | instid1(VALU_DEP_1)
	v_mov_b32_dpp v31, v29 row_shr:2 row_mask:0xf bank_mask:0xf
	v_cndmask_b32_e32 v27, 0, v31, vcc_lo
	v_mov_b32_dpp v31, v8 row_shr:2 row_mask:0xf bank_mask:0xf
	v_cmp_lt_u32_e32 vcc_lo, 1, v30
	v_cmp_lt_u32_e64 s13, 3, v30
	s_delay_alu instid0(VALU_DEP_4) | instskip(NEXT) | instid1(VALU_DEP_1)
	v_add_nc_u16 v27, v27, v9
	v_and_b32_e32 v32, 0xffff, v27
	v_cndmask_b32_e32 v9, v9, v27, vcc_lo
	v_cndmask_b32_e32 v27, 0, v31, vcc_lo
	s_delay_alu instid0(VALU_DEP_3) | instskip(NEXT) | instid1(VALU_DEP_2)
	v_or_b32_e32 v28, v28, v32
	v_add_nc_u32_e32 v8, v27, v8
	s_delay_alu instid0(VALU_DEP_2) | instskip(NEXT) | instid1(VALU_DEP_2)
	v_cndmask_b32_e32 v27, v29, v28, vcc_lo
	v_cmp_eq_u32_e32 vcc_lo, 0, v8
	v_mov_b32_dpp v28, v8 row_shr:4 row_mask:0xf bank_mask:0xf
	s_delay_alu instid0(VALU_DEP_3) | instskip(SKIP_1) | instid1(VALU_DEP_2)
	v_mov_b32_dpp v27, v27 row_shr:4 row_mask:0xf bank_mask:0xf
	s_and_b32 vcc_lo, s13, vcc_lo
	v_cndmask_b32_e64 v28, 0, v28, s13
	s_delay_alu instid0(VALU_DEP_1) | instskip(NEXT) | instid1(VALU_DEP_1)
	v_dual_cndmask_b32 v27, 0, v27 :: v_dual_add_nc_u32 v8, v28, v8
	v_add_nc_u16 v9, v9, v27
	ds_store_b32 v25, v8 offset:1040
	ds_store_b16 v25, v9 offset:1044
.LBB456_117:
	s_or_b32 exec_lo, exec_lo, s14
	v_cmp_gt_u32_e32 vcc_lo, 32, v0
	v_mov_b32_e32 v31, 0
	v_mov_b32_e32 v25, 0
	s_mov_b32 s14, exec_lo
	s_waitcnt lgkmcnt(0)
	s_barrier
	buffer_gl0_inv
	v_cmpx_lt_u32_e32 31, v0
	s_cbranch_execz .LBB456_119
; %bb.118:
	ds_load_u16 v25, v7 offset:1036
	ds_load_b32 v31, v7 offset:1032
	v_cmp_eq_u32_e64 s13, 0, v6
	s_waitcnt lgkmcnt(1)
	s_delay_alu instid0(VALU_DEP_1) | instskip(SKIP_2) | instid1(VALU_DEP_2)
	v_cndmask_b32_e64 v7, 0, v25, s13
	s_waitcnt lgkmcnt(0)
	v_add_nc_u32_e32 v6, v31, v6
	v_add_nc_u16 v5, v7, v5
.LBB456_119:
	s_or_b32 exec_lo, exec_lo, s14
	v_add_nc_u32_e32 v7, -1, v77
	s_delay_alu instid0(VALU_DEP_2) | instskip(NEXT) | instid1(VALU_DEP_2)
	v_and_b32_e32 v5, 0xffff, v5
	v_cmp_gt_i32_e64 s13, 0, v7
	s_delay_alu instid0(VALU_DEP_1) | instskip(SKIP_1) | instid1(VALU_DEP_2)
	v_cndmask_b32_e64 v7, v7, v77, s13
	v_cmp_eq_u32_e64 s13, 0, v77
	v_lshlrev_b32_e32 v7, 2, v7
	ds_bpermute_b32 v32, v7, v6
	ds_bpermute_b32 v33, v7, v5
	s_and_saveexec_b32 s17, vcc_lo
	s_cbranch_execz .LBB456_142
; %bb.120:
	v_mov_b32_e32 v8, 0
	ds_load_b64 v[5:6], v8 offset:1096
	s_waitcnt lgkmcnt(0)
	v_readfirstlane_b32 s21, v6
	s_and_saveexec_b32 s14, s13
	s_cbranch_execz .LBB456_122
; %bb.121:
	s_add_i32 s26, s15, 32
	s_mov_b32 s27, 0
	v_mov_b32_e32 v7, 1
	s_lshl_b64 s[28:29], s[26:27], 4
	s_mov_b32 s30, s27
	s_add_u32 s28, s24, s28
	s_addc_u32 s29, s25, s29
	s_and_b32 s31, s21, 0xff000000
	s_and_b32 s41, s21, 0xff0000
	s_mov_b32 s40, s27
	v_dual_mov_b32 v27, s28 :: v_dual_mov_b32 v28, s29
	s_or_b64 s[30:31], s[40:41], s[30:31]
	s_and_b32 s41, s21, 0xff00
	s_delay_alu instid0(SALU_CYCLE_1) | instskip(SKIP_1) | instid1(SALU_CYCLE_1)
	s_or_b64 s[30:31], s[30:31], s[40:41]
	s_and_b32 s41, s21, 0xff
	s_or_b64 s[26:27], s[30:31], s[40:41]
	s_delay_alu instid0(SALU_CYCLE_1)
	v_mov_b32_e32 v6, s27
	;;#ASMSTART
	global_store_dwordx4 v[27:28], v[5:8] off	
s_waitcnt vmcnt(0)
	;;#ASMEND
.LBB456_122:
	s_or_b32 exec_lo, exec_lo, s14
	v_xad_u32 v27, v77, -1, s15
	s_mov_b32 s26, 0
	s_mov_b32 s14, exec_lo
	s_delay_alu instid0(VALU_DEP_1) | instskip(NEXT) | instid1(VALU_DEP_1)
	v_add_nc_u32_e32 v7, 32, v27
	v_lshlrev_b64 v[6:7], 4, v[7:8]
	s_delay_alu instid0(VALU_DEP_1) | instskip(NEXT) | instid1(VALU_DEP_2)
	v_add_co_u32 v28, vcc_lo, s24, v6
	v_add_co_ci_u32_e32 v29, vcc_lo, s25, v7, vcc_lo
	;;#ASMSTART
	global_load_dwordx4 v[6:9], v[28:29] off glc	
s_waitcnt vmcnt(0)
	;;#ASMEND
	v_and_b32_e32 v9, 0xffffff, v6
	v_and_b32_e32 v6, 0xff000000, v6
	;; [unrolled: 1-line block ×4, first 2 shown]
	s_delay_alu instid0(VALU_DEP_3) | instskip(SKIP_1) | instid1(VALU_DEP_3)
	v_or_b32_e32 v6, v9, v6
	v_and_b32_e32 v9, 0xff, v8
	v_or3_b32 v7, 0, v30, v7
	s_delay_alu instid0(VALU_DEP_3) | instskip(NEXT) | instid1(VALU_DEP_3)
	v_or3_b32 v6, v6, 0, 0
	v_cmpx_eq_u16_e32 0, v9
	s_cbranch_execz .LBB456_128
; %bb.123:
	s_mov_b32 s27, 1
	.p2align	6
.LBB456_124:                            ; =>This Loop Header: Depth=1
                                        ;     Child Loop BB456_125 Depth 2
	s_delay_alu instid0(SALU_CYCLE_1)
	s_max_u32 s28, s27, 1
.LBB456_125:                            ;   Parent Loop BB456_124 Depth=1
                                        ; =>  This Inner Loop Header: Depth=2
	s_delay_alu instid0(SALU_CYCLE_1)
	s_add_i32 s28, s28, -1
	s_sleep 1
	s_cmp_eq_u32 s28, 0
	s_cbranch_scc0 .LBB456_125
; %bb.126:                              ;   in Loop: Header=BB456_124 Depth=1
	;;#ASMSTART
	global_load_dwordx4 v[6:9], v[28:29] off glc	
s_waitcnt vmcnt(0)
	;;#ASMEND
	v_and_b32_e32 v9, 0xff, v8
	s_cmp_lt_u32 s27, 32
	s_cselect_b32 s28, -1, 0
	s_delay_alu instid0(SALU_CYCLE_1) | instskip(NEXT) | instid1(VALU_DEP_1)
	s_cmp_lg_u32 s28, 0
	v_cmp_ne_u16_e32 vcc_lo, 0, v9
	s_addc_u32 s27, s27, 0
	s_or_b32 s26, vcc_lo, s26
	s_delay_alu instid0(SALU_CYCLE_1)
	s_and_not1_b32 exec_lo, exec_lo, s26
	s_cbranch_execnz .LBB456_124
; %bb.127:
	s_or_b32 exec_lo, exec_lo, s26
	v_and_b32_e32 v7, 0xffff, v7
.LBB456_128:
	s_or_b32 exec_lo, exec_lo, s14
	v_cmp_ne_u32_e32 vcc_lo, 31, v77
	v_cmp_eq_u32_e64 s14, 0, v6
	v_lshlrev_b32_e64 v35, v77, -1
	v_add_nc_u32_e32 v43, 8, v77
	v_add_nc_u32_e32 v45, 16, v77
	v_add_co_ci_u32_e32 v9, vcc_lo, 0, v77, vcc_lo
	s_delay_alu instid0(VALU_DEP_1) | instskip(SKIP_4) | instid1(VALU_DEP_1)
	v_lshlrev_b32_e32 v34, 2, v9
	ds_bpermute_b32 v9, v34, v7
	ds_bpermute_b32 v30, v34, v6
	s_waitcnt lgkmcnt(1)
	v_cndmask_b32_e64 v9, 0, v9, s14
	v_add_nc_u16 v9, v9, v7
	v_and_b32_e32 v28, 0xff, v8
	s_delay_alu instid0(VALU_DEP_2) | instskip(NEXT) | instid1(VALU_DEP_2)
	v_and_b32_e32 v37, 0xffff, v9
	v_cmp_eq_u16_e32 vcc_lo, 2, v28
	v_and_or_b32 v28, vcc_lo, v35, 0x80000000
	v_cmp_gt_u32_e32 vcc_lo, 30, v77
	s_delay_alu instid0(VALU_DEP_2) | instskip(SKIP_1) | instid1(VALU_DEP_2)
	v_ctz_i32_b32_e32 v28, v28
	v_cndmask_b32_e64 v29, 0, 1, vcc_lo
	v_cmp_lt_u32_e32 vcc_lo, v77, v28
	s_waitcnt lgkmcnt(0)
	s_delay_alu instid0(VALU_DEP_2) | instskip(NEXT) | instid1(VALU_DEP_1)
	v_dual_cndmask_b32 v30, 0, v30 :: v_dual_lshlrev_b32 v29, 1, v29
	v_add_lshl_u32 v36, v29, v77, 2
	v_cndmask_b32_e32 v9, v7, v9, vcc_lo
	v_cndmask_b32_e32 v7, v7, v37, vcc_lo
	v_add_nc_u32_e32 v37, 2, v77
	v_add_nc_u32_e32 v6, v30, v6
	ds_bpermute_b32 v29, v36, v7
	v_cmp_eq_u32_e32 vcc_lo, 0, v6
	ds_bpermute_b32 v39, v36, v6
	s_waitcnt lgkmcnt(1)
	v_cndmask_b32_e32 v29, 0, v29, vcc_lo
	v_cmp_gt_u32_e32 vcc_lo, 28, v77
	v_cndmask_b32_e64 v30, 0, 1, vcc_lo
	v_cmp_gt_u32_e32 vcc_lo, v37, v28
	s_delay_alu instid0(VALU_DEP_2) | instskip(SKIP_1) | instid1(VALU_DEP_2)
	v_lshlrev_b32_e32 v30, 2, v30
	v_add_nc_u16 v29, v29, v9
	v_add_lshl_u32 v38, v30, v77, 2
	s_delay_alu instid0(VALU_DEP_2) | instskip(SKIP_4) | instid1(VALU_DEP_3)
	v_and_b32_e32 v40, 0xffff, v29
	s_waitcnt lgkmcnt(0)
	v_cndmask_b32_e64 v30, v39, 0, vcc_lo
	v_cndmask_b32_e32 v9, v29, v9, vcc_lo
	v_add_nc_u32_e32 v39, 4, v77
	v_dual_cndmask_b32 v7, v40, v7 :: v_dual_add_nc_u32 v6, v6, v30
	ds_bpermute_b32 v29, v38, v7
	v_cmp_eq_u32_e32 vcc_lo, 0, v6
	ds_bpermute_b32 v40, v38, v6
	s_waitcnt lgkmcnt(1)
	v_cndmask_b32_e32 v29, 0, v29, vcc_lo
	v_cmp_gt_u32_e32 vcc_lo, 24, v77
	v_cndmask_b32_e64 v30, 0, 1, vcc_lo
	v_cmp_gt_u32_e32 vcc_lo, v39, v28
	s_delay_alu instid0(VALU_DEP_2) | instskip(SKIP_1) | instid1(VALU_DEP_2)
	v_lshlrev_b32_e32 v30, 3, v30
	v_add_nc_u16 v29, v9, v29
	v_add_lshl_u32 v41, v30, v77, 2
	s_delay_alu instid0(VALU_DEP_2) | instskip(SKIP_3) | instid1(VALU_DEP_3)
	v_and_b32_e32 v42, 0xffff, v29
	s_waitcnt lgkmcnt(0)
	v_cndmask_b32_e64 v30, v40, 0, vcc_lo
	v_cndmask_b32_e32 v9, v29, v9, vcc_lo
	v_cndmask_b32_e32 v7, v42, v7, vcc_lo
	s_delay_alu instid0(VALU_DEP_3)
	v_add_nc_u32_e32 v6, v6, v30
	ds_bpermute_b32 v29, v41, v7
	v_cmp_eq_u32_e32 vcc_lo, 0, v6
	ds_bpermute_b32 v30, v41, v6
	s_waitcnt lgkmcnt(1)
	v_cndmask_b32_e32 v29, 0, v29, vcc_lo
	v_cmp_gt_u32_e32 vcc_lo, 16, v77
	v_cndmask_b32_e64 v40, 0, 1, vcc_lo
	v_cmp_gt_u32_e32 vcc_lo, v43, v28
	s_delay_alu instid0(VALU_DEP_2) | instskip(SKIP_1) | instid1(VALU_DEP_2)
	v_lshlrev_b32_e32 v40, 4, v40
	v_add_nc_u16 v29, v9, v29
	v_add_lshl_u32 v44, v40, v77, 2
	s_delay_alu instid0(VALU_DEP_2) | instskip(SKIP_3) | instid1(VALU_DEP_3)
	v_and_b32_e32 v42, 0xffff, v29
	v_cndmask_b32_e32 v9, v29, v9, vcc_lo
	s_waitcnt lgkmcnt(0)
	v_cndmask_b32_e64 v29, v30, 0, vcc_lo
	v_cndmask_b32_e32 v7, v42, v7, vcc_lo
	s_delay_alu instid0(VALU_DEP_2)
	v_add_nc_u32_e32 v6, v6, v29
	ds_bpermute_b32 v7, v44, v7
	ds_bpermute_b32 v29, v44, v6
	v_cmp_eq_u32_e32 vcc_lo, 0, v6
	s_waitcnt lgkmcnt(1)
	v_cndmask_b32_e32 v7, 0, v7, vcc_lo
	v_cmp_gt_u32_e32 vcc_lo, v45, v28
	s_delay_alu instid0(VALU_DEP_2) | instskip(SKIP_2) | instid1(VALU_DEP_1)
	v_cndmask_b32_e64 v7, v7, 0, vcc_lo
	s_waitcnt lgkmcnt(0)
	v_cndmask_b32_e64 v28, v29, 0, vcc_lo
	v_add_nc_u32_e32 v6, v28, v6
	s_delay_alu instid0(VALU_DEP_3)
	v_add_nc_u16 v7, v9, v7
	v_mov_b32_e32 v28, 0
	s_branch .LBB456_130
.LBB456_129:                            ;   in Loop: Header=BB456_130 Depth=1
	s_or_b32 exec_lo, exec_lo, s14
	ds_bpermute_b32 v9, v34, v7
	ds_bpermute_b32 v30, v34, v6
	v_and_b32_e32 v29, 0xff, v8
	v_cmp_eq_u32_e64 s14, 0, v6
	v_subrev_nc_u32_e32 v27, 32, v27
	s_delay_alu instid0(VALU_DEP_3) | instskip(SKIP_1) | instid1(VALU_DEP_1)
	v_cmp_eq_u16_e32 vcc_lo, 2, v29
	v_and_or_b32 v29, vcc_lo, v35, 0x80000000
	v_ctz_i32_b32_e32 v29, v29
	s_waitcnt lgkmcnt(1)
	v_cndmask_b32_e64 v9, 0, v9, s14
	s_delay_alu instid0(VALU_DEP_2) | instskip(NEXT) | instid1(VALU_DEP_2)
	v_cmp_lt_u32_e32 vcc_lo, v77, v29
	v_add_nc_u16 v9, v9, v7
	s_waitcnt lgkmcnt(0)
	v_cndmask_b32_e32 v30, 0, v30, vcc_lo
	s_delay_alu instid0(VALU_DEP_2) | instskip(NEXT) | instid1(VALU_DEP_2)
	v_and_b32_e32 v46, 0xffff, v9
	v_dual_cndmask_b32 v9, v7, v9 :: v_dual_add_nc_u32 v6, v30, v6
	s_delay_alu instid0(VALU_DEP_2) | instskip(NEXT) | instid1(VALU_DEP_2)
	v_cndmask_b32_e32 v7, v7, v46, vcc_lo
	v_cmp_eq_u32_e32 vcc_lo, 0, v6
	ds_bpermute_b32 v46, v36, v7
	s_waitcnt lgkmcnt(0)
	v_cndmask_b32_e32 v30, 0, v46, vcc_lo
	ds_bpermute_b32 v46, v36, v6
	v_cmp_gt_u32_e32 vcc_lo, v37, v29
	v_add_nc_u16 v30, v30, v9
	s_delay_alu instid0(VALU_DEP_1) | instskip(SKIP_1) | instid1(VALU_DEP_2)
	v_and_b32_e32 v47, 0xffff, v30
	v_cndmask_b32_e32 v9, v30, v9, vcc_lo
	v_cndmask_b32_e32 v7, v47, v7, vcc_lo
	ds_bpermute_b32 v30, v38, v7
	s_waitcnt lgkmcnt(1)
	v_cndmask_b32_e64 v46, v46, 0, vcc_lo
	s_delay_alu instid0(VALU_DEP_1) | instskip(NEXT) | instid1(VALU_DEP_1)
	v_add_nc_u32_e32 v6, v6, v46
	v_cmp_eq_u32_e32 vcc_lo, 0, v6
	ds_bpermute_b32 v46, v38, v6
	s_waitcnt lgkmcnt(1)
	v_cndmask_b32_e32 v30, 0, v30, vcc_lo
	v_cmp_gt_u32_e32 vcc_lo, v39, v29
	s_delay_alu instid0(VALU_DEP_2) | instskip(NEXT) | instid1(VALU_DEP_1)
	v_add_nc_u16 v30, v9, v30
	v_and_b32_e32 v47, 0xffff, v30
	v_cndmask_b32_e32 v9, v30, v9, vcc_lo
	s_waitcnt lgkmcnt(0)
	v_cndmask_b32_e64 v46, v46, 0, vcc_lo
	s_delay_alu instid0(VALU_DEP_1)
	v_dual_cndmask_b32 v7, v47, v7 :: v_dual_add_nc_u32 v6, v6, v46
	ds_bpermute_b32 v30, v41, v7
	v_cmp_eq_u32_e32 vcc_lo, 0, v6
	ds_bpermute_b32 v46, v41, v6
	s_waitcnt lgkmcnt(1)
	v_cndmask_b32_e32 v30, 0, v30, vcc_lo
	v_cmp_gt_u32_e32 vcc_lo, v43, v29
	s_delay_alu instid0(VALU_DEP_2) | instskip(NEXT) | instid1(VALU_DEP_1)
	v_add_nc_u16 v30, v9, v30
	v_and_b32_e32 v47, 0xffff, v30
	v_cndmask_b32_e32 v9, v30, v9, vcc_lo
	s_waitcnt lgkmcnt(0)
	v_cndmask_b32_e64 v30, v46, 0, vcc_lo
	s_delay_alu instid0(VALU_DEP_1)
	v_dual_cndmask_b32 v7, v47, v7 :: v_dual_add_nc_u32 v6, v6, v30
	ds_bpermute_b32 v7, v44, v7
	ds_bpermute_b32 v30, v44, v6
	v_cmp_eq_u32_e32 vcc_lo, 0, v6
	s_waitcnt lgkmcnt(1)
	v_cndmask_b32_e32 v7, 0, v7, vcc_lo
	v_cmp_gt_u32_e32 vcc_lo, v45, v29
	s_delay_alu instid0(VALU_DEP_2) | instskip(NEXT) | instid1(VALU_DEP_1)
	v_cndmask_b32_e64 v7, v7, 0, vcc_lo
	v_add_nc_u16 v7, v9, v7
	s_waitcnt lgkmcnt(0)
	v_cndmask_b32_e64 v9, v30, 0, vcc_lo
	v_cmp_eq_u32_e32 vcc_lo, 0, v42
	s_delay_alu instid0(VALU_DEP_3) | instskip(NEXT) | instid1(VALU_DEP_3)
	v_cndmask_b32_e32 v7, 0, v7, vcc_lo
	v_add3_u32 v6, v6, v42, v9
	s_delay_alu instid0(VALU_DEP_2)
	v_add_nc_u16 v7, v7, v40
.LBB456_130:                            ; =>This Loop Header: Depth=1
                                        ;     Child Loop BB456_133 Depth 2
                                        ;       Child Loop BB456_134 Depth 3
	v_and_b32_e32 v8, 0xff, v8
	s_delay_alu instid0(VALU_DEP_2) | instskip(NEXT) | instid1(VALU_DEP_4)
	v_mov_b32_e32 v40, v7
	v_mov_b32_e32 v42, v6
	s_delay_alu instid0(VALU_DEP_3) | instskip(SKIP_2) | instid1(VALU_DEP_1)
	v_cmp_ne_u16_e32 vcc_lo, 2, v8
	v_cndmask_b32_e64 v8, 0, 1, vcc_lo
	;;#ASMSTART
	;;#ASMEND
	v_cmp_ne_u32_e32 vcc_lo, 0, v8
	s_cmp_lg_u32 vcc_lo, exec_lo
	s_cbranch_scc1 .LBB456_137
; %bb.131:                              ;   in Loop: Header=BB456_130 Depth=1
	v_lshlrev_b64 v[6:7], 4, v[27:28]
	s_mov_b32 s14, exec_lo
	s_delay_alu instid0(VALU_DEP_1) | instskip(NEXT) | instid1(VALU_DEP_2)
	v_add_co_u32 v29, vcc_lo, s24, v6
	v_add_co_ci_u32_e32 v30, vcc_lo, s25, v7, vcc_lo
	;;#ASMSTART
	global_load_dwordx4 v[6:9], v[29:30] off glc	
s_waitcnt vmcnt(0)
	;;#ASMEND
	v_and_b32_e32 v9, 0xffffff, v6
	v_and_b32_e32 v6, 0xff000000, v6
	;; [unrolled: 1-line block ×4, first 2 shown]
	s_delay_alu instid0(VALU_DEP_3) | instskip(SKIP_1) | instid1(VALU_DEP_3)
	v_or_b32_e32 v6, v9, v6
	v_and_b32_e32 v9, 0xff, v8
	v_or3_b32 v7, 0, v46, v7
	s_delay_alu instid0(VALU_DEP_3) | instskip(NEXT) | instid1(VALU_DEP_3)
	v_or3_b32 v6, v6, 0, 0
	v_cmpx_eq_u16_e32 0, v9
	s_cbranch_execz .LBB456_129
; %bb.132:                              ;   in Loop: Header=BB456_130 Depth=1
	s_mov_b32 s27, 1
	s_mov_b32 s26, 0
	.p2align	6
.LBB456_133:                            ;   Parent Loop BB456_130 Depth=1
                                        ; =>  This Loop Header: Depth=2
                                        ;       Child Loop BB456_134 Depth 3
	s_max_u32 s28, s27, 1
.LBB456_134:                            ;   Parent Loop BB456_130 Depth=1
                                        ;     Parent Loop BB456_133 Depth=2
                                        ; =>    This Inner Loop Header: Depth=3
	s_delay_alu instid0(SALU_CYCLE_1)
	s_add_i32 s28, s28, -1
	s_sleep 1
	s_cmp_eq_u32 s28, 0
	s_cbranch_scc0 .LBB456_134
; %bb.135:                              ;   in Loop: Header=BB456_133 Depth=2
	;;#ASMSTART
	global_load_dwordx4 v[6:9], v[29:30] off glc	
s_waitcnt vmcnt(0)
	;;#ASMEND
	v_and_b32_e32 v9, 0xff, v8
	s_cmp_lt_u32 s27, 32
	s_cselect_b32 s28, -1, 0
	s_delay_alu instid0(SALU_CYCLE_1) | instskip(NEXT) | instid1(VALU_DEP_1)
	s_cmp_lg_u32 s28, 0
	v_cmp_ne_u16_e32 vcc_lo, 0, v9
	s_addc_u32 s27, s27, 0
	s_or_b32 s26, vcc_lo, s26
	s_delay_alu instid0(SALU_CYCLE_1)
	s_and_not1_b32 exec_lo, exec_lo, s26
	s_cbranch_execnz .LBB456_133
; %bb.136:                              ;   in Loop: Header=BB456_130 Depth=1
	s_or_b32 exec_lo, exec_lo, s26
	v_and_b32_e32 v7, 0xffff, v7
	s_branch .LBB456_129
.LBB456_137:                            ;   in Loop: Header=BB456_130 Depth=1
                                        ; implicit-def: $vgpr7
                                        ; implicit-def: $vgpr6
                                        ; implicit-def: $vgpr8
	s_cbranch_execz .LBB456_130
; %bb.138:
	s_and_saveexec_b32 s14, s13
	s_cbranch_execz .LBB456_140
; %bb.139:
	v_cmp_eq_u32_e32 vcc_lo, 0, v5
	s_mov_b32 s27, 0
	s_add_i32 s26, s15, 32
	v_add_nc_u32_e64 v29, 0x400, 0
	s_lshl_b64 s[26:27], s[26:27], 4
	v_dual_cndmask_b32 v6, 0, v40 :: v_dual_mov_b32 v9, 0
	s_add_u32 s26, s24, s26
	s_addc_u32 s27, s25, s27
	v_mov_b32_e32 v30, s21
	s_delay_alu instid0(VALU_DEP_2) | instskip(SKIP_1) | instid1(VALU_DEP_2)
	v_add_nc_u16 v7, v6, s21
	v_add_nc_u32_e32 v6, v42, v5
	v_dual_mov_b32 v8, 2 :: v_dual_and_b32 v27, 0xff00, v7
	v_and_b32_e32 v7, 0xff, v7
	s_delay_alu instid0(VALU_DEP_1)
	v_or_b32_e32 v7, v27, v7
	v_dual_mov_b32 v28, s27 :: v_dual_mov_b32 v27, s26
	;;#ASMSTART
	global_store_dwordx4 v[27:28], v[6:9] off	
s_waitcnt vmcnt(0)
	;;#ASMEND
	ds_store_2addr_b32 v29, v5, v42 offset1:2
	ds_store_b16 v9, v30 offset:1028
	ds_store_b16 v9, v40 offset:1036
.LBB456_140:
	s_or_b32 exec_lo, exec_lo, s14
	v_cmp_eq_u32_e32 vcc_lo, 0, v0
	s_and_b32 exec_lo, exec_lo, vcc_lo
	s_cbranch_execz .LBB456_142
; %bb.141:
	v_mov_b32_e32 v5, 0
	ds_store_b32 v5, v42 offset:1096
	ds_store_b16 v5, v40 offset:1100
.LBB456_142:
	s_or_b32 exec_lo, exec_lo, s17
	v_mov_b32_e32 v7, 0
	s_waitcnt lgkmcnt(0)
	s_barrier
	buffer_gl0_inv
	v_cndmask_b32_e64 v8, v32, v31, s13
	ds_load_b64 v[5:6], v7 offset:1096
	v_cndmask_b32_e64 v9, v33, v25, s13
	v_cmp_eq_u32_e64 s13, 0, v76
	s_waitcnt lgkmcnt(0)
	v_cmp_eq_u32_e32 vcc_lo, 0, v8
	s_barrier
	buffer_gl0_inv
	v_cndmask_b32_e32 v25, 0, v6, vcc_lo
	v_cmp_eq_u32_e32 vcc_lo, 0, v0
	s_delay_alu instid0(VALU_DEP_2) | instskip(NEXT) | instid1(VALU_DEP_1)
	v_add_nc_u16 v9, v25, v9
	v_cndmask_b32_e32 v9, v9, v6, vcc_lo
	s_delay_alu instid0(VALU_DEP_1) | instskip(NEXT) | instid1(VALU_DEP_1)
	v_cndmask_b32_e64 v6, 0, v9, s13
	v_add_nc_u16 v25, v6, v73
	s_delay_alu instid0(VALU_DEP_1) | instskip(SKIP_2) | instid1(VALU_DEP_2)
	v_and_b32_e32 v50, 0xffff, v25
	v_cndmask_b32_e64 v6, 0, v25, s12
	v_and_b32_e32 v56, 0xffff, v9
	v_add_nc_u16 v27, v6, v72
	s_delay_alu instid0(VALU_DEP_1) | instskip(SKIP_1) | instid1(VALU_DEP_2)
	v_cndmask_b32_e64 v6, 0, v27, s11
	v_and_b32_e32 v52, 0xffff, v27
	v_add_nc_u16 v28, v6, v74
	s_delay_alu instid0(VALU_DEP_1) | instskip(SKIP_1) | instid1(VALU_DEP_2)
	;; [unrolled: 4-line block ×3, first 2 shown]
	v_cndmask_b32_e64 v6, 0, v29, s9
	v_and_b32_e32 v36, 0xffff, v29
	v_add_nc_u16 v30, v6, v71
	s_delay_alu instid0(VALU_DEP_1) | instskip(NEXT) | instid1(VALU_DEP_1)
	v_cndmask_b32_e64 v6, 0, v30, s8
	v_add_nc_u16 v34, v6, v68
	v_cndmask_b32_e64 v6, v8, 0, vcc_lo
	s_delay_alu instid0(VALU_DEP_2) | instskip(NEXT) | instid1(VALU_DEP_2)
	v_cndmask_b32_e64 v8, 0, v34, s7
	v_add_nc_u32_e32 v55, v5, v6
	v_and_b32_e32 v34, 0xffff, v34
	s_delay_alu instid0(VALU_DEP_3) | instskip(NEXT) | instid1(VALU_DEP_3)
	v_add_nc_u16 v38, v8, v69
	v_add_nc_u32_e32 v49, v55, v76
	s_delay_alu instid0(VALU_DEP_2) | instskip(NEXT) | instid1(VALU_DEP_2)
	v_cndmask_b32_e64 v5, 0, v38, s6
	v_add_nc_u32_e32 v51, v49, v26
	v_and_b32_e32 v54, 0xffff, v38
	s_delay_alu instid0(VALU_DEP_3) | instskip(NEXT) | instid1(VALU_DEP_3)
	v_add_nc_u16 v40, v5, v66
	v_add_nc_u32_e32 v47, v51, v23
	s_delay_alu instid0(VALU_DEP_2) | instskip(NEXT) | instid1(VALU_DEP_2)
	v_cndmask_b32_e64 v5, 0, v40, s5
	v_add_nc_u32_e32 v35, v47, v24
	v_and_b32_e32 v58, 0xffff, v40
	s_delay_alu instid0(VALU_DEP_3) | instskip(NEXT) | instid1(VALU_DEP_3)
	v_add_nc_u16 v42, v5, v67
	v_add_nc_u32_e32 v31, v35, v21
	s_delay_alu instid0(VALU_DEP_2) | instskip(NEXT) | instid1(VALU_DEP_2)
	v_cndmask_b32_e64 v5, 0, v42, s4
	v_add_nc_u32_e32 v33, v31, v22
	v_and_b32_e32 v46, 0xffff, v42
	s_delay_alu instid0(VALU_DEP_3) | instskip(NEXT) | instid1(VALU_DEP_3)
	v_add_nc_u16 v44, v5, v65
	v_add_nc_u32_e32 v53, v33, v19
	ds_load_b128 v[5:8], v7 offset:1024
	v_cndmask_b32_e64 v32, 0, v44, s3
	v_add_nc_u32_e32 v57, v53, v20
	v_and_b32_e32 v44, 0xffff, v44
	s_delay_alu instid0(VALU_DEP_3) | instskip(NEXT) | instid1(VALU_DEP_3)
	v_add_nc_u16 v81, v32, v64
	v_add_nc_u32_e32 v45, v57, v17
	s_delay_alu instid0(VALU_DEP_2) | instskip(NEXT) | instid1(VALU_DEP_2)
	v_cndmask_b32_e64 v32, 0, v81, s2
	v_add_nc_u32_e32 v43, v45, v18
	v_and_b32_e32 v38, 0xffff, v81
	s_delay_alu instid0(VALU_DEP_3) | instskip(NEXT) | instid1(VALU_DEP_3)
	v_add_nc_u16 v82, v32, v63
	v_add_nc_u32_e32 v37, v43, v15
	s_waitcnt lgkmcnt(0)
	v_cmp_eq_u32_e32 vcc_lo, 0, v5
	v_and_b32_e32 v32, 0xffff, v30
	v_cndmask_b32_e64 v9, 0, v82, s1
	v_add_nc_u32_e32 v41, v37, v16
	v_cndmask_b32_e32 v8, 0, v8, vcc_lo
	v_and_b32_e32 v42, 0xffff, v82
	s_delay_alu instid0(VALU_DEP_4) | instskip(NEXT) | instid1(VALU_DEP_4)
	v_add_nc_u16 v9, v9, v60
	v_add_nc_u32_e32 v39, v41, v13
	s_delay_alu instid0(VALU_DEP_2) | instskip(NEXT) | instid1(VALU_DEP_2)
	v_cndmask_b32_e64 v25, 0, v9, s0
	v_add_nc_u32_e32 v29, v39, v14
	v_and_b32_e32 v40, 0xffff, v9
	s_delay_alu instid0(VALU_DEP_3) | instskip(NEXT) | instid1(VALU_DEP_1)
	v_add_nc_u16 v25, v25, v59
	v_and_b32_e32 v30, 0xffff, v25
	v_add_nc_u32_e32 v25, v8, v6
	s_branch .LBB456_155
.LBB456_143:
                                        ; implicit-def: $vgpr5
                                        ; implicit-def: $vgpr25
                                        ; implicit-def: $vgpr55_vgpr56
                                        ; implicit-def: $vgpr49_vgpr50
                                        ; implicit-def: $vgpr51_vgpr52
                                        ; implicit-def: $vgpr47_vgpr48
                                        ; implicit-def: $vgpr35_vgpr36
                                        ; implicit-def: $vgpr31_vgpr32
                                        ; implicit-def: $vgpr33_vgpr34
                                        ; implicit-def: $vgpr53_vgpr54
                                        ; implicit-def: $vgpr57_vgpr58
                                        ; implicit-def: $vgpr45_vgpr46
                                        ; implicit-def: $vgpr43_vgpr44
                                        ; implicit-def: $vgpr37_vgpr38
                                        ; implicit-def: $vgpr41_vgpr42
                                        ; implicit-def: $vgpr39_vgpr40
                                        ; implicit-def: $vgpr29_vgpr30
	s_cbranch_execz .LBB456_155
; %bb.144:
	s_and_b32 s0, s16, exec_lo
	v_mov_b32_e32 v6, v73
	s_cselect_b32 s1, 0, s35
	s_cselect_b32 s0, 0, s34
	s_delay_alu instid0(SALU_CYCLE_1)
	s_cmp_eq_u64 s[0:1], 0
	s_cbranch_scc1 .LBB456_146
; %bb.145:
	v_mov_b32_e32 v5, 0
	global_load_u16 v6, v5, s[0:1]
.LBB456_146:
	v_cmp_eq_u32_e64 s11, 0, v26
	v_cmp_eq_u32_e64 s10, 0, v23
	;; [unrolled: 1-line block ×5, first 2 shown]
	v_cndmask_b32_e64 v5, 0, v73, s11
	v_cmp_eq_u32_e64 s7, 0, v19
	v_cmp_eq_u32_e64 s5, 0, v20
	;; [unrolled: 1-line block ×4, first 2 shown]
	v_add_nc_u16 v5, v5, v72
	v_cmp_eq_u32_e64 s2, 0, v15
	v_cmp_eq_u32_e64 s1, 0, v16
	;; [unrolled: 1-line block ×3, first 2 shown]
	v_cmp_eq_u32_e32 vcc_lo, 0, v14
	v_cndmask_b32_e64 v5, 0, v5, s10
	s_waitcnt lgkmcnt(0)
	v_add3_u32 v7, v80, v22, v19
	v_cmp_eq_u32_e64 s12, 0, v61
	v_and_b32_e32 v25, 15, v77
	v_add_nc_u16 v5, v5, v74
	s_delay_alu instid0(VALU_DEP_4) | instskip(NEXT) | instid1(VALU_DEP_2)
	v_add3_u32 v7, v7, v20, v17
	v_cndmask_b32_e64 v5, 0, v5, s9
	s_delay_alu instid0(VALU_DEP_2) | instskip(NEXT) | instid1(VALU_DEP_2)
	v_add3_u32 v7, v7, v18, v15
	v_add_nc_u16 v5, v5, v70
	s_delay_alu instid0(VALU_DEP_2) | instskip(NEXT) | instid1(VALU_DEP_2)
	v_add3_u32 v7, v7, v16, v13
	v_cndmask_b32_e64 v5, 0, v5, s8
	s_delay_alu instid0(VALU_DEP_2) | instskip(NEXT) | instid1(VALU_DEP_2)
	v_add3_u32 v7, v7, v14, v61
	v_add_nc_u16 v5, v5, v71
	s_delay_alu instid0(VALU_DEP_2) | instskip(NEXT) | instid1(VALU_DEP_2)
	v_mov_b32_dpp v27, v7 row_shr:1 row_mask:0xf bank_mask:0xf
	v_cndmask_b32_e64 v5, 0, v5, s6
	s_delay_alu instid0(VALU_DEP_1) | instskip(NEXT) | instid1(VALU_DEP_1)
	v_add_nc_u16 v5, v5, v68
	v_cndmask_b32_e64 v5, 0, v5, s7
	s_delay_alu instid0(VALU_DEP_1) | instskip(NEXT) | instid1(VALU_DEP_1)
	v_add_nc_u16 v5, v5, v69
	v_cndmask_b32_e64 v5, 0, v5, s5
	s_delay_alu instid0(VALU_DEP_1) | instskip(NEXT) | instid1(VALU_DEP_1)
	v_add_nc_u16 v5, v5, v66
	v_cndmask_b32_e64 v5, 0, v5, s4
	s_delay_alu instid0(VALU_DEP_1) | instskip(NEXT) | instid1(VALU_DEP_1)
	v_add_nc_u16 v5, v5, v67
	v_cndmask_b32_e64 v5, 0, v5, s3
	s_delay_alu instid0(VALU_DEP_1) | instskip(NEXT) | instid1(VALU_DEP_1)
	v_add_nc_u16 v5, v5, v65
	v_cndmask_b32_e64 v5, 0, v5, s2
	s_delay_alu instid0(VALU_DEP_1) | instskip(NEXT) | instid1(VALU_DEP_1)
	v_add_nc_u16 v5, v5, v64
	v_cndmask_b32_e64 v5, 0, v5, s1
	s_delay_alu instid0(VALU_DEP_1) | instskip(NEXT) | instid1(VALU_DEP_1)
	v_add_nc_u16 v5, v5, v63
	v_cndmask_b32_e64 v5, 0, v5, s0
	s_delay_alu instid0(VALU_DEP_1) | instskip(NEXT) | instid1(VALU_DEP_1)
	v_add_nc_u16 v5, v5, v60
	v_cndmask_b32_e32 v5, 0, v5, vcc_lo
	s_delay_alu instid0(VALU_DEP_1) | instskip(NEXT) | instid1(VALU_DEP_1)
	v_add_nc_u16 v5, v5, v59
	v_cndmask_b32_e64 v5, 0, v5, s12
	v_cmp_eq_u32_e64 s12, 0, v7
	s_delay_alu instid0(VALU_DEP_2) | instskip(NEXT) | instid1(VALU_DEP_1)
	v_add_nc_u16 v5, v5, v75
	v_and_b32_e32 v8, 0xffff, v5
	s_delay_alu instid0(VALU_DEP_1) | instskip(NEXT) | instid1(VALU_DEP_1)
	v_mov_b32_dpp v9, v8 row_shr:1 row_mask:0xf bank_mask:0xf
	v_cndmask_b32_e64 v9, 0, v9, s12
	v_cmp_eq_u32_e64 s12, 0, v25
	s_delay_alu instid0(VALU_DEP_2) | instskip(NEXT) | instid1(VALU_DEP_2)
	v_add_nc_u16 v9, v9, v5
	v_cndmask_b32_e64 v27, v27, 0, s12
	s_delay_alu instid0(VALU_DEP_2) | instskip(NEXT) | instid1(VALU_DEP_2)
	v_and_b32_e32 v28, 0xffff, v9
	v_add_nc_u32_e32 v7, v27, v7
	v_cndmask_b32_e64 v5, v9, v5, s12
	s_delay_alu instid0(VALU_DEP_3) | instskip(NEXT) | instid1(VALU_DEP_3)
	v_cndmask_b32_e64 v8, v28, v8, s12
	v_cmp_eq_u32_e64 s12, 0, v7
	s_delay_alu instid0(VALU_DEP_2) | instskip(NEXT) | instid1(VALU_DEP_1)
	v_mov_b32_dpp v27, v8 row_shr:2 row_mask:0xf bank_mask:0xf
	v_cndmask_b32_e64 v9, 0, v27, s12
	v_mov_b32_dpp v27, v7 row_shr:2 row_mask:0xf bank_mask:0xf
	v_cmp_lt_u32_e64 s12, 1, v25
	s_delay_alu instid0(VALU_DEP_3) | instskip(NEXT) | instid1(VALU_DEP_1)
	v_add_nc_u16 v9, v9, v5
	v_and_b32_e32 v28, 0xffff, v9
	s_delay_alu instid0(VALU_DEP_3) | instskip(SKIP_1) | instid1(VALU_DEP_3)
	v_cndmask_b32_e64 v5, v5, v9, s12
	v_cndmask_b32_e64 v9, 0, v27, s12
	;; [unrolled: 1-line block ×3, first 2 shown]
	s_delay_alu instid0(VALU_DEP_2) | instskip(NEXT) | instid1(VALU_DEP_2)
	v_add_nc_u32_e32 v7, v7, v9
	v_mov_b32_dpp v9, v8 row_shr:4 row_mask:0xf bank_mask:0xf
	s_delay_alu instid0(VALU_DEP_2) | instskip(SKIP_1) | instid1(VALU_DEP_2)
	v_cmp_eq_u32_e64 s12, 0, v7
	v_mov_b32_dpp v27, v7 row_shr:4 row_mask:0xf bank_mask:0xf
	v_cndmask_b32_e64 v9, 0, v9, s12
	v_cmp_lt_u32_e64 s12, 3, v25
	s_delay_alu instid0(VALU_DEP_2) | instskip(NEXT) | instid1(VALU_DEP_1)
	v_add_nc_u16 v9, v9, v5
	v_and_b32_e32 v28, 0xffff, v9
	s_delay_alu instid0(VALU_DEP_3) | instskip(SKIP_1) | instid1(VALU_DEP_3)
	v_cndmask_b32_e64 v5, v5, v9, s12
	v_cndmask_b32_e64 v9, 0, v27, s12
	;; [unrolled: 1-line block ×3, first 2 shown]
	s_delay_alu instid0(VALU_DEP_2) | instskip(NEXT) | instid1(VALU_DEP_2)
	v_add_nc_u32_e32 v7, v9, v7
	v_mov_b32_dpp v9, v8 row_shr:8 row_mask:0xf bank_mask:0xf
	s_delay_alu instid0(VALU_DEP_2) | instskip(SKIP_1) | instid1(VALU_DEP_2)
	v_cmp_eq_u32_e64 s12, 0, v7
	v_mov_b32_dpp v27, v7 row_shr:8 row_mask:0xf bank_mask:0xf
	v_cndmask_b32_e64 v9, 0, v9, s12
	v_cmp_lt_u32_e64 s12, 7, v25
	s_delay_alu instid0(VALU_DEP_2) | instskip(NEXT) | instid1(VALU_DEP_1)
	v_add_nc_u16 v9, v9, v5
	v_cndmask_b32_e64 v25, v5, v9, s12
	v_cndmask_b32_e64 v5, 0, v27, s12
	v_and_b32_e32 v9, 0xffff, v9
	v_bfe_i32 v27, v77, 4, 1
	s_delay_alu instid0(VALU_DEP_3) | instskip(NEXT) | instid1(VALU_DEP_3)
	v_add_nc_u32_e32 v5, v5, v7
	v_cndmask_b32_e64 v7, v8, v9, s12
	v_and_b32_e32 v9, 16, v77
	ds_swizzle_b32 v8, v5 offset:swizzle(BROADCAST,32,15)
	ds_swizzle_b32 v7, v7 offset:swizzle(BROADCAST,32,15)
	v_cmp_ne_u32_e64 s12, 0, v9
	v_cmp_eq_u32_e64 s13, 0, v5
	s_delay_alu instid0(VALU_DEP_1)
	s_and_b32 s12, s12, s13
	s_mov_b32 s13, exec_lo
	s_waitcnt lgkmcnt(1)
	v_and_b32_e32 v8, v27, v8
	s_waitcnt lgkmcnt(0)
	v_cndmask_b32_e64 v7, 0, v7, s12
	s_delay_alu instid0(VALU_DEP_2) | instskip(NEXT) | instid1(VALU_DEP_2)
	v_add_nc_u32_e32 v5, v8, v5
	v_add_nc_u16 v8, v7, v25
	v_cmpx_eq_u32_e64 v79, v0
	s_cbranch_execz .LBB456_148
; %bb.147:
	v_lshlrev_b32_e32 v7, 3, v78
	ds_store_b32 v7, v5 offset:1040
	ds_store_b16 v7, v8 offset:1044
.LBB456_148:
	s_or_b32 exec_lo, exec_lo, s13
	s_delay_alu instid0(SALU_CYCLE_1)
	s_mov_b32 s14, exec_lo
	s_waitcnt vmcnt(0) lgkmcnt(0)
	s_barrier
	buffer_gl0_inv
	v_cmpx_gt_u32_e32 8, v0
	s_cbranch_execz .LBB456_150
; %bb.149:
	v_lshlrev_b32_e32 v7, 3, v0
	v_and_b32_e32 v30, 7, v77
	ds_load_b64 v[27:28], v7 offset:1040
	v_cmp_lt_u32_e64 s13, 3, v30
	s_waitcnt lgkmcnt(0)
	v_mov_b32_dpp v9, v28 row_shr:1 row_mask:0xf bank_mask:0xf
	v_cmp_eq_u32_e64 s12, 0, v27
	v_and_b32_e32 v25, 0xffff0000, v28
	v_mov_b32_dpp v31, v27 row_shr:1 row_mask:0xf bank_mask:0xf
	s_delay_alu instid0(VALU_DEP_3) | instskip(SKIP_1) | instid1(VALU_DEP_2)
	v_cndmask_b32_e64 v9, 0, v9, s12
	v_cmp_eq_u32_e64 s12, 0, v30
	v_add_nc_u16 v9, v9, v28
	s_delay_alu instid0(VALU_DEP_2) | instskip(NEXT) | instid1(VALU_DEP_2)
	v_cndmask_b32_e64 v31, v31, 0, s12
	v_and_b32_e32 v29, 0xffff, v9
	s_delay_alu instid0(VALU_DEP_2) | instskip(SKIP_1) | instid1(VALU_DEP_3)
	v_add_nc_u32_e32 v27, v31, v27
	v_cndmask_b32_e64 v9, v9, v28, s12
	v_or_b32_e32 v29, v25, v29
	s_delay_alu instid0(VALU_DEP_1) | instskip(NEXT) | instid1(VALU_DEP_4)
	v_cndmask_b32_e64 v29, v29, v28, s12
	v_cmp_eq_u32_e64 s12, 0, v27
	s_delay_alu instid0(VALU_DEP_2) | instskip(NEXT) | instid1(VALU_DEP_1)
	v_mov_b32_dpp v31, v29 row_shr:2 row_mask:0xf bank_mask:0xf
	v_cndmask_b32_e64 v28, 0, v31, s12
	v_mov_b32_dpp v31, v27 row_shr:2 row_mask:0xf bank_mask:0xf
	v_cmp_lt_u32_e64 s12, 1, v30
	s_delay_alu instid0(VALU_DEP_3) | instskip(NEXT) | instid1(VALU_DEP_1)
	v_add_nc_u16 v28, v28, v9
	v_and_b32_e32 v32, 0xffff, v28
	s_delay_alu instid0(VALU_DEP_3) | instskip(SKIP_1) | instid1(VALU_DEP_3)
	v_cndmask_b32_e64 v9, v9, v28, s12
	v_cndmask_b32_e64 v28, 0, v31, s12
	v_or_b32_e32 v25, v25, v32
	s_delay_alu instid0(VALU_DEP_2) | instskip(NEXT) | instid1(VALU_DEP_2)
	v_add_nc_u32_e32 v27, v28, v27
	v_cndmask_b32_e64 v25, v29, v25, s12
	s_delay_alu instid0(VALU_DEP_2) | instskip(SKIP_1) | instid1(VALU_DEP_3)
	v_cmp_eq_u32_e64 s12, 0, v27
	v_mov_b32_dpp v28, v27 row_shr:4 row_mask:0xf bank_mask:0xf
	v_mov_b32_dpp v25, v25 row_shr:4 row_mask:0xf bank_mask:0xf
	s_delay_alu instid0(VALU_DEP_3) | instskip(NEXT) | instid1(VALU_DEP_2)
	s_and_b32 s12, s13, s12
	v_cndmask_b32_e64 v28, 0, v28, s13
	s_delay_alu instid0(VALU_DEP_2) | instskip(NEXT) | instid1(VALU_DEP_2)
	v_cndmask_b32_e64 v25, 0, v25, s12
	v_add_nc_u32_e32 v27, v28, v27
	s_delay_alu instid0(VALU_DEP_2)
	v_add_nc_u16 v9, v9, v25
	ds_store_b32 v7, v27 offset:1040
	ds_store_b16 v7, v9 offset:1044
.LBB456_150:
	s_or_b32 exec_lo, exec_lo, s14
	v_mov_b32_e32 v7, 0
	v_mov_b32_e32 v9, 0
	;; [unrolled: 1-line block ×3, first 2 shown]
	s_mov_b32 s13, exec_lo
	s_waitcnt lgkmcnt(0)
	s_barrier
	buffer_gl0_inv
	v_cmpx_lt_u32_e32 31, v0
	s_cbranch_execz .LBB456_152
; %bb.151:
	v_lshlrev_b32_e32 v25, 3, v78
	ds_load_b32 v9, v25 offset:1032
	ds_load_u16 v25, v25 offset:1036
	s_waitcnt lgkmcnt(1)
	v_cmp_eq_u32_e64 s12, 0, v9
	s_delay_alu instid0(VALU_DEP_1) | instskip(SKIP_1) | instid1(VALU_DEP_1)
	v_cndmask_b32_e64 v27, 0, v6, s12
	s_waitcnt lgkmcnt(0)
	v_add_nc_u16 v25, v27, v25
.LBB456_152:
	s_or_b32 exec_lo, exec_lo, s13
	v_add_nc_u32_e32 v27, -1, v77
	v_cmp_eq_u32_e64 s12, 0, v5
	v_add_nc_u32_e32 v5, v9, v5
	v_cmp_eq_u32_e64 s13, 0, v76
	s_delay_alu instid0(VALU_DEP_3) | instskip(SKIP_1) | instid1(VALU_DEP_2)
	v_cndmask_b32_e64 v28, 0, v25, s12
	v_cmp_gt_i32_e64 s12, 0, v27
	v_add_nc_u16 v8, v28, v8
	s_delay_alu instid0(VALU_DEP_2) | instskip(SKIP_1) | instid1(VALU_DEP_3)
	v_cndmask_b32_e64 v27, v27, v77, s12
	v_cmp_eq_u32_e64 s12, 0, v77
	v_and_b32_e32 v8, 0xffff, v8
	s_delay_alu instid0(VALU_DEP_3)
	v_lshlrev_b32_e32 v27, 2, v27
	ds_bpermute_b32 v5, v27, v5
	ds_bpermute_b32 v8, v27, v8
	s_waitcnt lgkmcnt(1)
	v_cndmask_b32_e64 v5, v5, v9, s12
	s_waitcnt lgkmcnt(0)
	v_cndmask_b32_e64 v8, v8, v25, s12
	v_cmp_eq_u32_e64 s12, 0, v0
	s_delay_alu instid0(VALU_DEP_1) | instskip(SKIP_1) | instid1(VALU_DEP_2)
	v_cndmask_b32_e64 v8, v8, v6, s12
	v_cndmask_b32_e64 v55, v5, 0, s12
	;; [unrolled: 1-line block ×3, first 2 shown]
	s_delay_alu instid0(VALU_DEP_2) | instskip(SKIP_1) | instid1(VALU_DEP_3)
	v_add_nc_u32_e32 v49, v55, v76
	v_and_b32_e32 v56, 0xffff, v8
	v_add_nc_u16 v9, v9, v73
	s_delay_alu instid0(VALU_DEP_3) | instskip(NEXT) | instid1(VALU_DEP_2)
	v_add_nc_u32_e32 v51, v49, v26
	v_cndmask_b32_e64 v25, 0, v9, s11
	s_delay_alu instid0(VALU_DEP_2) | instskip(NEXT) | instid1(VALU_DEP_2)
	v_add_nc_u32_e32 v47, v51, v23
	v_add_nc_u16 v25, v25, v72
	s_delay_alu instid0(VALU_DEP_2) | instskip(NEXT) | instid1(VALU_DEP_2)
	v_add_nc_u32_e32 v35, v47, v24
	v_cndmask_b32_e64 v27, 0, v25, s10
	v_and_b32_e32 v52, 0xffff, v25
	s_delay_alu instid0(VALU_DEP_2) | instskip(NEXT) | instid1(VALU_DEP_1)
	v_add_nc_u16 v27, v27, v74
	v_cndmask_b32_e64 v28, 0, v27, s9
	v_and_b32_e32 v48, 0xffff, v27
	s_delay_alu instid0(VALU_DEP_2) | instskip(NEXT) | instid1(VALU_DEP_1)
	v_add_nc_u16 v28, v28, v70
	;; [unrolled: 4-line block ×3, first 2 shown]
	v_cndmask_b32_e64 v30, 0, v29, s6
	s_delay_alu instid0(VALU_DEP_1) | instskip(NEXT) | instid1(VALU_DEP_1)
	v_add_nc_u16 v30, v30, v68
	v_cndmask_b32_e64 v31, 0, v30, s7
	v_and_b32_e32 v34, 0xffff, v30
	s_delay_alu instid0(VALU_DEP_2) | instskip(SKIP_1) | instid1(VALU_DEP_2)
	v_add_nc_u16 v38, v31, v69
	v_add_nc_u32_e32 v31, v35, v21
	v_cndmask_b32_e64 v5, 0, v38, s5
	s_delay_alu instid0(VALU_DEP_2) | instskip(SKIP_1) | instid1(VALU_DEP_3)
	v_add_nc_u32_e32 v33, v31, v22
	v_and_b32_e32 v54, 0xffff, v38
	v_add_nc_u16 v40, v5, v66
	s_delay_alu instid0(VALU_DEP_3) | instskip(NEXT) | instid1(VALU_DEP_2)
	v_add_nc_u32_e32 v53, v33, v19
	v_cndmask_b32_e64 v5, 0, v40, s4
	s_delay_alu instid0(VALU_DEP_2) | instskip(SKIP_1) | instid1(VALU_DEP_3)
	v_add_nc_u32_e32 v57, v53, v20
	v_and_b32_e32 v58, 0xffff, v40
	v_add_nc_u16 v42, v5, v67
	s_delay_alu instid0(VALU_DEP_3) | instskip(NEXT) | instid1(VALU_DEP_2)
	v_add_nc_u32_e32 v45, v57, v17
	v_cndmask_b32_e64 v5, 0, v42, s3
	s_delay_alu instid0(VALU_DEP_2) | instskip(SKIP_1) | instid1(VALU_DEP_3)
	v_add_nc_u32_e32 v43, v45, v18
	v_and_b32_e32 v46, 0xffff, v42
	v_add_nc_u16 v44, v5, v65
	ds_load_b32 v5, v7 offset:1096
	ds_load_u16 v7, v7 offset:1100
	v_add_nc_u32_e32 v37, v43, v15
	v_cndmask_b32_e64 v32, 0, v44, s2
	v_and_b32_e32 v44, 0xffff, v44
	s_delay_alu instid0(VALU_DEP_3) | instskip(NEXT) | instid1(VALU_DEP_3)
	v_add_nc_u32_e32 v41, v37, v16
	v_add_nc_u16 v64, v32, v64
	s_delay_alu instid0(VALU_DEP_2) | instskip(NEXT) | instid1(VALU_DEP_2)
	v_add_nc_u32_e32 v39, v41, v13
	v_cndmask_b32_e64 v32, 0, v64, s1
	v_and_b32_e32 v38, 0xffff, v64
	s_delay_alu instid0(VALU_DEP_2)
	v_add_nc_u16 v63, v32, v63
	s_waitcnt lgkmcnt(1)
	v_cmp_eq_u32_e64 s1, 0, v5
	v_and_b32_e32 v32, 0xffff, v29
	v_add_nc_u32_e32 v29, v39, v14
	v_cndmask_b32_e64 v8, 0, v63, s0
	s_delay_alu instid0(VALU_DEP_4) | instskip(SKIP_1) | instid1(VALU_DEP_3)
	v_cndmask_b32_e64 v6, 0, v6, s1
	v_and_b32_e32 v42, 0xffff, v63
	v_add_nc_u16 v8, v8, v60
	v_and_b32_e32 v50, 0xffff, v9
	s_waitcnt lgkmcnt(0)
	v_add_nc_u16 v25, v6, v7
	s_delay_alu instid0(VALU_DEP_3) | instskip(SKIP_1) | instid1(VALU_DEP_2)
	v_cndmask_b32_e32 v9, 0, v8, vcc_lo
	v_and_b32_e32 v40, 0xffff, v8
	v_add_nc_u16 v9, v9, v59
	s_delay_alu instid0(VALU_DEP_1)
	v_and_b32_e32 v30, 0xffff, v9
	s_and_saveexec_b32 s0, s12
	s_cbranch_execz .LBB456_154
; %bb.153:
	v_and_b32_e32 v6, 0xff00, v25
	v_dual_mov_b32 v8, 0 :: v_dual_and_b32 v7, 0xff, v25
	s_add_u32 s2, s24, 0x200
	s_addc_u32 s3, s25, 0
	s_delay_alu instid0(VALU_DEP_1)
	v_or_b32_e32 v6, v6, v7
	v_dual_mov_b32 v7, 2 :: v_dual_mov_b32 v28, s3
	v_mov_b32_e32 v27, s2
	;;#ASMSTART
	global_store_dwordx4 v[27:28], v[5:8] off	
s_waitcnt vmcnt(0)
	;;#ASMEND
.LBB456_154:
	s_or_b32 exec_lo, exec_lo, s0
	v_mov_b32_e32 v7, 0
.LBB456_155:
	v_mov_b32_e32 v27, 0
	s_and_b32 s0, s16, exec_lo
	v_mov_b32_e32 v28, 0
	s_cselect_b32 s1, 0, s43
	s_cselect_b32 s0, 0, s42
	s_waitcnt lgkmcnt(0)
	s_cmp_eq_u64 s[0:1], 0
	s_barrier
	buffer_gl0_inv
	s_cbranch_scc1 .LBB456_157
; %bb.156:
	v_mov_b32_e32 v6, 0
	global_load_b64 v[27:28], v6, s[0:1]
.LBB456_157:
	v_cmp_eq_u32_e32 vcc_lo, 0, v76
	s_waitcnt vmcnt(0)
	v_lshlrev_b64 v[59:60], 1, v[27:28]
	v_cmp_ne_u32_e64 s14, 0, v76
	v_cmp_ne_u32_e64 s13, 0, v26
	;; [unrolled: 1-line block ×3, first 2 shown]
	v_cndmask_b32_e64 v6, 1, 2, vcc_lo
	v_cmp_eq_u32_e32 vcc_lo, 0, v26
	v_cmp_ne_u32_e64 s11, 0, v24
	v_cmp_ne_u32_e64 s10, 0, v21
	;; [unrolled: 1-line block ×4, first 2 shown]
	v_cndmask_b32_e64 v8, 1, 2, vcc_lo
	v_cmp_eq_u32_e32 vcc_lo, 0, v23
	v_cmp_ne_u32_e64 s5, 0, v20
	v_cmp_ne_u32_e64 s8, 0, v17
	;; [unrolled: 1-line block ×3, first 2 shown]
	v_and_b32_e32 v6, v8, v6
	v_cndmask_b32_e64 v9, 1, 2, vcc_lo
	v_cmp_eq_u32_e32 vcc_lo, 0, v24
	v_cmp_ne_u32_e64 s4, 0, v15
	v_cmp_ne_u32_e64 s3, 0, v16
	;; [unrolled: 1-line block ×3, first 2 shown]
	v_and_b32_e32 v6, v6, v9
	v_cndmask_b32_e64 v8, 1, 2, vcc_lo
	v_cmp_eq_u32_e32 vcc_lo, 0, v21
	v_cmp_ne_u32_e64 s1, 0, v14
	v_cmp_ne_u32_e64 s0, 0, v61
	s_mov_b32 s16, -1
	v_and_b32_e32 v6, v6, v8
	v_cndmask_b32_e64 v9, 1, 2, vcc_lo
	v_cmp_eq_u32_e32 vcc_lo, 0, v22
	s_delay_alu instid0(VALU_DEP_2) | instskip(SKIP_2) | instid1(VALU_DEP_2)
	v_and_b32_e32 v6, v6, v9
	v_cndmask_b32_e64 v8, 1, 2, vcc_lo
	v_cmp_eq_u32_e32 vcc_lo, 0, v19
	v_and_b32_e32 v6, v6, v8
	v_cndmask_b32_e64 v9, 1, 2, vcc_lo
	v_cmp_eq_u32_e32 vcc_lo, 0, v20
	v_mov_b32_e32 v8, 0
	s_delay_alu instid0(VALU_DEP_3) | instskip(SKIP_2) | instid1(VALU_DEP_2)
	v_and_b32_e32 v6, v6, v9
	v_cndmask_b32_e64 v63, 1, 2, vcc_lo
	v_cmp_eq_u32_e32 vcc_lo, 0, v17
	v_and_b32_e32 v6, v6, v63
	v_cndmask_b32_e64 v9, 1, 2, vcc_lo
	v_cmp_eq_u32_e32 vcc_lo, 0, v18
	s_delay_alu instid0(VALU_DEP_2) | instskip(SKIP_2) | instid1(VALU_DEP_2)
	v_and_b32_e32 v6, v6, v9
	v_cndmask_b32_e64 v63, 1, 2, vcc_lo
	v_cmp_eq_u32_e32 vcc_lo, 0, v15
	v_and_b32_e32 v6, v6, v63
	v_cndmask_b32_e64 v9, 1, 2, vcc_lo
	v_cmp_eq_u32_e32 vcc_lo, 0, v16
	s_delay_alu instid0(VALU_DEP_2) | instskip(SKIP_3) | instid1(VALU_DEP_3)
	v_and_b32_e32 v6, v6, v9
	v_cndmask_b32_e64 v63, 1, 2, vcc_lo
	v_cmp_eq_u32_e32 vcc_lo, 0, v13
	v_lshlrev_b64 v[8:9], 1, v[7:8]
	v_and_b32_e32 v6, v6, v63
	v_cndmask_b32_e64 v64, 1, 2, vcc_lo
	v_cmp_eq_u32_e32 vcc_lo, 0, v14
	s_delay_alu instid0(VALU_DEP_2) | instskip(SKIP_3) | instid1(VALU_DEP_3)
	v_and_b32_e32 v64, v6, v64
	v_cndmask_b32_e64 v65, 1, 2, vcc_lo
	v_add_co_u32 v63, vcc_lo, s22, v59
	v_add_co_ci_u32_e32 v66, vcc_lo, s23, v60, vcc_lo
	v_and_b32_e32 v64, v64, v65
	s_delay_alu instid0(VALU_DEP_3) | instskip(NEXT) | instid1(VALU_DEP_3)
	v_add_co_u32 v6, vcc_lo, v63, v8
	v_add_co_ci_u32_e32 v63, vcc_lo, v66, v9, vcc_lo
	v_cmp_eq_u32_e32 vcc_lo, 0, v61
	v_cndmask_b32_e64 v65, 1, 2, vcc_lo
	v_cmp_gt_u32_e32 vcc_lo, 0x100, v5
	s_delay_alu instid0(VALU_DEP_2) | instskip(NEXT) | instid1(VALU_DEP_1)
	v_and_b32_e32 v64, v64, v65
	v_cmp_gt_i16_e64 s15, 2, v64
	s_cbranch_vccz .LBB456_164
; %bb.158:
	s_delay_alu instid0(VALU_DEP_1)
	s_and_saveexec_b32 s16, s15
	s_cbranch_execz .LBB456_163
; %bb.159:
	s_mov_b32 s17, 0
	s_mov_b32 s15, exec_lo
	v_cmpx_ne_u16_e32 1, v64
	s_xor_b32 s15, exec_lo, s15
	s_cbranch_execnz .LBB456_253
; %bb.160:
	s_and_not1_saveexec_b32 s15, s15
	s_cbranch_execnz .LBB456_269
.LBB456_161:
	s_or_b32 exec_lo, exec_lo, s15
	s_delay_alu instid0(SALU_CYCLE_1)
	s_and_b32 exec_lo, exec_lo, s17
	s_cbranch_execz .LBB456_163
.LBB456_162:
	v_sub_nc_u32_e32 v65, v29, v7
	v_mov_b32_e32 v66, 0
	s_delay_alu instid0(VALU_DEP_1) | instskip(NEXT) | instid1(VALU_DEP_1)
	v_lshlrev_b64 v[65:66], 1, v[65:66]
	v_add_co_u32 v65, vcc_lo, v6, v65
	s_delay_alu instid0(VALU_DEP_2)
	v_add_co_ci_u32_e32 v66, vcc_lo, v63, v66, vcc_lo
	global_store_d16_hi_b16 v[65:66], v12, off
.LBB456_163:
	s_or_b32 exec_lo, exec_lo, s16
	s_mov_b32 s16, 0
.LBB456_164:
	s_delay_alu instid0(SALU_CYCLE_1)
	s_and_b32 vcc_lo, exec_lo, s16
	s_cbranch_vccz .LBB456_186
; %bb.165:
	s_mov_b32 s15, exec_lo
	v_cmpx_gt_i16_e32 2, v64
	s_cbranch_execz .LBB456_170
; %bb.166:
	s_mov_b32 s17, 0
	s_mov_b32 s16, exec_lo
	v_cmpx_ne_u16_e32 1, v64
	s_xor_b32 s16, exec_lo, s16
	s_cbranch_execnz .LBB456_270
; %bb.167:
	s_and_not1_saveexec_b32 s0, s16
	s_cbranch_execnz .LBB456_286
.LBB456_168:
	s_or_b32 exec_lo, exec_lo, s0
	s_delay_alu instid0(SALU_CYCLE_1)
	s_and_b32 exec_lo, exec_lo, s17
	s_cbranch_execz .LBB456_170
.LBB456_169:
	v_sub_nc_u32_e32 v1, v29, v7
	s_delay_alu instid0(VALU_DEP_1)
	v_lshlrev_b32_e32 v1, 1, v1
	ds_store_b16_d16_hi v1, v12
.LBB456_170:
	s_or_b32 exec_lo, exec_lo, s15
	s_delay_alu instid0(SALU_CYCLE_1)
	s_mov_b32 s1, exec_lo
	s_waitcnt lgkmcnt(0)
	s_waitcnt_vscnt null, 0x0
	s_barrier
	buffer_gl0_inv
	v_cmpx_lt_u32_e64 v0, v5
	s_cbranch_execz .LBB456_185
; %bb.171:
	v_xad_u32 v2, v0, -1, v5
	v_mov_b32_e32 v1, v0
	s_mov_b32 s0, -1
	s_mov_b32 s3, exec_lo
	s_delay_alu instid0(VALU_DEP_2)
	v_cmp_gt_u32_e64 s2, 0x1900, v2
	v_cmpx_lt_u32_e32 0x18ff, v2
	s_cbranch_execz .LBB456_182
; %bb.172:
	v_sub_nc_u32_e32 v1, v0, v5
	s_delay_alu instid0(VALU_DEP_1) | instskip(NEXT) | instid1(VALU_DEP_1)
	v_or_b32_e32 v1, 0xff, v1
	v_cmp_ge_u32_e32 vcc_lo, v1, v0
	v_mov_b32_e32 v1, v0
	s_and_saveexec_b32 s4, vcc_lo
	s_cbranch_execz .LBB456_181
; %bb.173:
	v_lshrrev_b32_e32 v4, 8, v2
	v_or_b32_e32 v1, 0x100, v0
	s_delay_alu instid0(VALU_DEP_2) | instskip(NEXT) | instid1(VALU_DEP_1)
	v_dual_mov_b32 v65, 0 :: v_dual_add_nc_u32 v2, -1, v4
	v_lshrrev_b32_e32 v3, 1, v2
	v_cmp_lt_u32_e32 vcc_lo, 13, v2
	s_delay_alu instid0(VALU_DEP_2)
	v_dual_mov_b32 v3, v1 :: v_dual_add_nc_u32 v12, 1, v3
	v_mov_b32_e32 v2, v0
	s_and_saveexec_b32 s0, vcc_lo
	s_cbranch_execz .LBB456_177
; %bb.174:
	v_dual_mov_b32 v3, v1 :: v_dual_lshlrev_b32 v64, 1, v0
	v_dual_mov_b32 v11, 0 :: v_dual_and_b32 v62, -8, v12
	v_mov_b32_e32 v2, v0
	s_mov_b32 s5, 0
	s_mov_b32 s6, 0
.LBB456_175:                            ; =>This Inner Loop Header: Depth=1
	s_delay_alu instid0(VALU_DEP_1) | instskip(SKIP_2) | instid1(VALU_DEP_3)
	v_dual_mov_b32 v10, v2 :: v_dual_mov_b32 v67, v11
	v_add_nc_u32_e32 v62, -8, v62
	v_dual_mov_b32 v69, v11 :: v_dual_add_nc_u32 v66, 0x200, v3
	v_lshlrev_b64 v[81:82], 1, v[10:11]
	v_dual_mov_b32 v71, v11 :: v_dual_add_nc_u32 v68, 0x400, v3
	s_delay_alu instid0(VALU_DEP_4) | instskip(NEXT) | instid1(VALU_DEP_4)
	v_cmp_eq_u32_e32 vcc_lo, 0, v62
	v_lshlrev_b64 v[66:67], 1, v[66:67]
	v_dual_mov_b32 v73, v11 :: v_dual_add_nc_u32 v70, 0x600, v3
	s_add_i32 s6, s6, 16
	v_lshlrev_b64 v[68:69], 1, v[68:69]
	s_or_b32 s5, vcc_lo, s5
	v_add_co_u32 v81, vcc_lo, v6, v81
	v_dual_mov_b32 v75, v11 :: v_dual_add_nc_u32 v72, 0x800, v3
	v_add_co_ci_u32_e32 v82, vcc_lo, v63, v82, vcc_lo
	v_lshlrev_b64 v[70:71], 1, v[70:71]
	v_add_co_u32 v66, vcc_lo, v6, v66
	v_dual_mov_b32 v65, s6 :: v_dual_add_nc_u32 v74, 0xa00, v3
	v_add_co_ci_u32_e32 v67, vcc_lo, v63, v67, vcc_lo
	v_lshlrev_b64 v[72:73], 1, v[72:73]
	;; [unrolled: 4-line block ×3, first 2 shown]
	v_add_co_u32 v70, vcc_lo, v6, v70
	v_dual_mov_b32 v80, v11 :: v_dual_add_nc_u32 v79, 0xe00, v3
	v_dual_mov_b32 v10, v3 :: v_dual_add_nc_u32 v3, 0x1000, v3
	v_add_co_ci_u32_e32 v71, vcc_lo, v63, v71, vcc_lo
	v_lshlrev_b64 v[77:78], 1, v[77:78]
	v_add_co_u32 v72, vcc_lo, v6, v72
	ds_load_u16 v1, v64
	ds_load_u16 v87, v64 offset:512
	ds_load_u16 v88, v64 offset:1024
	;; [unrolled: 1-line block ×7, first 2 shown]
	v_add_co_ci_u32_e32 v73, vcc_lo, v63, v73, vcc_lo
	v_lshlrev_b64 v[79:80], 1, v[79:80]
	v_add_co_u32 v74, vcc_lo, v6, v74
	v_lshlrev_b64 v[83:84], 1, v[10:11]
	v_add_nc_u32_e32 v10, 0x200, v2
	v_add_co_ci_u32_e32 v75, vcc_lo, v63, v75, vcc_lo
	v_add_co_u32 v77, vcc_lo, v6, v77
	v_add_co_ci_u32_e32 v78, vcc_lo, v63, v78, vcc_lo
	v_add_co_u32 v79, vcc_lo, v6, v79
	v_lshlrev_b64 v[85:86], 1, v[10:11]
	v_add_nc_u32_e32 v10, 0x400, v2
	v_add_co_ci_u32_e32 v80, vcc_lo, v63, v80, vcc_lo
	v_add_co_u32 v83, vcc_lo, v6, v83
	ds_load_u16 v94, v64 offset:4096
	ds_load_u16 v95, v64 offset:4608
	;; [unrolled: 1-line block ×8, first 2 shown]
	v_add_co_ci_u32_e32 v84, vcc_lo, v63, v84, vcc_lo
	s_waitcnt lgkmcnt(15)
	global_store_b16 v[81:82], v1, off
	v_lshlrev_b64 v[81:82], 1, v[10:11]
	v_add_nc_u32_e32 v10, 0x600, v2
	v_add_co_u32 v85, vcc_lo, v6, v85
	v_add_co_ci_u32_e32 v86, vcc_lo, v63, v86, vcc_lo
	s_waitcnt lgkmcnt(14)
	global_store_b16 v[83:84], v87, off
	v_lshlrev_b64 v[83:84], 1, v[10:11]
	v_add_nc_u32_e32 v10, 0x800, v2
	s_waitcnt lgkmcnt(13)
	global_store_b16 v[85:86], v88, off
	s_waitcnt lgkmcnt(12)
	global_store_b16 v[66:67], v89, off
	v_add_co_u32 v66, vcc_lo, v6, v81
	v_add_co_ci_u32_e32 v67, vcc_lo, v63, v82, vcc_lo
	v_lshlrev_b64 v[81:82], 1, v[10:11]
	v_add_nc_u32_e32 v10, 0xa00, v2
	v_add_co_u32 v83, vcc_lo, v6, v83
	v_add_co_ci_u32_e32 v84, vcc_lo, v63, v84, vcc_lo
	s_waitcnt lgkmcnt(11)
	global_store_b16 v[66:67], v90, off
	s_waitcnt lgkmcnt(10)
	global_store_b16 v[68:69], v91, off
	v_lshlrev_b64 v[66:67], 1, v[10:11]
	v_add_nc_u32_e32 v10, 0xc00, v2
	v_add_co_u32 v68, vcc_lo, v6, v81
	s_waitcnt lgkmcnt(9)
	global_store_b16 v[83:84], v92, off
	s_waitcnt lgkmcnt(8)
	global_store_b16 v[70:71], v93, off
	v_add_co_ci_u32_e32 v69, vcc_lo, v63, v82, vcc_lo
	v_lshlrev_b64 v[70:71], 1, v[10:11]
	v_add_nc_u32_e32 v10, 0xe00, v2
	v_add_co_u32 v66, vcc_lo, v6, v66
	v_add_co_ci_u32_e32 v67, vcc_lo, v63, v67, vcc_lo
	s_waitcnt lgkmcnt(7)
	global_store_b16 v[68:69], v94, off
	s_waitcnt lgkmcnt(6)
	global_store_b16 v[72:73], v95, off
	v_lshlrev_b64 v[68:69], 1, v[10:11]
	v_add_nc_u32_e32 v64, 0x2000, v64
	s_waitcnt lgkmcnt(5)
	global_store_b16 v[66:67], v96, off
	v_add_co_u32 v66, vcc_lo, v6, v70
	v_add_nc_u32_e32 v2, 0x1000, v2
	v_add_co_ci_u32_e32 v67, vcc_lo, v63, v71, vcc_lo
	v_add_co_u32 v68, vcc_lo, v6, v68
	v_add_co_ci_u32_e32 v69, vcc_lo, v63, v69, vcc_lo
	s_waitcnt lgkmcnt(4)
	global_store_b16 v[74:75], v97, off
	s_waitcnt lgkmcnt(3)
	global_store_b16 v[66:67], v98, off
	;; [unrolled: 2-line block ×5, first 2 shown]
	s_and_not1_b32 exec_lo, exec_lo, s5
	s_cbranch_execnz .LBB456_175
; %bb.176:
	s_or_b32 exec_lo, exec_lo, s5
.LBB456_177:
	s_delay_alu instid0(SALU_CYCLE_1) | instskip(SKIP_3) | instid1(VALU_DEP_1)
	s_or_b32 exec_lo, exec_lo, s0
	v_and_b32_e32 v1, 7, v12
	s_mov_b32 s6, 0
	s_mov_b32 s5, exec_lo
	v_cmpx_ne_u32_e32 0, v1
	s_cbranch_execz .LBB456_180
; %bb.178:
	v_dual_mov_b32 v11, 0 :: v_dual_lshlrev_b32 v10, 1, v0
	s_delay_alu instid0(VALU_DEP_1)
	v_lshl_or_b32 v12, v65, 9, v10
	s_set_inst_prefetch_distance 0x1
	.p2align	6
.LBB456_179:                            ; =>This Inner Loop Header: Depth=1
	v_dual_mov_b32 v10, v2 :: v_dual_add_nc_u32 v1, -1, v1
	ds_load_u16 v62, v12
	ds_load_u16 v68, v12 offset:512
	v_add_nc_u32_e32 v2, 0x200, v2
	v_add_nc_u32_e32 v12, 0x400, v12
	v_lshlrev_b64 v[64:65], 1, v[10:11]
	v_dual_mov_b32 v10, v3 :: v_dual_add_nc_u32 v3, 0x200, v3
	v_cmp_eq_u32_e32 vcc_lo, 0, v1
	s_delay_alu instid0(VALU_DEP_2) | instskip(NEXT) | instid1(VALU_DEP_4)
	v_lshlrev_b64 v[66:67], 1, v[10:11]
	v_add_co_u32 v64, s0, v6, v64
	s_delay_alu instid0(VALU_DEP_1) | instskip(SKIP_1) | instid1(VALU_DEP_3)
	v_add_co_ci_u32_e64 v65, s0, v63, v65, s0
	s_or_b32 s6, vcc_lo, s6
	v_add_co_u32 v66, s0, v6, v66
	s_delay_alu instid0(VALU_DEP_1)
	v_add_co_ci_u32_e64 v67, s0, v63, v67, s0
	s_waitcnt lgkmcnt(1)
	global_store_b16 v[64:65], v62, off
	s_waitcnt lgkmcnt(0)
	global_store_b16 v[66:67], v68, off
	s_and_not1_b32 exec_lo, exec_lo, s6
	s_cbranch_execnz .LBB456_179
.LBB456_180:
	s_set_inst_prefetch_distance 0x2
	s_or_b32 exec_lo, exec_lo, s5
	v_add_nc_u32_e32 v1, 1, v4
	s_delay_alu instid0(VALU_DEP_1) | instskip(NEXT) | instid1(VALU_DEP_1)
	v_and_b32_e32 v2, 0x1fffffe, v1
	v_cmp_ne_u32_e32 vcc_lo, v1, v2
	v_lshl_or_b32 v1, v2, 8, v0
	s_or_not1_b32 s0, vcc_lo, exec_lo
.LBB456_181:
	s_or_b32 exec_lo, exec_lo, s4
	s_delay_alu instid0(SALU_CYCLE_1) | instskip(SKIP_1) | instid1(SALU_CYCLE_1)
	s_and_not1_b32 s2, s2, exec_lo
	s_and_b32 s0, s0, exec_lo
	s_or_b32 s2, s2, s0
.LBB456_182:
	s_or_b32 exec_lo, exec_lo, s3
	s_delay_alu instid0(VALU_DEP_2) | instid1(SALU_CYCLE_1)
	s_and_b32 exec_lo, exec_lo, s2
	s_cbranch_execz .LBB456_185
; %bb.183:
	v_dual_mov_b32 v2, 0 :: v_dual_lshlrev_b32 v3, 1, v1
	s_mov_b32 s2, 0
	.p2align	6
.LBB456_184:                            ; =>This Inner Loop Header: Depth=1
	ds_load_u16 v4, v3
	v_lshlrev_b64 v[10:11], 1, v[1:2]
	v_add_nc_u32_e32 v1, 0x100, v1
	v_add_nc_u32_e32 v3, 0x200, v3
	s_delay_alu instid0(VALU_DEP_2) | instskip(NEXT) | instid1(VALU_DEP_4)
	v_cmp_ge_u32_e32 vcc_lo, v1, v5
	v_add_co_u32 v10, s0, v6, v10
	s_delay_alu instid0(VALU_DEP_1)
	v_add_co_ci_u32_e64 v11, s0, v63, v11, s0
	s_or_b32 s2, vcc_lo, s2
	s_waitcnt lgkmcnt(0)
	global_store_b16 v[10:11], v4, off
	s_and_not1_b32 exec_lo, exec_lo, s2
	s_cbranch_execnz .LBB456_184
.LBB456_185:
	s_or_b32 exec_lo, exec_lo, s1
.LBB456_186:
	s_cmpk_lg_i32 s19, 0xf00
	v_cmp_eq_u32_e32 vcc_lo, 0, v0
	s_cselect_b32 s0, -1, 0
	v_cndmask_b32_e64 v2, 0, 1, s20
	s_and_b32 s0, s18, s0
	v_mad_i32_i24 v6, v0, -15, s19
	v_cndmask_b32_e64 v1, 0, 1, s0
	s_mul_hi_u32 s0, s19, 0x88888889
	s_and_b32 s1, vcc_lo, s20
	s_lshr_b32 s0, s0, 3
	v_sub_nc_u32_e32 v3, v5, v2
	v_cndmask_b32_e64 v10, v76, 0, s1
	v_cmp_eq_u32_e32 vcc_lo, s0, v0
	v_cmp_ne_u32_e64 s0, 0, v6
	s_mov_b32 s16, -1
	s_waitcnt_vscnt null, 0x0
	s_barrier
	s_and_b32 vcc_lo, s18, vcc_lo
	v_add_nc_u32_e32 v4, v3, v1
	v_cndmask_b32_e64 v3, 1, v10, s0
	v_cmp_ne_u32_e64 s0, 1, v6
	buffer_gl0_inv
	v_cndmask_b32_e64 v11, 1, v26, s0
	v_cmp_ne_u32_e64 s0, 14, v6
	s_delay_alu instid0(VALU_DEP_2) | instskip(NEXT) | instid1(VALU_DEP_2)
	v_cndmask_b32_e32 v26, v26, v11, vcc_lo
	v_cndmask_b32_e64 v12, 1, v61, s0
	v_cmp_ne_u32_e64 s0, 2, v6
	s_delay_alu instid0(VALU_DEP_2) | instskip(NEXT) | instid1(VALU_DEP_2)
	v_cndmask_b32_e32 v61, v61, v12, vcc_lo
	v_cndmask_b32_e64 v62, 1, v23, s0
	v_cmp_ne_u32_e64 s0, 3, v6
	s_delay_alu instid0(VALU_DEP_2) | instskip(NEXT) | instid1(VALU_DEP_2)
	v_dual_cndmask_b32 v64, v10, v3 :: v_dual_cndmask_b32 v23, v23, v62
	v_cndmask_b32_e64 v63, 1, v24, s0
	v_cmp_ne_u32_e64 s0, 4, v6
	s_delay_alu instid0(VALU_DEP_3) | instskip(NEXT) | instid1(VALU_DEP_4)
	v_cmp_ne_u32_e64 s14, 0, v64
	v_cmp_ne_u32_e64 s12, 0, v23
	s_delay_alu instid0(VALU_DEP_3) | instskip(SKIP_1) | instid1(VALU_DEP_1)
	v_cndmask_b32_e64 v3, 1, v21, s0
	v_cmp_ne_u32_e64 s0, 5, v6
	v_cndmask_b32_e64 v10, 1, v22, s0
	v_cmp_eq_u32_e64 s0, 0, v64
	s_delay_alu instid0(VALU_DEP_2) | instskip(NEXT) | instid1(VALU_DEP_2)
	v_cndmask_b32_e32 v22, v22, v10, vcc_lo
	v_cndmask_b32_e64 v11, 1, 2, s0
	v_cmp_eq_u32_e64 s0, 0, v26
	s_delay_alu instid0(VALU_DEP_3) | instskip(NEXT) | instid1(VALU_DEP_2)
	v_cmp_ne_u32_e64 s9, 0, v22
	v_cndmask_b32_e64 v12, 1, 2, s0
	v_cmp_ne_u32_e64 s0, 6, v6
	s_delay_alu instid0(VALU_DEP_2) | instskip(NEXT) | instid1(VALU_DEP_2)
	v_and_b32_e32 v11, v12, v11
	v_cndmask_b32_e64 v62, 1, v19, s0
	v_cmp_eq_u32_e64 s0, 0, v23
	s_delay_alu instid0(VALU_DEP_2) | instskip(NEXT) | instid1(VALU_DEP_2)
	v_dual_cndmask_b32 v24, v24, v63 :: v_dual_cndmask_b32 v19, v19, v62
	v_cndmask_b32_e64 v12, 1, 2, s0
	v_cmp_ne_u32_e64 s0, 7, v6
	s_delay_alu instid0(VALU_DEP_3) | instskip(NEXT) | instid1(VALU_DEP_4)
	v_cmp_ne_u32_e64 s11, 0, v24
	v_cmp_ne_u32_e64 s8, 0, v19
	s_delay_alu instid0(VALU_DEP_4) | instskip(NEXT) | instid1(VALU_DEP_4)
	v_and_b32_e32 v11, v11, v12
	v_cndmask_b32_e64 v63, 1, v20, s0
	v_cmp_ne_u32_e64 s0, 8, v6
	v_cmp_ne_u32_e64 s13, 0, v26
	s_delay_alu instid0(VALU_DEP_2) | instskip(SKIP_1) | instid1(VALU_DEP_2)
	v_cndmask_b32_e64 v65, 1, v17, s0
	v_cmp_eq_u32_e64 s0, 0, v24
	v_dual_cndmask_b32 v20, v20, v63 :: v_dual_cndmask_b32 v17, v17, v65
	s_delay_alu instid0(VALU_DEP_2) | instskip(SKIP_2) | instid1(VALU_DEP_4)
	v_cndmask_b32_e64 v12, 1, 2, s0
	v_cndmask_b32_e32 v21, v21, v3, vcc_lo
	v_cmp_ne_u32_e64 s0, 9, v6
	v_cmp_ne_u32_e64 s7, 0, v20
	;; [unrolled: 1-line block ×3, first 2 shown]
	v_and_b32_e32 v10, v11, v12
	v_cmp_ne_u32_e64 s10, 0, v21
	v_cndmask_b32_e64 v3, 1, v18, s0
	v_cmp_eq_u32_e64 s0, 0, v21
	s_delay_alu instid0(VALU_DEP_2) | instskip(NEXT) | instid1(VALU_DEP_2)
	v_cndmask_b32_e32 v18, v18, v3, vcc_lo
	v_cndmask_b32_e64 v11, 1, 2, s0
	v_cmp_ne_u32_e64 s0, 10, v6
	s_delay_alu instid0(VALU_DEP_1) | instskip(SKIP_1) | instid1(VALU_DEP_2)
	v_cndmask_b32_e64 v12, 1, v15, s0
	v_cmp_ne_u32_e64 s0, 12, v6
	v_cndmask_b32_e32 v15, v15, v12, vcc_lo
	s_delay_alu instid0(VALU_DEP_2) | instskip(SKIP_2) | instid1(VALU_DEP_4)
	v_cndmask_b32_e64 v66, 1, v13, s0
	v_cmp_eq_u32_e64 s0, 0, v22
	v_and_b32_e32 v10, v10, v11
	v_cmp_ne_u32_e64 s4, 0, v15
	s_delay_alu instid0(VALU_DEP_4) | instskip(NEXT) | instid1(VALU_DEP_4)
	v_cndmask_b32_e32 v13, v13, v66, vcc_lo
	v_cndmask_b32_e64 v11, 1, 2, s0
	v_cmp_ne_u32_e64 s0, 13, v6
	s_delay_alu instid0(VALU_DEP_3) | instskip(NEXT) | instid1(VALU_DEP_3)
	v_cmp_ne_u32_e64 s2, 0, v13
	v_and_b32_e32 v10, v10, v11
	s_delay_alu instid0(VALU_DEP_3) | instskip(SKIP_1) | instid1(VALU_DEP_2)
	v_cndmask_b32_e64 v62, 1, v14, s0
	v_cmp_eq_u32_e64 s0, 0, v19
	v_cndmask_b32_e32 v14, v14, v62, vcc_lo
	s_delay_alu instid0(VALU_DEP_2) | instskip(SKIP_1) | instid1(VALU_DEP_3)
	v_cndmask_b32_e64 v11, 1, 2, s0
	v_cmp_ne_u32_e64 s0, 11, v6
	v_cmp_ne_u32_e64 s1, 0, v14
	s_delay_alu instid0(VALU_DEP_3) | instskip(NEXT) | instid1(VALU_DEP_3)
	v_and_b32_e32 v10, v10, v11
	v_cndmask_b32_e64 v6, 1, v16, s0
	v_cmp_eq_u32_e64 s0, 0, v20
	s_delay_alu instid0(VALU_DEP_1) | instskip(NEXT) | instid1(VALU_DEP_3)
	v_cndmask_b32_e64 v11, 1, 2, s0
	v_cndmask_b32_e32 v16, v16, v6, vcc_lo
	v_cmp_eq_u32_e32 vcc_lo, 0, v17
	v_cmp_ne_u32_e64 s0, 0, v61
	s_delay_alu instid0(VALU_DEP_4) | instskip(NEXT) | instid1(VALU_DEP_4)
	v_and_b32_e32 v3, v10, v11
	v_cmp_ne_u32_e64 s3, 0, v16
	v_cndmask_b32_e64 v6, 1, 2, vcc_lo
	v_add_co_u32 v10, vcc_lo, s36, v59
	v_add_co_ci_u32_e32 v11, vcc_lo, s37, v60, vcc_lo
	s_delay_alu instid0(VALU_DEP_3)
	v_and_b32_e32 v3, v3, v6
	v_cmp_eq_u32_e32 vcc_lo, 0, v18
	v_cmp_ne_u32_e64 s5, 0, v18
	v_cndmask_b32_e64 v6, 1, 2, vcc_lo
	v_add_co_u32 v10, vcc_lo, v10, v8
	v_add_co_ci_u32_e32 v11, vcc_lo, v11, v9, vcc_lo
	v_lshlrev_b32_e32 v8, 1, v2
	v_cmp_eq_u32_e32 vcc_lo, 0, v15
	v_and_b32_e32 v3, v3, v6
	v_cndmask_b32_e64 v6, 1, 2, vcc_lo
	s_delay_alu instid0(VALU_DEP_4) | instskip(SKIP_2) | instid1(VALU_DEP_4)
	v_add_co_u32 v8, vcc_lo, v8, v10
	v_add_co_ci_u32_e32 v9, vcc_lo, 0, v11, vcc_lo
	v_cmp_eq_u32_e32 vcc_lo, 0, v16
	v_and_b32_e32 v59, v3, v6
	v_add_nc_u32_e32 v3, v7, v2
	v_cndmask_b32_e64 v60, 1, 2, vcc_lo
	v_add_co_u32 v6, vcc_lo, v8, -2
	v_add_co_ci_u32_e32 v12, vcc_lo, -1, v9, vcc_lo
	v_cmp_eq_u32_e32 vcc_lo, 0, v13
	s_delay_alu instid0(VALU_DEP_4) | instskip(SKIP_2) | instid1(VALU_DEP_2)
	v_and_b32_e32 v8, v59, v60
	v_cndmask_b32_e64 v9, 1, 2, vcc_lo
	v_cmp_eq_u32_e32 vcc_lo, 0, v14
	v_and_b32_e32 v8, v8, v9
	v_cndmask_b32_e64 v9, 1, 2, vcc_lo
	v_cmp_eq_u32_e32 vcc_lo, 0, v61
	s_delay_alu instid0(VALU_DEP_2) | instskip(SKIP_2) | instid1(VALU_DEP_2)
	v_and_b32_e32 v8, v8, v9
	v_cndmask_b32_e64 v9, 1, 2, vcc_lo
	v_cmp_gt_u32_e32 vcc_lo, 0x100, v4
	v_and_b32_e32 v8, v8, v9
	s_delay_alu instid0(VALU_DEP_1)
	v_cmp_gt_i16_e64 s15, 2, v8
	s_cbranch_vccnz .LBB456_190
; %bb.187:
	s_and_b32 vcc_lo, exec_lo, s16
	s_cbranch_vccnz .LBB456_196
.LBB456_188:
	v_cmp_eq_u32_e32 vcc_lo, 0xff, v0
	s_and_b32 s0, vcc_lo, s18
	s_delay_alu instid0(SALU_CYCLE_1)
	s_and_saveexec_b32 s1, s0
	s_cbranch_execnz .LBB456_217
.LBB456_189:
	s_nop 0
	s_sendmsg sendmsg(MSG_DEALLOC_VGPRS)
	s_endpgm
.LBB456_190:
	s_delay_alu instid0(VALU_DEP_1)
	s_and_saveexec_b32 s16, s15
	s_cbranch_execz .LBB456_195
; %bb.191:
	s_mov_b32 s17, 0
	s_mov_b32 s15, exec_lo
	v_cmpx_ne_u16_e32 1, v8
	s_xor_b32 s15, exec_lo, s15
	s_cbranch_execnz .LBB456_287
; %bb.192:
	s_and_not1_saveexec_b32 s15, s15
	s_cbranch_execnz .LBB456_303
.LBB456_193:
	s_or_b32 exec_lo, exec_lo, s15
	s_delay_alu instid0(SALU_CYCLE_1)
	s_and_b32 exec_lo, exec_lo, s17
	s_cbranch_execz .LBB456_195
.LBB456_194:
	v_sub_nc_u32_e32 v13, v29, v3
	v_mov_b32_e32 v14, 0
	s_delay_alu instid0(VALU_DEP_1) | instskip(NEXT) | instid1(VALU_DEP_1)
	v_lshlrev_b64 v[13:14], 1, v[13:14]
	v_add_co_u32 v13, vcc_lo, v6, v13
	s_delay_alu instid0(VALU_DEP_2)
	v_add_co_ci_u32_e32 v14, vcc_lo, v12, v14, vcc_lo
	global_store_b16 v[13:14], v30, off
.LBB456_195:
	s_or_b32 exec_lo, exec_lo, s16
	s_branch .LBB456_188
.LBB456_196:
	s_mov_b32 s15, exec_lo
	v_cmpx_gt_i16_e32 2, v8
	s_cbranch_execz .LBB456_201
; %bb.197:
	s_mov_b32 s17, 0
	s_mov_b32 s16, exec_lo
	v_cmpx_ne_u16_e32 1, v8
	s_xor_b32 s16, exec_lo, s16
	s_cbranch_execnz .LBB456_304
; %bb.198:
	s_and_not1_saveexec_b32 s0, s16
	s_cbranch_execnz .LBB456_320
.LBB456_199:
	s_or_b32 exec_lo, exec_lo, s0
	s_delay_alu instid0(SALU_CYCLE_1)
	s_and_b32 exec_lo, exec_lo, s17
	s_cbranch_execz .LBB456_201
.LBB456_200:
	v_sub_nc_u32_e32 v3, v29, v3
	s_delay_alu instid0(VALU_DEP_1)
	v_lshlrev_b32_e32 v3, 1, v3
	ds_store_b16 v3, v30
.LBB456_201:
	s_or_b32 exec_lo, exec_lo, s15
	s_delay_alu instid0(SALU_CYCLE_1)
	s_mov_b32 s1, exec_lo
	s_waitcnt lgkmcnt(0)
	s_waitcnt_vscnt null, 0x0
	s_barrier
	buffer_gl0_inv
	v_cmpx_lt_u32_e64 v0, v4
	s_cbranch_execz .LBB456_216
; %bb.202:
	v_add_nc_u32_e32 v8, v5, v1
	s_mov_b32 s0, -1
	s_mov_b32 s3, exec_lo
	s_delay_alu instid0(VALU_DEP_1) | instskip(NEXT) | instid1(VALU_DEP_1)
	v_xad_u32 v1, v0, -1, v8
	v_sub_nc_u32_e32 v3, v1, v2
	v_mov_b32_e32 v1, v0
	s_delay_alu instid0(VALU_DEP_2)
	v_cmp_gt_u32_e64 s2, 0x1b00, v3
	v_cmpx_lt_u32_e32 0x1aff, v3
	s_cbranch_execz .LBB456_213
; %bb.203:
	v_sub_nc_u32_e32 v1, v0, v8
	s_delay_alu instid0(VALU_DEP_1) | instskip(NEXT) | instid1(VALU_DEP_1)
	v_add_nc_u32_e32 v1, v1, v2
	v_or_b32_e32 v1, 0xff, v1
	s_delay_alu instid0(VALU_DEP_1)
	v_cmp_ge_u32_e32 vcc_lo, v1, v0
	v_mov_b32_e32 v1, v0
	s_and_saveexec_b32 s4, vcc_lo
	s_cbranch_execz .LBB456_212
; %bb.204:
	v_lshrrev_b32_e32 v13, 8, v3
	v_or_b32_e32 v1, 0x100, v0
	v_lshlrev_b32_e32 v14, 1, v0
	s_delay_alu instid0(VALU_DEP_3) | instskip(NEXT) | instid1(VALU_DEP_1)
	v_add_nc_u32_e32 v2, -1, v13
	v_lshrrev_b32_e32 v3, 1, v2
	v_mov_b32_e32 v18, 0
	v_cmp_lt_u32_e32 vcc_lo, 13, v2
	s_delay_alu instid0(VALU_DEP_3)
	v_add_nc_u32_e32 v15, 1, v3
	v_dual_mov_b32 v3, v1 :: v_dual_mov_b32 v2, v0
	s_and_saveexec_b32 s0, vcc_lo
	s_cbranch_execz .LBB456_208
; %bb.205:
	s_delay_alu instid0(VALU_DEP_2)
	v_dual_mov_b32 v3, v1 :: v_dual_and_b32 v16, -8, v15
	v_mov_b32_e32 v9, 0
	v_dual_mov_b32 v17, v14 :: v_dual_mov_b32 v2, v0
	s_mov_b32 s5, 0
	s_mov_b32 s6, 0
.LBB456_206:                            ; =>This Inner Loop Header: Depth=1
	s_delay_alu instid0(VALU_DEP_1) | instskip(SKIP_2) | instid1(VALU_DEP_3)
	v_dual_mov_b32 v8, v2 :: v_dual_add_nc_u32 v19, 0x200, v3
	v_add_nc_u32_e32 v16, -8, v16
	v_dual_mov_b32 v20, v9 :: v_dual_add_nc_u32 v21, 0x400, v3
	v_lshlrev_b64 v[37:38], 1, v[8:9]
	v_dual_mov_b32 v22, v9 :: v_dual_add_nc_u32 v23, 0x600, v3
	s_delay_alu instid0(VALU_DEP_4) | instskip(NEXT) | instid1(VALU_DEP_4)
	v_cmp_eq_u32_e32 vcc_lo, 0, v16
	v_lshlrev_b64 v[19:20], 1, v[19:20]
	v_dual_mov_b32 v24, v9 :: v_dual_add_nc_u32 v29, 0x800, v3
	s_add_i32 s6, s6, 16
	v_lshlrev_b64 v[21:22], 1, v[21:22]
	s_or_b32 s5, vcc_lo, s5
	v_add_co_u32 v37, vcc_lo, v6, v37
	v_dual_mov_b32 v30, v9 :: v_dual_add_nc_u32 v31, 0xa00, v3
	v_add_co_ci_u32_e32 v38, vcc_lo, v12, v38, vcc_lo
	v_lshlrev_b64 v[23:24], 1, v[23:24]
	v_add_co_u32 v19, vcc_lo, v6, v19
	v_dual_mov_b32 v32, v9 :: v_dual_add_nc_u32 v33, 0xc00, v3
	v_add_co_ci_u32_e32 v20, vcc_lo, v12, v20, vcc_lo
	v_lshlrev_b64 v[29:30], 1, v[29:30]
	;; [unrolled: 4-line block ×3, first 2 shown]
	v_add_co_u32 v23, vcc_lo, v6, v23
	v_mov_b32_e32 v36, v9
	v_mov_b32_e32 v8, v3
	v_add_co_ci_u32_e32 v24, vcc_lo, v12, v24, vcc_lo
	v_lshlrev_b64 v[33:34], 1, v[33:34]
	v_add_co_u32 v29, vcc_lo, v6, v29
	ds_load_u16 v1, v17
	ds_load_u16 v26, v17 offset:512
	ds_load_u16 v43, v17 offset:1024
	;; [unrolled: 1-line block ×7, first 2 shown]
	v_add_co_ci_u32_e32 v30, vcc_lo, v12, v30, vcc_lo
	ds_load_u16 v49, v17 offset:4096
	ds_load_u16 v50, v17 offset:4608
	ds_load_u16 v51, v17 offset:5120
	ds_load_u16 v52, v17 offset:5632
	ds_load_u16 v53, v17 offset:6144
	ds_load_u16 v54, v17 offset:6656
	ds_load_u16 v55, v17 offset:7168
	ds_load_u16 v56, v17 offset:7680
	v_add_nc_u32_e32 v17, 0x2000, v17
	v_lshlrev_b64 v[35:36], 1, v[35:36]
	v_add_co_u32 v31, vcc_lo, v6, v31
	v_lshlrev_b64 v[39:40], 1, v[8:9]
	v_add_nc_u32_e32 v8, 0x200, v2
	v_add_co_ci_u32_e32 v32, vcc_lo, v12, v32, vcc_lo
	v_add_co_u32 v33, vcc_lo, v6, v33
	v_add_co_ci_u32_e32 v34, vcc_lo, v12, v34, vcc_lo
	v_add_co_u32 v35, vcc_lo, v6, v35
	v_lshlrev_b64 v[41:42], 1, v[8:9]
	v_add_nc_u32_e32 v8, 0x400, v2
	v_add_co_ci_u32_e32 v36, vcc_lo, v12, v36, vcc_lo
	v_add_co_u32 v39, vcc_lo, v6, v39
	v_add_co_ci_u32_e32 v40, vcc_lo, v12, v40, vcc_lo
	s_waitcnt lgkmcnt(15)
	global_store_b16 v[37:38], v1, off
	v_lshlrev_b64 v[37:38], 1, v[8:9]
	v_add_nc_u32_e32 v8, 0x600, v2
	v_add_co_u32 v41, vcc_lo, v6, v41
	v_add_co_ci_u32_e32 v42, vcc_lo, v12, v42, vcc_lo
	s_waitcnt lgkmcnt(14)
	global_store_b16 v[39:40], v26, off
	v_lshlrev_b64 v[39:40], 1, v[8:9]
	v_add_nc_u32_e32 v8, 0x800, v2
	s_waitcnt lgkmcnt(13)
	global_store_b16 v[41:42], v43, off
	s_waitcnt lgkmcnt(12)
	global_store_b16 v[19:20], v44, off
	v_add_co_u32 v19, vcc_lo, v6, v37
	v_add_co_ci_u32_e32 v20, vcc_lo, v12, v38, vcc_lo
	v_lshlrev_b64 v[37:38], 1, v[8:9]
	v_add_nc_u32_e32 v8, 0xa00, v2
	v_add_co_u32 v39, vcc_lo, v6, v39
	v_add_co_ci_u32_e32 v40, vcc_lo, v12, v40, vcc_lo
	s_waitcnt lgkmcnt(11)
	global_store_b16 v[19:20], v45, off
	s_waitcnt lgkmcnt(10)
	global_store_b16 v[21:22], v46, off
	v_lshlrev_b64 v[19:20], 1, v[8:9]
	v_add_nc_u32_e32 v8, 0xc00, v2
	v_add_co_u32 v21, vcc_lo, v6, v37
	s_waitcnt lgkmcnt(9)
	global_store_b16 v[39:40], v47, off
	s_waitcnt lgkmcnt(8)
	global_store_b16 v[23:24], v48, off
	v_add_co_ci_u32_e32 v22, vcc_lo, v12, v38, vcc_lo
	v_lshlrev_b64 v[23:24], 1, v[8:9]
	v_add_nc_u32_e32 v8, 0xe00, v2
	v_add_co_u32 v19, vcc_lo, v6, v19
	v_add_co_ci_u32_e32 v20, vcc_lo, v12, v20, vcc_lo
	s_waitcnt lgkmcnt(7)
	global_store_b16 v[21:22], v49, off
	s_waitcnt lgkmcnt(6)
	global_store_b16 v[29:30], v50, off
	v_lshlrev_b64 v[21:22], 1, v[8:9]
	v_dual_mov_b32 v18, s6 :: v_dual_add_nc_u32 v3, 0x1000, v3
	s_waitcnt lgkmcnt(5)
	global_store_b16 v[19:20], v51, off
	v_add_co_u32 v19, vcc_lo, v6, v23
	v_add_nc_u32_e32 v2, 0x1000, v2
	v_add_co_ci_u32_e32 v20, vcc_lo, v12, v24, vcc_lo
	v_add_co_u32 v21, vcc_lo, v6, v21
	v_add_co_ci_u32_e32 v22, vcc_lo, v12, v22, vcc_lo
	s_waitcnt lgkmcnt(4)
	global_store_b16 v[31:32], v52, off
	s_waitcnt lgkmcnt(3)
	global_store_b16 v[19:20], v53, off
	;; [unrolled: 2-line block ×5, first 2 shown]
	s_and_not1_b32 exec_lo, exec_lo, s5
	s_cbranch_execnz .LBB456_206
; %bb.207:
	s_or_b32 exec_lo, exec_lo, s5
.LBB456_208:
	s_delay_alu instid0(SALU_CYCLE_1) | instskip(SKIP_3) | instid1(VALU_DEP_1)
	s_or_b32 exec_lo, exec_lo, s0
	v_and_b32_e32 v1, 7, v15
	s_mov_b32 s6, 0
	s_mov_b32 s5, exec_lo
	v_cmpx_ne_u32_e32 0, v1
	s_cbranch_execz .LBB456_211
; %bb.209:
	v_lshl_or_b32 v14, v18, 9, v14
	v_mov_b32_e32 v9, 0
	s_set_inst_prefetch_distance 0x1
	.p2align	6
.LBB456_210:                            ; =>This Inner Loop Header: Depth=1
	v_dual_mov_b32 v8, v2 :: v_dual_add_nc_u32 v1, -1, v1
	ds_load_u16 v19, v14
	ds_load_u16 v20, v14 offset:512
	v_add_nc_u32_e32 v2, 0x200, v2
	v_add_nc_u32_e32 v14, 0x400, v14
	v_lshlrev_b64 v[15:16], 1, v[8:9]
	v_dual_mov_b32 v8, v3 :: v_dual_add_nc_u32 v3, 0x200, v3
	v_cmp_eq_u32_e32 vcc_lo, 0, v1
	s_delay_alu instid0(VALU_DEP_2) | instskip(NEXT) | instid1(VALU_DEP_4)
	v_lshlrev_b64 v[17:18], 1, v[8:9]
	v_add_co_u32 v15, s0, v6, v15
	s_delay_alu instid0(VALU_DEP_1) | instskip(SKIP_1) | instid1(VALU_DEP_3)
	v_add_co_ci_u32_e64 v16, s0, v12, v16, s0
	s_or_b32 s6, vcc_lo, s6
	v_add_co_u32 v17, s0, v6, v17
	s_delay_alu instid0(VALU_DEP_1)
	v_add_co_ci_u32_e64 v18, s0, v12, v18, s0
	s_waitcnt lgkmcnt(1)
	global_store_b16 v[15:16], v19, off
	s_waitcnt lgkmcnt(0)
	global_store_b16 v[17:18], v20, off
	s_and_not1_b32 exec_lo, exec_lo, s6
	s_cbranch_execnz .LBB456_210
.LBB456_211:
	s_set_inst_prefetch_distance 0x2
	s_or_b32 exec_lo, exec_lo, s5
	v_add_nc_u32_e32 v1, 1, v13
	s_delay_alu instid0(VALU_DEP_1) | instskip(NEXT) | instid1(VALU_DEP_1)
	v_and_b32_e32 v2, 0x1fffffe, v1
	v_cmp_ne_u32_e32 vcc_lo, v1, v2
	v_lshl_or_b32 v1, v2, 8, v0
	s_or_not1_b32 s0, vcc_lo, exec_lo
.LBB456_212:
	s_or_b32 exec_lo, exec_lo, s4
	s_delay_alu instid0(SALU_CYCLE_1) | instskip(SKIP_1) | instid1(SALU_CYCLE_1)
	s_and_not1_b32 s2, s2, exec_lo
	s_and_b32 s0, s0, exec_lo
	s_or_b32 s2, s2, s0
.LBB456_213:
	s_or_b32 exec_lo, exec_lo, s3
	s_delay_alu instid0(VALU_DEP_2) | instid1(SALU_CYCLE_1)
	s_and_b32 exec_lo, exec_lo, s2
	s_cbranch_execz .LBB456_216
; %bb.214:
	v_dual_mov_b32 v2, 0 :: v_dual_lshlrev_b32 v3, 1, v1
	s_mov_b32 s2, 0
	.p2align	6
.LBB456_215:                            ; =>This Inner Loop Header: Depth=1
	ds_load_u16 v13, v3
	v_lshlrev_b64 v[8:9], 1, v[1:2]
	v_add_nc_u32_e32 v1, 0x100, v1
	v_add_nc_u32_e32 v3, 0x200, v3
	s_delay_alu instid0(VALU_DEP_2) | instskip(NEXT) | instid1(VALU_DEP_4)
	v_cmp_ge_u32_e32 vcc_lo, v1, v4
	v_add_co_u32 v8, s0, v6, v8
	s_delay_alu instid0(VALU_DEP_1)
	v_add_co_ci_u32_e64 v9, s0, v12, v9, s0
	s_or_b32 s2, vcc_lo, s2
	s_waitcnt lgkmcnt(0)
	global_store_b16 v[8:9], v13, off
	s_and_not1_b32 exec_lo, exec_lo, s2
	s_cbranch_execnz .LBB456_215
.LBB456_216:
	s_or_b32 exec_lo, exec_lo, s1
	v_cmp_eq_u32_e32 vcc_lo, 0xff, v0
	s_and_b32 s0, vcc_lo, s18
	s_delay_alu instid0(SALU_CYCLE_1)
	s_and_saveexec_b32 s1, s0
	s_cbranch_execz .LBB456_189
.LBB456_217:
	v_add_co_u32 v0, s0, v5, v7
	s_delay_alu instid0(VALU_DEP_1) | instskip(SKIP_1) | instid1(VALU_DEP_3)
	v_add_co_ci_u32_e64 v1, null, 0, 0, s0
	v_mov_b32_e32 v6, 0
	v_add_co_u32 v0, vcc_lo, v0, v27
	s_delay_alu instid0(VALU_DEP_3)
	v_add_co_ci_u32_e32 v1, vcc_lo, v1, v28, vcc_lo
	s_cmpk_lg_i32 s19, 0xf00
	global_store_b64 v6, v[0:1], s[38:39]
	s_cbranch_scc1 .LBB456_189
; %bb.218:
	v_lshlrev_b64 v[0:1], 1, v[5:6]
	s_delay_alu instid0(VALU_DEP_1) | instskip(NEXT) | instid1(VALU_DEP_2)
	v_add_co_u32 v0, vcc_lo, v10, v0
	v_add_co_ci_u32_e32 v1, vcc_lo, v11, v1, vcc_lo
	global_store_b16 v[0:1], v25, off offset:-2
	s_nop 0
	s_sendmsg sendmsg(MSG_DEALLOC_VGPRS)
	s_endpgm
.LBB456_219:
                                        ; implicit-def: $sgpr2
                                        ; implicit-def: $vgpr61
                                        ; implicit-def: $vgpr14
                                        ; implicit-def: $vgpr13
                                        ; implicit-def: $vgpr16
                                        ; implicit-def: $vgpr15
                                        ; implicit-def: $vgpr18
                                        ; implicit-def: $vgpr17
                                        ; implicit-def: $vgpr20
                                        ; implicit-def: $vgpr19
                                        ; implicit-def: $vgpr22
                                        ; implicit-def: $vgpr21
                                        ; implicit-def: $vgpr24
                                        ; implicit-def: $vgpr23
                                        ; implicit-def: $vgpr26
	s_cbranch_execz .LBB456_109
; %bb.220:
	v_mad_u32_u24 v13, v0, 15, 14
	s_waitcnt lgkmcnt(0)
	v_dual_mov_b32 v14, 0 :: v_dual_lshlrev_b32 v7, 1, v0
	v_lshrrev_b32_e32 v6, 16, v12
	v_mul_u32_u24_e32 v5, 15, v0
	v_mov_b32_e32 v61, 0
	s_mov_b32 s2, exec_lo
	ds_store_b16 v7, v6
	v_cmpx_gt_u64_e64 s[0:1], v[13:14]
; %bb.221:
	v_and_b32_e32 v8, 0xffff, v12
	v_and_b32_e32 v6, 0xffff, v6
	s_delay_alu instid0(VALU_DEP_2) | instskip(NEXT) | instid1(VALU_DEP_2)
	v_mul_u32_u24_e32 v8, 0xcccd, v8
	v_mul_u32_u24_e32 v6, 0xcccd, v6
	s_delay_alu instid0(VALU_DEP_2) | instskip(NEXT) | instid1(VALU_DEP_2)
	v_lshrrev_b32_e32 v8, 19, v8
	v_lshrrev_b32_e32 v6, 19, v6
	s_delay_alu instid0(VALU_DEP_1)
	v_cmp_ne_u16_e32 vcc_lo, v8, v6
	v_cndmask_b32_e64 v61, 0, 1, vcc_lo
; %bb.222:
	s_or_b32 exec_lo, exec_lo, s2
	v_add_nc_u32_e32 v13, 13, v5
	s_mov_b32 s2, exec_lo
	s_delay_alu instid0(VALU_DEP_1)
	v_cmpx_gt_u64_e64 s[0:1], v[13:14]
; %bb.223:
	v_lshrrev_b32_e32 v6, 16, v11
	v_and_b32_e32 v8, 0xffff, v12
	s_delay_alu instid0(VALU_DEP_2) | instskip(NEXT) | instid1(VALU_DEP_2)
	v_mul_u32_u24_e32 v6, 0xcccd, v6
	v_mul_u32_u24_e32 v8, 0xcccd, v8
	s_delay_alu instid0(VALU_DEP_2) | instskip(NEXT) | instid1(VALU_DEP_2)
	v_lshrrev_b32_e32 v6, 19, v6
	v_lshrrev_b32_e32 v8, 19, v8
	s_delay_alu instid0(VALU_DEP_1)
	v_cmp_ne_u16_e32 vcc_lo, v6, v8
	v_cndmask_b32_e64 v14, 0, 1, vcc_lo
; %bb.224:
	s_or_b32 exec_lo, exec_lo, s2
	v_dual_mov_b32 v16, 0 :: v_dual_add_nc_u32 v15, 12, v5
	v_mov_b32_e32 v13, 0
	s_mov_b32 s2, exec_lo
	s_delay_alu instid0(VALU_DEP_2)
	v_cmpx_gt_u64_e64 s[0:1], v[15:16]
; %bb.225:
	v_and_b32_e32 v6, 0xffff, v11
	v_lshrrev_b32_e32 v8, 16, v11
	s_delay_alu instid0(VALU_DEP_2) | instskip(NEXT) | instid1(VALU_DEP_2)
	v_mul_u32_u24_e32 v6, 0xcccd, v6
	v_mul_u32_u24_e32 v8, 0xcccd, v8
	s_delay_alu instid0(VALU_DEP_2) | instskip(NEXT) | instid1(VALU_DEP_2)
	v_lshrrev_b32_e32 v6, 19, v6
	v_lshrrev_b32_e32 v8, 19, v8
	s_delay_alu instid0(VALU_DEP_1)
	v_cmp_ne_u16_e32 vcc_lo, v6, v8
	v_cndmask_b32_e64 v13, 0, 1, vcc_lo
; %bb.226:
	s_or_b32 exec_lo, exec_lo, s2
	v_add_nc_u32_e32 v15, 11, v5
	s_mov_b32 s2, exec_lo
	s_delay_alu instid0(VALU_DEP_1)
	v_cmpx_gt_u64_e64 s[0:1], v[15:16]
; %bb.227:
	v_lshrrev_b32_e32 v6, 16, v10
	v_and_b32_e32 v8, 0xffff, v11
	s_delay_alu instid0(VALU_DEP_2) | instskip(NEXT) | instid1(VALU_DEP_2)
	v_mul_u32_u24_e32 v6, 0xcccd, v6
	v_mul_u32_u24_e32 v8, 0xcccd, v8
	s_delay_alu instid0(VALU_DEP_2) | instskip(NEXT) | instid1(VALU_DEP_2)
	v_lshrrev_b32_e32 v6, 19, v6
	v_lshrrev_b32_e32 v8, 19, v8
	s_delay_alu instid0(VALU_DEP_1)
	v_cmp_ne_u16_e32 vcc_lo, v6, v8
	v_cndmask_b32_e64 v16, 0, 1, vcc_lo
; %bb.228:
	s_or_b32 exec_lo, exec_lo, s2
	v_dual_mov_b32 v18, 0 :: v_dual_add_nc_u32 v17, 10, v5
	v_mov_b32_e32 v15, 0
	s_mov_b32 s2, exec_lo
	s_delay_alu instid0(VALU_DEP_2)
	v_cmpx_gt_u64_e64 s[0:1], v[17:18]
; %bb.229:
	v_and_b32_e32 v6, 0xffff, v10
	v_lshrrev_b32_e32 v8, 16, v10
	;; [unrolled: 37-line block ×6, first 2 shown]
	s_delay_alu instid0(VALU_DEP_2) | instskip(NEXT) | instid1(VALU_DEP_2)
	v_mul_u32_u24_e32 v6, 0xcccd, v6
	v_mul_u32_u24_e32 v8, 0xcccd, v8
	s_delay_alu instid0(VALU_DEP_2) | instskip(NEXT) | instid1(VALU_DEP_2)
	v_lshrrev_b32_e32 v6, 19, v6
	v_lshrrev_b32_e32 v8, 19, v8
	s_delay_alu instid0(VALU_DEP_1)
	v_cmp_ne_u16_e32 vcc_lo, v6, v8
	v_cndmask_b32_e64 v23, 0, 1, vcc_lo
; %bb.246:
	s_or_b32 exec_lo, exec_lo, s2
	v_add_nc_u32_e32 v25, 1, v5
	s_mov_b32 s2, exec_lo
	s_delay_alu instid0(VALU_DEP_1)
	v_cmpx_gt_u64_e64 s[0:1], v[25:26]
; %bb.247:
	v_and_b32_e32 v6, 0xffff, v62
	v_and_b32_e32 v8, 0xffff, v1
	s_delay_alu instid0(VALU_DEP_2) | instskip(NEXT) | instid1(VALU_DEP_2)
	v_mul_u32_u24_e32 v6, 0xcccd, v6
	v_mul_u32_u24_e32 v8, 0xcccd, v8
	s_delay_alu instid0(VALU_DEP_2) | instskip(NEXT) | instid1(VALU_DEP_2)
	v_lshrrev_b32_e32 v6, 19, v6
	v_lshrrev_b32_e32 v8, 19, v8
	s_delay_alu instid0(VALU_DEP_1)
	v_cmp_ne_u16_e32 vcc_lo, v6, v8
	v_cndmask_b32_e64 v26, 0, 1, vcc_lo
; %bb.248:
	s_or_b32 exec_lo, exec_lo, s2
	s_mov_b32 s4, 0
	s_mov_b32 s3, exec_lo
	s_waitcnt lgkmcnt(0)
	s_barrier
	buffer_gl0_inv
                                        ; implicit-def: $sgpr2
	v_cmpx_ne_u32_e32 0, v0
	s_cbranch_execz .LBB456_252
; %bb.249:
	v_mov_b32_e32 v6, 0
	s_delay_alu instid0(VALU_DEP_1)
	v_cmp_gt_u64_e32 vcc_lo, s[0:1], v[5:6]
	s_and_saveexec_b32 s0, vcc_lo
	s_cbranch_execz .LBB456_251
; %bb.250:
	v_add_nc_u32_e32 v5, -2, v7
	v_and_b32_e32 v6, 0xffff, v62
	ds_load_u16 v5, v5
	v_mul_u32_u24_e32 v6, 0xcccd, v6
	s_delay_alu instid0(VALU_DEP_1) | instskip(SKIP_2) | instid1(VALU_DEP_1)
	v_lshrrev_b32_e32 v6, 19, v6
	s_waitcnt lgkmcnt(0)
	v_mul_u32_u24_e32 v5, 0xcccd, v5
	v_lshrrev_b32_e32 v5, 19, v5
	s_delay_alu instid0(VALU_DEP_1)
	v_cmp_ne_u16_e32 vcc_lo, v5, v6
	s_and_b32 s4, vcc_lo, exec_lo
.LBB456_251:
	s_or_b32 exec_lo, exec_lo, s0
	s_delay_alu instid0(SALU_CYCLE_1)
	s_and_b32 s2, s4, exec_lo
	s_or_b32 s28, s28, exec_lo
.LBB456_252:
	s_or_b32 exec_lo, exec_lo, s3
	s_mov_b32 s0, 1
	s_delay_alu instid0(SALU_CYCLE_1)
	v_mov_b32_e32 v76, s0
	s_and_saveexec_b32 s0, s28
	s_cbranch_execnz .LBB456_111
	s_branch .LBB456_112
.LBB456_253:
	s_and_saveexec_b32 s17, s14
	s_cbranch_execnz .LBB456_321
; %bb.254:
	s_or_b32 exec_lo, exec_lo, s17
	s_and_saveexec_b32 s17, s13
	s_cbranch_execnz .LBB456_322
.LBB456_255:
	s_or_b32 exec_lo, exec_lo, s17
	s_and_saveexec_b32 s17, s12
	s_cbranch_execnz .LBB456_323
.LBB456_256:
	s_or_b32 exec_lo, exec_lo, s17
	s_and_saveexec_b32 s17, s11
	s_cbranch_execnz .LBB456_324
.LBB456_257:
	s_or_b32 exec_lo, exec_lo, s17
	s_and_saveexec_b32 s17, s10
	s_cbranch_execnz .LBB456_325
.LBB456_258:
	s_or_b32 exec_lo, exec_lo, s17
	s_and_saveexec_b32 s17, s9
	s_cbranch_execnz .LBB456_326
.LBB456_259:
	s_or_b32 exec_lo, exec_lo, s17
	s_and_saveexec_b32 s17, s7
	s_cbranch_execnz .LBB456_327
.LBB456_260:
	s_or_b32 exec_lo, exec_lo, s17
	s_and_saveexec_b32 s17, s5
	s_cbranch_execnz .LBB456_328
.LBB456_261:
	s_or_b32 exec_lo, exec_lo, s17
	s_and_saveexec_b32 s17, s8
	s_cbranch_execnz .LBB456_329
.LBB456_262:
	s_or_b32 exec_lo, exec_lo, s17
	s_and_saveexec_b32 s17, s6
	s_cbranch_execnz .LBB456_330
.LBB456_263:
	s_or_b32 exec_lo, exec_lo, s17
	s_and_saveexec_b32 s17, s4
	s_cbranch_execnz .LBB456_331
.LBB456_264:
	s_or_b32 exec_lo, exec_lo, s17
	s_and_saveexec_b32 s17, s3
	s_cbranch_execnz .LBB456_332
.LBB456_265:
	s_or_b32 exec_lo, exec_lo, s17
	s_and_saveexec_b32 s17, s2
	s_cbranch_execnz .LBB456_333
.LBB456_266:
	s_or_b32 exec_lo, exec_lo, s17
	s_and_saveexec_b32 s17, s1
	s_cbranch_execz .LBB456_268
.LBB456_267:
	v_sub_nc_u32_e32 v65, v39, v7
	v_mov_b32_e32 v66, 0
	s_delay_alu instid0(VALU_DEP_1) | instskip(NEXT) | instid1(VALU_DEP_1)
	v_lshlrev_b64 v[65:66], 1, v[65:66]
	v_add_co_u32 v65, vcc_lo, v6, v65
	s_delay_alu instid0(VALU_DEP_2)
	v_add_co_ci_u32_e32 v66, vcc_lo, v63, v66, vcc_lo
	global_store_b16 v[65:66], v12, off
.LBB456_268:
	s_or_b32 exec_lo, exec_lo, s17
	s_delay_alu instid0(SALU_CYCLE_1)
	s_and_b32 s17, s0, exec_lo
	s_and_not1_saveexec_b32 s15, s15
	s_cbranch_execz .LBB456_161
.LBB456_269:
	v_sub_nc_u32_e32 v65, v55, v7
	v_mov_b32_e32 v66, 0
	s_or_b32 s17, s17, exec_lo
	s_delay_alu instid0(VALU_DEP_1) | instskip(SKIP_1) | instid1(VALU_DEP_1)
	v_lshlrev_b64 v[67:68], 1, v[65:66]
	v_sub_nc_u32_e32 v65, v49, v7
	v_lshlrev_b64 v[69:70], 1, v[65:66]
	v_sub_nc_u32_e32 v65, v51, v7
	s_delay_alu instid0(VALU_DEP_4) | instskip(SKIP_1) | instid1(VALU_DEP_3)
	v_add_co_u32 v67, vcc_lo, v6, v67
	v_add_co_ci_u32_e32 v68, vcc_lo, v63, v68, vcc_lo
	v_lshlrev_b64 v[71:72], 1, v[65:66]
	v_sub_nc_u32_e32 v65, v47, v7
	v_add_co_u32 v69, vcc_lo, v6, v69
	v_add_co_ci_u32_e32 v70, vcc_lo, v63, v70, vcc_lo
	global_store_b16 v[67:68], v62, off
	v_lshlrev_b64 v[67:68], 1, v[65:66]
	v_sub_nc_u32_e32 v65, v35, v7
	global_store_b16 v[69:70], v1, off
	v_add_co_u32 v69, vcc_lo, v6, v71
	v_add_co_ci_u32_e32 v70, vcc_lo, v63, v72, vcc_lo
	v_lshlrev_b64 v[71:72], 1, v[65:66]
	v_sub_nc_u32_e32 v65, v31, v7
	v_add_co_u32 v67, vcc_lo, v6, v67
	v_add_co_ci_u32_e32 v68, vcc_lo, v63, v68, vcc_lo
	s_delay_alu instid0(VALU_DEP_3) | instskip(SKIP_3) | instid1(VALU_DEP_3)
	v_lshlrev_b64 v[73:74], 1, v[65:66]
	v_sub_nc_u32_e32 v65, v33, v7
	v_add_co_u32 v71, vcc_lo, v6, v71
	v_add_co_ci_u32_e32 v72, vcc_lo, v63, v72, vcc_lo
	v_lshlrev_b64 v[77:78], 1, v[65:66]
	v_sub_nc_u32_e32 v65, v53, v7
	v_add_co_u32 v73, vcc_lo, v6, v73
	v_add_co_ci_u32_e32 v74, vcc_lo, v63, v74, vcc_lo
	s_clause 0x3
	global_store_d16_hi_b16 v[69:70], v1, off
	global_store_b16 v[67:68], v2, off
	global_store_d16_hi_b16 v[71:72], v2, off
	global_store_b16 v[73:74], v3, off
	v_lshlrev_b64 v[67:68], 1, v[65:66]
	v_sub_nc_u32_e32 v65, v57, v7
	v_add_co_u32 v69, vcc_lo, v6, v77
	v_add_co_ci_u32_e32 v70, vcc_lo, v63, v78, vcc_lo
	s_delay_alu instid0(VALU_DEP_3) | instskip(SKIP_3) | instid1(VALU_DEP_3)
	v_lshlrev_b64 v[71:72], 1, v[65:66]
	v_sub_nc_u32_e32 v65, v45, v7
	v_add_co_u32 v67, vcc_lo, v6, v67
	v_add_co_ci_u32_e32 v68, vcc_lo, v63, v68, vcc_lo
	v_lshlrev_b64 v[73:74], 1, v[65:66]
	v_sub_nc_u32_e32 v65, v43, v7
	v_add_co_u32 v71, vcc_lo, v6, v71
	v_add_co_ci_u32_e32 v72, vcc_lo, v63, v72, vcc_lo
	s_delay_alu instid0(VALU_DEP_3)
	v_lshlrev_b64 v[77:78], 1, v[65:66]
	v_sub_nc_u32_e32 v65, v37, v7
	v_add_co_u32 v73, vcc_lo, v6, v73
	v_add_co_ci_u32_e32 v74, vcc_lo, v63, v74, vcc_lo
	s_clause 0x3
	global_store_d16_hi_b16 v[69:70], v3, off
	global_store_b16 v[67:68], v4, off
	global_store_d16_hi_b16 v[71:72], v4, off
	global_store_b16 v[73:74], v10, off
	v_lshlrev_b64 v[67:68], 1, v[65:66]
	v_sub_nc_u32_e32 v65, v41, v7
	v_add_co_u32 v69, vcc_lo, v6, v77
	v_add_co_ci_u32_e32 v70, vcc_lo, v63, v78, vcc_lo
	s_delay_alu instid0(VALU_DEP_3) | instskip(SKIP_3) | instid1(VALU_DEP_3)
	v_lshlrev_b64 v[71:72], 1, v[65:66]
	v_sub_nc_u32_e32 v65, v39, v7
	v_add_co_u32 v67, vcc_lo, v6, v67
	v_add_co_ci_u32_e32 v68, vcc_lo, v63, v68, vcc_lo
	v_lshlrev_b64 v[65:66], 1, v[65:66]
	v_add_co_u32 v71, vcc_lo, v6, v71
	v_add_co_ci_u32_e32 v72, vcc_lo, v63, v72, vcc_lo
	s_clause 0x2
	global_store_d16_hi_b16 v[69:70], v10, off
	global_store_b16 v[67:68], v11, off
	global_store_d16_hi_b16 v[71:72], v11, off
	v_add_co_u32 v65, vcc_lo, v6, v65
	v_add_co_ci_u32_e32 v66, vcc_lo, v63, v66, vcc_lo
	global_store_b16 v[65:66], v12, off
	s_or_b32 exec_lo, exec_lo, s15
	s_delay_alu instid0(SALU_CYCLE_1)
	s_and_b32 exec_lo, exec_lo, s17
	s_cbranch_execnz .LBB456_162
	s_branch .LBB456_163
.LBB456_270:
	s_and_saveexec_b32 s17, s14
	s_cbranch_execnz .LBB456_334
; %bb.271:
	s_or_b32 exec_lo, exec_lo, s17
	s_and_saveexec_b32 s14, s13
	s_cbranch_execnz .LBB456_335
.LBB456_272:
	s_or_b32 exec_lo, exec_lo, s14
	s_and_saveexec_b32 s13, s12
	s_cbranch_execnz .LBB456_336
.LBB456_273:
	s_or_b32 exec_lo, exec_lo, s13
	s_and_saveexec_b32 s12, s11
	s_cbranch_execnz .LBB456_337
.LBB456_274:
	s_or_b32 exec_lo, exec_lo, s12
	s_and_saveexec_b32 s11, s10
	s_cbranch_execnz .LBB456_338
.LBB456_275:
	s_or_b32 exec_lo, exec_lo, s11
	s_and_saveexec_b32 s10, s9
	s_cbranch_execnz .LBB456_339
.LBB456_276:
	s_or_b32 exec_lo, exec_lo, s10
	s_and_saveexec_b32 s9, s7
	s_cbranch_execnz .LBB456_340
.LBB456_277:
	s_or_b32 exec_lo, exec_lo, s9
	s_and_saveexec_b32 s7, s5
	s_cbranch_execnz .LBB456_341
.LBB456_278:
	s_or_b32 exec_lo, exec_lo, s7
	s_and_saveexec_b32 s5, s8
	s_cbranch_execnz .LBB456_342
.LBB456_279:
	s_or_b32 exec_lo, exec_lo, s5
	s_and_saveexec_b32 s5, s6
	s_cbranch_execnz .LBB456_343
.LBB456_280:
	s_or_b32 exec_lo, exec_lo, s5
	s_and_saveexec_b32 s5, s4
	s_cbranch_execnz .LBB456_344
.LBB456_281:
	s_or_b32 exec_lo, exec_lo, s5
	s_and_saveexec_b32 s4, s3
	s_cbranch_execnz .LBB456_345
.LBB456_282:
	s_or_b32 exec_lo, exec_lo, s4
	s_and_saveexec_b32 s3, s2
	s_cbranch_execnz .LBB456_346
.LBB456_283:
	s_or_b32 exec_lo, exec_lo, s3
	s_and_saveexec_b32 s2, s1
	s_cbranch_execz .LBB456_285
.LBB456_284:
	v_sub_nc_u32_e32 v1, v39, v7
	s_delay_alu instid0(VALU_DEP_1)
	v_lshlrev_b32_e32 v1, 1, v1
	ds_store_b16 v1, v12
.LBB456_285:
	s_or_b32 exec_lo, exec_lo, s2
	s_delay_alu instid0(SALU_CYCLE_1)
	s_and_b32 s17, s0, exec_lo
                                        ; implicit-def: $vgpr62
                                        ; implicit-def: $vgpr1
	s_and_not1_saveexec_b32 s0, s16
	s_cbranch_execz .LBB456_168
.LBB456_286:
	v_sub_nc_u32_e32 v64, v55, v7
	v_sub_nc_u32_e32 v65, v49, v7
	;; [unrolled: 1-line block ×4, first 2 shown]
	s_or_b32 s17, s17, exec_lo
	v_lshlrev_b32_e32 v64, 1, v64
	v_lshlrev_b32_e32 v65, 1, v65
	;; [unrolled: 1-line block ×4, first 2 shown]
	ds_store_b16 v64, v62
	ds_store_b16 v65, v1
	ds_store_b16_d16_hi v66, v1
	v_sub_nc_u32_e32 v1, v35, v7
	v_sub_nc_u32_e32 v62, v31, v7
	;; [unrolled: 1-line block ×5, first 2 shown]
	v_lshlrev_b32_e32 v1, 1, v1
	ds_store_b16 v67, v2
	v_lshlrev_b32_e32 v62, 1, v62
	v_lshlrev_b32_e32 v64, 1, v64
	;; [unrolled: 1-line block ×3, first 2 shown]
	ds_store_b16_d16_hi v1, v2
	v_lshlrev_b32_e32 v1, 1, v66
	v_sub_nc_u32_e32 v2, v45, v7
	ds_store_b16 v62, v3
	ds_store_b16_d16_hi v64, v3
	ds_store_b16 v65, v4
	v_sub_nc_u32_e32 v62, v39, v7
	v_sub_nc_u32_e32 v3, v37, v7
	ds_store_b16_d16_hi v1, v4
	v_sub_nc_u32_e32 v1, v43, v7
	v_lshlrev_b32_e32 v2, 1, v2
	v_sub_nc_u32_e32 v4, v41, v7
	v_lshlrev_b32_e32 v3, 1, v3
	s_delay_alu instid0(VALU_DEP_4)
	v_lshlrev_b32_e32 v1, 1, v1
	ds_store_b16 v2, v10
	v_lshlrev_b32_e32 v2, 1, v62
	v_lshlrev_b32_e32 v4, 1, v4
	ds_store_b16_d16_hi v1, v10
	ds_store_b16 v3, v11
	ds_store_b16_d16_hi v4, v11
	ds_store_b16 v2, v12
	s_or_b32 exec_lo, exec_lo, s0
	s_delay_alu instid0(SALU_CYCLE_1)
	s_and_b32 exec_lo, exec_lo, s17
	s_cbranch_execnz .LBB456_169
	s_branch .LBB456_170
.LBB456_287:
	s_and_saveexec_b32 s17, s14
	s_cbranch_execnz .LBB456_347
; %bb.288:
	s_or_b32 exec_lo, exec_lo, s17
	s_and_saveexec_b32 s17, s13
	s_cbranch_execnz .LBB456_348
.LBB456_289:
	s_or_b32 exec_lo, exec_lo, s17
	s_and_saveexec_b32 s17, s12
	s_cbranch_execnz .LBB456_349
.LBB456_290:
	s_or_b32 exec_lo, exec_lo, s17
	s_and_saveexec_b32 s17, s11
	s_cbranch_execnz .LBB456_350
.LBB456_291:
	s_or_b32 exec_lo, exec_lo, s17
	s_and_saveexec_b32 s17, s10
	s_cbranch_execnz .LBB456_351
.LBB456_292:
	s_or_b32 exec_lo, exec_lo, s17
	s_and_saveexec_b32 s17, s9
	s_cbranch_execnz .LBB456_352
.LBB456_293:
	s_or_b32 exec_lo, exec_lo, s17
	s_and_saveexec_b32 s17, s8
	s_cbranch_execnz .LBB456_353
.LBB456_294:
	s_or_b32 exec_lo, exec_lo, s17
	s_and_saveexec_b32 s17, s7
	s_cbranch_execnz .LBB456_354
.LBB456_295:
	s_or_b32 exec_lo, exec_lo, s17
	s_and_saveexec_b32 s17, s6
	s_cbranch_execnz .LBB456_355
.LBB456_296:
	s_or_b32 exec_lo, exec_lo, s17
	s_and_saveexec_b32 s17, s5
	s_cbranch_execnz .LBB456_356
.LBB456_297:
	s_or_b32 exec_lo, exec_lo, s17
	s_and_saveexec_b32 s17, s4
	s_cbranch_execnz .LBB456_357
.LBB456_298:
	s_or_b32 exec_lo, exec_lo, s17
	s_and_saveexec_b32 s17, s3
	s_cbranch_execnz .LBB456_358
.LBB456_299:
	s_or_b32 exec_lo, exec_lo, s17
	s_and_saveexec_b32 s17, s2
	s_cbranch_execnz .LBB456_359
.LBB456_300:
	s_or_b32 exec_lo, exec_lo, s17
	s_and_saveexec_b32 s17, s1
	s_cbranch_execz .LBB456_302
.LBB456_301:
	v_sub_nc_u32_e32 v13, v39, v3
	v_mov_b32_e32 v14, 0
	s_delay_alu instid0(VALU_DEP_1) | instskip(NEXT) | instid1(VALU_DEP_1)
	v_lshlrev_b64 v[13:14], 1, v[13:14]
	v_add_co_u32 v13, vcc_lo, v6, v13
	s_delay_alu instid0(VALU_DEP_2)
	v_add_co_ci_u32_e32 v14, vcc_lo, v12, v14, vcc_lo
	global_store_b16 v[13:14], v40, off
.LBB456_302:
	s_or_b32 exec_lo, exec_lo, s17
	s_delay_alu instid0(SALU_CYCLE_1)
	s_and_b32 s17, s0, exec_lo
	s_and_not1_saveexec_b32 s15, s15
	s_cbranch_execz .LBB456_193
.LBB456_303:
	v_sub_nc_u32_e32 v13, v55, v3
	v_mov_b32_e32 v14, 0
	s_or_b32 s17, s17, exec_lo
	s_delay_alu instid0(VALU_DEP_1) | instskip(SKIP_1) | instid1(VALU_DEP_1)
	v_lshlrev_b64 v[15:16], 1, v[13:14]
	v_sub_nc_u32_e32 v13, v49, v3
	v_lshlrev_b64 v[17:18], 1, v[13:14]
	v_sub_nc_u32_e32 v13, v51, v3
	s_delay_alu instid0(VALU_DEP_4) | instskip(SKIP_1) | instid1(VALU_DEP_3)
	v_add_co_u32 v15, vcc_lo, v6, v15
	v_add_co_ci_u32_e32 v16, vcc_lo, v12, v16, vcc_lo
	v_lshlrev_b64 v[19:20], 1, v[13:14]
	v_sub_nc_u32_e32 v13, v47, v3
	v_add_co_u32 v17, vcc_lo, v6, v17
	v_add_co_ci_u32_e32 v18, vcc_lo, v12, v18, vcc_lo
	global_store_b16 v[15:16], v56, off
	v_lshlrev_b64 v[15:16], 1, v[13:14]
	v_sub_nc_u32_e32 v13, v35, v3
	global_store_b16 v[17:18], v50, off
	v_add_co_u32 v17, vcc_lo, v6, v19
	v_add_co_ci_u32_e32 v18, vcc_lo, v12, v20, vcc_lo
	v_lshlrev_b64 v[19:20], 1, v[13:14]
	v_sub_nc_u32_e32 v13, v31, v3
	v_add_co_u32 v15, vcc_lo, v6, v15
	v_add_co_ci_u32_e32 v16, vcc_lo, v12, v16, vcc_lo
	s_delay_alu instid0(VALU_DEP_3) | instskip(SKIP_3) | instid1(VALU_DEP_3)
	v_lshlrev_b64 v[21:22], 1, v[13:14]
	v_sub_nc_u32_e32 v13, v33, v3
	v_add_co_u32 v19, vcc_lo, v6, v19
	v_add_co_ci_u32_e32 v20, vcc_lo, v12, v20, vcc_lo
	v_lshlrev_b64 v[23:24], 1, v[13:14]
	v_sub_nc_u32_e32 v13, v53, v3
	v_add_co_u32 v21, vcc_lo, v6, v21
	v_add_co_ci_u32_e32 v22, vcc_lo, v12, v22, vcc_lo
	s_clause 0x3
	global_store_b16 v[17:18], v52, off
	global_store_b16 v[15:16], v48, off
	;; [unrolled: 1-line block ×4, first 2 shown]
	v_lshlrev_b64 v[15:16], 1, v[13:14]
	v_sub_nc_u32_e32 v13, v57, v3
	v_add_co_u32 v17, vcc_lo, v6, v23
	v_add_co_ci_u32_e32 v18, vcc_lo, v12, v24, vcc_lo
	s_delay_alu instid0(VALU_DEP_3) | instskip(SKIP_3) | instid1(VALU_DEP_3)
	v_lshlrev_b64 v[19:20], 1, v[13:14]
	v_sub_nc_u32_e32 v13, v45, v3
	v_add_co_u32 v15, vcc_lo, v6, v15
	v_add_co_ci_u32_e32 v16, vcc_lo, v12, v16, vcc_lo
	v_lshlrev_b64 v[21:22], 1, v[13:14]
	v_sub_nc_u32_e32 v13, v43, v3
	v_add_co_u32 v19, vcc_lo, v6, v19
	v_add_co_ci_u32_e32 v20, vcc_lo, v12, v20, vcc_lo
	s_delay_alu instid0(VALU_DEP_3)
	v_lshlrev_b64 v[23:24], 1, v[13:14]
	v_sub_nc_u32_e32 v13, v37, v3
	v_add_co_u32 v21, vcc_lo, v6, v21
	v_add_co_ci_u32_e32 v22, vcc_lo, v12, v22, vcc_lo
	s_clause 0x3
	global_store_b16 v[17:18], v34, off
	global_store_b16 v[15:16], v54, off
	;; [unrolled: 1-line block ×4, first 2 shown]
	v_lshlrev_b64 v[15:16], 1, v[13:14]
	v_sub_nc_u32_e32 v13, v41, v3
	v_add_co_u32 v17, vcc_lo, v6, v23
	v_add_co_ci_u32_e32 v18, vcc_lo, v12, v24, vcc_lo
	s_delay_alu instid0(VALU_DEP_3) | instskip(SKIP_3) | instid1(VALU_DEP_3)
	v_lshlrev_b64 v[19:20], 1, v[13:14]
	v_sub_nc_u32_e32 v13, v39, v3
	v_add_co_u32 v15, vcc_lo, v6, v15
	v_add_co_ci_u32_e32 v16, vcc_lo, v12, v16, vcc_lo
	v_lshlrev_b64 v[13:14], 1, v[13:14]
	v_add_co_u32 v19, vcc_lo, v6, v19
	v_add_co_ci_u32_e32 v20, vcc_lo, v12, v20, vcc_lo
	s_clause 0x2
	global_store_b16 v[17:18], v44, off
	global_store_b16 v[15:16], v38, off
	;; [unrolled: 1-line block ×3, first 2 shown]
	v_add_co_u32 v13, vcc_lo, v6, v13
	v_add_co_ci_u32_e32 v14, vcc_lo, v12, v14, vcc_lo
	global_store_b16 v[13:14], v40, off
	s_or_b32 exec_lo, exec_lo, s15
	s_delay_alu instid0(SALU_CYCLE_1)
	s_and_b32 exec_lo, exec_lo, s17
	s_cbranch_execnz .LBB456_194
	s_branch .LBB456_195
.LBB456_304:
	s_and_saveexec_b32 s17, s14
	s_cbranch_execnz .LBB456_360
; %bb.305:
	s_or_b32 exec_lo, exec_lo, s17
	s_and_saveexec_b32 s14, s13
	s_cbranch_execnz .LBB456_361
.LBB456_306:
	s_or_b32 exec_lo, exec_lo, s14
	s_and_saveexec_b32 s13, s12
	s_cbranch_execnz .LBB456_362
.LBB456_307:
	s_or_b32 exec_lo, exec_lo, s13
	s_and_saveexec_b32 s12, s11
	s_cbranch_execnz .LBB456_363
.LBB456_308:
	s_or_b32 exec_lo, exec_lo, s12
	s_and_saveexec_b32 s11, s10
	s_cbranch_execnz .LBB456_364
.LBB456_309:
	s_or_b32 exec_lo, exec_lo, s11
	s_and_saveexec_b32 s10, s9
	s_cbranch_execnz .LBB456_365
.LBB456_310:
	s_or_b32 exec_lo, exec_lo, s10
	s_and_saveexec_b32 s9, s8
	s_cbranch_execnz .LBB456_366
.LBB456_311:
	s_or_b32 exec_lo, exec_lo, s9
	s_and_saveexec_b32 s8, s7
	s_cbranch_execnz .LBB456_367
.LBB456_312:
	s_or_b32 exec_lo, exec_lo, s8
	s_and_saveexec_b32 s7, s6
	s_cbranch_execnz .LBB456_368
.LBB456_313:
	s_or_b32 exec_lo, exec_lo, s7
	s_and_saveexec_b32 s6, s5
	s_cbranch_execnz .LBB456_369
.LBB456_314:
	s_or_b32 exec_lo, exec_lo, s6
	s_and_saveexec_b32 s5, s4
	s_cbranch_execnz .LBB456_370
.LBB456_315:
	s_or_b32 exec_lo, exec_lo, s5
	s_and_saveexec_b32 s4, s3
	s_cbranch_execnz .LBB456_371
.LBB456_316:
	s_or_b32 exec_lo, exec_lo, s4
	s_and_saveexec_b32 s3, s2
	s_cbranch_execnz .LBB456_372
.LBB456_317:
	s_or_b32 exec_lo, exec_lo, s3
	s_and_saveexec_b32 s2, s1
	s_cbranch_execz .LBB456_319
.LBB456_318:
	v_sub_nc_u32_e32 v8, v39, v3
	s_delay_alu instid0(VALU_DEP_1)
	v_lshlrev_b32_e32 v8, 1, v8
	ds_store_b16 v8, v40
.LBB456_319:
	s_or_b32 exec_lo, exec_lo, s2
	s_delay_alu instid0(SALU_CYCLE_1)
	s_and_b32 s17, s0, exec_lo
                                        ; implicit-def: $vgpr55_vgpr56
                                        ; implicit-def: $vgpr49_vgpr50
                                        ; implicit-def: $vgpr51_vgpr52
                                        ; implicit-def: $vgpr47_vgpr48
                                        ; implicit-def: $vgpr35_vgpr36
                                        ; implicit-def: $vgpr31_vgpr32
                                        ; implicit-def: $vgpr33_vgpr34
                                        ; implicit-def: $vgpr53_vgpr54
                                        ; implicit-def: $vgpr57_vgpr58
                                        ; implicit-def: $vgpr45_vgpr46
                                        ; implicit-def: $vgpr43_vgpr44
                                        ; implicit-def: $vgpr37_vgpr38
                                        ; implicit-def: $vgpr41_vgpr42
                                        ; implicit-def: $vgpr39_vgpr40
	s_and_not1_saveexec_b32 s0, s16
	s_cbranch_execz .LBB456_199
.LBB456_320:
	v_sub_nc_u32_e32 v8, v55, v3
	v_sub_nc_u32_e32 v9, v49, v3
	;; [unrolled: 1-line block ×5, first 2 shown]
	v_lshlrev_b32_e32 v8, 1, v8
	v_lshlrev_b32_e32 v9, 1, v9
	v_lshlrev_b32_e32 v13, 1, v13
	v_lshlrev_b32_e32 v14, 1, v14
	s_or_b32 s17, s17, exec_lo
	ds_store_b16 v8, v56
	ds_store_b16 v9, v50
	;; [unrolled: 1-line block ×3, first 2 shown]
	v_sub_nc_u32_e32 v8, v35, v3
	v_sub_nc_u32_e32 v9, v31, v3
	;; [unrolled: 1-line block ×3, first 2 shown]
	ds_store_b16 v14, v48
	v_sub_nc_u32_e32 v14, v53, v3
	v_lshlrev_b32_e32 v8, 1, v8
	v_lshlrev_b32_e32 v9, 1, v9
	;; [unrolled: 1-line block ×3, first 2 shown]
	s_delay_alu instid0(VALU_DEP_4)
	v_lshlrev_b32_e32 v14, 1, v14
	ds_store_b16 v8, v36
	v_lshlrev_b32_e32 v8, 1, v15
	ds_store_b16 v9, v32
	ds_store_b16 v13, v34
	;; [unrolled: 1-line block ×3, first 2 shown]
	v_sub_nc_u32_e32 v9, v45, v3
	v_sub_nc_u32_e32 v15, v39, v3
	v_sub_nc_u32_e32 v13, v37, v3
	ds_store_b16 v8, v58
	v_sub_nc_u32_e32 v8, v43, v3
	v_lshlrev_b32_e32 v9, 1, v9
	v_sub_nc_u32_e32 v14, v41, v3
	v_lshlrev_b32_e32 v13, 1, v13
	s_delay_alu instid0(VALU_DEP_4)
	v_lshlrev_b32_e32 v8, 1, v8
	ds_store_b16 v9, v46
	v_lshlrev_b32_e32 v9, 1, v15
	v_lshlrev_b32_e32 v14, 1, v14
	ds_store_b16 v8, v44
	ds_store_b16 v13, v38
	;; [unrolled: 1-line block ×4, first 2 shown]
	s_or_b32 exec_lo, exec_lo, s0
	s_delay_alu instid0(SALU_CYCLE_1)
	s_and_b32 exec_lo, exec_lo, s17
	s_cbranch_execnz .LBB456_200
	s_branch .LBB456_201
.LBB456_321:
	v_sub_nc_u32_e32 v65, v55, v7
	v_mov_b32_e32 v66, 0
	s_delay_alu instid0(VALU_DEP_1) | instskip(NEXT) | instid1(VALU_DEP_1)
	v_lshlrev_b64 v[65:66], 1, v[65:66]
	v_add_co_u32 v65, vcc_lo, v6, v65
	s_delay_alu instid0(VALU_DEP_2)
	v_add_co_ci_u32_e32 v66, vcc_lo, v63, v66, vcc_lo
	global_store_b16 v[65:66], v62, off
	s_or_b32 exec_lo, exec_lo, s17
	s_and_saveexec_b32 s17, s13
	s_cbranch_execz .LBB456_255
.LBB456_322:
	v_sub_nc_u32_e32 v65, v49, v7
	v_mov_b32_e32 v66, 0
	s_delay_alu instid0(VALU_DEP_1) | instskip(NEXT) | instid1(VALU_DEP_1)
	v_lshlrev_b64 v[65:66], 1, v[65:66]
	v_add_co_u32 v65, vcc_lo, v6, v65
	s_delay_alu instid0(VALU_DEP_2)
	v_add_co_ci_u32_e32 v66, vcc_lo, v63, v66, vcc_lo
	global_store_b16 v[65:66], v1, off
	s_or_b32 exec_lo, exec_lo, s17
	s_and_saveexec_b32 s17, s12
	s_cbranch_execz .LBB456_256
.LBB456_323:
	v_sub_nc_u32_e32 v65, v51, v7
	v_mov_b32_e32 v66, 0
	s_delay_alu instid0(VALU_DEP_1) | instskip(NEXT) | instid1(VALU_DEP_1)
	v_lshlrev_b64 v[65:66], 1, v[65:66]
	v_add_co_u32 v65, vcc_lo, v6, v65
	s_delay_alu instid0(VALU_DEP_2)
	v_add_co_ci_u32_e32 v66, vcc_lo, v63, v66, vcc_lo
	global_store_d16_hi_b16 v[65:66], v1, off
	s_or_b32 exec_lo, exec_lo, s17
	s_and_saveexec_b32 s17, s11
	s_cbranch_execz .LBB456_257
.LBB456_324:
	v_sub_nc_u32_e32 v65, v47, v7
	v_mov_b32_e32 v66, 0
	s_delay_alu instid0(VALU_DEP_1) | instskip(NEXT) | instid1(VALU_DEP_1)
	v_lshlrev_b64 v[65:66], 1, v[65:66]
	v_add_co_u32 v65, vcc_lo, v6, v65
	s_delay_alu instid0(VALU_DEP_2)
	v_add_co_ci_u32_e32 v66, vcc_lo, v63, v66, vcc_lo
	global_store_b16 v[65:66], v2, off
	s_or_b32 exec_lo, exec_lo, s17
	s_and_saveexec_b32 s17, s10
	s_cbranch_execz .LBB456_258
.LBB456_325:
	v_sub_nc_u32_e32 v65, v35, v7
	v_mov_b32_e32 v66, 0
	s_delay_alu instid0(VALU_DEP_1) | instskip(NEXT) | instid1(VALU_DEP_1)
	v_lshlrev_b64 v[65:66], 1, v[65:66]
	v_add_co_u32 v65, vcc_lo, v6, v65
	s_delay_alu instid0(VALU_DEP_2)
	v_add_co_ci_u32_e32 v66, vcc_lo, v63, v66, vcc_lo
	global_store_d16_hi_b16 v[65:66], v2, off
	s_or_b32 exec_lo, exec_lo, s17
	s_and_saveexec_b32 s17, s9
	s_cbranch_execz .LBB456_259
.LBB456_326:
	v_sub_nc_u32_e32 v65, v31, v7
	v_mov_b32_e32 v66, 0
	s_delay_alu instid0(VALU_DEP_1) | instskip(NEXT) | instid1(VALU_DEP_1)
	v_lshlrev_b64 v[65:66], 1, v[65:66]
	v_add_co_u32 v65, vcc_lo, v6, v65
	s_delay_alu instid0(VALU_DEP_2)
	v_add_co_ci_u32_e32 v66, vcc_lo, v63, v66, vcc_lo
	global_store_b16 v[65:66], v3, off
	s_or_b32 exec_lo, exec_lo, s17
	s_and_saveexec_b32 s17, s7
	s_cbranch_execz .LBB456_260
.LBB456_327:
	v_sub_nc_u32_e32 v65, v33, v7
	v_mov_b32_e32 v66, 0
	s_delay_alu instid0(VALU_DEP_1) | instskip(NEXT) | instid1(VALU_DEP_1)
	v_lshlrev_b64 v[65:66], 1, v[65:66]
	v_add_co_u32 v65, vcc_lo, v6, v65
	s_delay_alu instid0(VALU_DEP_2)
	v_add_co_ci_u32_e32 v66, vcc_lo, v63, v66, vcc_lo
	global_store_d16_hi_b16 v[65:66], v3, off
	s_or_b32 exec_lo, exec_lo, s17
	s_and_saveexec_b32 s17, s5
	s_cbranch_execz .LBB456_261
.LBB456_328:
	v_sub_nc_u32_e32 v65, v53, v7
	v_mov_b32_e32 v66, 0
	s_delay_alu instid0(VALU_DEP_1) | instskip(NEXT) | instid1(VALU_DEP_1)
	v_lshlrev_b64 v[65:66], 1, v[65:66]
	v_add_co_u32 v65, vcc_lo, v6, v65
	s_delay_alu instid0(VALU_DEP_2)
	v_add_co_ci_u32_e32 v66, vcc_lo, v63, v66, vcc_lo
	global_store_b16 v[65:66], v4, off
	s_or_b32 exec_lo, exec_lo, s17
	s_and_saveexec_b32 s17, s8
	s_cbranch_execz .LBB456_262
.LBB456_329:
	v_sub_nc_u32_e32 v65, v57, v7
	v_mov_b32_e32 v66, 0
	s_delay_alu instid0(VALU_DEP_1) | instskip(NEXT) | instid1(VALU_DEP_1)
	v_lshlrev_b64 v[65:66], 1, v[65:66]
	v_add_co_u32 v65, vcc_lo, v6, v65
	s_delay_alu instid0(VALU_DEP_2)
	v_add_co_ci_u32_e32 v66, vcc_lo, v63, v66, vcc_lo
	global_store_d16_hi_b16 v[65:66], v4, off
	s_or_b32 exec_lo, exec_lo, s17
	s_and_saveexec_b32 s17, s6
	s_cbranch_execz .LBB456_263
.LBB456_330:
	v_sub_nc_u32_e32 v65, v45, v7
	v_mov_b32_e32 v66, 0
	s_delay_alu instid0(VALU_DEP_1) | instskip(NEXT) | instid1(VALU_DEP_1)
	v_lshlrev_b64 v[65:66], 1, v[65:66]
	v_add_co_u32 v65, vcc_lo, v6, v65
	s_delay_alu instid0(VALU_DEP_2)
	v_add_co_ci_u32_e32 v66, vcc_lo, v63, v66, vcc_lo
	global_store_b16 v[65:66], v10, off
	s_or_b32 exec_lo, exec_lo, s17
	s_and_saveexec_b32 s17, s4
	s_cbranch_execz .LBB456_264
.LBB456_331:
	v_sub_nc_u32_e32 v65, v43, v7
	v_mov_b32_e32 v66, 0
	s_delay_alu instid0(VALU_DEP_1) | instskip(NEXT) | instid1(VALU_DEP_1)
	v_lshlrev_b64 v[65:66], 1, v[65:66]
	v_add_co_u32 v65, vcc_lo, v6, v65
	s_delay_alu instid0(VALU_DEP_2)
	v_add_co_ci_u32_e32 v66, vcc_lo, v63, v66, vcc_lo
	global_store_d16_hi_b16 v[65:66], v10, off
	s_or_b32 exec_lo, exec_lo, s17
	s_and_saveexec_b32 s17, s3
	s_cbranch_execz .LBB456_265
.LBB456_332:
	v_sub_nc_u32_e32 v65, v37, v7
	v_mov_b32_e32 v66, 0
	s_delay_alu instid0(VALU_DEP_1) | instskip(NEXT) | instid1(VALU_DEP_1)
	v_lshlrev_b64 v[65:66], 1, v[65:66]
	v_add_co_u32 v65, vcc_lo, v6, v65
	s_delay_alu instid0(VALU_DEP_2)
	v_add_co_ci_u32_e32 v66, vcc_lo, v63, v66, vcc_lo
	global_store_b16 v[65:66], v11, off
	s_or_b32 exec_lo, exec_lo, s17
	s_and_saveexec_b32 s17, s2
	s_cbranch_execz .LBB456_266
.LBB456_333:
	v_sub_nc_u32_e32 v65, v41, v7
	v_mov_b32_e32 v66, 0
	s_delay_alu instid0(VALU_DEP_1) | instskip(NEXT) | instid1(VALU_DEP_1)
	v_lshlrev_b64 v[65:66], 1, v[65:66]
	v_add_co_u32 v65, vcc_lo, v6, v65
	s_delay_alu instid0(VALU_DEP_2)
	v_add_co_ci_u32_e32 v66, vcc_lo, v63, v66, vcc_lo
	global_store_d16_hi_b16 v[65:66], v11, off
	s_or_b32 exec_lo, exec_lo, s17
	s_and_saveexec_b32 s17, s1
	s_cbranch_execnz .LBB456_267
	s_branch .LBB456_268
.LBB456_334:
	v_sub_nc_u32_e32 v64, v55, v7
	s_delay_alu instid0(VALU_DEP_1)
	v_lshlrev_b32_e32 v64, 1, v64
	ds_store_b16 v64, v62
	s_or_b32 exec_lo, exec_lo, s17
	s_and_saveexec_b32 s14, s13
	s_cbranch_execz .LBB456_272
.LBB456_335:
	v_sub_nc_u32_e32 v62, v49, v7
	s_delay_alu instid0(VALU_DEP_1)
	v_lshlrev_b32_e32 v62, 1, v62
	ds_store_b16 v62, v1
	s_or_b32 exec_lo, exec_lo, s14
	s_and_saveexec_b32 s13, s12
	s_cbranch_execz .LBB456_273
.LBB456_336:
	v_sub_nc_u32_e32 v62, v51, v7
	s_delay_alu instid0(VALU_DEP_1)
	v_lshlrev_b32_e32 v62, 1, v62
	ds_store_b16_d16_hi v62, v1
	s_or_b32 exec_lo, exec_lo, s13
	s_and_saveexec_b32 s12, s11
	s_cbranch_execz .LBB456_274
.LBB456_337:
	v_sub_nc_u32_e32 v1, v47, v7
	s_delay_alu instid0(VALU_DEP_1)
	v_lshlrev_b32_e32 v1, 1, v1
	ds_store_b16 v1, v2
	s_or_b32 exec_lo, exec_lo, s12
	s_and_saveexec_b32 s11, s10
	s_cbranch_execz .LBB456_275
.LBB456_338:
	v_sub_nc_u32_e32 v1, v35, v7
	s_delay_alu instid0(VALU_DEP_1)
	v_lshlrev_b32_e32 v1, 1, v1
	ds_store_b16_d16_hi v1, v2
	s_or_b32 exec_lo, exec_lo, s11
	s_and_saveexec_b32 s10, s9
	s_cbranch_execz .LBB456_276
.LBB456_339:
	v_sub_nc_u32_e32 v1, v31, v7
	s_delay_alu instid0(VALU_DEP_1)
	v_lshlrev_b32_e32 v1, 1, v1
	ds_store_b16 v1, v3
	s_or_b32 exec_lo, exec_lo, s10
	s_and_saveexec_b32 s9, s7
	s_cbranch_execz .LBB456_277
.LBB456_340:
	v_sub_nc_u32_e32 v1, v33, v7
	s_delay_alu instid0(VALU_DEP_1)
	v_lshlrev_b32_e32 v1, 1, v1
	ds_store_b16_d16_hi v1, v3
	s_or_b32 exec_lo, exec_lo, s9
	s_and_saveexec_b32 s7, s5
	s_cbranch_execz .LBB456_278
.LBB456_341:
	v_sub_nc_u32_e32 v1, v53, v7
	s_delay_alu instid0(VALU_DEP_1)
	v_lshlrev_b32_e32 v1, 1, v1
	ds_store_b16 v1, v4
	s_or_b32 exec_lo, exec_lo, s7
	s_and_saveexec_b32 s5, s8
	s_cbranch_execz .LBB456_279
.LBB456_342:
	v_sub_nc_u32_e32 v1, v57, v7
	s_delay_alu instid0(VALU_DEP_1)
	v_lshlrev_b32_e32 v1, 1, v1
	ds_store_b16_d16_hi v1, v4
	s_or_b32 exec_lo, exec_lo, s5
	s_and_saveexec_b32 s5, s6
	s_cbranch_execz .LBB456_280
.LBB456_343:
	v_sub_nc_u32_e32 v1, v45, v7
	s_delay_alu instid0(VALU_DEP_1)
	v_lshlrev_b32_e32 v1, 1, v1
	ds_store_b16 v1, v10
	s_or_b32 exec_lo, exec_lo, s5
	s_and_saveexec_b32 s5, s4
	s_cbranch_execz .LBB456_281
.LBB456_344:
	v_sub_nc_u32_e32 v1, v43, v7
	s_delay_alu instid0(VALU_DEP_1)
	v_lshlrev_b32_e32 v1, 1, v1
	ds_store_b16_d16_hi v1, v10
	s_or_b32 exec_lo, exec_lo, s5
	s_and_saveexec_b32 s4, s3
	s_cbranch_execz .LBB456_282
.LBB456_345:
	v_sub_nc_u32_e32 v1, v37, v7
	s_delay_alu instid0(VALU_DEP_1)
	v_lshlrev_b32_e32 v1, 1, v1
	ds_store_b16 v1, v11
	s_or_b32 exec_lo, exec_lo, s4
	s_and_saveexec_b32 s3, s2
	s_cbranch_execz .LBB456_283
.LBB456_346:
	v_sub_nc_u32_e32 v1, v41, v7
	s_delay_alu instid0(VALU_DEP_1)
	v_lshlrev_b32_e32 v1, 1, v1
	ds_store_b16_d16_hi v1, v11
	s_or_b32 exec_lo, exec_lo, s3
	s_and_saveexec_b32 s2, s1
	s_cbranch_execnz .LBB456_284
	s_branch .LBB456_285
.LBB456_347:
	v_sub_nc_u32_e32 v13, v55, v3
	v_mov_b32_e32 v14, 0
	s_delay_alu instid0(VALU_DEP_1) | instskip(NEXT) | instid1(VALU_DEP_1)
	v_lshlrev_b64 v[13:14], 1, v[13:14]
	v_add_co_u32 v13, vcc_lo, v6, v13
	s_delay_alu instid0(VALU_DEP_2)
	v_add_co_ci_u32_e32 v14, vcc_lo, v12, v14, vcc_lo
	global_store_b16 v[13:14], v56, off
	s_or_b32 exec_lo, exec_lo, s17
	s_and_saveexec_b32 s17, s13
	s_cbranch_execz .LBB456_289
.LBB456_348:
	v_sub_nc_u32_e32 v13, v49, v3
	v_mov_b32_e32 v14, 0
	s_delay_alu instid0(VALU_DEP_1) | instskip(NEXT) | instid1(VALU_DEP_1)
	v_lshlrev_b64 v[13:14], 1, v[13:14]
	v_add_co_u32 v13, vcc_lo, v6, v13
	s_delay_alu instid0(VALU_DEP_2)
	v_add_co_ci_u32_e32 v14, vcc_lo, v12, v14, vcc_lo
	global_store_b16 v[13:14], v50, off
	s_or_b32 exec_lo, exec_lo, s17
	s_and_saveexec_b32 s17, s12
	s_cbranch_execz .LBB456_290
.LBB456_349:
	v_sub_nc_u32_e32 v13, v51, v3
	v_mov_b32_e32 v14, 0
	s_delay_alu instid0(VALU_DEP_1) | instskip(NEXT) | instid1(VALU_DEP_1)
	v_lshlrev_b64 v[13:14], 1, v[13:14]
	v_add_co_u32 v13, vcc_lo, v6, v13
	s_delay_alu instid0(VALU_DEP_2)
	v_add_co_ci_u32_e32 v14, vcc_lo, v12, v14, vcc_lo
	global_store_b16 v[13:14], v52, off
	s_or_b32 exec_lo, exec_lo, s17
	s_and_saveexec_b32 s17, s11
	s_cbranch_execz .LBB456_291
.LBB456_350:
	v_sub_nc_u32_e32 v13, v47, v3
	v_mov_b32_e32 v14, 0
	s_delay_alu instid0(VALU_DEP_1) | instskip(NEXT) | instid1(VALU_DEP_1)
	v_lshlrev_b64 v[13:14], 1, v[13:14]
	v_add_co_u32 v13, vcc_lo, v6, v13
	s_delay_alu instid0(VALU_DEP_2)
	v_add_co_ci_u32_e32 v14, vcc_lo, v12, v14, vcc_lo
	global_store_b16 v[13:14], v48, off
	s_or_b32 exec_lo, exec_lo, s17
	s_and_saveexec_b32 s17, s10
	s_cbranch_execz .LBB456_292
.LBB456_351:
	v_sub_nc_u32_e32 v13, v35, v3
	v_mov_b32_e32 v14, 0
	s_delay_alu instid0(VALU_DEP_1) | instskip(NEXT) | instid1(VALU_DEP_1)
	v_lshlrev_b64 v[13:14], 1, v[13:14]
	v_add_co_u32 v13, vcc_lo, v6, v13
	s_delay_alu instid0(VALU_DEP_2)
	v_add_co_ci_u32_e32 v14, vcc_lo, v12, v14, vcc_lo
	global_store_b16 v[13:14], v36, off
	s_or_b32 exec_lo, exec_lo, s17
	s_and_saveexec_b32 s17, s9
	s_cbranch_execz .LBB456_293
.LBB456_352:
	v_sub_nc_u32_e32 v13, v31, v3
	v_mov_b32_e32 v14, 0
	s_delay_alu instid0(VALU_DEP_1) | instskip(NEXT) | instid1(VALU_DEP_1)
	v_lshlrev_b64 v[13:14], 1, v[13:14]
	v_add_co_u32 v13, vcc_lo, v6, v13
	s_delay_alu instid0(VALU_DEP_2)
	v_add_co_ci_u32_e32 v14, vcc_lo, v12, v14, vcc_lo
	global_store_b16 v[13:14], v32, off
	s_or_b32 exec_lo, exec_lo, s17
	s_and_saveexec_b32 s17, s8
	s_cbranch_execz .LBB456_294
.LBB456_353:
	v_sub_nc_u32_e32 v13, v33, v3
	v_mov_b32_e32 v14, 0
	s_delay_alu instid0(VALU_DEP_1) | instskip(NEXT) | instid1(VALU_DEP_1)
	v_lshlrev_b64 v[13:14], 1, v[13:14]
	v_add_co_u32 v13, vcc_lo, v6, v13
	s_delay_alu instid0(VALU_DEP_2)
	v_add_co_ci_u32_e32 v14, vcc_lo, v12, v14, vcc_lo
	global_store_b16 v[13:14], v34, off
	s_or_b32 exec_lo, exec_lo, s17
	s_and_saveexec_b32 s17, s7
	s_cbranch_execz .LBB456_295
.LBB456_354:
	v_sub_nc_u32_e32 v13, v53, v3
	v_mov_b32_e32 v14, 0
	s_delay_alu instid0(VALU_DEP_1) | instskip(NEXT) | instid1(VALU_DEP_1)
	v_lshlrev_b64 v[13:14], 1, v[13:14]
	v_add_co_u32 v13, vcc_lo, v6, v13
	s_delay_alu instid0(VALU_DEP_2)
	v_add_co_ci_u32_e32 v14, vcc_lo, v12, v14, vcc_lo
	global_store_b16 v[13:14], v54, off
	s_or_b32 exec_lo, exec_lo, s17
	s_and_saveexec_b32 s17, s6
	s_cbranch_execz .LBB456_296
.LBB456_355:
	v_sub_nc_u32_e32 v13, v57, v3
	v_mov_b32_e32 v14, 0
	s_delay_alu instid0(VALU_DEP_1) | instskip(NEXT) | instid1(VALU_DEP_1)
	v_lshlrev_b64 v[13:14], 1, v[13:14]
	v_add_co_u32 v13, vcc_lo, v6, v13
	s_delay_alu instid0(VALU_DEP_2)
	v_add_co_ci_u32_e32 v14, vcc_lo, v12, v14, vcc_lo
	global_store_b16 v[13:14], v58, off
	s_or_b32 exec_lo, exec_lo, s17
	s_and_saveexec_b32 s17, s5
	s_cbranch_execz .LBB456_297
.LBB456_356:
	v_sub_nc_u32_e32 v13, v45, v3
	v_mov_b32_e32 v14, 0
	s_delay_alu instid0(VALU_DEP_1) | instskip(NEXT) | instid1(VALU_DEP_1)
	v_lshlrev_b64 v[13:14], 1, v[13:14]
	v_add_co_u32 v13, vcc_lo, v6, v13
	s_delay_alu instid0(VALU_DEP_2)
	v_add_co_ci_u32_e32 v14, vcc_lo, v12, v14, vcc_lo
	global_store_b16 v[13:14], v46, off
	s_or_b32 exec_lo, exec_lo, s17
	s_and_saveexec_b32 s17, s4
	s_cbranch_execz .LBB456_298
.LBB456_357:
	v_sub_nc_u32_e32 v13, v43, v3
	v_mov_b32_e32 v14, 0
	s_delay_alu instid0(VALU_DEP_1) | instskip(NEXT) | instid1(VALU_DEP_1)
	v_lshlrev_b64 v[13:14], 1, v[13:14]
	v_add_co_u32 v13, vcc_lo, v6, v13
	s_delay_alu instid0(VALU_DEP_2)
	v_add_co_ci_u32_e32 v14, vcc_lo, v12, v14, vcc_lo
	global_store_b16 v[13:14], v44, off
	s_or_b32 exec_lo, exec_lo, s17
	s_and_saveexec_b32 s17, s3
	s_cbranch_execz .LBB456_299
.LBB456_358:
	v_sub_nc_u32_e32 v13, v37, v3
	v_mov_b32_e32 v14, 0
	s_delay_alu instid0(VALU_DEP_1) | instskip(NEXT) | instid1(VALU_DEP_1)
	v_lshlrev_b64 v[13:14], 1, v[13:14]
	v_add_co_u32 v13, vcc_lo, v6, v13
	s_delay_alu instid0(VALU_DEP_2)
	v_add_co_ci_u32_e32 v14, vcc_lo, v12, v14, vcc_lo
	global_store_b16 v[13:14], v38, off
	s_or_b32 exec_lo, exec_lo, s17
	s_and_saveexec_b32 s17, s2
	s_cbranch_execz .LBB456_300
.LBB456_359:
	v_sub_nc_u32_e32 v13, v41, v3
	v_mov_b32_e32 v14, 0
	s_delay_alu instid0(VALU_DEP_1) | instskip(NEXT) | instid1(VALU_DEP_1)
	v_lshlrev_b64 v[13:14], 1, v[13:14]
	v_add_co_u32 v13, vcc_lo, v6, v13
	s_delay_alu instid0(VALU_DEP_2)
	v_add_co_ci_u32_e32 v14, vcc_lo, v12, v14, vcc_lo
	global_store_b16 v[13:14], v42, off
	s_or_b32 exec_lo, exec_lo, s17
	s_and_saveexec_b32 s17, s1
	s_cbranch_execnz .LBB456_301
	s_branch .LBB456_302
.LBB456_360:
	v_sub_nc_u32_e32 v8, v55, v3
	s_delay_alu instid0(VALU_DEP_1)
	v_lshlrev_b32_e32 v8, 1, v8
	ds_store_b16 v8, v56
	s_or_b32 exec_lo, exec_lo, s17
	s_and_saveexec_b32 s14, s13
	s_cbranch_execz .LBB456_306
.LBB456_361:
	v_sub_nc_u32_e32 v8, v49, v3
	s_delay_alu instid0(VALU_DEP_1)
	v_lshlrev_b32_e32 v8, 1, v8
	ds_store_b16 v8, v50
	s_or_b32 exec_lo, exec_lo, s14
	s_and_saveexec_b32 s13, s12
	s_cbranch_execz .LBB456_307
.LBB456_362:
	v_sub_nc_u32_e32 v8, v51, v3
	s_delay_alu instid0(VALU_DEP_1)
	v_lshlrev_b32_e32 v8, 1, v8
	ds_store_b16 v8, v52
	s_or_b32 exec_lo, exec_lo, s13
	s_and_saveexec_b32 s12, s11
	s_cbranch_execz .LBB456_308
.LBB456_363:
	v_sub_nc_u32_e32 v8, v47, v3
	s_delay_alu instid0(VALU_DEP_1)
	v_lshlrev_b32_e32 v8, 1, v8
	ds_store_b16 v8, v48
	s_or_b32 exec_lo, exec_lo, s12
	s_and_saveexec_b32 s11, s10
	s_cbranch_execz .LBB456_309
.LBB456_364:
	v_sub_nc_u32_e32 v8, v35, v3
	s_delay_alu instid0(VALU_DEP_1)
	v_lshlrev_b32_e32 v8, 1, v8
	ds_store_b16 v8, v36
	s_or_b32 exec_lo, exec_lo, s11
	s_and_saveexec_b32 s10, s9
	s_cbranch_execz .LBB456_310
.LBB456_365:
	v_sub_nc_u32_e32 v8, v31, v3
	s_delay_alu instid0(VALU_DEP_1)
	v_lshlrev_b32_e32 v8, 1, v8
	ds_store_b16 v8, v32
	s_or_b32 exec_lo, exec_lo, s10
	s_and_saveexec_b32 s9, s8
	s_cbranch_execz .LBB456_311
.LBB456_366:
	v_sub_nc_u32_e32 v8, v33, v3
	s_delay_alu instid0(VALU_DEP_1)
	v_lshlrev_b32_e32 v8, 1, v8
	ds_store_b16 v8, v34
	s_or_b32 exec_lo, exec_lo, s9
	s_and_saveexec_b32 s8, s7
	s_cbranch_execz .LBB456_312
.LBB456_367:
	v_sub_nc_u32_e32 v8, v53, v3
	s_delay_alu instid0(VALU_DEP_1)
	v_lshlrev_b32_e32 v8, 1, v8
	ds_store_b16 v8, v54
	s_or_b32 exec_lo, exec_lo, s8
	s_and_saveexec_b32 s7, s6
	s_cbranch_execz .LBB456_313
.LBB456_368:
	v_sub_nc_u32_e32 v8, v57, v3
	s_delay_alu instid0(VALU_DEP_1)
	v_lshlrev_b32_e32 v8, 1, v8
	ds_store_b16 v8, v58
	s_or_b32 exec_lo, exec_lo, s7
	s_and_saveexec_b32 s6, s5
	s_cbranch_execz .LBB456_314
.LBB456_369:
	v_sub_nc_u32_e32 v8, v45, v3
	s_delay_alu instid0(VALU_DEP_1)
	v_lshlrev_b32_e32 v8, 1, v8
	ds_store_b16 v8, v46
	s_or_b32 exec_lo, exec_lo, s6
	s_and_saveexec_b32 s5, s4
	s_cbranch_execz .LBB456_315
.LBB456_370:
	v_sub_nc_u32_e32 v8, v43, v3
	s_delay_alu instid0(VALU_DEP_1)
	v_lshlrev_b32_e32 v8, 1, v8
	ds_store_b16 v8, v44
	s_or_b32 exec_lo, exec_lo, s5
	s_and_saveexec_b32 s4, s3
	s_cbranch_execz .LBB456_316
.LBB456_371:
	v_sub_nc_u32_e32 v8, v37, v3
	s_delay_alu instid0(VALU_DEP_1)
	v_lshlrev_b32_e32 v8, 1, v8
	ds_store_b16 v8, v38
	s_or_b32 exec_lo, exec_lo, s4
	s_and_saveexec_b32 s3, s2
	s_cbranch_execz .LBB456_317
.LBB456_372:
	v_sub_nc_u32_e32 v8, v41, v3
	s_delay_alu instid0(VALU_DEP_1)
	v_lshlrev_b32_e32 v8, 1, v8
	ds_store_b16 v8, v42
	s_or_b32 exec_lo, exec_lo, s3
	s_and_saveexec_b32 s2, s1
	s_cbranch_execnz .LBB456_318
	s_branch .LBB456_319
	.section	.rodata,"a",@progbits
	.p2align	6, 0x0
	.amdhsa_kernel _ZN7rocprim17ROCPRIM_400000_NS6detail17trampoline_kernelINS0_14default_configENS1_29reduce_by_key_config_selectorIttN6thrust23THRUST_200600_302600_NS4plusItEEEEZZNS1_33reduce_by_key_impl_wrapped_configILNS1_25lookback_scan_determinismE0ES3_S9_NS6_6detail15normal_iteratorINS6_10device_ptrItEEEESG_SG_SG_PmS8_22is_equal_div_10_reduceItEEE10hipError_tPvRmT2_T3_mT4_T5_T6_T7_T8_P12ihipStream_tbENKUlT_T0_E_clISt17integral_constantIbLb1EES10_IbLb0EEEEDaSW_SX_EUlSW_E_NS1_11comp_targetILNS1_3genE9ELNS1_11target_archE1100ELNS1_3gpuE3ELNS1_3repE0EEENS1_30default_config_static_selectorELNS0_4arch9wavefront6targetE0EEEvT1_
		.amdhsa_group_segment_fixed_size 7680
		.amdhsa_private_segment_fixed_size 0
		.amdhsa_kernarg_size 120
		.amdhsa_user_sgpr_count 15
		.amdhsa_user_sgpr_dispatch_ptr 0
		.amdhsa_user_sgpr_queue_ptr 0
		.amdhsa_user_sgpr_kernarg_segment_ptr 1
		.amdhsa_user_sgpr_dispatch_id 0
		.amdhsa_user_sgpr_private_segment_size 0
		.amdhsa_wavefront_size32 1
		.amdhsa_uses_dynamic_stack 0
		.amdhsa_enable_private_segment 0
		.amdhsa_system_sgpr_workgroup_id_x 1
		.amdhsa_system_sgpr_workgroup_id_y 0
		.amdhsa_system_sgpr_workgroup_id_z 0
		.amdhsa_system_sgpr_workgroup_info 0
		.amdhsa_system_vgpr_workitem_id 0
		.amdhsa_next_free_vgpr 102
		.amdhsa_next_free_sgpr 44
		.amdhsa_reserve_vcc 1
		.amdhsa_float_round_mode_32 0
		.amdhsa_float_round_mode_16_64 0
		.amdhsa_float_denorm_mode_32 3
		.amdhsa_float_denorm_mode_16_64 3
		.amdhsa_dx10_clamp 1
		.amdhsa_ieee_mode 1
		.amdhsa_fp16_overflow 0
		.amdhsa_workgroup_processor_mode 1
		.amdhsa_memory_ordered 1
		.amdhsa_forward_progress 0
		.amdhsa_shared_vgpr_count 0
		.amdhsa_exception_fp_ieee_invalid_op 0
		.amdhsa_exception_fp_denorm_src 0
		.amdhsa_exception_fp_ieee_div_zero 0
		.amdhsa_exception_fp_ieee_overflow 0
		.amdhsa_exception_fp_ieee_underflow 0
		.amdhsa_exception_fp_ieee_inexact 0
		.amdhsa_exception_int_div_zero 0
	.end_amdhsa_kernel
	.section	.text._ZN7rocprim17ROCPRIM_400000_NS6detail17trampoline_kernelINS0_14default_configENS1_29reduce_by_key_config_selectorIttN6thrust23THRUST_200600_302600_NS4plusItEEEEZZNS1_33reduce_by_key_impl_wrapped_configILNS1_25lookback_scan_determinismE0ES3_S9_NS6_6detail15normal_iteratorINS6_10device_ptrItEEEESG_SG_SG_PmS8_22is_equal_div_10_reduceItEEE10hipError_tPvRmT2_T3_mT4_T5_T6_T7_T8_P12ihipStream_tbENKUlT_T0_E_clISt17integral_constantIbLb1EES10_IbLb0EEEEDaSW_SX_EUlSW_E_NS1_11comp_targetILNS1_3genE9ELNS1_11target_archE1100ELNS1_3gpuE3ELNS1_3repE0EEENS1_30default_config_static_selectorELNS0_4arch9wavefront6targetE0EEEvT1_,"axG",@progbits,_ZN7rocprim17ROCPRIM_400000_NS6detail17trampoline_kernelINS0_14default_configENS1_29reduce_by_key_config_selectorIttN6thrust23THRUST_200600_302600_NS4plusItEEEEZZNS1_33reduce_by_key_impl_wrapped_configILNS1_25lookback_scan_determinismE0ES3_S9_NS6_6detail15normal_iteratorINS6_10device_ptrItEEEESG_SG_SG_PmS8_22is_equal_div_10_reduceItEEE10hipError_tPvRmT2_T3_mT4_T5_T6_T7_T8_P12ihipStream_tbENKUlT_T0_E_clISt17integral_constantIbLb1EES10_IbLb0EEEEDaSW_SX_EUlSW_E_NS1_11comp_targetILNS1_3genE9ELNS1_11target_archE1100ELNS1_3gpuE3ELNS1_3repE0EEENS1_30default_config_static_selectorELNS0_4arch9wavefront6targetE0EEEvT1_,comdat
.Lfunc_end456:
	.size	_ZN7rocprim17ROCPRIM_400000_NS6detail17trampoline_kernelINS0_14default_configENS1_29reduce_by_key_config_selectorIttN6thrust23THRUST_200600_302600_NS4plusItEEEEZZNS1_33reduce_by_key_impl_wrapped_configILNS1_25lookback_scan_determinismE0ES3_S9_NS6_6detail15normal_iteratorINS6_10device_ptrItEEEESG_SG_SG_PmS8_22is_equal_div_10_reduceItEEE10hipError_tPvRmT2_T3_mT4_T5_T6_T7_T8_P12ihipStream_tbENKUlT_T0_E_clISt17integral_constantIbLb1EES10_IbLb0EEEEDaSW_SX_EUlSW_E_NS1_11comp_targetILNS1_3genE9ELNS1_11target_archE1100ELNS1_3gpuE3ELNS1_3repE0EEENS1_30default_config_static_selectorELNS0_4arch9wavefront6targetE0EEEvT1_, .Lfunc_end456-_ZN7rocprim17ROCPRIM_400000_NS6detail17trampoline_kernelINS0_14default_configENS1_29reduce_by_key_config_selectorIttN6thrust23THRUST_200600_302600_NS4plusItEEEEZZNS1_33reduce_by_key_impl_wrapped_configILNS1_25lookback_scan_determinismE0ES3_S9_NS6_6detail15normal_iteratorINS6_10device_ptrItEEEESG_SG_SG_PmS8_22is_equal_div_10_reduceItEEE10hipError_tPvRmT2_T3_mT4_T5_T6_T7_T8_P12ihipStream_tbENKUlT_T0_E_clISt17integral_constantIbLb1EES10_IbLb0EEEEDaSW_SX_EUlSW_E_NS1_11comp_targetILNS1_3genE9ELNS1_11target_archE1100ELNS1_3gpuE3ELNS1_3repE0EEENS1_30default_config_static_selectorELNS0_4arch9wavefront6targetE0EEEvT1_
                                        ; -- End function
	.section	.AMDGPU.csdata,"",@progbits
; Kernel info:
; codeLenInByte = 23308
; NumSgprs: 46
; NumVgprs: 102
; ScratchSize: 0
; MemoryBound: 0
; FloatMode: 240
; IeeeMode: 1
; LDSByteSize: 7680 bytes/workgroup (compile time only)
; SGPRBlocks: 5
; VGPRBlocks: 12
; NumSGPRsForWavesPerEU: 46
; NumVGPRsForWavesPerEU: 102
; Occupancy: 12
; WaveLimiterHint : 1
; COMPUTE_PGM_RSRC2:SCRATCH_EN: 0
; COMPUTE_PGM_RSRC2:USER_SGPR: 15
; COMPUTE_PGM_RSRC2:TRAP_HANDLER: 0
; COMPUTE_PGM_RSRC2:TGID_X_EN: 1
; COMPUTE_PGM_RSRC2:TGID_Y_EN: 0
; COMPUTE_PGM_RSRC2:TGID_Z_EN: 0
; COMPUTE_PGM_RSRC2:TIDIG_COMP_CNT: 0
	.section	.text._ZN7rocprim17ROCPRIM_400000_NS6detail17trampoline_kernelINS0_14default_configENS1_29reduce_by_key_config_selectorIttN6thrust23THRUST_200600_302600_NS4plusItEEEEZZNS1_33reduce_by_key_impl_wrapped_configILNS1_25lookback_scan_determinismE0ES3_S9_NS6_6detail15normal_iteratorINS6_10device_ptrItEEEESG_SG_SG_PmS8_22is_equal_div_10_reduceItEEE10hipError_tPvRmT2_T3_mT4_T5_T6_T7_T8_P12ihipStream_tbENKUlT_T0_E_clISt17integral_constantIbLb1EES10_IbLb0EEEEDaSW_SX_EUlSW_E_NS1_11comp_targetILNS1_3genE8ELNS1_11target_archE1030ELNS1_3gpuE2ELNS1_3repE0EEENS1_30default_config_static_selectorELNS0_4arch9wavefront6targetE0EEEvT1_,"axG",@progbits,_ZN7rocprim17ROCPRIM_400000_NS6detail17trampoline_kernelINS0_14default_configENS1_29reduce_by_key_config_selectorIttN6thrust23THRUST_200600_302600_NS4plusItEEEEZZNS1_33reduce_by_key_impl_wrapped_configILNS1_25lookback_scan_determinismE0ES3_S9_NS6_6detail15normal_iteratorINS6_10device_ptrItEEEESG_SG_SG_PmS8_22is_equal_div_10_reduceItEEE10hipError_tPvRmT2_T3_mT4_T5_T6_T7_T8_P12ihipStream_tbENKUlT_T0_E_clISt17integral_constantIbLb1EES10_IbLb0EEEEDaSW_SX_EUlSW_E_NS1_11comp_targetILNS1_3genE8ELNS1_11target_archE1030ELNS1_3gpuE2ELNS1_3repE0EEENS1_30default_config_static_selectorELNS0_4arch9wavefront6targetE0EEEvT1_,comdat
	.protected	_ZN7rocprim17ROCPRIM_400000_NS6detail17trampoline_kernelINS0_14default_configENS1_29reduce_by_key_config_selectorIttN6thrust23THRUST_200600_302600_NS4plusItEEEEZZNS1_33reduce_by_key_impl_wrapped_configILNS1_25lookback_scan_determinismE0ES3_S9_NS6_6detail15normal_iteratorINS6_10device_ptrItEEEESG_SG_SG_PmS8_22is_equal_div_10_reduceItEEE10hipError_tPvRmT2_T3_mT4_T5_T6_T7_T8_P12ihipStream_tbENKUlT_T0_E_clISt17integral_constantIbLb1EES10_IbLb0EEEEDaSW_SX_EUlSW_E_NS1_11comp_targetILNS1_3genE8ELNS1_11target_archE1030ELNS1_3gpuE2ELNS1_3repE0EEENS1_30default_config_static_selectorELNS0_4arch9wavefront6targetE0EEEvT1_ ; -- Begin function _ZN7rocprim17ROCPRIM_400000_NS6detail17trampoline_kernelINS0_14default_configENS1_29reduce_by_key_config_selectorIttN6thrust23THRUST_200600_302600_NS4plusItEEEEZZNS1_33reduce_by_key_impl_wrapped_configILNS1_25lookback_scan_determinismE0ES3_S9_NS6_6detail15normal_iteratorINS6_10device_ptrItEEEESG_SG_SG_PmS8_22is_equal_div_10_reduceItEEE10hipError_tPvRmT2_T3_mT4_T5_T6_T7_T8_P12ihipStream_tbENKUlT_T0_E_clISt17integral_constantIbLb1EES10_IbLb0EEEEDaSW_SX_EUlSW_E_NS1_11comp_targetILNS1_3genE8ELNS1_11target_archE1030ELNS1_3gpuE2ELNS1_3repE0EEENS1_30default_config_static_selectorELNS0_4arch9wavefront6targetE0EEEvT1_
	.globl	_ZN7rocprim17ROCPRIM_400000_NS6detail17trampoline_kernelINS0_14default_configENS1_29reduce_by_key_config_selectorIttN6thrust23THRUST_200600_302600_NS4plusItEEEEZZNS1_33reduce_by_key_impl_wrapped_configILNS1_25lookback_scan_determinismE0ES3_S9_NS6_6detail15normal_iteratorINS6_10device_ptrItEEEESG_SG_SG_PmS8_22is_equal_div_10_reduceItEEE10hipError_tPvRmT2_T3_mT4_T5_T6_T7_T8_P12ihipStream_tbENKUlT_T0_E_clISt17integral_constantIbLb1EES10_IbLb0EEEEDaSW_SX_EUlSW_E_NS1_11comp_targetILNS1_3genE8ELNS1_11target_archE1030ELNS1_3gpuE2ELNS1_3repE0EEENS1_30default_config_static_selectorELNS0_4arch9wavefront6targetE0EEEvT1_
	.p2align	8
	.type	_ZN7rocprim17ROCPRIM_400000_NS6detail17trampoline_kernelINS0_14default_configENS1_29reduce_by_key_config_selectorIttN6thrust23THRUST_200600_302600_NS4plusItEEEEZZNS1_33reduce_by_key_impl_wrapped_configILNS1_25lookback_scan_determinismE0ES3_S9_NS6_6detail15normal_iteratorINS6_10device_ptrItEEEESG_SG_SG_PmS8_22is_equal_div_10_reduceItEEE10hipError_tPvRmT2_T3_mT4_T5_T6_T7_T8_P12ihipStream_tbENKUlT_T0_E_clISt17integral_constantIbLb1EES10_IbLb0EEEEDaSW_SX_EUlSW_E_NS1_11comp_targetILNS1_3genE8ELNS1_11target_archE1030ELNS1_3gpuE2ELNS1_3repE0EEENS1_30default_config_static_selectorELNS0_4arch9wavefront6targetE0EEEvT1_,@function
_ZN7rocprim17ROCPRIM_400000_NS6detail17trampoline_kernelINS0_14default_configENS1_29reduce_by_key_config_selectorIttN6thrust23THRUST_200600_302600_NS4plusItEEEEZZNS1_33reduce_by_key_impl_wrapped_configILNS1_25lookback_scan_determinismE0ES3_S9_NS6_6detail15normal_iteratorINS6_10device_ptrItEEEESG_SG_SG_PmS8_22is_equal_div_10_reduceItEEE10hipError_tPvRmT2_T3_mT4_T5_T6_T7_T8_P12ihipStream_tbENKUlT_T0_E_clISt17integral_constantIbLb1EES10_IbLb0EEEEDaSW_SX_EUlSW_E_NS1_11comp_targetILNS1_3genE8ELNS1_11target_archE1030ELNS1_3gpuE2ELNS1_3repE0EEENS1_30default_config_static_selectorELNS0_4arch9wavefront6targetE0EEEvT1_: ; @_ZN7rocprim17ROCPRIM_400000_NS6detail17trampoline_kernelINS0_14default_configENS1_29reduce_by_key_config_selectorIttN6thrust23THRUST_200600_302600_NS4plusItEEEEZZNS1_33reduce_by_key_impl_wrapped_configILNS1_25lookback_scan_determinismE0ES3_S9_NS6_6detail15normal_iteratorINS6_10device_ptrItEEEESG_SG_SG_PmS8_22is_equal_div_10_reduceItEEE10hipError_tPvRmT2_T3_mT4_T5_T6_T7_T8_P12ihipStream_tbENKUlT_T0_E_clISt17integral_constantIbLb1EES10_IbLb0EEEEDaSW_SX_EUlSW_E_NS1_11comp_targetILNS1_3genE8ELNS1_11target_archE1030ELNS1_3gpuE2ELNS1_3repE0EEENS1_30default_config_static_selectorELNS0_4arch9wavefront6targetE0EEEvT1_
; %bb.0:
	.section	.rodata,"a",@progbits
	.p2align	6, 0x0
	.amdhsa_kernel _ZN7rocprim17ROCPRIM_400000_NS6detail17trampoline_kernelINS0_14default_configENS1_29reduce_by_key_config_selectorIttN6thrust23THRUST_200600_302600_NS4plusItEEEEZZNS1_33reduce_by_key_impl_wrapped_configILNS1_25lookback_scan_determinismE0ES3_S9_NS6_6detail15normal_iteratorINS6_10device_ptrItEEEESG_SG_SG_PmS8_22is_equal_div_10_reduceItEEE10hipError_tPvRmT2_T3_mT4_T5_T6_T7_T8_P12ihipStream_tbENKUlT_T0_E_clISt17integral_constantIbLb1EES10_IbLb0EEEEDaSW_SX_EUlSW_E_NS1_11comp_targetILNS1_3genE8ELNS1_11target_archE1030ELNS1_3gpuE2ELNS1_3repE0EEENS1_30default_config_static_selectorELNS0_4arch9wavefront6targetE0EEEvT1_
		.amdhsa_group_segment_fixed_size 0
		.amdhsa_private_segment_fixed_size 0
		.amdhsa_kernarg_size 120
		.amdhsa_user_sgpr_count 15
		.amdhsa_user_sgpr_dispatch_ptr 0
		.amdhsa_user_sgpr_queue_ptr 0
		.amdhsa_user_sgpr_kernarg_segment_ptr 1
		.amdhsa_user_sgpr_dispatch_id 0
		.amdhsa_user_sgpr_private_segment_size 0
		.amdhsa_wavefront_size32 1
		.amdhsa_uses_dynamic_stack 0
		.amdhsa_enable_private_segment 0
		.amdhsa_system_sgpr_workgroup_id_x 1
		.amdhsa_system_sgpr_workgroup_id_y 0
		.amdhsa_system_sgpr_workgroup_id_z 0
		.amdhsa_system_sgpr_workgroup_info 0
		.amdhsa_system_vgpr_workitem_id 0
		.amdhsa_next_free_vgpr 1
		.amdhsa_next_free_sgpr 1
		.amdhsa_reserve_vcc 0
		.amdhsa_float_round_mode_32 0
		.amdhsa_float_round_mode_16_64 0
		.amdhsa_float_denorm_mode_32 3
		.amdhsa_float_denorm_mode_16_64 3
		.amdhsa_dx10_clamp 1
		.amdhsa_ieee_mode 1
		.amdhsa_fp16_overflow 0
		.amdhsa_workgroup_processor_mode 1
		.amdhsa_memory_ordered 1
		.amdhsa_forward_progress 0
		.amdhsa_shared_vgpr_count 0
		.amdhsa_exception_fp_ieee_invalid_op 0
		.amdhsa_exception_fp_denorm_src 0
		.amdhsa_exception_fp_ieee_div_zero 0
		.amdhsa_exception_fp_ieee_overflow 0
		.amdhsa_exception_fp_ieee_underflow 0
		.amdhsa_exception_fp_ieee_inexact 0
		.amdhsa_exception_int_div_zero 0
	.end_amdhsa_kernel
	.section	.text._ZN7rocprim17ROCPRIM_400000_NS6detail17trampoline_kernelINS0_14default_configENS1_29reduce_by_key_config_selectorIttN6thrust23THRUST_200600_302600_NS4plusItEEEEZZNS1_33reduce_by_key_impl_wrapped_configILNS1_25lookback_scan_determinismE0ES3_S9_NS6_6detail15normal_iteratorINS6_10device_ptrItEEEESG_SG_SG_PmS8_22is_equal_div_10_reduceItEEE10hipError_tPvRmT2_T3_mT4_T5_T6_T7_T8_P12ihipStream_tbENKUlT_T0_E_clISt17integral_constantIbLb1EES10_IbLb0EEEEDaSW_SX_EUlSW_E_NS1_11comp_targetILNS1_3genE8ELNS1_11target_archE1030ELNS1_3gpuE2ELNS1_3repE0EEENS1_30default_config_static_selectorELNS0_4arch9wavefront6targetE0EEEvT1_,"axG",@progbits,_ZN7rocprim17ROCPRIM_400000_NS6detail17trampoline_kernelINS0_14default_configENS1_29reduce_by_key_config_selectorIttN6thrust23THRUST_200600_302600_NS4plusItEEEEZZNS1_33reduce_by_key_impl_wrapped_configILNS1_25lookback_scan_determinismE0ES3_S9_NS6_6detail15normal_iteratorINS6_10device_ptrItEEEESG_SG_SG_PmS8_22is_equal_div_10_reduceItEEE10hipError_tPvRmT2_T3_mT4_T5_T6_T7_T8_P12ihipStream_tbENKUlT_T0_E_clISt17integral_constantIbLb1EES10_IbLb0EEEEDaSW_SX_EUlSW_E_NS1_11comp_targetILNS1_3genE8ELNS1_11target_archE1030ELNS1_3gpuE2ELNS1_3repE0EEENS1_30default_config_static_selectorELNS0_4arch9wavefront6targetE0EEEvT1_,comdat
.Lfunc_end457:
	.size	_ZN7rocprim17ROCPRIM_400000_NS6detail17trampoline_kernelINS0_14default_configENS1_29reduce_by_key_config_selectorIttN6thrust23THRUST_200600_302600_NS4plusItEEEEZZNS1_33reduce_by_key_impl_wrapped_configILNS1_25lookback_scan_determinismE0ES3_S9_NS6_6detail15normal_iteratorINS6_10device_ptrItEEEESG_SG_SG_PmS8_22is_equal_div_10_reduceItEEE10hipError_tPvRmT2_T3_mT4_T5_T6_T7_T8_P12ihipStream_tbENKUlT_T0_E_clISt17integral_constantIbLb1EES10_IbLb0EEEEDaSW_SX_EUlSW_E_NS1_11comp_targetILNS1_3genE8ELNS1_11target_archE1030ELNS1_3gpuE2ELNS1_3repE0EEENS1_30default_config_static_selectorELNS0_4arch9wavefront6targetE0EEEvT1_, .Lfunc_end457-_ZN7rocprim17ROCPRIM_400000_NS6detail17trampoline_kernelINS0_14default_configENS1_29reduce_by_key_config_selectorIttN6thrust23THRUST_200600_302600_NS4plusItEEEEZZNS1_33reduce_by_key_impl_wrapped_configILNS1_25lookback_scan_determinismE0ES3_S9_NS6_6detail15normal_iteratorINS6_10device_ptrItEEEESG_SG_SG_PmS8_22is_equal_div_10_reduceItEEE10hipError_tPvRmT2_T3_mT4_T5_T6_T7_T8_P12ihipStream_tbENKUlT_T0_E_clISt17integral_constantIbLb1EES10_IbLb0EEEEDaSW_SX_EUlSW_E_NS1_11comp_targetILNS1_3genE8ELNS1_11target_archE1030ELNS1_3gpuE2ELNS1_3repE0EEENS1_30default_config_static_selectorELNS0_4arch9wavefront6targetE0EEEvT1_
                                        ; -- End function
	.section	.AMDGPU.csdata,"",@progbits
; Kernel info:
; codeLenInByte = 0
; NumSgprs: 0
; NumVgprs: 0
; ScratchSize: 0
; MemoryBound: 0
; FloatMode: 240
; IeeeMode: 1
; LDSByteSize: 0 bytes/workgroup (compile time only)
; SGPRBlocks: 0
; VGPRBlocks: 0
; NumSGPRsForWavesPerEU: 1
; NumVGPRsForWavesPerEU: 1
; Occupancy: 16
; WaveLimiterHint : 0
; COMPUTE_PGM_RSRC2:SCRATCH_EN: 0
; COMPUTE_PGM_RSRC2:USER_SGPR: 15
; COMPUTE_PGM_RSRC2:TRAP_HANDLER: 0
; COMPUTE_PGM_RSRC2:TGID_X_EN: 1
; COMPUTE_PGM_RSRC2:TGID_Y_EN: 0
; COMPUTE_PGM_RSRC2:TGID_Z_EN: 0
; COMPUTE_PGM_RSRC2:TIDIG_COMP_CNT: 0
	.section	.text._ZN7rocprim17ROCPRIM_400000_NS6detail17trampoline_kernelINS0_14default_configENS1_29reduce_by_key_config_selectorIttN6thrust23THRUST_200600_302600_NS4plusItEEEEZZNS1_33reduce_by_key_impl_wrapped_configILNS1_25lookback_scan_determinismE0ES3_S9_NS6_6detail15normal_iteratorINS6_10device_ptrItEEEESG_SG_SG_PmS8_22is_equal_div_10_reduceItEEE10hipError_tPvRmT2_T3_mT4_T5_T6_T7_T8_P12ihipStream_tbENKUlT_T0_E_clISt17integral_constantIbLb0EES10_IbLb1EEEEDaSW_SX_EUlSW_E_NS1_11comp_targetILNS1_3genE0ELNS1_11target_archE4294967295ELNS1_3gpuE0ELNS1_3repE0EEENS1_30default_config_static_selectorELNS0_4arch9wavefront6targetE0EEEvT1_,"axG",@progbits,_ZN7rocprim17ROCPRIM_400000_NS6detail17trampoline_kernelINS0_14default_configENS1_29reduce_by_key_config_selectorIttN6thrust23THRUST_200600_302600_NS4plusItEEEEZZNS1_33reduce_by_key_impl_wrapped_configILNS1_25lookback_scan_determinismE0ES3_S9_NS6_6detail15normal_iteratorINS6_10device_ptrItEEEESG_SG_SG_PmS8_22is_equal_div_10_reduceItEEE10hipError_tPvRmT2_T3_mT4_T5_T6_T7_T8_P12ihipStream_tbENKUlT_T0_E_clISt17integral_constantIbLb0EES10_IbLb1EEEEDaSW_SX_EUlSW_E_NS1_11comp_targetILNS1_3genE0ELNS1_11target_archE4294967295ELNS1_3gpuE0ELNS1_3repE0EEENS1_30default_config_static_selectorELNS0_4arch9wavefront6targetE0EEEvT1_,comdat
	.protected	_ZN7rocprim17ROCPRIM_400000_NS6detail17trampoline_kernelINS0_14default_configENS1_29reduce_by_key_config_selectorIttN6thrust23THRUST_200600_302600_NS4plusItEEEEZZNS1_33reduce_by_key_impl_wrapped_configILNS1_25lookback_scan_determinismE0ES3_S9_NS6_6detail15normal_iteratorINS6_10device_ptrItEEEESG_SG_SG_PmS8_22is_equal_div_10_reduceItEEE10hipError_tPvRmT2_T3_mT4_T5_T6_T7_T8_P12ihipStream_tbENKUlT_T0_E_clISt17integral_constantIbLb0EES10_IbLb1EEEEDaSW_SX_EUlSW_E_NS1_11comp_targetILNS1_3genE0ELNS1_11target_archE4294967295ELNS1_3gpuE0ELNS1_3repE0EEENS1_30default_config_static_selectorELNS0_4arch9wavefront6targetE0EEEvT1_ ; -- Begin function _ZN7rocprim17ROCPRIM_400000_NS6detail17trampoline_kernelINS0_14default_configENS1_29reduce_by_key_config_selectorIttN6thrust23THRUST_200600_302600_NS4plusItEEEEZZNS1_33reduce_by_key_impl_wrapped_configILNS1_25lookback_scan_determinismE0ES3_S9_NS6_6detail15normal_iteratorINS6_10device_ptrItEEEESG_SG_SG_PmS8_22is_equal_div_10_reduceItEEE10hipError_tPvRmT2_T3_mT4_T5_T6_T7_T8_P12ihipStream_tbENKUlT_T0_E_clISt17integral_constantIbLb0EES10_IbLb1EEEEDaSW_SX_EUlSW_E_NS1_11comp_targetILNS1_3genE0ELNS1_11target_archE4294967295ELNS1_3gpuE0ELNS1_3repE0EEENS1_30default_config_static_selectorELNS0_4arch9wavefront6targetE0EEEvT1_
	.globl	_ZN7rocprim17ROCPRIM_400000_NS6detail17trampoline_kernelINS0_14default_configENS1_29reduce_by_key_config_selectorIttN6thrust23THRUST_200600_302600_NS4plusItEEEEZZNS1_33reduce_by_key_impl_wrapped_configILNS1_25lookback_scan_determinismE0ES3_S9_NS6_6detail15normal_iteratorINS6_10device_ptrItEEEESG_SG_SG_PmS8_22is_equal_div_10_reduceItEEE10hipError_tPvRmT2_T3_mT4_T5_T6_T7_T8_P12ihipStream_tbENKUlT_T0_E_clISt17integral_constantIbLb0EES10_IbLb1EEEEDaSW_SX_EUlSW_E_NS1_11comp_targetILNS1_3genE0ELNS1_11target_archE4294967295ELNS1_3gpuE0ELNS1_3repE0EEENS1_30default_config_static_selectorELNS0_4arch9wavefront6targetE0EEEvT1_
	.p2align	8
	.type	_ZN7rocprim17ROCPRIM_400000_NS6detail17trampoline_kernelINS0_14default_configENS1_29reduce_by_key_config_selectorIttN6thrust23THRUST_200600_302600_NS4plusItEEEEZZNS1_33reduce_by_key_impl_wrapped_configILNS1_25lookback_scan_determinismE0ES3_S9_NS6_6detail15normal_iteratorINS6_10device_ptrItEEEESG_SG_SG_PmS8_22is_equal_div_10_reduceItEEE10hipError_tPvRmT2_T3_mT4_T5_T6_T7_T8_P12ihipStream_tbENKUlT_T0_E_clISt17integral_constantIbLb0EES10_IbLb1EEEEDaSW_SX_EUlSW_E_NS1_11comp_targetILNS1_3genE0ELNS1_11target_archE4294967295ELNS1_3gpuE0ELNS1_3repE0EEENS1_30default_config_static_selectorELNS0_4arch9wavefront6targetE0EEEvT1_,@function
_ZN7rocprim17ROCPRIM_400000_NS6detail17trampoline_kernelINS0_14default_configENS1_29reduce_by_key_config_selectorIttN6thrust23THRUST_200600_302600_NS4plusItEEEEZZNS1_33reduce_by_key_impl_wrapped_configILNS1_25lookback_scan_determinismE0ES3_S9_NS6_6detail15normal_iteratorINS6_10device_ptrItEEEESG_SG_SG_PmS8_22is_equal_div_10_reduceItEEE10hipError_tPvRmT2_T3_mT4_T5_T6_T7_T8_P12ihipStream_tbENKUlT_T0_E_clISt17integral_constantIbLb0EES10_IbLb1EEEEDaSW_SX_EUlSW_E_NS1_11comp_targetILNS1_3genE0ELNS1_11target_archE4294967295ELNS1_3gpuE0ELNS1_3repE0EEENS1_30default_config_static_selectorELNS0_4arch9wavefront6targetE0EEEvT1_: ; @_ZN7rocprim17ROCPRIM_400000_NS6detail17trampoline_kernelINS0_14default_configENS1_29reduce_by_key_config_selectorIttN6thrust23THRUST_200600_302600_NS4plusItEEEEZZNS1_33reduce_by_key_impl_wrapped_configILNS1_25lookback_scan_determinismE0ES3_S9_NS6_6detail15normal_iteratorINS6_10device_ptrItEEEESG_SG_SG_PmS8_22is_equal_div_10_reduceItEEE10hipError_tPvRmT2_T3_mT4_T5_T6_T7_T8_P12ihipStream_tbENKUlT_T0_E_clISt17integral_constantIbLb0EES10_IbLb1EEEEDaSW_SX_EUlSW_E_NS1_11comp_targetILNS1_3genE0ELNS1_11target_archE4294967295ELNS1_3gpuE0ELNS1_3repE0EEENS1_30default_config_static_selectorELNS0_4arch9wavefront6targetE0EEEvT1_
; %bb.0:
	.section	.rodata,"a",@progbits
	.p2align	6, 0x0
	.amdhsa_kernel _ZN7rocprim17ROCPRIM_400000_NS6detail17trampoline_kernelINS0_14default_configENS1_29reduce_by_key_config_selectorIttN6thrust23THRUST_200600_302600_NS4plusItEEEEZZNS1_33reduce_by_key_impl_wrapped_configILNS1_25lookback_scan_determinismE0ES3_S9_NS6_6detail15normal_iteratorINS6_10device_ptrItEEEESG_SG_SG_PmS8_22is_equal_div_10_reduceItEEE10hipError_tPvRmT2_T3_mT4_T5_T6_T7_T8_P12ihipStream_tbENKUlT_T0_E_clISt17integral_constantIbLb0EES10_IbLb1EEEEDaSW_SX_EUlSW_E_NS1_11comp_targetILNS1_3genE0ELNS1_11target_archE4294967295ELNS1_3gpuE0ELNS1_3repE0EEENS1_30default_config_static_selectorELNS0_4arch9wavefront6targetE0EEEvT1_
		.amdhsa_group_segment_fixed_size 0
		.amdhsa_private_segment_fixed_size 0
		.amdhsa_kernarg_size 120
		.amdhsa_user_sgpr_count 15
		.amdhsa_user_sgpr_dispatch_ptr 0
		.amdhsa_user_sgpr_queue_ptr 0
		.amdhsa_user_sgpr_kernarg_segment_ptr 1
		.amdhsa_user_sgpr_dispatch_id 0
		.amdhsa_user_sgpr_private_segment_size 0
		.amdhsa_wavefront_size32 1
		.amdhsa_uses_dynamic_stack 0
		.amdhsa_enable_private_segment 0
		.amdhsa_system_sgpr_workgroup_id_x 1
		.amdhsa_system_sgpr_workgroup_id_y 0
		.amdhsa_system_sgpr_workgroup_id_z 0
		.amdhsa_system_sgpr_workgroup_info 0
		.amdhsa_system_vgpr_workitem_id 0
		.amdhsa_next_free_vgpr 1
		.amdhsa_next_free_sgpr 1
		.amdhsa_reserve_vcc 0
		.amdhsa_float_round_mode_32 0
		.amdhsa_float_round_mode_16_64 0
		.amdhsa_float_denorm_mode_32 3
		.amdhsa_float_denorm_mode_16_64 3
		.amdhsa_dx10_clamp 1
		.amdhsa_ieee_mode 1
		.amdhsa_fp16_overflow 0
		.amdhsa_workgroup_processor_mode 1
		.amdhsa_memory_ordered 1
		.amdhsa_forward_progress 0
		.amdhsa_shared_vgpr_count 0
		.amdhsa_exception_fp_ieee_invalid_op 0
		.amdhsa_exception_fp_denorm_src 0
		.amdhsa_exception_fp_ieee_div_zero 0
		.amdhsa_exception_fp_ieee_overflow 0
		.amdhsa_exception_fp_ieee_underflow 0
		.amdhsa_exception_fp_ieee_inexact 0
		.amdhsa_exception_int_div_zero 0
	.end_amdhsa_kernel
	.section	.text._ZN7rocprim17ROCPRIM_400000_NS6detail17trampoline_kernelINS0_14default_configENS1_29reduce_by_key_config_selectorIttN6thrust23THRUST_200600_302600_NS4plusItEEEEZZNS1_33reduce_by_key_impl_wrapped_configILNS1_25lookback_scan_determinismE0ES3_S9_NS6_6detail15normal_iteratorINS6_10device_ptrItEEEESG_SG_SG_PmS8_22is_equal_div_10_reduceItEEE10hipError_tPvRmT2_T3_mT4_T5_T6_T7_T8_P12ihipStream_tbENKUlT_T0_E_clISt17integral_constantIbLb0EES10_IbLb1EEEEDaSW_SX_EUlSW_E_NS1_11comp_targetILNS1_3genE0ELNS1_11target_archE4294967295ELNS1_3gpuE0ELNS1_3repE0EEENS1_30default_config_static_selectorELNS0_4arch9wavefront6targetE0EEEvT1_,"axG",@progbits,_ZN7rocprim17ROCPRIM_400000_NS6detail17trampoline_kernelINS0_14default_configENS1_29reduce_by_key_config_selectorIttN6thrust23THRUST_200600_302600_NS4plusItEEEEZZNS1_33reduce_by_key_impl_wrapped_configILNS1_25lookback_scan_determinismE0ES3_S9_NS6_6detail15normal_iteratorINS6_10device_ptrItEEEESG_SG_SG_PmS8_22is_equal_div_10_reduceItEEE10hipError_tPvRmT2_T3_mT4_T5_T6_T7_T8_P12ihipStream_tbENKUlT_T0_E_clISt17integral_constantIbLb0EES10_IbLb1EEEEDaSW_SX_EUlSW_E_NS1_11comp_targetILNS1_3genE0ELNS1_11target_archE4294967295ELNS1_3gpuE0ELNS1_3repE0EEENS1_30default_config_static_selectorELNS0_4arch9wavefront6targetE0EEEvT1_,comdat
.Lfunc_end458:
	.size	_ZN7rocprim17ROCPRIM_400000_NS6detail17trampoline_kernelINS0_14default_configENS1_29reduce_by_key_config_selectorIttN6thrust23THRUST_200600_302600_NS4plusItEEEEZZNS1_33reduce_by_key_impl_wrapped_configILNS1_25lookback_scan_determinismE0ES3_S9_NS6_6detail15normal_iteratorINS6_10device_ptrItEEEESG_SG_SG_PmS8_22is_equal_div_10_reduceItEEE10hipError_tPvRmT2_T3_mT4_T5_T6_T7_T8_P12ihipStream_tbENKUlT_T0_E_clISt17integral_constantIbLb0EES10_IbLb1EEEEDaSW_SX_EUlSW_E_NS1_11comp_targetILNS1_3genE0ELNS1_11target_archE4294967295ELNS1_3gpuE0ELNS1_3repE0EEENS1_30default_config_static_selectorELNS0_4arch9wavefront6targetE0EEEvT1_, .Lfunc_end458-_ZN7rocprim17ROCPRIM_400000_NS6detail17trampoline_kernelINS0_14default_configENS1_29reduce_by_key_config_selectorIttN6thrust23THRUST_200600_302600_NS4plusItEEEEZZNS1_33reduce_by_key_impl_wrapped_configILNS1_25lookback_scan_determinismE0ES3_S9_NS6_6detail15normal_iteratorINS6_10device_ptrItEEEESG_SG_SG_PmS8_22is_equal_div_10_reduceItEEE10hipError_tPvRmT2_T3_mT4_T5_T6_T7_T8_P12ihipStream_tbENKUlT_T0_E_clISt17integral_constantIbLb0EES10_IbLb1EEEEDaSW_SX_EUlSW_E_NS1_11comp_targetILNS1_3genE0ELNS1_11target_archE4294967295ELNS1_3gpuE0ELNS1_3repE0EEENS1_30default_config_static_selectorELNS0_4arch9wavefront6targetE0EEEvT1_
                                        ; -- End function
	.section	.AMDGPU.csdata,"",@progbits
; Kernel info:
; codeLenInByte = 0
; NumSgprs: 0
; NumVgprs: 0
; ScratchSize: 0
; MemoryBound: 0
; FloatMode: 240
; IeeeMode: 1
; LDSByteSize: 0 bytes/workgroup (compile time only)
; SGPRBlocks: 0
; VGPRBlocks: 0
; NumSGPRsForWavesPerEU: 1
; NumVGPRsForWavesPerEU: 1
; Occupancy: 16
; WaveLimiterHint : 0
; COMPUTE_PGM_RSRC2:SCRATCH_EN: 0
; COMPUTE_PGM_RSRC2:USER_SGPR: 15
; COMPUTE_PGM_RSRC2:TRAP_HANDLER: 0
; COMPUTE_PGM_RSRC2:TGID_X_EN: 1
; COMPUTE_PGM_RSRC2:TGID_Y_EN: 0
; COMPUTE_PGM_RSRC2:TGID_Z_EN: 0
; COMPUTE_PGM_RSRC2:TIDIG_COMP_CNT: 0
	.section	.text._ZN7rocprim17ROCPRIM_400000_NS6detail17trampoline_kernelINS0_14default_configENS1_29reduce_by_key_config_selectorIttN6thrust23THRUST_200600_302600_NS4plusItEEEEZZNS1_33reduce_by_key_impl_wrapped_configILNS1_25lookback_scan_determinismE0ES3_S9_NS6_6detail15normal_iteratorINS6_10device_ptrItEEEESG_SG_SG_PmS8_22is_equal_div_10_reduceItEEE10hipError_tPvRmT2_T3_mT4_T5_T6_T7_T8_P12ihipStream_tbENKUlT_T0_E_clISt17integral_constantIbLb0EES10_IbLb1EEEEDaSW_SX_EUlSW_E_NS1_11comp_targetILNS1_3genE5ELNS1_11target_archE942ELNS1_3gpuE9ELNS1_3repE0EEENS1_30default_config_static_selectorELNS0_4arch9wavefront6targetE0EEEvT1_,"axG",@progbits,_ZN7rocprim17ROCPRIM_400000_NS6detail17trampoline_kernelINS0_14default_configENS1_29reduce_by_key_config_selectorIttN6thrust23THRUST_200600_302600_NS4plusItEEEEZZNS1_33reduce_by_key_impl_wrapped_configILNS1_25lookback_scan_determinismE0ES3_S9_NS6_6detail15normal_iteratorINS6_10device_ptrItEEEESG_SG_SG_PmS8_22is_equal_div_10_reduceItEEE10hipError_tPvRmT2_T3_mT4_T5_T6_T7_T8_P12ihipStream_tbENKUlT_T0_E_clISt17integral_constantIbLb0EES10_IbLb1EEEEDaSW_SX_EUlSW_E_NS1_11comp_targetILNS1_3genE5ELNS1_11target_archE942ELNS1_3gpuE9ELNS1_3repE0EEENS1_30default_config_static_selectorELNS0_4arch9wavefront6targetE0EEEvT1_,comdat
	.protected	_ZN7rocprim17ROCPRIM_400000_NS6detail17trampoline_kernelINS0_14default_configENS1_29reduce_by_key_config_selectorIttN6thrust23THRUST_200600_302600_NS4plusItEEEEZZNS1_33reduce_by_key_impl_wrapped_configILNS1_25lookback_scan_determinismE0ES3_S9_NS6_6detail15normal_iteratorINS6_10device_ptrItEEEESG_SG_SG_PmS8_22is_equal_div_10_reduceItEEE10hipError_tPvRmT2_T3_mT4_T5_T6_T7_T8_P12ihipStream_tbENKUlT_T0_E_clISt17integral_constantIbLb0EES10_IbLb1EEEEDaSW_SX_EUlSW_E_NS1_11comp_targetILNS1_3genE5ELNS1_11target_archE942ELNS1_3gpuE9ELNS1_3repE0EEENS1_30default_config_static_selectorELNS0_4arch9wavefront6targetE0EEEvT1_ ; -- Begin function _ZN7rocprim17ROCPRIM_400000_NS6detail17trampoline_kernelINS0_14default_configENS1_29reduce_by_key_config_selectorIttN6thrust23THRUST_200600_302600_NS4plusItEEEEZZNS1_33reduce_by_key_impl_wrapped_configILNS1_25lookback_scan_determinismE0ES3_S9_NS6_6detail15normal_iteratorINS6_10device_ptrItEEEESG_SG_SG_PmS8_22is_equal_div_10_reduceItEEE10hipError_tPvRmT2_T3_mT4_T5_T6_T7_T8_P12ihipStream_tbENKUlT_T0_E_clISt17integral_constantIbLb0EES10_IbLb1EEEEDaSW_SX_EUlSW_E_NS1_11comp_targetILNS1_3genE5ELNS1_11target_archE942ELNS1_3gpuE9ELNS1_3repE0EEENS1_30default_config_static_selectorELNS0_4arch9wavefront6targetE0EEEvT1_
	.globl	_ZN7rocprim17ROCPRIM_400000_NS6detail17trampoline_kernelINS0_14default_configENS1_29reduce_by_key_config_selectorIttN6thrust23THRUST_200600_302600_NS4plusItEEEEZZNS1_33reduce_by_key_impl_wrapped_configILNS1_25lookback_scan_determinismE0ES3_S9_NS6_6detail15normal_iteratorINS6_10device_ptrItEEEESG_SG_SG_PmS8_22is_equal_div_10_reduceItEEE10hipError_tPvRmT2_T3_mT4_T5_T6_T7_T8_P12ihipStream_tbENKUlT_T0_E_clISt17integral_constantIbLb0EES10_IbLb1EEEEDaSW_SX_EUlSW_E_NS1_11comp_targetILNS1_3genE5ELNS1_11target_archE942ELNS1_3gpuE9ELNS1_3repE0EEENS1_30default_config_static_selectorELNS0_4arch9wavefront6targetE0EEEvT1_
	.p2align	8
	.type	_ZN7rocprim17ROCPRIM_400000_NS6detail17trampoline_kernelINS0_14default_configENS1_29reduce_by_key_config_selectorIttN6thrust23THRUST_200600_302600_NS4plusItEEEEZZNS1_33reduce_by_key_impl_wrapped_configILNS1_25lookback_scan_determinismE0ES3_S9_NS6_6detail15normal_iteratorINS6_10device_ptrItEEEESG_SG_SG_PmS8_22is_equal_div_10_reduceItEEE10hipError_tPvRmT2_T3_mT4_T5_T6_T7_T8_P12ihipStream_tbENKUlT_T0_E_clISt17integral_constantIbLb0EES10_IbLb1EEEEDaSW_SX_EUlSW_E_NS1_11comp_targetILNS1_3genE5ELNS1_11target_archE942ELNS1_3gpuE9ELNS1_3repE0EEENS1_30default_config_static_selectorELNS0_4arch9wavefront6targetE0EEEvT1_,@function
_ZN7rocprim17ROCPRIM_400000_NS6detail17trampoline_kernelINS0_14default_configENS1_29reduce_by_key_config_selectorIttN6thrust23THRUST_200600_302600_NS4plusItEEEEZZNS1_33reduce_by_key_impl_wrapped_configILNS1_25lookback_scan_determinismE0ES3_S9_NS6_6detail15normal_iteratorINS6_10device_ptrItEEEESG_SG_SG_PmS8_22is_equal_div_10_reduceItEEE10hipError_tPvRmT2_T3_mT4_T5_T6_T7_T8_P12ihipStream_tbENKUlT_T0_E_clISt17integral_constantIbLb0EES10_IbLb1EEEEDaSW_SX_EUlSW_E_NS1_11comp_targetILNS1_3genE5ELNS1_11target_archE942ELNS1_3gpuE9ELNS1_3repE0EEENS1_30default_config_static_selectorELNS0_4arch9wavefront6targetE0EEEvT1_: ; @_ZN7rocprim17ROCPRIM_400000_NS6detail17trampoline_kernelINS0_14default_configENS1_29reduce_by_key_config_selectorIttN6thrust23THRUST_200600_302600_NS4plusItEEEEZZNS1_33reduce_by_key_impl_wrapped_configILNS1_25lookback_scan_determinismE0ES3_S9_NS6_6detail15normal_iteratorINS6_10device_ptrItEEEESG_SG_SG_PmS8_22is_equal_div_10_reduceItEEE10hipError_tPvRmT2_T3_mT4_T5_T6_T7_T8_P12ihipStream_tbENKUlT_T0_E_clISt17integral_constantIbLb0EES10_IbLb1EEEEDaSW_SX_EUlSW_E_NS1_11comp_targetILNS1_3genE5ELNS1_11target_archE942ELNS1_3gpuE9ELNS1_3repE0EEENS1_30default_config_static_selectorELNS0_4arch9wavefront6targetE0EEEvT1_
; %bb.0:
	.section	.rodata,"a",@progbits
	.p2align	6, 0x0
	.amdhsa_kernel _ZN7rocprim17ROCPRIM_400000_NS6detail17trampoline_kernelINS0_14default_configENS1_29reduce_by_key_config_selectorIttN6thrust23THRUST_200600_302600_NS4plusItEEEEZZNS1_33reduce_by_key_impl_wrapped_configILNS1_25lookback_scan_determinismE0ES3_S9_NS6_6detail15normal_iteratorINS6_10device_ptrItEEEESG_SG_SG_PmS8_22is_equal_div_10_reduceItEEE10hipError_tPvRmT2_T3_mT4_T5_T6_T7_T8_P12ihipStream_tbENKUlT_T0_E_clISt17integral_constantIbLb0EES10_IbLb1EEEEDaSW_SX_EUlSW_E_NS1_11comp_targetILNS1_3genE5ELNS1_11target_archE942ELNS1_3gpuE9ELNS1_3repE0EEENS1_30default_config_static_selectorELNS0_4arch9wavefront6targetE0EEEvT1_
		.amdhsa_group_segment_fixed_size 0
		.amdhsa_private_segment_fixed_size 0
		.amdhsa_kernarg_size 120
		.amdhsa_user_sgpr_count 15
		.amdhsa_user_sgpr_dispatch_ptr 0
		.amdhsa_user_sgpr_queue_ptr 0
		.amdhsa_user_sgpr_kernarg_segment_ptr 1
		.amdhsa_user_sgpr_dispatch_id 0
		.amdhsa_user_sgpr_private_segment_size 0
		.amdhsa_wavefront_size32 1
		.amdhsa_uses_dynamic_stack 0
		.amdhsa_enable_private_segment 0
		.amdhsa_system_sgpr_workgroup_id_x 1
		.amdhsa_system_sgpr_workgroup_id_y 0
		.amdhsa_system_sgpr_workgroup_id_z 0
		.amdhsa_system_sgpr_workgroup_info 0
		.amdhsa_system_vgpr_workitem_id 0
		.amdhsa_next_free_vgpr 1
		.amdhsa_next_free_sgpr 1
		.amdhsa_reserve_vcc 0
		.amdhsa_float_round_mode_32 0
		.amdhsa_float_round_mode_16_64 0
		.amdhsa_float_denorm_mode_32 3
		.amdhsa_float_denorm_mode_16_64 3
		.amdhsa_dx10_clamp 1
		.amdhsa_ieee_mode 1
		.amdhsa_fp16_overflow 0
		.amdhsa_workgroup_processor_mode 1
		.amdhsa_memory_ordered 1
		.amdhsa_forward_progress 0
		.amdhsa_shared_vgpr_count 0
		.amdhsa_exception_fp_ieee_invalid_op 0
		.amdhsa_exception_fp_denorm_src 0
		.amdhsa_exception_fp_ieee_div_zero 0
		.amdhsa_exception_fp_ieee_overflow 0
		.amdhsa_exception_fp_ieee_underflow 0
		.amdhsa_exception_fp_ieee_inexact 0
		.amdhsa_exception_int_div_zero 0
	.end_amdhsa_kernel
	.section	.text._ZN7rocprim17ROCPRIM_400000_NS6detail17trampoline_kernelINS0_14default_configENS1_29reduce_by_key_config_selectorIttN6thrust23THRUST_200600_302600_NS4plusItEEEEZZNS1_33reduce_by_key_impl_wrapped_configILNS1_25lookback_scan_determinismE0ES3_S9_NS6_6detail15normal_iteratorINS6_10device_ptrItEEEESG_SG_SG_PmS8_22is_equal_div_10_reduceItEEE10hipError_tPvRmT2_T3_mT4_T5_T6_T7_T8_P12ihipStream_tbENKUlT_T0_E_clISt17integral_constantIbLb0EES10_IbLb1EEEEDaSW_SX_EUlSW_E_NS1_11comp_targetILNS1_3genE5ELNS1_11target_archE942ELNS1_3gpuE9ELNS1_3repE0EEENS1_30default_config_static_selectorELNS0_4arch9wavefront6targetE0EEEvT1_,"axG",@progbits,_ZN7rocprim17ROCPRIM_400000_NS6detail17trampoline_kernelINS0_14default_configENS1_29reduce_by_key_config_selectorIttN6thrust23THRUST_200600_302600_NS4plusItEEEEZZNS1_33reduce_by_key_impl_wrapped_configILNS1_25lookback_scan_determinismE0ES3_S9_NS6_6detail15normal_iteratorINS6_10device_ptrItEEEESG_SG_SG_PmS8_22is_equal_div_10_reduceItEEE10hipError_tPvRmT2_T3_mT4_T5_T6_T7_T8_P12ihipStream_tbENKUlT_T0_E_clISt17integral_constantIbLb0EES10_IbLb1EEEEDaSW_SX_EUlSW_E_NS1_11comp_targetILNS1_3genE5ELNS1_11target_archE942ELNS1_3gpuE9ELNS1_3repE0EEENS1_30default_config_static_selectorELNS0_4arch9wavefront6targetE0EEEvT1_,comdat
.Lfunc_end459:
	.size	_ZN7rocprim17ROCPRIM_400000_NS6detail17trampoline_kernelINS0_14default_configENS1_29reduce_by_key_config_selectorIttN6thrust23THRUST_200600_302600_NS4plusItEEEEZZNS1_33reduce_by_key_impl_wrapped_configILNS1_25lookback_scan_determinismE0ES3_S9_NS6_6detail15normal_iteratorINS6_10device_ptrItEEEESG_SG_SG_PmS8_22is_equal_div_10_reduceItEEE10hipError_tPvRmT2_T3_mT4_T5_T6_T7_T8_P12ihipStream_tbENKUlT_T0_E_clISt17integral_constantIbLb0EES10_IbLb1EEEEDaSW_SX_EUlSW_E_NS1_11comp_targetILNS1_3genE5ELNS1_11target_archE942ELNS1_3gpuE9ELNS1_3repE0EEENS1_30default_config_static_selectorELNS0_4arch9wavefront6targetE0EEEvT1_, .Lfunc_end459-_ZN7rocprim17ROCPRIM_400000_NS6detail17trampoline_kernelINS0_14default_configENS1_29reduce_by_key_config_selectorIttN6thrust23THRUST_200600_302600_NS4plusItEEEEZZNS1_33reduce_by_key_impl_wrapped_configILNS1_25lookback_scan_determinismE0ES3_S9_NS6_6detail15normal_iteratorINS6_10device_ptrItEEEESG_SG_SG_PmS8_22is_equal_div_10_reduceItEEE10hipError_tPvRmT2_T3_mT4_T5_T6_T7_T8_P12ihipStream_tbENKUlT_T0_E_clISt17integral_constantIbLb0EES10_IbLb1EEEEDaSW_SX_EUlSW_E_NS1_11comp_targetILNS1_3genE5ELNS1_11target_archE942ELNS1_3gpuE9ELNS1_3repE0EEENS1_30default_config_static_selectorELNS0_4arch9wavefront6targetE0EEEvT1_
                                        ; -- End function
	.section	.AMDGPU.csdata,"",@progbits
; Kernel info:
; codeLenInByte = 0
; NumSgprs: 0
; NumVgprs: 0
; ScratchSize: 0
; MemoryBound: 0
; FloatMode: 240
; IeeeMode: 1
; LDSByteSize: 0 bytes/workgroup (compile time only)
; SGPRBlocks: 0
; VGPRBlocks: 0
; NumSGPRsForWavesPerEU: 1
; NumVGPRsForWavesPerEU: 1
; Occupancy: 16
; WaveLimiterHint : 0
; COMPUTE_PGM_RSRC2:SCRATCH_EN: 0
; COMPUTE_PGM_RSRC2:USER_SGPR: 15
; COMPUTE_PGM_RSRC2:TRAP_HANDLER: 0
; COMPUTE_PGM_RSRC2:TGID_X_EN: 1
; COMPUTE_PGM_RSRC2:TGID_Y_EN: 0
; COMPUTE_PGM_RSRC2:TGID_Z_EN: 0
; COMPUTE_PGM_RSRC2:TIDIG_COMP_CNT: 0
	.section	.text._ZN7rocprim17ROCPRIM_400000_NS6detail17trampoline_kernelINS0_14default_configENS1_29reduce_by_key_config_selectorIttN6thrust23THRUST_200600_302600_NS4plusItEEEEZZNS1_33reduce_by_key_impl_wrapped_configILNS1_25lookback_scan_determinismE0ES3_S9_NS6_6detail15normal_iteratorINS6_10device_ptrItEEEESG_SG_SG_PmS8_22is_equal_div_10_reduceItEEE10hipError_tPvRmT2_T3_mT4_T5_T6_T7_T8_P12ihipStream_tbENKUlT_T0_E_clISt17integral_constantIbLb0EES10_IbLb1EEEEDaSW_SX_EUlSW_E_NS1_11comp_targetILNS1_3genE4ELNS1_11target_archE910ELNS1_3gpuE8ELNS1_3repE0EEENS1_30default_config_static_selectorELNS0_4arch9wavefront6targetE0EEEvT1_,"axG",@progbits,_ZN7rocprim17ROCPRIM_400000_NS6detail17trampoline_kernelINS0_14default_configENS1_29reduce_by_key_config_selectorIttN6thrust23THRUST_200600_302600_NS4plusItEEEEZZNS1_33reduce_by_key_impl_wrapped_configILNS1_25lookback_scan_determinismE0ES3_S9_NS6_6detail15normal_iteratorINS6_10device_ptrItEEEESG_SG_SG_PmS8_22is_equal_div_10_reduceItEEE10hipError_tPvRmT2_T3_mT4_T5_T6_T7_T8_P12ihipStream_tbENKUlT_T0_E_clISt17integral_constantIbLb0EES10_IbLb1EEEEDaSW_SX_EUlSW_E_NS1_11comp_targetILNS1_3genE4ELNS1_11target_archE910ELNS1_3gpuE8ELNS1_3repE0EEENS1_30default_config_static_selectorELNS0_4arch9wavefront6targetE0EEEvT1_,comdat
	.protected	_ZN7rocprim17ROCPRIM_400000_NS6detail17trampoline_kernelINS0_14default_configENS1_29reduce_by_key_config_selectorIttN6thrust23THRUST_200600_302600_NS4plusItEEEEZZNS1_33reduce_by_key_impl_wrapped_configILNS1_25lookback_scan_determinismE0ES3_S9_NS6_6detail15normal_iteratorINS6_10device_ptrItEEEESG_SG_SG_PmS8_22is_equal_div_10_reduceItEEE10hipError_tPvRmT2_T3_mT4_T5_T6_T7_T8_P12ihipStream_tbENKUlT_T0_E_clISt17integral_constantIbLb0EES10_IbLb1EEEEDaSW_SX_EUlSW_E_NS1_11comp_targetILNS1_3genE4ELNS1_11target_archE910ELNS1_3gpuE8ELNS1_3repE0EEENS1_30default_config_static_selectorELNS0_4arch9wavefront6targetE0EEEvT1_ ; -- Begin function _ZN7rocprim17ROCPRIM_400000_NS6detail17trampoline_kernelINS0_14default_configENS1_29reduce_by_key_config_selectorIttN6thrust23THRUST_200600_302600_NS4plusItEEEEZZNS1_33reduce_by_key_impl_wrapped_configILNS1_25lookback_scan_determinismE0ES3_S9_NS6_6detail15normal_iteratorINS6_10device_ptrItEEEESG_SG_SG_PmS8_22is_equal_div_10_reduceItEEE10hipError_tPvRmT2_T3_mT4_T5_T6_T7_T8_P12ihipStream_tbENKUlT_T0_E_clISt17integral_constantIbLb0EES10_IbLb1EEEEDaSW_SX_EUlSW_E_NS1_11comp_targetILNS1_3genE4ELNS1_11target_archE910ELNS1_3gpuE8ELNS1_3repE0EEENS1_30default_config_static_selectorELNS0_4arch9wavefront6targetE0EEEvT1_
	.globl	_ZN7rocprim17ROCPRIM_400000_NS6detail17trampoline_kernelINS0_14default_configENS1_29reduce_by_key_config_selectorIttN6thrust23THRUST_200600_302600_NS4plusItEEEEZZNS1_33reduce_by_key_impl_wrapped_configILNS1_25lookback_scan_determinismE0ES3_S9_NS6_6detail15normal_iteratorINS6_10device_ptrItEEEESG_SG_SG_PmS8_22is_equal_div_10_reduceItEEE10hipError_tPvRmT2_T3_mT4_T5_T6_T7_T8_P12ihipStream_tbENKUlT_T0_E_clISt17integral_constantIbLb0EES10_IbLb1EEEEDaSW_SX_EUlSW_E_NS1_11comp_targetILNS1_3genE4ELNS1_11target_archE910ELNS1_3gpuE8ELNS1_3repE0EEENS1_30default_config_static_selectorELNS0_4arch9wavefront6targetE0EEEvT1_
	.p2align	8
	.type	_ZN7rocprim17ROCPRIM_400000_NS6detail17trampoline_kernelINS0_14default_configENS1_29reduce_by_key_config_selectorIttN6thrust23THRUST_200600_302600_NS4plusItEEEEZZNS1_33reduce_by_key_impl_wrapped_configILNS1_25lookback_scan_determinismE0ES3_S9_NS6_6detail15normal_iteratorINS6_10device_ptrItEEEESG_SG_SG_PmS8_22is_equal_div_10_reduceItEEE10hipError_tPvRmT2_T3_mT4_T5_T6_T7_T8_P12ihipStream_tbENKUlT_T0_E_clISt17integral_constantIbLb0EES10_IbLb1EEEEDaSW_SX_EUlSW_E_NS1_11comp_targetILNS1_3genE4ELNS1_11target_archE910ELNS1_3gpuE8ELNS1_3repE0EEENS1_30default_config_static_selectorELNS0_4arch9wavefront6targetE0EEEvT1_,@function
_ZN7rocprim17ROCPRIM_400000_NS6detail17trampoline_kernelINS0_14default_configENS1_29reduce_by_key_config_selectorIttN6thrust23THRUST_200600_302600_NS4plusItEEEEZZNS1_33reduce_by_key_impl_wrapped_configILNS1_25lookback_scan_determinismE0ES3_S9_NS6_6detail15normal_iteratorINS6_10device_ptrItEEEESG_SG_SG_PmS8_22is_equal_div_10_reduceItEEE10hipError_tPvRmT2_T3_mT4_T5_T6_T7_T8_P12ihipStream_tbENKUlT_T0_E_clISt17integral_constantIbLb0EES10_IbLb1EEEEDaSW_SX_EUlSW_E_NS1_11comp_targetILNS1_3genE4ELNS1_11target_archE910ELNS1_3gpuE8ELNS1_3repE0EEENS1_30default_config_static_selectorELNS0_4arch9wavefront6targetE0EEEvT1_: ; @_ZN7rocprim17ROCPRIM_400000_NS6detail17trampoline_kernelINS0_14default_configENS1_29reduce_by_key_config_selectorIttN6thrust23THRUST_200600_302600_NS4plusItEEEEZZNS1_33reduce_by_key_impl_wrapped_configILNS1_25lookback_scan_determinismE0ES3_S9_NS6_6detail15normal_iteratorINS6_10device_ptrItEEEESG_SG_SG_PmS8_22is_equal_div_10_reduceItEEE10hipError_tPvRmT2_T3_mT4_T5_T6_T7_T8_P12ihipStream_tbENKUlT_T0_E_clISt17integral_constantIbLb0EES10_IbLb1EEEEDaSW_SX_EUlSW_E_NS1_11comp_targetILNS1_3genE4ELNS1_11target_archE910ELNS1_3gpuE8ELNS1_3repE0EEENS1_30default_config_static_selectorELNS0_4arch9wavefront6targetE0EEEvT1_
; %bb.0:
	.section	.rodata,"a",@progbits
	.p2align	6, 0x0
	.amdhsa_kernel _ZN7rocprim17ROCPRIM_400000_NS6detail17trampoline_kernelINS0_14default_configENS1_29reduce_by_key_config_selectorIttN6thrust23THRUST_200600_302600_NS4plusItEEEEZZNS1_33reduce_by_key_impl_wrapped_configILNS1_25lookback_scan_determinismE0ES3_S9_NS6_6detail15normal_iteratorINS6_10device_ptrItEEEESG_SG_SG_PmS8_22is_equal_div_10_reduceItEEE10hipError_tPvRmT2_T3_mT4_T5_T6_T7_T8_P12ihipStream_tbENKUlT_T0_E_clISt17integral_constantIbLb0EES10_IbLb1EEEEDaSW_SX_EUlSW_E_NS1_11comp_targetILNS1_3genE4ELNS1_11target_archE910ELNS1_3gpuE8ELNS1_3repE0EEENS1_30default_config_static_selectorELNS0_4arch9wavefront6targetE0EEEvT1_
		.amdhsa_group_segment_fixed_size 0
		.amdhsa_private_segment_fixed_size 0
		.amdhsa_kernarg_size 120
		.amdhsa_user_sgpr_count 15
		.amdhsa_user_sgpr_dispatch_ptr 0
		.amdhsa_user_sgpr_queue_ptr 0
		.amdhsa_user_sgpr_kernarg_segment_ptr 1
		.amdhsa_user_sgpr_dispatch_id 0
		.amdhsa_user_sgpr_private_segment_size 0
		.amdhsa_wavefront_size32 1
		.amdhsa_uses_dynamic_stack 0
		.amdhsa_enable_private_segment 0
		.amdhsa_system_sgpr_workgroup_id_x 1
		.amdhsa_system_sgpr_workgroup_id_y 0
		.amdhsa_system_sgpr_workgroup_id_z 0
		.amdhsa_system_sgpr_workgroup_info 0
		.amdhsa_system_vgpr_workitem_id 0
		.amdhsa_next_free_vgpr 1
		.amdhsa_next_free_sgpr 1
		.amdhsa_reserve_vcc 0
		.amdhsa_float_round_mode_32 0
		.amdhsa_float_round_mode_16_64 0
		.amdhsa_float_denorm_mode_32 3
		.amdhsa_float_denorm_mode_16_64 3
		.amdhsa_dx10_clamp 1
		.amdhsa_ieee_mode 1
		.amdhsa_fp16_overflow 0
		.amdhsa_workgroup_processor_mode 1
		.amdhsa_memory_ordered 1
		.amdhsa_forward_progress 0
		.amdhsa_shared_vgpr_count 0
		.amdhsa_exception_fp_ieee_invalid_op 0
		.amdhsa_exception_fp_denorm_src 0
		.amdhsa_exception_fp_ieee_div_zero 0
		.amdhsa_exception_fp_ieee_overflow 0
		.amdhsa_exception_fp_ieee_underflow 0
		.amdhsa_exception_fp_ieee_inexact 0
		.amdhsa_exception_int_div_zero 0
	.end_amdhsa_kernel
	.section	.text._ZN7rocprim17ROCPRIM_400000_NS6detail17trampoline_kernelINS0_14default_configENS1_29reduce_by_key_config_selectorIttN6thrust23THRUST_200600_302600_NS4plusItEEEEZZNS1_33reduce_by_key_impl_wrapped_configILNS1_25lookback_scan_determinismE0ES3_S9_NS6_6detail15normal_iteratorINS6_10device_ptrItEEEESG_SG_SG_PmS8_22is_equal_div_10_reduceItEEE10hipError_tPvRmT2_T3_mT4_T5_T6_T7_T8_P12ihipStream_tbENKUlT_T0_E_clISt17integral_constantIbLb0EES10_IbLb1EEEEDaSW_SX_EUlSW_E_NS1_11comp_targetILNS1_3genE4ELNS1_11target_archE910ELNS1_3gpuE8ELNS1_3repE0EEENS1_30default_config_static_selectorELNS0_4arch9wavefront6targetE0EEEvT1_,"axG",@progbits,_ZN7rocprim17ROCPRIM_400000_NS6detail17trampoline_kernelINS0_14default_configENS1_29reduce_by_key_config_selectorIttN6thrust23THRUST_200600_302600_NS4plusItEEEEZZNS1_33reduce_by_key_impl_wrapped_configILNS1_25lookback_scan_determinismE0ES3_S9_NS6_6detail15normal_iteratorINS6_10device_ptrItEEEESG_SG_SG_PmS8_22is_equal_div_10_reduceItEEE10hipError_tPvRmT2_T3_mT4_T5_T6_T7_T8_P12ihipStream_tbENKUlT_T0_E_clISt17integral_constantIbLb0EES10_IbLb1EEEEDaSW_SX_EUlSW_E_NS1_11comp_targetILNS1_3genE4ELNS1_11target_archE910ELNS1_3gpuE8ELNS1_3repE0EEENS1_30default_config_static_selectorELNS0_4arch9wavefront6targetE0EEEvT1_,comdat
.Lfunc_end460:
	.size	_ZN7rocprim17ROCPRIM_400000_NS6detail17trampoline_kernelINS0_14default_configENS1_29reduce_by_key_config_selectorIttN6thrust23THRUST_200600_302600_NS4plusItEEEEZZNS1_33reduce_by_key_impl_wrapped_configILNS1_25lookback_scan_determinismE0ES3_S9_NS6_6detail15normal_iteratorINS6_10device_ptrItEEEESG_SG_SG_PmS8_22is_equal_div_10_reduceItEEE10hipError_tPvRmT2_T3_mT4_T5_T6_T7_T8_P12ihipStream_tbENKUlT_T0_E_clISt17integral_constantIbLb0EES10_IbLb1EEEEDaSW_SX_EUlSW_E_NS1_11comp_targetILNS1_3genE4ELNS1_11target_archE910ELNS1_3gpuE8ELNS1_3repE0EEENS1_30default_config_static_selectorELNS0_4arch9wavefront6targetE0EEEvT1_, .Lfunc_end460-_ZN7rocprim17ROCPRIM_400000_NS6detail17trampoline_kernelINS0_14default_configENS1_29reduce_by_key_config_selectorIttN6thrust23THRUST_200600_302600_NS4plusItEEEEZZNS1_33reduce_by_key_impl_wrapped_configILNS1_25lookback_scan_determinismE0ES3_S9_NS6_6detail15normal_iteratorINS6_10device_ptrItEEEESG_SG_SG_PmS8_22is_equal_div_10_reduceItEEE10hipError_tPvRmT2_T3_mT4_T5_T6_T7_T8_P12ihipStream_tbENKUlT_T0_E_clISt17integral_constantIbLb0EES10_IbLb1EEEEDaSW_SX_EUlSW_E_NS1_11comp_targetILNS1_3genE4ELNS1_11target_archE910ELNS1_3gpuE8ELNS1_3repE0EEENS1_30default_config_static_selectorELNS0_4arch9wavefront6targetE0EEEvT1_
                                        ; -- End function
	.section	.AMDGPU.csdata,"",@progbits
; Kernel info:
; codeLenInByte = 0
; NumSgprs: 0
; NumVgprs: 0
; ScratchSize: 0
; MemoryBound: 0
; FloatMode: 240
; IeeeMode: 1
; LDSByteSize: 0 bytes/workgroup (compile time only)
; SGPRBlocks: 0
; VGPRBlocks: 0
; NumSGPRsForWavesPerEU: 1
; NumVGPRsForWavesPerEU: 1
; Occupancy: 16
; WaveLimiterHint : 0
; COMPUTE_PGM_RSRC2:SCRATCH_EN: 0
; COMPUTE_PGM_RSRC2:USER_SGPR: 15
; COMPUTE_PGM_RSRC2:TRAP_HANDLER: 0
; COMPUTE_PGM_RSRC2:TGID_X_EN: 1
; COMPUTE_PGM_RSRC2:TGID_Y_EN: 0
; COMPUTE_PGM_RSRC2:TGID_Z_EN: 0
; COMPUTE_PGM_RSRC2:TIDIG_COMP_CNT: 0
	.section	.text._ZN7rocprim17ROCPRIM_400000_NS6detail17trampoline_kernelINS0_14default_configENS1_29reduce_by_key_config_selectorIttN6thrust23THRUST_200600_302600_NS4plusItEEEEZZNS1_33reduce_by_key_impl_wrapped_configILNS1_25lookback_scan_determinismE0ES3_S9_NS6_6detail15normal_iteratorINS6_10device_ptrItEEEESG_SG_SG_PmS8_22is_equal_div_10_reduceItEEE10hipError_tPvRmT2_T3_mT4_T5_T6_T7_T8_P12ihipStream_tbENKUlT_T0_E_clISt17integral_constantIbLb0EES10_IbLb1EEEEDaSW_SX_EUlSW_E_NS1_11comp_targetILNS1_3genE3ELNS1_11target_archE908ELNS1_3gpuE7ELNS1_3repE0EEENS1_30default_config_static_selectorELNS0_4arch9wavefront6targetE0EEEvT1_,"axG",@progbits,_ZN7rocprim17ROCPRIM_400000_NS6detail17trampoline_kernelINS0_14default_configENS1_29reduce_by_key_config_selectorIttN6thrust23THRUST_200600_302600_NS4plusItEEEEZZNS1_33reduce_by_key_impl_wrapped_configILNS1_25lookback_scan_determinismE0ES3_S9_NS6_6detail15normal_iteratorINS6_10device_ptrItEEEESG_SG_SG_PmS8_22is_equal_div_10_reduceItEEE10hipError_tPvRmT2_T3_mT4_T5_T6_T7_T8_P12ihipStream_tbENKUlT_T0_E_clISt17integral_constantIbLb0EES10_IbLb1EEEEDaSW_SX_EUlSW_E_NS1_11comp_targetILNS1_3genE3ELNS1_11target_archE908ELNS1_3gpuE7ELNS1_3repE0EEENS1_30default_config_static_selectorELNS0_4arch9wavefront6targetE0EEEvT1_,comdat
	.protected	_ZN7rocprim17ROCPRIM_400000_NS6detail17trampoline_kernelINS0_14default_configENS1_29reduce_by_key_config_selectorIttN6thrust23THRUST_200600_302600_NS4plusItEEEEZZNS1_33reduce_by_key_impl_wrapped_configILNS1_25lookback_scan_determinismE0ES3_S9_NS6_6detail15normal_iteratorINS6_10device_ptrItEEEESG_SG_SG_PmS8_22is_equal_div_10_reduceItEEE10hipError_tPvRmT2_T3_mT4_T5_T6_T7_T8_P12ihipStream_tbENKUlT_T0_E_clISt17integral_constantIbLb0EES10_IbLb1EEEEDaSW_SX_EUlSW_E_NS1_11comp_targetILNS1_3genE3ELNS1_11target_archE908ELNS1_3gpuE7ELNS1_3repE0EEENS1_30default_config_static_selectorELNS0_4arch9wavefront6targetE0EEEvT1_ ; -- Begin function _ZN7rocprim17ROCPRIM_400000_NS6detail17trampoline_kernelINS0_14default_configENS1_29reduce_by_key_config_selectorIttN6thrust23THRUST_200600_302600_NS4plusItEEEEZZNS1_33reduce_by_key_impl_wrapped_configILNS1_25lookback_scan_determinismE0ES3_S9_NS6_6detail15normal_iteratorINS6_10device_ptrItEEEESG_SG_SG_PmS8_22is_equal_div_10_reduceItEEE10hipError_tPvRmT2_T3_mT4_T5_T6_T7_T8_P12ihipStream_tbENKUlT_T0_E_clISt17integral_constantIbLb0EES10_IbLb1EEEEDaSW_SX_EUlSW_E_NS1_11comp_targetILNS1_3genE3ELNS1_11target_archE908ELNS1_3gpuE7ELNS1_3repE0EEENS1_30default_config_static_selectorELNS0_4arch9wavefront6targetE0EEEvT1_
	.globl	_ZN7rocprim17ROCPRIM_400000_NS6detail17trampoline_kernelINS0_14default_configENS1_29reduce_by_key_config_selectorIttN6thrust23THRUST_200600_302600_NS4plusItEEEEZZNS1_33reduce_by_key_impl_wrapped_configILNS1_25lookback_scan_determinismE0ES3_S9_NS6_6detail15normal_iteratorINS6_10device_ptrItEEEESG_SG_SG_PmS8_22is_equal_div_10_reduceItEEE10hipError_tPvRmT2_T3_mT4_T5_T6_T7_T8_P12ihipStream_tbENKUlT_T0_E_clISt17integral_constantIbLb0EES10_IbLb1EEEEDaSW_SX_EUlSW_E_NS1_11comp_targetILNS1_3genE3ELNS1_11target_archE908ELNS1_3gpuE7ELNS1_3repE0EEENS1_30default_config_static_selectorELNS0_4arch9wavefront6targetE0EEEvT1_
	.p2align	8
	.type	_ZN7rocprim17ROCPRIM_400000_NS6detail17trampoline_kernelINS0_14default_configENS1_29reduce_by_key_config_selectorIttN6thrust23THRUST_200600_302600_NS4plusItEEEEZZNS1_33reduce_by_key_impl_wrapped_configILNS1_25lookback_scan_determinismE0ES3_S9_NS6_6detail15normal_iteratorINS6_10device_ptrItEEEESG_SG_SG_PmS8_22is_equal_div_10_reduceItEEE10hipError_tPvRmT2_T3_mT4_T5_T6_T7_T8_P12ihipStream_tbENKUlT_T0_E_clISt17integral_constantIbLb0EES10_IbLb1EEEEDaSW_SX_EUlSW_E_NS1_11comp_targetILNS1_3genE3ELNS1_11target_archE908ELNS1_3gpuE7ELNS1_3repE0EEENS1_30default_config_static_selectorELNS0_4arch9wavefront6targetE0EEEvT1_,@function
_ZN7rocprim17ROCPRIM_400000_NS6detail17trampoline_kernelINS0_14default_configENS1_29reduce_by_key_config_selectorIttN6thrust23THRUST_200600_302600_NS4plusItEEEEZZNS1_33reduce_by_key_impl_wrapped_configILNS1_25lookback_scan_determinismE0ES3_S9_NS6_6detail15normal_iteratorINS6_10device_ptrItEEEESG_SG_SG_PmS8_22is_equal_div_10_reduceItEEE10hipError_tPvRmT2_T3_mT4_T5_T6_T7_T8_P12ihipStream_tbENKUlT_T0_E_clISt17integral_constantIbLb0EES10_IbLb1EEEEDaSW_SX_EUlSW_E_NS1_11comp_targetILNS1_3genE3ELNS1_11target_archE908ELNS1_3gpuE7ELNS1_3repE0EEENS1_30default_config_static_selectorELNS0_4arch9wavefront6targetE0EEEvT1_: ; @_ZN7rocprim17ROCPRIM_400000_NS6detail17trampoline_kernelINS0_14default_configENS1_29reduce_by_key_config_selectorIttN6thrust23THRUST_200600_302600_NS4plusItEEEEZZNS1_33reduce_by_key_impl_wrapped_configILNS1_25lookback_scan_determinismE0ES3_S9_NS6_6detail15normal_iteratorINS6_10device_ptrItEEEESG_SG_SG_PmS8_22is_equal_div_10_reduceItEEE10hipError_tPvRmT2_T3_mT4_T5_T6_T7_T8_P12ihipStream_tbENKUlT_T0_E_clISt17integral_constantIbLb0EES10_IbLb1EEEEDaSW_SX_EUlSW_E_NS1_11comp_targetILNS1_3genE3ELNS1_11target_archE908ELNS1_3gpuE7ELNS1_3repE0EEENS1_30default_config_static_selectorELNS0_4arch9wavefront6targetE0EEEvT1_
; %bb.0:
	.section	.rodata,"a",@progbits
	.p2align	6, 0x0
	.amdhsa_kernel _ZN7rocprim17ROCPRIM_400000_NS6detail17trampoline_kernelINS0_14default_configENS1_29reduce_by_key_config_selectorIttN6thrust23THRUST_200600_302600_NS4plusItEEEEZZNS1_33reduce_by_key_impl_wrapped_configILNS1_25lookback_scan_determinismE0ES3_S9_NS6_6detail15normal_iteratorINS6_10device_ptrItEEEESG_SG_SG_PmS8_22is_equal_div_10_reduceItEEE10hipError_tPvRmT2_T3_mT4_T5_T6_T7_T8_P12ihipStream_tbENKUlT_T0_E_clISt17integral_constantIbLb0EES10_IbLb1EEEEDaSW_SX_EUlSW_E_NS1_11comp_targetILNS1_3genE3ELNS1_11target_archE908ELNS1_3gpuE7ELNS1_3repE0EEENS1_30default_config_static_selectorELNS0_4arch9wavefront6targetE0EEEvT1_
		.amdhsa_group_segment_fixed_size 0
		.amdhsa_private_segment_fixed_size 0
		.amdhsa_kernarg_size 120
		.amdhsa_user_sgpr_count 15
		.amdhsa_user_sgpr_dispatch_ptr 0
		.amdhsa_user_sgpr_queue_ptr 0
		.amdhsa_user_sgpr_kernarg_segment_ptr 1
		.amdhsa_user_sgpr_dispatch_id 0
		.amdhsa_user_sgpr_private_segment_size 0
		.amdhsa_wavefront_size32 1
		.amdhsa_uses_dynamic_stack 0
		.amdhsa_enable_private_segment 0
		.amdhsa_system_sgpr_workgroup_id_x 1
		.amdhsa_system_sgpr_workgroup_id_y 0
		.amdhsa_system_sgpr_workgroup_id_z 0
		.amdhsa_system_sgpr_workgroup_info 0
		.amdhsa_system_vgpr_workitem_id 0
		.amdhsa_next_free_vgpr 1
		.amdhsa_next_free_sgpr 1
		.amdhsa_reserve_vcc 0
		.amdhsa_float_round_mode_32 0
		.amdhsa_float_round_mode_16_64 0
		.amdhsa_float_denorm_mode_32 3
		.amdhsa_float_denorm_mode_16_64 3
		.amdhsa_dx10_clamp 1
		.amdhsa_ieee_mode 1
		.amdhsa_fp16_overflow 0
		.amdhsa_workgroup_processor_mode 1
		.amdhsa_memory_ordered 1
		.amdhsa_forward_progress 0
		.amdhsa_shared_vgpr_count 0
		.amdhsa_exception_fp_ieee_invalid_op 0
		.amdhsa_exception_fp_denorm_src 0
		.amdhsa_exception_fp_ieee_div_zero 0
		.amdhsa_exception_fp_ieee_overflow 0
		.amdhsa_exception_fp_ieee_underflow 0
		.amdhsa_exception_fp_ieee_inexact 0
		.amdhsa_exception_int_div_zero 0
	.end_amdhsa_kernel
	.section	.text._ZN7rocprim17ROCPRIM_400000_NS6detail17trampoline_kernelINS0_14default_configENS1_29reduce_by_key_config_selectorIttN6thrust23THRUST_200600_302600_NS4plusItEEEEZZNS1_33reduce_by_key_impl_wrapped_configILNS1_25lookback_scan_determinismE0ES3_S9_NS6_6detail15normal_iteratorINS6_10device_ptrItEEEESG_SG_SG_PmS8_22is_equal_div_10_reduceItEEE10hipError_tPvRmT2_T3_mT4_T5_T6_T7_T8_P12ihipStream_tbENKUlT_T0_E_clISt17integral_constantIbLb0EES10_IbLb1EEEEDaSW_SX_EUlSW_E_NS1_11comp_targetILNS1_3genE3ELNS1_11target_archE908ELNS1_3gpuE7ELNS1_3repE0EEENS1_30default_config_static_selectorELNS0_4arch9wavefront6targetE0EEEvT1_,"axG",@progbits,_ZN7rocprim17ROCPRIM_400000_NS6detail17trampoline_kernelINS0_14default_configENS1_29reduce_by_key_config_selectorIttN6thrust23THRUST_200600_302600_NS4plusItEEEEZZNS1_33reduce_by_key_impl_wrapped_configILNS1_25lookback_scan_determinismE0ES3_S9_NS6_6detail15normal_iteratorINS6_10device_ptrItEEEESG_SG_SG_PmS8_22is_equal_div_10_reduceItEEE10hipError_tPvRmT2_T3_mT4_T5_T6_T7_T8_P12ihipStream_tbENKUlT_T0_E_clISt17integral_constantIbLb0EES10_IbLb1EEEEDaSW_SX_EUlSW_E_NS1_11comp_targetILNS1_3genE3ELNS1_11target_archE908ELNS1_3gpuE7ELNS1_3repE0EEENS1_30default_config_static_selectorELNS0_4arch9wavefront6targetE0EEEvT1_,comdat
.Lfunc_end461:
	.size	_ZN7rocprim17ROCPRIM_400000_NS6detail17trampoline_kernelINS0_14default_configENS1_29reduce_by_key_config_selectorIttN6thrust23THRUST_200600_302600_NS4plusItEEEEZZNS1_33reduce_by_key_impl_wrapped_configILNS1_25lookback_scan_determinismE0ES3_S9_NS6_6detail15normal_iteratorINS6_10device_ptrItEEEESG_SG_SG_PmS8_22is_equal_div_10_reduceItEEE10hipError_tPvRmT2_T3_mT4_T5_T6_T7_T8_P12ihipStream_tbENKUlT_T0_E_clISt17integral_constantIbLb0EES10_IbLb1EEEEDaSW_SX_EUlSW_E_NS1_11comp_targetILNS1_3genE3ELNS1_11target_archE908ELNS1_3gpuE7ELNS1_3repE0EEENS1_30default_config_static_selectorELNS0_4arch9wavefront6targetE0EEEvT1_, .Lfunc_end461-_ZN7rocprim17ROCPRIM_400000_NS6detail17trampoline_kernelINS0_14default_configENS1_29reduce_by_key_config_selectorIttN6thrust23THRUST_200600_302600_NS4plusItEEEEZZNS1_33reduce_by_key_impl_wrapped_configILNS1_25lookback_scan_determinismE0ES3_S9_NS6_6detail15normal_iteratorINS6_10device_ptrItEEEESG_SG_SG_PmS8_22is_equal_div_10_reduceItEEE10hipError_tPvRmT2_T3_mT4_T5_T6_T7_T8_P12ihipStream_tbENKUlT_T0_E_clISt17integral_constantIbLb0EES10_IbLb1EEEEDaSW_SX_EUlSW_E_NS1_11comp_targetILNS1_3genE3ELNS1_11target_archE908ELNS1_3gpuE7ELNS1_3repE0EEENS1_30default_config_static_selectorELNS0_4arch9wavefront6targetE0EEEvT1_
                                        ; -- End function
	.section	.AMDGPU.csdata,"",@progbits
; Kernel info:
; codeLenInByte = 0
; NumSgprs: 0
; NumVgprs: 0
; ScratchSize: 0
; MemoryBound: 0
; FloatMode: 240
; IeeeMode: 1
; LDSByteSize: 0 bytes/workgroup (compile time only)
; SGPRBlocks: 0
; VGPRBlocks: 0
; NumSGPRsForWavesPerEU: 1
; NumVGPRsForWavesPerEU: 1
; Occupancy: 16
; WaveLimiterHint : 0
; COMPUTE_PGM_RSRC2:SCRATCH_EN: 0
; COMPUTE_PGM_RSRC2:USER_SGPR: 15
; COMPUTE_PGM_RSRC2:TRAP_HANDLER: 0
; COMPUTE_PGM_RSRC2:TGID_X_EN: 1
; COMPUTE_PGM_RSRC2:TGID_Y_EN: 0
; COMPUTE_PGM_RSRC2:TGID_Z_EN: 0
; COMPUTE_PGM_RSRC2:TIDIG_COMP_CNT: 0
	.section	.text._ZN7rocprim17ROCPRIM_400000_NS6detail17trampoline_kernelINS0_14default_configENS1_29reduce_by_key_config_selectorIttN6thrust23THRUST_200600_302600_NS4plusItEEEEZZNS1_33reduce_by_key_impl_wrapped_configILNS1_25lookback_scan_determinismE0ES3_S9_NS6_6detail15normal_iteratorINS6_10device_ptrItEEEESG_SG_SG_PmS8_22is_equal_div_10_reduceItEEE10hipError_tPvRmT2_T3_mT4_T5_T6_T7_T8_P12ihipStream_tbENKUlT_T0_E_clISt17integral_constantIbLb0EES10_IbLb1EEEEDaSW_SX_EUlSW_E_NS1_11comp_targetILNS1_3genE2ELNS1_11target_archE906ELNS1_3gpuE6ELNS1_3repE0EEENS1_30default_config_static_selectorELNS0_4arch9wavefront6targetE0EEEvT1_,"axG",@progbits,_ZN7rocprim17ROCPRIM_400000_NS6detail17trampoline_kernelINS0_14default_configENS1_29reduce_by_key_config_selectorIttN6thrust23THRUST_200600_302600_NS4plusItEEEEZZNS1_33reduce_by_key_impl_wrapped_configILNS1_25lookback_scan_determinismE0ES3_S9_NS6_6detail15normal_iteratorINS6_10device_ptrItEEEESG_SG_SG_PmS8_22is_equal_div_10_reduceItEEE10hipError_tPvRmT2_T3_mT4_T5_T6_T7_T8_P12ihipStream_tbENKUlT_T0_E_clISt17integral_constantIbLb0EES10_IbLb1EEEEDaSW_SX_EUlSW_E_NS1_11comp_targetILNS1_3genE2ELNS1_11target_archE906ELNS1_3gpuE6ELNS1_3repE0EEENS1_30default_config_static_selectorELNS0_4arch9wavefront6targetE0EEEvT1_,comdat
	.protected	_ZN7rocprim17ROCPRIM_400000_NS6detail17trampoline_kernelINS0_14default_configENS1_29reduce_by_key_config_selectorIttN6thrust23THRUST_200600_302600_NS4plusItEEEEZZNS1_33reduce_by_key_impl_wrapped_configILNS1_25lookback_scan_determinismE0ES3_S9_NS6_6detail15normal_iteratorINS6_10device_ptrItEEEESG_SG_SG_PmS8_22is_equal_div_10_reduceItEEE10hipError_tPvRmT2_T3_mT4_T5_T6_T7_T8_P12ihipStream_tbENKUlT_T0_E_clISt17integral_constantIbLb0EES10_IbLb1EEEEDaSW_SX_EUlSW_E_NS1_11comp_targetILNS1_3genE2ELNS1_11target_archE906ELNS1_3gpuE6ELNS1_3repE0EEENS1_30default_config_static_selectorELNS0_4arch9wavefront6targetE0EEEvT1_ ; -- Begin function _ZN7rocprim17ROCPRIM_400000_NS6detail17trampoline_kernelINS0_14default_configENS1_29reduce_by_key_config_selectorIttN6thrust23THRUST_200600_302600_NS4plusItEEEEZZNS1_33reduce_by_key_impl_wrapped_configILNS1_25lookback_scan_determinismE0ES3_S9_NS6_6detail15normal_iteratorINS6_10device_ptrItEEEESG_SG_SG_PmS8_22is_equal_div_10_reduceItEEE10hipError_tPvRmT2_T3_mT4_T5_T6_T7_T8_P12ihipStream_tbENKUlT_T0_E_clISt17integral_constantIbLb0EES10_IbLb1EEEEDaSW_SX_EUlSW_E_NS1_11comp_targetILNS1_3genE2ELNS1_11target_archE906ELNS1_3gpuE6ELNS1_3repE0EEENS1_30default_config_static_selectorELNS0_4arch9wavefront6targetE0EEEvT1_
	.globl	_ZN7rocprim17ROCPRIM_400000_NS6detail17trampoline_kernelINS0_14default_configENS1_29reduce_by_key_config_selectorIttN6thrust23THRUST_200600_302600_NS4plusItEEEEZZNS1_33reduce_by_key_impl_wrapped_configILNS1_25lookback_scan_determinismE0ES3_S9_NS6_6detail15normal_iteratorINS6_10device_ptrItEEEESG_SG_SG_PmS8_22is_equal_div_10_reduceItEEE10hipError_tPvRmT2_T3_mT4_T5_T6_T7_T8_P12ihipStream_tbENKUlT_T0_E_clISt17integral_constantIbLb0EES10_IbLb1EEEEDaSW_SX_EUlSW_E_NS1_11comp_targetILNS1_3genE2ELNS1_11target_archE906ELNS1_3gpuE6ELNS1_3repE0EEENS1_30default_config_static_selectorELNS0_4arch9wavefront6targetE0EEEvT1_
	.p2align	8
	.type	_ZN7rocprim17ROCPRIM_400000_NS6detail17trampoline_kernelINS0_14default_configENS1_29reduce_by_key_config_selectorIttN6thrust23THRUST_200600_302600_NS4plusItEEEEZZNS1_33reduce_by_key_impl_wrapped_configILNS1_25lookback_scan_determinismE0ES3_S9_NS6_6detail15normal_iteratorINS6_10device_ptrItEEEESG_SG_SG_PmS8_22is_equal_div_10_reduceItEEE10hipError_tPvRmT2_T3_mT4_T5_T6_T7_T8_P12ihipStream_tbENKUlT_T0_E_clISt17integral_constantIbLb0EES10_IbLb1EEEEDaSW_SX_EUlSW_E_NS1_11comp_targetILNS1_3genE2ELNS1_11target_archE906ELNS1_3gpuE6ELNS1_3repE0EEENS1_30default_config_static_selectorELNS0_4arch9wavefront6targetE0EEEvT1_,@function
_ZN7rocprim17ROCPRIM_400000_NS6detail17trampoline_kernelINS0_14default_configENS1_29reduce_by_key_config_selectorIttN6thrust23THRUST_200600_302600_NS4plusItEEEEZZNS1_33reduce_by_key_impl_wrapped_configILNS1_25lookback_scan_determinismE0ES3_S9_NS6_6detail15normal_iteratorINS6_10device_ptrItEEEESG_SG_SG_PmS8_22is_equal_div_10_reduceItEEE10hipError_tPvRmT2_T3_mT4_T5_T6_T7_T8_P12ihipStream_tbENKUlT_T0_E_clISt17integral_constantIbLb0EES10_IbLb1EEEEDaSW_SX_EUlSW_E_NS1_11comp_targetILNS1_3genE2ELNS1_11target_archE906ELNS1_3gpuE6ELNS1_3repE0EEENS1_30default_config_static_selectorELNS0_4arch9wavefront6targetE0EEEvT1_: ; @_ZN7rocprim17ROCPRIM_400000_NS6detail17trampoline_kernelINS0_14default_configENS1_29reduce_by_key_config_selectorIttN6thrust23THRUST_200600_302600_NS4plusItEEEEZZNS1_33reduce_by_key_impl_wrapped_configILNS1_25lookback_scan_determinismE0ES3_S9_NS6_6detail15normal_iteratorINS6_10device_ptrItEEEESG_SG_SG_PmS8_22is_equal_div_10_reduceItEEE10hipError_tPvRmT2_T3_mT4_T5_T6_T7_T8_P12ihipStream_tbENKUlT_T0_E_clISt17integral_constantIbLb0EES10_IbLb1EEEEDaSW_SX_EUlSW_E_NS1_11comp_targetILNS1_3genE2ELNS1_11target_archE906ELNS1_3gpuE6ELNS1_3repE0EEENS1_30default_config_static_selectorELNS0_4arch9wavefront6targetE0EEEvT1_
; %bb.0:
	.section	.rodata,"a",@progbits
	.p2align	6, 0x0
	.amdhsa_kernel _ZN7rocprim17ROCPRIM_400000_NS6detail17trampoline_kernelINS0_14default_configENS1_29reduce_by_key_config_selectorIttN6thrust23THRUST_200600_302600_NS4plusItEEEEZZNS1_33reduce_by_key_impl_wrapped_configILNS1_25lookback_scan_determinismE0ES3_S9_NS6_6detail15normal_iteratorINS6_10device_ptrItEEEESG_SG_SG_PmS8_22is_equal_div_10_reduceItEEE10hipError_tPvRmT2_T3_mT4_T5_T6_T7_T8_P12ihipStream_tbENKUlT_T0_E_clISt17integral_constantIbLb0EES10_IbLb1EEEEDaSW_SX_EUlSW_E_NS1_11comp_targetILNS1_3genE2ELNS1_11target_archE906ELNS1_3gpuE6ELNS1_3repE0EEENS1_30default_config_static_selectorELNS0_4arch9wavefront6targetE0EEEvT1_
		.amdhsa_group_segment_fixed_size 0
		.amdhsa_private_segment_fixed_size 0
		.amdhsa_kernarg_size 120
		.amdhsa_user_sgpr_count 15
		.amdhsa_user_sgpr_dispatch_ptr 0
		.amdhsa_user_sgpr_queue_ptr 0
		.amdhsa_user_sgpr_kernarg_segment_ptr 1
		.amdhsa_user_sgpr_dispatch_id 0
		.amdhsa_user_sgpr_private_segment_size 0
		.amdhsa_wavefront_size32 1
		.amdhsa_uses_dynamic_stack 0
		.amdhsa_enable_private_segment 0
		.amdhsa_system_sgpr_workgroup_id_x 1
		.amdhsa_system_sgpr_workgroup_id_y 0
		.amdhsa_system_sgpr_workgroup_id_z 0
		.amdhsa_system_sgpr_workgroup_info 0
		.amdhsa_system_vgpr_workitem_id 0
		.amdhsa_next_free_vgpr 1
		.amdhsa_next_free_sgpr 1
		.amdhsa_reserve_vcc 0
		.amdhsa_float_round_mode_32 0
		.amdhsa_float_round_mode_16_64 0
		.amdhsa_float_denorm_mode_32 3
		.amdhsa_float_denorm_mode_16_64 3
		.amdhsa_dx10_clamp 1
		.amdhsa_ieee_mode 1
		.amdhsa_fp16_overflow 0
		.amdhsa_workgroup_processor_mode 1
		.amdhsa_memory_ordered 1
		.amdhsa_forward_progress 0
		.amdhsa_shared_vgpr_count 0
		.amdhsa_exception_fp_ieee_invalid_op 0
		.amdhsa_exception_fp_denorm_src 0
		.amdhsa_exception_fp_ieee_div_zero 0
		.amdhsa_exception_fp_ieee_overflow 0
		.amdhsa_exception_fp_ieee_underflow 0
		.amdhsa_exception_fp_ieee_inexact 0
		.amdhsa_exception_int_div_zero 0
	.end_amdhsa_kernel
	.section	.text._ZN7rocprim17ROCPRIM_400000_NS6detail17trampoline_kernelINS0_14default_configENS1_29reduce_by_key_config_selectorIttN6thrust23THRUST_200600_302600_NS4plusItEEEEZZNS1_33reduce_by_key_impl_wrapped_configILNS1_25lookback_scan_determinismE0ES3_S9_NS6_6detail15normal_iteratorINS6_10device_ptrItEEEESG_SG_SG_PmS8_22is_equal_div_10_reduceItEEE10hipError_tPvRmT2_T3_mT4_T5_T6_T7_T8_P12ihipStream_tbENKUlT_T0_E_clISt17integral_constantIbLb0EES10_IbLb1EEEEDaSW_SX_EUlSW_E_NS1_11comp_targetILNS1_3genE2ELNS1_11target_archE906ELNS1_3gpuE6ELNS1_3repE0EEENS1_30default_config_static_selectorELNS0_4arch9wavefront6targetE0EEEvT1_,"axG",@progbits,_ZN7rocprim17ROCPRIM_400000_NS6detail17trampoline_kernelINS0_14default_configENS1_29reduce_by_key_config_selectorIttN6thrust23THRUST_200600_302600_NS4plusItEEEEZZNS1_33reduce_by_key_impl_wrapped_configILNS1_25lookback_scan_determinismE0ES3_S9_NS6_6detail15normal_iteratorINS6_10device_ptrItEEEESG_SG_SG_PmS8_22is_equal_div_10_reduceItEEE10hipError_tPvRmT2_T3_mT4_T5_T6_T7_T8_P12ihipStream_tbENKUlT_T0_E_clISt17integral_constantIbLb0EES10_IbLb1EEEEDaSW_SX_EUlSW_E_NS1_11comp_targetILNS1_3genE2ELNS1_11target_archE906ELNS1_3gpuE6ELNS1_3repE0EEENS1_30default_config_static_selectorELNS0_4arch9wavefront6targetE0EEEvT1_,comdat
.Lfunc_end462:
	.size	_ZN7rocprim17ROCPRIM_400000_NS6detail17trampoline_kernelINS0_14default_configENS1_29reduce_by_key_config_selectorIttN6thrust23THRUST_200600_302600_NS4plusItEEEEZZNS1_33reduce_by_key_impl_wrapped_configILNS1_25lookback_scan_determinismE0ES3_S9_NS6_6detail15normal_iteratorINS6_10device_ptrItEEEESG_SG_SG_PmS8_22is_equal_div_10_reduceItEEE10hipError_tPvRmT2_T3_mT4_T5_T6_T7_T8_P12ihipStream_tbENKUlT_T0_E_clISt17integral_constantIbLb0EES10_IbLb1EEEEDaSW_SX_EUlSW_E_NS1_11comp_targetILNS1_3genE2ELNS1_11target_archE906ELNS1_3gpuE6ELNS1_3repE0EEENS1_30default_config_static_selectorELNS0_4arch9wavefront6targetE0EEEvT1_, .Lfunc_end462-_ZN7rocprim17ROCPRIM_400000_NS6detail17trampoline_kernelINS0_14default_configENS1_29reduce_by_key_config_selectorIttN6thrust23THRUST_200600_302600_NS4plusItEEEEZZNS1_33reduce_by_key_impl_wrapped_configILNS1_25lookback_scan_determinismE0ES3_S9_NS6_6detail15normal_iteratorINS6_10device_ptrItEEEESG_SG_SG_PmS8_22is_equal_div_10_reduceItEEE10hipError_tPvRmT2_T3_mT4_T5_T6_T7_T8_P12ihipStream_tbENKUlT_T0_E_clISt17integral_constantIbLb0EES10_IbLb1EEEEDaSW_SX_EUlSW_E_NS1_11comp_targetILNS1_3genE2ELNS1_11target_archE906ELNS1_3gpuE6ELNS1_3repE0EEENS1_30default_config_static_selectorELNS0_4arch9wavefront6targetE0EEEvT1_
                                        ; -- End function
	.section	.AMDGPU.csdata,"",@progbits
; Kernel info:
; codeLenInByte = 0
; NumSgprs: 0
; NumVgprs: 0
; ScratchSize: 0
; MemoryBound: 0
; FloatMode: 240
; IeeeMode: 1
; LDSByteSize: 0 bytes/workgroup (compile time only)
; SGPRBlocks: 0
; VGPRBlocks: 0
; NumSGPRsForWavesPerEU: 1
; NumVGPRsForWavesPerEU: 1
; Occupancy: 16
; WaveLimiterHint : 0
; COMPUTE_PGM_RSRC2:SCRATCH_EN: 0
; COMPUTE_PGM_RSRC2:USER_SGPR: 15
; COMPUTE_PGM_RSRC2:TRAP_HANDLER: 0
; COMPUTE_PGM_RSRC2:TGID_X_EN: 1
; COMPUTE_PGM_RSRC2:TGID_Y_EN: 0
; COMPUTE_PGM_RSRC2:TGID_Z_EN: 0
; COMPUTE_PGM_RSRC2:TIDIG_COMP_CNT: 0
	.section	.text._ZN7rocprim17ROCPRIM_400000_NS6detail17trampoline_kernelINS0_14default_configENS1_29reduce_by_key_config_selectorIttN6thrust23THRUST_200600_302600_NS4plusItEEEEZZNS1_33reduce_by_key_impl_wrapped_configILNS1_25lookback_scan_determinismE0ES3_S9_NS6_6detail15normal_iteratorINS6_10device_ptrItEEEESG_SG_SG_PmS8_22is_equal_div_10_reduceItEEE10hipError_tPvRmT2_T3_mT4_T5_T6_T7_T8_P12ihipStream_tbENKUlT_T0_E_clISt17integral_constantIbLb0EES10_IbLb1EEEEDaSW_SX_EUlSW_E_NS1_11comp_targetILNS1_3genE10ELNS1_11target_archE1201ELNS1_3gpuE5ELNS1_3repE0EEENS1_30default_config_static_selectorELNS0_4arch9wavefront6targetE0EEEvT1_,"axG",@progbits,_ZN7rocprim17ROCPRIM_400000_NS6detail17trampoline_kernelINS0_14default_configENS1_29reduce_by_key_config_selectorIttN6thrust23THRUST_200600_302600_NS4plusItEEEEZZNS1_33reduce_by_key_impl_wrapped_configILNS1_25lookback_scan_determinismE0ES3_S9_NS6_6detail15normal_iteratorINS6_10device_ptrItEEEESG_SG_SG_PmS8_22is_equal_div_10_reduceItEEE10hipError_tPvRmT2_T3_mT4_T5_T6_T7_T8_P12ihipStream_tbENKUlT_T0_E_clISt17integral_constantIbLb0EES10_IbLb1EEEEDaSW_SX_EUlSW_E_NS1_11comp_targetILNS1_3genE10ELNS1_11target_archE1201ELNS1_3gpuE5ELNS1_3repE0EEENS1_30default_config_static_selectorELNS0_4arch9wavefront6targetE0EEEvT1_,comdat
	.protected	_ZN7rocprim17ROCPRIM_400000_NS6detail17trampoline_kernelINS0_14default_configENS1_29reduce_by_key_config_selectorIttN6thrust23THRUST_200600_302600_NS4plusItEEEEZZNS1_33reduce_by_key_impl_wrapped_configILNS1_25lookback_scan_determinismE0ES3_S9_NS6_6detail15normal_iteratorINS6_10device_ptrItEEEESG_SG_SG_PmS8_22is_equal_div_10_reduceItEEE10hipError_tPvRmT2_T3_mT4_T5_T6_T7_T8_P12ihipStream_tbENKUlT_T0_E_clISt17integral_constantIbLb0EES10_IbLb1EEEEDaSW_SX_EUlSW_E_NS1_11comp_targetILNS1_3genE10ELNS1_11target_archE1201ELNS1_3gpuE5ELNS1_3repE0EEENS1_30default_config_static_selectorELNS0_4arch9wavefront6targetE0EEEvT1_ ; -- Begin function _ZN7rocprim17ROCPRIM_400000_NS6detail17trampoline_kernelINS0_14default_configENS1_29reduce_by_key_config_selectorIttN6thrust23THRUST_200600_302600_NS4plusItEEEEZZNS1_33reduce_by_key_impl_wrapped_configILNS1_25lookback_scan_determinismE0ES3_S9_NS6_6detail15normal_iteratorINS6_10device_ptrItEEEESG_SG_SG_PmS8_22is_equal_div_10_reduceItEEE10hipError_tPvRmT2_T3_mT4_T5_T6_T7_T8_P12ihipStream_tbENKUlT_T0_E_clISt17integral_constantIbLb0EES10_IbLb1EEEEDaSW_SX_EUlSW_E_NS1_11comp_targetILNS1_3genE10ELNS1_11target_archE1201ELNS1_3gpuE5ELNS1_3repE0EEENS1_30default_config_static_selectorELNS0_4arch9wavefront6targetE0EEEvT1_
	.globl	_ZN7rocprim17ROCPRIM_400000_NS6detail17trampoline_kernelINS0_14default_configENS1_29reduce_by_key_config_selectorIttN6thrust23THRUST_200600_302600_NS4plusItEEEEZZNS1_33reduce_by_key_impl_wrapped_configILNS1_25lookback_scan_determinismE0ES3_S9_NS6_6detail15normal_iteratorINS6_10device_ptrItEEEESG_SG_SG_PmS8_22is_equal_div_10_reduceItEEE10hipError_tPvRmT2_T3_mT4_T5_T6_T7_T8_P12ihipStream_tbENKUlT_T0_E_clISt17integral_constantIbLb0EES10_IbLb1EEEEDaSW_SX_EUlSW_E_NS1_11comp_targetILNS1_3genE10ELNS1_11target_archE1201ELNS1_3gpuE5ELNS1_3repE0EEENS1_30default_config_static_selectorELNS0_4arch9wavefront6targetE0EEEvT1_
	.p2align	8
	.type	_ZN7rocprim17ROCPRIM_400000_NS6detail17trampoline_kernelINS0_14default_configENS1_29reduce_by_key_config_selectorIttN6thrust23THRUST_200600_302600_NS4plusItEEEEZZNS1_33reduce_by_key_impl_wrapped_configILNS1_25lookback_scan_determinismE0ES3_S9_NS6_6detail15normal_iteratorINS6_10device_ptrItEEEESG_SG_SG_PmS8_22is_equal_div_10_reduceItEEE10hipError_tPvRmT2_T3_mT4_T5_T6_T7_T8_P12ihipStream_tbENKUlT_T0_E_clISt17integral_constantIbLb0EES10_IbLb1EEEEDaSW_SX_EUlSW_E_NS1_11comp_targetILNS1_3genE10ELNS1_11target_archE1201ELNS1_3gpuE5ELNS1_3repE0EEENS1_30default_config_static_selectorELNS0_4arch9wavefront6targetE0EEEvT1_,@function
_ZN7rocprim17ROCPRIM_400000_NS6detail17trampoline_kernelINS0_14default_configENS1_29reduce_by_key_config_selectorIttN6thrust23THRUST_200600_302600_NS4plusItEEEEZZNS1_33reduce_by_key_impl_wrapped_configILNS1_25lookback_scan_determinismE0ES3_S9_NS6_6detail15normal_iteratorINS6_10device_ptrItEEEESG_SG_SG_PmS8_22is_equal_div_10_reduceItEEE10hipError_tPvRmT2_T3_mT4_T5_T6_T7_T8_P12ihipStream_tbENKUlT_T0_E_clISt17integral_constantIbLb0EES10_IbLb1EEEEDaSW_SX_EUlSW_E_NS1_11comp_targetILNS1_3genE10ELNS1_11target_archE1201ELNS1_3gpuE5ELNS1_3repE0EEENS1_30default_config_static_selectorELNS0_4arch9wavefront6targetE0EEEvT1_: ; @_ZN7rocprim17ROCPRIM_400000_NS6detail17trampoline_kernelINS0_14default_configENS1_29reduce_by_key_config_selectorIttN6thrust23THRUST_200600_302600_NS4plusItEEEEZZNS1_33reduce_by_key_impl_wrapped_configILNS1_25lookback_scan_determinismE0ES3_S9_NS6_6detail15normal_iteratorINS6_10device_ptrItEEEESG_SG_SG_PmS8_22is_equal_div_10_reduceItEEE10hipError_tPvRmT2_T3_mT4_T5_T6_T7_T8_P12ihipStream_tbENKUlT_T0_E_clISt17integral_constantIbLb0EES10_IbLb1EEEEDaSW_SX_EUlSW_E_NS1_11comp_targetILNS1_3genE10ELNS1_11target_archE1201ELNS1_3gpuE5ELNS1_3repE0EEENS1_30default_config_static_selectorELNS0_4arch9wavefront6targetE0EEEvT1_
; %bb.0:
	.section	.rodata,"a",@progbits
	.p2align	6, 0x0
	.amdhsa_kernel _ZN7rocprim17ROCPRIM_400000_NS6detail17trampoline_kernelINS0_14default_configENS1_29reduce_by_key_config_selectorIttN6thrust23THRUST_200600_302600_NS4plusItEEEEZZNS1_33reduce_by_key_impl_wrapped_configILNS1_25lookback_scan_determinismE0ES3_S9_NS6_6detail15normal_iteratorINS6_10device_ptrItEEEESG_SG_SG_PmS8_22is_equal_div_10_reduceItEEE10hipError_tPvRmT2_T3_mT4_T5_T6_T7_T8_P12ihipStream_tbENKUlT_T0_E_clISt17integral_constantIbLb0EES10_IbLb1EEEEDaSW_SX_EUlSW_E_NS1_11comp_targetILNS1_3genE10ELNS1_11target_archE1201ELNS1_3gpuE5ELNS1_3repE0EEENS1_30default_config_static_selectorELNS0_4arch9wavefront6targetE0EEEvT1_
		.amdhsa_group_segment_fixed_size 0
		.amdhsa_private_segment_fixed_size 0
		.amdhsa_kernarg_size 120
		.amdhsa_user_sgpr_count 15
		.amdhsa_user_sgpr_dispatch_ptr 0
		.amdhsa_user_sgpr_queue_ptr 0
		.amdhsa_user_sgpr_kernarg_segment_ptr 1
		.amdhsa_user_sgpr_dispatch_id 0
		.amdhsa_user_sgpr_private_segment_size 0
		.amdhsa_wavefront_size32 1
		.amdhsa_uses_dynamic_stack 0
		.amdhsa_enable_private_segment 0
		.amdhsa_system_sgpr_workgroup_id_x 1
		.amdhsa_system_sgpr_workgroup_id_y 0
		.amdhsa_system_sgpr_workgroup_id_z 0
		.amdhsa_system_sgpr_workgroup_info 0
		.amdhsa_system_vgpr_workitem_id 0
		.amdhsa_next_free_vgpr 1
		.amdhsa_next_free_sgpr 1
		.amdhsa_reserve_vcc 0
		.amdhsa_float_round_mode_32 0
		.amdhsa_float_round_mode_16_64 0
		.amdhsa_float_denorm_mode_32 3
		.amdhsa_float_denorm_mode_16_64 3
		.amdhsa_dx10_clamp 1
		.amdhsa_ieee_mode 1
		.amdhsa_fp16_overflow 0
		.amdhsa_workgroup_processor_mode 1
		.amdhsa_memory_ordered 1
		.amdhsa_forward_progress 0
		.amdhsa_shared_vgpr_count 0
		.amdhsa_exception_fp_ieee_invalid_op 0
		.amdhsa_exception_fp_denorm_src 0
		.amdhsa_exception_fp_ieee_div_zero 0
		.amdhsa_exception_fp_ieee_overflow 0
		.amdhsa_exception_fp_ieee_underflow 0
		.amdhsa_exception_fp_ieee_inexact 0
		.amdhsa_exception_int_div_zero 0
	.end_amdhsa_kernel
	.section	.text._ZN7rocprim17ROCPRIM_400000_NS6detail17trampoline_kernelINS0_14default_configENS1_29reduce_by_key_config_selectorIttN6thrust23THRUST_200600_302600_NS4plusItEEEEZZNS1_33reduce_by_key_impl_wrapped_configILNS1_25lookback_scan_determinismE0ES3_S9_NS6_6detail15normal_iteratorINS6_10device_ptrItEEEESG_SG_SG_PmS8_22is_equal_div_10_reduceItEEE10hipError_tPvRmT2_T3_mT4_T5_T6_T7_T8_P12ihipStream_tbENKUlT_T0_E_clISt17integral_constantIbLb0EES10_IbLb1EEEEDaSW_SX_EUlSW_E_NS1_11comp_targetILNS1_3genE10ELNS1_11target_archE1201ELNS1_3gpuE5ELNS1_3repE0EEENS1_30default_config_static_selectorELNS0_4arch9wavefront6targetE0EEEvT1_,"axG",@progbits,_ZN7rocprim17ROCPRIM_400000_NS6detail17trampoline_kernelINS0_14default_configENS1_29reduce_by_key_config_selectorIttN6thrust23THRUST_200600_302600_NS4plusItEEEEZZNS1_33reduce_by_key_impl_wrapped_configILNS1_25lookback_scan_determinismE0ES3_S9_NS6_6detail15normal_iteratorINS6_10device_ptrItEEEESG_SG_SG_PmS8_22is_equal_div_10_reduceItEEE10hipError_tPvRmT2_T3_mT4_T5_T6_T7_T8_P12ihipStream_tbENKUlT_T0_E_clISt17integral_constantIbLb0EES10_IbLb1EEEEDaSW_SX_EUlSW_E_NS1_11comp_targetILNS1_3genE10ELNS1_11target_archE1201ELNS1_3gpuE5ELNS1_3repE0EEENS1_30default_config_static_selectorELNS0_4arch9wavefront6targetE0EEEvT1_,comdat
.Lfunc_end463:
	.size	_ZN7rocprim17ROCPRIM_400000_NS6detail17trampoline_kernelINS0_14default_configENS1_29reduce_by_key_config_selectorIttN6thrust23THRUST_200600_302600_NS4plusItEEEEZZNS1_33reduce_by_key_impl_wrapped_configILNS1_25lookback_scan_determinismE0ES3_S9_NS6_6detail15normal_iteratorINS6_10device_ptrItEEEESG_SG_SG_PmS8_22is_equal_div_10_reduceItEEE10hipError_tPvRmT2_T3_mT4_T5_T6_T7_T8_P12ihipStream_tbENKUlT_T0_E_clISt17integral_constantIbLb0EES10_IbLb1EEEEDaSW_SX_EUlSW_E_NS1_11comp_targetILNS1_3genE10ELNS1_11target_archE1201ELNS1_3gpuE5ELNS1_3repE0EEENS1_30default_config_static_selectorELNS0_4arch9wavefront6targetE0EEEvT1_, .Lfunc_end463-_ZN7rocprim17ROCPRIM_400000_NS6detail17trampoline_kernelINS0_14default_configENS1_29reduce_by_key_config_selectorIttN6thrust23THRUST_200600_302600_NS4plusItEEEEZZNS1_33reduce_by_key_impl_wrapped_configILNS1_25lookback_scan_determinismE0ES3_S9_NS6_6detail15normal_iteratorINS6_10device_ptrItEEEESG_SG_SG_PmS8_22is_equal_div_10_reduceItEEE10hipError_tPvRmT2_T3_mT4_T5_T6_T7_T8_P12ihipStream_tbENKUlT_T0_E_clISt17integral_constantIbLb0EES10_IbLb1EEEEDaSW_SX_EUlSW_E_NS1_11comp_targetILNS1_3genE10ELNS1_11target_archE1201ELNS1_3gpuE5ELNS1_3repE0EEENS1_30default_config_static_selectorELNS0_4arch9wavefront6targetE0EEEvT1_
                                        ; -- End function
	.section	.AMDGPU.csdata,"",@progbits
; Kernel info:
; codeLenInByte = 0
; NumSgprs: 0
; NumVgprs: 0
; ScratchSize: 0
; MemoryBound: 0
; FloatMode: 240
; IeeeMode: 1
; LDSByteSize: 0 bytes/workgroup (compile time only)
; SGPRBlocks: 0
; VGPRBlocks: 0
; NumSGPRsForWavesPerEU: 1
; NumVGPRsForWavesPerEU: 1
; Occupancy: 16
; WaveLimiterHint : 0
; COMPUTE_PGM_RSRC2:SCRATCH_EN: 0
; COMPUTE_PGM_RSRC2:USER_SGPR: 15
; COMPUTE_PGM_RSRC2:TRAP_HANDLER: 0
; COMPUTE_PGM_RSRC2:TGID_X_EN: 1
; COMPUTE_PGM_RSRC2:TGID_Y_EN: 0
; COMPUTE_PGM_RSRC2:TGID_Z_EN: 0
; COMPUTE_PGM_RSRC2:TIDIG_COMP_CNT: 0
	.section	.text._ZN7rocprim17ROCPRIM_400000_NS6detail17trampoline_kernelINS0_14default_configENS1_29reduce_by_key_config_selectorIttN6thrust23THRUST_200600_302600_NS4plusItEEEEZZNS1_33reduce_by_key_impl_wrapped_configILNS1_25lookback_scan_determinismE0ES3_S9_NS6_6detail15normal_iteratorINS6_10device_ptrItEEEESG_SG_SG_PmS8_22is_equal_div_10_reduceItEEE10hipError_tPvRmT2_T3_mT4_T5_T6_T7_T8_P12ihipStream_tbENKUlT_T0_E_clISt17integral_constantIbLb0EES10_IbLb1EEEEDaSW_SX_EUlSW_E_NS1_11comp_targetILNS1_3genE10ELNS1_11target_archE1200ELNS1_3gpuE4ELNS1_3repE0EEENS1_30default_config_static_selectorELNS0_4arch9wavefront6targetE0EEEvT1_,"axG",@progbits,_ZN7rocprim17ROCPRIM_400000_NS6detail17trampoline_kernelINS0_14default_configENS1_29reduce_by_key_config_selectorIttN6thrust23THRUST_200600_302600_NS4plusItEEEEZZNS1_33reduce_by_key_impl_wrapped_configILNS1_25lookback_scan_determinismE0ES3_S9_NS6_6detail15normal_iteratorINS6_10device_ptrItEEEESG_SG_SG_PmS8_22is_equal_div_10_reduceItEEE10hipError_tPvRmT2_T3_mT4_T5_T6_T7_T8_P12ihipStream_tbENKUlT_T0_E_clISt17integral_constantIbLb0EES10_IbLb1EEEEDaSW_SX_EUlSW_E_NS1_11comp_targetILNS1_3genE10ELNS1_11target_archE1200ELNS1_3gpuE4ELNS1_3repE0EEENS1_30default_config_static_selectorELNS0_4arch9wavefront6targetE0EEEvT1_,comdat
	.protected	_ZN7rocprim17ROCPRIM_400000_NS6detail17trampoline_kernelINS0_14default_configENS1_29reduce_by_key_config_selectorIttN6thrust23THRUST_200600_302600_NS4plusItEEEEZZNS1_33reduce_by_key_impl_wrapped_configILNS1_25lookback_scan_determinismE0ES3_S9_NS6_6detail15normal_iteratorINS6_10device_ptrItEEEESG_SG_SG_PmS8_22is_equal_div_10_reduceItEEE10hipError_tPvRmT2_T3_mT4_T5_T6_T7_T8_P12ihipStream_tbENKUlT_T0_E_clISt17integral_constantIbLb0EES10_IbLb1EEEEDaSW_SX_EUlSW_E_NS1_11comp_targetILNS1_3genE10ELNS1_11target_archE1200ELNS1_3gpuE4ELNS1_3repE0EEENS1_30default_config_static_selectorELNS0_4arch9wavefront6targetE0EEEvT1_ ; -- Begin function _ZN7rocprim17ROCPRIM_400000_NS6detail17trampoline_kernelINS0_14default_configENS1_29reduce_by_key_config_selectorIttN6thrust23THRUST_200600_302600_NS4plusItEEEEZZNS1_33reduce_by_key_impl_wrapped_configILNS1_25lookback_scan_determinismE0ES3_S9_NS6_6detail15normal_iteratorINS6_10device_ptrItEEEESG_SG_SG_PmS8_22is_equal_div_10_reduceItEEE10hipError_tPvRmT2_T3_mT4_T5_T6_T7_T8_P12ihipStream_tbENKUlT_T0_E_clISt17integral_constantIbLb0EES10_IbLb1EEEEDaSW_SX_EUlSW_E_NS1_11comp_targetILNS1_3genE10ELNS1_11target_archE1200ELNS1_3gpuE4ELNS1_3repE0EEENS1_30default_config_static_selectorELNS0_4arch9wavefront6targetE0EEEvT1_
	.globl	_ZN7rocprim17ROCPRIM_400000_NS6detail17trampoline_kernelINS0_14default_configENS1_29reduce_by_key_config_selectorIttN6thrust23THRUST_200600_302600_NS4plusItEEEEZZNS1_33reduce_by_key_impl_wrapped_configILNS1_25lookback_scan_determinismE0ES3_S9_NS6_6detail15normal_iteratorINS6_10device_ptrItEEEESG_SG_SG_PmS8_22is_equal_div_10_reduceItEEE10hipError_tPvRmT2_T3_mT4_T5_T6_T7_T8_P12ihipStream_tbENKUlT_T0_E_clISt17integral_constantIbLb0EES10_IbLb1EEEEDaSW_SX_EUlSW_E_NS1_11comp_targetILNS1_3genE10ELNS1_11target_archE1200ELNS1_3gpuE4ELNS1_3repE0EEENS1_30default_config_static_selectorELNS0_4arch9wavefront6targetE0EEEvT1_
	.p2align	8
	.type	_ZN7rocprim17ROCPRIM_400000_NS6detail17trampoline_kernelINS0_14default_configENS1_29reduce_by_key_config_selectorIttN6thrust23THRUST_200600_302600_NS4plusItEEEEZZNS1_33reduce_by_key_impl_wrapped_configILNS1_25lookback_scan_determinismE0ES3_S9_NS6_6detail15normal_iteratorINS6_10device_ptrItEEEESG_SG_SG_PmS8_22is_equal_div_10_reduceItEEE10hipError_tPvRmT2_T3_mT4_T5_T6_T7_T8_P12ihipStream_tbENKUlT_T0_E_clISt17integral_constantIbLb0EES10_IbLb1EEEEDaSW_SX_EUlSW_E_NS1_11comp_targetILNS1_3genE10ELNS1_11target_archE1200ELNS1_3gpuE4ELNS1_3repE0EEENS1_30default_config_static_selectorELNS0_4arch9wavefront6targetE0EEEvT1_,@function
_ZN7rocprim17ROCPRIM_400000_NS6detail17trampoline_kernelINS0_14default_configENS1_29reduce_by_key_config_selectorIttN6thrust23THRUST_200600_302600_NS4plusItEEEEZZNS1_33reduce_by_key_impl_wrapped_configILNS1_25lookback_scan_determinismE0ES3_S9_NS6_6detail15normal_iteratorINS6_10device_ptrItEEEESG_SG_SG_PmS8_22is_equal_div_10_reduceItEEE10hipError_tPvRmT2_T3_mT4_T5_T6_T7_T8_P12ihipStream_tbENKUlT_T0_E_clISt17integral_constantIbLb0EES10_IbLb1EEEEDaSW_SX_EUlSW_E_NS1_11comp_targetILNS1_3genE10ELNS1_11target_archE1200ELNS1_3gpuE4ELNS1_3repE0EEENS1_30default_config_static_selectorELNS0_4arch9wavefront6targetE0EEEvT1_: ; @_ZN7rocprim17ROCPRIM_400000_NS6detail17trampoline_kernelINS0_14default_configENS1_29reduce_by_key_config_selectorIttN6thrust23THRUST_200600_302600_NS4plusItEEEEZZNS1_33reduce_by_key_impl_wrapped_configILNS1_25lookback_scan_determinismE0ES3_S9_NS6_6detail15normal_iteratorINS6_10device_ptrItEEEESG_SG_SG_PmS8_22is_equal_div_10_reduceItEEE10hipError_tPvRmT2_T3_mT4_T5_T6_T7_T8_P12ihipStream_tbENKUlT_T0_E_clISt17integral_constantIbLb0EES10_IbLb1EEEEDaSW_SX_EUlSW_E_NS1_11comp_targetILNS1_3genE10ELNS1_11target_archE1200ELNS1_3gpuE4ELNS1_3repE0EEENS1_30default_config_static_selectorELNS0_4arch9wavefront6targetE0EEEvT1_
; %bb.0:
	.section	.rodata,"a",@progbits
	.p2align	6, 0x0
	.amdhsa_kernel _ZN7rocprim17ROCPRIM_400000_NS6detail17trampoline_kernelINS0_14default_configENS1_29reduce_by_key_config_selectorIttN6thrust23THRUST_200600_302600_NS4plusItEEEEZZNS1_33reduce_by_key_impl_wrapped_configILNS1_25lookback_scan_determinismE0ES3_S9_NS6_6detail15normal_iteratorINS6_10device_ptrItEEEESG_SG_SG_PmS8_22is_equal_div_10_reduceItEEE10hipError_tPvRmT2_T3_mT4_T5_T6_T7_T8_P12ihipStream_tbENKUlT_T0_E_clISt17integral_constantIbLb0EES10_IbLb1EEEEDaSW_SX_EUlSW_E_NS1_11comp_targetILNS1_3genE10ELNS1_11target_archE1200ELNS1_3gpuE4ELNS1_3repE0EEENS1_30default_config_static_selectorELNS0_4arch9wavefront6targetE0EEEvT1_
		.amdhsa_group_segment_fixed_size 0
		.amdhsa_private_segment_fixed_size 0
		.amdhsa_kernarg_size 120
		.amdhsa_user_sgpr_count 15
		.amdhsa_user_sgpr_dispatch_ptr 0
		.amdhsa_user_sgpr_queue_ptr 0
		.amdhsa_user_sgpr_kernarg_segment_ptr 1
		.amdhsa_user_sgpr_dispatch_id 0
		.amdhsa_user_sgpr_private_segment_size 0
		.amdhsa_wavefront_size32 1
		.amdhsa_uses_dynamic_stack 0
		.amdhsa_enable_private_segment 0
		.amdhsa_system_sgpr_workgroup_id_x 1
		.amdhsa_system_sgpr_workgroup_id_y 0
		.amdhsa_system_sgpr_workgroup_id_z 0
		.amdhsa_system_sgpr_workgroup_info 0
		.amdhsa_system_vgpr_workitem_id 0
		.amdhsa_next_free_vgpr 1
		.amdhsa_next_free_sgpr 1
		.amdhsa_reserve_vcc 0
		.amdhsa_float_round_mode_32 0
		.amdhsa_float_round_mode_16_64 0
		.amdhsa_float_denorm_mode_32 3
		.amdhsa_float_denorm_mode_16_64 3
		.amdhsa_dx10_clamp 1
		.amdhsa_ieee_mode 1
		.amdhsa_fp16_overflow 0
		.amdhsa_workgroup_processor_mode 1
		.amdhsa_memory_ordered 1
		.amdhsa_forward_progress 0
		.amdhsa_shared_vgpr_count 0
		.amdhsa_exception_fp_ieee_invalid_op 0
		.amdhsa_exception_fp_denorm_src 0
		.amdhsa_exception_fp_ieee_div_zero 0
		.amdhsa_exception_fp_ieee_overflow 0
		.amdhsa_exception_fp_ieee_underflow 0
		.amdhsa_exception_fp_ieee_inexact 0
		.amdhsa_exception_int_div_zero 0
	.end_amdhsa_kernel
	.section	.text._ZN7rocprim17ROCPRIM_400000_NS6detail17trampoline_kernelINS0_14default_configENS1_29reduce_by_key_config_selectorIttN6thrust23THRUST_200600_302600_NS4plusItEEEEZZNS1_33reduce_by_key_impl_wrapped_configILNS1_25lookback_scan_determinismE0ES3_S9_NS6_6detail15normal_iteratorINS6_10device_ptrItEEEESG_SG_SG_PmS8_22is_equal_div_10_reduceItEEE10hipError_tPvRmT2_T3_mT4_T5_T6_T7_T8_P12ihipStream_tbENKUlT_T0_E_clISt17integral_constantIbLb0EES10_IbLb1EEEEDaSW_SX_EUlSW_E_NS1_11comp_targetILNS1_3genE10ELNS1_11target_archE1200ELNS1_3gpuE4ELNS1_3repE0EEENS1_30default_config_static_selectorELNS0_4arch9wavefront6targetE0EEEvT1_,"axG",@progbits,_ZN7rocprim17ROCPRIM_400000_NS6detail17trampoline_kernelINS0_14default_configENS1_29reduce_by_key_config_selectorIttN6thrust23THRUST_200600_302600_NS4plusItEEEEZZNS1_33reduce_by_key_impl_wrapped_configILNS1_25lookback_scan_determinismE0ES3_S9_NS6_6detail15normal_iteratorINS6_10device_ptrItEEEESG_SG_SG_PmS8_22is_equal_div_10_reduceItEEE10hipError_tPvRmT2_T3_mT4_T5_T6_T7_T8_P12ihipStream_tbENKUlT_T0_E_clISt17integral_constantIbLb0EES10_IbLb1EEEEDaSW_SX_EUlSW_E_NS1_11comp_targetILNS1_3genE10ELNS1_11target_archE1200ELNS1_3gpuE4ELNS1_3repE0EEENS1_30default_config_static_selectorELNS0_4arch9wavefront6targetE0EEEvT1_,comdat
.Lfunc_end464:
	.size	_ZN7rocprim17ROCPRIM_400000_NS6detail17trampoline_kernelINS0_14default_configENS1_29reduce_by_key_config_selectorIttN6thrust23THRUST_200600_302600_NS4plusItEEEEZZNS1_33reduce_by_key_impl_wrapped_configILNS1_25lookback_scan_determinismE0ES3_S9_NS6_6detail15normal_iteratorINS6_10device_ptrItEEEESG_SG_SG_PmS8_22is_equal_div_10_reduceItEEE10hipError_tPvRmT2_T3_mT4_T5_T6_T7_T8_P12ihipStream_tbENKUlT_T0_E_clISt17integral_constantIbLb0EES10_IbLb1EEEEDaSW_SX_EUlSW_E_NS1_11comp_targetILNS1_3genE10ELNS1_11target_archE1200ELNS1_3gpuE4ELNS1_3repE0EEENS1_30default_config_static_selectorELNS0_4arch9wavefront6targetE0EEEvT1_, .Lfunc_end464-_ZN7rocprim17ROCPRIM_400000_NS6detail17trampoline_kernelINS0_14default_configENS1_29reduce_by_key_config_selectorIttN6thrust23THRUST_200600_302600_NS4plusItEEEEZZNS1_33reduce_by_key_impl_wrapped_configILNS1_25lookback_scan_determinismE0ES3_S9_NS6_6detail15normal_iteratorINS6_10device_ptrItEEEESG_SG_SG_PmS8_22is_equal_div_10_reduceItEEE10hipError_tPvRmT2_T3_mT4_T5_T6_T7_T8_P12ihipStream_tbENKUlT_T0_E_clISt17integral_constantIbLb0EES10_IbLb1EEEEDaSW_SX_EUlSW_E_NS1_11comp_targetILNS1_3genE10ELNS1_11target_archE1200ELNS1_3gpuE4ELNS1_3repE0EEENS1_30default_config_static_selectorELNS0_4arch9wavefront6targetE0EEEvT1_
                                        ; -- End function
	.section	.AMDGPU.csdata,"",@progbits
; Kernel info:
; codeLenInByte = 0
; NumSgprs: 0
; NumVgprs: 0
; ScratchSize: 0
; MemoryBound: 0
; FloatMode: 240
; IeeeMode: 1
; LDSByteSize: 0 bytes/workgroup (compile time only)
; SGPRBlocks: 0
; VGPRBlocks: 0
; NumSGPRsForWavesPerEU: 1
; NumVGPRsForWavesPerEU: 1
; Occupancy: 16
; WaveLimiterHint : 0
; COMPUTE_PGM_RSRC2:SCRATCH_EN: 0
; COMPUTE_PGM_RSRC2:USER_SGPR: 15
; COMPUTE_PGM_RSRC2:TRAP_HANDLER: 0
; COMPUTE_PGM_RSRC2:TGID_X_EN: 1
; COMPUTE_PGM_RSRC2:TGID_Y_EN: 0
; COMPUTE_PGM_RSRC2:TGID_Z_EN: 0
; COMPUTE_PGM_RSRC2:TIDIG_COMP_CNT: 0
	.section	.text._ZN7rocprim17ROCPRIM_400000_NS6detail17trampoline_kernelINS0_14default_configENS1_29reduce_by_key_config_selectorIttN6thrust23THRUST_200600_302600_NS4plusItEEEEZZNS1_33reduce_by_key_impl_wrapped_configILNS1_25lookback_scan_determinismE0ES3_S9_NS6_6detail15normal_iteratorINS6_10device_ptrItEEEESG_SG_SG_PmS8_22is_equal_div_10_reduceItEEE10hipError_tPvRmT2_T3_mT4_T5_T6_T7_T8_P12ihipStream_tbENKUlT_T0_E_clISt17integral_constantIbLb0EES10_IbLb1EEEEDaSW_SX_EUlSW_E_NS1_11comp_targetILNS1_3genE9ELNS1_11target_archE1100ELNS1_3gpuE3ELNS1_3repE0EEENS1_30default_config_static_selectorELNS0_4arch9wavefront6targetE0EEEvT1_,"axG",@progbits,_ZN7rocprim17ROCPRIM_400000_NS6detail17trampoline_kernelINS0_14default_configENS1_29reduce_by_key_config_selectorIttN6thrust23THRUST_200600_302600_NS4plusItEEEEZZNS1_33reduce_by_key_impl_wrapped_configILNS1_25lookback_scan_determinismE0ES3_S9_NS6_6detail15normal_iteratorINS6_10device_ptrItEEEESG_SG_SG_PmS8_22is_equal_div_10_reduceItEEE10hipError_tPvRmT2_T3_mT4_T5_T6_T7_T8_P12ihipStream_tbENKUlT_T0_E_clISt17integral_constantIbLb0EES10_IbLb1EEEEDaSW_SX_EUlSW_E_NS1_11comp_targetILNS1_3genE9ELNS1_11target_archE1100ELNS1_3gpuE3ELNS1_3repE0EEENS1_30default_config_static_selectorELNS0_4arch9wavefront6targetE0EEEvT1_,comdat
	.protected	_ZN7rocprim17ROCPRIM_400000_NS6detail17trampoline_kernelINS0_14default_configENS1_29reduce_by_key_config_selectorIttN6thrust23THRUST_200600_302600_NS4plusItEEEEZZNS1_33reduce_by_key_impl_wrapped_configILNS1_25lookback_scan_determinismE0ES3_S9_NS6_6detail15normal_iteratorINS6_10device_ptrItEEEESG_SG_SG_PmS8_22is_equal_div_10_reduceItEEE10hipError_tPvRmT2_T3_mT4_T5_T6_T7_T8_P12ihipStream_tbENKUlT_T0_E_clISt17integral_constantIbLb0EES10_IbLb1EEEEDaSW_SX_EUlSW_E_NS1_11comp_targetILNS1_3genE9ELNS1_11target_archE1100ELNS1_3gpuE3ELNS1_3repE0EEENS1_30default_config_static_selectorELNS0_4arch9wavefront6targetE0EEEvT1_ ; -- Begin function _ZN7rocprim17ROCPRIM_400000_NS6detail17trampoline_kernelINS0_14default_configENS1_29reduce_by_key_config_selectorIttN6thrust23THRUST_200600_302600_NS4plusItEEEEZZNS1_33reduce_by_key_impl_wrapped_configILNS1_25lookback_scan_determinismE0ES3_S9_NS6_6detail15normal_iteratorINS6_10device_ptrItEEEESG_SG_SG_PmS8_22is_equal_div_10_reduceItEEE10hipError_tPvRmT2_T3_mT4_T5_T6_T7_T8_P12ihipStream_tbENKUlT_T0_E_clISt17integral_constantIbLb0EES10_IbLb1EEEEDaSW_SX_EUlSW_E_NS1_11comp_targetILNS1_3genE9ELNS1_11target_archE1100ELNS1_3gpuE3ELNS1_3repE0EEENS1_30default_config_static_selectorELNS0_4arch9wavefront6targetE0EEEvT1_
	.globl	_ZN7rocprim17ROCPRIM_400000_NS6detail17trampoline_kernelINS0_14default_configENS1_29reduce_by_key_config_selectorIttN6thrust23THRUST_200600_302600_NS4plusItEEEEZZNS1_33reduce_by_key_impl_wrapped_configILNS1_25lookback_scan_determinismE0ES3_S9_NS6_6detail15normal_iteratorINS6_10device_ptrItEEEESG_SG_SG_PmS8_22is_equal_div_10_reduceItEEE10hipError_tPvRmT2_T3_mT4_T5_T6_T7_T8_P12ihipStream_tbENKUlT_T0_E_clISt17integral_constantIbLb0EES10_IbLb1EEEEDaSW_SX_EUlSW_E_NS1_11comp_targetILNS1_3genE9ELNS1_11target_archE1100ELNS1_3gpuE3ELNS1_3repE0EEENS1_30default_config_static_selectorELNS0_4arch9wavefront6targetE0EEEvT1_
	.p2align	8
	.type	_ZN7rocprim17ROCPRIM_400000_NS6detail17trampoline_kernelINS0_14default_configENS1_29reduce_by_key_config_selectorIttN6thrust23THRUST_200600_302600_NS4plusItEEEEZZNS1_33reduce_by_key_impl_wrapped_configILNS1_25lookback_scan_determinismE0ES3_S9_NS6_6detail15normal_iteratorINS6_10device_ptrItEEEESG_SG_SG_PmS8_22is_equal_div_10_reduceItEEE10hipError_tPvRmT2_T3_mT4_T5_T6_T7_T8_P12ihipStream_tbENKUlT_T0_E_clISt17integral_constantIbLb0EES10_IbLb1EEEEDaSW_SX_EUlSW_E_NS1_11comp_targetILNS1_3genE9ELNS1_11target_archE1100ELNS1_3gpuE3ELNS1_3repE0EEENS1_30default_config_static_selectorELNS0_4arch9wavefront6targetE0EEEvT1_,@function
_ZN7rocprim17ROCPRIM_400000_NS6detail17trampoline_kernelINS0_14default_configENS1_29reduce_by_key_config_selectorIttN6thrust23THRUST_200600_302600_NS4plusItEEEEZZNS1_33reduce_by_key_impl_wrapped_configILNS1_25lookback_scan_determinismE0ES3_S9_NS6_6detail15normal_iteratorINS6_10device_ptrItEEEESG_SG_SG_PmS8_22is_equal_div_10_reduceItEEE10hipError_tPvRmT2_T3_mT4_T5_T6_T7_T8_P12ihipStream_tbENKUlT_T0_E_clISt17integral_constantIbLb0EES10_IbLb1EEEEDaSW_SX_EUlSW_E_NS1_11comp_targetILNS1_3genE9ELNS1_11target_archE1100ELNS1_3gpuE3ELNS1_3repE0EEENS1_30default_config_static_selectorELNS0_4arch9wavefront6targetE0EEEvT1_: ; @_ZN7rocprim17ROCPRIM_400000_NS6detail17trampoline_kernelINS0_14default_configENS1_29reduce_by_key_config_selectorIttN6thrust23THRUST_200600_302600_NS4plusItEEEEZZNS1_33reduce_by_key_impl_wrapped_configILNS1_25lookback_scan_determinismE0ES3_S9_NS6_6detail15normal_iteratorINS6_10device_ptrItEEEESG_SG_SG_PmS8_22is_equal_div_10_reduceItEEE10hipError_tPvRmT2_T3_mT4_T5_T6_T7_T8_P12ihipStream_tbENKUlT_T0_E_clISt17integral_constantIbLb0EES10_IbLb1EEEEDaSW_SX_EUlSW_E_NS1_11comp_targetILNS1_3genE9ELNS1_11target_archE1100ELNS1_3gpuE3ELNS1_3repE0EEENS1_30default_config_static_selectorELNS0_4arch9wavefront6targetE0EEEvT1_
; %bb.0:
	s_clause 0x4
	s_load_b256 s[12:19], s[0:1], 0x0
	s_load_b128 s[28:31], s[0:1], 0x20
	s_load_b256 s[20:27], s[0:1], 0x38
	s_load_b64 s[34:35], s[0:1], 0x68
	s_load_b128 s[36:39], s[0:1], 0x58
	v_cmp_ne_u32_e64 s3, 0, v0
	v_cmp_eq_u32_e64 s2, 0, v0
	s_delay_alu instid0(VALU_DEP_1)
	s_and_saveexec_b32 s4, s2
	s_cbranch_execz .LBB465_4
; %bb.1:
	s_mov_b32 s6, exec_lo
	s_mov_b32 s5, exec_lo
	v_mbcnt_lo_u32_b32 v1, s6, 0
                                        ; implicit-def: $vgpr2
	s_delay_alu instid0(VALU_DEP_1)
	v_cmpx_eq_u32_e32 0, v1
	s_cbranch_execz .LBB465_3
; %bb.2:
	s_load_b64 s[0:1], s[0:1], 0x70
	s_bcnt1_i32_b32 s6, s6
	s_delay_alu instid0(SALU_CYCLE_1)
	v_dual_mov_b32 v2, 0 :: v_dual_mov_b32 v3, s6
	s_waitcnt lgkmcnt(0)
	global_atomic_add_u32 v2, v2, v3, s[0:1] glc
.LBB465_3:
	s_or_b32 exec_lo, exec_lo, s5
	s_waitcnt vmcnt(0)
	v_readfirstlane_b32 s0, v2
	s_delay_alu instid0(VALU_DEP_1)
	v_dual_mov_b32 v2, 0 :: v_dual_add_nc_u32 v1, s0, v1
	ds_store_b32 v2, v1
.LBB465_4:
	s_or_b32 exec_lo, exec_lo, s4
	v_mov_b32_e32 v2, 0
	s_waitcnt lgkmcnt(0)
	s_barrier
	buffer_gl0_inv
	s_lshl_b64 s[4:5], s[14:15], 1
	ds_load_b32 v1, v2
	s_add_u32 s9, s12, s4
	s_mul_i32 s1, s24, s23
	s_mul_hi_u32 s6, s24, s22
	s_addc_u32 s10, s13, s5
	s_add_u32 s11, s16, s4
	s_mul_i32 s7, s25, s22
	s_addc_u32 s12, s17, s5
	s_add_i32 s1, s6, s1
	s_mul_i32 s8, s24, s22
	s_add_i32 s1, s1, s7
	v_mul_u32_u24_e32 v5, 15, v0
	s_mov_b32 s0, 0
	s_waitcnt lgkmcnt(0)
	s_barrier
	buffer_gl0_inv
	v_readfirstlane_b32 s33, v1
	v_mul_lo_u32 v1, 0xf00, v1
	s_delay_alu instid0(VALU_DEP_2) | instskip(SKIP_3) | instid1(VALU_DEP_1)
	s_add_u32 s24, s8, s33
	s_addc_u32 s25, s1, 0
	s_add_u32 s4, s26, -1
	s_addc_u32 s5, s27, -1
	v_lshlrev_b64 v[1:2], 1, v[1:2]
	s_cmp_eq_u64 s[24:25], s[4:5]
	s_mul_i32 s26, s4, 0xfffff100
	s_cselect_b32 s17, -1, 0
	s_cmp_lg_u64 s[24:25], s[4:5]
	s_delay_alu instid0(VALU_DEP_1)
	v_add_co_u32 v6, vcc_lo, s9, v1
	v_add_co_ci_u32_e32 v8, vcc_lo, s10, v2, vcc_lo
	v_add_co_u32 v7, vcc_lo, s11, v1
	v_add_co_ci_u32_e32 v9, vcc_lo, s12, v2, vcc_lo
	s_cselect_b32 s40, -1, 0
	s_and_b32 vcc_lo, exec_lo, s17
	s_cbranch_vccnz .LBB465_6
; %bb.5:
	v_lshlrev_b32_e32 v18, 1, v0
	s_delay_alu instid0(VALU_DEP_1) | instskip(SKIP_2) | instid1(VALU_DEP_3)
	v_add_co_u32 v1, vcc_lo, v6, v18
	v_add_co_ci_u32_e32 v2, vcc_lo, 0, v8, vcc_lo
	v_mad_u32_u24 v13, v0, 28, v18
	v_add_co_u32 v3, vcc_lo, 0x1000, v1
	s_delay_alu instid0(VALU_DEP_3)
	v_add_co_ci_u32_e32 v4, vcc_lo, 0, v2, vcc_lo
	s_clause 0xe
	flat_load_u16 v10, v[1:2]
	flat_load_u16 v11, v[1:2] offset:512
	flat_load_u16 v12, v[1:2] offset:1024
	;; [unrolled: 1-line block ×7, first 2 shown]
	flat_load_u16 v2, v[3:4]
	flat_load_u16 v23, v[3:4] offset:512
	flat_load_u16 v24, v[3:4] offset:1024
	;; [unrolled: 1-line block ×6, first 2 shown]
	v_add_co_u32 v14, vcc_lo, v7, v18
	v_add_co_ci_u32_e32 v15, vcc_lo, 0, v9, vcc_lo
	s_waitcnt vmcnt(14) lgkmcnt(14)
	ds_store_b16 v18, v10
	s_waitcnt vmcnt(13) lgkmcnt(14)
	ds_store_b16 v18, v11 offset:512
	s_waitcnt vmcnt(12) lgkmcnt(14)
	ds_store_b16 v18, v12 offset:1024
	;; [unrolled: 2-line block ×14, first 2 shown]
	v_add_co_u32 v16, vcc_lo, 0x1000, v14
	v_add_co_ci_u32_e32 v17, vcc_lo, 0, v15, vcc_lo
	s_waitcnt lgkmcnt(0)
	s_barrier
	buffer_gl0_inv
	ds_load_u16 v63, v13
	ds_load_b128 v[1:4], v13 offset:2
	ds_load_b96 v[10:12], v13 offset:18
	s_waitcnt lgkmcnt(0)
	s_barrier
	buffer_gl0_inv
	s_clause 0xe
	flat_load_u16 v19, v[14:15]
	flat_load_u16 v20, v[14:15] offset:512
	flat_load_u16 v21, v[14:15] offset:1024
	;; [unrolled: 1-line block ×7, first 2 shown]
	flat_load_u16 v15, v[16:17]
	flat_load_u16 v26, v[16:17] offset:512
	flat_load_u16 v27, v[16:17] offset:1024
	;; [unrolled: 1-line block ×6, first 2 shown]
	v_mul_u32_u24_e32 v17, 15, v0
	s_waitcnt vmcnt(14) lgkmcnt(14)
	ds_store_b16 v18, v19
	s_waitcnt vmcnt(13) lgkmcnt(14)
	ds_store_b16 v18, v20 offset:512
	s_waitcnt vmcnt(12) lgkmcnt(14)
	ds_store_b16 v18, v21 offset:1024
	s_waitcnt vmcnt(11) lgkmcnt(14)
	ds_store_b16 v18, v22 offset:1536
	s_waitcnt vmcnt(10) lgkmcnt(14)
	ds_store_b16 v18, v23 offset:2048
	s_waitcnt vmcnt(9) lgkmcnt(14)
	ds_store_b16 v18, v24 offset:2560
	s_waitcnt vmcnt(8) lgkmcnt(14)
	ds_store_b16 v18, v25 offset:3072
	s_waitcnt vmcnt(7) lgkmcnt(14)
	ds_store_b16 v18, v14 offset:3584
	s_waitcnt vmcnt(6) lgkmcnt(14)
	ds_store_b16 v18, v15 offset:4096
	s_waitcnt vmcnt(5) lgkmcnt(14)
	ds_store_b16 v18, v26 offset:4608
	s_waitcnt vmcnt(4) lgkmcnt(14)
	ds_store_b16 v18, v27 offset:5120
	s_waitcnt vmcnt(3) lgkmcnt(14)
	ds_store_b16 v18, v28 offset:5632
	s_waitcnt vmcnt(2) lgkmcnt(14)
	ds_store_b16 v18, v29 offset:6144
	s_waitcnt vmcnt(1) lgkmcnt(14)
	ds_store_b16 v18, v30 offset:6656
	s_waitcnt vmcnt(0) lgkmcnt(14)
	ds_store_b16 v18, v16 offset:7168
	s_waitcnt lgkmcnt(0)
	s_barrier
	s_and_not1_b32 vcc_lo, exec_lo, s0
	s_add_i32 s26, s26, s36
	s_cbranch_vccz .LBB465_7
	s_branch .LBB465_54
.LBB465_6:
                                        ; implicit-def: $vgpr1
                                        ; implicit-def: $vgpr10
                                        ; implicit-def: $vgpr17
                                        ; implicit-def: $vgpr13
                                        ; implicit-def: $vgpr63
	s_add_i32 s26, s26, s36
.LBB465_7:
	s_delay_alu instid0(SALU_CYCLE_1)
	v_cmp_gt_u32_e32 vcc_lo, s26, v0
                                        ; implicit-def: $vgpr1
	s_and_saveexec_b32 s1, vcc_lo
	s_cbranch_execz .LBB465_9
; %bb.8:
	v_lshlrev_b32_e32 v1, 1, v0
	s_delay_alu instid0(VALU_DEP_1) | instskip(NEXT) | instid1(VALU_DEP_1)
	v_add_co_u32 v1, s0, v6, v1
	v_add_co_ci_u32_e64 v2, s0, 0, v8, s0
	flat_load_u16 v1, v[1:2]
.LBB465_9:
	s_or_b32 exec_lo, exec_lo, s1
	v_or_b32_e32 v2, 0x100, v0
	s_delay_alu instid0(VALU_DEP_1) | instskip(NEXT) | instid1(VALU_DEP_1)
	v_cmp_gt_u32_e64 s0, s26, v2
                                        ; implicit-def: $vgpr2
	s_and_saveexec_b32 s4, s0
	s_cbranch_execz .LBB465_11
; %bb.10:
	v_lshlrev_b32_e32 v2, 1, v0
	s_delay_alu instid0(VALU_DEP_1) | instskip(NEXT) | instid1(VALU_DEP_1)
	v_add_co_u32 v2, s1, v6, v2
	v_add_co_ci_u32_e64 v3, s1, 0, v8, s1
	flat_load_u16 v2, v[2:3] offset:512
.LBB465_11:
	s_or_b32 exec_lo, exec_lo, s4
	v_or_b32_e32 v3, 0x200, v0
	s_delay_alu instid0(VALU_DEP_1) | instskip(NEXT) | instid1(VALU_DEP_1)
	v_cmp_gt_u32_e64 s1, s26, v3
                                        ; implicit-def: $vgpr3
	s_and_saveexec_b32 s5, s1
	s_cbranch_execz .LBB465_13
; %bb.12:
	v_lshlrev_b32_e32 v3, 1, v0
	s_delay_alu instid0(VALU_DEP_1) | instskip(NEXT) | instid1(VALU_DEP_1)
	v_add_co_u32 v3, s4, v6, v3
	v_add_co_ci_u32_e64 v4, s4, 0, v8, s4
	flat_load_u16 v3, v[3:4] offset:1024
.LBB465_13:
	s_or_b32 exec_lo, exec_lo, s5
	v_or_b32_e32 v4, 0x300, v0
	s_delay_alu instid0(VALU_DEP_1) | instskip(NEXT) | instid1(VALU_DEP_1)
	v_cmp_gt_u32_e64 s4, s26, v4
                                        ; implicit-def: $vgpr4
	s_and_saveexec_b32 s6, s4
	s_cbranch_execz .LBB465_15
; %bb.14:
	v_lshlrev_b32_e32 v4, 1, v0
	s_delay_alu instid0(VALU_DEP_1) | instskip(NEXT) | instid1(VALU_DEP_1)
	v_add_co_u32 v10, s5, v6, v4
	v_add_co_ci_u32_e64 v11, s5, 0, v8, s5
	flat_load_u16 v4, v[10:11] offset:1536
.LBB465_15:
	s_or_b32 exec_lo, exec_lo, s6
	v_or_b32_e32 v10, 0x400, v0
	s_delay_alu instid0(VALU_DEP_1) | instskip(NEXT) | instid1(VALU_DEP_1)
	v_cmp_gt_u32_e64 s5, s26, v10
                                        ; implicit-def: $vgpr10
	s_and_saveexec_b32 s7, s5
	s_cbranch_execz .LBB465_17
; %bb.16:
	v_lshlrev_b32_e32 v10, 1, v0
	s_delay_alu instid0(VALU_DEP_1) | instskip(NEXT) | instid1(VALU_DEP_1)
	v_add_co_u32 v10, s6, v6, v10
	v_add_co_ci_u32_e64 v11, s6, 0, v8, s6
	flat_load_u16 v10, v[10:11] offset:2048
.LBB465_17:
	s_or_b32 exec_lo, exec_lo, s7
	v_or_b32_e32 v11, 0x500, v0
	s_delay_alu instid0(VALU_DEP_1) | instskip(NEXT) | instid1(VALU_DEP_1)
	v_cmp_gt_u32_e64 s6, s26, v11
                                        ; implicit-def: $vgpr11
	s_and_saveexec_b32 s8, s6
	s_cbranch_execz .LBB465_19
; %bb.18:
	v_lshlrev_b32_e32 v11, 1, v0
	s_delay_alu instid0(VALU_DEP_1) | instskip(NEXT) | instid1(VALU_DEP_1)
	v_add_co_u32 v11, s7, v6, v11
	v_add_co_ci_u32_e64 v12, s7, 0, v8, s7
	flat_load_u16 v11, v[11:12] offset:2560
.LBB465_19:
	s_or_b32 exec_lo, exec_lo, s8
	v_or_b32_e32 v12, 0x600, v0
	s_delay_alu instid0(VALU_DEP_1) | instskip(NEXT) | instid1(VALU_DEP_1)
	v_cmp_gt_u32_e64 s7, s26, v12
                                        ; implicit-def: $vgpr12
	s_and_saveexec_b32 s9, s7
	s_cbranch_execz .LBB465_21
; %bb.20:
	v_lshlrev_b32_e32 v12, 1, v0
	s_delay_alu instid0(VALU_DEP_1) | instskip(NEXT) | instid1(VALU_DEP_1)
	v_add_co_u32 v12, s8, v6, v12
	v_add_co_ci_u32_e64 v13, s8, 0, v8, s8
	flat_load_u16 v12, v[12:13] offset:3072
.LBB465_21:
	s_or_b32 exec_lo, exec_lo, s9
	v_or_b32_e32 v13, 0x700, v0
	s_delay_alu instid0(VALU_DEP_1) | instskip(NEXT) | instid1(VALU_DEP_1)
	v_cmp_gt_u32_e64 s8, s26, v13
                                        ; implicit-def: $vgpr13
	s_and_saveexec_b32 s10, s8
	s_cbranch_execz .LBB465_23
; %bb.22:
	v_lshlrev_b32_e32 v13, 1, v0
	s_delay_alu instid0(VALU_DEP_1) | instskip(NEXT) | instid1(VALU_DEP_1)
	v_add_co_u32 v13, s9, v6, v13
	v_add_co_ci_u32_e64 v14, s9, 0, v8, s9
	flat_load_u16 v13, v[13:14] offset:3584
.LBB465_23:
	s_or_b32 exec_lo, exec_lo, s10
	v_or_b32_e32 v14, 0x800, v0
                                        ; implicit-def: $vgpr22
	s_delay_alu instid0(VALU_DEP_1) | instskip(SKIP_1) | instid1(VALU_DEP_2)
	v_cmp_gt_u32_e64 s9, s26, v14
	v_lshlrev_b32_e32 v15, 1, v14
	s_and_saveexec_b32 s11, s9
	s_cbranch_execz .LBB465_25
; %bb.24:
	s_delay_alu instid0(VALU_DEP_1) | instskip(NEXT) | instid1(VALU_DEP_1)
	v_add_co_u32 v16, s10, v6, v15
	v_add_co_ci_u32_e64 v17, s10, 0, v8, s10
	flat_load_u16 v22, v[16:17]
.LBB465_25:
	s_or_b32 exec_lo, exec_lo, s11
	v_or_b32_e32 v14, 0x900, v0
                                        ; implicit-def: $vgpr23
	s_delay_alu instid0(VALU_DEP_1) | instskip(SKIP_1) | instid1(VALU_DEP_2)
	v_cmp_gt_u32_e64 s10, s26, v14
	v_lshlrev_b32_e32 v16, 1, v14
	s_and_saveexec_b32 s12, s10
	s_cbranch_execz .LBB465_27
; %bb.26:
	s_delay_alu instid0(VALU_DEP_1) | instskip(NEXT) | instid1(VALU_DEP_1)
	v_add_co_u32 v17, s11, v6, v16
	v_add_co_ci_u32_e64 v18, s11, 0, v8, s11
	flat_load_u16 v23, v[17:18]
.LBB465_27:
	s_or_b32 exec_lo, exec_lo, s12
	v_or_b32_e32 v14, 0xa00, v0
                                        ; implicit-def: $vgpr24
	s_delay_alu instid0(VALU_DEP_1) | instskip(SKIP_1) | instid1(VALU_DEP_2)
	v_cmp_gt_u32_e64 s11, s26, v14
	v_lshlrev_b32_e32 v17, 1, v14
	s_and_saveexec_b32 s13, s11
	s_cbranch_execz .LBB465_29
; %bb.28:
	s_delay_alu instid0(VALU_DEP_1) | instskip(NEXT) | instid1(VALU_DEP_1)
	v_add_co_u32 v18, s12, v6, v17
	v_add_co_ci_u32_e64 v19, s12, 0, v8, s12
	flat_load_u16 v24, v[18:19]
.LBB465_29:
	s_or_b32 exec_lo, exec_lo, s13
	v_or_b32_e32 v14, 0xb00, v0
                                        ; implicit-def: $vgpr25
	s_delay_alu instid0(VALU_DEP_1) | instskip(SKIP_1) | instid1(VALU_DEP_2)
	v_cmp_gt_u32_e64 s12, s26, v14
	v_lshlrev_b32_e32 v18, 1, v14
	s_and_saveexec_b32 s14, s12
	s_cbranch_execz .LBB465_31
; %bb.30:
	s_delay_alu instid0(VALU_DEP_1) | instskip(NEXT) | instid1(VALU_DEP_1)
	v_add_co_u32 v19, s13, v6, v18
	v_add_co_ci_u32_e64 v20, s13, 0, v8, s13
	flat_load_u16 v25, v[19:20]
.LBB465_31:
	s_or_b32 exec_lo, exec_lo, s14
	v_or_b32_e32 v14, 0xc00, v0
                                        ; implicit-def: $vgpr26
	s_delay_alu instid0(VALU_DEP_1) | instskip(SKIP_1) | instid1(VALU_DEP_2)
	v_cmp_gt_u32_e64 s13, s26, v14
	v_lshlrev_b32_e32 v19, 1, v14
	s_and_saveexec_b32 s15, s13
	s_cbranch_execz .LBB465_33
; %bb.32:
	s_delay_alu instid0(VALU_DEP_1) | instskip(NEXT) | instid1(VALU_DEP_1)
	v_add_co_u32 v20, s14, v6, v19
	v_add_co_ci_u32_e64 v21, s14, 0, v8, s14
	flat_load_u16 v26, v[20:21]
.LBB465_33:
	s_or_b32 exec_lo, exec_lo, s15
	v_or_b32_e32 v14, 0xd00, v0
                                        ; implicit-def: $vgpr27
	s_delay_alu instid0(VALU_DEP_1) | instskip(SKIP_1) | instid1(VALU_DEP_2)
	v_cmp_gt_u32_e64 s14, s26, v14
	v_lshlrev_b32_e32 v20, 1, v14
	s_and_saveexec_b32 s16, s14
	s_cbranch_execz .LBB465_35
; %bb.34:
	s_delay_alu instid0(VALU_DEP_1) | instskip(NEXT) | instid1(VALU_DEP_1)
	v_add_co_u32 v27, s15, v6, v20
	v_add_co_ci_u32_e64 v28, s15, 0, v8, s15
	flat_load_u16 v27, v[27:28]
.LBB465_35:
	s_or_b32 exec_lo, exec_lo, s16
	v_or_b32_e32 v14, 0xe00, v0
                                        ; implicit-def: $vgpr28
	s_delay_alu instid0(VALU_DEP_1) | instskip(SKIP_1) | instid1(VALU_DEP_2)
	v_cmp_gt_u32_e64 s15, s26, v14
	v_lshlrev_b32_e32 v21, 1, v14
	s_and_saveexec_b32 s27, s15
	s_cbranch_execz .LBB465_37
; %bb.36:
	s_delay_alu instid0(VALU_DEP_1) | instskip(NEXT) | instid1(VALU_DEP_1)
	v_add_co_u32 v28, s16, v6, v21
	v_add_co_ci_u32_e64 v29, s16, 0, v8, s16
	flat_load_u16 v28, v[28:29]
.LBB465_37:
	s_or_b32 exec_lo, exec_lo, s27
	v_lshlrev_b32_e32 v14, 1, v0
	s_waitcnt vmcnt(0) lgkmcnt(0)
	ds_store_b16 v14, v1
	ds_store_b16 v14, v2 offset:512
	ds_store_b16 v14, v3 offset:1024
	;; [unrolled: 1-line block ×7, first 2 shown]
	v_mad_u32_u24 v13, v0, 28, v14
	ds_store_b16 v14, v22 offset:4096
	ds_store_b16 v14, v23 offset:4608
	;; [unrolled: 1-line block ×7, first 2 shown]
	s_waitcnt lgkmcnt(0)
	s_barrier
	buffer_gl0_inv
	ds_load_u16 v63, v13
	ds_load_b128 v[1:4], v13 offset:2
	ds_load_b96 v[10:12], v13 offset:18
	s_waitcnt lgkmcnt(0)
	s_barrier
	buffer_gl0_inv
                                        ; implicit-def: $vgpr22
	s_and_saveexec_b32 s16, vcc_lo
	s_cbranch_execnz .LBB465_61
; %bb.38:
	s_or_b32 exec_lo, exec_lo, s16
                                        ; implicit-def: $vgpr23
	s_and_saveexec_b32 s16, s0
	s_cbranch_execnz .LBB465_62
.LBB465_39:
	s_or_b32 exec_lo, exec_lo, s16
                                        ; implicit-def: $vgpr24
	s_and_saveexec_b32 s0, s1
	s_cbranch_execnz .LBB465_63
.LBB465_40:
	s_or_b32 exec_lo, exec_lo, s0
                                        ; implicit-def: $vgpr25
	s_and_saveexec_b32 s0, s4
	s_cbranch_execnz .LBB465_64
.LBB465_41:
	s_or_b32 exec_lo, exec_lo, s0
                                        ; implicit-def: $vgpr26
	s_and_saveexec_b32 s0, s5
	s_cbranch_execnz .LBB465_65
.LBB465_42:
	s_or_b32 exec_lo, exec_lo, s0
                                        ; implicit-def: $vgpr27
	s_and_saveexec_b32 s0, s6
	s_cbranch_execnz .LBB465_66
.LBB465_43:
	s_or_b32 exec_lo, exec_lo, s0
                                        ; implicit-def: $vgpr28
	s_and_saveexec_b32 s0, s7
	s_cbranch_execnz .LBB465_67
.LBB465_44:
	s_or_b32 exec_lo, exec_lo, s0
                                        ; implicit-def: $vgpr30
	s_and_saveexec_b32 s0, s8
	s_cbranch_execnz .LBB465_68
.LBB465_45:
	s_or_b32 exec_lo, exec_lo, s0
                                        ; implicit-def: $vgpr29
	s_and_saveexec_b32 s0, s9
	s_cbranch_execnz .LBB465_69
.LBB465_46:
	s_or_b32 exec_lo, exec_lo, s0
                                        ; implicit-def: $vgpr15
	s_and_saveexec_b32 s0, s10
	s_cbranch_execnz .LBB465_70
.LBB465_47:
	s_or_b32 exec_lo, exec_lo, s0
                                        ; implicit-def: $vgpr16
	s_and_saveexec_b32 s0, s11
	s_cbranch_execnz .LBB465_71
.LBB465_48:
	s_or_b32 exec_lo, exec_lo, s0
                                        ; implicit-def: $vgpr31
	s_and_saveexec_b32 s0, s12
	s_cbranch_execnz .LBB465_72
.LBB465_49:
	s_or_b32 exec_lo, exec_lo, s0
                                        ; implicit-def: $vgpr18
	s_and_saveexec_b32 s0, s13
	s_cbranch_execnz .LBB465_73
.LBB465_50:
	s_or_b32 exec_lo, exec_lo, s0
                                        ; implicit-def: $vgpr19
	s_and_saveexec_b32 s0, s14
	s_cbranch_execnz .LBB465_74
.LBB465_51:
	s_or_b32 exec_lo, exec_lo, s0
                                        ; implicit-def: $vgpr20
	s_and_saveexec_b32 s0, s15
	s_cbranch_execz .LBB465_53
.LBB465_52:
	v_add_co_u32 v20, vcc_lo, v7, v21
	v_add_co_ci_u32_e32 v21, vcc_lo, 0, v9, vcc_lo
	flat_load_u16 v20, v[20:21]
.LBB465_53:
	s_or_b32 exec_lo, exec_lo, s0
	v_mov_b32_e32 v17, v5
	s_waitcnt vmcnt(0) lgkmcnt(0)
	ds_store_b16 v14, v22
	ds_store_b16 v14, v23 offset:512
	ds_store_b16 v14, v24 offset:1024
	;; [unrolled: 1-line block ×14, first 2 shown]
	s_waitcnt lgkmcnt(0)
	s_barrier
.LBB465_54:
	v_lshlrev_b32_e32 v7, 1, v17
	buffer_gl0_inv
	ds_load_u16 v74, v13
	ds_load_u16 v73, v13 offset:2
	ds_load_u16 v71, v13 offset:6
	;; [unrolled: 1-line block ×14, first 2 shown]
	s_cmp_eq_u64 s[24:25], 0
	s_waitcnt lgkmcnt(0)
	s_cselect_b32 s27, -1, 0
	s_cmp_lg_u64 s[24:25], 0
	s_barrier
	s_cselect_b32 s16, -1, 0
	s_and_b32 vcc_lo, exec_lo, s40
	buffer_gl0_inv
	s_cbranch_vccz .LBB465_60
; %bb.55:
	s_and_b32 vcc_lo, exec_lo, s16
	s_cbranch_vccz .LBB465_75
; %bb.56:
	v_add_co_u32 v13, vcc_lo, -2, v6
	v_add_co_ci_u32_e32 v14, vcc_lo, -1, v8, vcc_lo
	v_and_b32_e32 v7, 0xffff, v12
	v_and_b32_e32 v15, 0xffff, v11
	v_lshrrev_b32_e32 v16, 16, v10
	flat_load_u16 v9, v[13:14]
	v_lshrrev_b32_e32 v13, 16, v12
	v_lshrrev_b32_e32 v14, 16, v11
	v_mul_u32_u24_e32 v7, 0xcccd, v7
	v_mul_u32_u24_e32 v15, 0xcccd, v15
	;; [unrolled: 1-line block ×5, first 2 shown]
	v_lshrrev_b32_e32 v18, 19, v7
	v_lshrrev_b32_e32 v15, 19, v15
	;; [unrolled: 1-line block ×5, first 2 shown]
	v_and_b32_e32 v19, 0xffff, v3
	v_lshlrev_b32_e32 v7, 1, v0
	v_cmp_ne_u16_e64 s0, v16, v15
	v_cmp_ne_u16_e64 s1, v18, v17
	;; [unrolled: 1-line block ×3, first 2 shown]
	v_cmp_ne_u16_e32 vcc_lo, v15, v14
	v_and_b32_e32 v14, 0xffff, v10
	v_lshrrev_b32_e32 v15, 16, v4
	v_and_b32_e32 v17, 0xffff, v4
	v_lshrrev_b32_e32 v18, 16, v3
	v_mul_u32_u24_e32 v19, 0xcccd, v19
	v_mul_u32_u24_e32 v14, 0xcccd, v14
	;; [unrolled: 1-line block ×5, first 2 shown]
	v_lshrrev_b32_e32 v20, 19, v19
	v_lshrrev_b32_e32 v14, 19, v14
	;; [unrolled: 1-line block ×5, first 2 shown]
	s_mov_b32 s15, -1
	v_cmp_ne_u16_e64 s8, v14, v16
	v_cmp_ne_u16_e64 s9, v15, v14
	;; [unrolled: 1-line block ×5, first 2 shown]
	v_lshrrev_b32_e32 v14, 16, v2
	v_and_b32_e32 v15, 0xffff, v2
	v_lshrrev_b32_e32 v16, 16, v1
	v_and_b32_e32 v17, 0xffff, v1
	v_and_b32_e32 v18, 0xffff, v63
	v_mul_u32_u24_e32 v14, 0xcccd, v14
	v_mul_u32_u24_e32 v15, 0xcccd, v15
	v_mul_u32_u24_e32 v16, 0xcccd, v16
	v_mul_u32_u24_e32 v17, 0xcccd, v17
	v_mul_u32_u24_e32 v18, 0xcccd, v18
	v_lshrrev_b32_e32 v14, 19, v14
	v_lshrrev_b32_e32 v15, 19, v15
	v_lshrrev_b32_e32 v16, 19, v16
	v_lshrrev_b32_e32 v17, 19, v17
	v_lshrrev_b32_e32 v19, 19, v18
	v_cmp_ne_u16_e64 s14, v14, v20
	v_cmp_ne_u16_e64 s10, v15, v14
	v_cmp_ne_u16_e64 s11, v16, v15
	v_cmp_ne_u16_e64 s12, v17, v16
	v_cmp_ne_u16_e64 s13, v19, v17
	ds_store_b16 v7, v13
	s_waitcnt vmcnt(0) lgkmcnt(0)
	s_barrier
	buffer_gl0_inv
	s_and_saveexec_b32 s40, s3
	s_cbranch_execz .LBB465_58
; %bb.57:
	v_add_nc_u32_e32 v7, -2, v7
	ds_load_u16 v9, v7
.LBB465_58:
	s_or_b32 exec_lo, exec_lo, s40
	s_waitcnt lgkmcnt(0)
	v_and_b32_e32 v9, 0xffff, v9
	v_cndmask_b32_e64 v61, 0, 1, s1
	v_cndmask_b32_e64 v7, 0, 1, s4
	v_cndmask_b32_e64 v62, 0, 1, vcc_lo
	v_cndmask_b32_e64 v14, 0, 1, s0
	v_mul_u32_u24_e32 v9, 0xcccd, v9
	v_cndmask_b32_e64 v13, 0, 1, s8
	v_cndmask_b32_e64 v16, 0, 1, s9
	v_cndmask_b32_e64 v15, 0, 1, s5
	v_cndmask_b32_e64 v18, 0, 1, s6
	v_lshrrev_b32_e32 v9, 19, v9
	v_cndmask_b32_e64 v17, 0, 1, s7
	v_cndmask_b32_e64 v22, 0, 1, s14
	;; [unrolled: 1-line block ×6, first 2 shown]
	v_cmp_ne_u16_e64 s4, v9, v19
.LBB465_59:
                                        ; implicit-def: $sgpr0
	s_branch .LBB465_79
.LBB465_60:
	s_mov_b32 s15, 0
                                        ; implicit-def: $sgpr4
                                        ; implicit-def: $vgpr61
                                        ; implicit-def: $vgpr7
                                        ; implicit-def: $vgpr62
                                        ; implicit-def: $vgpr14
                                        ; implicit-def: $vgpr13
                                        ; implicit-def: $vgpr16
                                        ; implicit-def: $vgpr15
                                        ; implicit-def: $vgpr18
                                        ; implicit-def: $vgpr17
                                        ; implicit-def: $vgpr22
                                        ; implicit-def: $vgpr21
                                        ; implicit-def: $vgpr24
                                        ; implicit-def: $vgpr23
                                        ; implicit-def: $vgpr26
                                        ; implicit-def: $vgpr20
                                        ; implicit-def: $sgpr0
	s_cbranch_execnz .LBB465_80
	s_branch .LBB465_115
.LBB465_61:
	v_add_co_u32 v22, vcc_lo, v7, v14
	v_add_co_ci_u32_e32 v23, vcc_lo, 0, v9, vcc_lo
	flat_load_u16 v22, v[22:23]
	s_or_b32 exec_lo, exec_lo, s16
                                        ; implicit-def: $vgpr23
	s_and_saveexec_b32 s16, s0
	s_cbranch_execz .LBB465_39
.LBB465_62:
	v_add_co_u32 v23, vcc_lo, v7, v14
	v_add_co_ci_u32_e32 v24, vcc_lo, 0, v9, vcc_lo
	flat_load_u16 v23, v[23:24] offset:512
	s_or_b32 exec_lo, exec_lo, s16
                                        ; implicit-def: $vgpr24
	s_and_saveexec_b32 s0, s1
	s_cbranch_execz .LBB465_40
.LBB465_63:
	v_add_co_u32 v24, vcc_lo, v7, v14
	v_add_co_ci_u32_e32 v25, vcc_lo, 0, v9, vcc_lo
	flat_load_u16 v24, v[24:25] offset:1024
	s_or_b32 exec_lo, exec_lo, s0
                                        ; implicit-def: $vgpr25
	s_and_saveexec_b32 s0, s4
	s_cbranch_execz .LBB465_41
.LBB465_64:
	v_add_co_u32 v25, vcc_lo, v7, v14
	v_add_co_ci_u32_e32 v26, vcc_lo, 0, v9, vcc_lo
	flat_load_u16 v25, v[25:26] offset:1536
	s_or_b32 exec_lo, exec_lo, s0
                                        ; implicit-def: $vgpr26
	s_and_saveexec_b32 s0, s5
	s_cbranch_execz .LBB465_42
.LBB465_65:
	v_add_co_u32 v26, vcc_lo, v7, v14
	v_add_co_ci_u32_e32 v27, vcc_lo, 0, v9, vcc_lo
	flat_load_u16 v26, v[26:27] offset:2048
	s_or_b32 exec_lo, exec_lo, s0
                                        ; implicit-def: $vgpr27
	s_and_saveexec_b32 s0, s6
	s_cbranch_execz .LBB465_43
.LBB465_66:
	v_add_co_u32 v27, vcc_lo, v7, v14
	v_add_co_ci_u32_e32 v28, vcc_lo, 0, v9, vcc_lo
	flat_load_u16 v27, v[27:28] offset:2560
	s_or_b32 exec_lo, exec_lo, s0
                                        ; implicit-def: $vgpr28
	s_and_saveexec_b32 s0, s7
	s_cbranch_execz .LBB465_44
.LBB465_67:
	v_add_co_u32 v28, vcc_lo, v7, v14
	v_add_co_ci_u32_e32 v29, vcc_lo, 0, v9, vcc_lo
	flat_load_u16 v28, v[28:29] offset:3072
	s_or_b32 exec_lo, exec_lo, s0
                                        ; implicit-def: $vgpr30
	s_and_saveexec_b32 s0, s8
	s_cbranch_execz .LBB465_45
.LBB465_68:
	v_add_co_u32 v29, vcc_lo, v7, v14
	v_add_co_ci_u32_e32 v30, vcc_lo, 0, v9, vcc_lo
	flat_load_u16 v30, v[29:30] offset:3584
	s_or_b32 exec_lo, exec_lo, s0
                                        ; implicit-def: $vgpr29
	s_and_saveexec_b32 s0, s9
	s_cbranch_execz .LBB465_46
.LBB465_69:
	v_add_co_u32 v31, vcc_lo, v7, v15
	v_add_co_ci_u32_e32 v32, vcc_lo, 0, v9, vcc_lo
	flat_load_u16 v29, v[31:32]
	s_or_b32 exec_lo, exec_lo, s0
                                        ; implicit-def: $vgpr15
	s_and_saveexec_b32 s0, s10
	s_cbranch_execz .LBB465_47
.LBB465_70:
	v_add_co_u32 v15, vcc_lo, v7, v16
	v_add_co_ci_u32_e32 v16, vcc_lo, 0, v9, vcc_lo
	flat_load_u16 v15, v[15:16]
	s_or_b32 exec_lo, exec_lo, s0
                                        ; implicit-def: $vgpr16
	s_and_saveexec_b32 s0, s11
	s_cbranch_execz .LBB465_48
.LBB465_71:
	v_add_co_u32 v16, vcc_lo, v7, v17
	v_add_co_ci_u32_e32 v17, vcc_lo, 0, v9, vcc_lo
	flat_load_u16 v16, v[16:17]
	s_or_b32 exec_lo, exec_lo, s0
                                        ; implicit-def: $vgpr31
	s_and_saveexec_b32 s0, s12
	s_cbranch_execz .LBB465_49
.LBB465_72:
	v_add_co_u32 v17, vcc_lo, v7, v18
	v_add_co_ci_u32_e32 v18, vcc_lo, 0, v9, vcc_lo
	flat_load_u16 v31, v[17:18]
	s_or_b32 exec_lo, exec_lo, s0
                                        ; implicit-def: $vgpr18
	s_and_saveexec_b32 s0, s13
	s_cbranch_execz .LBB465_50
.LBB465_73:
	v_add_co_u32 v17, vcc_lo, v7, v19
	v_add_co_ci_u32_e32 v18, vcc_lo, 0, v9, vcc_lo
	flat_load_u16 v18, v[17:18]
	s_or_b32 exec_lo, exec_lo, s0
                                        ; implicit-def: $vgpr19
	s_and_saveexec_b32 s0, s14
	s_cbranch_execz .LBB465_51
.LBB465_74:
	v_add_co_u32 v19, vcc_lo, v7, v20
	v_add_co_ci_u32_e32 v20, vcc_lo, 0, v9, vcc_lo
	flat_load_u16 v19, v[19:20]
	s_or_b32 exec_lo, exec_lo, s0
                                        ; implicit-def: $vgpr20
	s_and_saveexec_b32 s0, s15
	s_cbranch_execnz .LBB465_52
	s_branch .LBB465_53
.LBB465_75:
	s_mov_b32 s15, 0
                                        ; implicit-def: $sgpr4
                                        ; implicit-def: $vgpr61
                                        ; implicit-def: $vgpr7
                                        ; implicit-def: $vgpr62
                                        ; implicit-def: $vgpr14
                                        ; implicit-def: $vgpr13
                                        ; implicit-def: $vgpr16
                                        ; implicit-def: $vgpr15
                                        ; implicit-def: $vgpr18
                                        ; implicit-def: $vgpr17
                                        ; implicit-def: $vgpr22
                                        ; implicit-def: $vgpr21
                                        ; implicit-def: $vgpr24
                                        ; implicit-def: $vgpr23
                                        ; implicit-def: $vgpr26
	s_cbranch_execz .LBB465_59
; %bb.76:
	v_and_b32_e32 v7, 0xffff, v12
	v_lshrrev_b32_e32 v20, 16, v12
	v_lshrrev_b32_e32 v9, 16, v11
	v_and_b32_e32 v14, 0xffff, v11
	v_lshrrev_b32_e32 v16, 16, v10
	v_mul_u32_u24_e32 v7, 0xcccd, v7
	v_mul_u32_u24_e32 v13, 0xcccd, v20
	;; [unrolled: 1-line block ×5, first 2 shown]
	v_lshrrev_b32_e32 v7, 19, v7
	v_lshrrev_b32_e32 v13, 19, v13
	;; [unrolled: 1-line block ×6, first 2 shown]
	v_cmp_ne_u16_e32 vcc_lo, v7, v13
	v_and_b32_e32 v13, 0xffff, v10
	v_lshrrev_b32_e32 v18, 16, v3
	v_and_b32_e32 v21, 0xffff, v3
	v_and_b32_e32 v24, 0xffff, v1
	v_cndmask_b32_e64 v61, 0, 1, vcc_lo
	v_cmp_ne_u16_e32 vcc_lo, v15, v7
	v_mul_u32_u24_e32 v13, 0xcccd, v13
	v_mul_u32_u24_e32 v18, 0xcccd, v18
	;; [unrolled: 1-line block ×3, first 2 shown]
	v_lshlrev_b32_e32 v9, 1, v0
	v_cndmask_b32_e64 v7, 0, 1, vcc_lo
	v_cmp_ne_u16_e32 vcc_lo, v14, v15
	v_lshrrev_b32_e32 v15, 19, v13
	v_mul_u32_u24_e32 v13, 0xcccd, v17
	v_and_b32_e32 v17, 0xffff, v4
	v_lshrrev_b32_e32 v22, 19, v18
	v_cndmask_b32_e64 v62, 0, 1, vcc_lo
	v_cmp_ne_u16_e32 vcc_lo, v16, v14
	v_lshrrev_b32_e32 v19, 19, v13
	v_mul_u32_u24_e32 v17, 0xcccd, v17
	v_mul_u32_u24_e32 v18, 0xcccd, v21
	v_and_b32_e32 v21, 0xffff, v2
	v_cndmask_b32_e64 v14, 0, 1, vcc_lo
	v_cmp_ne_u16_e32 vcc_lo, v15, v16
	v_lshrrev_b32_e32 v17, 19, v17
	v_lshrrev_b32_e32 v23, 19, v18
	v_mul_u32_u24_e32 v21, 0xcccd, v21
	v_lshrrev_b32_e32 v27, 19, v24
	v_cndmask_b32_e64 v13, 0, 1, vcc_lo
	v_cmp_ne_u16_e32 vcc_lo, v19, v15
	s_mov_b32 s0, 1
	v_lshrrev_b32_e32 v25, 19, v21
	v_and_b32_e32 v21, 0xffff, v63
	ds_store_b16 v9, v20
	v_cndmask_b32_e64 v16, 0, 1, vcc_lo
	v_cmp_ne_u16_e32 vcc_lo, v17, v19
	v_lshrrev_b32_e32 v19, 16, v2
	s_waitcnt lgkmcnt(0)
	s_barrier
	buffer_gl0_inv
	v_cndmask_b32_e64 v15, 0, 1, vcc_lo
	v_cmp_ne_u16_e32 vcc_lo, v22, v17
	v_mul_u32_u24_e32 v19, 0xcccd, v19
                                        ; implicit-def: $sgpr4
	v_cndmask_b32_e64 v18, 0, 1, vcc_lo
	v_cmp_ne_u16_e32 vcc_lo, v23, v22
	v_lshrrev_b32_e32 v22, 16, v1
	s_delay_alu instid0(VALU_DEP_4) | instskip(SKIP_1) | instid1(VALU_DEP_3)
	v_lshrrev_b32_e32 v19, 19, v19
	v_cndmask_b32_e64 v17, 0, 1, vcc_lo
	v_mul_u32_u24_e32 v26, 0xcccd, v22
	s_delay_alu instid0(VALU_DEP_3) | instskip(SKIP_1) | instid1(VALU_DEP_3)
	v_cmp_ne_u16_e32 vcc_lo, v19, v23
	v_mul_u32_u24_e32 v23, 0xcccd, v21
	v_lshrrev_b32_e32 v26, 19, v26
	v_cndmask_b32_e64 v22, 0, 1, vcc_lo
	v_cmp_ne_u16_e32 vcc_lo, v25, v19
	s_delay_alu instid0(VALU_DEP_4)
	v_lshrrev_b32_e32 v19, 19, v23
	v_cndmask_b32_e64 v21, 0, 1, vcc_lo
	v_cmp_ne_u16_e32 vcc_lo, v26, v25
	v_cndmask_b32_e64 v24, 0, 1, vcc_lo
	v_cmp_ne_u16_e32 vcc_lo, v27, v26
	;; [unrolled: 2-line block ×3, first 2 shown]
	v_cndmask_b32_e64 v26, 0, 1, vcc_lo
	s_and_saveexec_b32 s1, s3
	s_delay_alu instid0(SALU_CYCLE_1)
	s_xor_b32 s1, exec_lo, s1
	s_cbranch_execz .LBB465_78
; %bb.77:
	v_add_nc_u32_e32 v9, -2, v9
	s_or_b32 s15, s15, exec_lo
	ds_load_u16 v9, v9
	s_waitcnt lgkmcnt(0)
	v_mul_u32_u24_e32 v9, 0xcccd, v9
	s_delay_alu instid0(VALU_DEP_1) | instskip(NEXT) | instid1(VALU_DEP_1)
	v_lshrrev_b32_e32 v9, 19, v9
	v_cmp_ne_u16_e32 vcc_lo, v9, v19
	s_and_b32 s4, vcc_lo, exec_lo
.LBB465_78:
	s_or_b32 exec_lo, exec_lo, s1
.LBB465_79:
	v_mov_b32_e32 v20, v7
	s_branch .LBB465_115
.LBB465_80:
	s_mul_hi_u32 s0, s24, 0xfffff100
	s_mul_i32 s1, s25, 0xfffff100
	s_sub_i32 s0, s0, s24
	s_mul_i32 s4, s24, 0xfffff100
	v_lshrrev_b32_e32 v9, 16, v12
	v_mad_u32_u24 v19, v0, 15, 14
	s_add_i32 s1, s0, s1
	s_add_u32 s0, s4, s36
	s_addc_u32 s1, s1, s37
	s_and_b32 vcc_lo, exec_lo, s16
	s_cbranch_vccz .LBB465_219
; %bb.81:
	v_add_co_u32 v6, vcc_lo, -2, v6
	v_add_co_ci_u32_e32 v7, vcc_lo, -1, v8, vcc_lo
	v_mov_b32_e32 v61, 0
	s_mov_b32 s4, exec_lo
	v_lshlrev_b32_e32 v27, 1, v0
	flat_load_u16 v8, v[6:7]
	v_mov_b32_e32 v7, 0
	ds_store_b16 v27, v9
	v_mov_b32_e32 v20, v7
	s_delay_alu instid0(VALU_DEP_1)
	v_cmpx_gt_u64_e64 s[0:1], v[19:20]
; %bb.82:
	v_and_b32_e32 v6, 0xffff, v12
	v_and_b32_e32 v13, 0xffff, v9
	s_delay_alu instid0(VALU_DEP_2) | instskip(NEXT) | instid1(VALU_DEP_2)
	v_mul_u32_u24_e32 v6, 0xcccd, v6
	v_mul_u32_u24_e32 v13, 0xcccd, v13
	s_delay_alu instid0(VALU_DEP_2) | instskip(NEXT) | instid1(VALU_DEP_2)
	v_lshrrev_b32_e32 v6, 19, v6
	v_lshrrev_b32_e32 v13, 19, v13
	s_delay_alu instid0(VALU_DEP_1)
	v_cmp_ne_u16_e32 vcc_lo, v6, v13
	v_cndmask_b32_e64 v61, 0, 1, vcc_lo
; %bb.83:
	s_or_b32 exec_lo, exec_lo, s4
	v_add_nc_u32_e32 v6, 13, v5
	s_mov_b32 s4, exec_lo
	s_delay_alu instid0(VALU_DEP_1)
	v_cmpx_gt_u64_e64 s[0:1], v[6:7]
; %bb.84:
	v_lshrrev_b32_e32 v6, 16, v11
	v_and_b32_e32 v7, 0xffff, v12
	s_delay_alu instid0(VALU_DEP_2) | instskip(NEXT) | instid1(VALU_DEP_2)
	v_mul_u32_u24_e32 v6, 0xcccd, v6
	v_mul_u32_u24_e32 v7, 0xcccd, v7
	s_delay_alu instid0(VALU_DEP_2) | instskip(NEXT) | instid1(VALU_DEP_2)
	v_lshrrev_b32_e32 v6, 19, v6
	v_lshrrev_b32_e32 v7, 19, v7
	s_delay_alu instid0(VALU_DEP_1)
	v_cmp_ne_u16_e32 vcc_lo, v6, v7
	v_cndmask_b32_e64 v7, 0, 1, vcc_lo
; %bb.85:
	s_or_b32 exec_lo, exec_lo, s4
	v_dual_mov_b32 v14, 0 :: v_dual_add_nc_u32 v13, 12, v5
	v_mov_b32_e32 v62, 0
	s_mov_b32 s4, exec_lo
	s_delay_alu instid0(VALU_DEP_2)
	v_cmpx_gt_u64_e64 s[0:1], v[13:14]
; %bb.86:
	v_and_b32_e32 v6, 0xffff, v11
	v_lshrrev_b32_e32 v13, 16, v11
	s_delay_alu instid0(VALU_DEP_2) | instskip(NEXT) | instid1(VALU_DEP_2)
	v_mul_u32_u24_e32 v6, 0xcccd, v6
	v_mul_u32_u24_e32 v13, 0xcccd, v13
	s_delay_alu instid0(VALU_DEP_2) | instskip(NEXT) | instid1(VALU_DEP_2)
	v_lshrrev_b32_e32 v6, 19, v6
	v_lshrrev_b32_e32 v13, 19, v13
	s_delay_alu instid0(VALU_DEP_1)
	v_cmp_ne_u16_e32 vcc_lo, v6, v13
	v_cndmask_b32_e64 v62, 0, 1, vcc_lo
; %bb.87:
	s_or_b32 exec_lo, exec_lo, s4
	v_add_nc_u32_e32 v13, 11, v5
	s_mov_b32 s4, exec_lo
	s_delay_alu instid0(VALU_DEP_1)
	v_cmpx_gt_u64_e64 s[0:1], v[13:14]
; %bb.88:
	v_lshrrev_b32_e32 v6, 16, v10
	v_and_b32_e32 v13, 0xffff, v11
	s_delay_alu instid0(VALU_DEP_2) | instskip(NEXT) | instid1(VALU_DEP_2)
	v_mul_u32_u24_e32 v6, 0xcccd, v6
	v_mul_u32_u24_e32 v13, 0xcccd, v13
	s_delay_alu instid0(VALU_DEP_2) | instskip(NEXT) | instid1(VALU_DEP_2)
	v_lshrrev_b32_e32 v6, 19, v6
	v_lshrrev_b32_e32 v13, 19, v13
	s_delay_alu instid0(VALU_DEP_1)
	v_cmp_ne_u16_e32 vcc_lo, v6, v13
	v_cndmask_b32_e64 v14, 0, 1, vcc_lo
; %bb.89:
	s_or_b32 exec_lo, exec_lo, s4
	v_dual_mov_b32 v16, 0 :: v_dual_add_nc_u32 v15, 10, v5
	v_mov_b32_e32 v13, 0
	s_mov_b32 s4, exec_lo
	s_delay_alu instid0(VALU_DEP_2)
	v_cmpx_gt_u64_e64 s[0:1], v[15:16]
; %bb.90:
	v_and_b32_e32 v6, 0xffff, v10
	v_lshrrev_b32_e32 v13, 16, v10
	s_delay_alu instid0(VALU_DEP_2) | instskip(NEXT) | instid1(VALU_DEP_2)
	v_mul_u32_u24_e32 v6, 0xcccd, v6
	v_mul_u32_u24_e32 v13, 0xcccd, v13
	s_delay_alu instid0(VALU_DEP_2) | instskip(NEXT) | instid1(VALU_DEP_2)
	v_lshrrev_b32_e32 v6, 19, v6
	v_lshrrev_b32_e32 v13, 19, v13
	s_delay_alu instid0(VALU_DEP_1)
	v_cmp_ne_u16_e32 vcc_lo, v6, v13
	v_cndmask_b32_e64 v13, 0, 1, vcc_lo
; %bb.91:
	s_or_b32 exec_lo, exec_lo, s4
	v_add_nc_u32_e32 v15, 9, v5
	s_mov_b32 s4, exec_lo
	s_delay_alu instid0(VALU_DEP_1)
	v_cmpx_gt_u64_e64 s[0:1], v[15:16]
; %bb.92:
	v_lshrrev_b32_e32 v6, 16, v4
	v_and_b32_e32 v15, 0xffff, v10
	s_delay_alu instid0(VALU_DEP_2) | instskip(NEXT) | instid1(VALU_DEP_2)
	v_mul_u32_u24_e32 v6, 0xcccd, v6
	v_mul_u32_u24_e32 v15, 0xcccd, v15
	s_delay_alu instid0(VALU_DEP_2) | instskip(NEXT) | instid1(VALU_DEP_2)
	v_lshrrev_b32_e32 v6, 19, v6
	v_lshrrev_b32_e32 v15, 19, v15
	s_delay_alu instid0(VALU_DEP_1)
	v_cmp_ne_u16_e32 vcc_lo, v6, v15
	v_cndmask_b32_e64 v16, 0, 1, vcc_lo
; %bb.93:
	s_or_b32 exec_lo, exec_lo, s4
	v_dual_mov_b32 v18, 0 :: v_dual_add_nc_u32 v17, 8, v5
	v_mov_b32_e32 v15, 0
	s_mov_b32 s4, exec_lo
	s_delay_alu instid0(VALU_DEP_2)
	v_cmpx_gt_u64_e64 s[0:1], v[17:18]
; %bb.94:
	v_and_b32_e32 v6, 0xffff, v4
	v_lshrrev_b32_e32 v15, 16, v4
	s_delay_alu instid0(VALU_DEP_2) | instskip(NEXT) | instid1(VALU_DEP_2)
	v_mul_u32_u24_e32 v6, 0xcccd, v6
	v_mul_u32_u24_e32 v15, 0xcccd, v15
	s_delay_alu instid0(VALU_DEP_2) | instskip(NEXT) | instid1(VALU_DEP_2)
	v_lshrrev_b32_e32 v6, 19, v6
	v_lshrrev_b32_e32 v15, 19, v15
	s_delay_alu instid0(VALU_DEP_1)
	v_cmp_ne_u16_e32 vcc_lo, v6, v15
	v_cndmask_b32_e64 v15, 0, 1, vcc_lo
; %bb.95:
	s_or_b32 exec_lo, exec_lo, s4
	v_add_nc_u32_e32 v17, 7, v5
	s_mov_b32 s4, exec_lo
	s_delay_alu instid0(VALU_DEP_1)
	v_cmpx_gt_u64_e64 s[0:1], v[17:18]
; %bb.96:
	v_lshrrev_b32_e32 v6, 16, v3
	v_and_b32_e32 v17, 0xffff, v4
	s_delay_alu instid0(VALU_DEP_2) | instskip(NEXT) | instid1(VALU_DEP_2)
	v_mul_u32_u24_e32 v6, 0xcccd, v6
	v_mul_u32_u24_e32 v17, 0xcccd, v17
	s_delay_alu instid0(VALU_DEP_2) | instskip(NEXT) | instid1(VALU_DEP_2)
	v_lshrrev_b32_e32 v6, 19, v6
	v_lshrrev_b32_e32 v17, 19, v17
	s_delay_alu instid0(VALU_DEP_1)
	v_cmp_ne_u16_e32 vcc_lo, v6, v17
	v_cndmask_b32_e64 v18, 0, 1, vcc_lo
; %bb.97:
	s_or_b32 exec_lo, exec_lo, s4
	v_dual_mov_b32 v22, 0 :: v_dual_add_nc_u32 v21, 6, v5
	v_mov_b32_e32 v17, 0
	s_mov_b32 s4, exec_lo
	s_delay_alu instid0(VALU_DEP_2)
	v_cmpx_gt_u64_e64 s[0:1], v[21:22]
; %bb.98:
	v_and_b32_e32 v6, 0xffff, v3
	v_lshrrev_b32_e32 v17, 16, v3
	s_delay_alu instid0(VALU_DEP_2) | instskip(NEXT) | instid1(VALU_DEP_2)
	v_mul_u32_u24_e32 v6, 0xcccd, v6
	v_mul_u32_u24_e32 v17, 0xcccd, v17
	s_delay_alu instid0(VALU_DEP_2) | instskip(NEXT) | instid1(VALU_DEP_2)
	v_lshrrev_b32_e32 v6, 19, v6
	v_lshrrev_b32_e32 v17, 19, v17
	s_delay_alu instid0(VALU_DEP_1)
	v_cmp_ne_u16_e32 vcc_lo, v6, v17
	v_cndmask_b32_e64 v17, 0, 1, vcc_lo
; %bb.99:
	s_or_b32 exec_lo, exec_lo, s4
	v_add_nc_u32_e32 v21, 5, v5
	s_mov_b32 s4, exec_lo
	s_delay_alu instid0(VALU_DEP_1)
	v_cmpx_gt_u64_e64 s[0:1], v[21:22]
; %bb.100:
	v_lshrrev_b32_e32 v6, 16, v2
	v_and_b32_e32 v20, 0xffff, v3
	s_delay_alu instid0(VALU_DEP_2) | instskip(NEXT) | instid1(VALU_DEP_2)
	v_mul_u32_u24_e32 v6, 0xcccd, v6
	v_mul_u32_u24_e32 v20, 0xcccd, v20
	s_delay_alu instid0(VALU_DEP_2) | instskip(NEXT) | instid1(VALU_DEP_2)
	v_lshrrev_b32_e32 v6, 19, v6
	v_lshrrev_b32_e32 v20, 19, v20
	s_delay_alu instid0(VALU_DEP_1)
	v_cmp_ne_u16_e32 vcc_lo, v6, v20
	v_cndmask_b32_e64 v22, 0, 1, vcc_lo
; %bb.101:
	s_or_b32 exec_lo, exec_lo, s4
	v_dual_mov_b32 v24, 0 :: v_dual_add_nc_u32 v23, 4, v5
	v_mov_b32_e32 v21, 0
	s_mov_b32 s4, exec_lo
	s_delay_alu instid0(VALU_DEP_2)
	v_cmpx_gt_u64_e64 s[0:1], v[23:24]
; %bb.102:
	v_and_b32_e32 v6, 0xffff, v2
	v_lshrrev_b32_e32 v20, 16, v2
	s_delay_alu instid0(VALU_DEP_2) | instskip(NEXT) | instid1(VALU_DEP_2)
	v_mul_u32_u24_e32 v6, 0xcccd, v6
	v_mul_u32_u24_e32 v20, 0xcccd, v20
	s_delay_alu instid0(VALU_DEP_2) | instskip(NEXT) | instid1(VALU_DEP_2)
	v_lshrrev_b32_e32 v6, 19, v6
	v_lshrrev_b32_e32 v20, 19, v20
	s_delay_alu instid0(VALU_DEP_1)
	v_cmp_ne_u16_e32 vcc_lo, v6, v20
	v_cndmask_b32_e64 v21, 0, 1, vcc_lo
; %bb.103:
	s_or_b32 exec_lo, exec_lo, s4
	v_add_nc_u32_e32 v23, 3, v5
	s_mov_b32 s4, exec_lo
	s_delay_alu instid0(VALU_DEP_1)
	v_cmpx_gt_u64_e64 s[0:1], v[23:24]
; %bb.104:
	v_lshrrev_b32_e32 v6, 16, v1
	v_and_b32_e32 v20, 0xffff, v2
	s_delay_alu instid0(VALU_DEP_2) | instskip(NEXT) | instid1(VALU_DEP_2)
	v_mul_u32_u24_e32 v6, 0xcccd, v6
	v_mul_u32_u24_e32 v20, 0xcccd, v20
	s_delay_alu instid0(VALU_DEP_2) | instskip(NEXT) | instid1(VALU_DEP_2)
	v_lshrrev_b32_e32 v6, 19, v6
	v_lshrrev_b32_e32 v20, 19, v20
	s_delay_alu instid0(VALU_DEP_1)
	v_cmp_ne_u16_e32 vcc_lo, v6, v20
	v_cndmask_b32_e64 v24, 0, 1, vcc_lo
; %bb.105:
	s_or_b32 exec_lo, exec_lo, s4
	v_dual_mov_b32 v26, 0 :: v_dual_add_nc_u32 v25, 2, v5
	v_mov_b32_e32 v23, 0
	s_mov_b32 s4, exec_lo
	s_delay_alu instid0(VALU_DEP_2)
	v_cmpx_gt_u64_e64 s[0:1], v[25:26]
; %bb.106:
	v_and_b32_e32 v6, 0xffff, v1
	v_lshrrev_b32_e32 v20, 16, v1
	s_delay_alu instid0(VALU_DEP_2) | instskip(NEXT) | instid1(VALU_DEP_2)
	v_mul_u32_u24_e32 v6, 0xcccd, v6
	v_mul_u32_u24_e32 v20, 0xcccd, v20
	s_delay_alu instid0(VALU_DEP_2) | instskip(NEXT) | instid1(VALU_DEP_2)
	v_lshrrev_b32_e32 v6, 19, v6
	v_lshrrev_b32_e32 v20, 19, v20
	s_delay_alu instid0(VALU_DEP_1)
	v_cmp_ne_u16_e32 vcc_lo, v6, v20
	v_cndmask_b32_e64 v23, 0, 1, vcc_lo
; %bb.107:
	s_or_b32 exec_lo, exec_lo, s4
	v_add_nc_u32_e32 v25, 1, v5
	s_mov_b32 s4, exec_lo
	s_delay_alu instid0(VALU_DEP_1)
	v_cmpx_gt_u64_e64 s[0:1], v[25:26]
; %bb.108:
	v_and_b32_e32 v6, 0xffff, v63
	v_and_b32_e32 v20, 0xffff, v1
	s_delay_alu instid0(VALU_DEP_2) | instskip(NEXT) | instid1(VALU_DEP_2)
	v_mul_u32_u24_e32 v6, 0xcccd, v6
	v_mul_u32_u24_e32 v20, 0xcccd, v20
	s_delay_alu instid0(VALU_DEP_2) | instskip(NEXT) | instid1(VALU_DEP_2)
	v_lshrrev_b32_e32 v6, 19, v6
	v_lshrrev_b32_e32 v20, 19, v20
	s_delay_alu instid0(VALU_DEP_1)
	v_cmp_ne_u16_e32 vcc_lo, v6, v20
	v_cndmask_b32_e64 v26, 0, 1, vcc_lo
; %bb.109:
	s_or_b32 exec_lo, exec_lo, s4
	s_waitcnt vmcnt(0) lgkmcnt(0)
	s_barrier
	buffer_gl0_inv
	s_and_saveexec_b32 s4, s3
	s_cbranch_execz .LBB465_111
; %bb.110:
	v_add_nc_u32_e32 v6, -2, v27
	ds_load_u16 v8, v6
.LBB465_111:
	s_or_b32 exec_lo, exec_lo, s4
	v_mov_b32_e32 v6, 0
	s_mov_b32 s5, 0
	s_mov_b32 s4, 0
	s_mov_b32 s6, exec_lo
	s_delay_alu instid0(VALU_DEP_1)
	v_cmpx_gt_u64_e64 s[0:1], v[5:6]
	s_cbranch_execz .LBB465_113
; %bb.112:
	s_waitcnt lgkmcnt(0)
	v_and_b32_e32 v6, 0xffff, v8
	v_and_b32_e32 v8, 0xffff, v63
	s_delay_alu instid0(VALU_DEP_2) | instskip(NEXT) | instid1(VALU_DEP_2)
	v_mul_u32_u24_e32 v6, 0xcccd, v6
	v_mul_u32_u24_e32 v8, 0xcccd, v8
	s_delay_alu instid0(VALU_DEP_2) | instskip(NEXT) | instid1(VALU_DEP_2)
	v_lshrrev_b32_e32 v6, 19, v6
	v_lshrrev_b32_e32 v8, 19, v8
	s_delay_alu instid0(VALU_DEP_1)
	v_cmp_ne_u16_e32 vcc_lo, v6, v8
	s_and_b32 s4, vcc_lo, exec_lo
.LBB465_113:
	s_or_b32 exec_lo, exec_lo, s6
	s_mov_b32 s15, -1
	s_and_b32 vcc_lo, exec_lo, s5
	s_cbranch_vccnz .LBB465_220
.LBB465_114:
                                        ; implicit-def: $vgpr20
                                        ; implicit-def: $sgpr0
.LBB465_115:
	v_mov_b32_e32 v25, s0
	s_and_saveexec_b32 s0, s15
.LBB465_116:
	v_cndmask_b32_e64 v25, 0, 1, s4
	v_mov_b32_e32 v20, v7
.LBB465_117:
	s_or_b32 exec_lo, exec_lo, s0
	s_delay_alu instid0(VALU_DEP_1)
	v_add3_u32 v5, v26, v25, v23
	v_cmp_eq_u32_e64 s13, 0, v26
	v_cmp_eq_u32_e64 s12, 0, v23
	;; [unrolled: 1-line block ×4, first 2 shown]
	v_add3_u32 v80, v5, v24, v21
	v_cmp_eq_u32_e64 s9, 0, v22
	v_cmp_eq_u32_e64 s8, 0, v17
	;; [unrolled: 1-line block ×9, first 2 shown]
	v_cmp_eq_u32_e32 vcc_lo, 0, v61
	v_mbcnt_lo_u32_b32 v77, -1, 0
	v_lshrrev_b32_e32 v78, 5, v0
	v_or_b32_e32 v79, 31, v0
	s_cmp_eq_u64 s[22:23], 0
	s_cselect_b32 s16, -1, 0
	s_cmp_lg_u32 s33, 0
	s_cbranch_scc0 .LBB465_143
; %bb.118:
	v_cndmask_b32_e64 v5, 0, v74, s13
	v_add3_u32 v6, v80, v22, v17
	v_and_b32_e32 v9, 15, v77
	s_delay_alu instid0(VALU_DEP_3) | instskip(NEXT) | instid1(VALU_DEP_3)
	v_add_nc_u16 v5, v5, v73
	v_add3_u32 v6, v6, v18, v15
	s_delay_alu instid0(VALU_DEP_2) | instskip(NEXT) | instid1(VALU_DEP_2)
	v_cndmask_b32_e64 v5, 0, v5, s12
	v_add3_u32 v6, v6, v16, v13
	s_delay_alu instid0(VALU_DEP_2) | instskip(NEXT) | instid1(VALU_DEP_2)
	v_add_nc_u16 v5, v5, v75
	v_add3_u32 v6, v6, v14, v62
	s_delay_alu instid0(VALU_DEP_2) | instskip(NEXT) | instid1(VALU_DEP_2)
	v_cndmask_b32_e64 v5, 0, v5, s11
	v_add3_u32 v6, v6, v20, v61
	s_delay_alu instid0(VALU_DEP_2) | instskip(NEXT) | instid1(VALU_DEP_2)
	v_add_nc_u16 v5, v5, v71
	v_mov_b32_dpp v19, v6 row_shr:1 row_mask:0xf bank_mask:0xf
	s_delay_alu instid0(VALU_DEP_2) | instskip(NEXT) | instid1(VALU_DEP_1)
	v_cndmask_b32_e64 v5, 0, v5, s10
	v_add_nc_u16 v5, v5, v72
	s_delay_alu instid0(VALU_DEP_1) | instskip(NEXT) | instid1(VALU_DEP_1)
	v_cndmask_b32_e64 v5, 0, v5, s9
	v_add_nc_u16 v5, v5, v69
	s_delay_alu instid0(VALU_DEP_1) | instskip(NEXT) | instid1(VALU_DEP_1)
	;; [unrolled: 3-line block ×9, first 2 shown]
	v_cndmask_b32_e64 v5, 0, v5, s0
	v_add_nc_u16 v5, v5, v59
	s_delay_alu instid0(VALU_DEP_1) | instskip(SKIP_1) | instid1(VALU_DEP_2)
	v_cndmask_b32_e32 v5, 0, v5, vcc_lo
	v_cmp_eq_u32_e32 vcc_lo, 0, v6
	v_add_nc_u16 v5, v5, v76
	s_delay_alu instid0(VALU_DEP_1) | instskip(SKIP_1) | instid1(VALU_DEP_1)
	v_and_b32_e32 v7, 0xffff, v5
	s_waitcnt lgkmcnt(0)
	v_mov_b32_dpp v8, v7 row_shr:1 row_mask:0xf bank_mask:0xf
	s_delay_alu instid0(VALU_DEP_1) | instskip(SKIP_1) | instid1(VALU_DEP_2)
	v_cndmask_b32_e32 v8, 0, v8, vcc_lo
	v_cmp_eq_u32_e32 vcc_lo, 0, v9
	v_add_nc_u16 v8, v8, v5
	v_cndmask_b32_e64 v19, v19, 0, vcc_lo
	s_delay_alu instid0(VALU_DEP_2) | instskip(NEXT) | instid1(VALU_DEP_2)
	v_and_b32_e32 v27, 0xffff, v8
	v_dual_cndmask_b32 v5, v8, v5 :: v_dual_add_nc_u32 v6, v19, v6
	s_delay_alu instid0(VALU_DEP_2) | instskip(NEXT) | instid1(VALU_DEP_2)
	v_cndmask_b32_e32 v7, v27, v7, vcc_lo
	v_cmp_eq_u32_e32 vcc_lo, 0, v6
	s_delay_alu instid0(VALU_DEP_2) | instskip(NEXT) | instid1(VALU_DEP_1)
	v_mov_b32_dpp v19, v7 row_shr:2 row_mask:0xf bank_mask:0xf
	v_cndmask_b32_e32 v8, 0, v19, vcc_lo
	v_mov_b32_dpp v19, v6 row_shr:2 row_mask:0xf bank_mask:0xf
	v_cmp_lt_u32_e32 vcc_lo, 1, v9
	s_delay_alu instid0(VALU_DEP_3) | instskip(NEXT) | instid1(VALU_DEP_1)
	v_add_nc_u16 v8, v8, v5
	v_and_b32_e32 v27, 0xffff, v8
	s_delay_alu instid0(VALU_DEP_4) | instskip(NEXT) | instid1(VALU_DEP_1)
	v_dual_cndmask_b32 v5, v5, v8 :: v_dual_cndmask_b32 v8, 0, v19
	v_dual_cndmask_b32 v7, v7, v27 :: v_dual_add_nc_u32 v6, v6, v8
	s_delay_alu instid0(VALU_DEP_1) | instskip(NEXT) | instid1(VALU_DEP_2)
	v_cmp_eq_u32_e32 vcc_lo, 0, v6
	v_mov_b32_dpp v8, v7 row_shr:4 row_mask:0xf bank_mask:0xf
	v_mov_b32_dpp v19, v6 row_shr:4 row_mask:0xf bank_mask:0xf
	s_delay_alu instid0(VALU_DEP_2) | instskip(SKIP_1) | instid1(VALU_DEP_2)
	v_cndmask_b32_e32 v8, 0, v8, vcc_lo
	v_cmp_lt_u32_e32 vcc_lo, 3, v9
	v_add_nc_u16 v8, v8, v5
	s_delay_alu instid0(VALU_DEP_1) | instskip(SKIP_1) | instid1(VALU_DEP_1)
	v_and_b32_e32 v27, 0xffff, v8
	v_dual_cndmask_b32 v5, v5, v8 :: v_dual_cndmask_b32 v8, 0, v19
	v_dual_cndmask_b32 v7, v7, v27 :: v_dual_add_nc_u32 v6, v8, v6
	s_delay_alu instid0(VALU_DEP_1) | instskip(NEXT) | instid1(VALU_DEP_2)
	v_mov_b32_dpp v8, v7 row_shr:8 row_mask:0xf bank_mask:0xf
	v_cmp_eq_u32_e32 vcc_lo, 0, v6
	v_mov_b32_dpp v19, v6 row_shr:8 row_mask:0xf bank_mask:0xf
	s_delay_alu instid0(VALU_DEP_3) | instskip(SKIP_1) | instid1(VALU_DEP_2)
	v_cndmask_b32_e32 v8, 0, v8, vcc_lo
	v_cmp_lt_u32_e32 vcc_lo, 7, v9
	v_add_nc_u16 v8, v8, v5
	s_delay_alu instid0(VALU_DEP_4) | instskip(SKIP_1) | instid1(VALU_DEP_3)
	v_cndmask_b32_e32 v9, 0, v19, vcc_lo
	v_bfe_i32 v19, v77, 4, 1
	v_cndmask_b32_e32 v5, v5, v8, vcc_lo
	v_and_b32_e32 v8, 0xffff, v8
	s_delay_alu instid0(VALU_DEP_4) | instskip(SKIP_1) | instid1(VALU_DEP_3)
	v_add_nc_u32_e32 v6, v9, v6
	v_and_b32_e32 v9, 16, v77
	v_cndmask_b32_e32 v7, v7, v8, vcc_lo
	ds_swizzle_b32 v8, v6 offset:swizzle(BROADCAST,32,15)
	v_cmp_ne_u32_e32 vcc_lo, 0, v9
	v_cmp_eq_u32_e64 s14, 0, v6
	ds_swizzle_b32 v7, v7 offset:swizzle(BROADCAST,32,15)
	s_and_b32 vcc_lo, vcc_lo, s14
	s_mov_b32 s14, exec_lo
	s_waitcnt lgkmcnt(0)
	v_dual_cndmask_b32 v7, 0, v7 :: v_dual_and_b32 v8, v19, v8
	s_delay_alu instid0(VALU_DEP_1) | instskip(NEXT) | instid1(VALU_DEP_2)
	v_add_nc_u32_e32 v6, v8, v6
	v_add_nc_u16 v5, v7, v5
	v_lshlrev_b32_e32 v7, 3, v78
	v_cmpx_eq_u32_e64 v79, v0
	s_cbranch_execz .LBB465_120
; %bb.119:
	ds_store_b32 v7, v6 offset:1040
	ds_store_b16 v7, v5 offset:1044
.LBB465_120:
	s_or_b32 exec_lo, exec_lo, s14
	s_delay_alu instid0(SALU_CYCLE_1)
	s_mov_b32 s15, exec_lo
	s_waitcnt lgkmcnt(0)
	s_barrier
	buffer_gl0_inv
	v_cmpx_gt_u32_e32 8, v0
	s_cbranch_execz .LBB465_122
; %bb.121:
	v_lshlrev_b32_e32 v19, 3, v0
	v_and_b32_e32 v30, 7, v77
	ds_load_b64 v[8:9], v19 offset:1040
	s_waitcnt lgkmcnt(0)
	v_mov_b32_dpp v27, v9 row_shr:1 row_mask:0xf bank_mask:0xf
	v_cmp_eq_u32_e32 vcc_lo, 0, v8
	v_mov_b32_dpp v31, v8 row_shr:1 row_mask:0xf bank_mask:0xf
	s_delay_alu instid0(VALU_DEP_3) | instskip(SKIP_1) | instid1(VALU_DEP_2)
	v_dual_cndmask_b32 v27, 0, v27 :: v_dual_and_b32 v28, 0xffff0000, v9
	v_cmp_eq_u32_e32 vcc_lo, 0, v30
	v_add_nc_u16 v27, v27, v9
	s_delay_alu instid0(VALU_DEP_4) | instskip(NEXT) | instid1(VALU_DEP_2)
	v_cndmask_b32_e64 v31, v31, 0, vcc_lo
	v_and_b32_e32 v29, 0xffff, v27
	s_delay_alu instid0(VALU_DEP_2) | instskip(NEXT) | instid1(VALU_DEP_2)
	v_add_nc_u32_e32 v8, v31, v8
	v_or_b32_e32 v29, v28, v29
	s_delay_alu instid0(VALU_DEP_1) | instskip(SKIP_1) | instid1(VALU_DEP_4)
	v_cndmask_b32_e32 v29, v29, v9, vcc_lo
	v_cndmask_b32_e32 v9, v27, v9, vcc_lo
	v_cmp_eq_u32_e32 vcc_lo, 0, v8
	s_delay_alu instid0(VALU_DEP_3) | instskip(NEXT) | instid1(VALU_DEP_1)
	v_mov_b32_dpp v31, v29 row_shr:2 row_mask:0xf bank_mask:0xf
	v_cndmask_b32_e32 v27, 0, v31, vcc_lo
	v_mov_b32_dpp v31, v8 row_shr:2 row_mask:0xf bank_mask:0xf
	v_cmp_lt_u32_e32 vcc_lo, 1, v30
	v_cmp_lt_u32_e64 s14, 3, v30
	s_delay_alu instid0(VALU_DEP_4) | instskip(NEXT) | instid1(VALU_DEP_1)
	v_add_nc_u16 v27, v27, v9
	v_and_b32_e32 v32, 0xffff, v27
	v_cndmask_b32_e32 v9, v9, v27, vcc_lo
	v_cndmask_b32_e32 v27, 0, v31, vcc_lo
	s_delay_alu instid0(VALU_DEP_3) | instskip(NEXT) | instid1(VALU_DEP_2)
	v_or_b32_e32 v28, v28, v32
	v_add_nc_u32_e32 v8, v27, v8
	s_delay_alu instid0(VALU_DEP_2) | instskip(NEXT) | instid1(VALU_DEP_2)
	v_cndmask_b32_e32 v27, v29, v28, vcc_lo
	v_cmp_eq_u32_e32 vcc_lo, 0, v8
	v_mov_b32_dpp v28, v8 row_shr:4 row_mask:0xf bank_mask:0xf
	s_delay_alu instid0(VALU_DEP_3) | instskip(SKIP_1) | instid1(VALU_DEP_2)
	v_mov_b32_dpp v27, v27 row_shr:4 row_mask:0xf bank_mask:0xf
	s_and_b32 vcc_lo, s14, vcc_lo
	v_cndmask_b32_e64 v28, 0, v28, s14
	s_delay_alu instid0(VALU_DEP_1) | instskip(NEXT) | instid1(VALU_DEP_1)
	v_dual_cndmask_b32 v27, 0, v27 :: v_dual_add_nc_u32 v8, v28, v8
	v_add_nc_u16 v9, v9, v27
	ds_store_b32 v19, v8 offset:1040
	ds_store_b16 v19, v9 offset:1044
.LBB465_122:
	s_or_b32 exec_lo, exec_lo, s15
	v_cmp_gt_u32_e32 vcc_lo, 32, v0
	v_mov_b32_e32 v31, 0
	v_mov_b32_e32 v19, 0
	s_mov_b32 s15, exec_lo
	s_waitcnt lgkmcnt(0)
	s_barrier
	buffer_gl0_inv
	v_cmpx_lt_u32_e32 31, v0
	s_cbranch_execz .LBB465_124
; %bb.123:
	ds_load_u16 v19, v7 offset:1036
	ds_load_b32 v31, v7 offset:1032
	v_cmp_eq_u32_e64 s14, 0, v6
	s_waitcnt lgkmcnt(1)
	s_delay_alu instid0(VALU_DEP_1) | instskip(SKIP_2) | instid1(VALU_DEP_2)
	v_cndmask_b32_e64 v7, 0, v19, s14
	s_waitcnt lgkmcnt(0)
	v_add_nc_u32_e32 v6, v31, v6
	v_add_nc_u16 v5, v7, v5
.LBB465_124:
	s_or_b32 exec_lo, exec_lo, s15
	v_add_nc_u32_e32 v7, -1, v77
	s_delay_alu instid0(VALU_DEP_2) | instskip(NEXT) | instid1(VALU_DEP_2)
	v_and_b32_e32 v5, 0xffff, v5
	v_cmp_gt_i32_e64 s14, 0, v7
	s_delay_alu instid0(VALU_DEP_1) | instskip(SKIP_1) | instid1(VALU_DEP_2)
	v_cndmask_b32_e64 v7, v7, v77, s14
	v_cmp_eq_u32_e64 s14, 0, v77
	v_lshlrev_b32_e32 v7, 2, v7
	ds_bpermute_b32 v32, v7, v6
	ds_bpermute_b32 v33, v7, v5
	s_and_saveexec_b32 s22, vcc_lo
	s_cbranch_execz .LBB465_142
; %bb.125:
	v_mov_b32_e32 v8, 0
	ds_load_b64 v[5:6], v8 offset:1096
	s_waitcnt lgkmcnt(0)
	v_readfirstlane_b32 s23, v6
	s_and_saveexec_b32 s15, s14
	s_cbranch_execz .LBB465_127
; %bb.126:
	s_add_i32 s24, s33, 32
	s_mov_b32 s25, 0
	v_mov_b32_e32 v7, 1
	s_lshl_b64 s[36:37], s[24:25], 4
	s_mov_b32 s40, s25
	s_add_u32 s36, s20, s36
	s_addc_u32 s37, s21, s37
	s_and_b32 s41, s23, 0xff000000
	s_and_b32 s43, s23, 0xff0000
	s_mov_b32 s42, s25
	v_dual_mov_b32 v27, s36 :: v_dual_mov_b32 v28, s37
	s_or_b64 s[40:41], s[42:43], s[40:41]
	s_and_b32 s43, s23, 0xff00
	s_delay_alu instid0(SALU_CYCLE_1) | instskip(SKIP_1) | instid1(SALU_CYCLE_1)
	s_or_b64 s[40:41], s[40:41], s[42:43]
	s_and_b32 s43, s23, 0xff
	s_or_b64 s[24:25], s[40:41], s[42:43]
	s_delay_alu instid0(SALU_CYCLE_1)
	v_mov_b32_e32 v6, s25
	;;#ASMSTART
	global_store_dwordx4 v[27:28], v[5:8] off	
s_waitcnt vmcnt(0)
	;;#ASMEND
.LBB465_127:
	s_or_b32 exec_lo, exec_lo, s15
	v_xad_u32 v27, v77, -1, s33
	s_mov_b32 s24, 0
	s_mov_b32 s15, exec_lo
	s_delay_alu instid0(VALU_DEP_1) | instskip(NEXT) | instid1(VALU_DEP_1)
	v_add_nc_u32_e32 v7, 32, v27
	v_lshlrev_b64 v[6:7], 4, v[7:8]
	s_delay_alu instid0(VALU_DEP_1) | instskip(NEXT) | instid1(VALU_DEP_2)
	v_add_co_u32 v28, vcc_lo, s20, v6
	v_add_co_ci_u32_e32 v29, vcc_lo, s21, v7, vcc_lo
	;;#ASMSTART
	global_load_dwordx4 v[6:9], v[28:29] off glc	
s_waitcnt vmcnt(0)
	;;#ASMEND
	v_and_b32_e32 v9, 0xffffff, v6
	v_and_b32_e32 v6, 0xff000000, v6
	;; [unrolled: 1-line block ×4, first 2 shown]
	s_delay_alu instid0(VALU_DEP_3) | instskip(SKIP_1) | instid1(VALU_DEP_3)
	v_or_b32_e32 v6, v9, v6
	v_and_b32_e32 v9, 0xff, v8
	v_or3_b32 v7, 0, v30, v7
	s_delay_alu instid0(VALU_DEP_3) | instskip(NEXT) | instid1(VALU_DEP_3)
	v_or3_b32 v6, v6, 0, 0
	v_cmpx_eq_u16_e32 0, v9
	s_cbranch_execz .LBB465_130
.LBB465_128:                            ; =>This Inner Loop Header: Depth=1
	;;#ASMSTART
	global_load_dwordx4 v[6:9], v[28:29] off glc	
s_waitcnt vmcnt(0)
	;;#ASMEND
	v_and_b32_e32 v9, 0xff, v8
	s_delay_alu instid0(VALU_DEP_1) | instskip(SKIP_1) | instid1(SALU_CYCLE_1)
	v_cmp_ne_u16_e32 vcc_lo, 0, v9
	s_or_b32 s24, vcc_lo, s24
	s_and_not1_b32 exec_lo, exec_lo, s24
	s_cbranch_execnz .LBB465_128
; %bb.129:
	s_or_b32 exec_lo, exec_lo, s24
	v_and_b32_e32 v7, 0xffff, v7
.LBB465_130:
	s_or_b32 exec_lo, exec_lo, s15
	v_cmp_ne_u32_e32 vcc_lo, 31, v77
	v_cmp_eq_u32_e64 s15, 0, v6
	v_lshlrev_b32_e64 v35, v77, -1
	v_add_nc_u32_e32 v43, 8, v77
	v_add_nc_u32_e32 v45, 16, v77
	v_add_co_ci_u32_e32 v9, vcc_lo, 0, v77, vcc_lo
	s_delay_alu instid0(VALU_DEP_1) | instskip(SKIP_4) | instid1(VALU_DEP_1)
	v_lshlrev_b32_e32 v34, 2, v9
	ds_bpermute_b32 v9, v34, v7
	ds_bpermute_b32 v30, v34, v6
	s_waitcnt lgkmcnt(1)
	v_cndmask_b32_e64 v9, 0, v9, s15
	v_add_nc_u16 v9, v9, v7
	v_and_b32_e32 v28, 0xff, v8
	s_delay_alu instid0(VALU_DEP_2) | instskip(NEXT) | instid1(VALU_DEP_2)
	v_and_b32_e32 v37, 0xffff, v9
	v_cmp_eq_u16_e32 vcc_lo, 2, v28
	v_and_or_b32 v28, vcc_lo, v35, 0x80000000
	v_cmp_gt_u32_e32 vcc_lo, 30, v77
	s_delay_alu instid0(VALU_DEP_2) | instskip(SKIP_1) | instid1(VALU_DEP_2)
	v_ctz_i32_b32_e32 v28, v28
	v_cndmask_b32_e64 v29, 0, 1, vcc_lo
	v_cmp_lt_u32_e32 vcc_lo, v77, v28
	s_waitcnt lgkmcnt(0)
	s_delay_alu instid0(VALU_DEP_2) | instskip(NEXT) | instid1(VALU_DEP_1)
	v_dual_cndmask_b32 v30, 0, v30 :: v_dual_lshlrev_b32 v29, 1, v29
	v_add_lshl_u32 v36, v29, v77, 2
	v_cndmask_b32_e32 v9, v7, v9, vcc_lo
	v_cndmask_b32_e32 v7, v7, v37, vcc_lo
	v_add_nc_u32_e32 v37, 2, v77
	v_add_nc_u32_e32 v6, v30, v6
	ds_bpermute_b32 v29, v36, v7
	v_cmp_eq_u32_e32 vcc_lo, 0, v6
	ds_bpermute_b32 v39, v36, v6
	s_waitcnt lgkmcnt(1)
	v_cndmask_b32_e32 v29, 0, v29, vcc_lo
	v_cmp_gt_u32_e32 vcc_lo, 28, v77
	v_cndmask_b32_e64 v30, 0, 1, vcc_lo
	v_cmp_gt_u32_e32 vcc_lo, v37, v28
	s_delay_alu instid0(VALU_DEP_2) | instskip(SKIP_1) | instid1(VALU_DEP_2)
	v_lshlrev_b32_e32 v30, 2, v30
	v_add_nc_u16 v29, v29, v9
	v_add_lshl_u32 v38, v30, v77, 2
	s_delay_alu instid0(VALU_DEP_2) | instskip(SKIP_4) | instid1(VALU_DEP_3)
	v_and_b32_e32 v40, 0xffff, v29
	s_waitcnt lgkmcnt(0)
	v_cndmask_b32_e64 v30, v39, 0, vcc_lo
	v_cndmask_b32_e32 v9, v29, v9, vcc_lo
	v_add_nc_u32_e32 v39, 4, v77
	v_dual_cndmask_b32 v7, v40, v7 :: v_dual_add_nc_u32 v6, v6, v30
	ds_bpermute_b32 v29, v38, v7
	v_cmp_eq_u32_e32 vcc_lo, 0, v6
	ds_bpermute_b32 v41, v38, v6
	s_waitcnt lgkmcnt(1)
	v_cndmask_b32_e32 v29, 0, v29, vcc_lo
	v_cmp_gt_u32_e32 vcc_lo, 24, v77
	v_cndmask_b32_e64 v30, 0, 1, vcc_lo
	v_cmp_gt_u32_e32 vcc_lo, v39, v28
	s_delay_alu instid0(VALU_DEP_2) | instskip(SKIP_1) | instid1(VALU_DEP_2)
	v_lshlrev_b32_e32 v30, 3, v30
	v_add_nc_u16 v29, v9, v29
	v_add_lshl_u32 v40, v30, v77, 2
	s_delay_alu instid0(VALU_DEP_2) | instskip(SKIP_3) | instid1(VALU_DEP_3)
	v_and_b32_e32 v42, 0xffff, v29
	s_waitcnt lgkmcnt(0)
	v_cndmask_b32_e64 v30, v41, 0, vcc_lo
	v_cndmask_b32_e32 v9, v29, v9, vcc_lo
	v_cndmask_b32_e32 v7, v42, v7, vcc_lo
	s_delay_alu instid0(VALU_DEP_3)
	v_add_nc_u32_e32 v6, v6, v30
	ds_bpermute_b32 v29, v40, v7
	ds_bpermute_b32 v30, v40, v6
	v_cmp_eq_u32_e32 vcc_lo, 0, v6
	s_waitcnt lgkmcnt(1)
	v_cndmask_b32_e32 v29, 0, v29, vcc_lo
	v_cmp_gt_u32_e32 vcc_lo, 16, v77
	s_delay_alu instid0(VALU_DEP_2) | instskip(SKIP_2) | instid1(VALU_DEP_3)
	v_add_nc_u16 v29, v9, v29
	v_cndmask_b32_e64 v41, 0, 1, vcc_lo
	v_cmp_gt_u32_e32 vcc_lo, v43, v28
	v_and_b32_e32 v42, 0xffff, v29
	s_delay_alu instid0(VALU_DEP_3)
	v_lshlrev_b32_e32 v41, 4, v41
	v_cndmask_b32_e32 v9, v29, v9, vcc_lo
	s_waitcnt lgkmcnt(0)
	v_cndmask_b32_e64 v29, v30, 0, vcc_lo
	v_cndmask_b32_e32 v7, v42, v7, vcc_lo
	v_add_lshl_u32 v44, v41, v77, 2
	s_delay_alu instid0(VALU_DEP_3)
	v_add_nc_u32_e32 v6, v6, v29
	ds_bpermute_b32 v7, v44, v7
	ds_bpermute_b32 v29, v44, v6
	v_cmp_eq_u32_e32 vcc_lo, 0, v6
	s_waitcnt lgkmcnt(1)
	v_cndmask_b32_e32 v7, 0, v7, vcc_lo
	v_cmp_gt_u32_e32 vcc_lo, v45, v28
	s_delay_alu instid0(VALU_DEP_2) | instskip(SKIP_2) | instid1(VALU_DEP_2)
	v_cndmask_b32_e64 v7, v7, 0, vcc_lo
	s_waitcnt lgkmcnt(0)
	v_cndmask_b32_e64 v28, v29, 0, vcc_lo
	v_add_nc_u16 v7, v9, v7
	s_delay_alu instid0(VALU_DEP_2)
	v_add_nc_u32_e32 v6, v28, v6
	v_mov_b32_e32 v28, 0
	s_branch .LBB465_132
.LBB465_131:                            ;   in Loop: Header=BB465_132 Depth=1
	s_or_b32 exec_lo, exec_lo, s15
	ds_bpermute_b32 v9, v34, v7
	ds_bpermute_b32 v30, v34, v6
	v_and_b32_e32 v29, 0xff, v8
	v_cmp_eq_u32_e64 s15, 0, v6
	v_subrev_nc_u32_e32 v27, 32, v27
	s_delay_alu instid0(VALU_DEP_3) | instskip(SKIP_1) | instid1(VALU_DEP_1)
	v_cmp_eq_u16_e32 vcc_lo, 2, v29
	v_and_or_b32 v29, vcc_lo, v35, 0x80000000
	v_ctz_i32_b32_e32 v29, v29
	s_waitcnt lgkmcnt(1)
	v_cndmask_b32_e64 v9, 0, v9, s15
	s_delay_alu instid0(VALU_DEP_2) | instskip(NEXT) | instid1(VALU_DEP_2)
	v_cmp_lt_u32_e32 vcc_lo, v77, v29
	v_add_nc_u16 v9, v9, v7
	s_waitcnt lgkmcnt(0)
	v_cndmask_b32_e32 v30, 0, v30, vcc_lo
	s_delay_alu instid0(VALU_DEP_2) | instskip(NEXT) | instid1(VALU_DEP_2)
	v_and_b32_e32 v46, 0xffff, v9
	v_dual_cndmask_b32 v9, v7, v9 :: v_dual_add_nc_u32 v6, v30, v6
	s_delay_alu instid0(VALU_DEP_2) | instskip(NEXT) | instid1(VALU_DEP_2)
	v_cndmask_b32_e32 v7, v7, v46, vcc_lo
	v_cmp_eq_u32_e32 vcc_lo, 0, v6
	ds_bpermute_b32 v46, v36, v7
	s_waitcnt lgkmcnt(0)
	v_cndmask_b32_e32 v30, 0, v46, vcc_lo
	ds_bpermute_b32 v46, v36, v6
	v_cmp_gt_u32_e32 vcc_lo, v37, v29
	v_add_nc_u16 v30, v30, v9
	s_delay_alu instid0(VALU_DEP_1) | instskip(SKIP_1) | instid1(VALU_DEP_2)
	v_and_b32_e32 v47, 0xffff, v30
	v_cndmask_b32_e32 v9, v30, v9, vcc_lo
	v_cndmask_b32_e32 v7, v47, v7, vcc_lo
	ds_bpermute_b32 v30, v38, v7
	s_waitcnt lgkmcnt(1)
	v_cndmask_b32_e64 v46, v46, 0, vcc_lo
	s_delay_alu instid0(VALU_DEP_1) | instskip(NEXT) | instid1(VALU_DEP_1)
	v_add_nc_u32_e32 v6, v6, v46
	v_cmp_eq_u32_e32 vcc_lo, 0, v6
	ds_bpermute_b32 v46, v38, v6
	s_waitcnt lgkmcnt(1)
	v_cndmask_b32_e32 v30, 0, v30, vcc_lo
	v_cmp_gt_u32_e32 vcc_lo, v39, v29
	s_delay_alu instid0(VALU_DEP_2) | instskip(NEXT) | instid1(VALU_DEP_1)
	v_add_nc_u16 v30, v9, v30
	v_and_b32_e32 v47, 0xffff, v30
	v_cndmask_b32_e32 v9, v30, v9, vcc_lo
	s_waitcnt lgkmcnt(0)
	v_cndmask_b32_e64 v46, v46, 0, vcc_lo
	s_delay_alu instid0(VALU_DEP_1)
	v_dual_cndmask_b32 v7, v47, v7 :: v_dual_add_nc_u32 v6, v6, v46
	ds_bpermute_b32 v30, v40, v7
	v_cmp_eq_u32_e32 vcc_lo, 0, v6
	ds_bpermute_b32 v46, v40, v6
	s_waitcnt lgkmcnt(1)
	v_cndmask_b32_e32 v30, 0, v30, vcc_lo
	v_cmp_gt_u32_e32 vcc_lo, v43, v29
	s_delay_alu instid0(VALU_DEP_2) | instskip(NEXT) | instid1(VALU_DEP_1)
	v_add_nc_u16 v30, v9, v30
	v_and_b32_e32 v47, 0xffff, v30
	v_cndmask_b32_e32 v9, v30, v9, vcc_lo
	s_waitcnt lgkmcnt(0)
	v_cndmask_b32_e64 v30, v46, 0, vcc_lo
	s_delay_alu instid0(VALU_DEP_1)
	v_dual_cndmask_b32 v7, v47, v7 :: v_dual_add_nc_u32 v6, v6, v30
	ds_bpermute_b32 v7, v44, v7
	ds_bpermute_b32 v30, v44, v6
	v_cmp_eq_u32_e32 vcc_lo, 0, v6
	s_waitcnt lgkmcnt(1)
	v_cndmask_b32_e32 v7, 0, v7, vcc_lo
	v_cmp_gt_u32_e32 vcc_lo, v45, v29
	s_delay_alu instid0(VALU_DEP_2) | instskip(NEXT) | instid1(VALU_DEP_1)
	v_cndmask_b32_e64 v7, v7, 0, vcc_lo
	v_add_nc_u16 v7, v9, v7
	s_waitcnt lgkmcnt(0)
	v_cndmask_b32_e64 v9, v30, 0, vcc_lo
	v_cmp_eq_u32_e32 vcc_lo, 0, v42
	s_delay_alu instid0(VALU_DEP_3) | instskip(NEXT) | instid1(VALU_DEP_3)
	v_cndmask_b32_e32 v7, 0, v7, vcc_lo
	v_add3_u32 v6, v6, v42, v9
	s_delay_alu instid0(VALU_DEP_2)
	v_add_nc_u16 v7, v7, v41
.LBB465_132:                            ; =>This Loop Header: Depth=1
                                        ;     Child Loop BB465_135 Depth 2
	s_delay_alu instid0(VALU_DEP_1) | instskip(NEXT) | instid1(VALU_DEP_3)
	v_dual_mov_b32 v41, v7 :: v_dual_and_b32 v8, 0xff, v8
	v_mov_b32_e32 v42, v6
	s_delay_alu instid0(VALU_DEP_2) | instskip(SKIP_2) | instid1(VALU_DEP_1)
	v_cmp_ne_u16_e32 vcc_lo, 2, v8
	v_cndmask_b32_e64 v8, 0, 1, vcc_lo
	;;#ASMSTART
	;;#ASMEND
	v_cmp_ne_u32_e32 vcc_lo, 0, v8
	s_cmp_lg_u32 vcc_lo, exec_lo
	s_cbranch_scc1 .LBB465_137
; %bb.133:                              ;   in Loop: Header=BB465_132 Depth=1
	v_lshlrev_b64 v[6:7], 4, v[27:28]
	s_mov_b32 s15, exec_lo
	s_delay_alu instid0(VALU_DEP_1) | instskip(NEXT) | instid1(VALU_DEP_2)
	v_add_co_u32 v29, vcc_lo, s20, v6
	v_add_co_ci_u32_e32 v30, vcc_lo, s21, v7, vcc_lo
	;;#ASMSTART
	global_load_dwordx4 v[6:9], v[29:30] off glc	
s_waitcnt vmcnt(0)
	;;#ASMEND
	v_and_b32_e32 v9, 0xffffff, v6
	v_and_b32_e32 v6, 0xff000000, v6
	;; [unrolled: 1-line block ×4, first 2 shown]
	s_delay_alu instid0(VALU_DEP_3) | instskip(SKIP_1) | instid1(VALU_DEP_3)
	v_or_b32_e32 v6, v9, v6
	v_and_b32_e32 v9, 0xff, v8
	v_or3_b32 v7, 0, v46, v7
	s_delay_alu instid0(VALU_DEP_3) | instskip(NEXT) | instid1(VALU_DEP_3)
	v_or3_b32 v6, v6, 0, 0
	v_cmpx_eq_u16_e32 0, v9
	s_cbranch_execz .LBB465_131
; %bb.134:                              ;   in Loop: Header=BB465_132 Depth=1
	s_mov_b32 s24, 0
.LBB465_135:                            ;   Parent Loop BB465_132 Depth=1
                                        ; =>  This Inner Loop Header: Depth=2
	;;#ASMSTART
	global_load_dwordx4 v[6:9], v[29:30] off glc	
s_waitcnt vmcnt(0)
	;;#ASMEND
	v_and_b32_e32 v9, 0xff, v8
	s_delay_alu instid0(VALU_DEP_1) | instskip(SKIP_1) | instid1(SALU_CYCLE_1)
	v_cmp_ne_u16_e32 vcc_lo, 0, v9
	s_or_b32 s24, vcc_lo, s24
	s_and_not1_b32 exec_lo, exec_lo, s24
	s_cbranch_execnz .LBB465_135
; %bb.136:                              ;   in Loop: Header=BB465_132 Depth=1
	s_or_b32 exec_lo, exec_lo, s24
	v_and_b32_e32 v7, 0xffff, v7
	s_branch .LBB465_131
.LBB465_137:                            ;   in Loop: Header=BB465_132 Depth=1
                                        ; implicit-def: $vgpr7
                                        ; implicit-def: $vgpr6
                                        ; implicit-def: $vgpr8
	s_cbranch_execz .LBB465_132
; %bb.138:
	s_and_saveexec_b32 s15, s14
	s_cbranch_execz .LBB465_140
; %bb.139:
	v_cmp_eq_u32_e32 vcc_lo, 0, v5
	s_mov_b32 s25, 0
	s_add_i32 s24, s33, 32
	v_add_nc_u32_e64 v29, 0x400, 0
	s_lshl_b64 s[24:25], s[24:25], 4
	v_dual_cndmask_b32 v6, 0, v41 :: v_dual_mov_b32 v9, 0
	s_add_u32 s24, s20, s24
	s_addc_u32 s25, s21, s25
	v_mov_b32_e32 v30, s23
	s_delay_alu instid0(VALU_DEP_2) | instskip(SKIP_1) | instid1(VALU_DEP_2)
	v_add_nc_u16 v7, v6, s23
	v_add_nc_u32_e32 v6, v42, v5
	v_dual_mov_b32 v8, 2 :: v_dual_and_b32 v27, 0xff00, v7
	v_and_b32_e32 v7, 0xff, v7
	s_delay_alu instid0(VALU_DEP_1)
	v_or_b32_e32 v7, v27, v7
	v_dual_mov_b32 v28, s25 :: v_dual_mov_b32 v27, s24
	;;#ASMSTART
	global_store_dwordx4 v[27:28], v[6:9] off	
s_waitcnt vmcnt(0)
	;;#ASMEND
	ds_store_2addr_b32 v29, v5, v42 offset1:2
	ds_store_b16 v9, v30 offset:1028
	ds_store_b16 v9, v41 offset:1036
.LBB465_140:
	s_or_b32 exec_lo, exec_lo, s15
	s_delay_alu instid0(SALU_CYCLE_1)
	s_and_b32 exec_lo, exec_lo, s2
	s_cbranch_execz .LBB465_142
; %bb.141:
	v_mov_b32_e32 v5, 0
	ds_store_b32 v5, v42 offset:1096
	ds_store_b16 v5, v41 offset:1100
.LBB465_142:
	s_or_b32 exec_lo, exec_lo, s22
	v_mov_b32_e32 v7, 0
	s_waitcnt lgkmcnt(0)
	s_barrier
	buffer_gl0_inv
	v_cndmask_b32_e64 v8, v32, v31, s14
	ds_load_b64 v[5:6], v7 offset:1096
	v_cndmask_b32_e64 v9, v33, v19, s14
	s_waitcnt lgkmcnt(0)
	s_barrier
	v_cmp_eq_u32_e32 vcc_lo, 0, v8
	v_cndmask_b32_e64 v8, v8, 0, s2
	buffer_gl0_inv
	v_cndmask_b32_e32 v19, 0, v6, vcc_lo
	v_cmp_eq_u32_e32 vcc_lo, 0, v25
	v_add_nc_u32_e32 v55, v5, v8
	s_delay_alu instid0(VALU_DEP_3) | instskip(NEXT) | instid1(VALU_DEP_2)
	v_add_nc_u16 v9, v19, v9
	v_add_nc_u32_e32 v51, v55, v25
	s_delay_alu instid0(VALU_DEP_2) | instskip(NEXT) | instid1(VALU_DEP_1)
	v_cndmask_b32_e64 v9, v9, v6, s2
	v_dual_cndmask_b32 v6, 0, v9 :: v_dual_add_nc_u32 v49, v51, v26
	v_and_b32_e32 v56, 0xffff, v9
	s_delay_alu instid0(VALU_DEP_2) | instskip(NEXT) | instid1(VALU_DEP_3)
	v_add_nc_u32_e32 v47, v49, v23
	v_add_nc_u16 v19, v6, v74
	s_delay_alu instid0(VALU_DEP_2) | instskip(NEXT) | instid1(VALU_DEP_2)
	v_add_nc_u32_e32 v35, v47, v24
	v_cndmask_b32_e64 v6, 0, v19, s13
	v_and_b32_e32 v52, 0xffff, v19
	s_delay_alu instid0(VALU_DEP_3) | instskip(NEXT) | instid1(VALU_DEP_3)
	v_add_nc_u32_e32 v33, v35, v21
	v_add_nc_u16 v27, v6, v73
	s_delay_alu instid0(VALU_DEP_2) | instskip(NEXT) | instid1(VALU_DEP_2)
	v_add_nc_u32_e32 v31, v33, v22
	v_cndmask_b32_e64 v6, 0, v27, s12
	v_and_b32_e32 v50, 0xffff, v27
	s_delay_alu instid0(VALU_DEP_3) | instskip(NEXT) | instid1(VALU_DEP_3)
	;; [unrolled: 7-line block ×4, first 2 shown]
	v_add_nc_u32_e32 v39, v43, v13
	v_add_nc_u16 v30, v6, v72
	s_delay_alu instid0(VALU_DEP_2) | instskip(NEXT) | instid1(VALU_DEP_2)
	v_add_nc_u32_e32 v41, v39, v14
	v_cndmask_b32_e64 v6, 0, v30, s9
	s_delay_alu instid0(VALU_DEP_2) | instskip(NEXT) | instid1(VALU_DEP_2)
	v_add_nc_u32_e32 v37, v41, v62
	v_add_nc_u16 v32, v6, v69
	s_delay_alu instid0(VALU_DEP_2) | instskip(NEXT) | instid1(VALU_DEP_2)
	v_add_nc_u32_e32 v29, v37, v20
	v_cndmask_b32_e64 v5, 0, v32, s8
	v_and_b32_e32 v32, 0xffff, v32
	s_delay_alu instid0(VALU_DEP_2) | instskip(NEXT) | instid1(VALU_DEP_1)
	v_add_nc_u16 v38, v5, v70
	v_cndmask_b32_e64 v5, 0, v38, s7
	v_and_b32_e32 v54, 0xffff, v38
	s_delay_alu instid0(VALU_DEP_2) | instskip(NEXT) | instid1(VALU_DEP_1)
	v_add_nc_u16 v40, v5, v67
	;; [unrolled: 4-line block ×3, first 2 shown]
	v_cndmask_b32_e64 v5, 0, v42, s5
	v_and_b32_e32 v46, 0xffff, v42
	s_delay_alu instid0(VALU_DEP_2) | instskip(SKIP_3) | instid1(VALU_DEP_2)
	v_add_nc_u16 v44, v5, v66
	ds_load_b128 v[5:8], v7 offset:1024
	v_cndmask_b32_e64 v34, 0, v44, s4
	v_and_b32_e32 v44, 0xffff, v44
	v_add_nc_u16 v81, v34, v65
	s_delay_alu instid0(VALU_DEP_1) | instskip(SKIP_1) | instid1(VALU_DEP_2)
	v_cndmask_b32_e64 v34, 0, v81, s3
	v_and_b32_e32 v40, 0xffff, v81
	v_add_nc_u16 v82, v34, v64
	s_waitcnt lgkmcnt(0)
	v_cmp_eq_u32_e32 vcc_lo, 0, v5
	s_delay_alu instid0(VALU_DEP_2) | instskip(SKIP_2) | instid1(VALU_DEP_3)
	v_cndmask_b32_e64 v34, 0, v82, s1
	v_cndmask_b32_e32 v8, 0, v8, vcc_lo
	v_and_b32_e32 v42, 0xffff, v82
	v_add_nc_u16 v9, v34, v60
	v_and_b32_e32 v34, 0xffff, v30
	s_delay_alu instid0(VALU_DEP_2) | instskip(SKIP_1) | instid1(VALU_DEP_2)
	v_cndmask_b32_e64 v19, 0, v9, s0
	v_and_b32_e32 v38, 0xffff, v9
	v_add_nc_u16 v19, v19, v59
	s_delay_alu instid0(VALU_DEP_1)
	v_and_b32_e32 v30, 0xffff, v19
	v_add_nc_u32_e32 v19, v8, v6
	s_branch .LBB465_155
.LBB465_143:
                                        ; implicit-def: $vgpr5
                                        ; implicit-def: $vgpr19
                                        ; implicit-def: $vgpr55_vgpr56
                                        ; implicit-def: $vgpr51_vgpr52
                                        ; implicit-def: $vgpr49_vgpr50
                                        ; implicit-def: $vgpr47_vgpr48
                                        ; implicit-def: $vgpr35_vgpr36
                                        ; implicit-def: $vgpr33_vgpr34
                                        ; implicit-def: $vgpr31_vgpr32
                                        ; implicit-def: $vgpr53_vgpr54
                                        ; implicit-def: $vgpr57_vgpr58
                                        ; implicit-def: $vgpr45_vgpr46
                                        ; implicit-def: $vgpr43_vgpr44
                                        ; implicit-def: $vgpr39_vgpr40
                                        ; implicit-def: $vgpr41_vgpr42
                                        ; implicit-def: $vgpr37_vgpr38
                                        ; implicit-def: $vgpr29_vgpr30
	s_cbranch_execz .LBB465_155
; %bb.144:
	s_and_b32 s0, s16, exec_lo
	v_mov_b32_e32 v6, v74
	s_cselect_b32 s1, 0, s35
	s_cselect_b32 s0, 0, s34
	s_delay_alu instid0(SALU_CYCLE_1)
	s_cmp_eq_u64 s[0:1], 0
	s_cbranch_scc1 .LBB465_146
; %bb.145:
	v_mov_b32_e32 v5, 0
	global_load_u16 v6, v5, s[0:1]
.LBB465_146:
	v_cmp_eq_u32_e64 s12, 0, v26
	v_cmp_eq_u32_e64 s11, 0, v23
	;; [unrolled: 1-line block ×5, first 2 shown]
	v_cndmask_b32_e64 v5, 0, v74, s12
	v_cmp_eq_u32_e64 s8, 0, v17
	v_cmp_eq_u32_e64 s6, 0, v18
	;; [unrolled: 1-line block ×4, first 2 shown]
	v_add_nc_u16 v5, v5, v73
	v_cmp_eq_u32_e64 s3, 0, v13
	v_cmp_eq_u32_e64 s1, 0, v14
	;; [unrolled: 1-line block ×3, first 2 shown]
	v_cmp_eq_u32_e32 vcc_lo, 0, v20
	v_cndmask_b32_e64 v5, 0, v5, s11
	v_add3_u32 v7, v80, v22, v17
	v_cmp_eq_u32_e64 s13, 0, v61
	v_and_b32_e32 v19, 15, v77
	s_delay_alu instid0(VALU_DEP_4) | instskip(NEXT) | instid1(VALU_DEP_4)
	v_add_nc_u16 v5, v5, v75
	v_add3_u32 v7, v7, v18, v15
	s_delay_alu instid0(VALU_DEP_2) | instskip(NEXT) | instid1(VALU_DEP_2)
	v_cndmask_b32_e64 v5, 0, v5, s10
	v_add3_u32 v7, v7, v16, v13
	s_delay_alu instid0(VALU_DEP_2) | instskip(NEXT) | instid1(VALU_DEP_2)
	v_add_nc_u16 v5, v5, v71
	v_add3_u32 v7, v7, v14, v62
	s_delay_alu instid0(VALU_DEP_2) | instskip(NEXT) | instid1(VALU_DEP_2)
	v_cndmask_b32_e64 v5, 0, v5, s9
	v_add3_u32 v7, v7, v20, v61
	s_delay_alu instid0(VALU_DEP_2) | instskip(NEXT) | instid1(VALU_DEP_2)
	v_add_nc_u16 v5, v5, v72
	v_mov_b32_dpp v27, v7 row_shr:1 row_mask:0xf bank_mask:0xf
	s_delay_alu instid0(VALU_DEP_2) | instskip(NEXT) | instid1(VALU_DEP_1)
	v_cndmask_b32_e64 v5, 0, v5, s7
	v_add_nc_u16 v5, v5, v69
	s_delay_alu instid0(VALU_DEP_1) | instskip(NEXT) | instid1(VALU_DEP_1)
	v_cndmask_b32_e64 v5, 0, v5, s8
	v_add_nc_u16 v5, v5, v70
	s_delay_alu instid0(VALU_DEP_1) | instskip(NEXT) | instid1(VALU_DEP_1)
	;; [unrolled: 3-line block ×8, first 2 shown]
	v_cndmask_b32_e32 v5, 0, v5, vcc_lo
	v_add_nc_u16 v5, v5, v59
	s_delay_alu instid0(VALU_DEP_1) | instskip(SKIP_1) | instid1(VALU_DEP_2)
	v_cndmask_b32_e64 v5, 0, v5, s13
	v_cmp_eq_u32_e64 s13, 0, v7
	v_add_nc_u16 v5, v5, v76
	s_waitcnt lgkmcnt(0)
	s_delay_alu instid0(VALU_DEP_1) | instskip(NEXT) | instid1(VALU_DEP_1)
	v_and_b32_e32 v8, 0xffff, v5
	v_mov_b32_dpp v9, v8 row_shr:1 row_mask:0xf bank_mask:0xf
	s_delay_alu instid0(VALU_DEP_1) | instskip(SKIP_1) | instid1(VALU_DEP_2)
	v_cndmask_b32_e64 v9, 0, v9, s13
	v_cmp_eq_u32_e64 s13, 0, v19
	v_add_nc_u16 v9, v9, v5
	s_delay_alu instid0(VALU_DEP_2) | instskip(NEXT) | instid1(VALU_DEP_2)
	v_cndmask_b32_e64 v27, v27, 0, s13
	v_and_b32_e32 v28, 0xffff, v9
	s_delay_alu instid0(VALU_DEP_2) | instskip(SKIP_1) | instid1(VALU_DEP_3)
	v_add_nc_u32_e32 v7, v27, v7
	v_cndmask_b32_e64 v5, v9, v5, s13
	v_cndmask_b32_e64 v8, v28, v8, s13
	s_delay_alu instid0(VALU_DEP_3) | instskip(NEXT) | instid1(VALU_DEP_2)
	v_cmp_eq_u32_e64 s13, 0, v7
	v_mov_b32_dpp v27, v8 row_shr:2 row_mask:0xf bank_mask:0xf
	s_delay_alu instid0(VALU_DEP_1) | instskip(SKIP_2) | instid1(VALU_DEP_3)
	v_cndmask_b32_e64 v9, 0, v27, s13
	v_mov_b32_dpp v27, v7 row_shr:2 row_mask:0xf bank_mask:0xf
	v_cmp_lt_u32_e64 s13, 1, v19
	v_add_nc_u16 v9, v9, v5
	s_delay_alu instid0(VALU_DEP_1) | instskip(NEXT) | instid1(VALU_DEP_3)
	v_and_b32_e32 v28, 0xffff, v9
	v_cndmask_b32_e64 v5, v5, v9, s13
	v_cndmask_b32_e64 v9, 0, v27, s13
	s_delay_alu instid0(VALU_DEP_3) | instskip(NEXT) | instid1(VALU_DEP_2)
	v_cndmask_b32_e64 v8, v8, v28, s13
	v_add_nc_u32_e32 v7, v7, v9
	s_delay_alu instid0(VALU_DEP_2) | instskip(NEXT) | instid1(VALU_DEP_2)
	v_mov_b32_dpp v9, v8 row_shr:4 row_mask:0xf bank_mask:0xf
	v_cmp_eq_u32_e64 s13, 0, v7
	v_mov_b32_dpp v27, v7 row_shr:4 row_mask:0xf bank_mask:0xf
	s_delay_alu instid0(VALU_DEP_2) | instskip(SKIP_1) | instid1(VALU_DEP_2)
	v_cndmask_b32_e64 v9, 0, v9, s13
	v_cmp_lt_u32_e64 s13, 3, v19
	v_add_nc_u16 v9, v9, v5
	s_delay_alu instid0(VALU_DEP_1) | instskip(NEXT) | instid1(VALU_DEP_3)
	v_and_b32_e32 v28, 0xffff, v9
	v_cndmask_b32_e64 v5, v5, v9, s13
	v_cndmask_b32_e64 v9, 0, v27, s13
	s_delay_alu instid0(VALU_DEP_3) | instskip(NEXT) | instid1(VALU_DEP_2)
	v_cndmask_b32_e64 v8, v8, v28, s13
	v_add_nc_u32_e32 v7, v9, v7
	s_delay_alu instid0(VALU_DEP_2) | instskip(NEXT) | instid1(VALU_DEP_2)
	v_mov_b32_dpp v9, v8 row_shr:8 row_mask:0xf bank_mask:0xf
	v_cmp_eq_u32_e64 s13, 0, v7
	v_mov_b32_dpp v27, v7 row_shr:8 row_mask:0xf bank_mask:0xf
	s_delay_alu instid0(VALU_DEP_2) | instskip(SKIP_1) | instid1(VALU_DEP_2)
	v_cndmask_b32_e64 v9, 0, v9, s13
	v_cmp_lt_u32_e64 s13, 7, v19
	v_add_nc_u16 v9, v9, v5
	s_delay_alu instid0(VALU_DEP_1) | instskip(SKIP_3) | instid1(VALU_DEP_3)
	v_cndmask_b32_e64 v19, v5, v9, s13
	v_cndmask_b32_e64 v5, 0, v27, s13
	v_and_b32_e32 v9, 0xffff, v9
	v_bfe_i32 v27, v77, 4, 1
	v_add_nc_u32_e32 v5, v5, v7
	s_delay_alu instid0(VALU_DEP_3)
	v_cndmask_b32_e64 v7, v8, v9, s13
	v_and_b32_e32 v9, 16, v77
	ds_swizzle_b32 v8, v5 offset:swizzle(BROADCAST,32,15)
	ds_swizzle_b32 v7, v7 offset:swizzle(BROADCAST,32,15)
	v_cmp_ne_u32_e64 s13, 0, v9
	v_cmp_eq_u32_e64 s14, 0, v5
	v_lshlrev_b32_e32 v9, 3, v78
	s_delay_alu instid0(VALU_DEP_2)
	s_and_b32 s13, s13, s14
	s_mov_b32 s14, exec_lo
	s_waitcnt lgkmcnt(1)
	v_and_b32_e32 v8, v27, v8
	s_waitcnt lgkmcnt(0)
	v_cndmask_b32_e64 v7, 0, v7, s13
	s_delay_alu instid0(VALU_DEP_2) | instskip(NEXT) | instid1(VALU_DEP_2)
	v_add_nc_u32_e32 v5, v8, v5
	v_add_nc_u16 v8, v7, v19
	v_cmpx_eq_u32_e64 v79, v0
	s_cbranch_execz .LBB465_148
; %bb.147:
	ds_store_b32 v9, v5 offset:1040
	ds_store_b16 v9, v8 offset:1044
.LBB465_148:
	s_or_b32 exec_lo, exec_lo, s14
	s_delay_alu instid0(SALU_CYCLE_1)
	s_mov_b32 s15, exec_lo
	s_waitcnt vmcnt(0) lgkmcnt(0)
	s_barrier
	buffer_gl0_inv
	v_cmpx_gt_u32_e32 8, v0
	s_cbranch_execz .LBB465_150
; %bb.149:
	v_lshlrev_b32_e32 v7, 3, v0
	v_and_b32_e32 v31, 7, v77
	ds_load_b64 v[27:28], v7 offset:1040
	v_cmp_lt_u32_e64 s14, 3, v31
	s_waitcnt lgkmcnt(0)
	v_mov_b32_dpp v19, v28 row_shr:1 row_mask:0xf bank_mask:0xf
	v_cmp_eq_u32_e64 s13, 0, v27
	v_and_b32_e32 v29, 0xffff0000, v28
	v_mov_b32_dpp v32, v27 row_shr:1 row_mask:0xf bank_mask:0xf
	s_delay_alu instid0(VALU_DEP_3) | instskip(SKIP_1) | instid1(VALU_DEP_2)
	v_cndmask_b32_e64 v19, 0, v19, s13
	v_cmp_eq_u32_e64 s13, 0, v31
	v_add_nc_u16 v19, v19, v28
	s_delay_alu instid0(VALU_DEP_2) | instskip(NEXT) | instid1(VALU_DEP_2)
	v_cndmask_b32_e64 v32, v32, 0, s13
	v_and_b32_e32 v30, 0xffff, v19
	s_delay_alu instid0(VALU_DEP_2) | instskip(SKIP_1) | instid1(VALU_DEP_3)
	v_add_nc_u32_e32 v27, v32, v27
	v_cndmask_b32_e64 v19, v19, v28, s13
	v_or_b32_e32 v30, v29, v30
	s_delay_alu instid0(VALU_DEP_1) | instskip(NEXT) | instid1(VALU_DEP_4)
	v_cndmask_b32_e64 v30, v30, v28, s13
	v_cmp_eq_u32_e64 s13, 0, v27
	s_delay_alu instid0(VALU_DEP_2) | instskip(NEXT) | instid1(VALU_DEP_1)
	v_mov_b32_dpp v32, v30 row_shr:2 row_mask:0xf bank_mask:0xf
	v_cndmask_b32_e64 v28, 0, v32, s13
	v_mov_b32_dpp v32, v27 row_shr:2 row_mask:0xf bank_mask:0xf
	v_cmp_lt_u32_e64 s13, 1, v31
	s_delay_alu instid0(VALU_DEP_3) | instskip(NEXT) | instid1(VALU_DEP_1)
	v_add_nc_u16 v28, v28, v19
	v_and_b32_e32 v33, 0xffff, v28
	s_delay_alu instid0(VALU_DEP_3) | instskip(SKIP_1) | instid1(VALU_DEP_3)
	v_cndmask_b32_e64 v19, v19, v28, s13
	v_cndmask_b32_e64 v28, 0, v32, s13
	v_or_b32_e32 v29, v29, v33
	s_delay_alu instid0(VALU_DEP_2) | instskip(NEXT) | instid1(VALU_DEP_2)
	v_add_nc_u32_e32 v27, v28, v27
	v_cndmask_b32_e64 v28, v30, v29, s13
	s_delay_alu instid0(VALU_DEP_2) | instskip(SKIP_1) | instid1(VALU_DEP_3)
	v_cmp_eq_u32_e64 s13, 0, v27
	v_mov_b32_dpp v29, v27 row_shr:4 row_mask:0xf bank_mask:0xf
	v_mov_b32_dpp v28, v28 row_shr:4 row_mask:0xf bank_mask:0xf
	s_delay_alu instid0(VALU_DEP_3) | instskip(NEXT) | instid1(VALU_DEP_2)
	s_and_b32 s13, s14, s13
	v_cndmask_b32_e64 v29, 0, v29, s14
	s_delay_alu instid0(VALU_DEP_2) | instskip(NEXT) | instid1(VALU_DEP_2)
	v_cndmask_b32_e64 v28, 0, v28, s13
	v_add_nc_u32_e32 v27, v29, v27
	s_delay_alu instid0(VALU_DEP_2)
	v_add_nc_u16 v19, v19, v28
	ds_store_b32 v7, v27 offset:1040
	ds_store_b16 v7, v19 offset:1044
.LBB465_150:
	s_or_b32 exec_lo, exec_lo, s15
	v_mov_b32_e32 v7, 0
	v_mov_b32_e32 v19, 0
	;; [unrolled: 1-line block ×3, first 2 shown]
	s_mov_b32 s14, exec_lo
	s_waitcnt lgkmcnt(0)
	s_barrier
	buffer_gl0_inv
	v_cmpx_lt_u32_e32 31, v0
	s_cbranch_execz .LBB465_152
; %bb.151:
	ds_load_b32 v19, v9 offset:1032
	ds_load_u16 v9, v9 offset:1036
	s_waitcnt lgkmcnt(1)
	v_cmp_eq_u32_e64 s13, 0, v19
	s_delay_alu instid0(VALU_DEP_1) | instskip(SKIP_1) | instid1(VALU_DEP_1)
	v_cndmask_b32_e64 v27, 0, v6, s13
	s_waitcnt lgkmcnt(0)
	v_add_nc_u16 v27, v27, v9
.LBB465_152:
	s_or_b32 exec_lo, exec_lo, s14
	v_add_nc_u32_e32 v9, -1, v77
	v_cmp_eq_u32_e64 s13, 0, v5
	v_add_nc_u32_e32 v5, v19, v5
	s_delay_alu instid0(VALU_DEP_2) | instskip(NEXT) | instid1(VALU_DEP_4)
	v_cndmask_b32_e64 v28, 0, v27, s13
	v_cmp_gt_i32_e64 s13, 0, v9
	s_delay_alu instid0(VALU_DEP_2) | instskip(NEXT) | instid1(VALU_DEP_2)
	v_add_nc_u16 v8, v28, v8
	v_cndmask_b32_e64 v9, v9, v77, s13
	v_cmp_eq_u32_e64 s13, 0, v77
	s_delay_alu instid0(VALU_DEP_3) | instskip(NEXT) | instid1(VALU_DEP_3)
	v_and_b32_e32 v8, 0xffff, v8
	v_lshlrev_b32_e32 v9, 2, v9
	ds_bpermute_b32 v8, v9, v8
	ds_bpermute_b32 v5, v9, v5
	s_waitcnt lgkmcnt(1)
	v_cndmask_b32_e64 v8, v8, v27, s13
	s_waitcnt lgkmcnt(0)
	v_cndmask_b32_e64 v5, v5, v19, s13
	v_cmp_eq_u32_e64 s13, 0, v25
	s_delay_alu instid0(VALU_DEP_3) | instskip(NEXT) | instid1(VALU_DEP_3)
	v_cndmask_b32_e64 v8, v8, v6, s2
	v_cndmask_b32_e64 v55, v5, 0, s2
	s_delay_alu instid0(VALU_DEP_2) | instskip(NEXT) | instid1(VALU_DEP_2)
	v_cndmask_b32_e64 v9, 0, v8, s13
	v_add_nc_u32_e32 v51, v55, v25
	v_and_b32_e32 v56, 0xffff, v8
	s_delay_alu instid0(VALU_DEP_3) | instskip(NEXT) | instid1(VALU_DEP_3)
	v_add_nc_u16 v9, v9, v74
	v_add_nc_u32_e32 v49, v51, v26
	s_delay_alu instid0(VALU_DEP_2) | instskip(NEXT) | instid1(VALU_DEP_2)
	v_cndmask_b32_e64 v19, 0, v9, s12
	v_add_nc_u32_e32 v47, v49, v23
	s_delay_alu instid0(VALU_DEP_2) | instskip(NEXT) | instid1(VALU_DEP_2)
	v_add_nc_u16 v19, v19, v73
	v_add_nc_u32_e32 v35, v47, v24
	s_delay_alu instid0(VALU_DEP_2) | instskip(NEXT) | instid1(VALU_DEP_2)
	v_cndmask_b32_e64 v27, 0, v19, s11
	v_add_nc_u32_e32 v33, v35, v21
	v_and_b32_e32 v50, 0xffff, v19
	s_delay_alu instid0(VALU_DEP_3) | instskip(NEXT) | instid1(VALU_DEP_1)
	v_add_nc_u16 v27, v27, v75
	v_cndmask_b32_e64 v28, 0, v27, s10
	v_and_b32_e32 v48, 0xffff, v27
	s_delay_alu instid0(VALU_DEP_2) | instskip(NEXT) | instid1(VALU_DEP_1)
	v_add_nc_u16 v28, v28, v71
	v_cndmask_b32_e64 v29, 0, v28, s9
	v_and_b32_e32 v36, 0xffff, v28
	s_delay_alu instid0(VALU_DEP_2) | instskip(NEXT) | instid1(VALU_DEP_1)
	;; [unrolled: 4-line block ×3, first 2 shown]
	v_add_nc_u16 v30, v30, v69
	v_cndmask_b32_e64 v31, 0, v30, s8
	s_delay_alu instid0(VALU_DEP_1) | instskip(SKIP_1) | instid1(VALU_DEP_2)
	v_add_nc_u16 v38, v31, v70
	v_add_nc_u32_e32 v31, v33, v22
	v_cndmask_b32_e64 v5, 0, v38, s6
	s_delay_alu instid0(VALU_DEP_2) | instskip(SKIP_1) | instid1(VALU_DEP_3)
	v_add_nc_u32_e32 v53, v31, v17
	v_and_b32_e32 v54, 0xffff, v38
	v_add_nc_u16 v40, v5, v67
	s_delay_alu instid0(VALU_DEP_3) | instskip(NEXT) | instid1(VALU_DEP_2)
	v_add_nc_u32_e32 v57, v53, v18
	v_cndmask_b32_e64 v5, 0, v40, s5
	s_delay_alu instid0(VALU_DEP_2) | instskip(SKIP_1) | instid1(VALU_DEP_3)
	v_add_nc_u32_e32 v45, v57, v15
	v_and_b32_e32 v58, 0xffff, v40
	v_add_nc_u16 v42, v5, v68
	s_delay_alu instid0(VALU_DEP_3) | instskip(NEXT) | instid1(VALU_DEP_2)
	v_add_nc_u32_e32 v43, v45, v16
	v_cndmask_b32_e64 v5, 0, v42, s4
	s_delay_alu instid0(VALU_DEP_2) | instskip(SKIP_1) | instid1(VALU_DEP_3)
	v_add_nc_u32_e32 v39, v43, v13
	v_and_b32_e32 v46, 0xffff, v42
	v_add_nc_u16 v44, v5, v66
	ds_load_b32 v5, v7 offset:1096
	ds_load_u16 v7, v7 offset:1100
	v_add_nc_u32_e32 v41, v39, v14
	v_cndmask_b32_e64 v32, 0, v44, s3
	v_and_b32_e32 v44, 0xffff, v44
	s_delay_alu instid0(VALU_DEP_3) | instskip(NEXT) | instid1(VALU_DEP_3)
	v_add_nc_u32_e32 v37, v41, v62
	v_add_nc_u16 v65, v32, v65
	s_delay_alu instid0(VALU_DEP_2) | instskip(NEXT) | instid1(VALU_DEP_2)
	v_add_nc_u32_e32 v29, v37, v20
	v_cndmask_b32_e64 v32, 0, v65, s1
	v_and_b32_e32 v40, 0xffff, v65
	s_delay_alu instid0(VALU_DEP_2) | instskip(SKIP_3) | instid1(VALU_DEP_3)
	v_add_nc_u16 v64, v32, v64
	s_waitcnt lgkmcnt(1)
	v_cmp_eq_u32_e64 s1, 0, v5
	v_and_b32_e32 v32, 0xffff, v30
	v_cndmask_b32_e64 v8, 0, v64, s0
	s_delay_alu instid0(VALU_DEP_3) | instskip(SKIP_1) | instid1(VALU_DEP_3)
	v_cndmask_b32_e64 v6, 0, v6, s1
	v_and_b32_e32 v42, 0xffff, v64
	v_add_nc_u16 v8, v8, v60
	v_and_b32_e32 v52, 0xffff, v9
	s_waitcnt lgkmcnt(0)
	v_add_nc_u16 v19, v6, v7
	s_delay_alu instid0(VALU_DEP_3) | instskip(SKIP_1) | instid1(VALU_DEP_2)
	v_cndmask_b32_e32 v9, 0, v8, vcc_lo
	v_and_b32_e32 v38, 0xffff, v8
	v_add_nc_u16 v9, v9, v59
	s_delay_alu instid0(VALU_DEP_1)
	v_and_b32_e32 v30, 0xffff, v9
	s_and_saveexec_b32 s0, s2
	s_cbranch_execz .LBB465_154
; %bb.153:
	v_and_b32_e32 v6, 0xff00, v19
	v_dual_mov_b32 v8, 0 :: v_dual_and_b32 v7, 0xff, v19
	s_add_u32 s4, s20, 0x200
	s_addc_u32 s5, s21, 0
	s_delay_alu instid0(VALU_DEP_1)
	v_or_b32_e32 v6, v6, v7
	v_dual_mov_b32 v7, 2 :: v_dual_mov_b32 v28, s5
	v_mov_b32_e32 v27, s4
	;;#ASMSTART
	global_store_dwordx4 v[27:28], v[5:8] off	
s_waitcnt vmcnt(0)
	;;#ASMEND
.LBB465_154:
	s_or_b32 exec_lo, exec_lo, s0
	v_mov_b32_e32 v7, 0
.LBB465_155:
	v_mov_b32_e32 v27, 0
	s_and_b32 s0, s16, exec_lo
	v_mov_b32_e32 v28, 0
	s_cselect_b32 s1, 0, s39
	s_cselect_b32 s0, 0, s38
	s_waitcnt lgkmcnt(0)
	s_cmp_eq_u64 s[0:1], 0
	s_barrier
	buffer_gl0_inv
	s_cbranch_scc1 .LBB465_157
; %bb.156:
	v_mov_b32_e32 v6, 0
	global_load_b64 v[27:28], v6, s[0:1]
.LBB465_157:
	v_cmp_eq_u32_e32 vcc_lo, 0, v25
	s_waitcnt vmcnt(0)
	v_lshlrev_b64 v[59:60], 1, v[27:28]
	v_cmp_ne_u32_e64 s15, 0, v25
	v_cmp_ne_u32_e64 s14, 0, v26
	;; [unrolled: 1-line block ×3, first 2 shown]
	v_cndmask_b32_e64 v6, 1, 2, vcc_lo
	v_cmp_eq_u32_e32 vcc_lo, 0, v26
	v_cmp_ne_u32_e64 s12, 0, v24
	v_cmp_ne_u32_e64 s11, 0, v21
	;; [unrolled: 1-line block ×4, first 2 shown]
	v_cndmask_b32_e64 v8, 1, 2, vcc_lo
	v_cmp_eq_u32_e32 vcc_lo, 0, v23
	v_cmp_ne_u32_e64 s6, 0, v18
	v_cmp_ne_u32_e64 s9, 0, v15
	;; [unrolled: 1-line block ×3, first 2 shown]
	v_and_b32_e32 v6, v8, v6
	v_cndmask_b32_e64 v9, 1, 2, vcc_lo
	v_cmp_eq_u32_e32 vcc_lo, 0, v24
	v_cmp_ne_u32_e64 s5, 0, v13
	v_cmp_ne_u32_e64 s4, 0, v14
	;; [unrolled: 1-line block ×3, first 2 shown]
	v_and_b32_e32 v6, v6, v9
	v_cndmask_b32_e64 v8, 1, 2, vcc_lo
	v_cmp_eq_u32_e32 vcc_lo, 0, v21
	v_cmp_ne_u32_e64 s1, 0, v20
	v_cmp_ne_u32_e64 s0, 0, v61
	s_delay_alu instid0(VALU_DEP_4) | instskip(SKIP_2) | instid1(VALU_DEP_2)
	v_and_b32_e32 v6, v6, v8
	v_cndmask_b32_e64 v9, 1, 2, vcc_lo
	v_cmp_eq_u32_e32 vcc_lo, 0, v22
	v_and_b32_e32 v6, v6, v9
	v_cndmask_b32_e64 v8, 1, 2, vcc_lo
	v_cmp_eq_u32_e32 vcc_lo, 0, v17
	s_delay_alu instid0(VALU_DEP_2) | instskip(SKIP_2) | instid1(VALU_DEP_2)
	v_and_b32_e32 v6, v6, v8
	v_cndmask_b32_e64 v9, 1, 2, vcc_lo
	v_cmp_eq_u32_e32 vcc_lo, 0, v18
	v_and_b32_e32 v6, v6, v9
	v_cndmask_b32_e64 v64, 1, 2, vcc_lo
	v_cmp_eq_u32_e32 vcc_lo, 0, v15
	s_delay_alu instid0(VALU_DEP_2) | instskip(SKIP_2) | instid1(VALU_DEP_2)
	;; [unrolled: 7-line block ×3, first 2 shown]
	v_and_b32_e32 v6, v6, v64
	v_cndmask_b32_e64 v9, 1, 2, vcc_lo
	v_cmp_eq_u32_e32 vcc_lo, 0, v14
	v_and_b32_e32 v6, v6, v9
	v_cndmask_b32_e64 v64, 1, 2, vcc_lo
	v_cmp_eq_u32_e32 vcc_lo, 0, v62
	s_delay_alu instid0(VALU_DEP_2) | instskip(SKIP_3) | instid1(VALU_DEP_3)
	v_and_b32_e32 v6, v6, v64
	v_cndmask_b32_e64 v65, 1, 2, vcc_lo
	v_mov_b32_e32 v8, 0
	v_cmp_eq_u32_e32 vcc_lo, 0, v20
	v_and_b32_e32 v65, v6, v65
	s_delay_alu instid0(VALU_DEP_3) | instskip(SKIP_3) | instid1(VALU_DEP_3)
	v_lshlrev_b64 v[8:9], 1, v[7:8]
	v_cndmask_b32_e64 v66, 1, 2, vcc_lo
	v_add_co_u32 v64, vcc_lo, s18, v59
	v_add_co_ci_u32_e32 v67, vcc_lo, s19, v60, vcc_lo
	v_and_b32_e32 v65, v65, v66
	s_delay_alu instid0(VALU_DEP_3) | instskip(NEXT) | instid1(VALU_DEP_3)
	v_add_co_u32 v6, vcc_lo, v64, v8
	v_add_co_ci_u32_e32 v64, vcc_lo, v67, v9, vcc_lo
	v_cmp_eq_u32_e32 vcc_lo, 0, v61
	s_mov_b32 s18, -1
	v_cndmask_b32_e64 v66, 1, 2, vcc_lo
	v_cmp_gt_u32_e32 vcc_lo, 0x100, v5
	s_delay_alu instid0(VALU_DEP_2) | instskip(NEXT) | instid1(VALU_DEP_1)
	v_and_b32_e32 v65, v65, v66
	v_cmp_gt_i16_e64 s16, 2, v65
	s_cbranch_vccz .LBB465_164
; %bb.158:
	s_delay_alu instid0(VALU_DEP_1)
	s_and_saveexec_b32 s18, s16
	s_cbranch_execz .LBB465_163
; %bb.159:
	s_mov_b32 s19, 0
	s_mov_b32 s16, exec_lo
	v_cmpx_ne_u16_e32 1, v65
	s_xor_b32 s16, exec_lo, s16
	s_cbranch_execnz .LBB465_253
; %bb.160:
	s_and_not1_saveexec_b32 s16, s16
	s_cbranch_execnz .LBB465_269
.LBB465_161:
	s_or_b32 exec_lo, exec_lo, s16
	s_delay_alu instid0(SALU_CYCLE_1)
	s_and_b32 exec_lo, exec_lo, s19
	s_cbranch_execz .LBB465_163
.LBB465_162:
	v_sub_nc_u32_e32 v66, v29, v7
	v_mov_b32_e32 v67, 0
	s_delay_alu instid0(VALU_DEP_1) | instskip(NEXT) | instid1(VALU_DEP_1)
	v_lshlrev_b64 v[66:67], 1, v[66:67]
	v_add_co_u32 v66, vcc_lo, v6, v66
	s_delay_alu instid0(VALU_DEP_2)
	v_add_co_ci_u32_e32 v67, vcc_lo, v64, v67, vcc_lo
	global_store_d16_hi_b16 v[66:67], v12, off
.LBB465_163:
	s_or_b32 exec_lo, exec_lo, s18
	s_mov_b32 s18, 0
.LBB465_164:
	s_delay_alu instid0(SALU_CYCLE_1)
	s_and_b32 vcc_lo, exec_lo, s18
	s_cbranch_vccz .LBB465_186
; %bb.165:
	s_mov_b32 s16, exec_lo
	v_cmpx_gt_i16_e32 2, v65
	s_cbranch_execz .LBB465_170
; %bb.166:
	s_mov_b32 s19, 0
	s_mov_b32 s18, exec_lo
	v_cmpx_ne_u16_e32 1, v65
	s_xor_b32 s18, exec_lo, s18
	s_cbranch_execnz .LBB465_270
; %bb.167:
	s_and_not1_saveexec_b32 s0, s18
	s_cbranch_execnz .LBB465_286
.LBB465_168:
	s_or_b32 exec_lo, exec_lo, s0
	s_delay_alu instid0(SALU_CYCLE_1)
	s_and_b32 exec_lo, exec_lo, s19
	s_cbranch_execz .LBB465_170
.LBB465_169:
	v_sub_nc_u32_e32 v1, v29, v7
	s_delay_alu instid0(VALU_DEP_1)
	v_lshlrev_b32_e32 v1, 1, v1
	ds_store_b16_d16_hi v1, v12
.LBB465_170:
	s_or_b32 exec_lo, exec_lo, s16
	s_delay_alu instid0(SALU_CYCLE_1)
	s_mov_b32 s1, exec_lo
	s_waitcnt lgkmcnt(0)
	s_waitcnt_vscnt null, 0x0
	s_barrier
	buffer_gl0_inv
	v_cmpx_lt_u32_e64 v0, v5
	s_cbranch_execz .LBB465_185
; %bb.171:
	v_xad_u32 v2, v0, -1, v5
	v_mov_b32_e32 v1, v0
	s_mov_b32 s0, -1
	s_mov_b32 s4, exec_lo
	s_delay_alu instid0(VALU_DEP_2)
	v_cmp_gt_u32_e64 s3, 0x1900, v2
	v_cmpx_lt_u32_e32 0x18ff, v2
	s_cbranch_execz .LBB465_182
; %bb.172:
	v_sub_nc_u32_e32 v1, v0, v5
	s_delay_alu instid0(VALU_DEP_1) | instskip(NEXT) | instid1(VALU_DEP_1)
	v_or_b32_e32 v1, 0xff, v1
	v_cmp_ge_u32_e32 vcc_lo, v1, v0
	v_mov_b32_e32 v1, v0
	s_and_saveexec_b32 s5, vcc_lo
	s_cbranch_execz .LBB465_181
; %bb.173:
	v_lshrrev_b32_e32 v4, 8, v2
	v_or_b32_e32 v1, 0x100, v0
	v_mov_b32_e32 v66, 0
	s_delay_alu instid0(VALU_DEP_3) | instskip(NEXT) | instid1(VALU_DEP_1)
	v_add_nc_u32_e32 v2, -1, v4
	v_lshrrev_b32_e32 v3, 1, v2
	v_cmp_lt_u32_e32 vcc_lo, 13, v2
	s_delay_alu instid0(VALU_DEP_2)
	v_dual_mov_b32 v3, v1 :: v_dual_add_nc_u32 v12, 1, v3
	v_mov_b32_e32 v2, v0
	s_and_saveexec_b32 s0, vcc_lo
	s_cbranch_execz .LBB465_177
; %bb.174:
	v_mov_b32_e32 v3, v1
	v_dual_mov_b32 v2, v0 :: v_dual_and_b32 v63, -8, v12
	v_lshlrev_b32_e32 v65, 1, v0
	v_mov_b32_e32 v11, 0
	s_mov_b32 s6, 0
	s_mov_b32 s7, 0
.LBB465_175:                            ; =>This Inner Loop Header: Depth=1
	v_dual_mov_b32 v10, v2 :: v_dual_add_nc_u32 v67, 0x200, v3
	s_add_i32 s7, s7, 16
	s_delay_alu instid0(SALU_CYCLE_1) | instskip(SKIP_1) | instid1(VALU_DEP_3)
	v_dual_mov_b32 v66, s7 :: v_dual_add_nc_u32 v63, -8, v63
	v_dual_mov_b32 v68, v11 :: v_dual_add_nc_u32 v69, 0x400, v3
	v_lshlrev_b64 v[81:82], 1, v[10:11]
	v_dual_mov_b32 v70, v11 :: v_dual_add_nc_u32 v71, 0x600, v3
	s_delay_alu instid0(VALU_DEP_4) | instskip(NEXT) | instid1(VALU_DEP_4)
	v_cmp_eq_u32_e32 vcc_lo, 0, v63
	v_lshlrev_b64 v[67:68], 1, v[67:68]
	v_dual_mov_b32 v72, v11 :: v_dual_add_nc_u32 v73, 0x800, v3
	s_delay_alu instid0(VALU_DEP_4)
	v_lshlrev_b64 v[69:70], 1, v[69:70]
	s_or_b32 s6, vcc_lo, s6
	v_add_co_u32 v81, vcc_lo, v6, v81
	v_dual_mov_b32 v74, v11 :: v_dual_add_nc_u32 v75, 0xa00, v3
	v_add_co_ci_u32_e32 v82, vcc_lo, v64, v82, vcc_lo
	v_lshlrev_b64 v[71:72], 1, v[71:72]
	v_add_co_u32 v67, vcc_lo, v6, v67
	v_dual_mov_b32 v76, v11 :: v_dual_add_nc_u32 v77, 0xc00, v3
	v_add_co_ci_u32_e32 v68, vcc_lo, v64, v68, vcc_lo
	v_lshlrev_b64 v[73:74], 1, v[73:74]
	;; [unrolled: 4-line block ×3, first 2 shown]
	v_add_co_u32 v71, vcc_lo, v6, v71
	v_mov_b32_e32 v80, v11
	v_dual_mov_b32 v10, v3 :: v_dual_add_nc_u32 v3, 0x1000, v3
	v_add_co_ci_u32_e32 v72, vcc_lo, v64, v72, vcc_lo
	v_lshlrev_b64 v[77:78], 1, v[77:78]
	v_add_co_u32 v73, vcc_lo, v6, v73
	ds_load_u16 v1, v65
	ds_load_u16 v87, v65 offset:512
	ds_load_u16 v88, v65 offset:1024
	;; [unrolled: 1-line block ×7, first 2 shown]
	v_add_co_ci_u32_e32 v74, vcc_lo, v64, v74, vcc_lo
	ds_load_u16 v94, v65 offset:4096
	ds_load_u16 v95, v65 offset:4608
	;; [unrolled: 1-line block ×8, first 2 shown]
	v_add_nc_u32_e32 v65, 0x2000, v65
	v_lshlrev_b64 v[79:80], 1, v[79:80]
	v_add_co_u32 v75, vcc_lo, v6, v75
	v_lshlrev_b64 v[83:84], 1, v[10:11]
	v_add_nc_u32_e32 v10, 0x200, v2
	v_add_co_ci_u32_e32 v76, vcc_lo, v64, v76, vcc_lo
	v_add_co_u32 v77, vcc_lo, v6, v77
	v_add_co_ci_u32_e32 v78, vcc_lo, v64, v78, vcc_lo
	v_add_co_u32 v79, vcc_lo, v6, v79
	v_lshlrev_b64 v[85:86], 1, v[10:11]
	v_add_nc_u32_e32 v10, 0x400, v2
	v_add_co_ci_u32_e32 v80, vcc_lo, v64, v80, vcc_lo
	v_add_co_u32 v83, vcc_lo, v6, v83
	v_add_co_ci_u32_e32 v84, vcc_lo, v64, v84, vcc_lo
	s_waitcnt lgkmcnt(15)
	global_store_b16 v[81:82], v1, off
	v_lshlrev_b64 v[81:82], 1, v[10:11]
	v_add_nc_u32_e32 v10, 0x600, v2
	v_add_co_u32 v85, vcc_lo, v6, v85
	v_add_co_ci_u32_e32 v86, vcc_lo, v64, v86, vcc_lo
	s_waitcnt lgkmcnt(14)
	global_store_b16 v[83:84], v87, off
	v_lshlrev_b64 v[83:84], 1, v[10:11]
	v_add_nc_u32_e32 v10, 0x800, v2
	s_waitcnt lgkmcnt(13)
	global_store_b16 v[85:86], v88, off
	s_waitcnt lgkmcnt(12)
	global_store_b16 v[67:68], v89, off
	v_add_co_u32 v67, vcc_lo, v6, v81
	v_add_co_ci_u32_e32 v68, vcc_lo, v64, v82, vcc_lo
	v_lshlrev_b64 v[81:82], 1, v[10:11]
	v_add_nc_u32_e32 v10, 0xa00, v2
	v_add_co_u32 v83, vcc_lo, v6, v83
	v_add_co_ci_u32_e32 v84, vcc_lo, v64, v84, vcc_lo
	s_waitcnt lgkmcnt(11)
	global_store_b16 v[67:68], v90, off
	s_waitcnt lgkmcnt(10)
	global_store_b16 v[69:70], v91, off
	v_lshlrev_b64 v[67:68], 1, v[10:11]
	v_add_nc_u32_e32 v10, 0xc00, v2
	v_add_co_u32 v69, vcc_lo, v6, v81
	s_waitcnt lgkmcnt(9)
	global_store_b16 v[83:84], v92, off
	s_waitcnt lgkmcnt(8)
	global_store_b16 v[71:72], v93, off
	v_add_co_ci_u32_e32 v70, vcc_lo, v64, v82, vcc_lo
	v_lshlrev_b64 v[71:72], 1, v[10:11]
	v_add_nc_u32_e32 v10, 0xe00, v2
	v_add_co_u32 v67, vcc_lo, v6, v67
	v_add_co_ci_u32_e32 v68, vcc_lo, v64, v68, vcc_lo
	s_waitcnt lgkmcnt(7)
	global_store_b16 v[69:70], v94, off
	s_waitcnt lgkmcnt(6)
	global_store_b16 v[73:74], v95, off
	v_lshlrev_b64 v[69:70], 1, v[10:11]
	v_add_nc_u32_e32 v2, 0x1000, v2
	s_waitcnt lgkmcnt(5)
	global_store_b16 v[67:68], v96, off
	v_add_co_u32 v67, vcc_lo, v6, v71
	v_add_co_ci_u32_e32 v68, vcc_lo, v64, v72, vcc_lo
	v_add_co_u32 v69, vcc_lo, v6, v69
	v_add_co_ci_u32_e32 v70, vcc_lo, v64, v70, vcc_lo
	s_waitcnt lgkmcnt(4)
	global_store_b16 v[75:76], v97, off
	s_waitcnt lgkmcnt(3)
	global_store_b16 v[67:68], v98, off
	;; [unrolled: 2-line block ×5, first 2 shown]
	s_and_not1_b32 exec_lo, exec_lo, s6
	s_cbranch_execnz .LBB465_175
; %bb.176:
	s_or_b32 exec_lo, exec_lo, s6
.LBB465_177:
	s_delay_alu instid0(SALU_CYCLE_1) | instskip(SKIP_3) | instid1(VALU_DEP_1)
	s_or_b32 exec_lo, exec_lo, s0
	v_and_b32_e32 v1, 7, v12
	s_mov_b32 s7, 0
	s_mov_b32 s6, exec_lo
	v_cmpx_ne_u32_e32 0, v1
	s_cbranch_execz .LBB465_180
; %bb.178:
	v_dual_mov_b32 v11, 0 :: v_dual_lshlrev_b32 v10, 1, v0
	s_delay_alu instid0(VALU_DEP_1)
	v_lshl_or_b32 v12, v66, 9, v10
	s_set_inst_prefetch_distance 0x1
	.p2align	6
.LBB465_179:                            ; =>This Inner Loop Header: Depth=1
	v_dual_mov_b32 v10, v2 :: v_dual_add_nc_u32 v1, -1, v1
	ds_load_u16 v63, v12
	ds_load_u16 v69, v12 offset:512
	v_add_nc_u32_e32 v2, 0x200, v2
	v_add_nc_u32_e32 v12, 0x400, v12
	v_lshlrev_b64 v[65:66], 1, v[10:11]
	v_dual_mov_b32 v10, v3 :: v_dual_add_nc_u32 v3, 0x200, v3
	v_cmp_eq_u32_e32 vcc_lo, 0, v1
	s_delay_alu instid0(VALU_DEP_2) | instskip(NEXT) | instid1(VALU_DEP_4)
	v_lshlrev_b64 v[67:68], 1, v[10:11]
	v_add_co_u32 v65, s0, v6, v65
	s_delay_alu instid0(VALU_DEP_1) | instskip(SKIP_1) | instid1(VALU_DEP_3)
	v_add_co_ci_u32_e64 v66, s0, v64, v66, s0
	s_or_b32 s7, vcc_lo, s7
	v_add_co_u32 v67, s0, v6, v67
	s_delay_alu instid0(VALU_DEP_1)
	v_add_co_ci_u32_e64 v68, s0, v64, v68, s0
	s_waitcnt lgkmcnt(1)
	global_store_b16 v[65:66], v63, off
	s_waitcnt lgkmcnt(0)
	global_store_b16 v[67:68], v69, off
	s_and_not1_b32 exec_lo, exec_lo, s7
	s_cbranch_execnz .LBB465_179
.LBB465_180:
	s_set_inst_prefetch_distance 0x2
	s_or_b32 exec_lo, exec_lo, s6
	v_add_nc_u32_e32 v1, 1, v4
	s_delay_alu instid0(VALU_DEP_1) | instskip(NEXT) | instid1(VALU_DEP_1)
	v_and_b32_e32 v2, 0x1fffffe, v1
	v_cmp_ne_u32_e32 vcc_lo, v1, v2
	v_lshl_or_b32 v1, v2, 8, v0
	s_or_not1_b32 s0, vcc_lo, exec_lo
.LBB465_181:
	s_or_b32 exec_lo, exec_lo, s5
	s_delay_alu instid0(SALU_CYCLE_1) | instskip(SKIP_1) | instid1(SALU_CYCLE_1)
	s_and_not1_b32 s3, s3, exec_lo
	s_and_b32 s0, s0, exec_lo
	s_or_b32 s3, s3, s0
.LBB465_182:
	s_or_b32 exec_lo, exec_lo, s4
	s_delay_alu instid0(VALU_DEP_2) | instid1(SALU_CYCLE_1)
	s_and_b32 exec_lo, exec_lo, s3
	s_cbranch_execz .LBB465_185
; %bb.183:
	v_dual_mov_b32 v2, 0 :: v_dual_lshlrev_b32 v3, 1, v1
	s_mov_b32 s3, 0
	.p2align	6
.LBB465_184:                            ; =>This Inner Loop Header: Depth=1
	ds_load_u16 v4, v3
	v_lshlrev_b64 v[10:11], 1, v[1:2]
	v_add_nc_u32_e32 v1, 0x100, v1
	v_add_nc_u32_e32 v3, 0x200, v3
	s_delay_alu instid0(VALU_DEP_2) | instskip(NEXT) | instid1(VALU_DEP_4)
	v_cmp_ge_u32_e32 vcc_lo, v1, v5
	v_add_co_u32 v10, s0, v6, v10
	s_delay_alu instid0(VALU_DEP_1)
	v_add_co_ci_u32_e64 v11, s0, v64, v11, s0
	s_or_b32 s3, vcc_lo, s3
	s_waitcnt lgkmcnt(0)
	global_store_b16 v[10:11], v4, off
	s_and_not1_b32 exec_lo, exec_lo, s3
	s_cbranch_execnz .LBB465_184
.LBB465_185:
	s_or_b32 exec_lo, exec_lo, s1
.LBB465_186:
	s_cmpk_lg_i32 s26, 0xf00
	v_cndmask_b32_e64 v2, 0, 1, s27
	s_cselect_b32 s0, -1, 0
	v_mad_i32_i24 v6, v0, -15, s26
	s_and_b32 s0, s0, s17
	s_and_b32 s1, s2, s27
	v_cndmask_b32_e64 v1, 0, 1, s0
	s_mul_hi_u32 s0, s26, 0x88888889
	v_sub_nc_u32_e32 v3, v5, v2
	s_lshr_b32 s0, s0, 3
	v_cndmask_b32_e64 v10, v25, 0, s1
	v_cmp_eq_u32_e32 vcc_lo, s0, v0
	v_cmp_ne_u32_e64 s0, 0, v6
	s_mov_b32 s16, -1
	s_waitcnt_vscnt null, 0x0
	s_barrier
	s_and_b32 vcc_lo, vcc_lo, s17
	v_add_nc_u32_e32 v4, v3, v1
	v_cndmask_b32_e64 v3, 1, v10, s0
	v_cmp_ne_u32_e64 s0, 1, v6
	buffer_gl0_inv
	v_cndmask_b32_e64 v11, 1, v26, s0
	v_cmp_ne_u32_e64 s0, 14, v6
	s_delay_alu instid0(VALU_DEP_2) | instskip(NEXT) | instid1(VALU_DEP_2)
	v_cndmask_b32_e32 v26, v26, v11, vcc_lo
	v_cndmask_b32_e64 v12, 1, v61, s0
	v_cmp_ne_u32_e64 s0, 2, v6
	s_delay_alu instid0(VALU_DEP_2) | instskip(NEXT) | instid1(VALU_DEP_2)
	v_cndmask_b32_e32 v61, v61, v12, vcc_lo
	v_cndmask_b32_e64 v25, 1, v23, s0
	v_cmp_ne_u32_e64 s0, 3, v6
	s_delay_alu instid0(VALU_DEP_2) | instskip(NEXT) | instid1(VALU_DEP_2)
	v_dual_cndmask_b32 v64, v10, v3 :: v_dual_cndmask_b32 v23, v23, v25
	v_cndmask_b32_e64 v63, 1, v24, s0
	v_cmp_ne_u32_e64 s0, 4, v6
	s_delay_alu instid0(VALU_DEP_3) | instskip(NEXT) | instid1(VALU_DEP_4)
	v_cmp_ne_u32_e64 s14, 0, v64
	v_cmp_ne_u32_e64 s12, 0, v23
	s_delay_alu instid0(VALU_DEP_3) | instskip(SKIP_1) | instid1(VALU_DEP_1)
	v_cndmask_b32_e64 v3, 1, v21, s0
	v_cmp_ne_u32_e64 s0, 5, v6
	v_cndmask_b32_e64 v10, 1, v22, s0
	v_cmp_eq_u32_e64 s0, 0, v64
	s_delay_alu instid0(VALU_DEP_2) | instskip(NEXT) | instid1(VALU_DEP_2)
	v_cndmask_b32_e32 v22, v22, v10, vcc_lo
	v_cndmask_b32_e64 v11, 1, 2, s0
	v_cmp_eq_u32_e64 s0, 0, v26
	s_delay_alu instid0(VALU_DEP_3) | instskip(NEXT) | instid1(VALU_DEP_2)
	v_cmp_ne_u32_e64 s9, 0, v22
	v_cndmask_b32_e64 v12, 1, 2, s0
	v_cmp_ne_u32_e64 s0, 6, v6
	s_delay_alu instid0(VALU_DEP_2) | instskip(NEXT) | instid1(VALU_DEP_2)
	v_and_b32_e32 v11, v12, v11
	v_cndmask_b32_e64 v25, 1, v17, s0
	v_cmp_eq_u32_e64 s0, 0, v23
	s_delay_alu instid0(VALU_DEP_2) | instskip(NEXT) | instid1(VALU_DEP_2)
	v_dual_cndmask_b32 v24, v24, v63 :: v_dual_cndmask_b32 v17, v17, v25
	v_cndmask_b32_e64 v12, 1, 2, s0
	v_cmp_ne_u32_e64 s0, 7, v6
	s_delay_alu instid0(VALU_DEP_3) | instskip(NEXT) | instid1(VALU_DEP_4)
	v_cmp_ne_u32_e64 s11, 0, v24
	v_cmp_ne_u32_e64 s8, 0, v17
	s_delay_alu instid0(VALU_DEP_4) | instskip(NEXT) | instid1(VALU_DEP_4)
	v_and_b32_e32 v11, v11, v12
	v_cndmask_b32_e64 v63, 1, v18, s0
	v_cmp_ne_u32_e64 s0, 8, v6
	v_cmp_ne_u32_e64 s13, 0, v26
	s_delay_alu instid0(VALU_DEP_2) | instskip(SKIP_1) | instid1(VALU_DEP_2)
	v_cndmask_b32_e64 v65, 1, v15, s0
	v_cmp_eq_u32_e64 s0, 0, v24
	v_cndmask_b32_e32 v15, v15, v65, vcc_lo
	s_delay_alu instid0(VALU_DEP_2) | instskip(SKIP_2) | instid1(VALU_DEP_4)
	v_cndmask_b32_e64 v12, 1, 2, s0
	v_cndmask_b32_e32 v21, v21, v3, vcc_lo
	v_cmp_ne_u32_e64 s0, 9, v6
	v_cmp_ne_u32_e64 s6, 0, v15
	s_delay_alu instid0(VALU_DEP_4) | instskip(NEXT) | instid1(VALU_DEP_4)
	v_and_b32_e32 v10, v11, v12
	v_cmp_ne_u32_e64 s10, 0, v21
	s_delay_alu instid0(VALU_DEP_4) | instskip(SKIP_1) | instid1(VALU_DEP_2)
	v_cndmask_b32_e64 v3, 1, v16, s0
	v_cmp_eq_u32_e64 s0, 0, v21
	v_cndmask_b32_e32 v16, v16, v3, vcc_lo
	s_delay_alu instid0(VALU_DEP_2) | instskip(SKIP_1) | instid1(VALU_DEP_2)
	v_cndmask_b32_e64 v11, 1, 2, s0
	v_cmp_ne_u32_e64 s0, 10, v6
	v_and_b32_e32 v10, v10, v11
	s_delay_alu instid0(VALU_DEP_2) | instskip(SKIP_1) | instid1(VALU_DEP_2)
	v_cndmask_b32_e64 v12, 1, v13, s0
	v_cmp_ne_u32_e64 s0, 12, v6
	v_dual_cndmask_b32 v18, v18, v63 :: v_dual_cndmask_b32 v13, v13, v12
	s_delay_alu instid0(VALU_DEP_2) | instskip(SKIP_1) | instid1(VALU_DEP_3)
	v_cndmask_b32_e64 v66, 1, v62, s0
	v_cmp_eq_u32_e64 s0, 0, v22
	v_cmp_ne_u32_e64 s7, 0, v18
	s_delay_alu instid0(VALU_DEP_4) | instskip(NEXT) | instid1(VALU_DEP_3)
	v_cmp_ne_u32_e64 s4, 0, v13
	v_cndmask_b32_e64 v11, 1, 2, s0
	v_cmp_ne_u32_e64 s0, 13, v6
	s_delay_alu instid0(VALU_DEP_2) | instskip(NEXT) | instid1(VALU_DEP_2)
	v_and_b32_e32 v10, v10, v11
	v_cndmask_b32_e64 v25, 1, v20, s0
	v_cmp_eq_u32_e64 s0, 0, v17
	s_delay_alu instid0(VALU_DEP_2) | instskip(NEXT) | instid1(VALU_DEP_2)
	v_dual_cndmask_b32 v20, v20, v25 :: v_dual_cndmask_b32 v25, v62, v66
	v_cndmask_b32_e64 v11, 1, 2, s0
	v_cmp_ne_u32_e64 s0, 11, v6
	s_delay_alu instid0(VALU_DEP_3) | instskip(NEXT) | instid1(VALU_DEP_4)
	v_cmp_ne_u32_e64 s1, 0, v20
	v_cmp_ne_u32_e64 s2, 0, v25
	s_delay_alu instid0(VALU_DEP_4) | instskip(NEXT) | instid1(VALU_DEP_4)
	v_and_b32_e32 v10, v10, v11
	v_cndmask_b32_e64 v6, 1, v14, s0
	v_cmp_eq_u32_e64 s0, 0, v18
	s_delay_alu instid0(VALU_DEP_2) | instskip(NEXT) | instid1(VALU_DEP_2)
	v_cndmask_b32_e32 v14, v14, v6, vcc_lo
	v_cndmask_b32_e64 v11, 1, 2, s0
	v_cmp_eq_u32_e32 vcc_lo, 0, v15
	v_cmp_ne_u32_e64 s0, 0, v61
	s_delay_alu instid0(VALU_DEP_4) | instskip(NEXT) | instid1(VALU_DEP_4)
	v_cmp_ne_u32_e64 s3, 0, v14
	v_and_b32_e32 v3, v10, v11
	v_cndmask_b32_e64 v6, 1, 2, vcc_lo
	v_add_co_u32 v10, vcc_lo, s28, v59
	v_add_co_ci_u32_e32 v11, vcc_lo, s29, v60, vcc_lo
	s_delay_alu instid0(VALU_DEP_3)
	v_and_b32_e32 v3, v3, v6
	v_cmp_eq_u32_e32 vcc_lo, 0, v16
	v_cmp_ne_u32_e64 s5, 0, v16
	v_cndmask_b32_e64 v6, 1, 2, vcc_lo
	v_add_co_u32 v10, vcc_lo, v10, v8
	v_add_co_ci_u32_e32 v11, vcc_lo, v11, v9, vcc_lo
	v_lshlrev_b32_e32 v8, 1, v2
	v_cmp_eq_u32_e32 vcc_lo, 0, v13
	v_and_b32_e32 v3, v3, v6
	v_cndmask_b32_e64 v6, 1, 2, vcc_lo
	s_delay_alu instid0(VALU_DEP_4) | instskip(SKIP_2) | instid1(VALU_DEP_4)
	v_add_co_u32 v8, vcc_lo, v8, v10
	v_add_co_ci_u32_e32 v9, vcc_lo, 0, v11, vcc_lo
	v_cmp_eq_u32_e32 vcc_lo, 0, v14
	v_and_b32_e32 v59, v3, v6
	v_add_nc_u32_e32 v3, v7, v2
	v_cndmask_b32_e64 v60, 1, 2, vcc_lo
	v_add_co_u32 v6, vcc_lo, v8, -2
	v_add_co_ci_u32_e32 v12, vcc_lo, -1, v9, vcc_lo
	v_cmp_eq_u32_e32 vcc_lo, 0, v25
	s_delay_alu instid0(VALU_DEP_4) | instskip(SKIP_2) | instid1(VALU_DEP_2)
	v_and_b32_e32 v8, v59, v60
	v_cndmask_b32_e64 v9, 1, 2, vcc_lo
	v_cmp_eq_u32_e32 vcc_lo, 0, v20
	v_and_b32_e32 v8, v8, v9
	v_cndmask_b32_e64 v9, 1, 2, vcc_lo
	v_cmp_eq_u32_e32 vcc_lo, 0, v61
	s_delay_alu instid0(VALU_DEP_2) | instskip(SKIP_2) | instid1(VALU_DEP_2)
	v_and_b32_e32 v8, v8, v9
	v_cndmask_b32_e64 v9, 1, 2, vcc_lo
	v_cmp_gt_u32_e32 vcc_lo, 0x100, v4
	v_and_b32_e32 v8, v8, v9
	s_delay_alu instid0(VALU_DEP_1)
	v_cmp_gt_i16_e64 s15, 2, v8
	s_cbranch_vccnz .LBB465_190
; %bb.187:
	s_and_b32 vcc_lo, exec_lo, s16
	s_cbranch_vccnz .LBB465_196
.LBB465_188:
	v_cmp_eq_u32_e32 vcc_lo, 0xff, v0
	s_and_b32 s0, vcc_lo, s17
	s_delay_alu instid0(SALU_CYCLE_1)
	s_and_saveexec_b32 s1, s0
	s_cbranch_execnz .LBB465_217
.LBB465_189:
	s_nop 0
	s_sendmsg sendmsg(MSG_DEALLOC_VGPRS)
	s_endpgm
.LBB465_190:
	s_delay_alu instid0(VALU_DEP_1)
	s_and_saveexec_b32 s16, s15
	s_cbranch_execz .LBB465_195
; %bb.191:
	s_mov_b32 s18, 0
	s_mov_b32 s15, exec_lo
	v_cmpx_ne_u16_e32 1, v8
	s_xor_b32 s15, exec_lo, s15
	s_cbranch_execnz .LBB465_287
; %bb.192:
	s_and_not1_saveexec_b32 s15, s15
	s_cbranch_execnz .LBB465_303
.LBB465_193:
	s_or_b32 exec_lo, exec_lo, s15
	s_delay_alu instid0(SALU_CYCLE_1)
	s_and_b32 exec_lo, exec_lo, s18
	s_cbranch_execz .LBB465_195
.LBB465_194:
	v_sub_nc_u32_e32 v13, v29, v3
	v_mov_b32_e32 v14, 0
	s_delay_alu instid0(VALU_DEP_1) | instskip(NEXT) | instid1(VALU_DEP_1)
	v_lshlrev_b64 v[13:14], 1, v[13:14]
	v_add_co_u32 v13, vcc_lo, v6, v13
	s_delay_alu instid0(VALU_DEP_2)
	v_add_co_ci_u32_e32 v14, vcc_lo, v12, v14, vcc_lo
	global_store_b16 v[13:14], v30, off
.LBB465_195:
	s_or_b32 exec_lo, exec_lo, s16
	s_branch .LBB465_188
.LBB465_196:
	s_mov_b32 s15, exec_lo
	v_cmpx_gt_i16_e32 2, v8
	s_cbranch_execz .LBB465_201
; %bb.197:
	s_mov_b32 s18, 0
	s_mov_b32 s16, exec_lo
	v_cmpx_ne_u16_e32 1, v8
	s_xor_b32 s16, exec_lo, s16
	s_cbranch_execnz .LBB465_304
; %bb.198:
	s_and_not1_saveexec_b32 s0, s16
	s_cbranch_execnz .LBB465_320
.LBB465_199:
	s_or_b32 exec_lo, exec_lo, s0
	s_delay_alu instid0(SALU_CYCLE_1)
	s_and_b32 exec_lo, exec_lo, s18
	s_cbranch_execz .LBB465_201
.LBB465_200:
	v_sub_nc_u32_e32 v3, v29, v3
	s_delay_alu instid0(VALU_DEP_1)
	v_lshlrev_b32_e32 v3, 1, v3
	ds_store_b16 v3, v30
.LBB465_201:
	s_or_b32 exec_lo, exec_lo, s15
	s_delay_alu instid0(SALU_CYCLE_1)
	s_mov_b32 s1, exec_lo
	s_waitcnt lgkmcnt(0)
	s_waitcnt_vscnt null, 0x0
	s_barrier
	buffer_gl0_inv
	v_cmpx_lt_u32_e64 v0, v4
	s_cbranch_execz .LBB465_216
; %bb.202:
	v_add_nc_u32_e32 v8, v5, v1
	s_mov_b32 s0, -1
	s_mov_b32 s3, exec_lo
	s_delay_alu instid0(VALU_DEP_1) | instskip(NEXT) | instid1(VALU_DEP_1)
	v_xad_u32 v1, v0, -1, v8
	v_sub_nc_u32_e32 v3, v1, v2
	v_mov_b32_e32 v1, v0
	s_delay_alu instid0(VALU_DEP_2)
	v_cmp_gt_u32_e64 s2, 0x1b00, v3
	v_cmpx_lt_u32_e32 0x1aff, v3
	s_cbranch_execz .LBB465_213
; %bb.203:
	v_sub_nc_u32_e32 v1, v0, v8
	s_delay_alu instid0(VALU_DEP_1) | instskip(NEXT) | instid1(VALU_DEP_1)
	v_add_nc_u32_e32 v1, v1, v2
	v_or_b32_e32 v1, 0xff, v1
	s_delay_alu instid0(VALU_DEP_1)
	v_cmp_ge_u32_e32 vcc_lo, v1, v0
	v_mov_b32_e32 v1, v0
	s_and_saveexec_b32 s4, vcc_lo
	s_cbranch_execz .LBB465_212
; %bb.204:
	v_lshrrev_b32_e32 v13, 8, v3
	v_or_b32_e32 v1, 0x100, v0
	v_lshlrev_b32_e32 v14, 1, v0
	s_delay_alu instid0(VALU_DEP_3) | instskip(NEXT) | instid1(VALU_DEP_1)
	v_add_nc_u32_e32 v2, -1, v13
	v_lshrrev_b32_e32 v3, 1, v2
	v_mov_b32_e32 v18, 0
	v_cmp_lt_u32_e32 vcc_lo, 13, v2
	s_delay_alu instid0(VALU_DEP_3)
	v_add_nc_u32_e32 v15, 1, v3
	v_dual_mov_b32 v3, v1 :: v_dual_mov_b32 v2, v0
	s_and_saveexec_b32 s0, vcc_lo
	s_cbranch_execz .LBB465_208
; %bb.205:
	s_delay_alu instid0(VALU_DEP_2)
	v_dual_mov_b32 v3, v1 :: v_dual_and_b32 v16, -8, v15
	v_mov_b32_e32 v9, 0
	v_dual_mov_b32 v17, v14 :: v_dual_mov_b32 v2, v0
	s_mov_b32 s5, 0
	s_mov_b32 s6, 0
.LBB465_206:                            ; =>This Inner Loop Header: Depth=1
	s_delay_alu instid0(VALU_DEP_1) | instskip(SKIP_2) | instid1(VALU_DEP_3)
	v_dual_mov_b32 v8, v2 :: v_dual_mov_b32 v21, v9
	v_add_nc_u32_e32 v16, -8, v16
	v_dual_mov_b32 v23, v9 :: v_dual_add_nc_u32 v20, 0x200, v3
	v_lshlrev_b64 v[37:38], 1, v[8:9]
	v_dual_mov_b32 v25, v9 :: v_dual_add_nc_u32 v22, 0x400, v3
	s_delay_alu instid0(VALU_DEP_4) | instskip(NEXT) | instid1(VALU_DEP_4)
	v_cmp_eq_u32_e32 vcc_lo, 0, v16
	v_lshlrev_b64 v[20:21], 1, v[20:21]
	v_add_nc_u32_e32 v24, 0x600, v3
	s_add_i32 s6, s6, 16
	v_lshlrev_b64 v[22:23], 1, v[22:23]
	s_or_b32 s5, vcc_lo, s5
	v_add_co_u32 v37, vcc_lo, v6, v37
	v_dual_mov_b32 v30, v9 :: v_dual_add_nc_u32 v29, 0x800, v3
	v_add_co_ci_u32_e32 v38, vcc_lo, v12, v38, vcc_lo
	v_lshlrev_b64 v[24:25], 1, v[24:25]
	v_add_co_u32 v20, vcc_lo, v6, v20
	v_dual_mov_b32 v32, v9 :: v_dual_add_nc_u32 v31, 0xa00, v3
	v_add_co_ci_u32_e32 v21, vcc_lo, v12, v21, vcc_lo
	v_lshlrev_b64 v[29:30], 1, v[29:30]
	;; [unrolled: 4-line block ×3, first 2 shown]
	v_add_co_u32 v24, vcc_lo, v6, v24
	v_dual_mov_b32 v36, v9 :: v_dual_add_nc_u32 v35, 0xe00, v3
	v_dual_mov_b32 v8, v3 :: v_dual_add_nc_u32 v3, 0x1000, v3
	v_add_co_ci_u32_e32 v25, vcc_lo, v12, v25, vcc_lo
	v_lshlrev_b64 v[33:34], 1, v[33:34]
	v_add_co_u32 v29, vcc_lo, v6, v29
	ds_load_u16 v1, v17
	ds_load_u16 v26, v17 offset:512
	ds_load_u16 v43, v17 offset:1024
	;; [unrolled: 1-line block ×7, first 2 shown]
	v_add_co_ci_u32_e32 v30, vcc_lo, v12, v30, vcc_lo
	v_lshlrev_b64 v[35:36], 1, v[35:36]
	v_add_co_u32 v31, vcc_lo, v6, v31
	v_lshlrev_b64 v[39:40], 1, v[8:9]
	v_add_nc_u32_e32 v8, 0x200, v2
	v_add_co_ci_u32_e32 v32, vcc_lo, v12, v32, vcc_lo
	v_add_co_u32 v33, vcc_lo, v6, v33
	v_add_co_ci_u32_e32 v34, vcc_lo, v12, v34, vcc_lo
	v_add_co_u32 v35, vcc_lo, v6, v35
	v_lshlrev_b64 v[41:42], 1, v[8:9]
	v_add_nc_u32_e32 v8, 0x400, v2
	v_add_co_ci_u32_e32 v36, vcc_lo, v12, v36, vcc_lo
	v_add_co_u32 v39, vcc_lo, v6, v39
	ds_load_u16 v49, v17 offset:4096
	ds_load_u16 v50, v17 offset:4608
	;; [unrolled: 1-line block ×8, first 2 shown]
	v_add_co_ci_u32_e32 v40, vcc_lo, v12, v40, vcc_lo
	s_waitcnt lgkmcnt(15)
	global_store_b16 v[37:38], v1, off
	v_lshlrev_b64 v[37:38], 1, v[8:9]
	v_add_nc_u32_e32 v8, 0x600, v2
	v_add_co_u32 v41, vcc_lo, v6, v41
	v_add_co_ci_u32_e32 v42, vcc_lo, v12, v42, vcc_lo
	s_waitcnt lgkmcnt(14)
	global_store_b16 v[39:40], v26, off
	v_lshlrev_b64 v[39:40], 1, v[8:9]
	v_add_nc_u32_e32 v8, 0x800, v2
	s_waitcnt lgkmcnt(13)
	global_store_b16 v[41:42], v43, off
	s_waitcnt lgkmcnt(12)
	global_store_b16 v[20:21], v44, off
	v_add_co_u32 v20, vcc_lo, v6, v37
	v_add_co_ci_u32_e32 v21, vcc_lo, v12, v38, vcc_lo
	v_lshlrev_b64 v[37:38], 1, v[8:9]
	v_add_nc_u32_e32 v8, 0xa00, v2
	v_add_co_u32 v39, vcc_lo, v6, v39
	v_add_co_ci_u32_e32 v40, vcc_lo, v12, v40, vcc_lo
	s_waitcnt lgkmcnt(11)
	global_store_b16 v[20:21], v45, off
	s_waitcnt lgkmcnt(10)
	global_store_b16 v[22:23], v46, off
	v_lshlrev_b64 v[20:21], 1, v[8:9]
	v_add_nc_u32_e32 v8, 0xc00, v2
	v_add_co_u32 v22, vcc_lo, v6, v37
	s_waitcnt lgkmcnt(9)
	global_store_b16 v[39:40], v47, off
	s_waitcnt lgkmcnt(8)
	global_store_b16 v[24:25], v48, off
	v_add_co_ci_u32_e32 v23, vcc_lo, v12, v38, vcc_lo
	v_lshlrev_b64 v[24:25], 1, v[8:9]
	v_add_nc_u32_e32 v8, 0xe00, v2
	v_add_co_u32 v20, vcc_lo, v6, v20
	v_add_co_ci_u32_e32 v21, vcc_lo, v12, v21, vcc_lo
	s_waitcnt lgkmcnt(7)
	global_store_b16 v[22:23], v49, off
	s_waitcnt lgkmcnt(6)
	global_store_b16 v[29:30], v50, off
	v_lshlrev_b64 v[22:23], 1, v[8:9]
	v_dual_mov_b32 v18, s6 :: v_dual_add_nc_u32 v17, 0x2000, v17
	s_waitcnt lgkmcnt(5)
	global_store_b16 v[20:21], v51, off
	v_add_co_u32 v20, vcc_lo, v6, v24
	v_add_nc_u32_e32 v2, 0x1000, v2
	v_add_co_ci_u32_e32 v21, vcc_lo, v12, v25, vcc_lo
	v_add_co_u32 v22, vcc_lo, v6, v22
	v_add_co_ci_u32_e32 v23, vcc_lo, v12, v23, vcc_lo
	s_waitcnt lgkmcnt(4)
	global_store_b16 v[31:32], v52, off
	s_waitcnt lgkmcnt(3)
	global_store_b16 v[20:21], v53, off
	;; [unrolled: 2-line block ×5, first 2 shown]
	s_and_not1_b32 exec_lo, exec_lo, s5
	s_cbranch_execnz .LBB465_206
; %bb.207:
	s_or_b32 exec_lo, exec_lo, s5
.LBB465_208:
	s_delay_alu instid0(SALU_CYCLE_1) | instskip(SKIP_3) | instid1(VALU_DEP_1)
	s_or_b32 exec_lo, exec_lo, s0
	v_and_b32_e32 v1, 7, v15
	s_mov_b32 s6, 0
	s_mov_b32 s5, exec_lo
	v_cmpx_ne_u32_e32 0, v1
	s_cbranch_execz .LBB465_211
; %bb.209:
	v_lshl_or_b32 v14, v18, 9, v14
	v_mov_b32_e32 v9, 0
	s_set_inst_prefetch_distance 0x1
	.p2align	6
.LBB465_210:                            ; =>This Inner Loop Header: Depth=1
	v_dual_mov_b32 v8, v2 :: v_dual_add_nc_u32 v1, -1, v1
	ds_load_u16 v20, v14
	ds_load_u16 v21, v14 offset:512
	v_add_nc_u32_e32 v2, 0x200, v2
	v_add_nc_u32_e32 v14, 0x400, v14
	v_lshlrev_b64 v[15:16], 1, v[8:9]
	v_dual_mov_b32 v8, v3 :: v_dual_add_nc_u32 v3, 0x200, v3
	v_cmp_eq_u32_e32 vcc_lo, 0, v1
	s_delay_alu instid0(VALU_DEP_2) | instskip(NEXT) | instid1(VALU_DEP_4)
	v_lshlrev_b64 v[17:18], 1, v[8:9]
	v_add_co_u32 v15, s0, v6, v15
	s_delay_alu instid0(VALU_DEP_1) | instskip(SKIP_1) | instid1(VALU_DEP_3)
	v_add_co_ci_u32_e64 v16, s0, v12, v16, s0
	s_or_b32 s6, vcc_lo, s6
	v_add_co_u32 v17, s0, v6, v17
	s_delay_alu instid0(VALU_DEP_1)
	v_add_co_ci_u32_e64 v18, s0, v12, v18, s0
	s_waitcnt lgkmcnt(1)
	global_store_b16 v[15:16], v20, off
	s_waitcnt lgkmcnt(0)
	global_store_b16 v[17:18], v21, off
	s_and_not1_b32 exec_lo, exec_lo, s6
	s_cbranch_execnz .LBB465_210
.LBB465_211:
	s_set_inst_prefetch_distance 0x2
	s_or_b32 exec_lo, exec_lo, s5
	v_add_nc_u32_e32 v1, 1, v13
	s_delay_alu instid0(VALU_DEP_1) | instskip(NEXT) | instid1(VALU_DEP_1)
	v_and_b32_e32 v2, 0x1fffffe, v1
	v_cmp_ne_u32_e32 vcc_lo, v1, v2
	v_lshl_or_b32 v1, v2, 8, v0
	s_or_not1_b32 s0, vcc_lo, exec_lo
.LBB465_212:
	s_or_b32 exec_lo, exec_lo, s4
	s_delay_alu instid0(SALU_CYCLE_1) | instskip(SKIP_1) | instid1(SALU_CYCLE_1)
	s_and_not1_b32 s2, s2, exec_lo
	s_and_b32 s0, s0, exec_lo
	s_or_b32 s2, s2, s0
.LBB465_213:
	s_or_b32 exec_lo, exec_lo, s3
	s_delay_alu instid0(VALU_DEP_2) | instid1(SALU_CYCLE_1)
	s_and_b32 exec_lo, exec_lo, s2
	s_cbranch_execz .LBB465_216
; %bb.214:
	v_dual_mov_b32 v2, 0 :: v_dual_lshlrev_b32 v3, 1, v1
	s_mov_b32 s2, 0
	.p2align	6
.LBB465_215:                            ; =>This Inner Loop Header: Depth=1
	ds_load_u16 v13, v3
	v_lshlrev_b64 v[8:9], 1, v[1:2]
	v_add_nc_u32_e32 v1, 0x100, v1
	v_add_nc_u32_e32 v3, 0x200, v3
	s_delay_alu instid0(VALU_DEP_2) | instskip(NEXT) | instid1(VALU_DEP_4)
	v_cmp_ge_u32_e32 vcc_lo, v1, v4
	v_add_co_u32 v8, s0, v6, v8
	s_delay_alu instid0(VALU_DEP_1)
	v_add_co_ci_u32_e64 v9, s0, v12, v9, s0
	s_or_b32 s2, vcc_lo, s2
	s_waitcnt lgkmcnt(0)
	global_store_b16 v[8:9], v13, off
	s_and_not1_b32 exec_lo, exec_lo, s2
	s_cbranch_execnz .LBB465_215
.LBB465_216:
	s_or_b32 exec_lo, exec_lo, s1
	v_cmp_eq_u32_e32 vcc_lo, 0xff, v0
	s_and_b32 s0, vcc_lo, s17
	s_delay_alu instid0(SALU_CYCLE_1)
	s_and_saveexec_b32 s1, s0
	s_cbranch_execz .LBB465_189
.LBB465_217:
	v_add_co_u32 v0, s0, v5, v7
	s_delay_alu instid0(VALU_DEP_1) | instskip(SKIP_1) | instid1(VALU_DEP_3)
	v_add_co_ci_u32_e64 v1, null, 0, 0, s0
	v_mov_b32_e32 v6, 0
	v_add_co_u32 v0, vcc_lo, v0, v27
	s_delay_alu instid0(VALU_DEP_3)
	v_add_co_ci_u32_e32 v1, vcc_lo, v1, v28, vcc_lo
	s_cmpk_lg_i32 s26, 0xf00
	global_store_b64 v6, v[0:1], s[30:31]
	s_cbranch_scc1 .LBB465_189
; %bb.218:
	v_lshlrev_b64 v[0:1], 1, v[5:6]
	s_delay_alu instid0(VALU_DEP_1) | instskip(NEXT) | instid1(VALU_DEP_2)
	v_add_co_u32 v0, vcc_lo, v10, v0
	v_add_co_ci_u32_e32 v1, vcc_lo, v11, v1, vcc_lo
	global_store_b16 v[0:1], v19, off offset:-2
	s_nop 0
	s_sendmsg sendmsg(MSG_DEALLOC_VGPRS)
	s_endpgm
.LBB465_219:
                                        ; implicit-def: $sgpr4
                                        ; implicit-def: $vgpr61
                                        ; implicit-def: $vgpr7
                                        ; implicit-def: $vgpr62
                                        ; implicit-def: $vgpr14
                                        ; implicit-def: $vgpr13
                                        ; implicit-def: $vgpr16
                                        ; implicit-def: $vgpr15
                                        ; implicit-def: $vgpr18
                                        ; implicit-def: $vgpr17
                                        ; implicit-def: $vgpr22
                                        ; implicit-def: $vgpr21
                                        ; implicit-def: $vgpr24
                                        ; implicit-def: $vgpr23
                                        ; implicit-def: $vgpr26
	s_cbranch_execz .LBB465_114
.LBB465_220:
	v_dual_mov_b32 v20, 0 :: v_dual_lshlrev_b32 v7, 1, v0
	v_mov_b32_e32 v61, 0
	s_mov_b32 s4, exec_lo
	ds_store_b16 v7, v9
	v_cmpx_gt_u64_e64 s[0:1], v[19:20]
	s_cbranch_execz .LBB465_222
; %bb.221:
	v_and_b32_e32 v6, 0xffff, v12
	s_waitcnt lgkmcnt(1)
	v_and_b32_e32 v8, 0xffff, v9
	s_delay_alu instid0(VALU_DEP_2) | instskip(NEXT) | instid1(VALU_DEP_2)
	v_mul_u32_u24_e32 v6, 0xcccd, v6
	v_mul_u32_u24_e32 v8, 0xcccd, v8
	s_delay_alu instid0(VALU_DEP_2) | instskip(NEXT) | instid1(VALU_DEP_2)
	v_lshrrev_b32_e32 v6, 19, v6
	v_lshrrev_b32_e32 v8, 19, v8
	s_delay_alu instid0(VALU_DEP_1)
	v_cmp_ne_u16_e32 vcc_lo, v6, v8
	v_cndmask_b32_e64 v61, 0, 1, vcc_lo
.LBB465_222:
	s_or_b32 exec_lo, exec_lo, s4
	v_add_nc_u32_e32 v19, 13, v5
	s_mov_b32 s4, exec_lo
	s_delay_alu instid0(VALU_DEP_1)
	v_cmpx_gt_u64_e64 s[0:1], v[19:20]
	s_cbranch_execz .LBB465_224
; %bb.223:
	v_lshrrev_b32_e32 v6, 16, v11
	s_waitcnt lgkmcnt(1)
	v_and_b32_e32 v8, 0xffff, v12
	s_delay_alu instid0(VALU_DEP_2) | instskip(NEXT) | instid1(VALU_DEP_2)
	v_mul_u32_u24_e32 v6, 0xcccd, v6
	v_mul_u32_u24_e32 v8, 0xcccd, v8
	s_delay_alu instid0(VALU_DEP_2) | instskip(NEXT) | instid1(VALU_DEP_2)
	v_lshrrev_b32_e32 v6, 19, v6
	v_lshrrev_b32_e32 v8, 19, v8
	s_delay_alu instid0(VALU_DEP_1)
	v_cmp_ne_u16_e32 vcc_lo, v6, v8
	v_cndmask_b32_e64 v20, 0, 1, vcc_lo
.LBB465_224:
	s_or_b32 exec_lo, exec_lo, s4
	v_dual_mov_b32 v14, 0 :: v_dual_add_nc_u32 v13, 12, v5
	v_mov_b32_e32 v62, 0
	s_mov_b32 s4, exec_lo
	s_delay_alu instid0(VALU_DEP_2)
	v_cmpx_gt_u64_e64 s[0:1], v[13:14]
	s_cbranch_execz .LBB465_226
; %bb.225:
	v_and_b32_e32 v6, 0xffff, v11
	s_waitcnt lgkmcnt(1)
	v_lshrrev_b32_e32 v8, 16, v11
	s_delay_alu instid0(VALU_DEP_2) | instskip(NEXT) | instid1(VALU_DEP_2)
	v_mul_u32_u24_e32 v6, 0xcccd, v6
	v_mul_u32_u24_e32 v8, 0xcccd, v8
	s_delay_alu instid0(VALU_DEP_2) | instskip(NEXT) | instid1(VALU_DEP_2)
	v_lshrrev_b32_e32 v6, 19, v6
	v_lshrrev_b32_e32 v8, 19, v8
	s_delay_alu instid0(VALU_DEP_1)
	v_cmp_ne_u16_e32 vcc_lo, v6, v8
	v_cndmask_b32_e64 v62, 0, 1, vcc_lo
.LBB465_226:
	s_or_b32 exec_lo, exec_lo, s4
	v_add_nc_u32_e32 v13, 11, v5
	s_mov_b32 s4, exec_lo
	s_delay_alu instid0(VALU_DEP_1)
	v_cmpx_gt_u64_e64 s[0:1], v[13:14]
	s_cbranch_execz .LBB465_228
; %bb.227:
	v_lshrrev_b32_e32 v6, 16, v10
	s_waitcnt lgkmcnt(1)
	v_and_b32_e32 v8, 0xffff, v11
	s_delay_alu instid0(VALU_DEP_2) | instskip(NEXT) | instid1(VALU_DEP_2)
	v_mul_u32_u24_e32 v6, 0xcccd, v6
	v_mul_u32_u24_e32 v8, 0xcccd, v8
	s_delay_alu instid0(VALU_DEP_2) | instskip(NEXT) | instid1(VALU_DEP_2)
	v_lshrrev_b32_e32 v6, 19, v6
	v_lshrrev_b32_e32 v8, 19, v8
	s_delay_alu instid0(VALU_DEP_1)
	v_cmp_ne_u16_e32 vcc_lo, v6, v8
	v_cndmask_b32_e64 v14, 0, 1, vcc_lo
.LBB465_228:
	s_or_b32 exec_lo, exec_lo, s4
	v_dual_mov_b32 v16, 0 :: v_dual_add_nc_u32 v15, 10, v5
	v_mov_b32_e32 v13, 0
	s_mov_b32 s4, exec_lo
	s_delay_alu instid0(VALU_DEP_2)
	v_cmpx_gt_u64_e64 s[0:1], v[15:16]
	s_cbranch_execz .LBB465_230
; %bb.229:
	v_and_b32_e32 v6, 0xffff, v10
	s_waitcnt lgkmcnt(1)
	v_lshrrev_b32_e32 v8, 16, v10
	s_delay_alu instid0(VALU_DEP_2) | instskip(NEXT) | instid1(VALU_DEP_2)
	v_mul_u32_u24_e32 v6, 0xcccd, v6
	v_mul_u32_u24_e32 v8, 0xcccd, v8
	s_delay_alu instid0(VALU_DEP_2) | instskip(NEXT) | instid1(VALU_DEP_2)
	v_lshrrev_b32_e32 v6, 19, v6
	v_lshrrev_b32_e32 v8, 19, v8
	s_delay_alu instid0(VALU_DEP_1)
	v_cmp_ne_u16_e32 vcc_lo, v6, v8
	v_cndmask_b32_e64 v13, 0, 1, vcc_lo
.LBB465_230:
	;; [unrolled: 41-line block ×6, first 2 shown]
	s_or_b32 exec_lo, exec_lo, s4
	v_add_nc_u32_e32 v25, 1, v5
	s_mov_b32 s4, exec_lo
	s_delay_alu instid0(VALU_DEP_1)
	v_cmpx_gt_u64_e64 s[0:1], v[25:26]
	s_cbranch_execz .LBB465_248
; %bb.247:
	v_and_b32_e32 v6, 0xffff, v63
	s_waitcnt lgkmcnt(1)
	v_and_b32_e32 v8, 0xffff, v1
	s_delay_alu instid0(VALU_DEP_2) | instskip(NEXT) | instid1(VALU_DEP_2)
	v_mul_u32_u24_e32 v6, 0xcccd, v6
	v_mul_u32_u24_e32 v8, 0xcccd, v8
	s_delay_alu instid0(VALU_DEP_2) | instskip(NEXT) | instid1(VALU_DEP_2)
	v_lshrrev_b32_e32 v6, 19, v6
	v_lshrrev_b32_e32 v8, 19, v8
	s_delay_alu instid0(VALU_DEP_1)
	v_cmp_ne_u16_e32 vcc_lo, v6, v8
	v_cndmask_b32_e64 v26, 0, 1, vcc_lo
.LBB465_248:
	s_or_b32 exec_lo, exec_lo, s4
	s_waitcnt lgkmcnt(0)
	s_barrier
	buffer_gl0_inv
                                        ; implicit-def: $sgpr4
	s_and_saveexec_b32 s5, s3
	s_cbranch_execz .LBB465_252
; %bb.249:
	v_mov_b32_e32 v6, 0
	s_delay_alu instid0(VALU_DEP_1)
	v_cmp_gt_u64_e32 vcc_lo, s[0:1], v[5:6]
	s_mov_b32 s1, 0
	s_and_saveexec_b32 s0, vcc_lo
	s_cbranch_execz .LBB465_251
; %bb.250:
	v_add_nc_u32_e32 v5, -2, v7
	v_and_b32_e32 v6, 0xffff, v63
	ds_load_u16 v5, v5
	v_mul_u32_u24_e32 v6, 0xcccd, v6
	s_delay_alu instid0(VALU_DEP_1) | instskip(SKIP_2) | instid1(VALU_DEP_1)
	v_lshrrev_b32_e32 v6, 19, v6
	s_waitcnt lgkmcnt(0)
	v_mul_u32_u24_e32 v5, 0xcccd, v5
	v_lshrrev_b32_e32 v5, 19, v5
	s_delay_alu instid0(VALU_DEP_1)
	v_cmp_ne_u16_e32 vcc_lo, v5, v6
	s_and_b32 s1, vcc_lo, exec_lo
.LBB465_251:
	s_or_b32 exec_lo, exec_lo, s0
	s_delay_alu instid0(SALU_CYCLE_1)
	s_and_b32 s4, s1, exec_lo
	s_or_b32 s15, s15, exec_lo
.LBB465_252:
	s_or_b32 exec_lo, exec_lo, s5
	v_mov_b32_e32 v7, v20
	s_mov_b32 s0, 1
	s_delay_alu instid0(SALU_CYCLE_1)
	v_mov_b32_e32 v25, s0
	s_and_saveexec_b32 s0, s15
	s_cbranch_execnz .LBB465_116
	s_branch .LBB465_117
.LBB465_253:
	s_and_saveexec_b32 s19, s15
	s_cbranch_execnz .LBB465_321
; %bb.254:
	s_or_b32 exec_lo, exec_lo, s19
	s_and_saveexec_b32 s19, s14
	s_cbranch_execnz .LBB465_322
.LBB465_255:
	s_or_b32 exec_lo, exec_lo, s19
	s_and_saveexec_b32 s19, s13
	s_cbranch_execnz .LBB465_323
.LBB465_256:
	s_or_b32 exec_lo, exec_lo, s19
	s_and_saveexec_b32 s19, s12
	s_cbranch_execnz .LBB465_324
.LBB465_257:
	s_or_b32 exec_lo, exec_lo, s19
	s_and_saveexec_b32 s19, s11
	s_cbranch_execnz .LBB465_325
.LBB465_258:
	s_or_b32 exec_lo, exec_lo, s19
	s_and_saveexec_b32 s19, s10
	s_cbranch_execnz .LBB465_326
.LBB465_259:
	s_or_b32 exec_lo, exec_lo, s19
	s_and_saveexec_b32 s19, s8
	s_cbranch_execnz .LBB465_327
.LBB465_260:
	s_or_b32 exec_lo, exec_lo, s19
	s_and_saveexec_b32 s19, s6
	s_cbranch_execnz .LBB465_328
.LBB465_261:
	s_or_b32 exec_lo, exec_lo, s19
	s_and_saveexec_b32 s19, s9
	s_cbranch_execnz .LBB465_329
.LBB465_262:
	s_or_b32 exec_lo, exec_lo, s19
	s_and_saveexec_b32 s19, s7
	s_cbranch_execnz .LBB465_330
.LBB465_263:
	s_or_b32 exec_lo, exec_lo, s19
	s_and_saveexec_b32 s19, s5
	s_cbranch_execnz .LBB465_331
.LBB465_264:
	s_or_b32 exec_lo, exec_lo, s19
	s_and_saveexec_b32 s19, s4
	s_cbranch_execnz .LBB465_332
.LBB465_265:
	s_or_b32 exec_lo, exec_lo, s19
	s_and_saveexec_b32 s19, s3
	s_cbranch_execnz .LBB465_333
.LBB465_266:
	s_or_b32 exec_lo, exec_lo, s19
	s_and_saveexec_b32 s19, s1
	s_cbranch_execz .LBB465_268
.LBB465_267:
	v_sub_nc_u32_e32 v66, v37, v7
	v_mov_b32_e32 v67, 0
	s_delay_alu instid0(VALU_DEP_1) | instskip(NEXT) | instid1(VALU_DEP_1)
	v_lshlrev_b64 v[66:67], 1, v[66:67]
	v_add_co_u32 v66, vcc_lo, v6, v66
	s_delay_alu instid0(VALU_DEP_2)
	v_add_co_ci_u32_e32 v67, vcc_lo, v64, v67, vcc_lo
	global_store_b16 v[66:67], v12, off
.LBB465_268:
	s_or_b32 exec_lo, exec_lo, s19
	s_delay_alu instid0(SALU_CYCLE_1)
	s_and_b32 s19, s0, exec_lo
	s_and_not1_saveexec_b32 s16, s16
	s_cbranch_execz .LBB465_161
.LBB465_269:
	v_sub_nc_u32_e32 v66, v55, v7
	v_mov_b32_e32 v67, 0
	s_or_b32 s19, s19, exec_lo
	s_delay_alu instid0(VALU_DEP_1) | instskip(SKIP_1) | instid1(VALU_DEP_1)
	v_lshlrev_b64 v[68:69], 1, v[66:67]
	v_sub_nc_u32_e32 v66, v51, v7
	v_lshlrev_b64 v[70:71], 1, v[66:67]
	v_sub_nc_u32_e32 v66, v49, v7
	s_delay_alu instid0(VALU_DEP_4) | instskip(SKIP_1) | instid1(VALU_DEP_3)
	v_add_co_u32 v68, vcc_lo, v6, v68
	v_add_co_ci_u32_e32 v69, vcc_lo, v64, v69, vcc_lo
	v_lshlrev_b64 v[72:73], 1, v[66:67]
	v_sub_nc_u32_e32 v66, v47, v7
	v_add_co_u32 v70, vcc_lo, v6, v70
	v_add_co_ci_u32_e32 v71, vcc_lo, v64, v71, vcc_lo
	global_store_b16 v[68:69], v63, off
	v_lshlrev_b64 v[68:69], 1, v[66:67]
	v_sub_nc_u32_e32 v66, v35, v7
	global_store_b16 v[70:71], v1, off
	v_add_co_u32 v70, vcc_lo, v6, v72
	v_add_co_ci_u32_e32 v71, vcc_lo, v64, v73, vcc_lo
	v_lshlrev_b64 v[72:73], 1, v[66:67]
	v_sub_nc_u32_e32 v66, v33, v7
	v_add_co_u32 v68, vcc_lo, v6, v68
	v_add_co_ci_u32_e32 v69, vcc_lo, v64, v69, vcc_lo
	s_delay_alu instid0(VALU_DEP_3) | instskip(SKIP_3) | instid1(VALU_DEP_3)
	v_lshlrev_b64 v[74:75], 1, v[66:67]
	v_sub_nc_u32_e32 v66, v31, v7
	v_add_co_u32 v72, vcc_lo, v6, v72
	v_add_co_ci_u32_e32 v73, vcc_lo, v64, v73, vcc_lo
	v_lshlrev_b64 v[76:77], 1, v[66:67]
	v_sub_nc_u32_e32 v66, v53, v7
	v_add_co_u32 v74, vcc_lo, v6, v74
	v_add_co_ci_u32_e32 v75, vcc_lo, v64, v75, vcc_lo
	s_clause 0x3
	global_store_d16_hi_b16 v[70:71], v1, off
	global_store_b16 v[68:69], v2, off
	global_store_d16_hi_b16 v[72:73], v2, off
	global_store_b16 v[74:75], v3, off
	v_lshlrev_b64 v[68:69], 1, v[66:67]
	v_sub_nc_u32_e32 v66, v57, v7
	v_add_co_u32 v70, vcc_lo, v6, v76
	v_add_co_ci_u32_e32 v71, vcc_lo, v64, v77, vcc_lo
	s_delay_alu instid0(VALU_DEP_3) | instskip(SKIP_3) | instid1(VALU_DEP_3)
	v_lshlrev_b64 v[72:73], 1, v[66:67]
	v_sub_nc_u32_e32 v66, v45, v7
	v_add_co_u32 v68, vcc_lo, v6, v68
	v_add_co_ci_u32_e32 v69, vcc_lo, v64, v69, vcc_lo
	v_lshlrev_b64 v[74:75], 1, v[66:67]
	v_sub_nc_u32_e32 v66, v43, v7
	v_add_co_u32 v72, vcc_lo, v6, v72
	v_add_co_ci_u32_e32 v73, vcc_lo, v64, v73, vcc_lo
	s_delay_alu instid0(VALU_DEP_3)
	v_lshlrev_b64 v[76:77], 1, v[66:67]
	v_sub_nc_u32_e32 v66, v39, v7
	v_add_co_u32 v74, vcc_lo, v6, v74
	v_add_co_ci_u32_e32 v75, vcc_lo, v64, v75, vcc_lo
	s_clause 0x3
	global_store_d16_hi_b16 v[70:71], v3, off
	global_store_b16 v[68:69], v4, off
	global_store_d16_hi_b16 v[72:73], v4, off
	global_store_b16 v[74:75], v10, off
	v_lshlrev_b64 v[68:69], 1, v[66:67]
	v_sub_nc_u32_e32 v66, v41, v7
	v_add_co_u32 v70, vcc_lo, v6, v76
	v_add_co_ci_u32_e32 v71, vcc_lo, v64, v77, vcc_lo
	s_delay_alu instid0(VALU_DEP_3) | instskip(SKIP_3) | instid1(VALU_DEP_3)
	v_lshlrev_b64 v[72:73], 1, v[66:67]
	v_sub_nc_u32_e32 v66, v37, v7
	v_add_co_u32 v68, vcc_lo, v6, v68
	v_add_co_ci_u32_e32 v69, vcc_lo, v64, v69, vcc_lo
	v_lshlrev_b64 v[66:67], 1, v[66:67]
	v_add_co_u32 v72, vcc_lo, v6, v72
	v_add_co_ci_u32_e32 v73, vcc_lo, v64, v73, vcc_lo
	s_clause 0x2
	global_store_d16_hi_b16 v[70:71], v10, off
	global_store_b16 v[68:69], v11, off
	global_store_d16_hi_b16 v[72:73], v11, off
	v_add_co_u32 v66, vcc_lo, v6, v66
	v_add_co_ci_u32_e32 v67, vcc_lo, v64, v67, vcc_lo
	global_store_b16 v[66:67], v12, off
	s_or_b32 exec_lo, exec_lo, s16
	s_delay_alu instid0(SALU_CYCLE_1)
	s_and_b32 exec_lo, exec_lo, s19
	s_cbranch_execnz .LBB465_162
	s_branch .LBB465_163
.LBB465_270:
	s_and_saveexec_b32 s19, s15
	s_cbranch_execnz .LBB465_334
; %bb.271:
	s_or_b32 exec_lo, exec_lo, s19
	s_and_saveexec_b32 s15, s14
	s_cbranch_execnz .LBB465_335
.LBB465_272:
	s_or_b32 exec_lo, exec_lo, s15
	s_and_saveexec_b32 s14, s13
	s_cbranch_execnz .LBB465_336
.LBB465_273:
	s_or_b32 exec_lo, exec_lo, s14
	s_and_saveexec_b32 s13, s12
	s_cbranch_execnz .LBB465_337
.LBB465_274:
	s_or_b32 exec_lo, exec_lo, s13
	s_and_saveexec_b32 s12, s11
	s_cbranch_execnz .LBB465_338
.LBB465_275:
	s_or_b32 exec_lo, exec_lo, s12
	s_and_saveexec_b32 s11, s10
	s_cbranch_execnz .LBB465_339
.LBB465_276:
	s_or_b32 exec_lo, exec_lo, s11
	s_and_saveexec_b32 s10, s8
	s_cbranch_execnz .LBB465_340
.LBB465_277:
	s_or_b32 exec_lo, exec_lo, s10
	s_and_saveexec_b32 s8, s6
	s_cbranch_execnz .LBB465_341
.LBB465_278:
	s_or_b32 exec_lo, exec_lo, s8
	s_and_saveexec_b32 s6, s9
	s_cbranch_execnz .LBB465_342
.LBB465_279:
	s_or_b32 exec_lo, exec_lo, s6
	s_and_saveexec_b32 s6, s7
	s_cbranch_execnz .LBB465_343
.LBB465_280:
	s_or_b32 exec_lo, exec_lo, s6
	s_and_saveexec_b32 s6, s5
	s_cbranch_execnz .LBB465_344
.LBB465_281:
	s_or_b32 exec_lo, exec_lo, s6
	s_and_saveexec_b32 s5, s4
	s_cbranch_execnz .LBB465_345
.LBB465_282:
	s_or_b32 exec_lo, exec_lo, s5
	s_and_saveexec_b32 s4, s3
	s_cbranch_execnz .LBB465_346
.LBB465_283:
	s_or_b32 exec_lo, exec_lo, s4
	s_and_saveexec_b32 s3, s1
	s_cbranch_execz .LBB465_285
.LBB465_284:
	v_sub_nc_u32_e32 v1, v37, v7
	s_delay_alu instid0(VALU_DEP_1)
	v_lshlrev_b32_e32 v1, 1, v1
	ds_store_b16 v1, v12
.LBB465_285:
	s_or_b32 exec_lo, exec_lo, s3
	s_delay_alu instid0(SALU_CYCLE_1)
	s_and_b32 s19, s0, exec_lo
                                        ; implicit-def: $vgpr63
                                        ; implicit-def: $vgpr1
	s_and_not1_saveexec_b32 s0, s18
	s_cbranch_execz .LBB465_168
.LBB465_286:
	v_sub_nc_u32_e32 v65, v55, v7
	v_sub_nc_u32_e32 v66, v51, v7
	;; [unrolled: 1-line block ×4, first 2 shown]
	s_or_b32 s19, s19, exec_lo
	v_lshlrev_b32_e32 v65, 1, v65
	v_lshlrev_b32_e32 v66, 1, v66
	;; [unrolled: 1-line block ×4, first 2 shown]
	ds_store_b16 v65, v63
	ds_store_b16 v66, v1
	ds_store_b16_d16_hi v67, v1
	v_sub_nc_u32_e32 v1, v35, v7
	v_sub_nc_u32_e32 v63, v33, v7
	;; [unrolled: 1-line block ×5, first 2 shown]
	v_lshlrev_b32_e32 v1, 1, v1
	ds_store_b16 v68, v2
	v_lshlrev_b32_e32 v63, 1, v63
	v_lshlrev_b32_e32 v65, 1, v65
	;; [unrolled: 1-line block ×3, first 2 shown]
	ds_store_b16_d16_hi v1, v2
	v_lshlrev_b32_e32 v1, 1, v67
	v_sub_nc_u32_e32 v2, v45, v7
	ds_store_b16 v63, v3
	ds_store_b16_d16_hi v65, v3
	ds_store_b16 v66, v4
	v_sub_nc_u32_e32 v63, v37, v7
	v_sub_nc_u32_e32 v3, v39, v7
	ds_store_b16_d16_hi v1, v4
	v_sub_nc_u32_e32 v1, v43, v7
	v_lshlrev_b32_e32 v2, 1, v2
	v_sub_nc_u32_e32 v4, v41, v7
	v_lshlrev_b32_e32 v3, 1, v3
	s_delay_alu instid0(VALU_DEP_4)
	v_lshlrev_b32_e32 v1, 1, v1
	ds_store_b16 v2, v10
	v_lshlrev_b32_e32 v2, 1, v63
	v_lshlrev_b32_e32 v4, 1, v4
	ds_store_b16_d16_hi v1, v10
	ds_store_b16 v3, v11
	ds_store_b16_d16_hi v4, v11
	ds_store_b16 v2, v12
	s_or_b32 exec_lo, exec_lo, s0
	s_delay_alu instid0(SALU_CYCLE_1)
	s_and_b32 exec_lo, exec_lo, s19
	s_cbranch_execnz .LBB465_169
	s_branch .LBB465_170
.LBB465_287:
	s_and_saveexec_b32 s18, s14
	s_cbranch_execnz .LBB465_347
; %bb.288:
	s_or_b32 exec_lo, exec_lo, s18
	s_and_saveexec_b32 s18, s13
	s_cbranch_execnz .LBB465_348
.LBB465_289:
	s_or_b32 exec_lo, exec_lo, s18
	s_and_saveexec_b32 s18, s12
	s_cbranch_execnz .LBB465_349
.LBB465_290:
	s_or_b32 exec_lo, exec_lo, s18
	s_and_saveexec_b32 s18, s11
	s_cbranch_execnz .LBB465_350
.LBB465_291:
	s_or_b32 exec_lo, exec_lo, s18
	s_and_saveexec_b32 s18, s10
	s_cbranch_execnz .LBB465_351
.LBB465_292:
	s_or_b32 exec_lo, exec_lo, s18
	s_and_saveexec_b32 s18, s9
	s_cbranch_execnz .LBB465_352
.LBB465_293:
	s_or_b32 exec_lo, exec_lo, s18
	s_and_saveexec_b32 s18, s8
	s_cbranch_execnz .LBB465_353
.LBB465_294:
	s_or_b32 exec_lo, exec_lo, s18
	s_and_saveexec_b32 s18, s7
	s_cbranch_execnz .LBB465_354
.LBB465_295:
	s_or_b32 exec_lo, exec_lo, s18
	s_and_saveexec_b32 s18, s6
	s_cbranch_execnz .LBB465_355
.LBB465_296:
	s_or_b32 exec_lo, exec_lo, s18
	s_and_saveexec_b32 s18, s5
	s_cbranch_execnz .LBB465_356
.LBB465_297:
	s_or_b32 exec_lo, exec_lo, s18
	s_and_saveexec_b32 s18, s4
	s_cbranch_execnz .LBB465_357
.LBB465_298:
	s_or_b32 exec_lo, exec_lo, s18
	s_and_saveexec_b32 s18, s3
	s_cbranch_execnz .LBB465_358
.LBB465_299:
	s_or_b32 exec_lo, exec_lo, s18
	s_and_saveexec_b32 s18, s2
	s_cbranch_execnz .LBB465_359
.LBB465_300:
	s_or_b32 exec_lo, exec_lo, s18
	s_and_saveexec_b32 s18, s1
	s_cbranch_execz .LBB465_302
.LBB465_301:
	v_sub_nc_u32_e32 v13, v37, v3
	v_mov_b32_e32 v14, 0
	s_delay_alu instid0(VALU_DEP_1) | instskip(NEXT) | instid1(VALU_DEP_1)
	v_lshlrev_b64 v[13:14], 1, v[13:14]
	v_add_co_u32 v13, vcc_lo, v6, v13
	s_delay_alu instid0(VALU_DEP_2)
	v_add_co_ci_u32_e32 v14, vcc_lo, v12, v14, vcc_lo
	global_store_b16 v[13:14], v38, off
.LBB465_302:
	s_or_b32 exec_lo, exec_lo, s18
	s_delay_alu instid0(SALU_CYCLE_1)
	s_and_b32 s18, s0, exec_lo
	s_and_not1_saveexec_b32 s15, s15
	s_cbranch_execz .LBB465_193
.LBB465_303:
	v_sub_nc_u32_e32 v13, v55, v3
	v_mov_b32_e32 v14, 0
	s_or_b32 s18, s18, exec_lo
	s_delay_alu instid0(VALU_DEP_1) | instskip(SKIP_1) | instid1(VALU_DEP_1)
	v_lshlrev_b64 v[15:16], 1, v[13:14]
	v_sub_nc_u32_e32 v13, v51, v3
	v_lshlrev_b64 v[17:18], 1, v[13:14]
	v_sub_nc_u32_e32 v13, v49, v3
	s_delay_alu instid0(VALU_DEP_4) | instskip(SKIP_1) | instid1(VALU_DEP_3)
	v_add_co_u32 v15, vcc_lo, v6, v15
	v_add_co_ci_u32_e32 v16, vcc_lo, v12, v16, vcc_lo
	v_lshlrev_b64 v[20:21], 1, v[13:14]
	v_sub_nc_u32_e32 v13, v47, v3
	v_add_co_u32 v17, vcc_lo, v6, v17
	v_add_co_ci_u32_e32 v18, vcc_lo, v12, v18, vcc_lo
	global_store_b16 v[15:16], v56, off
	v_lshlrev_b64 v[15:16], 1, v[13:14]
	v_sub_nc_u32_e32 v13, v35, v3
	global_store_b16 v[17:18], v52, off
	v_add_co_u32 v17, vcc_lo, v6, v20
	v_add_co_ci_u32_e32 v18, vcc_lo, v12, v21, vcc_lo
	v_lshlrev_b64 v[20:21], 1, v[13:14]
	v_sub_nc_u32_e32 v13, v33, v3
	v_add_co_u32 v15, vcc_lo, v6, v15
	v_add_co_ci_u32_e32 v16, vcc_lo, v12, v16, vcc_lo
	s_delay_alu instid0(VALU_DEP_3) | instskip(SKIP_3) | instid1(VALU_DEP_3)
	v_lshlrev_b64 v[22:23], 1, v[13:14]
	v_sub_nc_u32_e32 v13, v31, v3
	v_add_co_u32 v20, vcc_lo, v6, v20
	v_add_co_ci_u32_e32 v21, vcc_lo, v12, v21, vcc_lo
	v_lshlrev_b64 v[24:25], 1, v[13:14]
	v_sub_nc_u32_e32 v13, v53, v3
	v_add_co_u32 v22, vcc_lo, v6, v22
	v_add_co_ci_u32_e32 v23, vcc_lo, v12, v23, vcc_lo
	s_clause 0x3
	global_store_b16 v[17:18], v50, off
	global_store_b16 v[15:16], v48, off
	;; [unrolled: 1-line block ×4, first 2 shown]
	v_lshlrev_b64 v[15:16], 1, v[13:14]
	v_sub_nc_u32_e32 v13, v57, v3
	v_add_co_u32 v17, vcc_lo, v6, v24
	v_add_co_ci_u32_e32 v18, vcc_lo, v12, v25, vcc_lo
	s_delay_alu instid0(VALU_DEP_3) | instskip(SKIP_3) | instid1(VALU_DEP_3)
	v_lshlrev_b64 v[20:21], 1, v[13:14]
	v_sub_nc_u32_e32 v13, v45, v3
	v_add_co_u32 v15, vcc_lo, v6, v15
	v_add_co_ci_u32_e32 v16, vcc_lo, v12, v16, vcc_lo
	v_lshlrev_b64 v[22:23], 1, v[13:14]
	v_sub_nc_u32_e32 v13, v43, v3
	v_add_co_u32 v20, vcc_lo, v6, v20
	v_add_co_ci_u32_e32 v21, vcc_lo, v12, v21, vcc_lo
	s_delay_alu instid0(VALU_DEP_3)
	v_lshlrev_b64 v[24:25], 1, v[13:14]
	v_sub_nc_u32_e32 v13, v39, v3
	v_add_co_u32 v22, vcc_lo, v6, v22
	v_add_co_ci_u32_e32 v23, vcc_lo, v12, v23, vcc_lo
	s_clause 0x3
	global_store_b16 v[17:18], v32, off
	global_store_b16 v[15:16], v54, off
	;; [unrolled: 1-line block ×4, first 2 shown]
	v_lshlrev_b64 v[15:16], 1, v[13:14]
	v_sub_nc_u32_e32 v13, v41, v3
	v_add_co_u32 v17, vcc_lo, v6, v24
	v_add_co_ci_u32_e32 v18, vcc_lo, v12, v25, vcc_lo
	s_delay_alu instid0(VALU_DEP_3) | instskip(SKIP_3) | instid1(VALU_DEP_3)
	v_lshlrev_b64 v[20:21], 1, v[13:14]
	v_sub_nc_u32_e32 v13, v37, v3
	v_add_co_u32 v15, vcc_lo, v6, v15
	v_add_co_ci_u32_e32 v16, vcc_lo, v12, v16, vcc_lo
	v_lshlrev_b64 v[13:14], 1, v[13:14]
	v_add_co_u32 v20, vcc_lo, v6, v20
	v_add_co_ci_u32_e32 v21, vcc_lo, v12, v21, vcc_lo
	s_clause 0x2
	global_store_b16 v[17:18], v44, off
	global_store_b16 v[15:16], v40, off
	;; [unrolled: 1-line block ×3, first 2 shown]
	v_add_co_u32 v13, vcc_lo, v6, v13
	v_add_co_ci_u32_e32 v14, vcc_lo, v12, v14, vcc_lo
	global_store_b16 v[13:14], v38, off
	s_or_b32 exec_lo, exec_lo, s15
	s_delay_alu instid0(SALU_CYCLE_1)
	s_and_b32 exec_lo, exec_lo, s18
	s_cbranch_execnz .LBB465_194
	s_branch .LBB465_195
.LBB465_304:
	s_and_saveexec_b32 s18, s14
	s_cbranch_execnz .LBB465_360
; %bb.305:
	s_or_b32 exec_lo, exec_lo, s18
	s_and_saveexec_b32 s14, s13
	s_cbranch_execnz .LBB465_361
.LBB465_306:
	s_or_b32 exec_lo, exec_lo, s14
	s_and_saveexec_b32 s13, s12
	s_cbranch_execnz .LBB465_362
.LBB465_307:
	s_or_b32 exec_lo, exec_lo, s13
	s_and_saveexec_b32 s12, s11
	s_cbranch_execnz .LBB465_363
.LBB465_308:
	s_or_b32 exec_lo, exec_lo, s12
	s_and_saveexec_b32 s11, s10
	s_cbranch_execnz .LBB465_364
.LBB465_309:
	s_or_b32 exec_lo, exec_lo, s11
	s_and_saveexec_b32 s10, s9
	s_cbranch_execnz .LBB465_365
.LBB465_310:
	s_or_b32 exec_lo, exec_lo, s10
	s_and_saveexec_b32 s9, s8
	s_cbranch_execnz .LBB465_366
.LBB465_311:
	s_or_b32 exec_lo, exec_lo, s9
	s_and_saveexec_b32 s8, s7
	s_cbranch_execnz .LBB465_367
.LBB465_312:
	s_or_b32 exec_lo, exec_lo, s8
	s_and_saveexec_b32 s7, s6
	s_cbranch_execnz .LBB465_368
.LBB465_313:
	s_or_b32 exec_lo, exec_lo, s7
	s_and_saveexec_b32 s6, s5
	s_cbranch_execnz .LBB465_369
.LBB465_314:
	s_or_b32 exec_lo, exec_lo, s6
	s_and_saveexec_b32 s5, s4
	s_cbranch_execnz .LBB465_370
.LBB465_315:
	s_or_b32 exec_lo, exec_lo, s5
	s_and_saveexec_b32 s4, s3
	s_cbranch_execnz .LBB465_371
.LBB465_316:
	s_or_b32 exec_lo, exec_lo, s4
	s_and_saveexec_b32 s3, s2
	s_cbranch_execnz .LBB465_372
.LBB465_317:
	s_or_b32 exec_lo, exec_lo, s3
	s_and_saveexec_b32 s2, s1
	s_cbranch_execz .LBB465_319
.LBB465_318:
	v_sub_nc_u32_e32 v8, v37, v3
	s_delay_alu instid0(VALU_DEP_1)
	v_lshlrev_b32_e32 v8, 1, v8
	ds_store_b16 v8, v38
.LBB465_319:
	s_or_b32 exec_lo, exec_lo, s2
	s_delay_alu instid0(SALU_CYCLE_1)
	s_and_b32 s18, s0, exec_lo
                                        ; implicit-def: $vgpr55_vgpr56
                                        ; implicit-def: $vgpr51_vgpr52
                                        ; implicit-def: $vgpr49_vgpr50
                                        ; implicit-def: $vgpr47_vgpr48
                                        ; implicit-def: $vgpr35_vgpr36
                                        ; implicit-def: $vgpr33_vgpr34
                                        ; implicit-def: $vgpr31_vgpr32
                                        ; implicit-def: $vgpr53_vgpr54
                                        ; implicit-def: $vgpr57_vgpr58
                                        ; implicit-def: $vgpr45_vgpr46
                                        ; implicit-def: $vgpr43_vgpr44
                                        ; implicit-def: $vgpr39_vgpr40
                                        ; implicit-def: $vgpr41_vgpr42
                                        ; implicit-def: $vgpr37_vgpr38
	s_and_not1_saveexec_b32 s0, s16
	s_cbranch_execz .LBB465_199
.LBB465_320:
	v_sub_nc_u32_e32 v8, v55, v3
	v_sub_nc_u32_e32 v9, v51, v3
	;; [unrolled: 1-line block ×5, first 2 shown]
	v_lshlrev_b32_e32 v8, 1, v8
	v_lshlrev_b32_e32 v9, 1, v9
	;; [unrolled: 1-line block ×4, first 2 shown]
	s_or_b32 s18, s18, exec_lo
	ds_store_b16 v8, v56
	ds_store_b16 v9, v52
	;; [unrolled: 1-line block ×3, first 2 shown]
	v_sub_nc_u32_e32 v8, v35, v3
	v_sub_nc_u32_e32 v9, v33, v3
	;; [unrolled: 1-line block ×3, first 2 shown]
	ds_store_b16 v14, v48
	v_sub_nc_u32_e32 v14, v53, v3
	v_lshlrev_b32_e32 v8, 1, v8
	v_lshlrev_b32_e32 v9, 1, v9
	;; [unrolled: 1-line block ×3, first 2 shown]
	s_delay_alu instid0(VALU_DEP_4)
	v_lshlrev_b32_e32 v14, 1, v14
	ds_store_b16 v8, v36
	v_lshlrev_b32_e32 v8, 1, v15
	ds_store_b16 v9, v34
	ds_store_b16 v13, v32
	;; [unrolled: 1-line block ×3, first 2 shown]
	v_sub_nc_u32_e32 v9, v45, v3
	v_sub_nc_u32_e32 v15, v37, v3
	;; [unrolled: 1-line block ×3, first 2 shown]
	ds_store_b16 v8, v58
	v_sub_nc_u32_e32 v8, v43, v3
	v_lshlrev_b32_e32 v9, 1, v9
	v_sub_nc_u32_e32 v14, v41, v3
	v_lshlrev_b32_e32 v13, 1, v13
	s_delay_alu instid0(VALU_DEP_4)
	v_lshlrev_b32_e32 v8, 1, v8
	ds_store_b16 v9, v46
	v_lshlrev_b32_e32 v9, 1, v15
	v_lshlrev_b32_e32 v14, 1, v14
	ds_store_b16 v8, v44
	ds_store_b16 v13, v40
	;; [unrolled: 1-line block ×4, first 2 shown]
	s_or_b32 exec_lo, exec_lo, s0
	s_delay_alu instid0(SALU_CYCLE_1)
	s_and_b32 exec_lo, exec_lo, s18
	s_cbranch_execnz .LBB465_200
	s_branch .LBB465_201
.LBB465_321:
	v_sub_nc_u32_e32 v66, v55, v7
	v_mov_b32_e32 v67, 0
	s_delay_alu instid0(VALU_DEP_1) | instskip(NEXT) | instid1(VALU_DEP_1)
	v_lshlrev_b64 v[66:67], 1, v[66:67]
	v_add_co_u32 v66, vcc_lo, v6, v66
	s_delay_alu instid0(VALU_DEP_2)
	v_add_co_ci_u32_e32 v67, vcc_lo, v64, v67, vcc_lo
	global_store_b16 v[66:67], v63, off
	s_or_b32 exec_lo, exec_lo, s19
	s_and_saveexec_b32 s19, s14
	s_cbranch_execz .LBB465_255
.LBB465_322:
	v_sub_nc_u32_e32 v66, v51, v7
	v_mov_b32_e32 v67, 0
	s_delay_alu instid0(VALU_DEP_1) | instskip(NEXT) | instid1(VALU_DEP_1)
	v_lshlrev_b64 v[66:67], 1, v[66:67]
	v_add_co_u32 v66, vcc_lo, v6, v66
	s_delay_alu instid0(VALU_DEP_2)
	v_add_co_ci_u32_e32 v67, vcc_lo, v64, v67, vcc_lo
	global_store_b16 v[66:67], v1, off
	s_or_b32 exec_lo, exec_lo, s19
	s_and_saveexec_b32 s19, s13
	s_cbranch_execz .LBB465_256
.LBB465_323:
	v_sub_nc_u32_e32 v66, v49, v7
	v_mov_b32_e32 v67, 0
	s_delay_alu instid0(VALU_DEP_1) | instskip(NEXT) | instid1(VALU_DEP_1)
	v_lshlrev_b64 v[66:67], 1, v[66:67]
	v_add_co_u32 v66, vcc_lo, v6, v66
	s_delay_alu instid0(VALU_DEP_2)
	v_add_co_ci_u32_e32 v67, vcc_lo, v64, v67, vcc_lo
	global_store_d16_hi_b16 v[66:67], v1, off
	s_or_b32 exec_lo, exec_lo, s19
	s_and_saveexec_b32 s19, s12
	s_cbranch_execz .LBB465_257
.LBB465_324:
	v_sub_nc_u32_e32 v66, v47, v7
	v_mov_b32_e32 v67, 0
	s_delay_alu instid0(VALU_DEP_1) | instskip(NEXT) | instid1(VALU_DEP_1)
	v_lshlrev_b64 v[66:67], 1, v[66:67]
	v_add_co_u32 v66, vcc_lo, v6, v66
	s_delay_alu instid0(VALU_DEP_2)
	v_add_co_ci_u32_e32 v67, vcc_lo, v64, v67, vcc_lo
	global_store_b16 v[66:67], v2, off
	s_or_b32 exec_lo, exec_lo, s19
	s_and_saveexec_b32 s19, s11
	s_cbranch_execz .LBB465_258
.LBB465_325:
	v_sub_nc_u32_e32 v66, v35, v7
	v_mov_b32_e32 v67, 0
	s_delay_alu instid0(VALU_DEP_1) | instskip(NEXT) | instid1(VALU_DEP_1)
	v_lshlrev_b64 v[66:67], 1, v[66:67]
	v_add_co_u32 v66, vcc_lo, v6, v66
	s_delay_alu instid0(VALU_DEP_2)
	v_add_co_ci_u32_e32 v67, vcc_lo, v64, v67, vcc_lo
	global_store_d16_hi_b16 v[66:67], v2, off
	s_or_b32 exec_lo, exec_lo, s19
	s_and_saveexec_b32 s19, s10
	s_cbranch_execz .LBB465_259
.LBB465_326:
	v_sub_nc_u32_e32 v66, v33, v7
	v_mov_b32_e32 v67, 0
	s_delay_alu instid0(VALU_DEP_1) | instskip(NEXT) | instid1(VALU_DEP_1)
	v_lshlrev_b64 v[66:67], 1, v[66:67]
	v_add_co_u32 v66, vcc_lo, v6, v66
	s_delay_alu instid0(VALU_DEP_2)
	v_add_co_ci_u32_e32 v67, vcc_lo, v64, v67, vcc_lo
	global_store_b16 v[66:67], v3, off
	s_or_b32 exec_lo, exec_lo, s19
	s_and_saveexec_b32 s19, s8
	s_cbranch_execz .LBB465_260
.LBB465_327:
	v_sub_nc_u32_e32 v66, v31, v7
	v_mov_b32_e32 v67, 0
	s_delay_alu instid0(VALU_DEP_1) | instskip(NEXT) | instid1(VALU_DEP_1)
	v_lshlrev_b64 v[66:67], 1, v[66:67]
	v_add_co_u32 v66, vcc_lo, v6, v66
	s_delay_alu instid0(VALU_DEP_2)
	v_add_co_ci_u32_e32 v67, vcc_lo, v64, v67, vcc_lo
	global_store_d16_hi_b16 v[66:67], v3, off
	s_or_b32 exec_lo, exec_lo, s19
	s_and_saveexec_b32 s19, s6
	s_cbranch_execz .LBB465_261
.LBB465_328:
	v_sub_nc_u32_e32 v66, v53, v7
	v_mov_b32_e32 v67, 0
	s_delay_alu instid0(VALU_DEP_1) | instskip(NEXT) | instid1(VALU_DEP_1)
	v_lshlrev_b64 v[66:67], 1, v[66:67]
	v_add_co_u32 v66, vcc_lo, v6, v66
	s_delay_alu instid0(VALU_DEP_2)
	v_add_co_ci_u32_e32 v67, vcc_lo, v64, v67, vcc_lo
	global_store_b16 v[66:67], v4, off
	s_or_b32 exec_lo, exec_lo, s19
	s_and_saveexec_b32 s19, s9
	s_cbranch_execz .LBB465_262
.LBB465_329:
	v_sub_nc_u32_e32 v66, v57, v7
	v_mov_b32_e32 v67, 0
	s_delay_alu instid0(VALU_DEP_1) | instskip(NEXT) | instid1(VALU_DEP_1)
	v_lshlrev_b64 v[66:67], 1, v[66:67]
	v_add_co_u32 v66, vcc_lo, v6, v66
	s_delay_alu instid0(VALU_DEP_2)
	v_add_co_ci_u32_e32 v67, vcc_lo, v64, v67, vcc_lo
	global_store_d16_hi_b16 v[66:67], v4, off
	s_or_b32 exec_lo, exec_lo, s19
	s_and_saveexec_b32 s19, s7
	s_cbranch_execz .LBB465_263
.LBB465_330:
	v_sub_nc_u32_e32 v66, v45, v7
	v_mov_b32_e32 v67, 0
	s_delay_alu instid0(VALU_DEP_1) | instskip(NEXT) | instid1(VALU_DEP_1)
	v_lshlrev_b64 v[66:67], 1, v[66:67]
	v_add_co_u32 v66, vcc_lo, v6, v66
	s_delay_alu instid0(VALU_DEP_2)
	v_add_co_ci_u32_e32 v67, vcc_lo, v64, v67, vcc_lo
	global_store_b16 v[66:67], v10, off
	s_or_b32 exec_lo, exec_lo, s19
	s_and_saveexec_b32 s19, s5
	s_cbranch_execz .LBB465_264
.LBB465_331:
	v_sub_nc_u32_e32 v66, v43, v7
	v_mov_b32_e32 v67, 0
	s_delay_alu instid0(VALU_DEP_1) | instskip(NEXT) | instid1(VALU_DEP_1)
	v_lshlrev_b64 v[66:67], 1, v[66:67]
	v_add_co_u32 v66, vcc_lo, v6, v66
	s_delay_alu instid0(VALU_DEP_2)
	v_add_co_ci_u32_e32 v67, vcc_lo, v64, v67, vcc_lo
	global_store_d16_hi_b16 v[66:67], v10, off
	s_or_b32 exec_lo, exec_lo, s19
	s_and_saveexec_b32 s19, s4
	s_cbranch_execz .LBB465_265
.LBB465_332:
	v_sub_nc_u32_e32 v66, v39, v7
	v_mov_b32_e32 v67, 0
	s_delay_alu instid0(VALU_DEP_1) | instskip(NEXT) | instid1(VALU_DEP_1)
	v_lshlrev_b64 v[66:67], 1, v[66:67]
	v_add_co_u32 v66, vcc_lo, v6, v66
	s_delay_alu instid0(VALU_DEP_2)
	v_add_co_ci_u32_e32 v67, vcc_lo, v64, v67, vcc_lo
	global_store_b16 v[66:67], v11, off
	s_or_b32 exec_lo, exec_lo, s19
	s_and_saveexec_b32 s19, s3
	s_cbranch_execz .LBB465_266
.LBB465_333:
	v_sub_nc_u32_e32 v66, v41, v7
	v_mov_b32_e32 v67, 0
	s_delay_alu instid0(VALU_DEP_1) | instskip(NEXT) | instid1(VALU_DEP_1)
	v_lshlrev_b64 v[66:67], 1, v[66:67]
	v_add_co_u32 v66, vcc_lo, v6, v66
	s_delay_alu instid0(VALU_DEP_2)
	v_add_co_ci_u32_e32 v67, vcc_lo, v64, v67, vcc_lo
	global_store_d16_hi_b16 v[66:67], v11, off
	s_or_b32 exec_lo, exec_lo, s19
	s_and_saveexec_b32 s19, s1
	s_cbranch_execnz .LBB465_267
	s_branch .LBB465_268
.LBB465_334:
	v_sub_nc_u32_e32 v65, v55, v7
	s_delay_alu instid0(VALU_DEP_1)
	v_lshlrev_b32_e32 v65, 1, v65
	ds_store_b16 v65, v63
	s_or_b32 exec_lo, exec_lo, s19
	s_and_saveexec_b32 s15, s14
	s_cbranch_execz .LBB465_272
.LBB465_335:
	v_sub_nc_u32_e32 v63, v51, v7
	s_delay_alu instid0(VALU_DEP_1)
	v_lshlrev_b32_e32 v63, 1, v63
	ds_store_b16 v63, v1
	s_or_b32 exec_lo, exec_lo, s15
	s_and_saveexec_b32 s14, s13
	s_cbranch_execz .LBB465_273
.LBB465_336:
	v_sub_nc_u32_e32 v63, v49, v7
	s_delay_alu instid0(VALU_DEP_1)
	v_lshlrev_b32_e32 v63, 1, v63
	ds_store_b16_d16_hi v63, v1
	s_or_b32 exec_lo, exec_lo, s14
	s_and_saveexec_b32 s13, s12
	s_cbranch_execz .LBB465_274
.LBB465_337:
	v_sub_nc_u32_e32 v1, v47, v7
	s_delay_alu instid0(VALU_DEP_1)
	v_lshlrev_b32_e32 v1, 1, v1
	ds_store_b16 v1, v2
	s_or_b32 exec_lo, exec_lo, s13
	s_and_saveexec_b32 s12, s11
	s_cbranch_execz .LBB465_275
.LBB465_338:
	v_sub_nc_u32_e32 v1, v35, v7
	s_delay_alu instid0(VALU_DEP_1)
	v_lshlrev_b32_e32 v1, 1, v1
	ds_store_b16_d16_hi v1, v2
	s_or_b32 exec_lo, exec_lo, s12
	s_and_saveexec_b32 s11, s10
	s_cbranch_execz .LBB465_276
.LBB465_339:
	v_sub_nc_u32_e32 v1, v33, v7
	s_delay_alu instid0(VALU_DEP_1)
	v_lshlrev_b32_e32 v1, 1, v1
	ds_store_b16 v1, v3
	s_or_b32 exec_lo, exec_lo, s11
	s_and_saveexec_b32 s10, s8
	s_cbranch_execz .LBB465_277
.LBB465_340:
	v_sub_nc_u32_e32 v1, v31, v7
	s_delay_alu instid0(VALU_DEP_1)
	v_lshlrev_b32_e32 v1, 1, v1
	ds_store_b16_d16_hi v1, v3
	s_or_b32 exec_lo, exec_lo, s10
	s_and_saveexec_b32 s8, s6
	s_cbranch_execz .LBB465_278
.LBB465_341:
	v_sub_nc_u32_e32 v1, v53, v7
	s_delay_alu instid0(VALU_DEP_1)
	v_lshlrev_b32_e32 v1, 1, v1
	ds_store_b16 v1, v4
	s_or_b32 exec_lo, exec_lo, s8
	s_and_saveexec_b32 s6, s9
	s_cbranch_execz .LBB465_279
.LBB465_342:
	v_sub_nc_u32_e32 v1, v57, v7
	s_delay_alu instid0(VALU_DEP_1)
	v_lshlrev_b32_e32 v1, 1, v1
	ds_store_b16_d16_hi v1, v4
	s_or_b32 exec_lo, exec_lo, s6
	s_and_saveexec_b32 s6, s7
	s_cbranch_execz .LBB465_280
.LBB465_343:
	v_sub_nc_u32_e32 v1, v45, v7
	s_delay_alu instid0(VALU_DEP_1)
	v_lshlrev_b32_e32 v1, 1, v1
	ds_store_b16 v1, v10
	s_or_b32 exec_lo, exec_lo, s6
	s_and_saveexec_b32 s6, s5
	s_cbranch_execz .LBB465_281
.LBB465_344:
	v_sub_nc_u32_e32 v1, v43, v7
	s_delay_alu instid0(VALU_DEP_1)
	v_lshlrev_b32_e32 v1, 1, v1
	ds_store_b16_d16_hi v1, v10
	s_or_b32 exec_lo, exec_lo, s6
	s_and_saveexec_b32 s5, s4
	s_cbranch_execz .LBB465_282
.LBB465_345:
	v_sub_nc_u32_e32 v1, v39, v7
	s_delay_alu instid0(VALU_DEP_1)
	v_lshlrev_b32_e32 v1, 1, v1
	ds_store_b16 v1, v11
	s_or_b32 exec_lo, exec_lo, s5
	s_and_saveexec_b32 s4, s3
	s_cbranch_execz .LBB465_283
.LBB465_346:
	v_sub_nc_u32_e32 v1, v41, v7
	s_delay_alu instid0(VALU_DEP_1)
	v_lshlrev_b32_e32 v1, 1, v1
	ds_store_b16_d16_hi v1, v11
	s_or_b32 exec_lo, exec_lo, s4
	s_and_saveexec_b32 s3, s1
	s_cbranch_execnz .LBB465_284
	s_branch .LBB465_285
.LBB465_347:
	v_sub_nc_u32_e32 v13, v55, v3
	v_mov_b32_e32 v14, 0
	s_delay_alu instid0(VALU_DEP_1) | instskip(NEXT) | instid1(VALU_DEP_1)
	v_lshlrev_b64 v[13:14], 1, v[13:14]
	v_add_co_u32 v13, vcc_lo, v6, v13
	s_delay_alu instid0(VALU_DEP_2)
	v_add_co_ci_u32_e32 v14, vcc_lo, v12, v14, vcc_lo
	global_store_b16 v[13:14], v56, off
	s_or_b32 exec_lo, exec_lo, s18
	s_and_saveexec_b32 s18, s13
	s_cbranch_execz .LBB465_289
.LBB465_348:
	v_sub_nc_u32_e32 v13, v51, v3
	v_mov_b32_e32 v14, 0
	s_delay_alu instid0(VALU_DEP_1) | instskip(NEXT) | instid1(VALU_DEP_1)
	v_lshlrev_b64 v[13:14], 1, v[13:14]
	v_add_co_u32 v13, vcc_lo, v6, v13
	s_delay_alu instid0(VALU_DEP_2)
	v_add_co_ci_u32_e32 v14, vcc_lo, v12, v14, vcc_lo
	global_store_b16 v[13:14], v52, off
	s_or_b32 exec_lo, exec_lo, s18
	s_and_saveexec_b32 s18, s12
	s_cbranch_execz .LBB465_290
.LBB465_349:
	v_sub_nc_u32_e32 v13, v49, v3
	v_mov_b32_e32 v14, 0
	s_delay_alu instid0(VALU_DEP_1) | instskip(NEXT) | instid1(VALU_DEP_1)
	v_lshlrev_b64 v[13:14], 1, v[13:14]
	v_add_co_u32 v13, vcc_lo, v6, v13
	s_delay_alu instid0(VALU_DEP_2)
	v_add_co_ci_u32_e32 v14, vcc_lo, v12, v14, vcc_lo
	global_store_b16 v[13:14], v50, off
	s_or_b32 exec_lo, exec_lo, s18
	s_and_saveexec_b32 s18, s11
	s_cbranch_execz .LBB465_291
.LBB465_350:
	v_sub_nc_u32_e32 v13, v47, v3
	v_mov_b32_e32 v14, 0
	s_delay_alu instid0(VALU_DEP_1) | instskip(NEXT) | instid1(VALU_DEP_1)
	v_lshlrev_b64 v[13:14], 1, v[13:14]
	v_add_co_u32 v13, vcc_lo, v6, v13
	s_delay_alu instid0(VALU_DEP_2)
	v_add_co_ci_u32_e32 v14, vcc_lo, v12, v14, vcc_lo
	global_store_b16 v[13:14], v48, off
	s_or_b32 exec_lo, exec_lo, s18
	s_and_saveexec_b32 s18, s10
	s_cbranch_execz .LBB465_292
.LBB465_351:
	v_sub_nc_u32_e32 v13, v35, v3
	v_mov_b32_e32 v14, 0
	s_delay_alu instid0(VALU_DEP_1) | instskip(NEXT) | instid1(VALU_DEP_1)
	v_lshlrev_b64 v[13:14], 1, v[13:14]
	v_add_co_u32 v13, vcc_lo, v6, v13
	s_delay_alu instid0(VALU_DEP_2)
	v_add_co_ci_u32_e32 v14, vcc_lo, v12, v14, vcc_lo
	global_store_b16 v[13:14], v36, off
	s_or_b32 exec_lo, exec_lo, s18
	s_and_saveexec_b32 s18, s9
	s_cbranch_execz .LBB465_293
.LBB465_352:
	v_sub_nc_u32_e32 v13, v33, v3
	v_mov_b32_e32 v14, 0
	s_delay_alu instid0(VALU_DEP_1) | instskip(NEXT) | instid1(VALU_DEP_1)
	v_lshlrev_b64 v[13:14], 1, v[13:14]
	v_add_co_u32 v13, vcc_lo, v6, v13
	s_delay_alu instid0(VALU_DEP_2)
	v_add_co_ci_u32_e32 v14, vcc_lo, v12, v14, vcc_lo
	global_store_b16 v[13:14], v34, off
	s_or_b32 exec_lo, exec_lo, s18
	s_and_saveexec_b32 s18, s8
	s_cbranch_execz .LBB465_294
.LBB465_353:
	v_sub_nc_u32_e32 v13, v31, v3
	v_mov_b32_e32 v14, 0
	s_delay_alu instid0(VALU_DEP_1) | instskip(NEXT) | instid1(VALU_DEP_1)
	v_lshlrev_b64 v[13:14], 1, v[13:14]
	v_add_co_u32 v13, vcc_lo, v6, v13
	s_delay_alu instid0(VALU_DEP_2)
	v_add_co_ci_u32_e32 v14, vcc_lo, v12, v14, vcc_lo
	global_store_b16 v[13:14], v32, off
	s_or_b32 exec_lo, exec_lo, s18
	s_and_saveexec_b32 s18, s7
	s_cbranch_execz .LBB465_295
.LBB465_354:
	v_sub_nc_u32_e32 v13, v53, v3
	v_mov_b32_e32 v14, 0
	s_delay_alu instid0(VALU_DEP_1) | instskip(NEXT) | instid1(VALU_DEP_1)
	v_lshlrev_b64 v[13:14], 1, v[13:14]
	v_add_co_u32 v13, vcc_lo, v6, v13
	s_delay_alu instid0(VALU_DEP_2)
	v_add_co_ci_u32_e32 v14, vcc_lo, v12, v14, vcc_lo
	global_store_b16 v[13:14], v54, off
	s_or_b32 exec_lo, exec_lo, s18
	s_and_saveexec_b32 s18, s6
	s_cbranch_execz .LBB465_296
.LBB465_355:
	v_sub_nc_u32_e32 v13, v57, v3
	v_mov_b32_e32 v14, 0
	s_delay_alu instid0(VALU_DEP_1) | instskip(NEXT) | instid1(VALU_DEP_1)
	v_lshlrev_b64 v[13:14], 1, v[13:14]
	v_add_co_u32 v13, vcc_lo, v6, v13
	s_delay_alu instid0(VALU_DEP_2)
	v_add_co_ci_u32_e32 v14, vcc_lo, v12, v14, vcc_lo
	global_store_b16 v[13:14], v58, off
	s_or_b32 exec_lo, exec_lo, s18
	s_and_saveexec_b32 s18, s5
	s_cbranch_execz .LBB465_297
.LBB465_356:
	v_sub_nc_u32_e32 v13, v45, v3
	v_mov_b32_e32 v14, 0
	s_delay_alu instid0(VALU_DEP_1) | instskip(NEXT) | instid1(VALU_DEP_1)
	v_lshlrev_b64 v[13:14], 1, v[13:14]
	v_add_co_u32 v13, vcc_lo, v6, v13
	s_delay_alu instid0(VALU_DEP_2)
	v_add_co_ci_u32_e32 v14, vcc_lo, v12, v14, vcc_lo
	global_store_b16 v[13:14], v46, off
	s_or_b32 exec_lo, exec_lo, s18
	s_and_saveexec_b32 s18, s4
	s_cbranch_execz .LBB465_298
.LBB465_357:
	v_sub_nc_u32_e32 v13, v43, v3
	v_mov_b32_e32 v14, 0
	s_delay_alu instid0(VALU_DEP_1) | instskip(NEXT) | instid1(VALU_DEP_1)
	v_lshlrev_b64 v[13:14], 1, v[13:14]
	v_add_co_u32 v13, vcc_lo, v6, v13
	s_delay_alu instid0(VALU_DEP_2)
	v_add_co_ci_u32_e32 v14, vcc_lo, v12, v14, vcc_lo
	global_store_b16 v[13:14], v44, off
	s_or_b32 exec_lo, exec_lo, s18
	s_and_saveexec_b32 s18, s3
	s_cbranch_execz .LBB465_299
.LBB465_358:
	v_sub_nc_u32_e32 v13, v39, v3
	v_mov_b32_e32 v14, 0
	s_delay_alu instid0(VALU_DEP_1) | instskip(NEXT) | instid1(VALU_DEP_1)
	v_lshlrev_b64 v[13:14], 1, v[13:14]
	v_add_co_u32 v13, vcc_lo, v6, v13
	s_delay_alu instid0(VALU_DEP_2)
	v_add_co_ci_u32_e32 v14, vcc_lo, v12, v14, vcc_lo
	global_store_b16 v[13:14], v40, off
	s_or_b32 exec_lo, exec_lo, s18
	s_and_saveexec_b32 s18, s2
	s_cbranch_execz .LBB465_300
.LBB465_359:
	v_sub_nc_u32_e32 v13, v41, v3
	v_mov_b32_e32 v14, 0
	s_delay_alu instid0(VALU_DEP_1) | instskip(NEXT) | instid1(VALU_DEP_1)
	v_lshlrev_b64 v[13:14], 1, v[13:14]
	v_add_co_u32 v13, vcc_lo, v6, v13
	s_delay_alu instid0(VALU_DEP_2)
	v_add_co_ci_u32_e32 v14, vcc_lo, v12, v14, vcc_lo
	global_store_b16 v[13:14], v42, off
	s_or_b32 exec_lo, exec_lo, s18
	s_and_saveexec_b32 s18, s1
	s_cbranch_execnz .LBB465_301
	s_branch .LBB465_302
.LBB465_360:
	v_sub_nc_u32_e32 v8, v55, v3
	s_delay_alu instid0(VALU_DEP_1)
	v_lshlrev_b32_e32 v8, 1, v8
	ds_store_b16 v8, v56
	s_or_b32 exec_lo, exec_lo, s18
	s_and_saveexec_b32 s14, s13
	s_cbranch_execz .LBB465_306
.LBB465_361:
	v_sub_nc_u32_e32 v8, v51, v3
	s_delay_alu instid0(VALU_DEP_1)
	v_lshlrev_b32_e32 v8, 1, v8
	ds_store_b16 v8, v52
	s_or_b32 exec_lo, exec_lo, s14
	s_and_saveexec_b32 s13, s12
	s_cbranch_execz .LBB465_307
.LBB465_362:
	v_sub_nc_u32_e32 v8, v49, v3
	s_delay_alu instid0(VALU_DEP_1)
	v_lshlrev_b32_e32 v8, 1, v8
	ds_store_b16 v8, v50
	s_or_b32 exec_lo, exec_lo, s13
	s_and_saveexec_b32 s12, s11
	s_cbranch_execz .LBB465_308
.LBB465_363:
	v_sub_nc_u32_e32 v8, v47, v3
	s_delay_alu instid0(VALU_DEP_1)
	v_lshlrev_b32_e32 v8, 1, v8
	ds_store_b16 v8, v48
	s_or_b32 exec_lo, exec_lo, s12
	s_and_saveexec_b32 s11, s10
	s_cbranch_execz .LBB465_309
.LBB465_364:
	v_sub_nc_u32_e32 v8, v35, v3
	s_delay_alu instid0(VALU_DEP_1)
	v_lshlrev_b32_e32 v8, 1, v8
	ds_store_b16 v8, v36
	s_or_b32 exec_lo, exec_lo, s11
	s_and_saveexec_b32 s10, s9
	s_cbranch_execz .LBB465_310
.LBB465_365:
	v_sub_nc_u32_e32 v8, v33, v3
	s_delay_alu instid0(VALU_DEP_1)
	v_lshlrev_b32_e32 v8, 1, v8
	ds_store_b16 v8, v34
	s_or_b32 exec_lo, exec_lo, s10
	s_and_saveexec_b32 s9, s8
	s_cbranch_execz .LBB465_311
.LBB465_366:
	v_sub_nc_u32_e32 v8, v31, v3
	s_delay_alu instid0(VALU_DEP_1)
	v_lshlrev_b32_e32 v8, 1, v8
	ds_store_b16 v8, v32
	s_or_b32 exec_lo, exec_lo, s9
	s_and_saveexec_b32 s8, s7
	s_cbranch_execz .LBB465_312
.LBB465_367:
	v_sub_nc_u32_e32 v8, v53, v3
	s_delay_alu instid0(VALU_DEP_1)
	v_lshlrev_b32_e32 v8, 1, v8
	ds_store_b16 v8, v54
	s_or_b32 exec_lo, exec_lo, s8
	s_and_saveexec_b32 s7, s6
	s_cbranch_execz .LBB465_313
.LBB465_368:
	v_sub_nc_u32_e32 v8, v57, v3
	s_delay_alu instid0(VALU_DEP_1)
	v_lshlrev_b32_e32 v8, 1, v8
	ds_store_b16 v8, v58
	s_or_b32 exec_lo, exec_lo, s7
	s_and_saveexec_b32 s6, s5
	s_cbranch_execz .LBB465_314
.LBB465_369:
	v_sub_nc_u32_e32 v8, v45, v3
	s_delay_alu instid0(VALU_DEP_1)
	v_lshlrev_b32_e32 v8, 1, v8
	ds_store_b16 v8, v46
	s_or_b32 exec_lo, exec_lo, s6
	s_and_saveexec_b32 s5, s4
	s_cbranch_execz .LBB465_315
.LBB465_370:
	v_sub_nc_u32_e32 v8, v43, v3
	s_delay_alu instid0(VALU_DEP_1)
	v_lshlrev_b32_e32 v8, 1, v8
	ds_store_b16 v8, v44
	s_or_b32 exec_lo, exec_lo, s5
	s_and_saveexec_b32 s4, s3
	s_cbranch_execz .LBB465_316
.LBB465_371:
	v_sub_nc_u32_e32 v8, v39, v3
	s_delay_alu instid0(VALU_DEP_1)
	v_lshlrev_b32_e32 v8, 1, v8
	ds_store_b16 v8, v40
	s_or_b32 exec_lo, exec_lo, s4
	s_and_saveexec_b32 s3, s2
	s_cbranch_execz .LBB465_317
.LBB465_372:
	v_sub_nc_u32_e32 v8, v41, v3
	s_delay_alu instid0(VALU_DEP_1)
	v_lshlrev_b32_e32 v8, 1, v8
	ds_store_b16 v8, v42
	s_or_b32 exec_lo, exec_lo, s3
	s_and_saveexec_b32 s2, s1
	s_cbranch_execnz .LBB465_318
	s_branch .LBB465_319
	.section	.rodata,"a",@progbits
	.p2align	6, 0x0
	.amdhsa_kernel _ZN7rocprim17ROCPRIM_400000_NS6detail17trampoline_kernelINS0_14default_configENS1_29reduce_by_key_config_selectorIttN6thrust23THRUST_200600_302600_NS4plusItEEEEZZNS1_33reduce_by_key_impl_wrapped_configILNS1_25lookback_scan_determinismE0ES3_S9_NS6_6detail15normal_iteratorINS6_10device_ptrItEEEESG_SG_SG_PmS8_22is_equal_div_10_reduceItEEE10hipError_tPvRmT2_T3_mT4_T5_T6_T7_T8_P12ihipStream_tbENKUlT_T0_E_clISt17integral_constantIbLb0EES10_IbLb1EEEEDaSW_SX_EUlSW_E_NS1_11comp_targetILNS1_3genE9ELNS1_11target_archE1100ELNS1_3gpuE3ELNS1_3repE0EEENS1_30default_config_static_selectorELNS0_4arch9wavefront6targetE0EEEvT1_
		.amdhsa_group_segment_fixed_size 7680
		.amdhsa_private_segment_fixed_size 0
		.amdhsa_kernarg_size 120
		.amdhsa_user_sgpr_count 15
		.amdhsa_user_sgpr_dispatch_ptr 0
		.amdhsa_user_sgpr_queue_ptr 0
		.amdhsa_user_sgpr_kernarg_segment_ptr 1
		.amdhsa_user_sgpr_dispatch_id 0
		.amdhsa_user_sgpr_private_segment_size 0
		.amdhsa_wavefront_size32 1
		.amdhsa_uses_dynamic_stack 0
		.amdhsa_enable_private_segment 0
		.amdhsa_system_sgpr_workgroup_id_x 1
		.amdhsa_system_sgpr_workgroup_id_y 0
		.amdhsa_system_sgpr_workgroup_id_z 0
		.amdhsa_system_sgpr_workgroup_info 0
		.amdhsa_system_vgpr_workitem_id 0
		.amdhsa_next_free_vgpr 102
		.amdhsa_next_free_sgpr 44
		.amdhsa_reserve_vcc 1
		.amdhsa_float_round_mode_32 0
		.amdhsa_float_round_mode_16_64 0
		.amdhsa_float_denorm_mode_32 3
		.amdhsa_float_denorm_mode_16_64 3
		.amdhsa_dx10_clamp 1
		.amdhsa_ieee_mode 1
		.amdhsa_fp16_overflow 0
		.amdhsa_workgroup_processor_mode 1
		.amdhsa_memory_ordered 1
		.amdhsa_forward_progress 0
		.amdhsa_shared_vgpr_count 0
		.amdhsa_exception_fp_ieee_invalid_op 0
		.amdhsa_exception_fp_denorm_src 0
		.amdhsa_exception_fp_ieee_div_zero 0
		.amdhsa_exception_fp_ieee_overflow 0
		.amdhsa_exception_fp_ieee_underflow 0
		.amdhsa_exception_fp_ieee_inexact 0
		.amdhsa_exception_int_div_zero 0
	.end_amdhsa_kernel
	.section	.text._ZN7rocprim17ROCPRIM_400000_NS6detail17trampoline_kernelINS0_14default_configENS1_29reduce_by_key_config_selectorIttN6thrust23THRUST_200600_302600_NS4plusItEEEEZZNS1_33reduce_by_key_impl_wrapped_configILNS1_25lookback_scan_determinismE0ES3_S9_NS6_6detail15normal_iteratorINS6_10device_ptrItEEEESG_SG_SG_PmS8_22is_equal_div_10_reduceItEEE10hipError_tPvRmT2_T3_mT4_T5_T6_T7_T8_P12ihipStream_tbENKUlT_T0_E_clISt17integral_constantIbLb0EES10_IbLb1EEEEDaSW_SX_EUlSW_E_NS1_11comp_targetILNS1_3genE9ELNS1_11target_archE1100ELNS1_3gpuE3ELNS1_3repE0EEENS1_30default_config_static_selectorELNS0_4arch9wavefront6targetE0EEEvT1_,"axG",@progbits,_ZN7rocprim17ROCPRIM_400000_NS6detail17trampoline_kernelINS0_14default_configENS1_29reduce_by_key_config_selectorIttN6thrust23THRUST_200600_302600_NS4plusItEEEEZZNS1_33reduce_by_key_impl_wrapped_configILNS1_25lookback_scan_determinismE0ES3_S9_NS6_6detail15normal_iteratorINS6_10device_ptrItEEEESG_SG_SG_PmS8_22is_equal_div_10_reduceItEEE10hipError_tPvRmT2_T3_mT4_T5_T6_T7_T8_P12ihipStream_tbENKUlT_T0_E_clISt17integral_constantIbLb0EES10_IbLb1EEEEDaSW_SX_EUlSW_E_NS1_11comp_targetILNS1_3genE9ELNS1_11target_archE1100ELNS1_3gpuE3ELNS1_3repE0EEENS1_30default_config_static_selectorELNS0_4arch9wavefront6targetE0EEEvT1_,comdat
.Lfunc_end465:
	.size	_ZN7rocprim17ROCPRIM_400000_NS6detail17trampoline_kernelINS0_14default_configENS1_29reduce_by_key_config_selectorIttN6thrust23THRUST_200600_302600_NS4plusItEEEEZZNS1_33reduce_by_key_impl_wrapped_configILNS1_25lookback_scan_determinismE0ES3_S9_NS6_6detail15normal_iteratorINS6_10device_ptrItEEEESG_SG_SG_PmS8_22is_equal_div_10_reduceItEEE10hipError_tPvRmT2_T3_mT4_T5_T6_T7_T8_P12ihipStream_tbENKUlT_T0_E_clISt17integral_constantIbLb0EES10_IbLb1EEEEDaSW_SX_EUlSW_E_NS1_11comp_targetILNS1_3genE9ELNS1_11target_archE1100ELNS1_3gpuE3ELNS1_3repE0EEENS1_30default_config_static_selectorELNS0_4arch9wavefront6targetE0EEEvT1_, .Lfunc_end465-_ZN7rocprim17ROCPRIM_400000_NS6detail17trampoline_kernelINS0_14default_configENS1_29reduce_by_key_config_selectorIttN6thrust23THRUST_200600_302600_NS4plusItEEEEZZNS1_33reduce_by_key_impl_wrapped_configILNS1_25lookback_scan_determinismE0ES3_S9_NS6_6detail15normal_iteratorINS6_10device_ptrItEEEESG_SG_SG_PmS8_22is_equal_div_10_reduceItEEE10hipError_tPvRmT2_T3_mT4_T5_T6_T7_T8_P12ihipStream_tbENKUlT_T0_E_clISt17integral_constantIbLb0EES10_IbLb1EEEEDaSW_SX_EUlSW_E_NS1_11comp_targetILNS1_3genE9ELNS1_11target_archE1100ELNS1_3gpuE3ELNS1_3repE0EEENS1_30default_config_static_selectorELNS0_4arch9wavefront6targetE0EEEvT1_
                                        ; -- End function
	.section	.AMDGPU.csdata,"",@progbits
; Kernel info:
; codeLenInByte = 23332
; NumSgprs: 46
; NumVgprs: 102
; ScratchSize: 0
; MemoryBound: 0
; FloatMode: 240
; IeeeMode: 1
; LDSByteSize: 7680 bytes/workgroup (compile time only)
; SGPRBlocks: 5
; VGPRBlocks: 12
; NumSGPRsForWavesPerEU: 46
; NumVGPRsForWavesPerEU: 102
; Occupancy: 12
; WaveLimiterHint : 1
; COMPUTE_PGM_RSRC2:SCRATCH_EN: 0
; COMPUTE_PGM_RSRC2:USER_SGPR: 15
; COMPUTE_PGM_RSRC2:TRAP_HANDLER: 0
; COMPUTE_PGM_RSRC2:TGID_X_EN: 1
; COMPUTE_PGM_RSRC2:TGID_Y_EN: 0
; COMPUTE_PGM_RSRC2:TGID_Z_EN: 0
; COMPUTE_PGM_RSRC2:TIDIG_COMP_CNT: 0
	.section	.text._ZN7rocprim17ROCPRIM_400000_NS6detail17trampoline_kernelINS0_14default_configENS1_29reduce_by_key_config_selectorIttN6thrust23THRUST_200600_302600_NS4plusItEEEEZZNS1_33reduce_by_key_impl_wrapped_configILNS1_25lookback_scan_determinismE0ES3_S9_NS6_6detail15normal_iteratorINS6_10device_ptrItEEEESG_SG_SG_PmS8_22is_equal_div_10_reduceItEEE10hipError_tPvRmT2_T3_mT4_T5_T6_T7_T8_P12ihipStream_tbENKUlT_T0_E_clISt17integral_constantIbLb0EES10_IbLb1EEEEDaSW_SX_EUlSW_E_NS1_11comp_targetILNS1_3genE8ELNS1_11target_archE1030ELNS1_3gpuE2ELNS1_3repE0EEENS1_30default_config_static_selectorELNS0_4arch9wavefront6targetE0EEEvT1_,"axG",@progbits,_ZN7rocprim17ROCPRIM_400000_NS6detail17trampoline_kernelINS0_14default_configENS1_29reduce_by_key_config_selectorIttN6thrust23THRUST_200600_302600_NS4plusItEEEEZZNS1_33reduce_by_key_impl_wrapped_configILNS1_25lookback_scan_determinismE0ES3_S9_NS6_6detail15normal_iteratorINS6_10device_ptrItEEEESG_SG_SG_PmS8_22is_equal_div_10_reduceItEEE10hipError_tPvRmT2_T3_mT4_T5_T6_T7_T8_P12ihipStream_tbENKUlT_T0_E_clISt17integral_constantIbLb0EES10_IbLb1EEEEDaSW_SX_EUlSW_E_NS1_11comp_targetILNS1_3genE8ELNS1_11target_archE1030ELNS1_3gpuE2ELNS1_3repE0EEENS1_30default_config_static_selectorELNS0_4arch9wavefront6targetE0EEEvT1_,comdat
	.protected	_ZN7rocprim17ROCPRIM_400000_NS6detail17trampoline_kernelINS0_14default_configENS1_29reduce_by_key_config_selectorIttN6thrust23THRUST_200600_302600_NS4plusItEEEEZZNS1_33reduce_by_key_impl_wrapped_configILNS1_25lookback_scan_determinismE0ES3_S9_NS6_6detail15normal_iteratorINS6_10device_ptrItEEEESG_SG_SG_PmS8_22is_equal_div_10_reduceItEEE10hipError_tPvRmT2_T3_mT4_T5_T6_T7_T8_P12ihipStream_tbENKUlT_T0_E_clISt17integral_constantIbLb0EES10_IbLb1EEEEDaSW_SX_EUlSW_E_NS1_11comp_targetILNS1_3genE8ELNS1_11target_archE1030ELNS1_3gpuE2ELNS1_3repE0EEENS1_30default_config_static_selectorELNS0_4arch9wavefront6targetE0EEEvT1_ ; -- Begin function _ZN7rocprim17ROCPRIM_400000_NS6detail17trampoline_kernelINS0_14default_configENS1_29reduce_by_key_config_selectorIttN6thrust23THRUST_200600_302600_NS4plusItEEEEZZNS1_33reduce_by_key_impl_wrapped_configILNS1_25lookback_scan_determinismE0ES3_S9_NS6_6detail15normal_iteratorINS6_10device_ptrItEEEESG_SG_SG_PmS8_22is_equal_div_10_reduceItEEE10hipError_tPvRmT2_T3_mT4_T5_T6_T7_T8_P12ihipStream_tbENKUlT_T0_E_clISt17integral_constantIbLb0EES10_IbLb1EEEEDaSW_SX_EUlSW_E_NS1_11comp_targetILNS1_3genE8ELNS1_11target_archE1030ELNS1_3gpuE2ELNS1_3repE0EEENS1_30default_config_static_selectorELNS0_4arch9wavefront6targetE0EEEvT1_
	.globl	_ZN7rocprim17ROCPRIM_400000_NS6detail17trampoline_kernelINS0_14default_configENS1_29reduce_by_key_config_selectorIttN6thrust23THRUST_200600_302600_NS4plusItEEEEZZNS1_33reduce_by_key_impl_wrapped_configILNS1_25lookback_scan_determinismE0ES3_S9_NS6_6detail15normal_iteratorINS6_10device_ptrItEEEESG_SG_SG_PmS8_22is_equal_div_10_reduceItEEE10hipError_tPvRmT2_T3_mT4_T5_T6_T7_T8_P12ihipStream_tbENKUlT_T0_E_clISt17integral_constantIbLb0EES10_IbLb1EEEEDaSW_SX_EUlSW_E_NS1_11comp_targetILNS1_3genE8ELNS1_11target_archE1030ELNS1_3gpuE2ELNS1_3repE0EEENS1_30default_config_static_selectorELNS0_4arch9wavefront6targetE0EEEvT1_
	.p2align	8
	.type	_ZN7rocprim17ROCPRIM_400000_NS6detail17trampoline_kernelINS0_14default_configENS1_29reduce_by_key_config_selectorIttN6thrust23THRUST_200600_302600_NS4plusItEEEEZZNS1_33reduce_by_key_impl_wrapped_configILNS1_25lookback_scan_determinismE0ES3_S9_NS6_6detail15normal_iteratorINS6_10device_ptrItEEEESG_SG_SG_PmS8_22is_equal_div_10_reduceItEEE10hipError_tPvRmT2_T3_mT4_T5_T6_T7_T8_P12ihipStream_tbENKUlT_T0_E_clISt17integral_constantIbLb0EES10_IbLb1EEEEDaSW_SX_EUlSW_E_NS1_11comp_targetILNS1_3genE8ELNS1_11target_archE1030ELNS1_3gpuE2ELNS1_3repE0EEENS1_30default_config_static_selectorELNS0_4arch9wavefront6targetE0EEEvT1_,@function
_ZN7rocprim17ROCPRIM_400000_NS6detail17trampoline_kernelINS0_14default_configENS1_29reduce_by_key_config_selectorIttN6thrust23THRUST_200600_302600_NS4plusItEEEEZZNS1_33reduce_by_key_impl_wrapped_configILNS1_25lookback_scan_determinismE0ES3_S9_NS6_6detail15normal_iteratorINS6_10device_ptrItEEEESG_SG_SG_PmS8_22is_equal_div_10_reduceItEEE10hipError_tPvRmT2_T3_mT4_T5_T6_T7_T8_P12ihipStream_tbENKUlT_T0_E_clISt17integral_constantIbLb0EES10_IbLb1EEEEDaSW_SX_EUlSW_E_NS1_11comp_targetILNS1_3genE8ELNS1_11target_archE1030ELNS1_3gpuE2ELNS1_3repE0EEENS1_30default_config_static_selectorELNS0_4arch9wavefront6targetE0EEEvT1_: ; @_ZN7rocprim17ROCPRIM_400000_NS6detail17trampoline_kernelINS0_14default_configENS1_29reduce_by_key_config_selectorIttN6thrust23THRUST_200600_302600_NS4plusItEEEEZZNS1_33reduce_by_key_impl_wrapped_configILNS1_25lookback_scan_determinismE0ES3_S9_NS6_6detail15normal_iteratorINS6_10device_ptrItEEEESG_SG_SG_PmS8_22is_equal_div_10_reduceItEEE10hipError_tPvRmT2_T3_mT4_T5_T6_T7_T8_P12ihipStream_tbENKUlT_T0_E_clISt17integral_constantIbLb0EES10_IbLb1EEEEDaSW_SX_EUlSW_E_NS1_11comp_targetILNS1_3genE8ELNS1_11target_archE1030ELNS1_3gpuE2ELNS1_3repE0EEENS1_30default_config_static_selectorELNS0_4arch9wavefront6targetE0EEEvT1_
; %bb.0:
	.section	.rodata,"a",@progbits
	.p2align	6, 0x0
	.amdhsa_kernel _ZN7rocprim17ROCPRIM_400000_NS6detail17trampoline_kernelINS0_14default_configENS1_29reduce_by_key_config_selectorIttN6thrust23THRUST_200600_302600_NS4plusItEEEEZZNS1_33reduce_by_key_impl_wrapped_configILNS1_25lookback_scan_determinismE0ES3_S9_NS6_6detail15normal_iteratorINS6_10device_ptrItEEEESG_SG_SG_PmS8_22is_equal_div_10_reduceItEEE10hipError_tPvRmT2_T3_mT4_T5_T6_T7_T8_P12ihipStream_tbENKUlT_T0_E_clISt17integral_constantIbLb0EES10_IbLb1EEEEDaSW_SX_EUlSW_E_NS1_11comp_targetILNS1_3genE8ELNS1_11target_archE1030ELNS1_3gpuE2ELNS1_3repE0EEENS1_30default_config_static_selectorELNS0_4arch9wavefront6targetE0EEEvT1_
		.amdhsa_group_segment_fixed_size 0
		.amdhsa_private_segment_fixed_size 0
		.amdhsa_kernarg_size 120
		.amdhsa_user_sgpr_count 15
		.amdhsa_user_sgpr_dispatch_ptr 0
		.amdhsa_user_sgpr_queue_ptr 0
		.amdhsa_user_sgpr_kernarg_segment_ptr 1
		.amdhsa_user_sgpr_dispatch_id 0
		.amdhsa_user_sgpr_private_segment_size 0
		.amdhsa_wavefront_size32 1
		.amdhsa_uses_dynamic_stack 0
		.amdhsa_enable_private_segment 0
		.amdhsa_system_sgpr_workgroup_id_x 1
		.amdhsa_system_sgpr_workgroup_id_y 0
		.amdhsa_system_sgpr_workgroup_id_z 0
		.amdhsa_system_sgpr_workgroup_info 0
		.amdhsa_system_vgpr_workitem_id 0
		.amdhsa_next_free_vgpr 1
		.amdhsa_next_free_sgpr 1
		.amdhsa_reserve_vcc 0
		.amdhsa_float_round_mode_32 0
		.amdhsa_float_round_mode_16_64 0
		.amdhsa_float_denorm_mode_32 3
		.amdhsa_float_denorm_mode_16_64 3
		.amdhsa_dx10_clamp 1
		.amdhsa_ieee_mode 1
		.amdhsa_fp16_overflow 0
		.amdhsa_workgroup_processor_mode 1
		.amdhsa_memory_ordered 1
		.amdhsa_forward_progress 0
		.amdhsa_shared_vgpr_count 0
		.amdhsa_exception_fp_ieee_invalid_op 0
		.amdhsa_exception_fp_denorm_src 0
		.amdhsa_exception_fp_ieee_div_zero 0
		.amdhsa_exception_fp_ieee_overflow 0
		.amdhsa_exception_fp_ieee_underflow 0
		.amdhsa_exception_fp_ieee_inexact 0
		.amdhsa_exception_int_div_zero 0
	.end_amdhsa_kernel
	.section	.text._ZN7rocprim17ROCPRIM_400000_NS6detail17trampoline_kernelINS0_14default_configENS1_29reduce_by_key_config_selectorIttN6thrust23THRUST_200600_302600_NS4plusItEEEEZZNS1_33reduce_by_key_impl_wrapped_configILNS1_25lookback_scan_determinismE0ES3_S9_NS6_6detail15normal_iteratorINS6_10device_ptrItEEEESG_SG_SG_PmS8_22is_equal_div_10_reduceItEEE10hipError_tPvRmT2_T3_mT4_T5_T6_T7_T8_P12ihipStream_tbENKUlT_T0_E_clISt17integral_constantIbLb0EES10_IbLb1EEEEDaSW_SX_EUlSW_E_NS1_11comp_targetILNS1_3genE8ELNS1_11target_archE1030ELNS1_3gpuE2ELNS1_3repE0EEENS1_30default_config_static_selectorELNS0_4arch9wavefront6targetE0EEEvT1_,"axG",@progbits,_ZN7rocprim17ROCPRIM_400000_NS6detail17trampoline_kernelINS0_14default_configENS1_29reduce_by_key_config_selectorIttN6thrust23THRUST_200600_302600_NS4plusItEEEEZZNS1_33reduce_by_key_impl_wrapped_configILNS1_25lookback_scan_determinismE0ES3_S9_NS6_6detail15normal_iteratorINS6_10device_ptrItEEEESG_SG_SG_PmS8_22is_equal_div_10_reduceItEEE10hipError_tPvRmT2_T3_mT4_T5_T6_T7_T8_P12ihipStream_tbENKUlT_T0_E_clISt17integral_constantIbLb0EES10_IbLb1EEEEDaSW_SX_EUlSW_E_NS1_11comp_targetILNS1_3genE8ELNS1_11target_archE1030ELNS1_3gpuE2ELNS1_3repE0EEENS1_30default_config_static_selectorELNS0_4arch9wavefront6targetE0EEEvT1_,comdat
.Lfunc_end466:
	.size	_ZN7rocprim17ROCPRIM_400000_NS6detail17trampoline_kernelINS0_14default_configENS1_29reduce_by_key_config_selectorIttN6thrust23THRUST_200600_302600_NS4plusItEEEEZZNS1_33reduce_by_key_impl_wrapped_configILNS1_25lookback_scan_determinismE0ES3_S9_NS6_6detail15normal_iteratorINS6_10device_ptrItEEEESG_SG_SG_PmS8_22is_equal_div_10_reduceItEEE10hipError_tPvRmT2_T3_mT4_T5_T6_T7_T8_P12ihipStream_tbENKUlT_T0_E_clISt17integral_constantIbLb0EES10_IbLb1EEEEDaSW_SX_EUlSW_E_NS1_11comp_targetILNS1_3genE8ELNS1_11target_archE1030ELNS1_3gpuE2ELNS1_3repE0EEENS1_30default_config_static_selectorELNS0_4arch9wavefront6targetE0EEEvT1_, .Lfunc_end466-_ZN7rocprim17ROCPRIM_400000_NS6detail17trampoline_kernelINS0_14default_configENS1_29reduce_by_key_config_selectorIttN6thrust23THRUST_200600_302600_NS4plusItEEEEZZNS1_33reduce_by_key_impl_wrapped_configILNS1_25lookback_scan_determinismE0ES3_S9_NS6_6detail15normal_iteratorINS6_10device_ptrItEEEESG_SG_SG_PmS8_22is_equal_div_10_reduceItEEE10hipError_tPvRmT2_T3_mT4_T5_T6_T7_T8_P12ihipStream_tbENKUlT_T0_E_clISt17integral_constantIbLb0EES10_IbLb1EEEEDaSW_SX_EUlSW_E_NS1_11comp_targetILNS1_3genE8ELNS1_11target_archE1030ELNS1_3gpuE2ELNS1_3repE0EEENS1_30default_config_static_selectorELNS0_4arch9wavefront6targetE0EEEvT1_
                                        ; -- End function
	.section	.AMDGPU.csdata,"",@progbits
; Kernel info:
; codeLenInByte = 0
; NumSgprs: 0
; NumVgprs: 0
; ScratchSize: 0
; MemoryBound: 0
; FloatMode: 240
; IeeeMode: 1
; LDSByteSize: 0 bytes/workgroup (compile time only)
; SGPRBlocks: 0
; VGPRBlocks: 0
; NumSGPRsForWavesPerEU: 1
; NumVGPRsForWavesPerEU: 1
; Occupancy: 16
; WaveLimiterHint : 0
; COMPUTE_PGM_RSRC2:SCRATCH_EN: 0
; COMPUTE_PGM_RSRC2:USER_SGPR: 15
; COMPUTE_PGM_RSRC2:TRAP_HANDLER: 0
; COMPUTE_PGM_RSRC2:TGID_X_EN: 1
; COMPUTE_PGM_RSRC2:TGID_Y_EN: 0
; COMPUTE_PGM_RSRC2:TGID_Z_EN: 0
; COMPUTE_PGM_RSRC2:TIDIG_COMP_CNT: 0
	.section	.text._ZN6thrust23THRUST_200600_302600_NS11hip_rocprim14__parallel_for6kernelILj256ENS1_20__uninitialized_fill7functorINS0_10device_ptrIxEExEEmLj1EEEvT0_T1_SA_,"axG",@progbits,_ZN6thrust23THRUST_200600_302600_NS11hip_rocprim14__parallel_for6kernelILj256ENS1_20__uninitialized_fill7functorINS0_10device_ptrIxEExEEmLj1EEEvT0_T1_SA_,comdat
	.protected	_ZN6thrust23THRUST_200600_302600_NS11hip_rocprim14__parallel_for6kernelILj256ENS1_20__uninitialized_fill7functorINS0_10device_ptrIxEExEEmLj1EEEvT0_T1_SA_ ; -- Begin function _ZN6thrust23THRUST_200600_302600_NS11hip_rocprim14__parallel_for6kernelILj256ENS1_20__uninitialized_fill7functorINS0_10device_ptrIxEExEEmLj1EEEvT0_T1_SA_
	.globl	_ZN6thrust23THRUST_200600_302600_NS11hip_rocprim14__parallel_for6kernelILj256ENS1_20__uninitialized_fill7functorINS0_10device_ptrIxEExEEmLj1EEEvT0_T1_SA_
	.p2align	8
	.type	_ZN6thrust23THRUST_200600_302600_NS11hip_rocprim14__parallel_for6kernelILj256ENS1_20__uninitialized_fill7functorINS0_10device_ptrIxEExEEmLj1EEEvT0_T1_SA_,@function
_ZN6thrust23THRUST_200600_302600_NS11hip_rocprim14__parallel_for6kernelILj256ENS1_20__uninitialized_fill7functorINS0_10device_ptrIxEExEEmLj1EEEvT0_T1_SA_: ; @_ZN6thrust23THRUST_200600_302600_NS11hip_rocprim14__parallel_for6kernelILj256ENS1_20__uninitialized_fill7functorINS0_10device_ptrIxEExEEmLj1EEEvT0_T1_SA_
; %bb.0:
	s_load_b256 s[0:7], s[0:1], 0x0
	s_lshl_b32 s8, s15, 8
	s_waitcnt lgkmcnt(0)
	s_add_u32 s6, s8, s6
	s_addc_u32 s7, 0, s7
	s_sub_u32 s4, s4, s6
	s_subb_u32 s5, s5, s7
	s_delay_alu instid0(SALU_CYCLE_1) | instskip(NEXT) | instid1(VALU_DEP_1)
	v_cmp_gt_u64_e64 s5, 0x100, s[4:5]
	s_and_b32 vcc_lo, exec_lo, s5
	s_mov_b32 s5, 0
	s_cbranch_vccz .LBB467_2
; %bb.1:
	v_cmp_gt_u32_e32 vcc_lo, s4, v0
	s_and_b32 s5, vcc_lo, exec_lo
	s_cbranch_execz .LBB467_3
	s_branch .LBB467_4
.LBB467_2:
.LBB467_3:
	s_or_b32 s5, s5, exec_lo
.LBB467_4:
	s_delay_alu instid0(SALU_CYCLE_1)
	s_and_saveexec_b32 s4, s5
	s_cbranch_execnz .LBB467_6
; %bb.5:
	s_endpgm
.LBB467_6:
	v_dual_mov_b32 v1, 0 :: v_dual_mov_b32 v2, s2
	s_lshl_b64 s[4:5], s[6:7], 3
	v_mov_b32_e32 v3, s3
	s_add_u32 s0, s0, s4
	s_delay_alu instid0(VALU_DEP_2) | instskip(SKIP_1) | instid1(VALU_DEP_1)
	v_lshlrev_b64 v[0:1], 3, v[0:1]
	s_addc_u32 s1, s1, s5
	v_add_co_u32 v0, vcc_lo, s0, v0
	s_delay_alu instid0(VALU_DEP_2)
	v_add_co_ci_u32_e32 v1, vcc_lo, s1, v1, vcc_lo
	flat_store_b64 v[0:1], v[2:3]
	s_endpgm
	.section	.rodata,"a",@progbits
	.p2align	6, 0x0
	.amdhsa_kernel _ZN6thrust23THRUST_200600_302600_NS11hip_rocprim14__parallel_for6kernelILj256ENS1_20__uninitialized_fill7functorINS0_10device_ptrIxEExEEmLj1EEEvT0_T1_SA_
		.amdhsa_group_segment_fixed_size 0
		.amdhsa_private_segment_fixed_size 0
		.amdhsa_kernarg_size 32
		.amdhsa_user_sgpr_count 15
		.amdhsa_user_sgpr_dispatch_ptr 0
		.amdhsa_user_sgpr_queue_ptr 0
		.amdhsa_user_sgpr_kernarg_segment_ptr 1
		.amdhsa_user_sgpr_dispatch_id 0
		.amdhsa_user_sgpr_private_segment_size 0
		.amdhsa_wavefront_size32 1
		.amdhsa_uses_dynamic_stack 0
		.amdhsa_enable_private_segment 0
		.amdhsa_system_sgpr_workgroup_id_x 1
		.amdhsa_system_sgpr_workgroup_id_y 0
		.amdhsa_system_sgpr_workgroup_id_z 0
		.amdhsa_system_sgpr_workgroup_info 0
		.amdhsa_system_vgpr_workitem_id 0
		.amdhsa_next_free_vgpr 4
		.amdhsa_next_free_sgpr 16
		.amdhsa_reserve_vcc 1
		.amdhsa_float_round_mode_32 0
		.amdhsa_float_round_mode_16_64 0
		.amdhsa_float_denorm_mode_32 3
		.amdhsa_float_denorm_mode_16_64 3
		.amdhsa_dx10_clamp 1
		.amdhsa_ieee_mode 1
		.amdhsa_fp16_overflow 0
		.amdhsa_workgroup_processor_mode 1
		.amdhsa_memory_ordered 1
		.amdhsa_forward_progress 0
		.amdhsa_shared_vgpr_count 0
		.amdhsa_exception_fp_ieee_invalid_op 0
		.amdhsa_exception_fp_denorm_src 0
		.amdhsa_exception_fp_ieee_div_zero 0
		.amdhsa_exception_fp_ieee_overflow 0
		.amdhsa_exception_fp_ieee_underflow 0
		.amdhsa_exception_fp_ieee_inexact 0
		.amdhsa_exception_int_div_zero 0
	.end_amdhsa_kernel
	.section	.text._ZN6thrust23THRUST_200600_302600_NS11hip_rocprim14__parallel_for6kernelILj256ENS1_20__uninitialized_fill7functorINS0_10device_ptrIxEExEEmLj1EEEvT0_T1_SA_,"axG",@progbits,_ZN6thrust23THRUST_200600_302600_NS11hip_rocprim14__parallel_for6kernelILj256ENS1_20__uninitialized_fill7functorINS0_10device_ptrIxEExEEmLj1EEEvT0_T1_SA_,comdat
.Lfunc_end467:
	.size	_ZN6thrust23THRUST_200600_302600_NS11hip_rocprim14__parallel_for6kernelILj256ENS1_20__uninitialized_fill7functorINS0_10device_ptrIxEExEEmLj1EEEvT0_T1_SA_, .Lfunc_end467-_ZN6thrust23THRUST_200600_302600_NS11hip_rocprim14__parallel_for6kernelILj256ENS1_20__uninitialized_fill7functorINS0_10device_ptrIxEExEEmLj1EEEvT0_T1_SA_
                                        ; -- End function
	.section	.AMDGPU.csdata,"",@progbits
; Kernel info:
; codeLenInByte = 160
; NumSgprs: 18
; NumVgprs: 4
; ScratchSize: 0
; MemoryBound: 0
; FloatMode: 240
; IeeeMode: 1
; LDSByteSize: 0 bytes/workgroup (compile time only)
; SGPRBlocks: 2
; VGPRBlocks: 0
; NumSGPRsForWavesPerEU: 18
; NumVGPRsForWavesPerEU: 4
; Occupancy: 16
; WaveLimiterHint : 0
; COMPUTE_PGM_RSRC2:SCRATCH_EN: 0
; COMPUTE_PGM_RSRC2:USER_SGPR: 15
; COMPUTE_PGM_RSRC2:TRAP_HANDLER: 0
; COMPUTE_PGM_RSRC2:TGID_X_EN: 1
; COMPUTE_PGM_RSRC2:TGID_Y_EN: 0
; COMPUTE_PGM_RSRC2:TGID_Z_EN: 0
; COMPUTE_PGM_RSRC2:TIDIG_COMP_CNT: 0
	.section	.text._ZN7rocprim17ROCPRIM_400000_NS6detail25reduce_by_key_init_kernelINS1_19lookback_scan_stateINS0_5tupleIJjxEEELb0ELb0EEExNS1_16block_id_wrapperIjLb0EEEEEvT_jbjPmPT0_T1_,"axG",@progbits,_ZN7rocprim17ROCPRIM_400000_NS6detail25reduce_by_key_init_kernelINS1_19lookback_scan_stateINS0_5tupleIJjxEEELb0ELb0EEExNS1_16block_id_wrapperIjLb0EEEEEvT_jbjPmPT0_T1_,comdat
	.protected	_ZN7rocprim17ROCPRIM_400000_NS6detail25reduce_by_key_init_kernelINS1_19lookback_scan_stateINS0_5tupleIJjxEEELb0ELb0EEExNS1_16block_id_wrapperIjLb0EEEEEvT_jbjPmPT0_T1_ ; -- Begin function _ZN7rocprim17ROCPRIM_400000_NS6detail25reduce_by_key_init_kernelINS1_19lookback_scan_stateINS0_5tupleIJjxEEELb0ELb0EEExNS1_16block_id_wrapperIjLb0EEEEEvT_jbjPmPT0_T1_
	.globl	_ZN7rocprim17ROCPRIM_400000_NS6detail25reduce_by_key_init_kernelINS1_19lookback_scan_stateINS0_5tupleIJjxEEELb0ELb0EEExNS1_16block_id_wrapperIjLb0EEEEEvT_jbjPmPT0_T1_
	.p2align	8
	.type	_ZN7rocprim17ROCPRIM_400000_NS6detail25reduce_by_key_init_kernelINS1_19lookback_scan_stateINS0_5tupleIJjxEEELb0ELb0EEExNS1_16block_id_wrapperIjLb0EEEEEvT_jbjPmPT0_T1_,@function
_ZN7rocprim17ROCPRIM_400000_NS6detail25reduce_by_key_init_kernelINS1_19lookback_scan_stateINS0_5tupleIJjxEEELb0ELb0EEExNS1_16block_id_wrapperIjLb0EEEEEvT_jbjPmPT0_T1_: ; @_ZN7rocprim17ROCPRIM_400000_NS6detail25reduce_by_key_init_kernelINS1_19lookback_scan_stateINS0_5tupleIJjxEEELb0ELb0EEExNS1_16block_id_wrapperIjLb0EEEEEvT_jbjPmPT0_T1_
; %bb.0:
	s_clause 0x2
	s_load_b32 s2, s[0:1], 0x4c
	s_load_b256 s[4:11], s[0:1], 0x18
	s_load_b64 s[12:13], s[0:1], 0x10
	s_waitcnt lgkmcnt(0)
	s_and_b32 s2, s2, 0xffff
	s_delay_alu instid0(SALU_CYCLE_1) | instskip(SKIP_1) | instid1(SALU_CYCLE_1)
	v_mad_u64_u32 v[1:2], null, s15, s2, v[0:1]
	s_and_b32 s2, s5, 1
	s_cmp_eq_u32 s2, 0
	s_mov_b32 s2, -1
	s_cbranch_scc1 .LBB468_7
; %bb.1:
	s_and_not1_b32 vcc_lo, exec_lo, s2
	s_cbranch_vccz .LBB468_13
.LBB468_2:
	s_mov_b32 s0, exec_lo
	v_cmpx_gt_u32_e64 s4, v1
	s_cbranch_execz .LBB468_4
.LBB468_3:
	v_add_nc_u32_e32 v0, 32, v1
	v_mov_b32_e32 v2, 0
	global_store_b8 v0, v2, s[12:13]
.LBB468_4:
	s_or_b32 exec_lo, exec_lo, s0
	s_delay_alu instid0(SALU_CYCLE_1)
	s_mov_b32 s0, exec_lo
	v_cmpx_gt_u32_e32 32, v1
	s_cbranch_execz .LBB468_6
; %bb.5:
	v_mov_b32_e32 v0, 0xff
	global_store_b8 v1, v0, s[12:13]
.LBB468_6:
	s_nop 0
	s_sendmsg sendmsg(MSG_DEALLOC_VGPRS)
	s_endpgm
.LBB468_7:
	s_cmp_lt_u32 s6, s4
	s_mov_b32 s5, exec_lo
	s_cselect_b32 s2, s6, 0
	s_delay_alu instid0(SALU_CYCLE_1)
	v_cmpx_eq_u32_e64 s2, v1
	s_cbranch_execz .LBB468_12
; %bb.8:
	s_add_i32 s6, s6, 32
	s_load_b128 s[0:3], s[0:1], 0x0
	v_mov_b32_e32 v0, s6
	s_add_u32 s14, s12, s6
	s_addc_u32 s15, s13, 0
	s_mov_b32 s7, 0
	global_load_u8 v0, v0, s[12:13] glc
	s_waitcnt vmcnt(0)
	v_cmp_ne_u16_e32 vcc_lo, 0, v0
	v_readfirstlane_b32 s16, v0
	s_cbranch_vccnz .LBB468_11
; %bb.9:
	v_mov_b32_e32 v0, 0
.LBB468_10:                             ; =>This Inner Loop Header: Depth=1
	global_load_u8 v2, v0, s[14:15] glc
	s_waitcnt vmcnt(0)
	v_cmp_eq_u16_e32 vcc_lo, 0, v2
	v_readfirstlane_b32 s16, v2
	s_cbranch_vccnz .LBB468_10
.LBB468_11:
	s_delay_alu instid0(VALU_DEP_1)
	s_and_b32 s14, 0xffff, s16
	v_mov_b32_e32 v0, 0
	s_cmp_eq_u32 s14, 1
	s_waitcnt lgkmcnt(0)
	buffer_gl1_inv
	buffer_gl0_inv
	s_cselect_b32 s3, s1, s3
	s_cselect_b32 s2, s0, s2
	s_lshl_b64 s[0:1], s[6:7], 4
	s_delay_alu instid0(SALU_CYCLE_1)
	s_add_u32 s0, s2, s0
	s_addc_u32 s1, s3, s1
	s_clause 0x2
	global_load_b64 v[2:3], v0, s[8:9]
	global_load_b32 v6, v0, s[0:1]
	global_load_b64 v[4:5], v0, s[0:1] offset:8
	s_waitcnt vmcnt(1)
	v_add_co_u32 v2, vcc_lo, v2, v6
	v_add_co_ci_u32_e32 v3, vcc_lo, 0, v3, vcc_lo
	global_store_b64 v0, v[2:3], s[8:9]
	s_waitcnt vmcnt(0)
	global_store_b64 v0, v[4:5], s[10:11]
.LBB468_12:
	s_or_b32 exec_lo, exec_lo, s5
	s_cbranch_execnz .LBB468_2
.LBB468_13:
	s_delay_alu instid0(VALU_DEP_1) | instskip(SKIP_2) | instid1(SALU_CYCLE_1)
	v_cmp_eq_u32_e32 vcc_lo, 0, v1
	s_cmp_lg_u64 s[8:9], 0
	s_cselect_b32 s0, -1, 0
	s_and_b32 s1, s0, vcc_lo
	s_delay_alu instid0(SALU_CYCLE_1)
	s_and_saveexec_b32 s0, s1
	s_cbranch_execz .LBB468_15
; %bb.14:
	v_mov_b32_e32 v2, 0
	s_delay_alu instid0(VALU_DEP_1)
	v_mov_b32_e32 v3, v2
	global_store_b64 v2, v[2:3], s[8:9]
.LBB468_15:
	s_or_b32 exec_lo, exec_lo, s0
	s_delay_alu instid0(SALU_CYCLE_1)
	s_mov_b32 s0, exec_lo
	v_cmpx_gt_u32_e64 s4, v1
	s_cbranch_execnz .LBB468_3
	s_branch .LBB468_4
	.section	.rodata,"a",@progbits
	.p2align	6, 0x0
	.amdhsa_kernel _ZN7rocprim17ROCPRIM_400000_NS6detail25reduce_by_key_init_kernelINS1_19lookback_scan_stateINS0_5tupleIJjxEEELb0ELb0EEExNS1_16block_id_wrapperIjLb0EEEEEvT_jbjPmPT0_T1_
		.amdhsa_group_segment_fixed_size 0
		.amdhsa_private_segment_fixed_size 0
		.amdhsa_kernarg_size 320
		.amdhsa_user_sgpr_count 15
		.amdhsa_user_sgpr_dispatch_ptr 0
		.amdhsa_user_sgpr_queue_ptr 0
		.amdhsa_user_sgpr_kernarg_segment_ptr 1
		.amdhsa_user_sgpr_dispatch_id 0
		.amdhsa_user_sgpr_private_segment_size 0
		.amdhsa_wavefront_size32 1
		.amdhsa_uses_dynamic_stack 0
		.amdhsa_enable_private_segment 0
		.amdhsa_system_sgpr_workgroup_id_x 1
		.amdhsa_system_sgpr_workgroup_id_y 0
		.amdhsa_system_sgpr_workgroup_id_z 0
		.amdhsa_system_sgpr_workgroup_info 0
		.amdhsa_system_vgpr_workitem_id 0
		.amdhsa_next_free_vgpr 7
		.amdhsa_next_free_sgpr 17
		.amdhsa_reserve_vcc 1
		.amdhsa_float_round_mode_32 0
		.amdhsa_float_round_mode_16_64 0
		.amdhsa_float_denorm_mode_32 3
		.amdhsa_float_denorm_mode_16_64 3
		.amdhsa_dx10_clamp 1
		.amdhsa_ieee_mode 1
		.amdhsa_fp16_overflow 0
		.amdhsa_workgroup_processor_mode 1
		.amdhsa_memory_ordered 1
		.amdhsa_forward_progress 0
		.amdhsa_shared_vgpr_count 0
		.amdhsa_exception_fp_ieee_invalid_op 0
		.amdhsa_exception_fp_denorm_src 0
		.amdhsa_exception_fp_ieee_div_zero 0
		.amdhsa_exception_fp_ieee_overflow 0
		.amdhsa_exception_fp_ieee_underflow 0
		.amdhsa_exception_fp_ieee_inexact 0
		.amdhsa_exception_int_div_zero 0
	.end_amdhsa_kernel
	.section	.text._ZN7rocprim17ROCPRIM_400000_NS6detail25reduce_by_key_init_kernelINS1_19lookback_scan_stateINS0_5tupleIJjxEEELb0ELb0EEExNS1_16block_id_wrapperIjLb0EEEEEvT_jbjPmPT0_T1_,"axG",@progbits,_ZN7rocprim17ROCPRIM_400000_NS6detail25reduce_by_key_init_kernelINS1_19lookback_scan_stateINS0_5tupleIJjxEEELb0ELb0EEExNS1_16block_id_wrapperIjLb0EEEEEvT_jbjPmPT0_T1_,comdat
.Lfunc_end468:
	.size	_ZN7rocprim17ROCPRIM_400000_NS6detail25reduce_by_key_init_kernelINS1_19lookback_scan_stateINS0_5tupleIJjxEEELb0ELb0EEExNS1_16block_id_wrapperIjLb0EEEEEvT_jbjPmPT0_T1_, .Lfunc_end468-_ZN7rocprim17ROCPRIM_400000_NS6detail25reduce_by_key_init_kernelINS1_19lookback_scan_stateINS0_5tupleIJjxEEELb0ELb0EEExNS1_16block_id_wrapperIjLb0EEEEEvT_jbjPmPT0_T1_
                                        ; -- End function
	.section	.AMDGPU.csdata,"",@progbits
; Kernel info:
; codeLenInByte = 480
; NumSgprs: 19
; NumVgprs: 7
; ScratchSize: 0
; MemoryBound: 0
; FloatMode: 240
; IeeeMode: 1
; LDSByteSize: 0 bytes/workgroup (compile time only)
; SGPRBlocks: 2
; VGPRBlocks: 0
; NumSGPRsForWavesPerEU: 19
; NumVGPRsForWavesPerEU: 7
; Occupancy: 16
; WaveLimiterHint : 0
; COMPUTE_PGM_RSRC2:SCRATCH_EN: 0
; COMPUTE_PGM_RSRC2:USER_SGPR: 15
; COMPUTE_PGM_RSRC2:TRAP_HANDLER: 0
; COMPUTE_PGM_RSRC2:TGID_X_EN: 1
; COMPUTE_PGM_RSRC2:TGID_Y_EN: 0
; COMPUTE_PGM_RSRC2:TGID_Z_EN: 0
; COMPUTE_PGM_RSRC2:TIDIG_COMP_CNT: 0
	.section	.text._ZN7rocprim17ROCPRIM_400000_NS6detail17trampoline_kernelINS0_14default_configENS1_29reduce_by_key_config_selectorIxxN6thrust23THRUST_200600_302600_NS4plusIxEEEEZZNS1_33reduce_by_key_impl_wrapped_configILNS1_25lookback_scan_determinismE0ES3_S9_NS6_6detail15normal_iteratorINS6_10device_ptrIxEEEESG_SG_SG_PmS8_NS6_8equal_toIxEEEE10hipError_tPvRmT2_T3_mT4_T5_T6_T7_T8_P12ihipStream_tbENKUlT_T0_E_clISt17integral_constantIbLb0EES11_EEDaSW_SX_EUlSW_E_NS1_11comp_targetILNS1_3genE0ELNS1_11target_archE4294967295ELNS1_3gpuE0ELNS1_3repE0EEENS1_30default_config_static_selectorELNS0_4arch9wavefront6targetE0EEEvT1_,"axG",@progbits,_ZN7rocprim17ROCPRIM_400000_NS6detail17trampoline_kernelINS0_14default_configENS1_29reduce_by_key_config_selectorIxxN6thrust23THRUST_200600_302600_NS4plusIxEEEEZZNS1_33reduce_by_key_impl_wrapped_configILNS1_25lookback_scan_determinismE0ES3_S9_NS6_6detail15normal_iteratorINS6_10device_ptrIxEEEESG_SG_SG_PmS8_NS6_8equal_toIxEEEE10hipError_tPvRmT2_T3_mT4_T5_T6_T7_T8_P12ihipStream_tbENKUlT_T0_E_clISt17integral_constantIbLb0EES11_EEDaSW_SX_EUlSW_E_NS1_11comp_targetILNS1_3genE0ELNS1_11target_archE4294967295ELNS1_3gpuE0ELNS1_3repE0EEENS1_30default_config_static_selectorELNS0_4arch9wavefront6targetE0EEEvT1_,comdat
	.protected	_ZN7rocprim17ROCPRIM_400000_NS6detail17trampoline_kernelINS0_14default_configENS1_29reduce_by_key_config_selectorIxxN6thrust23THRUST_200600_302600_NS4plusIxEEEEZZNS1_33reduce_by_key_impl_wrapped_configILNS1_25lookback_scan_determinismE0ES3_S9_NS6_6detail15normal_iteratorINS6_10device_ptrIxEEEESG_SG_SG_PmS8_NS6_8equal_toIxEEEE10hipError_tPvRmT2_T3_mT4_T5_T6_T7_T8_P12ihipStream_tbENKUlT_T0_E_clISt17integral_constantIbLb0EES11_EEDaSW_SX_EUlSW_E_NS1_11comp_targetILNS1_3genE0ELNS1_11target_archE4294967295ELNS1_3gpuE0ELNS1_3repE0EEENS1_30default_config_static_selectorELNS0_4arch9wavefront6targetE0EEEvT1_ ; -- Begin function _ZN7rocprim17ROCPRIM_400000_NS6detail17trampoline_kernelINS0_14default_configENS1_29reduce_by_key_config_selectorIxxN6thrust23THRUST_200600_302600_NS4plusIxEEEEZZNS1_33reduce_by_key_impl_wrapped_configILNS1_25lookback_scan_determinismE0ES3_S9_NS6_6detail15normal_iteratorINS6_10device_ptrIxEEEESG_SG_SG_PmS8_NS6_8equal_toIxEEEE10hipError_tPvRmT2_T3_mT4_T5_T6_T7_T8_P12ihipStream_tbENKUlT_T0_E_clISt17integral_constantIbLb0EES11_EEDaSW_SX_EUlSW_E_NS1_11comp_targetILNS1_3genE0ELNS1_11target_archE4294967295ELNS1_3gpuE0ELNS1_3repE0EEENS1_30default_config_static_selectorELNS0_4arch9wavefront6targetE0EEEvT1_
	.globl	_ZN7rocprim17ROCPRIM_400000_NS6detail17trampoline_kernelINS0_14default_configENS1_29reduce_by_key_config_selectorIxxN6thrust23THRUST_200600_302600_NS4plusIxEEEEZZNS1_33reduce_by_key_impl_wrapped_configILNS1_25lookback_scan_determinismE0ES3_S9_NS6_6detail15normal_iteratorINS6_10device_ptrIxEEEESG_SG_SG_PmS8_NS6_8equal_toIxEEEE10hipError_tPvRmT2_T3_mT4_T5_T6_T7_T8_P12ihipStream_tbENKUlT_T0_E_clISt17integral_constantIbLb0EES11_EEDaSW_SX_EUlSW_E_NS1_11comp_targetILNS1_3genE0ELNS1_11target_archE4294967295ELNS1_3gpuE0ELNS1_3repE0EEENS1_30default_config_static_selectorELNS0_4arch9wavefront6targetE0EEEvT1_
	.p2align	8
	.type	_ZN7rocprim17ROCPRIM_400000_NS6detail17trampoline_kernelINS0_14default_configENS1_29reduce_by_key_config_selectorIxxN6thrust23THRUST_200600_302600_NS4plusIxEEEEZZNS1_33reduce_by_key_impl_wrapped_configILNS1_25lookback_scan_determinismE0ES3_S9_NS6_6detail15normal_iteratorINS6_10device_ptrIxEEEESG_SG_SG_PmS8_NS6_8equal_toIxEEEE10hipError_tPvRmT2_T3_mT4_T5_T6_T7_T8_P12ihipStream_tbENKUlT_T0_E_clISt17integral_constantIbLb0EES11_EEDaSW_SX_EUlSW_E_NS1_11comp_targetILNS1_3genE0ELNS1_11target_archE4294967295ELNS1_3gpuE0ELNS1_3repE0EEENS1_30default_config_static_selectorELNS0_4arch9wavefront6targetE0EEEvT1_,@function
_ZN7rocprim17ROCPRIM_400000_NS6detail17trampoline_kernelINS0_14default_configENS1_29reduce_by_key_config_selectorIxxN6thrust23THRUST_200600_302600_NS4plusIxEEEEZZNS1_33reduce_by_key_impl_wrapped_configILNS1_25lookback_scan_determinismE0ES3_S9_NS6_6detail15normal_iteratorINS6_10device_ptrIxEEEESG_SG_SG_PmS8_NS6_8equal_toIxEEEE10hipError_tPvRmT2_T3_mT4_T5_T6_T7_T8_P12ihipStream_tbENKUlT_T0_E_clISt17integral_constantIbLb0EES11_EEDaSW_SX_EUlSW_E_NS1_11comp_targetILNS1_3genE0ELNS1_11target_archE4294967295ELNS1_3gpuE0ELNS1_3repE0EEENS1_30default_config_static_selectorELNS0_4arch9wavefront6targetE0EEEvT1_: ; @_ZN7rocprim17ROCPRIM_400000_NS6detail17trampoline_kernelINS0_14default_configENS1_29reduce_by_key_config_selectorIxxN6thrust23THRUST_200600_302600_NS4plusIxEEEEZZNS1_33reduce_by_key_impl_wrapped_configILNS1_25lookback_scan_determinismE0ES3_S9_NS6_6detail15normal_iteratorINS6_10device_ptrIxEEEESG_SG_SG_PmS8_NS6_8equal_toIxEEEE10hipError_tPvRmT2_T3_mT4_T5_T6_T7_T8_P12ihipStream_tbENKUlT_T0_E_clISt17integral_constantIbLb0EES11_EEDaSW_SX_EUlSW_E_NS1_11comp_targetILNS1_3genE0ELNS1_11target_archE4294967295ELNS1_3gpuE0ELNS1_3repE0EEENS1_30default_config_static_selectorELNS0_4arch9wavefront6targetE0EEEvT1_
; %bb.0:
	.section	.rodata,"a",@progbits
	.p2align	6, 0x0
	.amdhsa_kernel _ZN7rocprim17ROCPRIM_400000_NS6detail17trampoline_kernelINS0_14default_configENS1_29reduce_by_key_config_selectorIxxN6thrust23THRUST_200600_302600_NS4plusIxEEEEZZNS1_33reduce_by_key_impl_wrapped_configILNS1_25lookback_scan_determinismE0ES3_S9_NS6_6detail15normal_iteratorINS6_10device_ptrIxEEEESG_SG_SG_PmS8_NS6_8equal_toIxEEEE10hipError_tPvRmT2_T3_mT4_T5_T6_T7_T8_P12ihipStream_tbENKUlT_T0_E_clISt17integral_constantIbLb0EES11_EEDaSW_SX_EUlSW_E_NS1_11comp_targetILNS1_3genE0ELNS1_11target_archE4294967295ELNS1_3gpuE0ELNS1_3repE0EEENS1_30default_config_static_selectorELNS0_4arch9wavefront6targetE0EEEvT1_
		.amdhsa_group_segment_fixed_size 0
		.amdhsa_private_segment_fixed_size 0
		.amdhsa_kernarg_size 136
		.amdhsa_user_sgpr_count 15
		.amdhsa_user_sgpr_dispatch_ptr 0
		.amdhsa_user_sgpr_queue_ptr 0
		.amdhsa_user_sgpr_kernarg_segment_ptr 1
		.amdhsa_user_sgpr_dispatch_id 0
		.amdhsa_user_sgpr_private_segment_size 0
		.amdhsa_wavefront_size32 1
		.amdhsa_uses_dynamic_stack 0
		.amdhsa_enable_private_segment 0
		.amdhsa_system_sgpr_workgroup_id_x 1
		.amdhsa_system_sgpr_workgroup_id_y 0
		.amdhsa_system_sgpr_workgroup_id_z 0
		.amdhsa_system_sgpr_workgroup_info 0
		.amdhsa_system_vgpr_workitem_id 0
		.amdhsa_next_free_vgpr 1
		.amdhsa_next_free_sgpr 1
		.amdhsa_reserve_vcc 0
		.amdhsa_float_round_mode_32 0
		.amdhsa_float_round_mode_16_64 0
		.amdhsa_float_denorm_mode_32 3
		.amdhsa_float_denorm_mode_16_64 3
		.amdhsa_dx10_clamp 1
		.amdhsa_ieee_mode 1
		.amdhsa_fp16_overflow 0
		.amdhsa_workgroup_processor_mode 1
		.amdhsa_memory_ordered 1
		.amdhsa_forward_progress 0
		.amdhsa_shared_vgpr_count 0
		.amdhsa_exception_fp_ieee_invalid_op 0
		.amdhsa_exception_fp_denorm_src 0
		.amdhsa_exception_fp_ieee_div_zero 0
		.amdhsa_exception_fp_ieee_overflow 0
		.amdhsa_exception_fp_ieee_underflow 0
		.amdhsa_exception_fp_ieee_inexact 0
		.amdhsa_exception_int_div_zero 0
	.end_amdhsa_kernel
	.section	.text._ZN7rocprim17ROCPRIM_400000_NS6detail17trampoline_kernelINS0_14default_configENS1_29reduce_by_key_config_selectorIxxN6thrust23THRUST_200600_302600_NS4plusIxEEEEZZNS1_33reduce_by_key_impl_wrapped_configILNS1_25lookback_scan_determinismE0ES3_S9_NS6_6detail15normal_iteratorINS6_10device_ptrIxEEEESG_SG_SG_PmS8_NS6_8equal_toIxEEEE10hipError_tPvRmT2_T3_mT4_T5_T6_T7_T8_P12ihipStream_tbENKUlT_T0_E_clISt17integral_constantIbLb0EES11_EEDaSW_SX_EUlSW_E_NS1_11comp_targetILNS1_3genE0ELNS1_11target_archE4294967295ELNS1_3gpuE0ELNS1_3repE0EEENS1_30default_config_static_selectorELNS0_4arch9wavefront6targetE0EEEvT1_,"axG",@progbits,_ZN7rocprim17ROCPRIM_400000_NS6detail17trampoline_kernelINS0_14default_configENS1_29reduce_by_key_config_selectorIxxN6thrust23THRUST_200600_302600_NS4plusIxEEEEZZNS1_33reduce_by_key_impl_wrapped_configILNS1_25lookback_scan_determinismE0ES3_S9_NS6_6detail15normal_iteratorINS6_10device_ptrIxEEEESG_SG_SG_PmS8_NS6_8equal_toIxEEEE10hipError_tPvRmT2_T3_mT4_T5_T6_T7_T8_P12ihipStream_tbENKUlT_T0_E_clISt17integral_constantIbLb0EES11_EEDaSW_SX_EUlSW_E_NS1_11comp_targetILNS1_3genE0ELNS1_11target_archE4294967295ELNS1_3gpuE0ELNS1_3repE0EEENS1_30default_config_static_selectorELNS0_4arch9wavefront6targetE0EEEvT1_,comdat
.Lfunc_end469:
	.size	_ZN7rocprim17ROCPRIM_400000_NS6detail17trampoline_kernelINS0_14default_configENS1_29reduce_by_key_config_selectorIxxN6thrust23THRUST_200600_302600_NS4plusIxEEEEZZNS1_33reduce_by_key_impl_wrapped_configILNS1_25lookback_scan_determinismE0ES3_S9_NS6_6detail15normal_iteratorINS6_10device_ptrIxEEEESG_SG_SG_PmS8_NS6_8equal_toIxEEEE10hipError_tPvRmT2_T3_mT4_T5_T6_T7_T8_P12ihipStream_tbENKUlT_T0_E_clISt17integral_constantIbLb0EES11_EEDaSW_SX_EUlSW_E_NS1_11comp_targetILNS1_3genE0ELNS1_11target_archE4294967295ELNS1_3gpuE0ELNS1_3repE0EEENS1_30default_config_static_selectorELNS0_4arch9wavefront6targetE0EEEvT1_, .Lfunc_end469-_ZN7rocprim17ROCPRIM_400000_NS6detail17trampoline_kernelINS0_14default_configENS1_29reduce_by_key_config_selectorIxxN6thrust23THRUST_200600_302600_NS4plusIxEEEEZZNS1_33reduce_by_key_impl_wrapped_configILNS1_25lookback_scan_determinismE0ES3_S9_NS6_6detail15normal_iteratorINS6_10device_ptrIxEEEESG_SG_SG_PmS8_NS6_8equal_toIxEEEE10hipError_tPvRmT2_T3_mT4_T5_T6_T7_T8_P12ihipStream_tbENKUlT_T0_E_clISt17integral_constantIbLb0EES11_EEDaSW_SX_EUlSW_E_NS1_11comp_targetILNS1_3genE0ELNS1_11target_archE4294967295ELNS1_3gpuE0ELNS1_3repE0EEENS1_30default_config_static_selectorELNS0_4arch9wavefront6targetE0EEEvT1_
                                        ; -- End function
	.section	.AMDGPU.csdata,"",@progbits
; Kernel info:
; codeLenInByte = 0
; NumSgprs: 0
; NumVgprs: 0
; ScratchSize: 0
; MemoryBound: 0
; FloatMode: 240
; IeeeMode: 1
; LDSByteSize: 0 bytes/workgroup (compile time only)
; SGPRBlocks: 0
; VGPRBlocks: 0
; NumSGPRsForWavesPerEU: 1
; NumVGPRsForWavesPerEU: 1
; Occupancy: 16
; WaveLimiterHint : 0
; COMPUTE_PGM_RSRC2:SCRATCH_EN: 0
; COMPUTE_PGM_RSRC2:USER_SGPR: 15
; COMPUTE_PGM_RSRC2:TRAP_HANDLER: 0
; COMPUTE_PGM_RSRC2:TGID_X_EN: 1
; COMPUTE_PGM_RSRC2:TGID_Y_EN: 0
; COMPUTE_PGM_RSRC2:TGID_Z_EN: 0
; COMPUTE_PGM_RSRC2:TIDIG_COMP_CNT: 0
	.section	.text._ZN7rocprim17ROCPRIM_400000_NS6detail17trampoline_kernelINS0_14default_configENS1_29reduce_by_key_config_selectorIxxN6thrust23THRUST_200600_302600_NS4plusIxEEEEZZNS1_33reduce_by_key_impl_wrapped_configILNS1_25lookback_scan_determinismE0ES3_S9_NS6_6detail15normal_iteratorINS6_10device_ptrIxEEEESG_SG_SG_PmS8_NS6_8equal_toIxEEEE10hipError_tPvRmT2_T3_mT4_T5_T6_T7_T8_P12ihipStream_tbENKUlT_T0_E_clISt17integral_constantIbLb0EES11_EEDaSW_SX_EUlSW_E_NS1_11comp_targetILNS1_3genE5ELNS1_11target_archE942ELNS1_3gpuE9ELNS1_3repE0EEENS1_30default_config_static_selectorELNS0_4arch9wavefront6targetE0EEEvT1_,"axG",@progbits,_ZN7rocprim17ROCPRIM_400000_NS6detail17trampoline_kernelINS0_14default_configENS1_29reduce_by_key_config_selectorIxxN6thrust23THRUST_200600_302600_NS4plusIxEEEEZZNS1_33reduce_by_key_impl_wrapped_configILNS1_25lookback_scan_determinismE0ES3_S9_NS6_6detail15normal_iteratorINS6_10device_ptrIxEEEESG_SG_SG_PmS8_NS6_8equal_toIxEEEE10hipError_tPvRmT2_T3_mT4_T5_T6_T7_T8_P12ihipStream_tbENKUlT_T0_E_clISt17integral_constantIbLb0EES11_EEDaSW_SX_EUlSW_E_NS1_11comp_targetILNS1_3genE5ELNS1_11target_archE942ELNS1_3gpuE9ELNS1_3repE0EEENS1_30default_config_static_selectorELNS0_4arch9wavefront6targetE0EEEvT1_,comdat
	.protected	_ZN7rocprim17ROCPRIM_400000_NS6detail17trampoline_kernelINS0_14default_configENS1_29reduce_by_key_config_selectorIxxN6thrust23THRUST_200600_302600_NS4plusIxEEEEZZNS1_33reduce_by_key_impl_wrapped_configILNS1_25lookback_scan_determinismE0ES3_S9_NS6_6detail15normal_iteratorINS6_10device_ptrIxEEEESG_SG_SG_PmS8_NS6_8equal_toIxEEEE10hipError_tPvRmT2_T3_mT4_T5_T6_T7_T8_P12ihipStream_tbENKUlT_T0_E_clISt17integral_constantIbLb0EES11_EEDaSW_SX_EUlSW_E_NS1_11comp_targetILNS1_3genE5ELNS1_11target_archE942ELNS1_3gpuE9ELNS1_3repE0EEENS1_30default_config_static_selectorELNS0_4arch9wavefront6targetE0EEEvT1_ ; -- Begin function _ZN7rocprim17ROCPRIM_400000_NS6detail17trampoline_kernelINS0_14default_configENS1_29reduce_by_key_config_selectorIxxN6thrust23THRUST_200600_302600_NS4plusIxEEEEZZNS1_33reduce_by_key_impl_wrapped_configILNS1_25lookback_scan_determinismE0ES3_S9_NS6_6detail15normal_iteratorINS6_10device_ptrIxEEEESG_SG_SG_PmS8_NS6_8equal_toIxEEEE10hipError_tPvRmT2_T3_mT4_T5_T6_T7_T8_P12ihipStream_tbENKUlT_T0_E_clISt17integral_constantIbLb0EES11_EEDaSW_SX_EUlSW_E_NS1_11comp_targetILNS1_3genE5ELNS1_11target_archE942ELNS1_3gpuE9ELNS1_3repE0EEENS1_30default_config_static_selectorELNS0_4arch9wavefront6targetE0EEEvT1_
	.globl	_ZN7rocprim17ROCPRIM_400000_NS6detail17trampoline_kernelINS0_14default_configENS1_29reduce_by_key_config_selectorIxxN6thrust23THRUST_200600_302600_NS4plusIxEEEEZZNS1_33reduce_by_key_impl_wrapped_configILNS1_25lookback_scan_determinismE0ES3_S9_NS6_6detail15normal_iteratorINS6_10device_ptrIxEEEESG_SG_SG_PmS8_NS6_8equal_toIxEEEE10hipError_tPvRmT2_T3_mT4_T5_T6_T7_T8_P12ihipStream_tbENKUlT_T0_E_clISt17integral_constantIbLb0EES11_EEDaSW_SX_EUlSW_E_NS1_11comp_targetILNS1_3genE5ELNS1_11target_archE942ELNS1_3gpuE9ELNS1_3repE0EEENS1_30default_config_static_selectorELNS0_4arch9wavefront6targetE0EEEvT1_
	.p2align	8
	.type	_ZN7rocprim17ROCPRIM_400000_NS6detail17trampoline_kernelINS0_14default_configENS1_29reduce_by_key_config_selectorIxxN6thrust23THRUST_200600_302600_NS4plusIxEEEEZZNS1_33reduce_by_key_impl_wrapped_configILNS1_25lookback_scan_determinismE0ES3_S9_NS6_6detail15normal_iteratorINS6_10device_ptrIxEEEESG_SG_SG_PmS8_NS6_8equal_toIxEEEE10hipError_tPvRmT2_T3_mT4_T5_T6_T7_T8_P12ihipStream_tbENKUlT_T0_E_clISt17integral_constantIbLb0EES11_EEDaSW_SX_EUlSW_E_NS1_11comp_targetILNS1_3genE5ELNS1_11target_archE942ELNS1_3gpuE9ELNS1_3repE0EEENS1_30default_config_static_selectorELNS0_4arch9wavefront6targetE0EEEvT1_,@function
_ZN7rocprim17ROCPRIM_400000_NS6detail17trampoline_kernelINS0_14default_configENS1_29reduce_by_key_config_selectorIxxN6thrust23THRUST_200600_302600_NS4plusIxEEEEZZNS1_33reduce_by_key_impl_wrapped_configILNS1_25lookback_scan_determinismE0ES3_S9_NS6_6detail15normal_iteratorINS6_10device_ptrIxEEEESG_SG_SG_PmS8_NS6_8equal_toIxEEEE10hipError_tPvRmT2_T3_mT4_T5_T6_T7_T8_P12ihipStream_tbENKUlT_T0_E_clISt17integral_constantIbLb0EES11_EEDaSW_SX_EUlSW_E_NS1_11comp_targetILNS1_3genE5ELNS1_11target_archE942ELNS1_3gpuE9ELNS1_3repE0EEENS1_30default_config_static_selectorELNS0_4arch9wavefront6targetE0EEEvT1_: ; @_ZN7rocprim17ROCPRIM_400000_NS6detail17trampoline_kernelINS0_14default_configENS1_29reduce_by_key_config_selectorIxxN6thrust23THRUST_200600_302600_NS4plusIxEEEEZZNS1_33reduce_by_key_impl_wrapped_configILNS1_25lookback_scan_determinismE0ES3_S9_NS6_6detail15normal_iteratorINS6_10device_ptrIxEEEESG_SG_SG_PmS8_NS6_8equal_toIxEEEE10hipError_tPvRmT2_T3_mT4_T5_T6_T7_T8_P12ihipStream_tbENKUlT_T0_E_clISt17integral_constantIbLb0EES11_EEDaSW_SX_EUlSW_E_NS1_11comp_targetILNS1_3genE5ELNS1_11target_archE942ELNS1_3gpuE9ELNS1_3repE0EEENS1_30default_config_static_selectorELNS0_4arch9wavefront6targetE0EEEvT1_
; %bb.0:
	.section	.rodata,"a",@progbits
	.p2align	6, 0x0
	.amdhsa_kernel _ZN7rocprim17ROCPRIM_400000_NS6detail17trampoline_kernelINS0_14default_configENS1_29reduce_by_key_config_selectorIxxN6thrust23THRUST_200600_302600_NS4plusIxEEEEZZNS1_33reduce_by_key_impl_wrapped_configILNS1_25lookback_scan_determinismE0ES3_S9_NS6_6detail15normal_iteratorINS6_10device_ptrIxEEEESG_SG_SG_PmS8_NS6_8equal_toIxEEEE10hipError_tPvRmT2_T3_mT4_T5_T6_T7_T8_P12ihipStream_tbENKUlT_T0_E_clISt17integral_constantIbLb0EES11_EEDaSW_SX_EUlSW_E_NS1_11comp_targetILNS1_3genE5ELNS1_11target_archE942ELNS1_3gpuE9ELNS1_3repE0EEENS1_30default_config_static_selectorELNS0_4arch9wavefront6targetE0EEEvT1_
		.amdhsa_group_segment_fixed_size 0
		.amdhsa_private_segment_fixed_size 0
		.amdhsa_kernarg_size 136
		.amdhsa_user_sgpr_count 15
		.amdhsa_user_sgpr_dispatch_ptr 0
		.amdhsa_user_sgpr_queue_ptr 0
		.amdhsa_user_sgpr_kernarg_segment_ptr 1
		.amdhsa_user_sgpr_dispatch_id 0
		.amdhsa_user_sgpr_private_segment_size 0
		.amdhsa_wavefront_size32 1
		.amdhsa_uses_dynamic_stack 0
		.amdhsa_enable_private_segment 0
		.amdhsa_system_sgpr_workgroup_id_x 1
		.amdhsa_system_sgpr_workgroup_id_y 0
		.amdhsa_system_sgpr_workgroup_id_z 0
		.amdhsa_system_sgpr_workgroup_info 0
		.amdhsa_system_vgpr_workitem_id 0
		.amdhsa_next_free_vgpr 1
		.amdhsa_next_free_sgpr 1
		.amdhsa_reserve_vcc 0
		.amdhsa_float_round_mode_32 0
		.amdhsa_float_round_mode_16_64 0
		.amdhsa_float_denorm_mode_32 3
		.amdhsa_float_denorm_mode_16_64 3
		.amdhsa_dx10_clamp 1
		.amdhsa_ieee_mode 1
		.amdhsa_fp16_overflow 0
		.amdhsa_workgroup_processor_mode 1
		.amdhsa_memory_ordered 1
		.amdhsa_forward_progress 0
		.amdhsa_shared_vgpr_count 0
		.amdhsa_exception_fp_ieee_invalid_op 0
		.amdhsa_exception_fp_denorm_src 0
		.amdhsa_exception_fp_ieee_div_zero 0
		.amdhsa_exception_fp_ieee_overflow 0
		.amdhsa_exception_fp_ieee_underflow 0
		.amdhsa_exception_fp_ieee_inexact 0
		.amdhsa_exception_int_div_zero 0
	.end_amdhsa_kernel
	.section	.text._ZN7rocprim17ROCPRIM_400000_NS6detail17trampoline_kernelINS0_14default_configENS1_29reduce_by_key_config_selectorIxxN6thrust23THRUST_200600_302600_NS4plusIxEEEEZZNS1_33reduce_by_key_impl_wrapped_configILNS1_25lookback_scan_determinismE0ES3_S9_NS6_6detail15normal_iteratorINS6_10device_ptrIxEEEESG_SG_SG_PmS8_NS6_8equal_toIxEEEE10hipError_tPvRmT2_T3_mT4_T5_T6_T7_T8_P12ihipStream_tbENKUlT_T0_E_clISt17integral_constantIbLb0EES11_EEDaSW_SX_EUlSW_E_NS1_11comp_targetILNS1_3genE5ELNS1_11target_archE942ELNS1_3gpuE9ELNS1_3repE0EEENS1_30default_config_static_selectorELNS0_4arch9wavefront6targetE0EEEvT1_,"axG",@progbits,_ZN7rocprim17ROCPRIM_400000_NS6detail17trampoline_kernelINS0_14default_configENS1_29reduce_by_key_config_selectorIxxN6thrust23THRUST_200600_302600_NS4plusIxEEEEZZNS1_33reduce_by_key_impl_wrapped_configILNS1_25lookback_scan_determinismE0ES3_S9_NS6_6detail15normal_iteratorINS6_10device_ptrIxEEEESG_SG_SG_PmS8_NS6_8equal_toIxEEEE10hipError_tPvRmT2_T3_mT4_T5_T6_T7_T8_P12ihipStream_tbENKUlT_T0_E_clISt17integral_constantIbLb0EES11_EEDaSW_SX_EUlSW_E_NS1_11comp_targetILNS1_3genE5ELNS1_11target_archE942ELNS1_3gpuE9ELNS1_3repE0EEENS1_30default_config_static_selectorELNS0_4arch9wavefront6targetE0EEEvT1_,comdat
.Lfunc_end470:
	.size	_ZN7rocprim17ROCPRIM_400000_NS6detail17trampoline_kernelINS0_14default_configENS1_29reduce_by_key_config_selectorIxxN6thrust23THRUST_200600_302600_NS4plusIxEEEEZZNS1_33reduce_by_key_impl_wrapped_configILNS1_25lookback_scan_determinismE0ES3_S9_NS6_6detail15normal_iteratorINS6_10device_ptrIxEEEESG_SG_SG_PmS8_NS6_8equal_toIxEEEE10hipError_tPvRmT2_T3_mT4_T5_T6_T7_T8_P12ihipStream_tbENKUlT_T0_E_clISt17integral_constantIbLb0EES11_EEDaSW_SX_EUlSW_E_NS1_11comp_targetILNS1_3genE5ELNS1_11target_archE942ELNS1_3gpuE9ELNS1_3repE0EEENS1_30default_config_static_selectorELNS0_4arch9wavefront6targetE0EEEvT1_, .Lfunc_end470-_ZN7rocprim17ROCPRIM_400000_NS6detail17trampoline_kernelINS0_14default_configENS1_29reduce_by_key_config_selectorIxxN6thrust23THRUST_200600_302600_NS4plusIxEEEEZZNS1_33reduce_by_key_impl_wrapped_configILNS1_25lookback_scan_determinismE0ES3_S9_NS6_6detail15normal_iteratorINS6_10device_ptrIxEEEESG_SG_SG_PmS8_NS6_8equal_toIxEEEE10hipError_tPvRmT2_T3_mT4_T5_T6_T7_T8_P12ihipStream_tbENKUlT_T0_E_clISt17integral_constantIbLb0EES11_EEDaSW_SX_EUlSW_E_NS1_11comp_targetILNS1_3genE5ELNS1_11target_archE942ELNS1_3gpuE9ELNS1_3repE0EEENS1_30default_config_static_selectorELNS0_4arch9wavefront6targetE0EEEvT1_
                                        ; -- End function
	.section	.AMDGPU.csdata,"",@progbits
; Kernel info:
; codeLenInByte = 0
; NumSgprs: 0
; NumVgprs: 0
; ScratchSize: 0
; MemoryBound: 0
; FloatMode: 240
; IeeeMode: 1
; LDSByteSize: 0 bytes/workgroup (compile time only)
; SGPRBlocks: 0
; VGPRBlocks: 0
; NumSGPRsForWavesPerEU: 1
; NumVGPRsForWavesPerEU: 1
; Occupancy: 16
; WaveLimiterHint : 0
; COMPUTE_PGM_RSRC2:SCRATCH_EN: 0
; COMPUTE_PGM_RSRC2:USER_SGPR: 15
; COMPUTE_PGM_RSRC2:TRAP_HANDLER: 0
; COMPUTE_PGM_RSRC2:TGID_X_EN: 1
; COMPUTE_PGM_RSRC2:TGID_Y_EN: 0
; COMPUTE_PGM_RSRC2:TGID_Z_EN: 0
; COMPUTE_PGM_RSRC2:TIDIG_COMP_CNT: 0
	.section	.text._ZN7rocprim17ROCPRIM_400000_NS6detail17trampoline_kernelINS0_14default_configENS1_29reduce_by_key_config_selectorIxxN6thrust23THRUST_200600_302600_NS4plusIxEEEEZZNS1_33reduce_by_key_impl_wrapped_configILNS1_25lookback_scan_determinismE0ES3_S9_NS6_6detail15normal_iteratorINS6_10device_ptrIxEEEESG_SG_SG_PmS8_NS6_8equal_toIxEEEE10hipError_tPvRmT2_T3_mT4_T5_T6_T7_T8_P12ihipStream_tbENKUlT_T0_E_clISt17integral_constantIbLb0EES11_EEDaSW_SX_EUlSW_E_NS1_11comp_targetILNS1_3genE4ELNS1_11target_archE910ELNS1_3gpuE8ELNS1_3repE0EEENS1_30default_config_static_selectorELNS0_4arch9wavefront6targetE0EEEvT1_,"axG",@progbits,_ZN7rocprim17ROCPRIM_400000_NS6detail17trampoline_kernelINS0_14default_configENS1_29reduce_by_key_config_selectorIxxN6thrust23THRUST_200600_302600_NS4plusIxEEEEZZNS1_33reduce_by_key_impl_wrapped_configILNS1_25lookback_scan_determinismE0ES3_S9_NS6_6detail15normal_iteratorINS6_10device_ptrIxEEEESG_SG_SG_PmS8_NS6_8equal_toIxEEEE10hipError_tPvRmT2_T3_mT4_T5_T6_T7_T8_P12ihipStream_tbENKUlT_T0_E_clISt17integral_constantIbLb0EES11_EEDaSW_SX_EUlSW_E_NS1_11comp_targetILNS1_3genE4ELNS1_11target_archE910ELNS1_3gpuE8ELNS1_3repE0EEENS1_30default_config_static_selectorELNS0_4arch9wavefront6targetE0EEEvT1_,comdat
	.protected	_ZN7rocprim17ROCPRIM_400000_NS6detail17trampoline_kernelINS0_14default_configENS1_29reduce_by_key_config_selectorIxxN6thrust23THRUST_200600_302600_NS4plusIxEEEEZZNS1_33reduce_by_key_impl_wrapped_configILNS1_25lookback_scan_determinismE0ES3_S9_NS6_6detail15normal_iteratorINS6_10device_ptrIxEEEESG_SG_SG_PmS8_NS6_8equal_toIxEEEE10hipError_tPvRmT2_T3_mT4_T5_T6_T7_T8_P12ihipStream_tbENKUlT_T0_E_clISt17integral_constantIbLb0EES11_EEDaSW_SX_EUlSW_E_NS1_11comp_targetILNS1_3genE4ELNS1_11target_archE910ELNS1_3gpuE8ELNS1_3repE0EEENS1_30default_config_static_selectorELNS0_4arch9wavefront6targetE0EEEvT1_ ; -- Begin function _ZN7rocprim17ROCPRIM_400000_NS6detail17trampoline_kernelINS0_14default_configENS1_29reduce_by_key_config_selectorIxxN6thrust23THRUST_200600_302600_NS4plusIxEEEEZZNS1_33reduce_by_key_impl_wrapped_configILNS1_25lookback_scan_determinismE0ES3_S9_NS6_6detail15normal_iteratorINS6_10device_ptrIxEEEESG_SG_SG_PmS8_NS6_8equal_toIxEEEE10hipError_tPvRmT2_T3_mT4_T5_T6_T7_T8_P12ihipStream_tbENKUlT_T0_E_clISt17integral_constantIbLb0EES11_EEDaSW_SX_EUlSW_E_NS1_11comp_targetILNS1_3genE4ELNS1_11target_archE910ELNS1_3gpuE8ELNS1_3repE0EEENS1_30default_config_static_selectorELNS0_4arch9wavefront6targetE0EEEvT1_
	.globl	_ZN7rocprim17ROCPRIM_400000_NS6detail17trampoline_kernelINS0_14default_configENS1_29reduce_by_key_config_selectorIxxN6thrust23THRUST_200600_302600_NS4plusIxEEEEZZNS1_33reduce_by_key_impl_wrapped_configILNS1_25lookback_scan_determinismE0ES3_S9_NS6_6detail15normal_iteratorINS6_10device_ptrIxEEEESG_SG_SG_PmS8_NS6_8equal_toIxEEEE10hipError_tPvRmT2_T3_mT4_T5_T6_T7_T8_P12ihipStream_tbENKUlT_T0_E_clISt17integral_constantIbLb0EES11_EEDaSW_SX_EUlSW_E_NS1_11comp_targetILNS1_3genE4ELNS1_11target_archE910ELNS1_3gpuE8ELNS1_3repE0EEENS1_30default_config_static_selectorELNS0_4arch9wavefront6targetE0EEEvT1_
	.p2align	8
	.type	_ZN7rocprim17ROCPRIM_400000_NS6detail17trampoline_kernelINS0_14default_configENS1_29reduce_by_key_config_selectorIxxN6thrust23THRUST_200600_302600_NS4plusIxEEEEZZNS1_33reduce_by_key_impl_wrapped_configILNS1_25lookback_scan_determinismE0ES3_S9_NS6_6detail15normal_iteratorINS6_10device_ptrIxEEEESG_SG_SG_PmS8_NS6_8equal_toIxEEEE10hipError_tPvRmT2_T3_mT4_T5_T6_T7_T8_P12ihipStream_tbENKUlT_T0_E_clISt17integral_constantIbLb0EES11_EEDaSW_SX_EUlSW_E_NS1_11comp_targetILNS1_3genE4ELNS1_11target_archE910ELNS1_3gpuE8ELNS1_3repE0EEENS1_30default_config_static_selectorELNS0_4arch9wavefront6targetE0EEEvT1_,@function
_ZN7rocprim17ROCPRIM_400000_NS6detail17trampoline_kernelINS0_14default_configENS1_29reduce_by_key_config_selectorIxxN6thrust23THRUST_200600_302600_NS4plusIxEEEEZZNS1_33reduce_by_key_impl_wrapped_configILNS1_25lookback_scan_determinismE0ES3_S9_NS6_6detail15normal_iteratorINS6_10device_ptrIxEEEESG_SG_SG_PmS8_NS6_8equal_toIxEEEE10hipError_tPvRmT2_T3_mT4_T5_T6_T7_T8_P12ihipStream_tbENKUlT_T0_E_clISt17integral_constantIbLb0EES11_EEDaSW_SX_EUlSW_E_NS1_11comp_targetILNS1_3genE4ELNS1_11target_archE910ELNS1_3gpuE8ELNS1_3repE0EEENS1_30default_config_static_selectorELNS0_4arch9wavefront6targetE0EEEvT1_: ; @_ZN7rocprim17ROCPRIM_400000_NS6detail17trampoline_kernelINS0_14default_configENS1_29reduce_by_key_config_selectorIxxN6thrust23THRUST_200600_302600_NS4plusIxEEEEZZNS1_33reduce_by_key_impl_wrapped_configILNS1_25lookback_scan_determinismE0ES3_S9_NS6_6detail15normal_iteratorINS6_10device_ptrIxEEEESG_SG_SG_PmS8_NS6_8equal_toIxEEEE10hipError_tPvRmT2_T3_mT4_T5_T6_T7_T8_P12ihipStream_tbENKUlT_T0_E_clISt17integral_constantIbLb0EES11_EEDaSW_SX_EUlSW_E_NS1_11comp_targetILNS1_3genE4ELNS1_11target_archE910ELNS1_3gpuE8ELNS1_3repE0EEENS1_30default_config_static_selectorELNS0_4arch9wavefront6targetE0EEEvT1_
; %bb.0:
	.section	.rodata,"a",@progbits
	.p2align	6, 0x0
	.amdhsa_kernel _ZN7rocprim17ROCPRIM_400000_NS6detail17trampoline_kernelINS0_14default_configENS1_29reduce_by_key_config_selectorIxxN6thrust23THRUST_200600_302600_NS4plusIxEEEEZZNS1_33reduce_by_key_impl_wrapped_configILNS1_25lookback_scan_determinismE0ES3_S9_NS6_6detail15normal_iteratorINS6_10device_ptrIxEEEESG_SG_SG_PmS8_NS6_8equal_toIxEEEE10hipError_tPvRmT2_T3_mT4_T5_T6_T7_T8_P12ihipStream_tbENKUlT_T0_E_clISt17integral_constantIbLb0EES11_EEDaSW_SX_EUlSW_E_NS1_11comp_targetILNS1_3genE4ELNS1_11target_archE910ELNS1_3gpuE8ELNS1_3repE0EEENS1_30default_config_static_selectorELNS0_4arch9wavefront6targetE0EEEvT1_
		.amdhsa_group_segment_fixed_size 0
		.amdhsa_private_segment_fixed_size 0
		.amdhsa_kernarg_size 136
		.amdhsa_user_sgpr_count 15
		.amdhsa_user_sgpr_dispatch_ptr 0
		.amdhsa_user_sgpr_queue_ptr 0
		.amdhsa_user_sgpr_kernarg_segment_ptr 1
		.amdhsa_user_sgpr_dispatch_id 0
		.amdhsa_user_sgpr_private_segment_size 0
		.amdhsa_wavefront_size32 1
		.amdhsa_uses_dynamic_stack 0
		.amdhsa_enable_private_segment 0
		.amdhsa_system_sgpr_workgroup_id_x 1
		.amdhsa_system_sgpr_workgroup_id_y 0
		.amdhsa_system_sgpr_workgroup_id_z 0
		.amdhsa_system_sgpr_workgroup_info 0
		.amdhsa_system_vgpr_workitem_id 0
		.amdhsa_next_free_vgpr 1
		.amdhsa_next_free_sgpr 1
		.amdhsa_reserve_vcc 0
		.amdhsa_float_round_mode_32 0
		.amdhsa_float_round_mode_16_64 0
		.amdhsa_float_denorm_mode_32 3
		.amdhsa_float_denorm_mode_16_64 3
		.amdhsa_dx10_clamp 1
		.amdhsa_ieee_mode 1
		.amdhsa_fp16_overflow 0
		.amdhsa_workgroup_processor_mode 1
		.amdhsa_memory_ordered 1
		.amdhsa_forward_progress 0
		.amdhsa_shared_vgpr_count 0
		.amdhsa_exception_fp_ieee_invalid_op 0
		.amdhsa_exception_fp_denorm_src 0
		.amdhsa_exception_fp_ieee_div_zero 0
		.amdhsa_exception_fp_ieee_overflow 0
		.amdhsa_exception_fp_ieee_underflow 0
		.amdhsa_exception_fp_ieee_inexact 0
		.amdhsa_exception_int_div_zero 0
	.end_amdhsa_kernel
	.section	.text._ZN7rocprim17ROCPRIM_400000_NS6detail17trampoline_kernelINS0_14default_configENS1_29reduce_by_key_config_selectorIxxN6thrust23THRUST_200600_302600_NS4plusIxEEEEZZNS1_33reduce_by_key_impl_wrapped_configILNS1_25lookback_scan_determinismE0ES3_S9_NS6_6detail15normal_iteratorINS6_10device_ptrIxEEEESG_SG_SG_PmS8_NS6_8equal_toIxEEEE10hipError_tPvRmT2_T3_mT4_T5_T6_T7_T8_P12ihipStream_tbENKUlT_T0_E_clISt17integral_constantIbLb0EES11_EEDaSW_SX_EUlSW_E_NS1_11comp_targetILNS1_3genE4ELNS1_11target_archE910ELNS1_3gpuE8ELNS1_3repE0EEENS1_30default_config_static_selectorELNS0_4arch9wavefront6targetE0EEEvT1_,"axG",@progbits,_ZN7rocprim17ROCPRIM_400000_NS6detail17trampoline_kernelINS0_14default_configENS1_29reduce_by_key_config_selectorIxxN6thrust23THRUST_200600_302600_NS4plusIxEEEEZZNS1_33reduce_by_key_impl_wrapped_configILNS1_25lookback_scan_determinismE0ES3_S9_NS6_6detail15normal_iteratorINS6_10device_ptrIxEEEESG_SG_SG_PmS8_NS6_8equal_toIxEEEE10hipError_tPvRmT2_T3_mT4_T5_T6_T7_T8_P12ihipStream_tbENKUlT_T0_E_clISt17integral_constantIbLb0EES11_EEDaSW_SX_EUlSW_E_NS1_11comp_targetILNS1_3genE4ELNS1_11target_archE910ELNS1_3gpuE8ELNS1_3repE0EEENS1_30default_config_static_selectorELNS0_4arch9wavefront6targetE0EEEvT1_,comdat
.Lfunc_end471:
	.size	_ZN7rocprim17ROCPRIM_400000_NS6detail17trampoline_kernelINS0_14default_configENS1_29reduce_by_key_config_selectorIxxN6thrust23THRUST_200600_302600_NS4plusIxEEEEZZNS1_33reduce_by_key_impl_wrapped_configILNS1_25lookback_scan_determinismE0ES3_S9_NS6_6detail15normal_iteratorINS6_10device_ptrIxEEEESG_SG_SG_PmS8_NS6_8equal_toIxEEEE10hipError_tPvRmT2_T3_mT4_T5_T6_T7_T8_P12ihipStream_tbENKUlT_T0_E_clISt17integral_constantIbLb0EES11_EEDaSW_SX_EUlSW_E_NS1_11comp_targetILNS1_3genE4ELNS1_11target_archE910ELNS1_3gpuE8ELNS1_3repE0EEENS1_30default_config_static_selectorELNS0_4arch9wavefront6targetE0EEEvT1_, .Lfunc_end471-_ZN7rocprim17ROCPRIM_400000_NS6detail17trampoline_kernelINS0_14default_configENS1_29reduce_by_key_config_selectorIxxN6thrust23THRUST_200600_302600_NS4plusIxEEEEZZNS1_33reduce_by_key_impl_wrapped_configILNS1_25lookback_scan_determinismE0ES3_S9_NS6_6detail15normal_iteratorINS6_10device_ptrIxEEEESG_SG_SG_PmS8_NS6_8equal_toIxEEEE10hipError_tPvRmT2_T3_mT4_T5_T6_T7_T8_P12ihipStream_tbENKUlT_T0_E_clISt17integral_constantIbLb0EES11_EEDaSW_SX_EUlSW_E_NS1_11comp_targetILNS1_3genE4ELNS1_11target_archE910ELNS1_3gpuE8ELNS1_3repE0EEENS1_30default_config_static_selectorELNS0_4arch9wavefront6targetE0EEEvT1_
                                        ; -- End function
	.section	.AMDGPU.csdata,"",@progbits
; Kernel info:
; codeLenInByte = 0
; NumSgprs: 0
; NumVgprs: 0
; ScratchSize: 0
; MemoryBound: 0
; FloatMode: 240
; IeeeMode: 1
; LDSByteSize: 0 bytes/workgroup (compile time only)
; SGPRBlocks: 0
; VGPRBlocks: 0
; NumSGPRsForWavesPerEU: 1
; NumVGPRsForWavesPerEU: 1
; Occupancy: 16
; WaveLimiterHint : 0
; COMPUTE_PGM_RSRC2:SCRATCH_EN: 0
; COMPUTE_PGM_RSRC2:USER_SGPR: 15
; COMPUTE_PGM_RSRC2:TRAP_HANDLER: 0
; COMPUTE_PGM_RSRC2:TGID_X_EN: 1
; COMPUTE_PGM_RSRC2:TGID_Y_EN: 0
; COMPUTE_PGM_RSRC2:TGID_Z_EN: 0
; COMPUTE_PGM_RSRC2:TIDIG_COMP_CNT: 0
	.section	.text._ZN7rocprim17ROCPRIM_400000_NS6detail17trampoline_kernelINS0_14default_configENS1_29reduce_by_key_config_selectorIxxN6thrust23THRUST_200600_302600_NS4plusIxEEEEZZNS1_33reduce_by_key_impl_wrapped_configILNS1_25lookback_scan_determinismE0ES3_S9_NS6_6detail15normal_iteratorINS6_10device_ptrIxEEEESG_SG_SG_PmS8_NS6_8equal_toIxEEEE10hipError_tPvRmT2_T3_mT4_T5_T6_T7_T8_P12ihipStream_tbENKUlT_T0_E_clISt17integral_constantIbLb0EES11_EEDaSW_SX_EUlSW_E_NS1_11comp_targetILNS1_3genE3ELNS1_11target_archE908ELNS1_3gpuE7ELNS1_3repE0EEENS1_30default_config_static_selectorELNS0_4arch9wavefront6targetE0EEEvT1_,"axG",@progbits,_ZN7rocprim17ROCPRIM_400000_NS6detail17trampoline_kernelINS0_14default_configENS1_29reduce_by_key_config_selectorIxxN6thrust23THRUST_200600_302600_NS4plusIxEEEEZZNS1_33reduce_by_key_impl_wrapped_configILNS1_25lookback_scan_determinismE0ES3_S9_NS6_6detail15normal_iteratorINS6_10device_ptrIxEEEESG_SG_SG_PmS8_NS6_8equal_toIxEEEE10hipError_tPvRmT2_T3_mT4_T5_T6_T7_T8_P12ihipStream_tbENKUlT_T0_E_clISt17integral_constantIbLb0EES11_EEDaSW_SX_EUlSW_E_NS1_11comp_targetILNS1_3genE3ELNS1_11target_archE908ELNS1_3gpuE7ELNS1_3repE0EEENS1_30default_config_static_selectorELNS0_4arch9wavefront6targetE0EEEvT1_,comdat
	.protected	_ZN7rocprim17ROCPRIM_400000_NS6detail17trampoline_kernelINS0_14default_configENS1_29reduce_by_key_config_selectorIxxN6thrust23THRUST_200600_302600_NS4plusIxEEEEZZNS1_33reduce_by_key_impl_wrapped_configILNS1_25lookback_scan_determinismE0ES3_S9_NS6_6detail15normal_iteratorINS6_10device_ptrIxEEEESG_SG_SG_PmS8_NS6_8equal_toIxEEEE10hipError_tPvRmT2_T3_mT4_T5_T6_T7_T8_P12ihipStream_tbENKUlT_T0_E_clISt17integral_constantIbLb0EES11_EEDaSW_SX_EUlSW_E_NS1_11comp_targetILNS1_3genE3ELNS1_11target_archE908ELNS1_3gpuE7ELNS1_3repE0EEENS1_30default_config_static_selectorELNS0_4arch9wavefront6targetE0EEEvT1_ ; -- Begin function _ZN7rocprim17ROCPRIM_400000_NS6detail17trampoline_kernelINS0_14default_configENS1_29reduce_by_key_config_selectorIxxN6thrust23THRUST_200600_302600_NS4plusIxEEEEZZNS1_33reduce_by_key_impl_wrapped_configILNS1_25lookback_scan_determinismE0ES3_S9_NS6_6detail15normal_iteratorINS6_10device_ptrIxEEEESG_SG_SG_PmS8_NS6_8equal_toIxEEEE10hipError_tPvRmT2_T3_mT4_T5_T6_T7_T8_P12ihipStream_tbENKUlT_T0_E_clISt17integral_constantIbLb0EES11_EEDaSW_SX_EUlSW_E_NS1_11comp_targetILNS1_3genE3ELNS1_11target_archE908ELNS1_3gpuE7ELNS1_3repE0EEENS1_30default_config_static_selectorELNS0_4arch9wavefront6targetE0EEEvT1_
	.globl	_ZN7rocprim17ROCPRIM_400000_NS6detail17trampoline_kernelINS0_14default_configENS1_29reduce_by_key_config_selectorIxxN6thrust23THRUST_200600_302600_NS4plusIxEEEEZZNS1_33reduce_by_key_impl_wrapped_configILNS1_25lookback_scan_determinismE0ES3_S9_NS6_6detail15normal_iteratorINS6_10device_ptrIxEEEESG_SG_SG_PmS8_NS6_8equal_toIxEEEE10hipError_tPvRmT2_T3_mT4_T5_T6_T7_T8_P12ihipStream_tbENKUlT_T0_E_clISt17integral_constantIbLb0EES11_EEDaSW_SX_EUlSW_E_NS1_11comp_targetILNS1_3genE3ELNS1_11target_archE908ELNS1_3gpuE7ELNS1_3repE0EEENS1_30default_config_static_selectorELNS0_4arch9wavefront6targetE0EEEvT1_
	.p2align	8
	.type	_ZN7rocprim17ROCPRIM_400000_NS6detail17trampoline_kernelINS0_14default_configENS1_29reduce_by_key_config_selectorIxxN6thrust23THRUST_200600_302600_NS4plusIxEEEEZZNS1_33reduce_by_key_impl_wrapped_configILNS1_25lookback_scan_determinismE0ES3_S9_NS6_6detail15normal_iteratorINS6_10device_ptrIxEEEESG_SG_SG_PmS8_NS6_8equal_toIxEEEE10hipError_tPvRmT2_T3_mT4_T5_T6_T7_T8_P12ihipStream_tbENKUlT_T0_E_clISt17integral_constantIbLb0EES11_EEDaSW_SX_EUlSW_E_NS1_11comp_targetILNS1_3genE3ELNS1_11target_archE908ELNS1_3gpuE7ELNS1_3repE0EEENS1_30default_config_static_selectorELNS0_4arch9wavefront6targetE0EEEvT1_,@function
_ZN7rocprim17ROCPRIM_400000_NS6detail17trampoline_kernelINS0_14default_configENS1_29reduce_by_key_config_selectorIxxN6thrust23THRUST_200600_302600_NS4plusIxEEEEZZNS1_33reduce_by_key_impl_wrapped_configILNS1_25lookback_scan_determinismE0ES3_S9_NS6_6detail15normal_iteratorINS6_10device_ptrIxEEEESG_SG_SG_PmS8_NS6_8equal_toIxEEEE10hipError_tPvRmT2_T3_mT4_T5_T6_T7_T8_P12ihipStream_tbENKUlT_T0_E_clISt17integral_constantIbLb0EES11_EEDaSW_SX_EUlSW_E_NS1_11comp_targetILNS1_3genE3ELNS1_11target_archE908ELNS1_3gpuE7ELNS1_3repE0EEENS1_30default_config_static_selectorELNS0_4arch9wavefront6targetE0EEEvT1_: ; @_ZN7rocprim17ROCPRIM_400000_NS6detail17trampoline_kernelINS0_14default_configENS1_29reduce_by_key_config_selectorIxxN6thrust23THRUST_200600_302600_NS4plusIxEEEEZZNS1_33reduce_by_key_impl_wrapped_configILNS1_25lookback_scan_determinismE0ES3_S9_NS6_6detail15normal_iteratorINS6_10device_ptrIxEEEESG_SG_SG_PmS8_NS6_8equal_toIxEEEE10hipError_tPvRmT2_T3_mT4_T5_T6_T7_T8_P12ihipStream_tbENKUlT_T0_E_clISt17integral_constantIbLb0EES11_EEDaSW_SX_EUlSW_E_NS1_11comp_targetILNS1_3genE3ELNS1_11target_archE908ELNS1_3gpuE7ELNS1_3repE0EEENS1_30default_config_static_selectorELNS0_4arch9wavefront6targetE0EEEvT1_
; %bb.0:
	.section	.rodata,"a",@progbits
	.p2align	6, 0x0
	.amdhsa_kernel _ZN7rocprim17ROCPRIM_400000_NS6detail17trampoline_kernelINS0_14default_configENS1_29reduce_by_key_config_selectorIxxN6thrust23THRUST_200600_302600_NS4plusIxEEEEZZNS1_33reduce_by_key_impl_wrapped_configILNS1_25lookback_scan_determinismE0ES3_S9_NS6_6detail15normal_iteratorINS6_10device_ptrIxEEEESG_SG_SG_PmS8_NS6_8equal_toIxEEEE10hipError_tPvRmT2_T3_mT4_T5_T6_T7_T8_P12ihipStream_tbENKUlT_T0_E_clISt17integral_constantIbLb0EES11_EEDaSW_SX_EUlSW_E_NS1_11comp_targetILNS1_3genE3ELNS1_11target_archE908ELNS1_3gpuE7ELNS1_3repE0EEENS1_30default_config_static_selectorELNS0_4arch9wavefront6targetE0EEEvT1_
		.amdhsa_group_segment_fixed_size 0
		.amdhsa_private_segment_fixed_size 0
		.amdhsa_kernarg_size 136
		.amdhsa_user_sgpr_count 15
		.amdhsa_user_sgpr_dispatch_ptr 0
		.amdhsa_user_sgpr_queue_ptr 0
		.amdhsa_user_sgpr_kernarg_segment_ptr 1
		.amdhsa_user_sgpr_dispatch_id 0
		.amdhsa_user_sgpr_private_segment_size 0
		.amdhsa_wavefront_size32 1
		.amdhsa_uses_dynamic_stack 0
		.amdhsa_enable_private_segment 0
		.amdhsa_system_sgpr_workgroup_id_x 1
		.amdhsa_system_sgpr_workgroup_id_y 0
		.amdhsa_system_sgpr_workgroup_id_z 0
		.amdhsa_system_sgpr_workgroup_info 0
		.amdhsa_system_vgpr_workitem_id 0
		.amdhsa_next_free_vgpr 1
		.amdhsa_next_free_sgpr 1
		.amdhsa_reserve_vcc 0
		.amdhsa_float_round_mode_32 0
		.amdhsa_float_round_mode_16_64 0
		.amdhsa_float_denorm_mode_32 3
		.amdhsa_float_denorm_mode_16_64 3
		.amdhsa_dx10_clamp 1
		.amdhsa_ieee_mode 1
		.amdhsa_fp16_overflow 0
		.amdhsa_workgroup_processor_mode 1
		.amdhsa_memory_ordered 1
		.amdhsa_forward_progress 0
		.amdhsa_shared_vgpr_count 0
		.amdhsa_exception_fp_ieee_invalid_op 0
		.amdhsa_exception_fp_denorm_src 0
		.amdhsa_exception_fp_ieee_div_zero 0
		.amdhsa_exception_fp_ieee_overflow 0
		.amdhsa_exception_fp_ieee_underflow 0
		.amdhsa_exception_fp_ieee_inexact 0
		.amdhsa_exception_int_div_zero 0
	.end_amdhsa_kernel
	.section	.text._ZN7rocprim17ROCPRIM_400000_NS6detail17trampoline_kernelINS0_14default_configENS1_29reduce_by_key_config_selectorIxxN6thrust23THRUST_200600_302600_NS4plusIxEEEEZZNS1_33reduce_by_key_impl_wrapped_configILNS1_25lookback_scan_determinismE0ES3_S9_NS6_6detail15normal_iteratorINS6_10device_ptrIxEEEESG_SG_SG_PmS8_NS6_8equal_toIxEEEE10hipError_tPvRmT2_T3_mT4_T5_T6_T7_T8_P12ihipStream_tbENKUlT_T0_E_clISt17integral_constantIbLb0EES11_EEDaSW_SX_EUlSW_E_NS1_11comp_targetILNS1_3genE3ELNS1_11target_archE908ELNS1_3gpuE7ELNS1_3repE0EEENS1_30default_config_static_selectorELNS0_4arch9wavefront6targetE0EEEvT1_,"axG",@progbits,_ZN7rocprim17ROCPRIM_400000_NS6detail17trampoline_kernelINS0_14default_configENS1_29reduce_by_key_config_selectorIxxN6thrust23THRUST_200600_302600_NS4plusIxEEEEZZNS1_33reduce_by_key_impl_wrapped_configILNS1_25lookback_scan_determinismE0ES3_S9_NS6_6detail15normal_iteratorINS6_10device_ptrIxEEEESG_SG_SG_PmS8_NS6_8equal_toIxEEEE10hipError_tPvRmT2_T3_mT4_T5_T6_T7_T8_P12ihipStream_tbENKUlT_T0_E_clISt17integral_constantIbLb0EES11_EEDaSW_SX_EUlSW_E_NS1_11comp_targetILNS1_3genE3ELNS1_11target_archE908ELNS1_3gpuE7ELNS1_3repE0EEENS1_30default_config_static_selectorELNS0_4arch9wavefront6targetE0EEEvT1_,comdat
.Lfunc_end472:
	.size	_ZN7rocprim17ROCPRIM_400000_NS6detail17trampoline_kernelINS0_14default_configENS1_29reduce_by_key_config_selectorIxxN6thrust23THRUST_200600_302600_NS4plusIxEEEEZZNS1_33reduce_by_key_impl_wrapped_configILNS1_25lookback_scan_determinismE0ES3_S9_NS6_6detail15normal_iteratorINS6_10device_ptrIxEEEESG_SG_SG_PmS8_NS6_8equal_toIxEEEE10hipError_tPvRmT2_T3_mT4_T5_T6_T7_T8_P12ihipStream_tbENKUlT_T0_E_clISt17integral_constantIbLb0EES11_EEDaSW_SX_EUlSW_E_NS1_11comp_targetILNS1_3genE3ELNS1_11target_archE908ELNS1_3gpuE7ELNS1_3repE0EEENS1_30default_config_static_selectorELNS0_4arch9wavefront6targetE0EEEvT1_, .Lfunc_end472-_ZN7rocprim17ROCPRIM_400000_NS6detail17trampoline_kernelINS0_14default_configENS1_29reduce_by_key_config_selectorIxxN6thrust23THRUST_200600_302600_NS4plusIxEEEEZZNS1_33reduce_by_key_impl_wrapped_configILNS1_25lookback_scan_determinismE0ES3_S9_NS6_6detail15normal_iteratorINS6_10device_ptrIxEEEESG_SG_SG_PmS8_NS6_8equal_toIxEEEE10hipError_tPvRmT2_T3_mT4_T5_T6_T7_T8_P12ihipStream_tbENKUlT_T0_E_clISt17integral_constantIbLb0EES11_EEDaSW_SX_EUlSW_E_NS1_11comp_targetILNS1_3genE3ELNS1_11target_archE908ELNS1_3gpuE7ELNS1_3repE0EEENS1_30default_config_static_selectorELNS0_4arch9wavefront6targetE0EEEvT1_
                                        ; -- End function
	.section	.AMDGPU.csdata,"",@progbits
; Kernel info:
; codeLenInByte = 0
; NumSgprs: 0
; NumVgprs: 0
; ScratchSize: 0
; MemoryBound: 0
; FloatMode: 240
; IeeeMode: 1
; LDSByteSize: 0 bytes/workgroup (compile time only)
; SGPRBlocks: 0
; VGPRBlocks: 0
; NumSGPRsForWavesPerEU: 1
; NumVGPRsForWavesPerEU: 1
; Occupancy: 16
; WaveLimiterHint : 0
; COMPUTE_PGM_RSRC2:SCRATCH_EN: 0
; COMPUTE_PGM_RSRC2:USER_SGPR: 15
; COMPUTE_PGM_RSRC2:TRAP_HANDLER: 0
; COMPUTE_PGM_RSRC2:TGID_X_EN: 1
; COMPUTE_PGM_RSRC2:TGID_Y_EN: 0
; COMPUTE_PGM_RSRC2:TGID_Z_EN: 0
; COMPUTE_PGM_RSRC2:TIDIG_COMP_CNT: 0
	.section	.text._ZN7rocprim17ROCPRIM_400000_NS6detail17trampoline_kernelINS0_14default_configENS1_29reduce_by_key_config_selectorIxxN6thrust23THRUST_200600_302600_NS4plusIxEEEEZZNS1_33reduce_by_key_impl_wrapped_configILNS1_25lookback_scan_determinismE0ES3_S9_NS6_6detail15normal_iteratorINS6_10device_ptrIxEEEESG_SG_SG_PmS8_NS6_8equal_toIxEEEE10hipError_tPvRmT2_T3_mT4_T5_T6_T7_T8_P12ihipStream_tbENKUlT_T0_E_clISt17integral_constantIbLb0EES11_EEDaSW_SX_EUlSW_E_NS1_11comp_targetILNS1_3genE2ELNS1_11target_archE906ELNS1_3gpuE6ELNS1_3repE0EEENS1_30default_config_static_selectorELNS0_4arch9wavefront6targetE0EEEvT1_,"axG",@progbits,_ZN7rocprim17ROCPRIM_400000_NS6detail17trampoline_kernelINS0_14default_configENS1_29reduce_by_key_config_selectorIxxN6thrust23THRUST_200600_302600_NS4plusIxEEEEZZNS1_33reduce_by_key_impl_wrapped_configILNS1_25lookback_scan_determinismE0ES3_S9_NS6_6detail15normal_iteratorINS6_10device_ptrIxEEEESG_SG_SG_PmS8_NS6_8equal_toIxEEEE10hipError_tPvRmT2_T3_mT4_T5_T6_T7_T8_P12ihipStream_tbENKUlT_T0_E_clISt17integral_constantIbLb0EES11_EEDaSW_SX_EUlSW_E_NS1_11comp_targetILNS1_3genE2ELNS1_11target_archE906ELNS1_3gpuE6ELNS1_3repE0EEENS1_30default_config_static_selectorELNS0_4arch9wavefront6targetE0EEEvT1_,comdat
	.protected	_ZN7rocprim17ROCPRIM_400000_NS6detail17trampoline_kernelINS0_14default_configENS1_29reduce_by_key_config_selectorIxxN6thrust23THRUST_200600_302600_NS4plusIxEEEEZZNS1_33reduce_by_key_impl_wrapped_configILNS1_25lookback_scan_determinismE0ES3_S9_NS6_6detail15normal_iteratorINS6_10device_ptrIxEEEESG_SG_SG_PmS8_NS6_8equal_toIxEEEE10hipError_tPvRmT2_T3_mT4_T5_T6_T7_T8_P12ihipStream_tbENKUlT_T0_E_clISt17integral_constantIbLb0EES11_EEDaSW_SX_EUlSW_E_NS1_11comp_targetILNS1_3genE2ELNS1_11target_archE906ELNS1_3gpuE6ELNS1_3repE0EEENS1_30default_config_static_selectorELNS0_4arch9wavefront6targetE0EEEvT1_ ; -- Begin function _ZN7rocprim17ROCPRIM_400000_NS6detail17trampoline_kernelINS0_14default_configENS1_29reduce_by_key_config_selectorIxxN6thrust23THRUST_200600_302600_NS4plusIxEEEEZZNS1_33reduce_by_key_impl_wrapped_configILNS1_25lookback_scan_determinismE0ES3_S9_NS6_6detail15normal_iteratorINS6_10device_ptrIxEEEESG_SG_SG_PmS8_NS6_8equal_toIxEEEE10hipError_tPvRmT2_T3_mT4_T5_T6_T7_T8_P12ihipStream_tbENKUlT_T0_E_clISt17integral_constantIbLb0EES11_EEDaSW_SX_EUlSW_E_NS1_11comp_targetILNS1_3genE2ELNS1_11target_archE906ELNS1_3gpuE6ELNS1_3repE0EEENS1_30default_config_static_selectorELNS0_4arch9wavefront6targetE0EEEvT1_
	.globl	_ZN7rocprim17ROCPRIM_400000_NS6detail17trampoline_kernelINS0_14default_configENS1_29reduce_by_key_config_selectorIxxN6thrust23THRUST_200600_302600_NS4plusIxEEEEZZNS1_33reduce_by_key_impl_wrapped_configILNS1_25lookback_scan_determinismE0ES3_S9_NS6_6detail15normal_iteratorINS6_10device_ptrIxEEEESG_SG_SG_PmS8_NS6_8equal_toIxEEEE10hipError_tPvRmT2_T3_mT4_T5_T6_T7_T8_P12ihipStream_tbENKUlT_T0_E_clISt17integral_constantIbLb0EES11_EEDaSW_SX_EUlSW_E_NS1_11comp_targetILNS1_3genE2ELNS1_11target_archE906ELNS1_3gpuE6ELNS1_3repE0EEENS1_30default_config_static_selectorELNS0_4arch9wavefront6targetE0EEEvT1_
	.p2align	8
	.type	_ZN7rocprim17ROCPRIM_400000_NS6detail17trampoline_kernelINS0_14default_configENS1_29reduce_by_key_config_selectorIxxN6thrust23THRUST_200600_302600_NS4plusIxEEEEZZNS1_33reduce_by_key_impl_wrapped_configILNS1_25lookback_scan_determinismE0ES3_S9_NS6_6detail15normal_iteratorINS6_10device_ptrIxEEEESG_SG_SG_PmS8_NS6_8equal_toIxEEEE10hipError_tPvRmT2_T3_mT4_T5_T6_T7_T8_P12ihipStream_tbENKUlT_T0_E_clISt17integral_constantIbLb0EES11_EEDaSW_SX_EUlSW_E_NS1_11comp_targetILNS1_3genE2ELNS1_11target_archE906ELNS1_3gpuE6ELNS1_3repE0EEENS1_30default_config_static_selectorELNS0_4arch9wavefront6targetE0EEEvT1_,@function
_ZN7rocprim17ROCPRIM_400000_NS6detail17trampoline_kernelINS0_14default_configENS1_29reduce_by_key_config_selectorIxxN6thrust23THRUST_200600_302600_NS4plusIxEEEEZZNS1_33reduce_by_key_impl_wrapped_configILNS1_25lookback_scan_determinismE0ES3_S9_NS6_6detail15normal_iteratorINS6_10device_ptrIxEEEESG_SG_SG_PmS8_NS6_8equal_toIxEEEE10hipError_tPvRmT2_T3_mT4_T5_T6_T7_T8_P12ihipStream_tbENKUlT_T0_E_clISt17integral_constantIbLb0EES11_EEDaSW_SX_EUlSW_E_NS1_11comp_targetILNS1_3genE2ELNS1_11target_archE906ELNS1_3gpuE6ELNS1_3repE0EEENS1_30default_config_static_selectorELNS0_4arch9wavefront6targetE0EEEvT1_: ; @_ZN7rocprim17ROCPRIM_400000_NS6detail17trampoline_kernelINS0_14default_configENS1_29reduce_by_key_config_selectorIxxN6thrust23THRUST_200600_302600_NS4plusIxEEEEZZNS1_33reduce_by_key_impl_wrapped_configILNS1_25lookback_scan_determinismE0ES3_S9_NS6_6detail15normal_iteratorINS6_10device_ptrIxEEEESG_SG_SG_PmS8_NS6_8equal_toIxEEEE10hipError_tPvRmT2_T3_mT4_T5_T6_T7_T8_P12ihipStream_tbENKUlT_T0_E_clISt17integral_constantIbLb0EES11_EEDaSW_SX_EUlSW_E_NS1_11comp_targetILNS1_3genE2ELNS1_11target_archE906ELNS1_3gpuE6ELNS1_3repE0EEENS1_30default_config_static_selectorELNS0_4arch9wavefront6targetE0EEEvT1_
; %bb.0:
	.section	.rodata,"a",@progbits
	.p2align	6, 0x0
	.amdhsa_kernel _ZN7rocprim17ROCPRIM_400000_NS6detail17trampoline_kernelINS0_14default_configENS1_29reduce_by_key_config_selectorIxxN6thrust23THRUST_200600_302600_NS4plusIxEEEEZZNS1_33reduce_by_key_impl_wrapped_configILNS1_25lookback_scan_determinismE0ES3_S9_NS6_6detail15normal_iteratorINS6_10device_ptrIxEEEESG_SG_SG_PmS8_NS6_8equal_toIxEEEE10hipError_tPvRmT2_T3_mT4_T5_T6_T7_T8_P12ihipStream_tbENKUlT_T0_E_clISt17integral_constantIbLb0EES11_EEDaSW_SX_EUlSW_E_NS1_11comp_targetILNS1_3genE2ELNS1_11target_archE906ELNS1_3gpuE6ELNS1_3repE0EEENS1_30default_config_static_selectorELNS0_4arch9wavefront6targetE0EEEvT1_
		.amdhsa_group_segment_fixed_size 0
		.amdhsa_private_segment_fixed_size 0
		.amdhsa_kernarg_size 136
		.amdhsa_user_sgpr_count 15
		.amdhsa_user_sgpr_dispatch_ptr 0
		.amdhsa_user_sgpr_queue_ptr 0
		.amdhsa_user_sgpr_kernarg_segment_ptr 1
		.amdhsa_user_sgpr_dispatch_id 0
		.amdhsa_user_sgpr_private_segment_size 0
		.amdhsa_wavefront_size32 1
		.amdhsa_uses_dynamic_stack 0
		.amdhsa_enable_private_segment 0
		.amdhsa_system_sgpr_workgroup_id_x 1
		.amdhsa_system_sgpr_workgroup_id_y 0
		.amdhsa_system_sgpr_workgroup_id_z 0
		.amdhsa_system_sgpr_workgroup_info 0
		.amdhsa_system_vgpr_workitem_id 0
		.amdhsa_next_free_vgpr 1
		.amdhsa_next_free_sgpr 1
		.amdhsa_reserve_vcc 0
		.amdhsa_float_round_mode_32 0
		.amdhsa_float_round_mode_16_64 0
		.amdhsa_float_denorm_mode_32 3
		.amdhsa_float_denorm_mode_16_64 3
		.amdhsa_dx10_clamp 1
		.amdhsa_ieee_mode 1
		.amdhsa_fp16_overflow 0
		.amdhsa_workgroup_processor_mode 1
		.amdhsa_memory_ordered 1
		.amdhsa_forward_progress 0
		.amdhsa_shared_vgpr_count 0
		.amdhsa_exception_fp_ieee_invalid_op 0
		.amdhsa_exception_fp_denorm_src 0
		.amdhsa_exception_fp_ieee_div_zero 0
		.amdhsa_exception_fp_ieee_overflow 0
		.amdhsa_exception_fp_ieee_underflow 0
		.amdhsa_exception_fp_ieee_inexact 0
		.amdhsa_exception_int_div_zero 0
	.end_amdhsa_kernel
	.section	.text._ZN7rocprim17ROCPRIM_400000_NS6detail17trampoline_kernelINS0_14default_configENS1_29reduce_by_key_config_selectorIxxN6thrust23THRUST_200600_302600_NS4plusIxEEEEZZNS1_33reduce_by_key_impl_wrapped_configILNS1_25lookback_scan_determinismE0ES3_S9_NS6_6detail15normal_iteratorINS6_10device_ptrIxEEEESG_SG_SG_PmS8_NS6_8equal_toIxEEEE10hipError_tPvRmT2_T3_mT4_T5_T6_T7_T8_P12ihipStream_tbENKUlT_T0_E_clISt17integral_constantIbLb0EES11_EEDaSW_SX_EUlSW_E_NS1_11comp_targetILNS1_3genE2ELNS1_11target_archE906ELNS1_3gpuE6ELNS1_3repE0EEENS1_30default_config_static_selectorELNS0_4arch9wavefront6targetE0EEEvT1_,"axG",@progbits,_ZN7rocprim17ROCPRIM_400000_NS6detail17trampoline_kernelINS0_14default_configENS1_29reduce_by_key_config_selectorIxxN6thrust23THRUST_200600_302600_NS4plusIxEEEEZZNS1_33reduce_by_key_impl_wrapped_configILNS1_25lookback_scan_determinismE0ES3_S9_NS6_6detail15normal_iteratorINS6_10device_ptrIxEEEESG_SG_SG_PmS8_NS6_8equal_toIxEEEE10hipError_tPvRmT2_T3_mT4_T5_T6_T7_T8_P12ihipStream_tbENKUlT_T0_E_clISt17integral_constantIbLb0EES11_EEDaSW_SX_EUlSW_E_NS1_11comp_targetILNS1_3genE2ELNS1_11target_archE906ELNS1_3gpuE6ELNS1_3repE0EEENS1_30default_config_static_selectorELNS0_4arch9wavefront6targetE0EEEvT1_,comdat
.Lfunc_end473:
	.size	_ZN7rocprim17ROCPRIM_400000_NS6detail17trampoline_kernelINS0_14default_configENS1_29reduce_by_key_config_selectorIxxN6thrust23THRUST_200600_302600_NS4plusIxEEEEZZNS1_33reduce_by_key_impl_wrapped_configILNS1_25lookback_scan_determinismE0ES3_S9_NS6_6detail15normal_iteratorINS6_10device_ptrIxEEEESG_SG_SG_PmS8_NS6_8equal_toIxEEEE10hipError_tPvRmT2_T3_mT4_T5_T6_T7_T8_P12ihipStream_tbENKUlT_T0_E_clISt17integral_constantIbLb0EES11_EEDaSW_SX_EUlSW_E_NS1_11comp_targetILNS1_3genE2ELNS1_11target_archE906ELNS1_3gpuE6ELNS1_3repE0EEENS1_30default_config_static_selectorELNS0_4arch9wavefront6targetE0EEEvT1_, .Lfunc_end473-_ZN7rocprim17ROCPRIM_400000_NS6detail17trampoline_kernelINS0_14default_configENS1_29reduce_by_key_config_selectorIxxN6thrust23THRUST_200600_302600_NS4plusIxEEEEZZNS1_33reduce_by_key_impl_wrapped_configILNS1_25lookback_scan_determinismE0ES3_S9_NS6_6detail15normal_iteratorINS6_10device_ptrIxEEEESG_SG_SG_PmS8_NS6_8equal_toIxEEEE10hipError_tPvRmT2_T3_mT4_T5_T6_T7_T8_P12ihipStream_tbENKUlT_T0_E_clISt17integral_constantIbLb0EES11_EEDaSW_SX_EUlSW_E_NS1_11comp_targetILNS1_3genE2ELNS1_11target_archE906ELNS1_3gpuE6ELNS1_3repE0EEENS1_30default_config_static_selectorELNS0_4arch9wavefront6targetE0EEEvT1_
                                        ; -- End function
	.section	.AMDGPU.csdata,"",@progbits
; Kernel info:
; codeLenInByte = 0
; NumSgprs: 0
; NumVgprs: 0
; ScratchSize: 0
; MemoryBound: 0
; FloatMode: 240
; IeeeMode: 1
; LDSByteSize: 0 bytes/workgroup (compile time only)
; SGPRBlocks: 0
; VGPRBlocks: 0
; NumSGPRsForWavesPerEU: 1
; NumVGPRsForWavesPerEU: 1
; Occupancy: 16
; WaveLimiterHint : 0
; COMPUTE_PGM_RSRC2:SCRATCH_EN: 0
; COMPUTE_PGM_RSRC2:USER_SGPR: 15
; COMPUTE_PGM_RSRC2:TRAP_HANDLER: 0
; COMPUTE_PGM_RSRC2:TGID_X_EN: 1
; COMPUTE_PGM_RSRC2:TGID_Y_EN: 0
; COMPUTE_PGM_RSRC2:TGID_Z_EN: 0
; COMPUTE_PGM_RSRC2:TIDIG_COMP_CNT: 0
	.section	.text._ZN7rocprim17ROCPRIM_400000_NS6detail17trampoline_kernelINS0_14default_configENS1_29reduce_by_key_config_selectorIxxN6thrust23THRUST_200600_302600_NS4plusIxEEEEZZNS1_33reduce_by_key_impl_wrapped_configILNS1_25lookback_scan_determinismE0ES3_S9_NS6_6detail15normal_iteratorINS6_10device_ptrIxEEEESG_SG_SG_PmS8_NS6_8equal_toIxEEEE10hipError_tPvRmT2_T3_mT4_T5_T6_T7_T8_P12ihipStream_tbENKUlT_T0_E_clISt17integral_constantIbLb0EES11_EEDaSW_SX_EUlSW_E_NS1_11comp_targetILNS1_3genE10ELNS1_11target_archE1201ELNS1_3gpuE5ELNS1_3repE0EEENS1_30default_config_static_selectorELNS0_4arch9wavefront6targetE0EEEvT1_,"axG",@progbits,_ZN7rocprim17ROCPRIM_400000_NS6detail17trampoline_kernelINS0_14default_configENS1_29reduce_by_key_config_selectorIxxN6thrust23THRUST_200600_302600_NS4plusIxEEEEZZNS1_33reduce_by_key_impl_wrapped_configILNS1_25lookback_scan_determinismE0ES3_S9_NS6_6detail15normal_iteratorINS6_10device_ptrIxEEEESG_SG_SG_PmS8_NS6_8equal_toIxEEEE10hipError_tPvRmT2_T3_mT4_T5_T6_T7_T8_P12ihipStream_tbENKUlT_T0_E_clISt17integral_constantIbLb0EES11_EEDaSW_SX_EUlSW_E_NS1_11comp_targetILNS1_3genE10ELNS1_11target_archE1201ELNS1_3gpuE5ELNS1_3repE0EEENS1_30default_config_static_selectorELNS0_4arch9wavefront6targetE0EEEvT1_,comdat
	.protected	_ZN7rocprim17ROCPRIM_400000_NS6detail17trampoline_kernelINS0_14default_configENS1_29reduce_by_key_config_selectorIxxN6thrust23THRUST_200600_302600_NS4plusIxEEEEZZNS1_33reduce_by_key_impl_wrapped_configILNS1_25lookback_scan_determinismE0ES3_S9_NS6_6detail15normal_iteratorINS6_10device_ptrIxEEEESG_SG_SG_PmS8_NS6_8equal_toIxEEEE10hipError_tPvRmT2_T3_mT4_T5_T6_T7_T8_P12ihipStream_tbENKUlT_T0_E_clISt17integral_constantIbLb0EES11_EEDaSW_SX_EUlSW_E_NS1_11comp_targetILNS1_3genE10ELNS1_11target_archE1201ELNS1_3gpuE5ELNS1_3repE0EEENS1_30default_config_static_selectorELNS0_4arch9wavefront6targetE0EEEvT1_ ; -- Begin function _ZN7rocprim17ROCPRIM_400000_NS6detail17trampoline_kernelINS0_14default_configENS1_29reduce_by_key_config_selectorIxxN6thrust23THRUST_200600_302600_NS4plusIxEEEEZZNS1_33reduce_by_key_impl_wrapped_configILNS1_25lookback_scan_determinismE0ES3_S9_NS6_6detail15normal_iteratorINS6_10device_ptrIxEEEESG_SG_SG_PmS8_NS6_8equal_toIxEEEE10hipError_tPvRmT2_T3_mT4_T5_T6_T7_T8_P12ihipStream_tbENKUlT_T0_E_clISt17integral_constantIbLb0EES11_EEDaSW_SX_EUlSW_E_NS1_11comp_targetILNS1_3genE10ELNS1_11target_archE1201ELNS1_3gpuE5ELNS1_3repE0EEENS1_30default_config_static_selectorELNS0_4arch9wavefront6targetE0EEEvT1_
	.globl	_ZN7rocprim17ROCPRIM_400000_NS6detail17trampoline_kernelINS0_14default_configENS1_29reduce_by_key_config_selectorIxxN6thrust23THRUST_200600_302600_NS4plusIxEEEEZZNS1_33reduce_by_key_impl_wrapped_configILNS1_25lookback_scan_determinismE0ES3_S9_NS6_6detail15normal_iteratorINS6_10device_ptrIxEEEESG_SG_SG_PmS8_NS6_8equal_toIxEEEE10hipError_tPvRmT2_T3_mT4_T5_T6_T7_T8_P12ihipStream_tbENKUlT_T0_E_clISt17integral_constantIbLb0EES11_EEDaSW_SX_EUlSW_E_NS1_11comp_targetILNS1_3genE10ELNS1_11target_archE1201ELNS1_3gpuE5ELNS1_3repE0EEENS1_30default_config_static_selectorELNS0_4arch9wavefront6targetE0EEEvT1_
	.p2align	8
	.type	_ZN7rocprim17ROCPRIM_400000_NS6detail17trampoline_kernelINS0_14default_configENS1_29reduce_by_key_config_selectorIxxN6thrust23THRUST_200600_302600_NS4plusIxEEEEZZNS1_33reduce_by_key_impl_wrapped_configILNS1_25lookback_scan_determinismE0ES3_S9_NS6_6detail15normal_iteratorINS6_10device_ptrIxEEEESG_SG_SG_PmS8_NS6_8equal_toIxEEEE10hipError_tPvRmT2_T3_mT4_T5_T6_T7_T8_P12ihipStream_tbENKUlT_T0_E_clISt17integral_constantIbLb0EES11_EEDaSW_SX_EUlSW_E_NS1_11comp_targetILNS1_3genE10ELNS1_11target_archE1201ELNS1_3gpuE5ELNS1_3repE0EEENS1_30default_config_static_selectorELNS0_4arch9wavefront6targetE0EEEvT1_,@function
_ZN7rocprim17ROCPRIM_400000_NS6detail17trampoline_kernelINS0_14default_configENS1_29reduce_by_key_config_selectorIxxN6thrust23THRUST_200600_302600_NS4plusIxEEEEZZNS1_33reduce_by_key_impl_wrapped_configILNS1_25lookback_scan_determinismE0ES3_S9_NS6_6detail15normal_iteratorINS6_10device_ptrIxEEEESG_SG_SG_PmS8_NS6_8equal_toIxEEEE10hipError_tPvRmT2_T3_mT4_T5_T6_T7_T8_P12ihipStream_tbENKUlT_T0_E_clISt17integral_constantIbLb0EES11_EEDaSW_SX_EUlSW_E_NS1_11comp_targetILNS1_3genE10ELNS1_11target_archE1201ELNS1_3gpuE5ELNS1_3repE0EEENS1_30default_config_static_selectorELNS0_4arch9wavefront6targetE0EEEvT1_: ; @_ZN7rocprim17ROCPRIM_400000_NS6detail17trampoline_kernelINS0_14default_configENS1_29reduce_by_key_config_selectorIxxN6thrust23THRUST_200600_302600_NS4plusIxEEEEZZNS1_33reduce_by_key_impl_wrapped_configILNS1_25lookback_scan_determinismE0ES3_S9_NS6_6detail15normal_iteratorINS6_10device_ptrIxEEEESG_SG_SG_PmS8_NS6_8equal_toIxEEEE10hipError_tPvRmT2_T3_mT4_T5_T6_T7_T8_P12ihipStream_tbENKUlT_T0_E_clISt17integral_constantIbLb0EES11_EEDaSW_SX_EUlSW_E_NS1_11comp_targetILNS1_3genE10ELNS1_11target_archE1201ELNS1_3gpuE5ELNS1_3repE0EEENS1_30default_config_static_selectorELNS0_4arch9wavefront6targetE0EEEvT1_
; %bb.0:
	.section	.rodata,"a",@progbits
	.p2align	6, 0x0
	.amdhsa_kernel _ZN7rocprim17ROCPRIM_400000_NS6detail17trampoline_kernelINS0_14default_configENS1_29reduce_by_key_config_selectorIxxN6thrust23THRUST_200600_302600_NS4plusIxEEEEZZNS1_33reduce_by_key_impl_wrapped_configILNS1_25lookback_scan_determinismE0ES3_S9_NS6_6detail15normal_iteratorINS6_10device_ptrIxEEEESG_SG_SG_PmS8_NS6_8equal_toIxEEEE10hipError_tPvRmT2_T3_mT4_T5_T6_T7_T8_P12ihipStream_tbENKUlT_T0_E_clISt17integral_constantIbLb0EES11_EEDaSW_SX_EUlSW_E_NS1_11comp_targetILNS1_3genE10ELNS1_11target_archE1201ELNS1_3gpuE5ELNS1_3repE0EEENS1_30default_config_static_selectorELNS0_4arch9wavefront6targetE0EEEvT1_
		.amdhsa_group_segment_fixed_size 0
		.amdhsa_private_segment_fixed_size 0
		.amdhsa_kernarg_size 136
		.amdhsa_user_sgpr_count 15
		.amdhsa_user_sgpr_dispatch_ptr 0
		.amdhsa_user_sgpr_queue_ptr 0
		.amdhsa_user_sgpr_kernarg_segment_ptr 1
		.amdhsa_user_sgpr_dispatch_id 0
		.amdhsa_user_sgpr_private_segment_size 0
		.amdhsa_wavefront_size32 1
		.amdhsa_uses_dynamic_stack 0
		.amdhsa_enable_private_segment 0
		.amdhsa_system_sgpr_workgroup_id_x 1
		.amdhsa_system_sgpr_workgroup_id_y 0
		.amdhsa_system_sgpr_workgroup_id_z 0
		.amdhsa_system_sgpr_workgroup_info 0
		.amdhsa_system_vgpr_workitem_id 0
		.amdhsa_next_free_vgpr 1
		.amdhsa_next_free_sgpr 1
		.amdhsa_reserve_vcc 0
		.amdhsa_float_round_mode_32 0
		.amdhsa_float_round_mode_16_64 0
		.amdhsa_float_denorm_mode_32 3
		.amdhsa_float_denorm_mode_16_64 3
		.amdhsa_dx10_clamp 1
		.amdhsa_ieee_mode 1
		.amdhsa_fp16_overflow 0
		.amdhsa_workgroup_processor_mode 1
		.amdhsa_memory_ordered 1
		.amdhsa_forward_progress 0
		.amdhsa_shared_vgpr_count 0
		.amdhsa_exception_fp_ieee_invalid_op 0
		.amdhsa_exception_fp_denorm_src 0
		.amdhsa_exception_fp_ieee_div_zero 0
		.amdhsa_exception_fp_ieee_overflow 0
		.amdhsa_exception_fp_ieee_underflow 0
		.amdhsa_exception_fp_ieee_inexact 0
		.amdhsa_exception_int_div_zero 0
	.end_amdhsa_kernel
	.section	.text._ZN7rocprim17ROCPRIM_400000_NS6detail17trampoline_kernelINS0_14default_configENS1_29reduce_by_key_config_selectorIxxN6thrust23THRUST_200600_302600_NS4plusIxEEEEZZNS1_33reduce_by_key_impl_wrapped_configILNS1_25lookback_scan_determinismE0ES3_S9_NS6_6detail15normal_iteratorINS6_10device_ptrIxEEEESG_SG_SG_PmS8_NS6_8equal_toIxEEEE10hipError_tPvRmT2_T3_mT4_T5_T6_T7_T8_P12ihipStream_tbENKUlT_T0_E_clISt17integral_constantIbLb0EES11_EEDaSW_SX_EUlSW_E_NS1_11comp_targetILNS1_3genE10ELNS1_11target_archE1201ELNS1_3gpuE5ELNS1_3repE0EEENS1_30default_config_static_selectorELNS0_4arch9wavefront6targetE0EEEvT1_,"axG",@progbits,_ZN7rocprim17ROCPRIM_400000_NS6detail17trampoline_kernelINS0_14default_configENS1_29reduce_by_key_config_selectorIxxN6thrust23THRUST_200600_302600_NS4plusIxEEEEZZNS1_33reduce_by_key_impl_wrapped_configILNS1_25lookback_scan_determinismE0ES3_S9_NS6_6detail15normal_iteratorINS6_10device_ptrIxEEEESG_SG_SG_PmS8_NS6_8equal_toIxEEEE10hipError_tPvRmT2_T3_mT4_T5_T6_T7_T8_P12ihipStream_tbENKUlT_T0_E_clISt17integral_constantIbLb0EES11_EEDaSW_SX_EUlSW_E_NS1_11comp_targetILNS1_3genE10ELNS1_11target_archE1201ELNS1_3gpuE5ELNS1_3repE0EEENS1_30default_config_static_selectorELNS0_4arch9wavefront6targetE0EEEvT1_,comdat
.Lfunc_end474:
	.size	_ZN7rocprim17ROCPRIM_400000_NS6detail17trampoline_kernelINS0_14default_configENS1_29reduce_by_key_config_selectorIxxN6thrust23THRUST_200600_302600_NS4plusIxEEEEZZNS1_33reduce_by_key_impl_wrapped_configILNS1_25lookback_scan_determinismE0ES3_S9_NS6_6detail15normal_iteratorINS6_10device_ptrIxEEEESG_SG_SG_PmS8_NS6_8equal_toIxEEEE10hipError_tPvRmT2_T3_mT4_T5_T6_T7_T8_P12ihipStream_tbENKUlT_T0_E_clISt17integral_constantIbLb0EES11_EEDaSW_SX_EUlSW_E_NS1_11comp_targetILNS1_3genE10ELNS1_11target_archE1201ELNS1_3gpuE5ELNS1_3repE0EEENS1_30default_config_static_selectorELNS0_4arch9wavefront6targetE0EEEvT1_, .Lfunc_end474-_ZN7rocprim17ROCPRIM_400000_NS6detail17trampoline_kernelINS0_14default_configENS1_29reduce_by_key_config_selectorIxxN6thrust23THRUST_200600_302600_NS4plusIxEEEEZZNS1_33reduce_by_key_impl_wrapped_configILNS1_25lookback_scan_determinismE0ES3_S9_NS6_6detail15normal_iteratorINS6_10device_ptrIxEEEESG_SG_SG_PmS8_NS6_8equal_toIxEEEE10hipError_tPvRmT2_T3_mT4_T5_T6_T7_T8_P12ihipStream_tbENKUlT_T0_E_clISt17integral_constantIbLb0EES11_EEDaSW_SX_EUlSW_E_NS1_11comp_targetILNS1_3genE10ELNS1_11target_archE1201ELNS1_3gpuE5ELNS1_3repE0EEENS1_30default_config_static_selectorELNS0_4arch9wavefront6targetE0EEEvT1_
                                        ; -- End function
	.section	.AMDGPU.csdata,"",@progbits
; Kernel info:
; codeLenInByte = 0
; NumSgprs: 0
; NumVgprs: 0
; ScratchSize: 0
; MemoryBound: 0
; FloatMode: 240
; IeeeMode: 1
; LDSByteSize: 0 bytes/workgroup (compile time only)
; SGPRBlocks: 0
; VGPRBlocks: 0
; NumSGPRsForWavesPerEU: 1
; NumVGPRsForWavesPerEU: 1
; Occupancy: 16
; WaveLimiterHint : 0
; COMPUTE_PGM_RSRC2:SCRATCH_EN: 0
; COMPUTE_PGM_RSRC2:USER_SGPR: 15
; COMPUTE_PGM_RSRC2:TRAP_HANDLER: 0
; COMPUTE_PGM_RSRC2:TGID_X_EN: 1
; COMPUTE_PGM_RSRC2:TGID_Y_EN: 0
; COMPUTE_PGM_RSRC2:TGID_Z_EN: 0
; COMPUTE_PGM_RSRC2:TIDIG_COMP_CNT: 0
	.section	.text._ZN7rocprim17ROCPRIM_400000_NS6detail17trampoline_kernelINS0_14default_configENS1_29reduce_by_key_config_selectorIxxN6thrust23THRUST_200600_302600_NS4plusIxEEEEZZNS1_33reduce_by_key_impl_wrapped_configILNS1_25lookback_scan_determinismE0ES3_S9_NS6_6detail15normal_iteratorINS6_10device_ptrIxEEEESG_SG_SG_PmS8_NS6_8equal_toIxEEEE10hipError_tPvRmT2_T3_mT4_T5_T6_T7_T8_P12ihipStream_tbENKUlT_T0_E_clISt17integral_constantIbLb0EES11_EEDaSW_SX_EUlSW_E_NS1_11comp_targetILNS1_3genE10ELNS1_11target_archE1200ELNS1_3gpuE4ELNS1_3repE0EEENS1_30default_config_static_selectorELNS0_4arch9wavefront6targetE0EEEvT1_,"axG",@progbits,_ZN7rocprim17ROCPRIM_400000_NS6detail17trampoline_kernelINS0_14default_configENS1_29reduce_by_key_config_selectorIxxN6thrust23THRUST_200600_302600_NS4plusIxEEEEZZNS1_33reduce_by_key_impl_wrapped_configILNS1_25lookback_scan_determinismE0ES3_S9_NS6_6detail15normal_iteratorINS6_10device_ptrIxEEEESG_SG_SG_PmS8_NS6_8equal_toIxEEEE10hipError_tPvRmT2_T3_mT4_T5_T6_T7_T8_P12ihipStream_tbENKUlT_T0_E_clISt17integral_constantIbLb0EES11_EEDaSW_SX_EUlSW_E_NS1_11comp_targetILNS1_3genE10ELNS1_11target_archE1200ELNS1_3gpuE4ELNS1_3repE0EEENS1_30default_config_static_selectorELNS0_4arch9wavefront6targetE0EEEvT1_,comdat
	.protected	_ZN7rocprim17ROCPRIM_400000_NS6detail17trampoline_kernelINS0_14default_configENS1_29reduce_by_key_config_selectorIxxN6thrust23THRUST_200600_302600_NS4plusIxEEEEZZNS1_33reduce_by_key_impl_wrapped_configILNS1_25lookback_scan_determinismE0ES3_S9_NS6_6detail15normal_iteratorINS6_10device_ptrIxEEEESG_SG_SG_PmS8_NS6_8equal_toIxEEEE10hipError_tPvRmT2_T3_mT4_T5_T6_T7_T8_P12ihipStream_tbENKUlT_T0_E_clISt17integral_constantIbLb0EES11_EEDaSW_SX_EUlSW_E_NS1_11comp_targetILNS1_3genE10ELNS1_11target_archE1200ELNS1_3gpuE4ELNS1_3repE0EEENS1_30default_config_static_selectorELNS0_4arch9wavefront6targetE0EEEvT1_ ; -- Begin function _ZN7rocprim17ROCPRIM_400000_NS6detail17trampoline_kernelINS0_14default_configENS1_29reduce_by_key_config_selectorIxxN6thrust23THRUST_200600_302600_NS4plusIxEEEEZZNS1_33reduce_by_key_impl_wrapped_configILNS1_25lookback_scan_determinismE0ES3_S9_NS6_6detail15normal_iteratorINS6_10device_ptrIxEEEESG_SG_SG_PmS8_NS6_8equal_toIxEEEE10hipError_tPvRmT2_T3_mT4_T5_T6_T7_T8_P12ihipStream_tbENKUlT_T0_E_clISt17integral_constantIbLb0EES11_EEDaSW_SX_EUlSW_E_NS1_11comp_targetILNS1_3genE10ELNS1_11target_archE1200ELNS1_3gpuE4ELNS1_3repE0EEENS1_30default_config_static_selectorELNS0_4arch9wavefront6targetE0EEEvT1_
	.globl	_ZN7rocprim17ROCPRIM_400000_NS6detail17trampoline_kernelINS0_14default_configENS1_29reduce_by_key_config_selectorIxxN6thrust23THRUST_200600_302600_NS4plusIxEEEEZZNS1_33reduce_by_key_impl_wrapped_configILNS1_25lookback_scan_determinismE0ES3_S9_NS6_6detail15normal_iteratorINS6_10device_ptrIxEEEESG_SG_SG_PmS8_NS6_8equal_toIxEEEE10hipError_tPvRmT2_T3_mT4_T5_T6_T7_T8_P12ihipStream_tbENKUlT_T0_E_clISt17integral_constantIbLb0EES11_EEDaSW_SX_EUlSW_E_NS1_11comp_targetILNS1_3genE10ELNS1_11target_archE1200ELNS1_3gpuE4ELNS1_3repE0EEENS1_30default_config_static_selectorELNS0_4arch9wavefront6targetE0EEEvT1_
	.p2align	8
	.type	_ZN7rocprim17ROCPRIM_400000_NS6detail17trampoline_kernelINS0_14default_configENS1_29reduce_by_key_config_selectorIxxN6thrust23THRUST_200600_302600_NS4plusIxEEEEZZNS1_33reduce_by_key_impl_wrapped_configILNS1_25lookback_scan_determinismE0ES3_S9_NS6_6detail15normal_iteratorINS6_10device_ptrIxEEEESG_SG_SG_PmS8_NS6_8equal_toIxEEEE10hipError_tPvRmT2_T3_mT4_T5_T6_T7_T8_P12ihipStream_tbENKUlT_T0_E_clISt17integral_constantIbLb0EES11_EEDaSW_SX_EUlSW_E_NS1_11comp_targetILNS1_3genE10ELNS1_11target_archE1200ELNS1_3gpuE4ELNS1_3repE0EEENS1_30default_config_static_selectorELNS0_4arch9wavefront6targetE0EEEvT1_,@function
_ZN7rocprim17ROCPRIM_400000_NS6detail17trampoline_kernelINS0_14default_configENS1_29reduce_by_key_config_selectorIxxN6thrust23THRUST_200600_302600_NS4plusIxEEEEZZNS1_33reduce_by_key_impl_wrapped_configILNS1_25lookback_scan_determinismE0ES3_S9_NS6_6detail15normal_iteratorINS6_10device_ptrIxEEEESG_SG_SG_PmS8_NS6_8equal_toIxEEEE10hipError_tPvRmT2_T3_mT4_T5_T6_T7_T8_P12ihipStream_tbENKUlT_T0_E_clISt17integral_constantIbLb0EES11_EEDaSW_SX_EUlSW_E_NS1_11comp_targetILNS1_3genE10ELNS1_11target_archE1200ELNS1_3gpuE4ELNS1_3repE0EEENS1_30default_config_static_selectorELNS0_4arch9wavefront6targetE0EEEvT1_: ; @_ZN7rocprim17ROCPRIM_400000_NS6detail17trampoline_kernelINS0_14default_configENS1_29reduce_by_key_config_selectorIxxN6thrust23THRUST_200600_302600_NS4plusIxEEEEZZNS1_33reduce_by_key_impl_wrapped_configILNS1_25lookback_scan_determinismE0ES3_S9_NS6_6detail15normal_iteratorINS6_10device_ptrIxEEEESG_SG_SG_PmS8_NS6_8equal_toIxEEEE10hipError_tPvRmT2_T3_mT4_T5_T6_T7_T8_P12ihipStream_tbENKUlT_T0_E_clISt17integral_constantIbLb0EES11_EEDaSW_SX_EUlSW_E_NS1_11comp_targetILNS1_3genE10ELNS1_11target_archE1200ELNS1_3gpuE4ELNS1_3repE0EEENS1_30default_config_static_selectorELNS0_4arch9wavefront6targetE0EEEvT1_
; %bb.0:
	.section	.rodata,"a",@progbits
	.p2align	6, 0x0
	.amdhsa_kernel _ZN7rocprim17ROCPRIM_400000_NS6detail17trampoline_kernelINS0_14default_configENS1_29reduce_by_key_config_selectorIxxN6thrust23THRUST_200600_302600_NS4plusIxEEEEZZNS1_33reduce_by_key_impl_wrapped_configILNS1_25lookback_scan_determinismE0ES3_S9_NS6_6detail15normal_iteratorINS6_10device_ptrIxEEEESG_SG_SG_PmS8_NS6_8equal_toIxEEEE10hipError_tPvRmT2_T3_mT4_T5_T6_T7_T8_P12ihipStream_tbENKUlT_T0_E_clISt17integral_constantIbLb0EES11_EEDaSW_SX_EUlSW_E_NS1_11comp_targetILNS1_3genE10ELNS1_11target_archE1200ELNS1_3gpuE4ELNS1_3repE0EEENS1_30default_config_static_selectorELNS0_4arch9wavefront6targetE0EEEvT1_
		.amdhsa_group_segment_fixed_size 0
		.amdhsa_private_segment_fixed_size 0
		.amdhsa_kernarg_size 136
		.amdhsa_user_sgpr_count 15
		.amdhsa_user_sgpr_dispatch_ptr 0
		.amdhsa_user_sgpr_queue_ptr 0
		.amdhsa_user_sgpr_kernarg_segment_ptr 1
		.amdhsa_user_sgpr_dispatch_id 0
		.amdhsa_user_sgpr_private_segment_size 0
		.amdhsa_wavefront_size32 1
		.amdhsa_uses_dynamic_stack 0
		.amdhsa_enable_private_segment 0
		.amdhsa_system_sgpr_workgroup_id_x 1
		.amdhsa_system_sgpr_workgroup_id_y 0
		.amdhsa_system_sgpr_workgroup_id_z 0
		.amdhsa_system_sgpr_workgroup_info 0
		.amdhsa_system_vgpr_workitem_id 0
		.amdhsa_next_free_vgpr 1
		.amdhsa_next_free_sgpr 1
		.amdhsa_reserve_vcc 0
		.amdhsa_float_round_mode_32 0
		.amdhsa_float_round_mode_16_64 0
		.amdhsa_float_denorm_mode_32 3
		.amdhsa_float_denorm_mode_16_64 3
		.amdhsa_dx10_clamp 1
		.amdhsa_ieee_mode 1
		.amdhsa_fp16_overflow 0
		.amdhsa_workgroup_processor_mode 1
		.amdhsa_memory_ordered 1
		.amdhsa_forward_progress 0
		.amdhsa_shared_vgpr_count 0
		.amdhsa_exception_fp_ieee_invalid_op 0
		.amdhsa_exception_fp_denorm_src 0
		.amdhsa_exception_fp_ieee_div_zero 0
		.amdhsa_exception_fp_ieee_overflow 0
		.amdhsa_exception_fp_ieee_underflow 0
		.amdhsa_exception_fp_ieee_inexact 0
		.amdhsa_exception_int_div_zero 0
	.end_amdhsa_kernel
	.section	.text._ZN7rocprim17ROCPRIM_400000_NS6detail17trampoline_kernelINS0_14default_configENS1_29reduce_by_key_config_selectorIxxN6thrust23THRUST_200600_302600_NS4plusIxEEEEZZNS1_33reduce_by_key_impl_wrapped_configILNS1_25lookback_scan_determinismE0ES3_S9_NS6_6detail15normal_iteratorINS6_10device_ptrIxEEEESG_SG_SG_PmS8_NS6_8equal_toIxEEEE10hipError_tPvRmT2_T3_mT4_T5_T6_T7_T8_P12ihipStream_tbENKUlT_T0_E_clISt17integral_constantIbLb0EES11_EEDaSW_SX_EUlSW_E_NS1_11comp_targetILNS1_3genE10ELNS1_11target_archE1200ELNS1_3gpuE4ELNS1_3repE0EEENS1_30default_config_static_selectorELNS0_4arch9wavefront6targetE0EEEvT1_,"axG",@progbits,_ZN7rocprim17ROCPRIM_400000_NS6detail17trampoline_kernelINS0_14default_configENS1_29reduce_by_key_config_selectorIxxN6thrust23THRUST_200600_302600_NS4plusIxEEEEZZNS1_33reduce_by_key_impl_wrapped_configILNS1_25lookback_scan_determinismE0ES3_S9_NS6_6detail15normal_iteratorINS6_10device_ptrIxEEEESG_SG_SG_PmS8_NS6_8equal_toIxEEEE10hipError_tPvRmT2_T3_mT4_T5_T6_T7_T8_P12ihipStream_tbENKUlT_T0_E_clISt17integral_constantIbLb0EES11_EEDaSW_SX_EUlSW_E_NS1_11comp_targetILNS1_3genE10ELNS1_11target_archE1200ELNS1_3gpuE4ELNS1_3repE0EEENS1_30default_config_static_selectorELNS0_4arch9wavefront6targetE0EEEvT1_,comdat
.Lfunc_end475:
	.size	_ZN7rocprim17ROCPRIM_400000_NS6detail17trampoline_kernelINS0_14default_configENS1_29reduce_by_key_config_selectorIxxN6thrust23THRUST_200600_302600_NS4plusIxEEEEZZNS1_33reduce_by_key_impl_wrapped_configILNS1_25lookback_scan_determinismE0ES3_S9_NS6_6detail15normal_iteratorINS6_10device_ptrIxEEEESG_SG_SG_PmS8_NS6_8equal_toIxEEEE10hipError_tPvRmT2_T3_mT4_T5_T6_T7_T8_P12ihipStream_tbENKUlT_T0_E_clISt17integral_constantIbLb0EES11_EEDaSW_SX_EUlSW_E_NS1_11comp_targetILNS1_3genE10ELNS1_11target_archE1200ELNS1_3gpuE4ELNS1_3repE0EEENS1_30default_config_static_selectorELNS0_4arch9wavefront6targetE0EEEvT1_, .Lfunc_end475-_ZN7rocprim17ROCPRIM_400000_NS6detail17trampoline_kernelINS0_14default_configENS1_29reduce_by_key_config_selectorIxxN6thrust23THRUST_200600_302600_NS4plusIxEEEEZZNS1_33reduce_by_key_impl_wrapped_configILNS1_25lookback_scan_determinismE0ES3_S9_NS6_6detail15normal_iteratorINS6_10device_ptrIxEEEESG_SG_SG_PmS8_NS6_8equal_toIxEEEE10hipError_tPvRmT2_T3_mT4_T5_T6_T7_T8_P12ihipStream_tbENKUlT_T0_E_clISt17integral_constantIbLb0EES11_EEDaSW_SX_EUlSW_E_NS1_11comp_targetILNS1_3genE10ELNS1_11target_archE1200ELNS1_3gpuE4ELNS1_3repE0EEENS1_30default_config_static_selectorELNS0_4arch9wavefront6targetE0EEEvT1_
                                        ; -- End function
	.section	.AMDGPU.csdata,"",@progbits
; Kernel info:
; codeLenInByte = 0
; NumSgprs: 0
; NumVgprs: 0
; ScratchSize: 0
; MemoryBound: 0
; FloatMode: 240
; IeeeMode: 1
; LDSByteSize: 0 bytes/workgroup (compile time only)
; SGPRBlocks: 0
; VGPRBlocks: 0
; NumSGPRsForWavesPerEU: 1
; NumVGPRsForWavesPerEU: 1
; Occupancy: 16
; WaveLimiterHint : 0
; COMPUTE_PGM_RSRC2:SCRATCH_EN: 0
; COMPUTE_PGM_RSRC2:USER_SGPR: 15
; COMPUTE_PGM_RSRC2:TRAP_HANDLER: 0
; COMPUTE_PGM_RSRC2:TGID_X_EN: 1
; COMPUTE_PGM_RSRC2:TGID_Y_EN: 0
; COMPUTE_PGM_RSRC2:TGID_Z_EN: 0
; COMPUTE_PGM_RSRC2:TIDIG_COMP_CNT: 0
	.section	.text._ZN7rocprim17ROCPRIM_400000_NS6detail17trampoline_kernelINS0_14default_configENS1_29reduce_by_key_config_selectorIxxN6thrust23THRUST_200600_302600_NS4plusIxEEEEZZNS1_33reduce_by_key_impl_wrapped_configILNS1_25lookback_scan_determinismE0ES3_S9_NS6_6detail15normal_iteratorINS6_10device_ptrIxEEEESG_SG_SG_PmS8_NS6_8equal_toIxEEEE10hipError_tPvRmT2_T3_mT4_T5_T6_T7_T8_P12ihipStream_tbENKUlT_T0_E_clISt17integral_constantIbLb0EES11_EEDaSW_SX_EUlSW_E_NS1_11comp_targetILNS1_3genE9ELNS1_11target_archE1100ELNS1_3gpuE3ELNS1_3repE0EEENS1_30default_config_static_selectorELNS0_4arch9wavefront6targetE0EEEvT1_,"axG",@progbits,_ZN7rocprim17ROCPRIM_400000_NS6detail17trampoline_kernelINS0_14default_configENS1_29reduce_by_key_config_selectorIxxN6thrust23THRUST_200600_302600_NS4plusIxEEEEZZNS1_33reduce_by_key_impl_wrapped_configILNS1_25lookback_scan_determinismE0ES3_S9_NS6_6detail15normal_iteratorINS6_10device_ptrIxEEEESG_SG_SG_PmS8_NS6_8equal_toIxEEEE10hipError_tPvRmT2_T3_mT4_T5_T6_T7_T8_P12ihipStream_tbENKUlT_T0_E_clISt17integral_constantIbLb0EES11_EEDaSW_SX_EUlSW_E_NS1_11comp_targetILNS1_3genE9ELNS1_11target_archE1100ELNS1_3gpuE3ELNS1_3repE0EEENS1_30default_config_static_selectorELNS0_4arch9wavefront6targetE0EEEvT1_,comdat
	.protected	_ZN7rocprim17ROCPRIM_400000_NS6detail17trampoline_kernelINS0_14default_configENS1_29reduce_by_key_config_selectorIxxN6thrust23THRUST_200600_302600_NS4plusIxEEEEZZNS1_33reduce_by_key_impl_wrapped_configILNS1_25lookback_scan_determinismE0ES3_S9_NS6_6detail15normal_iteratorINS6_10device_ptrIxEEEESG_SG_SG_PmS8_NS6_8equal_toIxEEEE10hipError_tPvRmT2_T3_mT4_T5_T6_T7_T8_P12ihipStream_tbENKUlT_T0_E_clISt17integral_constantIbLb0EES11_EEDaSW_SX_EUlSW_E_NS1_11comp_targetILNS1_3genE9ELNS1_11target_archE1100ELNS1_3gpuE3ELNS1_3repE0EEENS1_30default_config_static_selectorELNS0_4arch9wavefront6targetE0EEEvT1_ ; -- Begin function _ZN7rocprim17ROCPRIM_400000_NS6detail17trampoline_kernelINS0_14default_configENS1_29reduce_by_key_config_selectorIxxN6thrust23THRUST_200600_302600_NS4plusIxEEEEZZNS1_33reduce_by_key_impl_wrapped_configILNS1_25lookback_scan_determinismE0ES3_S9_NS6_6detail15normal_iteratorINS6_10device_ptrIxEEEESG_SG_SG_PmS8_NS6_8equal_toIxEEEE10hipError_tPvRmT2_T3_mT4_T5_T6_T7_T8_P12ihipStream_tbENKUlT_T0_E_clISt17integral_constantIbLb0EES11_EEDaSW_SX_EUlSW_E_NS1_11comp_targetILNS1_3genE9ELNS1_11target_archE1100ELNS1_3gpuE3ELNS1_3repE0EEENS1_30default_config_static_selectorELNS0_4arch9wavefront6targetE0EEEvT1_
	.globl	_ZN7rocprim17ROCPRIM_400000_NS6detail17trampoline_kernelINS0_14default_configENS1_29reduce_by_key_config_selectorIxxN6thrust23THRUST_200600_302600_NS4plusIxEEEEZZNS1_33reduce_by_key_impl_wrapped_configILNS1_25lookback_scan_determinismE0ES3_S9_NS6_6detail15normal_iteratorINS6_10device_ptrIxEEEESG_SG_SG_PmS8_NS6_8equal_toIxEEEE10hipError_tPvRmT2_T3_mT4_T5_T6_T7_T8_P12ihipStream_tbENKUlT_T0_E_clISt17integral_constantIbLb0EES11_EEDaSW_SX_EUlSW_E_NS1_11comp_targetILNS1_3genE9ELNS1_11target_archE1100ELNS1_3gpuE3ELNS1_3repE0EEENS1_30default_config_static_selectorELNS0_4arch9wavefront6targetE0EEEvT1_
	.p2align	8
	.type	_ZN7rocprim17ROCPRIM_400000_NS6detail17trampoline_kernelINS0_14default_configENS1_29reduce_by_key_config_selectorIxxN6thrust23THRUST_200600_302600_NS4plusIxEEEEZZNS1_33reduce_by_key_impl_wrapped_configILNS1_25lookback_scan_determinismE0ES3_S9_NS6_6detail15normal_iteratorINS6_10device_ptrIxEEEESG_SG_SG_PmS8_NS6_8equal_toIxEEEE10hipError_tPvRmT2_T3_mT4_T5_T6_T7_T8_P12ihipStream_tbENKUlT_T0_E_clISt17integral_constantIbLb0EES11_EEDaSW_SX_EUlSW_E_NS1_11comp_targetILNS1_3genE9ELNS1_11target_archE1100ELNS1_3gpuE3ELNS1_3repE0EEENS1_30default_config_static_selectorELNS0_4arch9wavefront6targetE0EEEvT1_,@function
_ZN7rocprim17ROCPRIM_400000_NS6detail17trampoline_kernelINS0_14default_configENS1_29reduce_by_key_config_selectorIxxN6thrust23THRUST_200600_302600_NS4plusIxEEEEZZNS1_33reduce_by_key_impl_wrapped_configILNS1_25lookback_scan_determinismE0ES3_S9_NS6_6detail15normal_iteratorINS6_10device_ptrIxEEEESG_SG_SG_PmS8_NS6_8equal_toIxEEEE10hipError_tPvRmT2_T3_mT4_T5_T6_T7_T8_P12ihipStream_tbENKUlT_T0_E_clISt17integral_constantIbLb0EES11_EEDaSW_SX_EUlSW_E_NS1_11comp_targetILNS1_3genE9ELNS1_11target_archE1100ELNS1_3gpuE3ELNS1_3repE0EEENS1_30default_config_static_selectorELNS0_4arch9wavefront6targetE0EEEvT1_: ; @_ZN7rocprim17ROCPRIM_400000_NS6detail17trampoline_kernelINS0_14default_configENS1_29reduce_by_key_config_selectorIxxN6thrust23THRUST_200600_302600_NS4plusIxEEEEZZNS1_33reduce_by_key_impl_wrapped_configILNS1_25lookback_scan_determinismE0ES3_S9_NS6_6detail15normal_iteratorINS6_10device_ptrIxEEEESG_SG_SG_PmS8_NS6_8equal_toIxEEEE10hipError_tPvRmT2_T3_mT4_T5_T6_T7_T8_P12ihipStream_tbENKUlT_T0_E_clISt17integral_constantIbLb0EES11_EEDaSW_SX_EUlSW_E_NS1_11comp_targetILNS1_3genE9ELNS1_11target_archE1100ELNS1_3gpuE3ELNS1_3repE0EEENS1_30default_config_static_selectorELNS0_4arch9wavefront6targetE0EEEvT1_
; %bb.0:
	s_clause 0x2
	s_load_b256 s[16:23], s[0:1], 0x0
	s_load_b512 s[36:51], s[0:1], 0x38
	s_load_b128 s[24:27], s[0:1], 0x20
	s_mov_b32 s3, 0
	s_mul_i32 s2, s15, 0xf00
	s_waitcnt lgkmcnt(0)
	s_lshl_b64 s[4:5], s[18:19], 3
	s_mul_i32 s6, s44, s43
	s_add_u32 s10, s16, s4
	s_mul_hi_u32 s7, s44, s42
	s_addc_u32 s11, s17, s5
	s_add_u32 s12, s20, s4
	s_mul_i32 s8, s45, s42
	s_addc_u32 s13, s21, s5
	s_add_i32 s6, s7, s6
	s_lshl_b64 s[4:5], s[2:3], 3
	s_add_i32 s6, s6, s8
	s_add_u32 s33, s10, s4
	s_addc_u32 s31, s11, s5
	s_mul_i32 s9, s44, s42
	s_add_u32 s20, s12, s4
	s_addc_u32 s21, s13, s5
	s_add_u32 s16, s9, s15
	s_addc_u32 s17, s6, 0
	s_add_u32 s4, s46, -1
	s_addc_u32 s5, s47, -1
	s_mul_i32 s29, s4, 0xfffff100
	s_cmp_eq_u64 s[16:17], s[4:5]
	s_cselect_b32 s28, -1, 0
	s_cmp_lg_u64 s[16:17], s[4:5]
	s_cselect_b32 s14, -1, 0
	s_and_b32 vcc_lo, exec_lo, s28
	s_cbranch_vccnz .LBB476_2
; %bb.1:
	v_lshlrev_b32_e32 v62, 3, v0
	s_delay_alu instid0(VALU_DEP_1) | instskip(NEXT) | instid1(VALU_DEP_1)
	v_add_co_u32 v1, s2, s33, v62
	v_add_co_ci_u32_e64 v2, null, s31, 0, s2
	v_add_co_u32 v31, s2, s20, v62
	s_delay_alu instid0(VALU_DEP_3) | instskip(NEXT) | instid1(VALU_DEP_3)
	v_add_co_u32 v3, vcc_lo, 0x1000, v1
	v_add_co_ci_u32_e32 v4, vcc_lo, 0, v2, vcc_lo
	v_add_co_u32 v5, vcc_lo, 0x2000, v1
	v_add_co_ci_u32_e32 v6, vcc_lo, 0, v2, vcc_lo
	;; [unrolled: 2-line block ×6, first 2 shown]
	s_clause 0x7
	flat_load_b64 v[9:10], v[1:2]
	flat_load_b64 v[11:12], v[1:2] offset:2048
	flat_load_b64 v[13:14], v[3:4]
	flat_load_b64 v[3:4], v[3:4] offset:2048
	;; [unrolled: 2-line block ×4, first 2 shown]
	v_add_co_u32 v1, vcc_lo, 0x7000, v1
	v_add_co_ci_u32_e32 v2, vcc_lo, 0, v2, vcc_lo
	s_clause 0x6
	flat_load_b64 v[25:26], v[19:20]
	flat_load_b64 v[19:20], v[19:20] offset:2048
	flat_load_b64 v[27:28], v[21:22]
	flat_load_b64 v[21:22], v[21:22] offset:2048
	;; [unrolled: 2-line block ×3, first 2 shown]
	flat_load_b64 v[1:2], v[1:2]
	v_add_co_ci_u32_e64 v32, null, s21, 0, s2
	v_add_co_u32 v33, vcc_lo, 0x1000, v31
	v_mad_u32_u24 v61, 0x70, v0, v62
	s_delay_alu instid0(VALU_DEP_3)
	v_add_co_ci_u32_e32 v34, vcc_lo, 0, v32, vcc_lo
	v_add_co_u32 v35, vcc_lo, 0x2000, v31
	v_add_co_ci_u32_e32 v36, vcc_lo, 0, v32, vcc_lo
	v_add_co_u32 v37, vcc_lo, 0x3000, v31
	;; [unrolled: 2-line block ×6, first 2 shown]
	v_add_co_ci_u32_e32 v46, vcc_lo, 0, v32, vcc_lo
	s_waitcnt vmcnt(13) lgkmcnt(13)
	ds_store_2addr_stride64_b64 v62, v[9:10], v[11:12] offset1:4
	s_waitcnt vmcnt(11) lgkmcnt(12)
	ds_store_2addr_stride64_b64 v62, v[13:14], v[3:4] offset0:8 offset1:12
	s_waitcnt vmcnt(9) lgkmcnt(11)
	ds_store_2addr_stride64_b64 v62, v[15:16], v[5:6] offset0:16 offset1:20
	;; [unrolled: 2-line block ×6, first 2 shown]
	s_waitcnt vmcnt(0) lgkmcnt(7)
	ds_store_b64 v62, v[1:2] offset:28672
	s_waitcnt lgkmcnt(0)
	s_barrier
	buffer_gl0_inv
	ds_load_2addr_b64 v[25:28], v61 offset1:1
	ds_load_2addr_b64 v[21:24], v61 offset0:2 offset1:3
	ds_load_2addr_b64 v[17:20], v61 offset0:4 offset1:5
	;; [unrolled: 1-line block ×6, first 2 shown]
	ds_load_b64 v[57:58], v61 offset:112
	s_waitcnt lgkmcnt(0)
	s_barrier
	buffer_gl0_inv
	s_clause 0xe
	flat_load_b64 v[29:30], v[31:32]
	flat_load_b64 v[31:32], v[31:32] offset:2048
	flat_load_b64 v[47:48], v[33:34]
	flat_load_b64 v[33:34], v[33:34] offset:2048
	;; [unrolled: 2-line block ×7, first 2 shown]
	flat_load_b64 v[45:46], v[45:46]
	s_waitcnt vmcnt(13) lgkmcnt(13)
	ds_store_2addr_stride64_b64 v62, v[29:30], v[31:32] offset1:4
	s_waitcnt vmcnt(11) lgkmcnt(12)
	ds_store_2addr_stride64_b64 v62, v[47:48], v[33:34] offset0:8 offset1:12
	s_waitcnt vmcnt(9) lgkmcnt(11)
	ds_store_2addr_stride64_b64 v62, v[49:50], v[35:36] offset0:16 offset1:20
	;; [unrolled: 2-line block ×6, first 2 shown]
	s_waitcnt vmcnt(0) lgkmcnt(7)
	ds_store_b64 v62, v[45:46] offset:28672
	s_waitcnt lgkmcnt(0)
	s_barrier
	s_load_b64 s[18:19], s[0:1], 0x78
	s_and_not1_b32 vcc_lo, exec_lo, s3
	s_add_i32 s29, s29, s48
	s_cbranch_vccz .LBB476_3
	s_branch .LBB476_50
.LBB476_2:
                                        ; implicit-def: $vgpr61
                                        ; implicit-def: $vgpr25_vgpr26
                                        ; implicit-def: $vgpr21_vgpr22
                                        ; implicit-def: $vgpr17_vgpr18
                                        ; implicit-def: $vgpr13_vgpr14
                                        ; implicit-def: $vgpr9_vgpr10
                                        ; implicit-def: $vgpr5_vgpr6
                                        ; implicit-def: $vgpr1_vgpr2
                                        ; implicit-def: $vgpr57_vgpr58
	s_load_b64 s[18:19], s[0:1], 0x78
	s_add_i32 s29, s29, s48
.LBB476_3:
	s_delay_alu instid0(SALU_CYCLE_1)
	v_cmp_gt_u32_e32 vcc_lo, s29, v0
                                        ; implicit-def: $vgpr1_vgpr2
	s_and_saveexec_b32 s0, vcc_lo
	s_cbranch_execz .LBB476_5
; %bb.4:
	v_lshlrev_b32_e32 v1, 3, v0
	s_delay_alu instid0(VALU_DEP_1) | instskip(NEXT) | instid1(VALU_DEP_1)
	v_add_co_u32 v1, s1, s33, v1
	v_add_co_ci_u32_e64 v2, null, s31, 0, s1
	flat_load_b64 v[1:2], v[1:2]
.LBB476_5:
	s_or_b32 exec_lo, exec_lo, s0
	v_or_b32_e32 v3, 0x100, v0
	s_delay_alu instid0(VALU_DEP_1) | instskip(NEXT) | instid1(VALU_DEP_1)
	v_cmp_gt_u32_e64 s0, s29, v3
                                        ; implicit-def: $vgpr3_vgpr4
	s_and_saveexec_b32 s1, s0
	s_cbranch_execz .LBB476_7
; %bb.6:
	v_lshlrev_b32_e32 v3, 3, v0
	s_delay_alu instid0(VALU_DEP_1) | instskip(NEXT) | instid1(VALU_DEP_1)
	v_add_co_u32 v3, s2, s33, v3
	v_add_co_ci_u32_e64 v4, null, s31, 0, s2
	flat_load_b64 v[3:4], v[3:4] offset:2048
.LBB476_7:
	s_or_b32 exec_lo, exec_lo, s1
	v_or_b32_e32 v5, 0x200, v0
	s_delay_alu instid0(VALU_DEP_1) | instskip(SKIP_1) | instid1(VALU_DEP_2)
	v_cmp_gt_u32_e64 s1, s29, v5
	v_lshlrev_b32_e32 v35, 3, v5
                                        ; implicit-def: $vgpr5_vgpr6
	s_and_saveexec_b32 s2, s1
	s_cbranch_execz .LBB476_9
; %bb.8:
	s_delay_alu instid0(VALU_DEP_1) | instskip(NEXT) | instid1(VALU_DEP_1)
	v_add_co_u32 v5, s3, s33, v35
	v_add_co_ci_u32_e64 v6, null, s31, 0, s3
	flat_load_b64 v[5:6], v[5:6]
.LBB476_9:
	s_or_b32 exec_lo, exec_lo, s2
	v_or_b32_e32 v7, 0x300, v0
	s_delay_alu instid0(VALU_DEP_1) | instskip(SKIP_1) | instid1(VALU_DEP_2)
	v_cmp_gt_u32_e64 s2, s29, v7
	v_lshlrev_b32_e32 v37, 3, v7
                                        ; implicit-def: $vgpr7_vgpr8
	s_and_saveexec_b32 s3, s2
	s_cbranch_execz .LBB476_11
; %bb.10:
	s_delay_alu instid0(VALU_DEP_1) | instskip(NEXT) | instid1(VALU_DEP_1)
	v_add_co_u32 v7, s4, s33, v37
	v_add_co_ci_u32_e64 v8, null, s31, 0, s4
	flat_load_b64 v[7:8], v[7:8]
.LBB476_11:
	s_or_b32 exec_lo, exec_lo, s3
	v_or_b32_e32 v9, 0x400, v0
	s_delay_alu instid0(VALU_DEP_1) | instskip(SKIP_1) | instid1(VALU_DEP_2)
	v_cmp_gt_u32_e64 s3, s29, v9
	v_lshlrev_b32_e32 v39, 3, v9
                                        ; implicit-def: $vgpr9_vgpr10
	s_and_saveexec_b32 s4, s3
	s_cbranch_execz .LBB476_13
; %bb.12:
	s_delay_alu instid0(VALU_DEP_1) | instskip(NEXT) | instid1(VALU_DEP_1)
	v_add_co_u32 v9, s5, s33, v39
	v_add_co_ci_u32_e64 v10, null, s31, 0, s5
	flat_load_b64 v[9:10], v[9:10]
.LBB476_13:
	s_or_b32 exec_lo, exec_lo, s4
	v_or_b32_e32 v11, 0x500, v0
	s_delay_alu instid0(VALU_DEP_1) | instskip(SKIP_1) | instid1(VALU_DEP_2)
	v_cmp_gt_u32_e64 s4, s29, v11
	v_lshlrev_b32_e32 v41, 3, v11
                                        ; implicit-def: $vgpr11_vgpr12
	s_and_saveexec_b32 s5, s4
	s_cbranch_execz .LBB476_15
; %bb.14:
	s_delay_alu instid0(VALU_DEP_1) | instskip(NEXT) | instid1(VALU_DEP_1)
	v_add_co_u32 v11, s6, s33, v41
	v_add_co_ci_u32_e64 v12, null, s31, 0, s6
	flat_load_b64 v[11:12], v[11:12]
.LBB476_15:
	s_or_b32 exec_lo, exec_lo, s5
	v_or_b32_e32 v13, 0x600, v0
	s_delay_alu instid0(VALU_DEP_1) | instskip(SKIP_1) | instid1(VALU_DEP_2)
	v_cmp_gt_u32_e64 s5, s29, v13
	v_lshlrev_b32_e32 v43, 3, v13
                                        ; implicit-def: $vgpr13_vgpr14
	s_and_saveexec_b32 s6, s5
	s_cbranch_execz .LBB476_17
; %bb.16:
	s_delay_alu instid0(VALU_DEP_1) | instskip(NEXT) | instid1(VALU_DEP_1)
	v_add_co_u32 v13, s7, s33, v43
	v_add_co_ci_u32_e64 v14, null, s31, 0, s7
	flat_load_b64 v[13:14], v[13:14]
.LBB476_17:
	s_or_b32 exec_lo, exec_lo, s6
	v_or_b32_e32 v15, 0x700, v0
	s_delay_alu instid0(VALU_DEP_1) | instskip(SKIP_1) | instid1(VALU_DEP_2)
	v_cmp_gt_u32_e64 s6, s29, v15
	v_lshlrev_b32_e32 v45, 3, v15
                                        ; implicit-def: $vgpr15_vgpr16
	s_and_saveexec_b32 s7, s6
	s_cbranch_execz .LBB476_19
; %bb.18:
	s_delay_alu instid0(VALU_DEP_1) | instskip(NEXT) | instid1(VALU_DEP_1)
	v_add_co_u32 v15, s8, s33, v45
	v_add_co_ci_u32_e64 v16, null, s31, 0, s8
	flat_load_b64 v[15:16], v[15:16]
.LBB476_19:
	s_or_b32 exec_lo, exec_lo, s7
	v_or_b32_e32 v17, 0x800, v0
	s_delay_alu instid0(VALU_DEP_1) | instskip(SKIP_1) | instid1(VALU_DEP_2)
	v_cmp_gt_u32_e64 s7, s29, v17
	v_lshlrev_b32_e32 v47, 3, v17
                                        ; implicit-def: $vgpr17_vgpr18
	s_and_saveexec_b32 s8, s7
	s_cbranch_execz .LBB476_21
; %bb.20:
	s_delay_alu instid0(VALU_DEP_1) | instskip(NEXT) | instid1(VALU_DEP_1)
	v_add_co_u32 v17, s9, s33, v47
	v_add_co_ci_u32_e64 v18, null, s31, 0, s9
	flat_load_b64 v[17:18], v[17:18]
.LBB476_21:
	s_or_b32 exec_lo, exec_lo, s8
	v_or_b32_e32 v19, 0x900, v0
	s_delay_alu instid0(VALU_DEP_1) | instskip(SKIP_1) | instid1(VALU_DEP_2)
	v_cmp_gt_u32_e64 s8, s29, v19
	v_lshlrev_b32_e32 v49, 3, v19
                                        ; implicit-def: $vgpr19_vgpr20
	s_and_saveexec_b32 s9, s8
	s_cbranch_execz .LBB476_23
; %bb.22:
	s_delay_alu instid0(VALU_DEP_1) | instskip(NEXT) | instid1(VALU_DEP_1)
	v_add_co_u32 v19, s10, s33, v49
	v_add_co_ci_u32_e64 v20, null, s31, 0, s10
	flat_load_b64 v[19:20], v[19:20]
.LBB476_23:
	s_or_b32 exec_lo, exec_lo, s9
	v_or_b32_e32 v21, 0xa00, v0
	s_delay_alu instid0(VALU_DEP_1) | instskip(SKIP_1) | instid1(VALU_DEP_2)
	v_cmp_gt_u32_e64 s9, s29, v21
	v_lshlrev_b32_e32 v51, 3, v21
                                        ; implicit-def: $vgpr21_vgpr22
	s_and_saveexec_b32 s10, s9
	s_cbranch_execz .LBB476_25
; %bb.24:
	s_delay_alu instid0(VALU_DEP_1) | instskip(NEXT) | instid1(VALU_DEP_1)
	v_add_co_u32 v21, s11, s33, v51
	v_add_co_ci_u32_e64 v22, null, s31, 0, s11
	flat_load_b64 v[21:22], v[21:22]
.LBB476_25:
	s_or_b32 exec_lo, exec_lo, s10
	v_or_b32_e32 v23, 0xb00, v0
	s_delay_alu instid0(VALU_DEP_1) | instskip(SKIP_1) | instid1(VALU_DEP_2)
	v_cmp_gt_u32_e64 s10, s29, v23
	v_lshlrev_b32_e32 v53, 3, v23
                                        ; implicit-def: $vgpr23_vgpr24
	s_and_saveexec_b32 s11, s10
	s_cbranch_execz .LBB476_27
; %bb.26:
	s_delay_alu instid0(VALU_DEP_1) | instskip(NEXT) | instid1(VALU_DEP_1)
	v_add_co_u32 v23, s12, s33, v53
	v_add_co_ci_u32_e64 v24, null, s31, 0, s12
	flat_load_b64 v[23:24], v[23:24]
.LBB476_27:
	s_or_b32 exec_lo, exec_lo, s11
	v_or_b32_e32 v25, 0xc00, v0
	s_delay_alu instid0(VALU_DEP_1) | instskip(SKIP_1) | instid1(VALU_DEP_2)
	v_cmp_gt_u32_e64 s11, s29, v25
	v_lshlrev_b32_e32 v55, 3, v25
                                        ; implicit-def: $vgpr25_vgpr26
	s_and_saveexec_b32 s12, s11
	s_cbranch_execz .LBB476_29
; %bb.28:
	s_delay_alu instid0(VALU_DEP_1) | instskip(NEXT) | instid1(VALU_DEP_1)
	v_add_co_u32 v25, s13, s33, v55
	v_add_co_ci_u32_e64 v26, null, s31, 0, s13
	flat_load_b64 v[25:26], v[25:26]
.LBB476_29:
	s_or_b32 exec_lo, exec_lo, s12
	v_or_b32_e32 v27, 0xd00, v0
	s_delay_alu instid0(VALU_DEP_1) | instskip(SKIP_1) | instid1(VALU_DEP_2)
	v_cmp_gt_u32_e64 s12, s29, v27
	v_lshlrev_b32_e32 v59, 3, v27
                                        ; implicit-def: $vgpr27_vgpr28
	s_and_saveexec_b32 s13, s12
	s_cbranch_execz .LBB476_31
; %bb.30:
	s_delay_alu instid0(VALU_DEP_1) | instskip(NEXT) | instid1(VALU_DEP_1)
	v_add_co_u32 v27, s30, s33, v59
	v_add_co_ci_u32_e64 v28, null, s31, 0, s30
	flat_load_b64 v[27:28], v[27:28]
.LBB476_31:
	s_or_b32 exec_lo, exec_lo, s13
	v_or_b32_e32 v29, 0xe00, v0
	s_delay_alu instid0(VALU_DEP_1) | instskip(SKIP_1) | instid1(VALU_DEP_2)
	v_cmp_gt_u32_e64 s13, s29, v29
	v_lshlrev_b32_e32 v63, 3, v29
                                        ; implicit-def: $vgpr29_vgpr30
	s_and_saveexec_b32 s30, s13
	s_cbranch_execz .LBB476_33
; %bb.32:
	s_delay_alu instid0(VALU_DEP_1) | instskip(NEXT) | instid1(VALU_DEP_1)
	v_add_co_u32 v29, s34, s33, v63
	v_add_co_ci_u32_e64 v30, null, s31, 0, s34
	flat_load_b64 v[29:30], v[29:30]
.LBB476_33:
	s_or_b32 exec_lo, exec_lo, s30
	v_lshlrev_b32_e32 v62, 3, v0
	s_waitcnt vmcnt(0) lgkmcnt(0)
	ds_store_2addr_stride64_b64 v62, v[1:2], v[3:4] offset1:4
	ds_store_2addr_stride64_b64 v62, v[5:6], v[7:8] offset0:8 offset1:12
	ds_store_2addr_stride64_b64 v62, v[9:10], v[11:12] offset0:16 offset1:20
	;; [unrolled: 1-line block ×6, first 2 shown]
	v_mad_u32_u24 v61, 0x70, v0, v62
	ds_store_b64 v62, v[29:30] offset:28672
	s_waitcnt lgkmcnt(0)
	s_barrier
	buffer_gl0_inv
	ds_load_2addr_b64 v[25:28], v61 offset1:1
	ds_load_2addr_b64 v[21:24], v61 offset0:2 offset1:3
	ds_load_2addr_b64 v[17:20], v61 offset0:4 offset1:5
	;; [unrolled: 1-line block ×6, first 2 shown]
	ds_load_b64 v[57:58], v61 offset:112
	s_waitcnt lgkmcnt(0)
	s_barrier
	buffer_gl0_inv
                                        ; implicit-def: $vgpr29_vgpr30
	s_and_saveexec_b32 s30, vcc_lo
	s_cbranch_execnz .LBB476_57
; %bb.34:
	s_or_b32 exec_lo, exec_lo, s30
                                        ; implicit-def: $vgpr31_vgpr32
	s_and_saveexec_b32 s30, s0
	s_cbranch_execnz .LBB476_58
.LBB476_35:
	s_or_b32 exec_lo, exec_lo, s30
                                        ; implicit-def: $vgpr33_vgpr34
	s_and_saveexec_b32 s0, s1
	s_cbranch_execnz .LBB476_59
.LBB476_36:
	s_or_b32 exec_lo, exec_lo, s0
                                        ; implicit-def: $vgpr35_vgpr36
	s_and_saveexec_b32 s0, s2
	s_cbranch_execnz .LBB476_60
.LBB476_37:
	s_or_b32 exec_lo, exec_lo, s0
                                        ; implicit-def: $vgpr37_vgpr38
	s_and_saveexec_b32 s0, s3
	s_cbranch_execnz .LBB476_61
.LBB476_38:
	s_or_b32 exec_lo, exec_lo, s0
                                        ; implicit-def: $vgpr39_vgpr40
	s_and_saveexec_b32 s0, s4
	s_cbranch_execnz .LBB476_62
.LBB476_39:
	s_or_b32 exec_lo, exec_lo, s0
                                        ; implicit-def: $vgpr41_vgpr42
	s_and_saveexec_b32 s0, s5
	s_cbranch_execnz .LBB476_63
.LBB476_40:
	s_or_b32 exec_lo, exec_lo, s0
                                        ; implicit-def: $vgpr43_vgpr44
	s_and_saveexec_b32 s0, s6
	s_cbranch_execnz .LBB476_64
.LBB476_41:
	s_or_b32 exec_lo, exec_lo, s0
                                        ; implicit-def: $vgpr45_vgpr46
	s_and_saveexec_b32 s0, s7
	s_cbranch_execnz .LBB476_65
.LBB476_42:
	s_or_b32 exec_lo, exec_lo, s0
                                        ; implicit-def: $vgpr47_vgpr48
	s_and_saveexec_b32 s0, s8
	s_cbranch_execnz .LBB476_66
.LBB476_43:
	s_or_b32 exec_lo, exec_lo, s0
                                        ; implicit-def: $vgpr49_vgpr50
	s_and_saveexec_b32 s0, s9
	s_cbranch_execnz .LBB476_67
.LBB476_44:
	s_or_b32 exec_lo, exec_lo, s0
                                        ; implicit-def: $vgpr51_vgpr52
	s_and_saveexec_b32 s0, s10
	s_cbranch_execnz .LBB476_68
.LBB476_45:
	s_or_b32 exec_lo, exec_lo, s0
                                        ; implicit-def: $vgpr53_vgpr54
	s_and_saveexec_b32 s0, s11
	s_cbranch_execnz .LBB476_69
.LBB476_46:
	s_or_b32 exec_lo, exec_lo, s0
                                        ; implicit-def: $vgpr55_vgpr56
	s_and_saveexec_b32 s0, s12
	s_cbranch_execnz .LBB476_70
.LBB476_47:
	s_or_b32 exec_lo, exec_lo, s0
                                        ; implicit-def: $vgpr59_vgpr60
	s_and_saveexec_b32 s0, s13
	s_cbranch_execz .LBB476_49
.LBB476_48:
	v_add_co_u32 v59, s1, s20, v63
	s_delay_alu instid0(VALU_DEP_1)
	v_add_co_ci_u32_e64 v60, null, s21, 0, s1
	flat_load_b64 v[59:60], v[59:60]
.LBB476_49:
	s_or_b32 exec_lo, exec_lo, s0
	s_waitcnt vmcnt(0) lgkmcnt(0)
	ds_store_2addr_stride64_b64 v62, v[29:30], v[31:32] offset1:4
	ds_store_2addr_stride64_b64 v62, v[33:34], v[35:36] offset0:8 offset1:12
	ds_store_2addr_stride64_b64 v62, v[37:38], v[39:40] offset0:16 offset1:20
	;; [unrolled: 1-line block ×6, first 2 shown]
	ds_store_b64 v62, v[59:60] offset:28672
	s_waitcnt lgkmcnt(0)
	s_barrier
.LBB476_50:
	s_waitcnt lgkmcnt(0)
	buffer_gl0_inv
	ds_load_2addr_b64 v[53:56], v61 offset1:1
	ds_load_2addr_b64 v[49:52], v61 offset0:2 offset1:3
	ds_load_2addr_b64 v[45:48], v61 offset0:4 offset1:5
	;; [unrolled: 1-line block ×6, first 2 shown]
	ds_load_b64 v[59:60], v61 offset:112
	s_cmp_eq_u64 s[16:17], 0
	s_waitcnt lgkmcnt(0)
	s_cselect_b32 s30, -1, 0
	s_cmp_lg_u64 s[16:17], 0
	s_barrier
	s_cselect_b32 s35, -1, 0
	s_and_b32 vcc_lo, exec_lo, s14
	buffer_gl0_inv
	s_cbranch_vccz .LBB476_56
; %bb.51:
	s_and_b32 vcc_lo, exec_lo, s35
	s_cbranch_vccz .LBB476_71
; %bb.52:
	v_add_co_u32 v61, s0, -8, s33
	s_delay_alu instid0(VALU_DEP_1)
	v_add_co_ci_u32_e64 v62, null, -1, s31, s0
	v_cmp_ne_u64_e64 s0, v[3:4], v[57:58]
	v_cmp_ne_u64_e64 s1, v[1:2], v[3:4]
	;; [unrolled: 1-line block ×3, first 2 shown]
	flat_load_b64 v[61:62], v[61:62]
	v_cmp_ne_u64_e64 s3, v[5:6], v[7:8]
	v_cmp_ne_u64_e64 s4, v[11:12], v[5:6]
	;; [unrolled: 1-line block ×10, first 2 shown]
	v_cmp_ne_u64_e32 vcc_lo, v[25:26], v[27:28]
	v_lshlrev_b32_e32 v63, 3, v0
	s_mov_b32 s34, -1
	s_mov_b32 s14, 0
	s_mov_b32 s20, exec_lo
	ds_store_b64 v63, v[57:58]
	s_waitcnt vmcnt(0) lgkmcnt(0)
	s_barrier
	buffer_gl0_inv
	v_cmpx_ne_u32_e32 0, v0
	s_cbranch_execz .LBB476_54
; %bb.53:
	v_add_nc_u32_e32 v61, -8, v63
	ds_load_b64 v[61:62], v61
.LBB476_54:
	s_or_b32 exec_lo, exec_lo, s20
	v_cndmask_b32_e64 v104, 0, 1, s0
	v_cndmask_b32_e64 v99, 0, 1, s1
	;; [unrolled: 1-line block ×13, first 2 shown]
	s_waitcnt lgkmcnt(0)
	v_cmp_ne_u64_e64 s0, v[61:62], v[25:26]
	v_cndmask_b32_e64 v112, 0, 1, vcc_lo
	s_and_b32 vcc_lo, exec_lo, s14
	s_cbranch_vccnz .LBB476_72
.LBB476_55:
                                        ; implicit-def: $sgpr1
	s_branch .LBB476_83
.LBB476_56:
	s_mov_b32 s34, 0
                                        ; implicit-def: $sgpr0
                                        ; implicit-def: $vgpr104
                                        ; implicit-def: $vgpr99
                                        ; implicit-def: $vgpr100
                                        ; implicit-def: $vgpr101
                                        ; implicit-def: $vgpr102
                                        ; implicit-def: $vgpr103
                                        ; implicit-def: $vgpr105
                                        ; implicit-def: $vgpr106
                                        ; implicit-def: $vgpr107
                                        ; implicit-def: $vgpr108
                                        ; implicit-def: $vgpr109
                                        ; implicit-def: $vgpr110
                                        ; implicit-def: $vgpr111
                                        ; implicit-def: $vgpr112
                                        ; implicit-def: $sgpr1
	s_cbranch_execnz .LBB476_75
	s_branch .LBB476_83
.LBB476_57:
	v_add_co_u32 v29, s34, s20, v62
	s_delay_alu instid0(VALU_DEP_1)
	v_add_co_ci_u32_e64 v30, null, s21, 0, s34
	flat_load_b64 v[29:30], v[29:30]
	s_or_b32 exec_lo, exec_lo, s30
                                        ; implicit-def: $vgpr31_vgpr32
	s_and_saveexec_b32 s30, s0
	s_cbranch_execz .LBB476_35
.LBB476_58:
	v_add_co_u32 v31, s0, s20, v62
	s_delay_alu instid0(VALU_DEP_1)
	v_add_co_ci_u32_e64 v32, null, s21, 0, s0
	flat_load_b64 v[31:32], v[31:32] offset:2048
	s_or_b32 exec_lo, exec_lo, s30
                                        ; implicit-def: $vgpr33_vgpr34
	s_and_saveexec_b32 s0, s1
	s_cbranch_execz .LBB476_36
.LBB476_59:
	v_add_co_u32 v33, s1, s20, v35
	s_delay_alu instid0(VALU_DEP_1)
	v_add_co_ci_u32_e64 v34, null, s21, 0, s1
	flat_load_b64 v[33:34], v[33:34]
	s_or_b32 exec_lo, exec_lo, s0
                                        ; implicit-def: $vgpr35_vgpr36
	s_and_saveexec_b32 s0, s2
	s_cbranch_execz .LBB476_37
.LBB476_60:
	v_add_co_u32 v35, s1, s20, v37
	s_delay_alu instid0(VALU_DEP_1)
	v_add_co_ci_u32_e64 v36, null, s21, 0, s1
	flat_load_b64 v[35:36], v[35:36]
	s_or_b32 exec_lo, exec_lo, s0
                                        ; implicit-def: $vgpr37_vgpr38
	s_and_saveexec_b32 s0, s3
	s_cbranch_execz .LBB476_38
.LBB476_61:
	v_add_co_u32 v37, s1, s20, v39
	s_delay_alu instid0(VALU_DEP_1)
	v_add_co_ci_u32_e64 v38, null, s21, 0, s1
	flat_load_b64 v[37:38], v[37:38]
	s_or_b32 exec_lo, exec_lo, s0
                                        ; implicit-def: $vgpr39_vgpr40
	s_and_saveexec_b32 s0, s4
	s_cbranch_execz .LBB476_39
.LBB476_62:
	v_add_co_u32 v39, s1, s20, v41
	s_delay_alu instid0(VALU_DEP_1)
	v_add_co_ci_u32_e64 v40, null, s21, 0, s1
	flat_load_b64 v[39:40], v[39:40]
	s_or_b32 exec_lo, exec_lo, s0
                                        ; implicit-def: $vgpr41_vgpr42
	s_and_saveexec_b32 s0, s5
	s_cbranch_execz .LBB476_40
.LBB476_63:
	v_add_co_u32 v41, s1, s20, v43
	s_delay_alu instid0(VALU_DEP_1)
	v_add_co_ci_u32_e64 v42, null, s21, 0, s1
	flat_load_b64 v[41:42], v[41:42]
	s_or_b32 exec_lo, exec_lo, s0
                                        ; implicit-def: $vgpr43_vgpr44
	s_and_saveexec_b32 s0, s6
	s_cbranch_execz .LBB476_41
.LBB476_64:
	v_add_co_u32 v43, s1, s20, v45
	s_delay_alu instid0(VALU_DEP_1)
	v_add_co_ci_u32_e64 v44, null, s21, 0, s1
	flat_load_b64 v[43:44], v[43:44]
	s_or_b32 exec_lo, exec_lo, s0
                                        ; implicit-def: $vgpr45_vgpr46
	s_and_saveexec_b32 s0, s7
	s_cbranch_execz .LBB476_42
.LBB476_65:
	v_add_co_u32 v45, s1, s20, v47
	s_delay_alu instid0(VALU_DEP_1)
	v_add_co_ci_u32_e64 v46, null, s21, 0, s1
	flat_load_b64 v[45:46], v[45:46]
	s_or_b32 exec_lo, exec_lo, s0
                                        ; implicit-def: $vgpr47_vgpr48
	s_and_saveexec_b32 s0, s8
	s_cbranch_execz .LBB476_43
.LBB476_66:
	v_add_co_u32 v47, s1, s20, v49
	s_delay_alu instid0(VALU_DEP_1)
	v_add_co_ci_u32_e64 v48, null, s21, 0, s1
	flat_load_b64 v[47:48], v[47:48]
	s_or_b32 exec_lo, exec_lo, s0
                                        ; implicit-def: $vgpr49_vgpr50
	s_and_saveexec_b32 s0, s9
	s_cbranch_execz .LBB476_44
.LBB476_67:
	v_add_co_u32 v49, s1, s20, v51
	s_delay_alu instid0(VALU_DEP_1)
	v_add_co_ci_u32_e64 v50, null, s21, 0, s1
	flat_load_b64 v[49:50], v[49:50]
	s_or_b32 exec_lo, exec_lo, s0
                                        ; implicit-def: $vgpr51_vgpr52
	s_and_saveexec_b32 s0, s10
	s_cbranch_execz .LBB476_45
.LBB476_68:
	v_add_co_u32 v51, s1, s20, v53
	s_delay_alu instid0(VALU_DEP_1)
	v_add_co_ci_u32_e64 v52, null, s21, 0, s1
	flat_load_b64 v[51:52], v[51:52]
	s_or_b32 exec_lo, exec_lo, s0
                                        ; implicit-def: $vgpr53_vgpr54
	s_and_saveexec_b32 s0, s11
	s_cbranch_execz .LBB476_46
.LBB476_69:
	v_add_co_u32 v53, s1, s20, v55
	s_delay_alu instid0(VALU_DEP_1)
	v_add_co_ci_u32_e64 v54, null, s21, 0, s1
	flat_load_b64 v[53:54], v[53:54]
	s_or_b32 exec_lo, exec_lo, s0
                                        ; implicit-def: $vgpr55_vgpr56
	s_and_saveexec_b32 s0, s12
	s_cbranch_execz .LBB476_47
.LBB476_70:
	v_add_co_u32 v55, s1, s20, v59
	s_delay_alu instid0(VALU_DEP_1)
	v_add_co_ci_u32_e64 v56, null, s21, 0, s1
	flat_load_b64 v[55:56], v[55:56]
	s_or_b32 exec_lo, exec_lo, s0
                                        ; implicit-def: $vgpr59_vgpr60
	s_and_saveexec_b32 s0, s13
	s_cbranch_execnz .LBB476_48
	s_branch .LBB476_49
.LBB476_71:
	s_mov_b32 s34, 0
                                        ; implicit-def: $sgpr0
                                        ; implicit-def: $vgpr104
                                        ; implicit-def: $vgpr99
                                        ; implicit-def: $vgpr100
                                        ; implicit-def: $vgpr101
                                        ; implicit-def: $vgpr102
                                        ; implicit-def: $vgpr103
                                        ; implicit-def: $vgpr105
                                        ; implicit-def: $vgpr106
                                        ; implicit-def: $vgpr107
                                        ; implicit-def: $vgpr108
                                        ; implicit-def: $vgpr109
                                        ; implicit-def: $vgpr110
                                        ; implicit-def: $vgpr111
                                        ; implicit-def: $vgpr112
	s_cbranch_execz .LBB476_55
.LBB476_72:
	v_cmp_ne_u64_e32 vcc_lo, v[3:4], v[57:58]
	v_lshlrev_b32_e32 v61, 3, v0
	s_mov_b32 s1, exec_lo
                                        ; implicit-def: $sgpr0
	ds_store_b64 v61, v[57:58]
	v_cndmask_b32_e64 v104, 0, 1, vcc_lo
	v_cmp_ne_u64_e32 vcc_lo, v[1:2], v[3:4]
	s_waitcnt lgkmcnt(0)
	s_barrier
	buffer_gl0_inv
	v_cndmask_b32_e64 v99, 0, 1, vcc_lo
	v_cmp_ne_u64_e32 vcc_lo, v[7:8], v[1:2]
	v_cndmask_b32_e64 v100, 0, 1, vcc_lo
	v_cmp_ne_u64_e32 vcc_lo, v[5:6], v[7:8]
	;; [unrolled: 2-line block ×12, first 2 shown]
	v_cndmask_b32_e64 v112, 0, 1, vcc_lo
	v_cmpx_ne_u32_e32 0, v0
	s_xor_b32 s1, exec_lo, s1
	s_cbranch_execz .LBB476_74
; %bb.73:
	v_add_nc_u32_e32 v61, -8, v61
	s_or_b32 s34, s34, exec_lo
	ds_load_b64 v[61:62], v61
	s_waitcnt lgkmcnt(0)
	v_cmp_ne_u64_e32 vcc_lo, v[61:62], v[25:26]
	s_and_b32 s0, vcc_lo, exec_lo
.LBB476_74:
	s_or_b32 exec_lo, exec_lo, s1
	s_mov_b32 s1, 1
	s_branch .LBB476_83
.LBB476_75:
	s_mul_hi_u32 s0, s16, 0xfffff100
	s_mul_i32 s1, s17, 0xfffff100
	s_sub_i32 s0, s0, s16
	s_mul_i32 s2, s16, 0xfffff100
	s_add_i32 s0, s0, s1
	s_add_u32 s20, s2, s48
	s_addc_u32 s21, s0, s49
	v_cmp_ne_u64_e64 s13, v[3:4], v[57:58]
	v_cmp_ne_u64_e64 s14, v[1:2], v[3:4]
	;; [unrolled: 1-line block ×14, first 2 shown]
	v_mad_u32_u24 v61, v0, 15, 14
	v_mad_u32_u24 v87, v0, 15, 13
	;; [unrolled: 1-line block ×14, first 2 shown]
	v_cmp_ne_u32_e64 s6, 0, v0
	s_and_b32 vcc_lo, exec_lo, s35
	s_cbranch_vccz .LBB476_80
; %bb.76:
	v_add_co_u32 v88, s16, -8, s33
	s_delay_alu instid0(VALU_DEP_1)
	v_add_co_ci_u32_e64 v89, null, -1, s31, s16
	v_mov_b32_e32 v62, 0
	v_lshlrev_b32_e32 v92, 3, v0
	v_mul_u32_u24_e32 v91, 15, v0
	flat_load_b64 v[89:90], v[88:89]
	s_mov_b32 s34, -1
	v_cmp_gt_u64_e32 vcc_lo, s[20:21], v[61:62]
	v_mov_b32_e32 v88, v62
	v_mov_b32_e32 v86, v62
	v_mov_b32_e32 v84, v62
	v_mov_b32_e32 v82, v62
	v_mov_b32_e32 v80, v62
	v_cmp_gt_u64_e64 s16, s[20:21], v[87:88]
	s_and_b32 s31, vcc_lo, s13
	v_cmp_gt_u64_e32 vcc_lo, s[20:21], v[85:86]
	v_mov_b32_e32 v78, v62
	v_mov_b32_e32 v76, v62
	v_cmp_gt_u64_e64 s13, s[20:21], v[83:84]
	s_and_b32 s33, s16, s14
	v_mov_b32_e32 v74, v62
	s_and_b32 s35, vcc_lo, s12
	v_cmp_gt_u64_e32 vcc_lo, s[20:21], v[81:82]
	v_cmp_gt_u64_e64 s12, s[20:21], v[79:80]
	v_cmp_gt_u64_e64 s14, s[20:21], v[77:78]
	;; [unrolled: 1-line block ×3, first 2 shown]
	v_mov_b32_e32 v72, v62
	v_mov_b32_e32 v70, v62
	;; [unrolled: 1-line block ×5, first 2 shown]
	s_and_b32 s13, s13, s11
	s_and_b32 s44, vcc_lo, s7
	s_and_b32 s45, s12, s8
	s_and_b32 s14, s14, s9
	;; [unrolled: 1-line block ×3, first 2 shown]
	v_cmp_gt_u64_e32 vcc_lo, s[20:21], v[73:74]
	v_cmp_gt_u64_e64 s7, s[20:21], v[71:72]
	v_cmp_gt_u64_e64 s8, s[20:21], v[69:70]
	;; [unrolled: 1-line block ×5, first 2 shown]
	s_mov_b32 s17, 0
	s_and_b32 s0, vcc_lo, s0
	s_and_b32 s7, s7, s1
	s_and_b32 s8, s8, s2
	;; [unrolled: 1-line block ×5, first 2 shown]
	ds_store_b64 v92, v[57:58]
	s_waitcnt vmcnt(0) lgkmcnt(0)
	s_barrier
	buffer_gl0_inv
	s_and_saveexec_b32 s4, s6
	s_cbranch_execz .LBB476_78
; %bb.77:
	v_add_nc_u32_e32 v64, -8, v92
	ds_load_b64 v[89:90], v64
.LBB476_78:
	s_or_b32 exec_lo, exec_lo, s4
	v_mov_b32_e32 v92, v62
	v_cndmask_b32_e64 v107, 0, 1, s0
	s_waitcnt lgkmcnt(0)
	v_cmp_ne_u64_e64 s0, v[89:90], v[25:26]
	v_cndmask_b32_e64 v104, 0, 1, s31
	v_cndmask_b32_e64 v99, 0, 1, s33
	v_cmp_gt_u64_e32 vcc_lo, s[20:21], v[91:92]
	v_cndmask_b32_e64 v100, 0, 1, s35
	v_cndmask_b32_e64 v101, 0, 1, s13
	;; [unrolled: 1-line block ×11, first 2 shown]
	s_and_b32 s0, vcc_lo, s0
	s_and_b32 vcc_lo, exec_lo, s17
	s_cbranch_vccnz .LBB476_81
.LBB476_79:
                                        ; implicit-def: $sgpr1
	v_mov_b32_e32 v113, s1
	s_and_saveexec_b32 s1, s34
	s_cbranch_execnz .LBB476_84
	s_branch .LBB476_85
.LBB476_80:
                                        ; implicit-def: $sgpr0
                                        ; implicit-def: $vgpr104
                                        ; implicit-def: $vgpr99
                                        ; implicit-def: $vgpr100
                                        ; implicit-def: $vgpr101
                                        ; implicit-def: $vgpr102
                                        ; implicit-def: $vgpr103
                                        ; implicit-def: $vgpr105
                                        ; implicit-def: $vgpr106
                                        ; implicit-def: $vgpr107
                                        ; implicit-def: $vgpr108
                                        ; implicit-def: $vgpr109
                                        ; implicit-def: $vgpr110
                                        ; implicit-def: $vgpr111
                                        ; implicit-def: $vgpr112
	s_cbranch_execz .LBB476_79
.LBB476_81:
	v_dual_mov_b32 v62, 0 :: v_dual_lshlrev_b32 v89, 3, v0
	v_cmp_ne_u64_e64 s0, v[1:2], v[3:4]
	v_cmp_ne_u64_e32 vcc_lo, v[3:4], v[57:58]
	v_cmp_ne_u64_e64 s2, v[7:8], v[1:2]
	s_delay_alu instid0(VALU_DEP_4)
	v_mov_b32_e32 v88, v62
	v_mov_b32_e32 v86, v62
	v_cmp_gt_u64_e64 s1, s[20:21], v[61:62]
	v_mov_b32_e32 v82, v62
	v_mov_b32_e32 v84, v62
	v_cmp_gt_u64_e64 s3, s[20:21], v[87:88]
	v_cmp_gt_u64_e64 s4, s[20:21], v[85:86]
	v_mov_b32_e32 v78, v62
	s_and_b32 s1, s1, vcc_lo
	v_cmp_gt_u64_e64 s5, s[20:21], v[83:84]
	v_cndmask_b32_e64 v104, 0, 1, s1
	s_and_b32 s0, s3, s0
	v_cmp_ne_u64_e64 s1, v[11:12], v[5:6]
	v_cndmask_b32_e64 v99, 0, 1, s0
	s_and_b32 s0, s4, s2
	v_cmp_ne_u64_e32 vcc_lo, v[5:6], v[7:8]
	v_cndmask_b32_e64 v100, 0, 1, s0
	v_cmp_gt_u64_e64 s0, s[20:21], v[81:82]
	v_mov_b32_e32 v80, v62
	v_mov_b32_e32 v74, v62
	;; [unrolled: 1-line block ×3, first 2 shown]
	s_and_b32 s2, s5, vcc_lo
	v_mov_b32_e32 v76, v62
	s_and_b32 s0, s0, s1
	v_cmp_ne_u64_e64 s1, v[15:16], v[9:10]
	v_cndmask_b32_e64 v102, 0, 1, s0
	v_cmp_gt_u64_e64 s0, s[20:21], v[77:78]
	v_cndmask_b32_e64 v101, 0, 1, s2
	v_cmp_gt_u64_e32 vcc_lo, s[20:21], v[79:80]
	v_cmp_ne_u64_e64 s2, v[9:10], v[11:12]
	v_cmp_gt_u64_e64 s3, s[20:21], v[71:72]
	v_cmp_ne_u64_e64 s4, v[17:18], v[19:20]
	s_and_b32 s0, s0, s1
	v_cmp_ne_u64_e64 s1, v[19:20], v[13:14]
	v_cndmask_b32_e64 v105, 0, 1, s0
	v_cmp_gt_u64_e64 s0, s[20:21], v[73:74]
	s_and_b32 s2, vcc_lo, s2
	v_cmp_gt_u64_e32 vcc_lo, s[20:21], v[75:76]
	v_cndmask_b32_e64 v103, 0, 1, s2
	v_cmp_ne_u64_e64 s2, v[13:14], v[15:16]
	v_mov_b32_e32 v70, v62
	s_and_b32 s0, s0, s1
	v_mov_b32_e32 v68, v62
	v_cndmask_b32_e64 v107, 0, 1, s0
	s_and_b32 s0, s3, s4
	v_mov_b32_e32 v66, v62
	s_and_b32 s2, vcc_lo, s2
	v_cndmask_b32_e64 v108, 0, 1, s0
	v_cmp_gt_u64_e32 vcc_lo, s[20:21], v[69:70]
	v_cmp_ne_u64_e64 s0, v[23:24], v[17:18]
	v_mov_b32_e32 v64, v62
	v_cndmask_b32_e64 v106, 0, 1, s2
	v_cmp_gt_u64_e64 s1, s[20:21], v[67:68]
	v_cmp_ne_u64_e64 s2, v[21:22], v[23:24]
	v_cmp_gt_u64_e64 s3, s[20:21], v[65:66]
	v_cmp_ne_u64_e64 s4, v[27:28], v[21:22]
	;; [unrolled: 2-line block ×3, first 2 shown]
	s_and_b32 s0, vcc_lo, s0
	ds_store_b64 v89, v[57:58]
	v_cndmask_b32_e64 v109, 0, 1, s0
	s_and_b32 s0, s1, s2
	s_mov_b32 s1, 1
	v_cndmask_b32_e64 v110, 0, 1, s0
	s_and_b32 s0, s3, s4
	s_mov_b32 s2, exec_lo
	v_cndmask_b32_e64 v111, 0, 1, s0
	s_and_b32 s0, s5, s6
	s_waitcnt lgkmcnt(0)
	v_cndmask_b32_e64 v112, 0, 1, s0
	s_barrier
	buffer_gl0_inv
                                        ; implicit-def: $sgpr0
	v_cmpx_ne_u32_e32 0, v0
	s_cbranch_execz .LBB476_216
; %bb.82:
	v_add_nc_u32_e32 v61, -8, v89
	s_or_b32 s34, s34, exec_lo
	ds_load_b64 v[63:64], v61
	v_mul_u32_u24_e32 v61, 15, v0
	s_delay_alu instid0(VALU_DEP_1) | instskip(SKIP_2) | instid1(VALU_DEP_1)
	v_cmp_gt_u64_e32 vcc_lo, s[20:21], v[61:62]
	s_waitcnt lgkmcnt(0)
	v_cmp_ne_u64_e64 s0, v[63:64], v[25:26]
	s_and_b32 s0, vcc_lo, s0
	s_delay_alu instid0(SALU_CYCLE_1)
	s_and_b32 s0, s0, exec_lo
	s_or_b32 exec_lo, exec_lo, s2
.LBB476_83:
	v_mov_b32_e32 v113, s1
	s_and_saveexec_b32 s1, s34
.LBB476_84:
	v_cndmask_b32_e64 v113, 0, 1, s0
.LBB476_85:
	s_or_b32 exec_lo, exec_lo, s1
	s_delay_alu instid0(VALU_DEP_1)
	v_add3_u32 v61, v112, v113, v111
	v_dual_mov_b32 v95, v53 :: v_dual_mov_b32 v96, v54
	v_cmp_eq_u32_e64 s12, 0, v112
	v_cmp_eq_u32_e64 s11, 0, v111
	;; [unrolled: 1-line block ×3, first 2 shown]
	v_add3_u32 v116, v61, v110, v109
	v_cmp_eq_u32_e64 s9, 0, v109
	v_cmp_eq_u32_e64 s8, 0, v108
	;; [unrolled: 1-line block ×10, first 2 shown]
	v_cmp_eq_u32_e32 vcc_lo, 0, v104
	v_mbcnt_lo_u32_b32 v115, -1, 0
	s_cmp_eq_u64 s[42:43], 0
	s_cselect_b32 s14, -1, 0
	s_cmp_lg_u32 s15, 0
	s_cbranch_scc0 .LBB476_148
; %bb.86:
	v_cndmask_b32_e64 v61, 0, v53, s12
	v_cndmask_b32_e64 v62, 0, v54, s12
	v_add3_u32 v63, v116, v108, v107
	s_delay_alu instid0(VALU_DEP_3) | instskip(NEXT) | instid1(VALU_DEP_1)
	v_add_co_u32 v61, s13, v61, v55
	v_add_co_ci_u32_e64 v62, s13, v62, v56, s13
	s_delay_alu instid0(VALU_DEP_3) | instskip(NEXT) | instid1(VALU_DEP_3)
	v_add3_u32 v63, v63, v106, v105
	v_cndmask_b32_e64 v61, 0, v61, s11
	s_delay_alu instid0(VALU_DEP_3) | instskip(NEXT) | instid1(VALU_DEP_3)
	v_cndmask_b32_e64 v62, 0, v62, s11
	v_add3_u32 v63, v63, v103, v102
	s_delay_alu instid0(VALU_DEP_3) | instskip(NEXT) | instid1(VALU_DEP_1)
	v_add_co_u32 v61, s13, v61, v49
	v_add_co_ci_u32_e64 v62, s13, v62, v50, s13
	s_delay_alu instid0(VALU_DEP_3) | instskip(NEXT) | instid1(VALU_DEP_3)
	v_add3_u32 v63, v63, v101, v100
	v_cndmask_b32_e64 v61, 0, v61, s10
	s_delay_alu instid0(VALU_DEP_3) | instskip(NEXT) | instid1(VALU_DEP_3)
	v_cndmask_b32_e64 v62, 0, v62, s10
	v_add3_u32 v65, v63, v99, v104
	s_delay_alu instid0(VALU_DEP_3) | instskip(NEXT) | instid1(VALU_DEP_1)
	v_add_co_u32 v61, s13, v61, v51
	v_add_co_ci_u32_e64 v62, s13, v62, v52, s13
	s_delay_alu instid0(VALU_DEP_2) | instskip(NEXT) | instid1(VALU_DEP_2)
	v_cndmask_b32_e64 v61, 0, v61, s9
	v_cndmask_b32_e64 v62, 0, v62, s9
	s_delay_alu instid0(VALU_DEP_2) | instskip(NEXT) | instid1(VALU_DEP_1)
	v_add_co_u32 v61, s13, v61, v45
	v_add_co_ci_u32_e64 v62, s13, v62, v46, s13
	s_delay_alu instid0(VALU_DEP_2) | instskip(NEXT) | instid1(VALU_DEP_2)
	v_cndmask_b32_e64 v61, 0, v61, s8
	v_cndmask_b32_e64 v62, 0, v62, s8
	s_delay_alu instid0(VALU_DEP_2) | instskip(NEXT) | instid1(VALU_DEP_1)
	;; [unrolled: 6-line block ×10, first 2 shown]
	v_add_co_u32 v61, s13, v61, v31
	v_add_co_ci_u32_e64 v62, s13, v62, v32, s13
	s_mov_b32 s13, exec_lo
	s_delay_alu instid0(VALU_DEP_1) | instskip(NEXT) | instid1(VALU_DEP_1)
	v_dual_cndmask_b32 v61, 0, v61 :: v_dual_cndmask_b32 v62, 0, v62
	v_add_co_u32 v63, vcc_lo, v61, v59
	s_delay_alu instid0(VALU_DEP_2) | instskip(SKIP_2) | instid1(VALU_DEP_4)
	v_add_co_ci_u32_e32 v64, vcc_lo, v62, v60, vcc_lo
	v_and_b32_e32 v61, 15, v115
	v_mov_b32_dpp v62, v65 row_shr:1 row_mask:0xf bank_mask:0xf
	v_mov_b32_dpp v66, v63 row_shr:1 row_mask:0xf bank_mask:0xf
	s_delay_alu instid0(VALU_DEP_4) | instskip(NEXT) | instid1(VALU_DEP_4)
	v_mov_b32_dpp v67, v64 row_shr:1 row_mask:0xf bank_mask:0xf
	v_cmpx_ne_u32_e32 0, v61
; %bb.87:
	v_cmp_eq_u32_e32 vcc_lo, 0, v65
	v_add_nc_u32_e32 v65, v62, v65
	s_delay_alu instid0(VALU_DEP_4) | instskip(NEXT) | instid1(VALU_DEP_1)
	v_dual_cndmask_b32 v67, 0, v67 :: v_dual_cndmask_b32 v66, 0, v66
	v_add_co_u32 v63, vcc_lo, v66, v63
	s_delay_alu instid0(VALU_DEP_2)
	v_add_co_ci_u32_e32 v64, vcc_lo, v67, v64, vcc_lo
; %bb.88:
	s_or_b32 exec_lo, exec_lo, s13
	v_mov_b32_dpp v62, v65 row_shr:2 row_mask:0xf bank_mask:0xf
	s_delay_alu instid0(VALU_DEP_3) | instskip(NEXT) | instid1(VALU_DEP_3)
	v_mov_b32_dpp v66, v63 row_shr:2 row_mask:0xf bank_mask:0xf
	v_mov_b32_dpp v67, v64 row_shr:2 row_mask:0xf bank_mask:0xf
	s_mov_b32 s13, exec_lo
	v_cmpx_lt_u32_e32 1, v61
; %bb.89:
	v_cmp_eq_u32_e32 vcc_lo, 0, v65
	v_add_nc_u32_e32 v65, v62, v65
	v_dual_cndmask_b32 v67, 0, v67 :: v_dual_cndmask_b32 v66, 0, v66
	s_delay_alu instid0(VALU_DEP_1) | instskip(NEXT) | instid1(VALU_DEP_2)
	v_add_co_u32 v63, vcc_lo, v66, v63
	v_add_co_ci_u32_e32 v64, vcc_lo, v67, v64, vcc_lo
; %bb.90:
	s_or_b32 exec_lo, exec_lo, s13
	v_mov_b32_dpp v62, v65 row_shr:4 row_mask:0xf bank_mask:0xf
	s_delay_alu instid0(VALU_DEP_3) | instskip(NEXT) | instid1(VALU_DEP_3)
	v_mov_b32_dpp v66, v63 row_shr:4 row_mask:0xf bank_mask:0xf
	v_mov_b32_dpp v67, v64 row_shr:4 row_mask:0xf bank_mask:0xf
	s_mov_b32 s13, exec_lo
	v_cmpx_lt_u32_e32 3, v61
; %bb.91:
	v_cmp_eq_u32_e32 vcc_lo, 0, v65
	v_add_nc_u32_e32 v65, v62, v65
	v_dual_cndmask_b32 v67, 0, v67 :: v_dual_cndmask_b32 v66, 0, v66
	s_delay_alu instid0(VALU_DEP_1) | instskip(NEXT) | instid1(VALU_DEP_2)
	v_add_co_u32 v63, vcc_lo, v66, v63
	;; [unrolled: 15-line block ×3, first 2 shown]
	v_add_co_ci_u32_e32 v64, vcc_lo, v61, v64, vcc_lo
; %bb.94:
	s_or_b32 exec_lo, exec_lo, s13
	ds_swizzle_b32 v61, v65 offset:swizzle(BROADCAST,32,15)
	ds_swizzle_b32 v62, v63 offset:swizzle(BROADCAST,32,15)
	;; [unrolled: 1-line block ×3, first 2 shown]
	v_and_b32_e32 v67, 16, v115
	s_mov_b32 s13, exec_lo
	s_delay_alu instid0(VALU_DEP_1)
	v_cmpx_ne_u32_e32 0, v67
	s_cbranch_execz .LBB476_96
; %bb.95:
	v_cmp_eq_u32_e32 vcc_lo, 0, v65
	s_waitcnt lgkmcnt(1)
	v_dual_cndmask_b32 v62, 0, v62 :: v_dual_add_nc_u32 v65, v61, v65
	s_waitcnt lgkmcnt(0)
	v_cndmask_b32_e32 v66, 0, v66, vcc_lo
	s_delay_alu instid0(VALU_DEP_2) | instskip(NEXT) | instid1(VALU_DEP_2)
	v_add_co_u32 v63, vcc_lo, v62, v63
	v_add_co_ci_u32_e32 v64, vcc_lo, v66, v64, vcc_lo
.LBB476_96:
	s_or_b32 exec_lo, exec_lo, s13
	s_waitcnt lgkmcnt(1)
	v_lshrrev_b32_e32 v62, 5, v0
	v_or_b32_e32 v61, 31, v0
	s_mov_b32 s13, exec_lo
	s_waitcnt lgkmcnt(0)
	s_delay_alu instid0(VALU_DEP_2) | instskip(NEXT) | instid1(VALU_DEP_2)
	v_lshlrev_b32_e32 v66, 4, v62
	v_cmpx_eq_u32_e64 v61, v0
	s_cbranch_execz .LBB476_98
; %bb.97:
	ds_store_b32 v66, v65 offset:4128
	ds_store_b64 v66, v[63:64] offset:4136
.LBB476_98:
	s_or_b32 exec_lo, exec_lo, s13
	s_delay_alu instid0(SALU_CYCLE_1)
	s_mov_b32 s13, exec_lo
	s_waitcnt lgkmcnt(0)
	s_barrier
	buffer_gl0_inv
	v_cmpx_gt_u32_e32 8, v0
	s_cbranch_execz .LBB476_106
; %bb.99:
	v_lshlrev_b32_e32 v67, 4, v0
	v_and_b32_e32 v69, 7, v115
	s_mov_b32 s16, exec_lo
	ds_load_b32 v68, v67 offset:4128
	ds_load_b64 v[61:62], v67 offset:4136
	s_waitcnt lgkmcnt(1)
	v_mov_b32_dpp v70, v68 row_shr:1 row_mask:0xf bank_mask:0xf
	s_waitcnt lgkmcnt(0)
	v_mov_b32_dpp v71, v61 row_shr:1 row_mask:0xf bank_mask:0xf
	v_mov_b32_dpp v72, v62 row_shr:1 row_mask:0xf bank_mask:0xf
	v_cmpx_ne_u32_e32 0, v69
; %bb.100:
	v_cmp_eq_u32_e32 vcc_lo, 0, v68
	v_add_nc_u32_e32 v68, v70, v68
	s_delay_alu instid0(VALU_DEP_4) | instskip(NEXT) | instid1(VALU_DEP_1)
	v_dual_cndmask_b32 v72, 0, v72 :: v_dual_cndmask_b32 v71, 0, v71
	v_add_co_u32 v61, vcc_lo, v71, v61
	s_delay_alu instid0(VALU_DEP_2)
	v_add_co_ci_u32_e32 v62, vcc_lo, v72, v62, vcc_lo
; %bb.101:
	s_or_b32 exec_lo, exec_lo, s16
	v_mov_b32_dpp v70, v68 row_shr:2 row_mask:0xf bank_mask:0xf
	s_delay_alu instid0(VALU_DEP_3) | instskip(NEXT) | instid1(VALU_DEP_3)
	v_mov_b32_dpp v71, v61 row_shr:2 row_mask:0xf bank_mask:0xf
	v_mov_b32_dpp v72, v62 row_shr:2 row_mask:0xf bank_mask:0xf
	s_mov_b32 s16, exec_lo
	v_cmpx_lt_u32_e32 1, v69
; %bb.102:
	v_cmp_eq_u32_e32 vcc_lo, 0, v68
	v_add_nc_u32_e32 v68, v70, v68
	v_dual_cndmask_b32 v72, 0, v72 :: v_dual_cndmask_b32 v71, 0, v71
	s_delay_alu instid0(VALU_DEP_1) | instskip(NEXT) | instid1(VALU_DEP_2)
	v_add_co_u32 v61, vcc_lo, v71, v61
	v_add_co_ci_u32_e32 v62, vcc_lo, v72, v62, vcc_lo
; %bb.103:
	s_or_b32 exec_lo, exec_lo, s16
	v_mov_b32_dpp v70, v68 row_shr:4 row_mask:0xf bank_mask:0xf
	s_delay_alu instid0(VALU_DEP_3) | instskip(NEXT) | instid1(VALU_DEP_3)
	v_mov_b32_dpp v71, v61 row_shr:4 row_mask:0xf bank_mask:0xf
	v_mov_b32_dpp v72, v62 row_shr:4 row_mask:0xf bank_mask:0xf
	s_mov_b32 s16, exec_lo
	v_cmpx_lt_u32_e32 3, v69
; %bb.104:
	v_cmp_eq_u32_e32 vcc_lo, 0, v68
	v_dual_cndmask_b32 v71, 0, v71 :: v_dual_add_nc_u32 v68, v70, v68
	v_cndmask_b32_e32 v69, 0, v72, vcc_lo
	s_delay_alu instid0(VALU_DEP_2) | instskip(NEXT) | instid1(VALU_DEP_2)
	v_add_co_u32 v61, vcc_lo, v71, v61
	v_add_co_ci_u32_e32 v62, vcc_lo, v69, v62, vcc_lo
; %bb.105:
	s_or_b32 exec_lo, exec_lo, s16
	ds_store_b32 v67, v68 offset:4128
	ds_store_b64 v67, v[61:62] offset:4136
.LBB476_106:
	s_or_b32 exec_lo, exec_lo, s13
	v_mov_b32_e32 v61, 0
	v_cmp_gt_u32_e32 vcc_lo, 32, v0
	v_dual_mov_b32 v62, 0 :: v_dual_mov_b32 v71, 0
	s_mov_b32 s16, exec_lo
	s_waitcnt lgkmcnt(0)
	s_barrier
	buffer_gl0_inv
	v_cmpx_lt_u32_e32 31, v0
	s_cbranch_execz .LBB476_108
; %bb.107:
	ds_load_b64 v[61:62], v66 offset:4120
	ds_load_b32 v71, v66 offset:4112
	v_cmp_eq_u32_e64 s13, 0, v65
	s_waitcnt lgkmcnt(1)
	s_delay_alu instid0(VALU_DEP_1) | instskip(SKIP_3) | instid1(VALU_DEP_3)
	v_cndmask_b32_e64 v67, 0, v61, s13
	v_cndmask_b32_e64 v66, 0, v62, s13
	s_waitcnt lgkmcnt(0)
	v_add_nc_u32_e32 v65, v71, v65
	v_add_co_u32 v63, s13, v67, v63
	s_delay_alu instid0(VALU_DEP_1)
	v_add_co_ci_u32_e64 v64, s13, v66, v64, s13
.LBB476_108:
	s_or_b32 exec_lo, exec_lo, s16
	v_add_nc_u32_e32 v66, -1, v115
	s_delay_alu instid0(VALU_DEP_1) | instskip(NEXT) | instid1(VALU_DEP_1)
	v_cmp_gt_i32_e64 s13, 0, v66
	v_cndmask_b32_e64 v66, v66, v115, s13
	v_cmp_eq_u32_e64 s13, 0, v115
	s_delay_alu instid0(VALU_DEP_2)
	v_lshlrev_b32_e32 v66, 2, v66
	ds_bpermute_b32 v74, v66, v65
	ds_bpermute_b32 v73, v66, v63
	ds_bpermute_b32 v72, v66, v64
	s_and_saveexec_b32 s16, vcc_lo
	s_cbranch_execz .LBB476_147
; %bb.109:
	v_mov_b32_e32 v67, 0
	ds_load_b32 v75, v67 offset:4240
	ds_load_b64 v[63:64], v67 offset:4248
	s_and_saveexec_b32 s17, s13
	s_cbranch_execz .LBB476_111
; %bb.110:
	s_add_i32 s20, s15, 32
	s_mov_b32 s21, 0
	v_dual_mov_b32 v65, s20 :: v_dual_mov_b32 v66, 1
	s_lshl_b64 s[34:35], s[20:21], 4
	s_delay_alu instid0(SALU_CYCLE_1)
	s_add_u32 s20, s36, s34
	s_addc_u32 s21, s37, s35
	s_waitcnt lgkmcnt(1)
	global_store_b32 v67, v75, s[20:21]
	s_waitcnt lgkmcnt(0)
	global_store_b64 v67, v[63:64], s[20:21] offset:8
	s_waitcnt_vscnt null, 0x0
	buffer_gl1_inv
	buffer_gl0_inv
	global_store_b8 v65, v66, s[40:41]
.LBB476_111:
	s_or_b32 exec_lo, exec_lo, s17
	v_xad_u32 v65, v115, -1, s15
	s_mov_b32 s20, 0
	s_mov_b32 s17, exec_lo
	s_delay_alu instid0(VALU_DEP_1)
	v_add_nc_u32_e32 v66, 32, v65
	global_load_u8 v76, v66, s[40:41] glc
	s_waitcnt vmcnt(0)
	v_cmpx_eq_u16_e32 0, v76
	s_cbranch_execz .LBB476_115
; %bb.112:
	v_add_co_u32 v68, s21, s40, v66
	s_delay_alu instid0(VALU_DEP_1)
	v_add_co_ci_u32_e64 v69, null, s41, 0, s21
.LBB476_113:                            ; =>This Inner Loop Header: Depth=1
	global_load_u8 v76, v[68:69], off glc
	s_waitcnt vmcnt(0)
	v_cmp_ne_u16_e32 vcc_lo, 0, v76
	s_or_b32 s20, vcc_lo, s20
	s_delay_alu instid0(SALU_CYCLE_1)
	s_and_not1_b32 exec_lo, exec_lo, s20
	s_cbranch_execnz .LBB476_113
; %bb.114:
	s_or_b32 exec_lo, exec_lo, s20
.LBB476_115:
	s_delay_alu instid0(SALU_CYCLE_1)
	s_or_b32 exec_lo, exec_lo, s17
	v_dual_mov_b32 v68, s37 :: v_dual_mov_b32 v69, s36
	v_cmp_eq_u16_e32 vcc_lo, 1, v76
	v_lshlrev_b64 v[66:67], 4, v[66:67]
	s_waitcnt lgkmcnt(0)
	s_waitcnt_vscnt null, 0x0
	buffer_gl1_inv
	buffer_gl0_inv
	v_lshlrev_b32_e64 v78, v115, -1
	s_mov_b32 s17, exec_lo
	v_cndmask_b32_e32 v69, s38, v69, vcc_lo
	v_cndmask_b32_e32 v68, s39, v68, vcc_lo
	s_delay_alu instid0(VALU_DEP_2) | instskip(NEXT) | instid1(VALU_DEP_2)
	v_add_co_u32 v66, vcc_lo, v69, v66
	v_add_co_ci_u32_e32 v67, vcc_lo, v68, v67, vcc_lo
	v_cmp_ne_u32_e32 vcc_lo, 31, v115
	s_clause 0x1
	global_load_b32 v88, v[66:67], off
	global_load_b64 v[69:70], v[66:67], off offset:8
	v_add_co_ci_u32_e32 v66, vcc_lo, 0, v115, vcc_lo
	v_cmp_eq_u16_e32 vcc_lo, 2, v76
	s_delay_alu instid0(VALU_DEP_2) | instskip(SKIP_1) | instid1(VALU_DEP_1)
	v_lshlrev_b32_e32 v77, 2, v66
	v_and_or_b32 v66, vcc_lo, v78, 0x80000000
	v_ctz_i32_b32_e32 v66, v66
	s_waitcnt vmcnt(1)
	ds_bpermute_b32 v67, v77, v88
	s_waitcnt vmcnt(0)
	ds_bpermute_b32 v68, v77, v69
	ds_bpermute_b32 v79, v77, v70
	v_cmpx_lt_u32_e64 v115, v66
	s_cbranch_execz .LBB476_117
; %bb.116:
	v_cmp_eq_u32_e32 vcc_lo, 0, v88
	s_waitcnt lgkmcnt(0)
	v_dual_cndmask_b32 v79, 0, v79 :: v_dual_add_nc_u32 v88, v67, v88
	v_cndmask_b32_e32 v68, 0, v68, vcc_lo
	s_delay_alu instid0(VALU_DEP_1) | instskip(NEXT) | instid1(VALU_DEP_3)
	v_add_co_u32 v69, vcc_lo, v68, v69
	v_add_co_ci_u32_e32 v70, vcc_lo, v79, v70, vcc_lo
.LBB476_117:
	s_or_b32 exec_lo, exec_lo, s17
	v_cmp_gt_u32_e32 vcc_lo, 30, v115
	v_add_nc_u32_e32 v80, 2, v115
	s_mov_b32 s17, exec_lo
	s_waitcnt lgkmcnt(2)
	v_cndmask_b32_e64 v67, 0, 1, vcc_lo
	s_delay_alu instid0(VALU_DEP_1) | instskip(SKIP_1) | instid1(VALU_DEP_1)
	v_lshlrev_b32_e32 v67, 1, v67
	s_waitcnt lgkmcnt(0)
	v_add_lshl_u32 v79, v67, v115, 2
	ds_bpermute_b32 v67, v79, v88
	ds_bpermute_b32 v68, v79, v69
	ds_bpermute_b32 v81, v79, v70
	v_cmpx_le_u32_e64 v80, v66
	s_cbranch_execz .LBB476_119
; %bb.118:
	v_cmp_eq_u32_e32 vcc_lo, 0, v88
	s_waitcnt lgkmcnt(0)
	v_dual_cndmask_b32 v81, 0, v81 :: v_dual_add_nc_u32 v88, v67, v88
	v_cndmask_b32_e32 v68, 0, v68, vcc_lo
	s_delay_alu instid0(VALU_DEP_1) | instskip(NEXT) | instid1(VALU_DEP_3)
	v_add_co_u32 v69, vcc_lo, v68, v69
	v_add_co_ci_u32_e32 v70, vcc_lo, v81, v70, vcc_lo
.LBB476_119:
	s_or_b32 exec_lo, exec_lo, s17
	v_cmp_gt_u32_e32 vcc_lo, 28, v115
	v_add_nc_u32_e32 v82, 4, v115
	s_mov_b32 s17, exec_lo
	s_waitcnt lgkmcnt(2)
	v_cndmask_b32_e64 v67, 0, 1, vcc_lo
	s_delay_alu instid0(VALU_DEP_1) | instskip(SKIP_1) | instid1(VALU_DEP_1)
	v_lshlrev_b32_e32 v67, 2, v67
	s_waitcnt lgkmcnt(0)
	v_add_lshl_u32 v81, v67, v115, 2
	ds_bpermute_b32 v67, v81, v88
	ds_bpermute_b32 v68, v81, v69
	ds_bpermute_b32 v83, v81, v70
	v_cmpx_le_u32_e64 v82, v66
	;; [unrolled: 24-line block ×3, first 2 shown]
	s_cbranch_execz .LBB476_123
; %bb.122:
	v_cmp_eq_u32_e32 vcc_lo, 0, v88
	s_waitcnt lgkmcnt(0)
	v_dual_cndmask_b32 v85, 0, v85 :: v_dual_add_nc_u32 v88, v67, v88
	v_cndmask_b32_e32 v68, 0, v68, vcc_lo
	s_delay_alu instid0(VALU_DEP_1) | instskip(NEXT) | instid1(VALU_DEP_3)
	v_add_co_u32 v69, vcc_lo, v68, v69
	v_add_co_ci_u32_e32 v70, vcc_lo, v85, v70, vcc_lo
.LBB476_123:
	s_or_b32 exec_lo, exec_lo, s17
	v_cmp_gt_u32_e32 vcc_lo, 16, v115
	v_add_nc_u32_e32 v87, 16, v115
	s_mov_b32 s17, exec_lo
	s_waitcnt lgkmcnt(2)
	v_cndmask_b32_e64 v67, 0, 1, vcc_lo
	s_delay_alu instid0(VALU_DEP_1) | instskip(NEXT) | instid1(VALU_DEP_1)
	v_lshlrev_b32_e32 v67, 4, v67
	v_add_lshl_u32 v86, v67, v115, 2
	ds_bpermute_b32 v67, v86, v88
	s_waitcnt lgkmcnt(2)
	ds_bpermute_b32 v68, v86, v69
	s_waitcnt lgkmcnt(2)
	ds_bpermute_b32 v85, v86, v70
	v_cmpx_le_u32_e64 v87, v66
	s_cbranch_execz .LBB476_125
; %bb.124:
	v_cmp_eq_u32_e32 vcc_lo, 0, v88
	s_waitcnt lgkmcnt(2)
	v_add_nc_u32_e32 v88, v67, v88
	s_waitcnt lgkmcnt(1)
	v_cndmask_b32_e32 v68, 0, v68, vcc_lo
	s_waitcnt lgkmcnt(0)
	v_cndmask_b32_e32 v66, 0, v85, vcc_lo
	s_delay_alu instid0(VALU_DEP_2) | instskip(NEXT) | instid1(VALU_DEP_2)
	v_add_co_u32 v69, vcc_lo, v68, v69
	v_add_co_ci_u32_e32 v70, vcc_lo, v66, v70, vcc_lo
.LBB476_125:
	s_or_b32 exec_lo, exec_lo, s17
	v_mov_b32_e32 v66, 0
	s_branch .LBB476_127
.LBB476_126:                            ;   in Loop: Header=BB476_127 Depth=1
	s_or_b32 exec_lo, exec_lo, s17
	v_cmp_eq_u32_e32 vcc_lo, 0, v85
	v_subrev_nc_u32_e32 v65, 32, v65
	v_add_nc_u32_e32 v88, v88, v85
	v_dual_cndmask_b32 v70, 0, v70 :: v_dual_cndmask_b32 v69, 0, v69
	s_delay_alu instid0(VALU_DEP_1) | instskip(NEXT) | instid1(VALU_DEP_2)
	v_add_co_u32 v69, vcc_lo, v69, v67
	v_add_co_ci_u32_e32 v70, vcc_lo, v70, v68, vcc_lo
.LBB476_127:                            ; =>This Loop Header: Depth=1
                                        ;     Child Loop BB476_130 Depth 2
	s_waitcnt lgkmcnt(2)
	v_and_b32_e32 v67, 0xff, v76
	s_waitcnt lgkmcnt(0)
	v_mov_b32_e32 v85, v88
	s_delay_alu instid0(VALU_DEP_2) | instskip(SKIP_2) | instid1(VALU_DEP_1)
	v_cmp_ne_u16_e32 vcc_lo, 2, v67
	v_cndmask_b32_e64 v67, 0, 1, vcc_lo
	;;#ASMSTART
	;;#ASMEND
	v_cmp_ne_u32_e32 vcc_lo, 0, v67
	v_dual_mov_b32 v67, v69 :: v_dual_mov_b32 v68, v70
	s_cmp_lg_u32 vcc_lo, exec_lo
	s_cbranch_scc1 .LBB476_142
; %bb.128:                              ;   in Loop: Header=BB476_127 Depth=1
	global_load_u8 v76, v65, s[40:41] glc
	s_mov_b32 s17, exec_lo
	s_waitcnt vmcnt(0)
	v_cmpx_eq_u16_e32 0, v76
	s_cbranch_execz .LBB476_132
; %bb.129:                              ;   in Loop: Header=BB476_127 Depth=1
	v_add_co_u32 v69, s20, s40, v65
	s_delay_alu instid0(VALU_DEP_1)
	v_add_co_ci_u32_e64 v70, null, s41, 0, s20
	s_mov_b32 s20, 0
.LBB476_130:                            ;   Parent Loop BB476_127 Depth=1
                                        ; =>  This Inner Loop Header: Depth=2
	global_load_u8 v76, v[69:70], off glc
	s_waitcnt vmcnt(0)
	v_cmp_ne_u16_e32 vcc_lo, 0, v76
	s_or_b32 s20, vcc_lo, s20
	s_delay_alu instid0(SALU_CYCLE_1)
	s_and_not1_b32 exec_lo, exec_lo, s20
	s_cbranch_execnz .LBB476_130
; %bb.131:                              ;   in Loop: Header=BB476_127 Depth=1
	s_or_b32 exec_lo, exec_lo, s20
.LBB476_132:                            ;   in Loop: Header=BB476_127 Depth=1
	s_delay_alu instid0(SALU_CYCLE_1)
	s_or_b32 exec_lo, exec_lo, s17
	v_dual_mov_b32 v88, s37 :: v_dual_mov_b32 v89, s36
	v_cmp_eq_u16_e32 vcc_lo, 1, v76
	v_lshlrev_b64 v[69:70], 4, v[65:66]
	buffer_gl1_inv
	buffer_gl0_inv
	s_mov_b32 s17, exec_lo
	v_cndmask_b32_e32 v89, s38, v89, vcc_lo
	v_cndmask_b32_e32 v88, s39, v88, vcc_lo
	s_delay_alu instid0(VALU_DEP_2) | instskip(NEXT) | instid1(VALU_DEP_2)
	v_add_co_u32 v69, vcc_lo, v89, v69
	v_add_co_ci_u32_e32 v70, vcc_lo, v88, v70, vcc_lo
	v_cmp_eq_u16_e32 vcc_lo, 2, v76
	s_clause 0x1
	global_load_b32 v88, v[69:70], off
	global_load_b64 v[69:70], v[69:70], off offset:8
	v_and_or_b32 v89, vcc_lo, v78, 0x80000000
	s_delay_alu instid0(VALU_DEP_1)
	v_ctz_i32_b32_e32 v89, v89
	s_waitcnt vmcnt(1)
	ds_bpermute_b32 v90, v77, v88
	s_waitcnt vmcnt(0)
	ds_bpermute_b32 v91, v77, v69
	ds_bpermute_b32 v92, v77, v70
	v_cmpx_lt_u32_e64 v115, v89
	s_cbranch_execz .LBB476_134
; %bb.133:                              ;   in Loop: Header=BB476_127 Depth=1
	v_cmp_eq_u32_e32 vcc_lo, 0, v88
	s_waitcnt lgkmcnt(2)
	v_add_nc_u32_e32 v88, v90, v88
	s_waitcnt lgkmcnt(0)
	v_dual_cndmask_b32 v92, 0, v92 :: v_dual_cndmask_b32 v91, 0, v91
	s_delay_alu instid0(VALU_DEP_1) | instskip(NEXT) | instid1(VALU_DEP_2)
	v_add_co_u32 v69, vcc_lo, v91, v69
	v_add_co_ci_u32_e32 v70, vcc_lo, v92, v70, vcc_lo
.LBB476_134:                            ;   in Loop: Header=BB476_127 Depth=1
	s_or_b32 exec_lo, exec_lo, s17
	s_waitcnt lgkmcnt(2)
	ds_bpermute_b32 v90, v79, v88
	s_waitcnt lgkmcnt(2)
	ds_bpermute_b32 v91, v79, v69
	s_waitcnt lgkmcnt(2)
	ds_bpermute_b32 v92, v79, v70
	s_mov_b32 s17, exec_lo
	v_cmpx_le_u32_e64 v80, v89
	s_cbranch_execz .LBB476_136
; %bb.135:                              ;   in Loop: Header=BB476_127 Depth=1
	v_cmp_eq_u32_e32 vcc_lo, 0, v88
	s_waitcnt lgkmcnt(2)
	v_add_nc_u32_e32 v88, v90, v88
	s_waitcnt lgkmcnt(0)
	v_dual_cndmask_b32 v92, 0, v92 :: v_dual_cndmask_b32 v91, 0, v91
	s_delay_alu instid0(VALU_DEP_1) | instskip(NEXT) | instid1(VALU_DEP_2)
	v_add_co_u32 v69, vcc_lo, v91, v69
	v_add_co_ci_u32_e32 v70, vcc_lo, v92, v70, vcc_lo
.LBB476_136:                            ;   in Loop: Header=BB476_127 Depth=1
	s_or_b32 exec_lo, exec_lo, s17
	s_waitcnt lgkmcnt(2)
	ds_bpermute_b32 v90, v81, v88
	s_waitcnt lgkmcnt(2)
	ds_bpermute_b32 v91, v81, v69
	s_waitcnt lgkmcnt(2)
	ds_bpermute_b32 v92, v81, v70
	s_mov_b32 s17, exec_lo
	v_cmpx_le_u32_e64 v82, v89
	;; [unrolled: 20-line block ×4, first 2 shown]
	s_cbranch_execz .LBB476_126
; %bb.141:                              ;   in Loop: Header=BB476_127 Depth=1
	v_cmp_eq_u32_e32 vcc_lo, 0, v88
	s_waitcnt lgkmcnt(1)
	v_dual_cndmask_b32 v91, 0, v91 :: v_dual_add_nc_u32 v88, v90, v88
	s_waitcnt lgkmcnt(0)
	v_cndmask_b32_e32 v89, 0, v92, vcc_lo
	s_delay_alu instid0(VALU_DEP_2) | instskip(NEXT) | instid1(VALU_DEP_2)
	v_add_co_u32 v69, vcc_lo, v91, v69
	v_add_co_ci_u32_e32 v70, vcc_lo, v89, v70, vcc_lo
	s_branch .LBB476_126
.LBB476_142:                            ;   in Loop: Header=BB476_127 Depth=1
                                        ; implicit-def: $vgpr69_vgpr70
                                        ; implicit-def: $vgpr88
                                        ; implicit-def: $vgpr76
	s_cbranch_execz .LBB476_127
; %bb.143:
	s_and_saveexec_b32 s17, s13
	s_cbranch_execz .LBB476_145
; %bb.144:
	v_cmp_eq_u32_e32 vcc_lo, 0, v75
	s_mov_b32 s21, 0
	s_add_i32 s20, s15, 32
	v_dual_mov_b32 v70, 0 :: v_dual_add_nc_u32 v69, v85, v75
	v_dual_cndmask_b32 v66, 0, v68 :: v_dual_cndmask_b32 v65, 0, v67
	s_lshl_b64 s[34:35], s[20:21], 4
	v_dual_mov_b32 v76, s20 :: v_dual_mov_b32 v77, 2
	s_add_u32 s34, s38, s34
	s_delay_alu instid0(VALU_DEP_2)
	v_add_co_u32 v65, vcc_lo, v65, v63
	v_add_co_ci_u32_e32 v66, vcc_lo, v66, v64, vcc_lo
	s_addc_u32 s35, s39, s35
	s_clause 0x1
	global_store_b32 v70, v69, s[34:35]
	global_store_b64 v70, v[65:66], s[34:35] offset:8
	s_waitcnt lgkmcnt(0)
	s_waitcnt_vscnt null, 0x0
	buffer_gl1_inv
	buffer_gl0_inv
	global_store_b8 v76, v77, s[40:41]
	ds_store_b32 v70, v75 offset:4096
	ds_store_b64 v70, v[63:64] offset:4104
	ds_store_b32 v70, v85 offset:4112
	ds_store_b64 v70, v[67:68] offset:4120
.LBB476_145:
	s_or_b32 exec_lo, exec_lo, s17
	v_cmp_eq_u32_e32 vcc_lo, 0, v0
	s_and_b32 exec_lo, exec_lo, vcc_lo
	s_cbranch_execz .LBB476_147
; %bb.146:
	v_mov_b32_e32 v63, 0
	ds_store_b32 v63, v85 offset:4240
	ds_store_b64 v63, v[67:68] offset:4248
.LBB476_147:
	s_or_b32 exec_lo, exec_lo, s16
	s_waitcnt lgkmcnt(2)
	v_cndmask_b32_e64 v66, v74, v71, s13
	s_waitcnt lgkmcnt(0)
	s_waitcnt_vscnt null, 0x0
	s_barrier
	buffer_gl0_inv
	v_cndmask_b32_e64 v61, v73, v61, s13
	v_cmp_eq_u32_e32 vcc_lo, 0, v66
	v_mov_b32_e32 v65, 0
	v_cndmask_b32_e64 v62, v72, v62, s13
	ds_load_b64 v[63:64], v65 offset:4248
	s_waitcnt lgkmcnt(0)
	v_dual_cndmask_b32 v68, 0, v63 :: v_dual_cndmask_b32 v67, 0, v64
	s_delay_alu instid0(VALU_DEP_1) | instskip(NEXT) | instid1(VALU_DEP_2)
	v_add_co_u32 v61, vcc_lo, v68, v61
	v_add_co_ci_u32_e32 v62, vcc_lo, v67, v62, vcc_lo
	v_cmp_eq_u32_e32 vcc_lo, 0, v0
	v_cndmask_b32_e64 v66, v66, 0, vcc_lo
	s_delay_alu instid0(VALU_DEP_3)
	v_dual_cndmask_b32 v78, v62, v64 :: v_dual_cndmask_b32 v77, v61, v63
	v_cmp_eq_u32_e32 vcc_lo, 0, v113
	ds_load_b32 v64, v65 offset:4240
	s_waitcnt lgkmcnt(0)
	s_barrier
	buffer_gl0_inv
	v_dual_cndmask_b32 v62, 0, v77 :: v_dual_cndmask_b32 v61, 0, v78
	ds_load_b64 v[117:118], v65 offset:4104
	v_add_co_u32 v75, vcc_lo, v62, v53
	v_add_co_ci_u32_e32 v76, vcc_lo, v61, v54, vcc_lo
	s_delay_alu instid0(VALU_DEP_2) | instskip(NEXT) | instid1(VALU_DEP_2)
	v_cndmask_b32_e64 v61, 0, v75, s12
	v_cndmask_b32_e64 v62, 0, v76, s12
	s_delay_alu instid0(VALU_DEP_2) | instskip(NEXT) | instid1(VALU_DEP_2)
	v_add_co_u32 v81, vcc_lo, v61, v55
	v_add_co_ci_u32_e32 v82, vcc_lo, v62, v56, vcc_lo
	v_add_nc_u32_e32 v114, v64, v66
	s_delay_alu instid0(VALU_DEP_3) | instskip(NEXT) | instid1(VALU_DEP_3)
	v_cndmask_b32_e64 v61, 0, v81, s11
	v_cndmask_b32_e64 v62, 0, v82, s11
	s_delay_alu instid0(VALU_DEP_2) | instskip(NEXT) | instid1(VALU_DEP_2)
	v_add_co_u32 v85, vcc_lo, v61, v49
	v_add_co_ci_u32_e32 v86, vcc_lo, v62, v50, vcc_lo
	s_delay_alu instid0(VALU_DEP_2) | instskip(NEXT) | instid1(VALU_DEP_2)
	v_cndmask_b32_e64 v61, 0, v85, s10
	v_cndmask_b32_e64 v62, 0, v86, s10
	s_delay_alu instid0(VALU_DEP_2) | instskip(NEXT) | instid1(VALU_DEP_2)
	v_add_co_u32 v67, vcc_lo, v61, v51
	v_add_co_ci_u32_e32 v68, vcc_lo, v62, v52, vcc_lo
	s_delay_alu instid0(VALU_DEP_2) | instskip(NEXT) | instid1(VALU_DEP_2)
	;; [unrolled: 6-line block ×7, first 2 shown]
	v_cndmask_b32_e64 v61, 0, v69, s4
	v_cndmask_b32_e64 v62, 0, v70, s4
	s_delay_alu instid0(VALU_DEP_2) | instskip(NEXT) | instid1(VALU_DEP_2)
	v_add_co_u32 v73, vcc_lo, v61, v39
	v_add_co_ci_u32_e32 v74, vcc_lo, v62, v40, vcc_lo
	ds_load_b32 v61, v65 offset:4096
	v_cndmask_b32_e64 v62, 0, v73, s3
	v_cndmask_b32_e64 v63, 0, v74, s3
	s_delay_alu instid0(VALU_DEP_2) | instskip(NEXT) | instid1(VALU_DEP_2)
	v_add_co_u32 v89, vcc_lo, v62, v33
	v_add_co_ci_u32_e32 v90, vcc_lo, v63, v34, vcc_lo
	ds_load_b64 v[62:63], v65 offset:4120
	v_cndmask_b32_e64 v91, 0, v89, s2
	ds_load_b32 v65, v65 offset:4112
	v_cndmask_b32_e64 v92, 0, v90, s2
	v_add_co_u32 v93, vcc_lo, v91, v35
	s_delay_alu instid0(VALU_DEP_2) | instskip(SKIP_2) | instid1(VALU_DEP_3)
	v_add_co_ci_u32_e32 v94, vcc_lo, v92, v36, vcc_lo
	s_waitcnt lgkmcnt(2)
	v_cmp_eq_u32_e32 vcc_lo, 0, v61
	v_cndmask_b32_e64 v91, 0, v93, s1
	s_delay_alu instid0(VALU_DEP_3) | instskip(NEXT) | instid1(VALU_DEP_2)
	v_cndmask_b32_e64 v92, 0, v94, s1
	v_add_co_u32 v91, s1, v91, v29
	s_delay_alu instid0(VALU_DEP_1) | instskip(SKIP_2) | instid1(VALU_DEP_3)
	v_add_co_ci_u32_e64 v92, s1, v92, v30, s1
	s_waitcnt lgkmcnt(1)
	v_dual_cndmask_b32 v119, 0, v63 :: v_dual_cndmask_b32 v62, 0, v62
	v_cndmask_b32_e64 v97, 0, v91, s0
	s_delay_alu instid0(VALU_DEP_3) | instskip(NEXT) | instid1(VALU_DEP_3)
	v_cndmask_b32_e64 v98, 0, v92, s0
	v_add_co_u32 v63, vcc_lo, v62, v117
	s_delay_alu instid0(VALU_DEP_4)
	v_add_co_ci_u32_e32 v64, vcc_lo, v119, v118, vcc_lo
	s_branch .LBB476_176
.LBB476_148:
                                        ; implicit-def: $vgpr61
                                        ; implicit-def: $vgpr63_vgpr64
                                        ; implicit-def: $vgpr65
                                        ; implicit-def: $vgpr77_vgpr78
                                        ; implicit-def: $vgpr75_vgpr76
                                        ; implicit-def: $vgpr81_vgpr82
                                        ; implicit-def: $vgpr85_vgpr86
                                        ; implicit-def: $vgpr67_vgpr68
                                        ; implicit-def: $vgpr71_vgpr72
                                        ; implicit-def: $vgpr79_vgpr80
                                        ; implicit-def: $vgpr83_vgpr84
                                        ; implicit-def: $vgpr87_vgpr88
                                        ; implicit-def: $vgpr69_vgpr70
                                        ; implicit-def: $vgpr73_vgpr74
                                        ; implicit-def: $vgpr89_vgpr90
                                        ; implicit-def: $vgpr93_vgpr94
                                        ; implicit-def: $vgpr91_vgpr92
                                        ; implicit-def: $vgpr97_vgpr98
                                        ; implicit-def: $vgpr114
	s_cbranch_execz .LBB476_176
; %bb.149:
	s_and_b32 s0, s14, exec_lo
	s_cselect_b32 s1, 0, s19
	s_cselect_b32 s0, 0, s18
	s_delay_alu instid0(SALU_CYCLE_1)
	s_cmp_eq_u64 s[0:1], 0
	s_cbranch_scc1 .LBB476_151
; %bb.150:
	v_mov_b32_e32 v61, 0
	global_load_b64 v[95:96], v61, s[0:1]
.LBB476_151:
	v_cmp_eq_u32_e64 s11, 0, v112
	v_cmp_eq_u32_e64 s10, 0, v111
	v_cmp_eq_u32_e64 s9, 0, v110
	v_cmp_eq_u32_e64 s8, 0, v109
	v_cmp_eq_u32_e64 s7, 0, v108
	v_cndmask_b32_e64 v62, 0, v53, s11
	v_cndmask_b32_e64 v61, 0, v54, s11
	v_cmp_eq_u32_e64 s6, 0, v107
	v_cmp_eq_u32_e64 s5, 0, v106
	v_cmp_eq_u32_e64 s4, 0, v105
	v_add_co_u32 v62, vcc_lo, v62, v55
	v_add_co_ci_u32_e32 v61, vcc_lo, v61, v56, vcc_lo
	v_cmp_eq_u32_e64 s3, 0, v103
	s_delay_alu instid0(VALU_DEP_3) | instskip(SKIP_1) | instid1(VALU_DEP_4)
	v_cndmask_b32_e64 v62, 0, v62, s10
	v_cmp_eq_u32_e64 s2, 0, v102
	v_cndmask_b32_e64 v61, 0, v61, s10
	v_cmp_eq_u32_e64 s1, 0, v100
	v_add3_u32 v63, v116, v108, v107
	v_add_co_u32 v62, vcc_lo, v62, v49
	s_delay_alu instid0(VALU_DEP_4) | instskip(NEXT) | instid1(VALU_DEP_3)
	v_add_co_ci_u32_e32 v61, vcc_lo, v61, v50, vcc_lo
	v_add3_u32 v63, v63, v106, v105
	s_delay_alu instid0(VALU_DEP_3) | instskip(SKIP_1) | instid1(VALU_DEP_3)
	v_cndmask_b32_e64 v62, 0, v62, s9
	s_mov_b32 s13, exec_lo
	v_cndmask_b32_e64 v61, 0, v61, s9
	s_delay_alu instid0(VALU_DEP_3) | instskip(NEXT) | instid1(VALU_DEP_3)
	v_add3_u32 v63, v63, v103, v102
	v_add_co_u32 v62, vcc_lo, v62, v51
	s_delay_alu instid0(VALU_DEP_3) | instskip(NEXT) | instid1(VALU_DEP_3)
	v_add_co_ci_u32_e32 v61, vcc_lo, v61, v52, vcc_lo
	v_add3_u32 v63, v63, v101, v100
	s_delay_alu instid0(VALU_DEP_3) | instskip(NEXT) | instid1(VALU_DEP_3)
	v_cndmask_b32_e64 v62, 0, v62, s8
	v_cndmask_b32_e64 v61, 0, v61, s8
	s_delay_alu instid0(VALU_DEP_3) | instskip(NEXT) | instid1(VALU_DEP_3)
	v_add3_u32 v63, v63, v99, v104
	v_add_co_u32 v62, vcc_lo, v62, v45
	s_delay_alu instid0(VALU_DEP_3) | instskip(NEXT) | instid1(VALU_DEP_2)
	v_add_co_ci_u32_e32 v61, vcc_lo, v61, v46, vcc_lo
	v_cndmask_b32_e64 v62, 0, v62, s7
	s_delay_alu instid0(VALU_DEP_2) | instskip(NEXT) | instid1(VALU_DEP_2)
	v_cndmask_b32_e64 v61, 0, v61, s7
	v_add_co_u32 v62, vcc_lo, v62, v47
	s_delay_alu instid0(VALU_DEP_2) | instskip(NEXT) | instid1(VALU_DEP_2)
	v_add_co_ci_u32_e32 v61, vcc_lo, v61, v48, vcc_lo
	v_cndmask_b32_e64 v62, 0, v62, s6
	s_delay_alu instid0(VALU_DEP_2) | instskip(NEXT) | instid1(VALU_DEP_2)
	v_cndmask_b32_e64 v61, 0, v61, s6
	v_add_co_u32 v62, vcc_lo, v62, v41
	s_delay_alu instid0(VALU_DEP_2) | instskip(NEXT) | instid1(VALU_DEP_2)
	;; [unrolled: 6-line block ×5, first 2 shown]
	v_add_co_ci_u32_e32 v61, vcc_lo, v61, v40, vcc_lo
	v_cndmask_b32_e64 v62, 0, v62, s2
	s_delay_alu instid0(VALU_DEP_2) | instskip(NEXT) | instid1(VALU_DEP_2)
	v_cndmask_b32_e64 v61, 0, v61, s2
	v_add_co_u32 v62, vcc_lo, v62, v33
	s_delay_alu instid0(VALU_DEP_2) | instskip(SKIP_1) | instid1(VALU_DEP_2)
	v_add_co_ci_u32_e32 v61, vcc_lo, v61, v34, vcc_lo
	v_cmp_eq_u32_e32 vcc_lo, 0, v101
	v_dual_cndmask_b32 v61, 0, v61 :: v_dual_cndmask_b32 v62, 0, v62
	s_delay_alu instid0(VALU_DEP_1) | instskip(NEXT) | instid1(VALU_DEP_1)
	v_add_co_u32 v62, s0, v62, v35
	v_add_co_ci_u32_e64 v61, s0, v61, v36, s0
	s_delay_alu instid0(VALU_DEP_2) | instskip(NEXT) | instid1(VALU_DEP_2)
	v_cndmask_b32_e64 v62, 0, v62, s1
	v_cndmask_b32_e64 v61, 0, v61, s1
	s_delay_alu instid0(VALU_DEP_2) | instskip(NEXT) | instid1(VALU_DEP_1)
	v_add_co_u32 v62, s0, v62, v29
	v_add_co_ci_u32_e64 v61, s0, v61, v30, s0
	v_cmp_eq_u32_e64 s0, 0, v99
	s_delay_alu instid0(VALU_DEP_1) | instskip(NEXT) | instid1(VALU_DEP_3)
	v_cndmask_b32_e64 v62, 0, v62, s0
	v_cndmask_b32_e64 v61, 0, v61, s0
	s_delay_alu instid0(VALU_DEP_2) | instskip(NEXT) | instid1(VALU_DEP_1)
	v_add_co_u32 v62, s12, v62, v31
	v_add_co_ci_u32_e64 v61, s12, v61, v32, s12
	v_cmp_eq_u32_e64 s12, 0, v104
	s_delay_alu instid0(VALU_DEP_1) | instskip(NEXT) | instid1(VALU_DEP_3)
	v_cndmask_b32_e64 v62, 0, v62, s12
	v_cndmask_b32_e64 v61, 0, v61, s12
	s_delay_alu instid0(VALU_DEP_2) | instskip(NEXT) | instid1(VALU_DEP_1)
	v_add_co_u32 v59, s12, v62, v59
	v_add_co_ci_u32_e64 v60, s12, v61, v60, s12
	v_and_b32_e32 v61, 15, v115
	v_mov_b32_dpp v62, v63 row_shr:1 row_mask:0xf bank_mask:0xf
	s_delay_alu instid0(VALU_DEP_4)
	v_mov_b32_dpp v64, v59 row_shr:1 row_mask:0xf bank_mask:0xf
	s_waitcnt lgkmcnt(0)
	v_mov_b32_dpp v65, v60 row_shr:1 row_mask:0xf bank_mask:0xf
	v_cmpx_ne_u32_e32 0, v61
; %bb.152:
	v_cmp_eq_u32_e64 s12, 0, v63
	v_add_nc_u32_e32 v63, v62, v63
	s_delay_alu instid0(VALU_DEP_2) | instskip(SKIP_1) | instid1(VALU_DEP_2)
	v_cndmask_b32_e64 v64, 0, v64, s12
	v_cndmask_b32_e64 v65, 0, v65, s12
	v_add_co_u32 v59, s12, v64, v59
	s_delay_alu instid0(VALU_DEP_1)
	v_add_co_ci_u32_e64 v60, s12, v65, v60, s12
; %bb.153:
	s_or_b32 exec_lo, exec_lo, s13
	v_mov_b32_dpp v62, v63 row_shr:2 row_mask:0xf bank_mask:0xf
	s_delay_alu instid0(VALU_DEP_3) | instskip(NEXT) | instid1(VALU_DEP_3)
	v_mov_b32_dpp v64, v59 row_shr:2 row_mask:0xf bank_mask:0xf
	v_mov_b32_dpp v65, v60 row_shr:2 row_mask:0xf bank_mask:0xf
	s_mov_b32 s13, exec_lo
	v_cmpx_lt_u32_e32 1, v61
; %bb.154:
	v_cmp_eq_u32_e64 s12, 0, v63
	v_add_nc_u32_e32 v63, v62, v63
	s_delay_alu instid0(VALU_DEP_2) | instskip(SKIP_1) | instid1(VALU_DEP_2)
	v_cndmask_b32_e64 v64, 0, v64, s12
	v_cndmask_b32_e64 v65, 0, v65, s12
	v_add_co_u32 v59, s12, v64, v59
	s_delay_alu instid0(VALU_DEP_1)
	v_add_co_ci_u32_e64 v60, s12, v65, v60, s12
; %bb.155:
	s_or_b32 exec_lo, exec_lo, s13
	v_mov_b32_dpp v62, v63 row_shr:4 row_mask:0xf bank_mask:0xf
	s_delay_alu instid0(VALU_DEP_3) | instskip(NEXT) | instid1(VALU_DEP_3)
	v_mov_b32_dpp v64, v59 row_shr:4 row_mask:0xf bank_mask:0xf
	v_mov_b32_dpp v65, v60 row_shr:4 row_mask:0xf bank_mask:0xf
	s_mov_b32 s13, exec_lo
	v_cmpx_lt_u32_e32 3, v61
	;; [unrolled: 17-line block ×3, first 2 shown]
; %bb.158:
	v_cmp_eq_u32_e64 s12, 0, v63
	v_add_nc_u32_e32 v63, v62, v63
	s_delay_alu instid0(VALU_DEP_2) | instskip(SKIP_1) | instid1(VALU_DEP_2)
	v_cndmask_b32_e64 v64, 0, v64, s12
	v_cndmask_b32_e64 v61, 0, v65, s12
	v_add_co_u32 v59, s12, v64, v59
	s_delay_alu instid0(VALU_DEP_1)
	v_add_co_ci_u32_e64 v60, s12, v61, v60, s12
; %bb.159:
	s_or_b32 exec_lo, exec_lo, s13
	ds_swizzle_b32 v61, v63 offset:swizzle(BROADCAST,32,15)
	ds_swizzle_b32 v62, v59 offset:swizzle(BROADCAST,32,15)
	;; [unrolled: 1-line block ×3, first 2 shown]
	v_and_b32_e32 v65, 16, v115
	s_mov_b32 s13, exec_lo
	s_delay_alu instid0(VALU_DEP_1)
	v_cmpx_ne_u32_e32 0, v65
	s_cbranch_execz .LBB476_161
; %bb.160:
	v_cmp_eq_u32_e64 s12, 0, v63
	s_waitcnt lgkmcnt(2)
	v_add_nc_u32_e32 v63, v61, v63
	s_waitcnt lgkmcnt(1)
	s_delay_alu instid0(VALU_DEP_2) | instskip(SKIP_2) | instid1(VALU_DEP_2)
	v_cndmask_b32_e64 v62, 0, v62, s12
	s_waitcnt lgkmcnt(0)
	v_cndmask_b32_e64 v64, 0, v64, s12
	v_add_co_u32 v59, s12, v62, v59
	s_delay_alu instid0(VALU_DEP_1)
	v_add_co_ci_u32_e64 v60, s12, v64, v60, s12
.LBB476_161:
	s_or_b32 exec_lo, exec_lo, s13
	s_waitcnt lgkmcnt(1)
	v_lshrrev_b32_e32 v62, 5, v0
	v_or_b32_e32 v61, 31, v0
	s_mov_b32 s13, exec_lo
	s_delay_alu instid0(VALU_DEP_2) | instskip(NEXT) | instid1(VALU_DEP_2)
	v_lshlrev_b32_e32 v65, 4, v62
	v_cmpx_eq_u32_e64 v61, v0
	s_cbranch_execz .LBB476_163
; %bb.162:
	ds_store_b32 v65, v63 offset:4128
	ds_store_b64 v65, v[59:60] offset:4136
.LBB476_163:
	s_or_b32 exec_lo, exec_lo, s13
	s_delay_alu instid0(SALU_CYCLE_1)
	s_mov_b32 s13, exec_lo
	s_waitcnt vmcnt(0) lgkmcnt(0)
	s_barrier
	buffer_gl0_inv
	v_cmpx_gt_u32_e32 8, v0
	s_cbranch_execz .LBB476_171
; %bb.164:
	v_lshlrev_b32_e32 v64, 4, v0
	v_and_b32_e32 v67, 7, v115
	s_mov_b32 s15, exec_lo
	ds_load_b32 v66, v64 offset:4128
	ds_load_b64 v[61:62], v64 offset:4136
	s_waitcnt lgkmcnt(1)
	v_mov_b32_dpp v68, v66 row_shr:1 row_mask:0xf bank_mask:0xf
	s_waitcnt lgkmcnt(0)
	v_mov_b32_dpp v69, v61 row_shr:1 row_mask:0xf bank_mask:0xf
	v_mov_b32_dpp v70, v62 row_shr:1 row_mask:0xf bank_mask:0xf
	v_cmpx_ne_u32_e32 0, v67
; %bb.165:
	v_cmp_eq_u32_e64 s12, 0, v66
	v_add_nc_u32_e32 v66, v68, v66
	s_delay_alu instid0(VALU_DEP_2) | instskip(SKIP_1) | instid1(VALU_DEP_2)
	v_cndmask_b32_e64 v69, 0, v69, s12
	v_cndmask_b32_e64 v70, 0, v70, s12
	v_add_co_u32 v61, s12, v69, v61
	s_delay_alu instid0(VALU_DEP_1)
	v_add_co_ci_u32_e64 v62, s12, v70, v62, s12
; %bb.166:
	s_or_b32 exec_lo, exec_lo, s15
	v_mov_b32_dpp v68, v66 row_shr:2 row_mask:0xf bank_mask:0xf
	s_delay_alu instid0(VALU_DEP_3) | instskip(NEXT) | instid1(VALU_DEP_3)
	v_mov_b32_dpp v69, v61 row_shr:2 row_mask:0xf bank_mask:0xf
	v_mov_b32_dpp v70, v62 row_shr:2 row_mask:0xf bank_mask:0xf
	s_mov_b32 s15, exec_lo
	v_cmpx_lt_u32_e32 1, v67
; %bb.167:
	v_cmp_eq_u32_e64 s12, 0, v66
	v_add_nc_u32_e32 v66, v68, v66
	s_delay_alu instid0(VALU_DEP_2) | instskip(SKIP_1) | instid1(VALU_DEP_2)
	v_cndmask_b32_e64 v69, 0, v69, s12
	v_cndmask_b32_e64 v70, 0, v70, s12
	v_add_co_u32 v61, s12, v69, v61
	s_delay_alu instid0(VALU_DEP_1)
	v_add_co_ci_u32_e64 v62, s12, v70, v62, s12
; %bb.168:
	s_or_b32 exec_lo, exec_lo, s15
	v_mov_b32_dpp v68, v66 row_shr:4 row_mask:0xf bank_mask:0xf
	s_delay_alu instid0(VALU_DEP_3) | instskip(NEXT) | instid1(VALU_DEP_3)
	v_mov_b32_dpp v69, v61 row_shr:4 row_mask:0xf bank_mask:0xf
	v_mov_b32_dpp v70, v62 row_shr:4 row_mask:0xf bank_mask:0xf
	s_mov_b32 s15, exec_lo
	v_cmpx_lt_u32_e32 3, v67
; %bb.169:
	v_cmp_eq_u32_e64 s12, 0, v66
	v_add_nc_u32_e32 v66, v68, v66
	s_delay_alu instid0(VALU_DEP_2) | instskip(SKIP_1) | instid1(VALU_DEP_2)
	v_cndmask_b32_e64 v69, 0, v69, s12
	v_cndmask_b32_e64 v67, 0, v70, s12
	v_add_co_u32 v61, s12, v69, v61
	s_delay_alu instid0(VALU_DEP_1)
	v_add_co_ci_u32_e64 v62, s12, v67, v62, s12
; %bb.170:
	s_or_b32 exec_lo, exec_lo, s15
	ds_store_b32 v64, v66 offset:4128
	ds_store_b64 v64, v[61:62] offset:4136
.LBB476_171:
	s_or_b32 exec_lo, exec_lo, s13
	v_dual_mov_b32 v64, 0 :: v_dual_mov_b32 v61, v95
	v_mov_b32_e32 v66, 0
	v_mov_b32_e32 v62, v96
	s_mov_b32 s13, exec_lo
	s_waitcnt lgkmcnt(0)
	s_barrier
	buffer_gl0_inv
	v_cmpx_lt_u32_e32 31, v0
	s_cbranch_execz .LBB476_173
; %bb.172:
	ds_load_b32 v66, v65 offset:4112
	ds_load_b64 v[61:62], v65 offset:4120
	s_waitcnt lgkmcnt(1)
	v_cmp_eq_u32_e64 s12, 0, v66
	s_delay_alu instid0(VALU_DEP_1) | instskip(SKIP_2) | instid1(VALU_DEP_2)
	v_cndmask_b32_e64 v67, 0, v95, s12
	v_cndmask_b32_e64 v65, 0, v96, s12
	s_waitcnt lgkmcnt(0)
	v_add_co_u32 v61, s12, v67, v61
	s_delay_alu instid0(VALU_DEP_1)
	v_add_co_ci_u32_e64 v62, s12, v65, v62, s12
.LBB476_173:
	s_or_b32 exec_lo, exec_lo, s13
	v_add_nc_u32_e32 v65, -1, v115
	v_cmp_eq_u32_e64 s12, 0, v63
	v_add_nc_u32_e32 v63, v66, v63
	s_delay_alu instid0(VALU_DEP_3) | instskip(NEXT) | instid1(VALU_DEP_3)
	v_cmp_gt_i32_e64 s13, 0, v65
	v_cndmask_b32_e64 v68, 0, v61, s12
	v_cndmask_b32_e64 v67, 0, v62, s12
	s_delay_alu instid0(VALU_DEP_3) | instskip(NEXT) | instid1(VALU_DEP_3)
	v_cndmask_b32_e64 v65, v65, v115, s13
	v_add_co_u32 v59, s12, v68, v59
	s_delay_alu instid0(VALU_DEP_1) | instskip(NEXT) | instid1(VALU_DEP_3)
	v_add_co_ci_u32_e64 v60, s12, v67, v60, s12
	v_lshlrev_b32_e32 v65, 2, v65
	v_cmp_eq_u32_e64 s12, 0, v115
	v_cmp_eq_u32_e64 s13, 0, v113
	ds_bpermute_b32 v63, v65, v63
	ds_bpermute_b32 v60, v65, v60
	;; [unrolled: 1-line block ×3, first 2 shown]
	s_waitcnt lgkmcnt(2)
	v_cndmask_b32_e64 v114, v63, v66, s12
	s_waitcnt lgkmcnt(1)
	v_cndmask_b32_e64 v78, v60, v62, s12
	;; [unrolled: 2-line block ×3, first 2 shown]
	v_cmp_eq_u32_e64 s12, 0, v0
	ds_load_b32 v61, v64 offset:4240
	v_cndmask_b32_e64 v59, v77, v95, s12
	v_cndmask_b32_e64 v60, v78, v96, s12
	s_delay_alu instid0(VALU_DEP_2) | instskip(NEXT) | instid1(VALU_DEP_2)
	v_cndmask_b32_e64 v59, 0, v59, s13
	v_cndmask_b32_e64 v60, 0, v60, s13
	s_delay_alu instid0(VALU_DEP_2) | instskip(NEXT) | instid1(VALU_DEP_1)
	v_add_co_u32 v75, s13, v59, v53
	v_add_co_ci_u32_e64 v76, s13, v60, v54, s13
	s_delay_alu instid0(VALU_DEP_2) | instskip(NEXT) | instid1(VALU_DEP_2)
	v_cndmask_b32_e64 v53, 0, v75, s11
	v_cndmask_b32_e64 v54, 0, v76, s11
	s_delay_alu instid0(VALU_DEP_2) | instskip(NEXT) | instid1(VALU_DEP_1)
	v_add_co_u32 v81, s11, v53, v55
	v_add_co_ci_u32_e64 v82, s11, v54, v56, s11
	;; [unrolled: 6-line block ×11, first 2 shown]
	ds_load_b64 v[33:34], v64 offset:4248
	v_dual_cndmask_b32 v37, 0, v89 :: v_dual_cndmask_b32 v38, 0, v90
	s_delay_alu instid0(VALU_DEP_1) | instskip(NEXT) | instid1(VALU_DEP_2)
	v_add_co_u32 v93, vcc_lo, v37, v35
	v_add_co_ci_u32_e32 v94, vcc_lo, v38, v36, vcc_lo
	s_waitcnt lgkmcnt(1)
	v_cmp_eq_u32_e32 vcc_lo, 0, v61
	s_delay_alu instid0(VALU_DEP_3) | instskip(NEXT) | instid1(VALU_DEP_3)
	v_cndmask_b32_e64 v35, 0, v93, s1
	v_cndmask_b32_e64 v36, 0, v94, s1
	s_delay_alu instid0(VALU_DEP_2) | instskip(NEXT) | instid1(VALU_DEP_1)
	v_add_co_u32 v91, s1, v35, v29
	v_add_co_ci_u32_e64 v92, s1, v36, v30, s1
	v_dual_cndmask_b32 v30, 0, v95 :: v_dual_cndmask_b32 v29, 0, v96
	s_delay_alu instid0(VALU_DEP_3) | instskip(NEXT) | instid1(VALU_DEP_3)
	v_cndmask_b32_e64 v97, 0, v91, s0
	v_cndmask_b32_e64 v98, 0, v92, s0
	s_waitcnt lgkmcnt(0)
	s_delay_alu instid0(VALU_DEP_3)
	v_add_co_u32 v63, vcc_lo, v30, v33
	v_add_co_ci_u32_e32 v64, vcc_lo, v29, v34, vcc_lo
	s_and_saveexec_b32 s0, s12
	s_cbranch_execz .LBB476_175
; %bb.174:
	v_dual_mov_b32 v114, 0 :: v_dual_mov_b32 v29, 2
	v_dual_mov_b32 v77, v95 :: v_dual_mov_b32 v78, v96
	s_clause 0x1
	global_store_b32 v114, v61, s[38:39] offset:512
	global_store_b64 v114, v[63:64], s[38:39] offset:520
	s_waitcnt_vscnt null, 0x0
	buffer_gl1_inv
	buffer_gl0_inv
	global_store_b8 v114, v29, s[40:41] offset:32
.LBB476_175:
	s_or_b32 exec_lo, exec_lo, s0
	v_mov_b32_e32 v65, 0
.LBB476_176:
	v_mov_b32_e32 v29, 0
	s_and_b32 s0, s14, exec_lo
	v_mov_b32_e32 v30, 0
	s_cselect_b32 s1, 0, s51
	s_cselect_b32 s0, 0, s50
	s_waitcnt lgkmcnt(0)
	s_waitcnt_vscnt null, 0x0
	s_cmp_eq_u64 s[0:1], 0
	s_barrier
	buffer_gl0_inv
	s_cbranch_scc1 .LBB476_178
; %bb.177:
	v_mov_b32_e32 v29, 0
	global_load_b64 v[29:30], v29, s[0:1]
.LBB476_178:
	v_cmp_eq_u32_e32 vcc_lo, 0, v113
	v_add_nc_u32_e32 v48, v114, v113
	v_cmp_ne_u32_e64 s12, 0, v113
	v_cmp_ne_u32_e64 s11, 0, v112
	;; [unrolled: 1-line block ×3, first 2 shown]
	v_cndmask_b32_e64 v33, 1, 2, vcc_lo
	v_cmp_eq_u32_e32 vcc_lo, 0, v112
	v_add_nc_u32_e32 v50, v48, v112
	v_cmp_ne_u32_e64 s8, 0, v110
	v_cmp_ne_u32_e64 s14, 0, v109
	;; [unrolled: 1-line block ×3, first 2 shown]
	v_cndmask_b32_e64 v34, 1, 2, vcc_lo
	v_cmp_eq_u32_e32 vcc_lo, 0, v111
	v_add_nc_u32_e32 v49, v50, v111
	v_cmp_ne_u32_e64 s10, 0, v107
	s_delay_alu instid0(VALU_DEP_4)
	v_dual_mov_b32 v66, 0 :: v_dual_and_b32 v33, v34, v33
	v_cndmask_b32_e64 v35, 1, 2, vcc_lo
	v_cmp_eq_u32_e32 vcc_lo, 0, v110
	v_add_nc_u32_e32 v47, v49, v110
	v_cmp_ne_u32_e64 s7, 0, v106
	v_cmp_ne_u32_e64 s6, 0, v105
	v_and_b32_e32 v35, v33, v35
	v_cndmask_b32_e64 v36, 1, 2, vcc_lo
	v_cmp_eq_u32_e32 vcc_lo, 0, v109
	v_add_nc_u32_e32 v46, v47, v109
	s_waitcnt vmcnt(0)
	v_lshlrev_b64 v[33:34], 3, v[29:30]
	v_cmp_ne_u32_e64 s5, 0, v103
	v_and_b32_e32 v35, v35, v36
	v_cndmask_b32_e64 v37, 1, 2, vcc_lo
	v_cmp_eq_u32_e32 vcc_lo, 0, v108
	v_add_nc_u32_e32 v45, v46, v108
	v_cmp_ne_u32_e64 s4, 0, v102
	v_cmp_ne_u32_e64 s3, 0, v101
	v_and_b32_e32 v35, v35, v37
	v_cndmask_b32_e64 v36, 1, 2, vcc_lo
	v_cmp_eq_u32_e32 vcc_lo, 0, v107
	v_add_nc_u32_e32 v44, v45, v107
	v_cmp_ne_u32_e64 s2, 0, v100
	;; [unrolled: 6-line block ×3, first 2 shown]
	s_mov_b32 s16, -1
	v_and_b32_e32 v35, v35, v37
	v_cndmask_b32_e64 v36, 1, 2, vcc_lo
	v_cmp_eq_u32_e32 vcc_lo, 0, v105
	v_add_nc_u32_e32 v42, v43, v105
	s_delay_alu instid0(VALU_DEP_3) | instskip(SKIP_2) | instid1(VALU_DEP_4)
	v_and_b32_e32 v35, v35, v36
	v_cndmask_b32_e64 v37, 1, 2, vcc_lo
	v_cmp_eq_u32_e32 vcc_lo, 0, v103
	v_add_nc_u32_e32 v41, v42, v103
	s_delay_alu instid0(VALU_DEP_3) | instskip(SKIP_2) | instid1(VALU_DEP_4)
	v_and_b32_e32 v35, v35, v37
	v_cndmask_b32_e64 v36, 1, 2, vcc_lo
	v_cmp_eq_u32_e32 vcc_lo, 0, v102
	v_add_nc_u32_e32 v40, v41, v102
	s_delay_alu instid0(VALU_DEP_3) | instskip(SKIP_3) | instid1(VALU_DEP_3)
	v_and_b32_e32 v39, v35, v36
	v_cndmask_b32_e64 v37, 1, 2, vcc_lo
	v_cmp_eq_u32_e32 vcc_lo, 0, v101
	v_lshlrev_b64 v[35:36], 3, v[65:66]
	v_and_b32_e32 v37, v39, v37
	v_cndmask_b32_e64 v38, 1, 2, vcc_lo
	v_cmp_eq_u32_e32 vcc_lo, 0, v100
	v_add_nc_u32_e32 v39, v40, v101
	s_delay_alu instid0(VALU_DEP_3) | instskip(SKIP_3) | instid1(VALU_DEP_3)
	v_and_b32_e32 v54, v37, v38
	v_cndmask_b32_e64 v53, 1, 2, vcc_lo
	v_add_co_u32 v51, vcc_lo, s22, v33
	v_add_co_ci_u32_e32 v52, vcc_lo, s23, v34, vcc_lo
	v_and_b32_e32 v53, v54, v53
	s_delay_alu instid0(VALU_DEP_3) | instskip(NEXT) | instid1(VALU_DEP_3)
	v_add_co_u32 v51, vcc_lo, v51, v35
	v_add_co_ci_u32_e32 v52, vcc_lo, v52, v36, vcc_lo
	v_cmp_eq_u32_e32 vcc_lo, 0, v99
	v_add_nc_u32_e32 v38, v39, v100
	v_cndmask_b32_e64 v54, 1, 2, vcc_lo
	v_cmp_eq_u32_e32 vcc_lo, 0, v104
	s_delay_alu instid0(VALU_DEP_3) | instskip(NEXT) | instid1(VALU_DEP_3)
	v_add_nc_u32_e32 v37, v38, v99
	v_and_b32_e32 v53, v53, v54
	v_cndmask_b32_e64 v54, 1, 2, vcc_lo
	v_cmp_gt_u32_e32 vcc_lo, 0x100, v61
	s_delay_alu instid0(VALU_DEP_2) | instskip(NEXT) | instid1(VALU_DEP_1)
	v_and_b32_e32 v53, v53, v54
	v_cmp_gt_i16_e64 s15, 2, v53
	s_cbranch_vccz .LBB476_185
; %bb.179:
	s_delay_alu instid0(VALU_DEP_1)
	s_and_saveexec_b32 s16, s15
	s_cbranch_execz .LBB476_184
; %bb.180:
	s_mov_b32 s17, 0
	s_mov_b32 s15, exec_lo
	v_cmpx_ne_u16_e32 1, v53
	s_xor_b32 s15, exec_lo, s15
	s_cbranch_execnz .LBB476_217
; %bb.181:
	s_and_not1_saveexec_b32 s15, s15
	s_cbranch_execnz .LBB476_233
.LBB476_182:
	s_or_b32 exec_lo, exec_lo, s15
	s_delay_alu instid0(SALU_CYCLE_1)
	s_and_b32 exec_lo, exec_lo, s17
	s_cbranch_execz .LBB476_184
.LBB476_183:
	v_sub_nc_u32_e32 v54, v37, v65
	v_mov_b32_e32 v55, 0
	s_delay_alu instid0(VALU_DEP_1) | instskip(NEXT) | instid1(VALU_DEP_1)
	v_lshlrev_b64 v[54:55], 3, v[54:55]
	v_add_co_u32 v54, vcc_lo, v51, v54
	s_delay_alu instid0(VALU_DEP_2)
	v_add_co_ci_u32_e32 v55, vcc_lo, v52, v55, vcc_lo
	global_store_b64 v[54:55], v[57:58], off
.LBB476_184:
	s_or_b32 exec_lo, exec_lo, s16
	s_mov_b32 s16, 0
.LBB476_185:
	s_delay_alu instid0(SALU_CYCLE_1)
	s_and_b32 vcc_lo, exec_lo, s16
	s_cbranch_vccz .LBB476_195
; %bb.186:
	s_mov_b32 s15, exec_lo
	v_cmpx_gt_i16_e32 2, v53
	s_cbranch_execz .LBB476_191
; %bb.187:
	s_mov_b32 s17, 0
	s_mov_b32 s16, exec_lo
	v_cmpx_ne_u16_e32 1, v53
	s_xor_b32 s16, exec_lo, s16
	s_cbranch_execnz .LBB476_234
; %bb.188:
	s_and_not1_saveexec_b32 s0, s16
	s_cbranch_execnz .LBB476_250
.LBB476_189:
	s_or_b32 exec_lo, exec_lo, s0
	s_delay_alu instid0(SALU_CYCLE_1)
	s_and_b32 exec_lo, exec_lo, s17
	s_cbranch_execz .LBB476_191
.LBB476_190:
	v_sub_nc_u32_e32 v1, v37, v65
	s_delay_alu instid0(VALU_DEP_1)
	v_lshlrev_b32_e32 v1, 3, v1
	ds_store_b64 v1, v[57:58]
.LBB476_191:
	s_or_b32 exec_lo, exec_lo, s15
	s_delay_alu instid0(SALU_CYCLE_1)
	s_mov_b32 s1, exec_lo
	s_waitcnt lgkmcnt(0)
	s_waitcnt_vscnt null, 0x0
	s_barrier
	buffer_gl0_inv
	v_cmpx_lt_u32_e64 v0, v61
	s_cbranch_execz .LBB476_194
; %bb.192:
	v_dual_mov_b32 v2, 0 :: v_dual_lshlrev_b32 v3, 3, v0
	v_mov_b32_e32 v1, v0
	s_mov_b32 s2, 0
	.p2align	6
.LBB476_193:                            ; =>This Inner Loop Header: Depth=1
	ds_load_b64 v[4:5], v3
	v_lshlrev_b64 v[6:7], 3, v[1:2]
	v_add_nc_u32_e32 v1, 0x100, v1
	v_add_nc_u32_e32 v3, 0x800, v3
	s_delay_alu instid0(VALU_DEP_2) | instskip(NEXT) | instid1(VALU_DEP_4)
	v_cmp_ge_u32_e32 vcc_lo, v1, v61
	v_add_co_u32 v6, s0, v51, v6
	s_delay_alu instid0(VALU_DEP_1)
	v_add_co_ci_u32_e64 v7, s0, v52, v7, s0
	s_or_b32 s2, vcc_lo, s2
	s_waitcnt lgkmcnt(0)
	global_store_b64 v[6:7], v[4:5], off
	s_and_not1_b32 exec_lo, exec_lo, s2
	s_cbranch_execnz .LBB476_193
.LBB476_194:
	s_or_b32 exec_lo, exec_lo, s1
.LBB476_195:
	v_add_co_u32 v1, vcc_lo, v97, v31
	s_cmpk_lg_i32 s29, 0xf00
	v_add_co_ci_u32_e32 v2, vcc_lo, v98, v32, vcc_lo
	s_cselect_b32 s0, -1, 0
	v_cmp_eq_u32_e32 vcc_lo, 0, v0
	s_and_b32 s0, s28, s0
	v_cndmask_b32_e64 v8, 0, 1, s30
	v_mad_i32_i24 v5, v0, -15, s29
	v_cndmask_b32_e64 v4, 0, 1, s0
	s_mul_hi_u32 s0, s29, 0x88888889
	s_and_b32 s1, vcc_lo, s30
	s_lshr_b32 s0, s0, 3
	v_sub_nc_u32_e32 v3, v61, v8
	v_cndmask_b32_e64 v6, v113, 0, s1
	v_cmp_eq_u32_e32 vcc_lo, s0, v0
	v_cmp_ne_u32_e64 s0, 0, v5
	s_mov_b32 s16, -1
	s_waitcnt_vscnt null, 0x0
	s_barrier
	s_and_b32 vcc_lo, s28, vcc_lo
	v_add_nc_u32_e32 v3, v3, v4
	v_cndmask_b32_e64 v4, 1, v6, s0
	v_cmp_ne_u32_e64 s0, 1, v5
	buffer_gl0_inv
	v_cndmask_b32_e64 v7, 1, v112, s0
	v_cmp_ne_u32_e64 s0, 14, v5
	s_delay_alu instid0(VALU_DEP_1) | instskip(SKIP_1) | instid1(VALU_DEP_2)
	v_cndmask_b32_e64 v9, 1, v104, s0
	v_cmp_ne_u32_e64 s0, 2, v5
	v_cndmask_b32_e32 v12, v104, v9, vcc_lo
	s_delay_alu instid0(VALU_DEP_2) | instskip(SKIP_1) | instid1(VALU_DEP_2)
	v_cndmask_b32_e64 v10, 1, v111, s0
	v_cmp_ne_u32_e64 s0, 3, v5
	v_dual_cndmask_b32 v9, v6, v4 :: v_dual_cndmask_b32 v10, v111, v10
	s_delay_alu instid0(VALU_DEP_2) | instskip(SKIP_1) | instid1(VALU_DEP_3)
	v_cndmask_b32_e64 v11, 1, v110, s0
	v_cmp_ne_u32_e64 s0, 4, v5
	v_cmp_ne_u32_e64 s14, 0, v9
	s_delay_alu instid0(VALU_DEP_4) | instskip(NEXT) | instid1(VALU_DEP_3)
	v_cmp_ne_u32_e64 s12, 0, v10
	v_cndmask_b32_e64 v4, 1, v109, s0
	v_cmp_ne_u32_e64 s0, 5, v5
	s_delay_alu instid0(VALU_DEP_2) | instskip(NEXT) | instid1(VALU_DEP_2)
	v_dual_cndmask_b32 v13, v112, v7 :: v_dual_cndmask_b32 v18, v109, v4
	v_cndmask_b32_e64 v6, 1, v108, s0
	v_cmp_eq_u32_e64 s0, 0, v9
	s_delay_alu instid0(VALU_DEP_3) | instskip(NEXT) | instid1(VALU_DEP_4)
	v_cmp_ne_u32_e64 s13, 0, v13
	v_cmp_ne_u32_e64 s10, 0, v18
	s_delay_alu instid0(VALU_DEP_4) | instskip(NEXT) | instid1(VALU_DEP_4)
	v_cndmask_b32_e32 v19, v108, v6, vcc_lo
	v_cndmask_b32_e64 v7, 1, 2, s0
	v_cmp_eq_u32_e64 s0, 0, v13
	s_delay_alu instid0(VALU_DEP_1) | instskip(SKIP_1) | instid1(VALU_DEP_2)
	v_cndmask_b32_e64 v14, 1, 2, s0
	v_cmp_ne_u32_e64 s0, 6, v5
	v_and_b32_e32 v7, v14, v7
	s_delay_alu instid0(VALU_DEP_2) | instskip(SKIP_1) | instid1(VALU_DEP_2)
	v_cndmask_b32_e64 v15, 1, v107, s0
	v_cmp_eq_u32_e64 s0, 0, v10
	v_cndmask_b32_e32 v15, v107, v15, vcc_lo
	s_delay_alu instid0(VALU_DEP_2) | instskip(SKIP_1) | instid1(VALU_DEP_1)
	v_cndmask_b32_e64 v14, 1, 2, s0
	v_cmp_ne_u32_e64 s0, 7, v5
	v_cndmask_b32_e64 v16, 1, v106, s0
	v_cmp_ne_u32_e64 s0, 8, v5
	s_delay_alu instid0(VALU_DEP_2) | instskip(SKIP_1) | instid1(VALU_DEP_3)
	v_dual_cndmask_b32 v16, v106, v16 :: v_dual_and_b32 v7, v7, v14
	v_cndmask_b32_e32 v11, v110, v11, vcc_lo
	v_cndmask_b32_e64 v17, 1, v105, s0
	s_delay_alu instid0(VALU_DEP_3) | instskip(NEXT) | instid1(VALU_DEP_3)
	v_cmp_ne_u32_e64 s7, 0, v16
	v_cmp_eq_u32_e64 s0, 0, v11
	s_delay_alu instid0(VALU_DEP_3) | instskip(NEXT) | instid1(VALU_DEP_2)
	v_cndmask_b32_e32 v17, v105, v17, vcc_lo
	v_cndmask_b32_e64 v14, 1, 2, s0
	v_cmp_ne_u32_e64 s0, 9, v5
	s_delay_alu instid0(VALU_DEP_3) | instskip(NEXT) | instid1(VALU_DEP_3)
	v_cmp_ne_u32_e64 s6, 0, v17
	v_and_b32_e32 v6, v7, v14
	s_delay_alu instid0(VALU_DEP_3) | instskip(SKIP_2) | instid1(VALU_DEP_3)
	v_cndmask_b32_e64 v4, 1, v103, s0
	v_cmp_eq_u32_e64 s0, 0, v18
	v_cmp_ne_u32_e64 s11, 0, v11
	v_cndmask_b32_e32 v23, v103, v4, vcc_lo
	s_delay_alu instid0(VALU_DEP_3) | instskip(SKIP_1) | instid1(VALU_DEP_3)
	v_cndmask_b32_e64 v7, 1, 2, s0
	v_cmp_ne_u32_e64 s0, 10, v5
	v_cmp_ne_u32_e64 s5, 0, v23
	s_delay_alu instid0(VALU_DEP_3) | instskip(NEXT) | instid1(VALU_DEP_3)
	v_and_b32_e32 v6, v6, v7
	v_cndmask_b32_e64 v14, 1, v102, s0
	v_cmp_ne_u32_e64 s0, 12, v5
	v_cmp_ne_u32_e64 s9, 0, v19
	s_delay_alu instid0(VALU_DEP_3) | instskip(NEXT) | instid1(VALU_DEP_3)
	v_cndmask_b32_e32 v14, v102, v14, vcc_lo
	v_cndmask_b32_e64 v20, 1, v100, s0
	v_cmp_eq_u32_e64 s0, 0, v19
	s_delay_alu instid0(VALU_DEP_3) | instskip(NEXT) | instid1(VALU_DEP_3)
	v_cmp_ne_u32_e64 s4, 0, v14
	v_cndmask_b32_e32 v20, v100, v20, vcc_lo
	s_delay_alu instid0(VALU_DEP_3) | instskip(SKIP_1) | instid1(VALU_DEP_3)
	v_cndmask_b32_e64 v7, 1, 2, s0
	v_cmp_ne_u32_e64 s0, 13, v5
	v_cmp_ne_u32_e64 s2, 0, v20
	s_delay_alu instid0(VALU_DEP_2) | instskip(SKIP_1) | instid1(VALU_DEP_2)
	v_cndmask_b32_e64 v21, 1, v99, s0
	v_cmp_eq_u32_e64 s0, 0, v15
	v_dual_cndmask_b32 v21, v99, v21 :: v_dual_and_b32 v6, v6, v7
	s_delay_alu instid0(VALU_DEP_2) | instskip(SKIP_1) | instid1(VALU_DEP_3)
	v_cndmask_b32_e64 v7, 1, 2, s0
	v_cmp_ne_u32_e64 s0, 11, v5
	v_cmp_ne_u32_e64 s1, 0, v21
	s_delay_alu instid0(VALU_DEP_3) | instskip(NEXT) | instid1(VALU_DEP_3)
	v_and_b32_e32 v6, v6, v7
	v_cndmask_b32_e64 v5, 1, v101, s0
	v_cmp_eq_u32_e64 s0, 0, v16
	s_delay_alu instid0(VALU_DEP_2) | instskip(NEXT) | instid1(VALU_DEP_2)
	v_cndmask_b32_e32 v22, v101, v5, vcc_lo
	v_cndmask_b32_e64 v7, 1, 2, s0
	v_cmp_eq_u32_e32 vcc_lo, 0, v17
	v_cmp_ne_u32_e64 s8, 0, v15
	v_cmp_ne_u32_e64 s0, 0, v12
	;; [unrolled: 1-line block ×3, first 2 shown]
	v_and_b32_e32 v4, v6, v7
	v_cndmask_b32_e64 v5, 1, 2, vcc_lo
	v_add_co_u32 v6, vcc_lo, s24, v33
	v_add_co_ci_u32_e32 v7, vcc_lo, s25, v34, vcc_lo
	v_cmp_eq_u32_e32 vcc_lo, 0, v23
	s_delay_alu instid0(VALU_DEP_4)
	v_and_b32_e32 v24, v4, v5
	v_cndmask_b32_e64 v25, 1, 2, vcc_lo
	v_add_co_u32 v4, vcc_lo, v6, v35
	v_add_co_ci_u32_e32 v5, vcc_lo, v7, v36, vcc_lo
	v_lshlrev_b32_e32 v6, 3, v8
	v_cmp_eq_u32_e32 vcc_lo, 0, v14
	v_and_b32_e32 v7, v24, v25
	v_add_nc_u32_e32 v8, v65, v8
	v_cndmask_b32_e64 v24, 1, 2, vcc_lo
	v_add_co_u32 v6, vcc_lo, v6, v4
	v_add_co_ci_u32_e32 v25, vcc_lo, 0, v5, vcc_lo
	v_cmp_eq_u32_e32 vcc_lo, 0, v22
	s_delay_alu instid0(VALU_DEP_4) | instskip(SKIP_4) | instid1(VALU_DEP_4)
	v_and_b32_e32 v24, v7, v24
	v_cndmask_b32_e64 v26, 1, 2, vcc_lo
	v_add_co_u32 v6, vcc_lo, v6, -8
	v_add_co_ci_u32_e32 v7, vcc_lo, -1, v25, vcc_lo
	v_cmp_eq_u32_e32 vcc_lo, 0, v20
	v_and_b32_e32 v24, v24, v26
	v_cndmask_b32_e64 v25, 1, 2, vcc_lo
	v_cmp_eq_u32_e32 vcc_lo, 0, v21
	s_delay_alu instid0(VALU_DEP_2) | instskip(SKIP_2) | instid1(VALU_DEP_2)
	v_and_b32_e32 v9, v24, v25
	v_cndmask_b32_e64 v10, 1, 2, vcc_lo
	v_cmp_eq_u32_e32 vcc_lo, 0, v12
	v_and_b32_e32 v9, v9, v10
	v_cndmask_b32_e64 v10, 1, 2, vcc_lo
	v_cmp_gt_u32_e32 vcc_lo, 0x100, v3
	s_delay_alu instid0(VALU_DEP_2) | instskip(NEXT) | instid1(VALU_DEP_1)
	v_and_b32_e32 v9, v9, v10
	v_cmp_gt_i16_e64 s15, 2, v9
	s_cbranch_vccnz .LBB476_199
; %bb.196:
	s_and_b32 vcc_lo, exec_lo, s16
	s_cbranch_vccnz .LBB476_205
.LBB476_197:
	v_cmp_eq_u32_e32 vcc_lo, 0xff, v0
	s_and_b32 s0, vcc_lo, s28
	s_delay_alu instid0(SALU_CYCLE_1)
	s_and_saveexec_b32 s1, s0
	s_cbranch_execnz .LBB476_214
.LBB476_198:
	s_nop 0
	s_sendmsg sendmsg(MSG_DEALLOC_VGPRS)
	s_endpgm
.LBB476_199:
	s_delay_alu instid0(VALU_DEP_1)
	s_and_saveexec_b32 s16, s15
	s_cbranch_execz .LBB476_204
; %bb.200:
	s_mov_b32 s17, 0
	s_mov_b32 s15, exec_lo
	v_cmpx_ne_u16_e32 1, v9
	s_xor_b32 s15, exec_lo, s15
	s_cbranch_execnz .LBB476_251
; %bb.201:
	s_and_not1_saveexec_b32 s15, s15
	s_cbranch_execnz .LBB476_267
.LBB476_202:
	s_or_b32 exec_lo, exec_lo, s15
	s_delay_alu instid0(SALU_CYCLE_1)
	s_and_b32 exec_lo, exec_lo, s17
	s_cbranch_execz .LBB476_204
.LBB476_203:
	v_sub_nc_u32_e32 v10, v37, v8
	v_mov_b32_e32 v11, 0
	s_delay_alu instid0(VALU_DEP_1) | instskip(NEXT) | instid1(VALU_DEP_1)
	v_lshlrev_b64 v[10:11], 3, v[10:11]
	v_add_co_u32 v10, vcc_lo, v6, v10
	s_delay_alu instid0(VALU_DEP_2)
	v_add_co_ci_u32_e32 v11, vcc_lo, v7, v11, vcc_lo
	global_store_b64 v[10:11], v[1:2], off
.LBB476_204:
	s_or_b32 exec_lo, exec_lo, s16
	s_branch .LBB476_197
.LBB476_205:
	s_mov_b32 s15, exec_lo
	v_cmpx_gt_i16_e32 2, v9
	s_cbranch_execz .LBB476_210
; %bb.206:
	s_mov_b32 s17, 0
	s_mov_b32 s16, exec_lo
	v_cmpx_ne_u16_e32 1, v9
	s_xor_b32 s16, exec_lo, s16
	s_cbranch_execnz .LBB476_268
; %bb.207:
	s_and_not1_saveexec_b32 s0, s16
	s_cbranch_execnz .LBB476_284
.LBB476_208:
	s_or_b32 exec_lo, exec_lo, s0
	s_delay_alu instid0(SALU_CYCLE_1)
	s_and_b32 exec_lo, exec_lo, s17
	s_cbranch_execz .LBB476_210
.LBB476_209:
	v_sub_nc_u32_e32 v8, v37, v8
	s_delay_alu instid0(VALU_DEP_1)
	v_lshlrev_b32_e32 v8, 3, v8
	ds_store_b64 v8, v[1:2]
.LBB476_210:
	s_or_b32 exec_lo, exec_lo, s15
	s_delay_alu instid0(SALU_CYCLE_1)
	s_mov_b32 s1, exec_lo
	s_waitcnt lgkmcnt(0)
	s_waitcnt_vscnt null, 0x0
	s_barrier
	buffer_gl0_inv
	v_cmpx_lt_u32_e64 v0, v3
	s_cbranch_execz .LBB476_213
; %bb.211:
	v_dual_mov_b32 v1, v0 :: v_dual_lshlrev_b32 v8, 3, v0
	v_mov_b32_e32 v2, 0
	s_mov_b32 s2, 0
	.p2align	6
.LBB476_212:                            ; =>This Inner Loop Header: Depth=1
	ds_load_b64 v[9:10], v8
	v_lshlrev_b64 v[11:12], 3, v[1:2]
	v_add_nc_u32_e32 v1, 0x100, v1
	v_add_nc_u32_e32 v8, 0x800, v8
	s_delay_alu instid0(VALU_DEP_2) | instskip(NEXT) | instid1(VALU_DEP_4)
	v_cmp_ge_u32_e32 vcc_lo, v1, v3
	v_add_co_u32 v11, s0, v6, v11
	s_delay_alu instid0(VALU_DEP_1)
	v_add_co_ci_u32_e64 v12, s0, v7, v12, s0
	s_or_b32 s2, vcc_lo, s2
	s_waitcnt lgkmcnt(0)
	global_store_b64 v[11:12], v[9:10], off
	s_and_not1_b32 exec_lo, exec_lo, s2
	s_cbranch_execnz .LBB476_212
.LBB476_213:
	s_or_b32 exec_lo, exec_lo, s1
	v_cmp_eq_u32_e32 vcc_lo, 0xff, v0
	s_and_b32 s0, vcc_lo, s28
	s_delay_alu instid0(SALU_CYCLE_1)
	s_and_saveexec_b32 s1, s0
	s_cbranch_execz .LBB476_198
.LBB476_214:
	v_add_co_u32 v0, s0, v61, v65
	s_delay_alu instid0(VALU_DEP_1) | instskip(SKIP_1) | instid1(VALU_DEP_3)
	v_add_co_ci_u32_e64 v1, null, 0, 0, s0
	v_mov_b32_e32 v62, 0
	v_add_co_u32 v0, vcc_lo, v0, v29
	s_delay_alu instid0(VALU_DEP_3)
	v_add_co_ci_u32_e32 v1, vcc_lo, v1, v30, vcc_lo
	s_cmpk_lg_i32 s29, 0xf00
	global_store_b64 v62, v[0:1], s[26:27]
	s_cbranch_scc1 .LBB476_198
; %bb.215:
	v_lshlrev_b64 v[0:1], 3, v[61:62]
	s_delay_alu instid0(VALU_DEP_1) | instskip(NEXT) | instid1(VALU_DEP_2)
	v_add_co_u32 v0, vcc_lo, v4, v0
	v_add_co_ci_u32_e32 v1, vcc_lo, v5, v1, vcc_lo
	global_store_b64 v[0:1], v[63:64], off offset:-8
	s_nop 0
	s_sendmsg sendmsg(MSG_DEALLOC_VGPRS)
	s_endpgm
.LBB476_216:
	s_or_b32 exec_lo, exec_lo, s2
	v_mov_b32_e32 v113, s1
	s_and_saveexec_b32 s1, s34
	s_cbranch_execnz .LBB476_84
	s_branch .LBB476_85
.LBB476_217:
	s_and_saveexec_b32 s17, s12
	s_cbranch_execnz .LBB476_285
; %bb.218:
	s_or_b32 exec_lo, exec_lo, s17
	s_and_saveexec_b32 s17, s11
	s_cbranch_execnz .LBB476_286
.LBB476_219:
	s_or_b32 exec_lo, exec_lo, s17
	s_and_saveexec_b32 s17, s9
	s_cbranch_execnz .LBB476_287
.LBB476_220:
	s_or_b32 exec_lo, exec_lo, s17
	s_and_saveexec_b32 s17, s8
	s_cbranch_execnz .LBB476_288
.LBB476_221:
	s_or_b32 exec_lo, exec_lo, s17
	s_and_saveexec_b32 s17, s14
	s_cbranch_execnz .LBB476_289
.LBB476_222:
	s_or_b32 exec_lo, exec_lo, s17
	s_and_saveexec_b32 s17, s13
	s_cbranch_execnz .LBB476_290
.LBB476_223:
	s_or_b32 exec_lo, exec_lo, s17
	s_and_saveexec_b32 s17, s10
	s_cbranch_execnz .LBB476_291
.LBB476_224:
	s_or_b32 exec_lo, exec_lo, s17
	s_and_saveexec_b32 s17, s7
	s_cbranch_execnz .LBB476_292
.LBB476_225:
	s_or_b32 exec_lo, exec_lo, s17
	s_and_saveexec_b32 s17, s6
	s_cbranch_execnz .LBB476_293
.LBB476_226:
	s_or_b32 exec_lo, exec_lo, s17
	s_and_saveexec_b32 s17, s5
	s_cbranch_execnz .LBB476_294
.LBB476_227:
	s_or_b32 exec_lo, exec_lo, s17
	s_and_saveexec_b32 s17, s4
	s_cbranch_execnz .LBB476_295
.LBB476_228:
	s_or_b32 exec_lo, exec_lo, s17
	s_and_saveexec_b32 s17, s3
	s_cbranch_execnz .LBB476_296
.LBB476_229:
	s_or_b32 exec_lo, exec_lo, s17
	s_and_saveexec_b32 s17, s2
	s_cbranch_execnz .LBB476_297
.LBB476_230:
	s_or_b32 exec_lo, exec_lo, s17
	s_and_saveexec_b32 s17, s1
	s_cbranch_execz .LBB476_232
.LBB476_231:
	v_sub_nc_u32_e32 v54, v38, v65
	v_mov_b32_e32 v55, 0
	s_delay_alu instid0(VALU_DEP_1) | instskip(NEXT) | instid1(VALU_DEP_1)
	v_lshlrev_b64 v[54:55], 3, v[54:55]
	v_add_co_u32 v54, vcc_lo, v51, v54
	s_delay_alu instid0(VALU_DEP_2)
	v_add_co_ci_u32_e32 v55, vcc_lo, v52, v55, vcc_lo
	global_store_b64 v[54:55], v[3:4], off
.LBB476_232:
	s_or_b32 exec_lo, exec_lo, s17
	s_delay_alu instid0(SALU_CYCLE_1)
	s_and_b32 s17, s0, exec_lo
	s_and_not1_saveexec_b32 s15, s15
	s_cbranch_execz .LBB476_182
.LBB476_233:
	v_sub_nc_u32_e32 v54, v114, v65
	v_mov_b32_e32 v55, 0
	s_or_b32 s17, s17, exec_lo
	s_delay_alu instid0(VALU_DEP_1) | instskip(SKIP_1) | instid1(VALU_DEP_1)
	v_lshlrev_b64 v[59:60], 3, v[54:55]
	v_sub_nc_u32_e32 v54, v48, v65
	v_lshlrev_b64 v[95:96], 3, v[54:55]
	v_sub_nc_u32_e32 v54, v50, v65
	s_delay_alu instid0(VALU_DEP_4) | instskip(SKIP_1) | instid1(VALU_DEP_3)
	v_add_co_u32 v59, vcc_lo, v51, v59
	v_add_co_ci_u32_e32 v60, vcc_lo, v52, v60, vcc_lo
	v_lshlrev_b64 v[115:116], 3, v[54:55]
	v_sub_nc_u32_e32 v54, v49, v65
	v_add_co_u32 v95, vcc_lo, v51, v95
	v_add_co_ci_u32_e32 v96, vcc_lo, v52, v96, vcc_lo
	global_store_b64 v[59:60], v[25:26], off
	v_lshlrev_b64 v[59:60], 3, v[54:55]
	v_sub_nc_u32_e32 v54, v47, v65
	global_store_b64 v[95:96], v[27:28], off
	v_add_co_u32 v95, vcc_lo, v51, v115
	v_add_co_ci_u32_e32 v96, vcc_lo, v52, v116, vcc_lo
	v_lshlrev_b64 v[115:116], 3, v[54:55]
	v_sub_nc_u32_e32 v54, v46, v65
	v_add_co_u32 v59, vcc_lo, v51, v59
	v_add_co_ci_u32_e32 v60, vcc_lo, v52, v60, vcc_lo
	s_delay_alu instid0(VALU_DEP_3) | instskip(SKIP_3) | instid1(VALU_DEP_3)
	v_lshlrev_b64 v[117:118], 3, v[54:55]
	v_sub_nc_u32_e32 v54, v45, v65
	v_add_co_u32 v115, vcc_lo, v51, v115
	v_add_co_ci_u32_e32 v116, vcc_lo, v52, v116, vcc_lo
	v_lshlrev_b64 v[119:120], 3, v[54:55]
	v_sub_nc_u32_e32 v54, v44, v65
	v_add_co_u32 v117, vcc_lo, v51, v117
	v_add_co_ci_u32_e32 v118, vcc_lo, v52, v118, vcc_lo
	s_clause 0x3
	global_store_b64 v[95:96], v[21:22], off
	global_store_b64 v[59:60], v[23:24], off
	;; [unrolled: 1-line block ×4, first 2 shown]
	v_lshlrev_b64 v[59:60], 3, v[54:55]
	v_sub_nc_u32_e32 v54, v43, v65
	v_add_co_u32 v95, vcc_lo, v51, v119
	v_add_co_ci_u32_e32 v96, vcc_lo, v52, v120, vcc_lo
	s_delay_alu instid0(VALU_DEP_3) | instskip(SKIP_3) | instid1(VALU_DEP_3)
	v_lshlrev_b64 v[115:116], 3, v[54:55]
	v_sub_nc_u32_e32 v54, v42, v65
	v_add_co_u32 v59, vcc_lo, v51, v59
	v_add_co_ci_u32_e32 v60, vcc_lo, v52, v60, vcc_lo
	v_lshlrev_b64 v[117:118], 3, v[54:55]
	v_sub_nc_u32_e32 v54, v41, v65
	v_add_co_u32 v115, vcc_lo, v51, v115
	v_add_co_ci_u32_e32 v116, vcc_lo, v52, v116, vcc_lo
	s_delay_alu instid0(VALU_DEP_3)
	v_lshlrev_b64 v[119:120], 3, v[54:55]
	v_sub_nc_u32_e32 v54, v40, v65
	v_add_co_u32 v117, vcc_lo, v51, v117
	v_add_co_ci_u32_e32 v118, vcc_lo, v52, v118, vcc_lo
	s_clause 0x3
	global_store_b64 v[95:96], v[13:14], off
	global_store_b64 v[59:60], v[15:16], off
	;; [unrolled: 1-line block ×4, first 2 shown]
	v_lshlrev_b64 v[59:60], 3, v[54:55]
	v_sub_nc_u32_e32 v54, v39, v65
	v_add_co_u32 v95, vcc_lo, v51, v119
	v_add_co_ci_u32_e32 v96, vcc_lo, v52, v120, vcc_lo
	s_delay_alu instid0(VALU_DEP_3) | instskip(SKIP_3) | instid1(VALU_DEP_3)
	v_lshlrev_b64 v[115:116], 3, v[54:55]
	v_sub_nc_u32_e32 v54, v38, v65
	v_add_co_u32 v59, vcc_lo, v51, v59
	v_add_co_ci_u32_e32 v60, vcc_lo, v52, v60, vcc_lo
	v_lshlrev_b64 v[54:55], 3, v[54:55]
	v_add_co_u32 v115, vcc_lo, v51, v115
	v_add_co_ci_u32_e32 v116, vcc_lo, v52, v116, vcc_lo
	s_clause 0x2
	global_store_b64 v[95:96], v[5:6], off
	global_store_b64 v[59:60], v[7:8], off
	;; [unrolled: 1-line block ×3, first 2 shown]
	v_add_co_u32 v54, vcc_lo, v51, v54
	v_add_co_ci_u32_e32 v55, vcc_lo, v52, v55, vcc_lo
	global_store_b64 v[54:55], v[3:4], off
	s_or_b32 exec_lo, exec_lo, s15
	s_delay_alu instid0(SALU_CYCLE_1)
	s_and_b32 exec_lo, exec_lo, s17
	s_cbranch_execnz .LBB476_183
	s_branch .LBB476_184
.LBB476_234:
	s_and_saveexec_b32 s17, s12
	s_cbranch_execnz .LBB476_298
; %bb.235:
	s_or_b32 exec_lo, exec_lo, s17
	s_and_saveexec_b32 s12, s11
	s_cbranch_execnz .LBB476_299
.LBB476_236:
	s_or_b32 exec_lo, exec_lo, s12
	s_and_saveexec_b32 s11, s9
	s_cbranch_execnz .LBB476_300
.LBB476_237:
	s_or_b32 exec_lo, exec_lo, s11
	s_and_saveexec_b32 s9, s8
	s_cbranch_execnz .LBB476_301
.LBB476_238:
	s_or_b32 exec_lo, exec_lo, s9
	s_and_saveexec_b32 s8, s14
	s_cbranch_execnz .LBB476_302
.LBB476_239:
	s_or_b32 exec_lo, exec_lo, s8
	s_and_saveexec_b32 s8, s13
	s_cbranch_execnz .LBB476_303
.LBB476_240:
	s_or_b32 exec_lo, exec_lo, s8
	s_and_saveexec_b32 s8, s10
	s_cbranch_execnz .LBB476_304
.LBB476_241:
	s_or_b32 exec_lo, exec_lo, s8
	s_and_saveexec_b32 s8, s7
	s_cbranch_execnz .LBB476_305
.LBB476_242:
	s_or_b32 exec_lo, exec_lo, s8
	s_and_saveexec_b32 s7, s6
	s_cbranch_execnz .LBB476_306
.LBB476_243:
	s_or_b32 exec_lo, exec_lo, s7
	s_and_saveexec_b32 s6, s5
	s_cbranch_execnz .LBB476_307
.LBB476_244:
	s_or_b32 exec_lo, exec_lo, s6
	s_and_saveexec_b32 s5, s4
	s_cbranch_execnz .LBB476_308
.LBB476_245:
	s_or_b32 exec_lo, exec_lo, s5
	s_and_saveexec_b32 s4, s3
	s_cbranch_execnz .LBB476_309
.LBB476_246:
	s_or_b32 exec_lo, exec_lo, s4
	s_and_saveexec_b32 s3, s2
	s_cbranch_execnz .LBB476_310
.LBB476_247:
	s_or_b32 exec_lo, exec_lo, s3
	s_and_saveexec_b32 s2, s1
	s_cbranch_execz .LBB476_249
.LBB476_248:
	v_sub_nc_u32_e32 v1, v38, v65
	s_delay_alu instid0(VALU_DEP_1)
	v_lshlrev_b32_e32 v1, 3, v1
	ds_store_b64 v1, v[3:4]
.LBB476_249:
	s_or_b32 exec_lo, exec_lo, s2
	s_delay_alu instid0(SALU_CYCLE_1)
	s_and_b32 s17, s0, exec_lo
                                        ; implicit-def: $vgpr25_vgpr26
                                        ; implicit-def: $vgpr21_vgpr22
                                        ; implicit-def: $vgpr17_vgpr18
                                        ; implicit-def: $vgpr13_vgpr14
                                        ; implicit-def: $vgpr9_vgpr10
                                        ; implicit-def: $vgpr5_vgpr6
                                        ; implicit-def: $vgpr1_vgpr2
	s_and_not1_saveexec_b32 s0, s16
	s_cbranch_execz .LBB476_189
.LBB476_250:
	v_sub_nc_u32_e32 v53, v114, v65
	v_sub_nc_u32_e32 v54, v48, v65
	;; [unrolled: 1-line block ×4, first 2 shown]
	s_or_b32 s17, s17, exec_lo
	v_lshlrev_b32_e32 v53, 3, v53
	v_lshlrev_b32_e32 v54, 3, v54
	;; [unrolled: 1-line block ×4, first 2 shown]
	ds_store_b64 v53, v[25:26]
	ds_store_b64 v54, v[27:28]
	;; [unrolled: 1-line block ×3, first 2 shown]
	v_sub_nc_u32_e32 v21, v47, v65
	v_sub_nc_u32_e32 v22, v46, v65
	ds_store_b64 v56, v[23:24]
	v_sub_nc_u32_e32 v23, v45, v65
	v_sub_nc_u32_e32 v24, v44, v65
	v_lshlrev_b32_e32 v21, 3, v21
	v_sub_nc_u32_e32 v25, v43, v65
	v_lshlrev_b32_e32 v22, 3, v22
	v_lshlrev_b32_e32 v23, 3, v23
	;; [unrolled: 1-line block ×3, first 2 shown]
	ds_store_b64 v21, v[17:18]
	v_lshlrev_b32_e32 v17, 3, v25
	ds_store_b64 v22, v[19:20]
	ds_store_b64 v23, v[13:14]
	;; [unrolled: 1-line block ×3, first 2 shown]
	v_sub_nc_u32_e32 v13, v42, v65
	v_sub_nc_u32_e32 v15, v38, v65
	;; [unrolled: 1-line block ×3, first 2 shown]
	ds_store_b64 v17, v[9:10]
	v_sub_nc_u32_e32 v9, v41, v65
	v_lshlrev_b32_e32 v13, 3, v13
	v_sub_nc_u32_e32 v10, v40, v65
	v_lshlrev_b32_e32 v14, 3, v14
	s_delay_alu instid0(VALU_DEP_4)
	v_lshlrev_b32_e32 v9, 3, v9
	ds_store_b64 v13, v[11:12]
	v_lshlrev_b32_e32 v11, 3, v15
	v_lshlrev_b32_e32 v10, 3, v10
	ds_store_b64 v9, v[5:6]
	ds_store_b64 v10, v[7:8]
	;; [unrolled: 1-line block ×4, first 2 shown]
	s_or_b32 exec_lo, exec_lo, s0
	s_delay_alu instid0(SALU_CYCLE_1)
	s_and_b32 exec_lo, exec_lo, s17
	s_cbranch_execnz .LBB476_190
	s_branch .LBB476_191
.LBB476_251:
	s_and_saveexec_b32 s17, s14
	s_cbranch_execnz .LBB476_311
; %bb.252:
	s_or_b32 exec_lo, exec_lo, s17
	s_and_saveexec_b32 s17, s13
	s_cbranch_execnz .LBB476_312
.LBB476_253:
	s_or_b32 exec_lo, exec_lo, s17
	s_and_saveexec_b32 s17, s12
	s_cbranch_execnz .LBB476_313
.LBB476_254:
	s_or_b32 exec_lo, exec_lo, s17
	s_and_saveexec_b32 s17, s11
	s_cbranch_execnz .LBB476_314
.LBB476_255:
	s_or_b32 exec_lo, exec_lo, s17
	s_and_saveexec_b32 s17, s10
	s_cbranch_execnz .LBB476_315
.LBB476_256:
	s_or_b32 exec_lo, exec_lo, s17
	s_and_saveexec_b32 s17, s9
	s_cbranch_execnz .LBB476_316
.LBB476_257:
	s_or_b32 exec_lo, exec_lo, s17
	s_and_saveexec_b32 s17, s8
	s_cbranch_execnz .LBB476_317
.LBB476_258:
	s_or_b32 exec_lo, exec_lo, s17
	s_and_saveexec_b32 s17, s7
	s_cbranch_execnz .LBB476_318
.LBB476_259:
	s_or_b32 exec_lo, exec_lo, s17
	s_and_saveexec_b32 s17, s6
	s_cbranch_execnz .LBB476_319
.LBB476_260:
	s_or_b32 exec_lo, exec_lo, s17
	s_and_saveexec_b32 s17, s5
	s_cbranch_execnz .LBB476_320
.LBB476_261:
	s_or_b32 exec_lo, exec_lo, s17
	s_and_saveexec_b32 s17, s4
	s_cbranch_execnz .LBB476_321
.LBB476_262:
	s_or_b32 exec_lo, exec_lo, s17
	s_and_saveexec_b32 s17, s3
	s_cbranch_execnz .LBB476_322
.LBB476_263:
	s_or_b32 exec_lo, exec_lo, s17
	s_and_saveexec_b32 s17, s2
	s_cbranch_execnz .LBB476_323
.LBB476_264:
	s_or_b32 exec_lo, exec_lo, s17
	s_and_saveexec_b32 s17, s1
	s_cbranch_execz .LBB476_266
.LBB476_265:
	v_sub_nc_u32_e32 v10, v38, v8
	v_mov_b32_e32 v11, 0
	s_delay_alu instid0(VALU_DEP_1) | instskip(NEXT) | instid1(VALU_DEP_1)
	v_lshlrev_b64 v[10:11], 3, v[10:11]
	v_add_co_u32 v10, vcc_lo, v6, v10
	s_delay_alu instid0(VALU_DEP_2)
	v_add_co_ci_u32_e32 v11, vcc_lo, v7, v11, vcc_lo
	global_store_b64 v[10:11], v[91:92], off
.LBB476_266:
	s_or_b32 exec_lo, exec_lo, s17
	s_delay_alu instid0(SALU_CYCLE_1)
	s_and_b32 s17, s0, exec_lo
	s_and_not1_saveexec_b32 s15, s15
	s_cbranch_execz .LBB476_202
.LBB476_267:
	v_sub_nc_u32_e32 v10, v114, v8
	v_mov_b32_e32 v11, 0
	s_or_b32 s17, s17, exec_lo
	s_delay_alu instid0(VALU_DEP_1) | instskip(SKIP_1) | instid1(VALU_DEP_1)
	v_lshlrev_b64 v[12:13], 3, v[10:11]
	v_sub_nc_u32_e32 v10, v48, v8
	v_lshlrev_b64 v[14:15], 3, v[10:11]
	v_sub_nc_u32_e32 v10, v50, v8
	s_delay_alu instid0(VALU_DEP_4) | instskip(SKIP_1) | instid1(VALU_DEP_3)
	v_add_co_u32 v12, vcc_lo, v6, v12
	v_add_co_ci_u32_e32 v13, vcc_lo, v7, v13, vcc_lo
	v_lshlrev_b64 v[16:17], 3, v[10:11]
	v_sub_nc_u32_e32 v10, v49, v8
	v_add_co_u32 v14, vcc_lo, v6, v14
	v_add_co_ci_u32_e32 v15, vcc_lo, v7, v15, vcc_lo
	global_store_b64 v[12:13], v[77:78], off
	v_lshlrev_b64 v[12:13], 3, v[10:11]
	v_sub_nc_u32_e32 v10, v47, v8
	global_store_b64 v[14:15], v[75:76], off
	v_add_co_u32 v14, vcc_lo, v6, v16
	v_add_co_ci_u32_e32 v15, vcc_lo, v7, v17, vcc_lo
	v_lshlrev_b64 v[16:17], 3, v[10:11]
	v_sub_nc_u32_e32 v10, v46, v8
	v_add_co_u32 v12, vcc_lo, v6, v12
	v_add_co_ci_u32_e32 v13, vcc_lo, v7, v13, vcc_lo
	s_delay_alu instid0(VALU_DEP_3) | instskip(SKIP_3) | instid1(VALU_DEP_3)
	v_lshlrev_b64 v[18:19], 3, v[10:11]
	v_sub_nc_u32_e32 v10, v45, v8
	v_add_co_u32 v16, vcc_lo, v6, v16
	v_add_co_ci_u32_e32 v17, vcc_lo, v7, v17, vcc_lo
	v_lshlrev_b64 v[20:21], 3, v[10:11]
	v_sub_nc_u32_e32 v10, v44, v8
	v_add_co_u32 v18, vcc_lo, v6, v18
	v_add_co_ci_u32_e32 v19, vcc_lo, v7, v19, vcc_lo
	s_clause 0x3
	global_store_b64 v[14:15], v[81:82], off
	global_store_b64 v[12:13], v[85:86], off
	;; [unrolled: 1-line block ×4, first 2 shown]
	v_lshlrev_b64 v[12:13], 3, v[10:11]
	v_sub_nc_u32_e32 v10, v43, v8
	v_add_co_u32 v14, vcc_lo, v6, v20
	v_add_co_ci_u32_e32 v15, vcc_lo, v7, v21, vcc_lo
	s_delay_alu instid0(VALU_DEP_3) | instskip(SKIP_3) | instid1(VALU_DEP_3)
	v_lshlrev_b64 v[16:17], 3, v[10:11]
	v_sub_nc_u32_e32 v10, v42, v8
	v_add_co_u32 v12, vcc_lo, v6, v12
	v_add_co_ci_u32_e32 v13, vcc_lo, v7, v13, vcc_lo
	v_lshlrev_b64 v[18:19], 3, v[10:11]
	v_sub_nc_u32_e32 v10, v41, v8
	v_add_co_u32 v16, vcc_lo, v6, v16
	v_add_co_ci_u32_e32 v17, vcc_lo, v7, v17, vcc_lo
	s_delay_alu instid0(VALU_DEP_3)
	v_lshlrev_b64 v[20:21], 3, v[10:11]
	v_sub_nc_u32_e32 v10, v40, v8
	v_add_co_u32 v18, vcc_lo, v6, v18
	v_add_co_ci_u32_e32 v19, vcc_lo, v7, v19, vcc_lo
	s_clause 0x3
	global_store_b64 v[14:15], v[79:80], off
	global_store_b64 v[12:13], v[83:84], off
	;; [unrolled: 1-line block ×4, first 2 shown]
	v_lshlrev_b64 v[12:13], 3, v[10:11]
	v_sub_nc_u32_e32 v10, v39, v8
	v_add_co_u32 v14, vcc_lo, v6, v20
	v_add_co_ci_u32_e32 v15, vcc_lo, v7, v21, vcc_lo
	s_delay_alu instid0(VALU_DEP_3) | instskip(SKIP_3) | instid1(VALU_DEP_3)
	v_lshlrev_b64 v[16:17], 3, v[10:11]
	v_sub_nc_u32_e32 v10, v38, v8
	v_add_co_u32 v12, vcc_lo, v6, v12
	v_add_co_ci_u32_e32 v13, vcc_lo, v7, v13, vcc_lo
	v_lshlrev_b64 v[10:11], 3, v[10:11]
	v_add_co_u32 v16, vcc_lo, v6, v16
	v_add_co_ci_u32_e32 v17, vcc_lo, v7, v17, vcc_lo
	s_clause 0x2
	global_store_b64 v[14:15], v[73:74], off
	global_store_b64 v[12:13], v[89:90], off
	;; [unrolled: 1-line block ×3, first 2 shown]
	v_add_co_u32 v10, vcc_lo, v6, v10
	v_add_co_ci_u32_e32 v11, vcc_lo, v7, v11, vcc_lo
	global_store_b64 v[10:11], v[91:92], off
	s_or_b32 exec_lo, exec_lo, s15
	s_delay_alu instid0(SALU_CYCLE_1)
	s_and_b32 exec_lo, exec_lo, s17
	s_cbranch_execnz .LBB476_203
	s_branch .LBB476_204
.LBB476_268:
	s_and_saveexec_b32 s17, s14
	s_cbranch_execnz .LBB476_324
; %bb.269:
	s_or_b32 exec_lo, exec_lo, s17
	s_and_saveexec_b32 s14, s13
	s_cbranch_execnz .LBB476_325
.LBB476_270:
	s_or_b32 exec_lo, exec_lo, s14
	s_and_saveexec_b32 s13, s12
	s_cbranch_execnz .LBB476_326
.LBB476_271:
	s_or_b32 exec_lo, exec_lo, s13
	s_and_saveexec_b32 s12, s11
	s_cbranch_execnz .LBB476_327
.LBB476_272:
	s_or_b32 exec_lo, exec_lo, s12
	s_and_saveexec_b32 s11, s10
	s_cbranch_execnz .LBB476_328
.LBB476_273:
	s_or_b32 exec_lo, exec_lo, s11
	s_and_saveexec_b32 s10, s9
	s_cbranch_execnz .LBB476_329
.LBB476_274:
	s_or_b32 exec_lo, exec_lo, s10
	s_and_saveexec_b32 s9, s8
	s_cbranch_execnz .LBB476_330
.LBB476_275:
	s_or_b32 exec_lo, exec_lo, s9
	s_and_saveexec_b32 s8, s7
	s_cbranch_execnz .LBB476_331
.LBB476_276:
	s_or_b32 exec_lo, exec_lo, s8
	s_and_saveexec_b32 s7, s6
	s_cbranch_execnz .LBB476_332
.LBB476_277:
	s_or_b32 exec_lo, exec_lo, s7
	s_and_saveexec_b32 s6, s5
	s_cbranch_execnz .LBB476_333
.LBB476_278:
	s_or_b32 exec_lo, exec_lo, s6
	s_and_saveexec_b32 s5, s4
	s_cbranch_execnz .LBB476_334
.LBB476_279:
	s_or_b32 exec_lo, exec_lo, s5
	s_and_saveexec_b32 s4, s3
	s_cbranch_execnz .LBB476_335
.LBB476_280:
	s_or_b32 exec_lo, exec_lo, s4
	s_and_saveexec_b32 s3, s2
	s_cbranch_execnz .LBB476_336
.LBB476_281:
	s_or_b32 exec_lo, exec_lo, s3
	s_and_saveexec_b32 s2, s1
	s_cbranch_execz .LBB476_283
.LBB476_282:
	v_sub_nc_u32_e32 v9, v38, v8
	s_delay_alu instid0(VALU_DEP_1)
	v_lshlrev_b32_e32 v9, 3, v9
	ds_store_b64 v9, v[91:92]
.LBB476_283:
	s_or_b32 exec_lo, exec_lo, s2
	s_delay_alu instid0(SALU_CYCLE_1)
	s_and_b32 s17, s0, exec_lo
                                        ; implicit-def: $vgpr77_vgpr78
                                        ; implicit-def: $vgpr75_vgpr76
                                        ; implicit-def: $vgpr81_vgpr82
                                        ; implicit-def: $vgpr85_vgpr86
                                        ; implicit-def: $vgpr67_vgpr68
                                        ; implicit-def: $vgpr71_vgpr72
                                        ; implicit-def: $vgpr79_vgpr80
                                        ; implicit-def: $vgpr83_vgpr84
                                        ; implicit-def: $vgpr87_vgpr88
                                        ; implicit-def: $vgpr69_vgpr70
                                        ; implicit-def: $vgpr73_vgpr74
                                        ; implicit-def: $vgpr89_vgpr90
                                        ; implicit-def: $vgpr93_vgpr94
                                        ; implicit-def: $vgpr91_vgpr92
                                        ; implicit-def: $vgpr114
                                        ; implicit-def: $vgpr48
                                        ; implicit-def: $vgpr50
                                        ; implicit-def: $vgpr49
                                        ; implicit-def: $vgpr47
                                        ; implicit-def: $vgpr46
                                        ; implicit-def: $vgpr45
                                        ; implicit-def: $vgpr44
                                        ; implicit-def: $vgpr43
                                        ; implicit-def: $vgpr42
                                        ; implicit-def: $vgpr41
                                        ; implicit-def: $vgpr40
                                        ; implicit-def: $vgpr39
                                        ; implicit-def: $vgpr38
	s_and_not1_saveexec_b32 s0, s16
	s_cbranch_execz .LBB476_208
.LBB476_284:
	v_sub_nc_u32_e32 v9, v114, v8
	v_sub_nc_u32_e32 v10, v48, v8
	v_sub_nc_u32_e32 v11, v50, v8
	v_sub_nc_u32_e32 v12, v49, v8
	v_sub_nc_u32_e32 v13, v43, v8
	v_lshlrev_b32_e32 v9, 3, v9
	v_lshlrev_b32_e32 v10, 3, v10
	;; [unrolled: 1-line block ×4, first 2 shown]
	s_or_b32 s17, s17, exec_lo
	ds_store_b64 v9, v[77:78]
	ds_store_b64 v10, v[75:76]
	;; [unrolled: 1-line block ×3, first 2 shown]
	v_sub_nc_u32_e32 v9, v47, v8
	v_sub_nc_u32_e32 v10, v46, v8
	;; [unrolled: 1-line block ×3, first 2 shown]
	ds_store_b64 v12, v[85:86]
	v_sub_nc_u32_e32 v12, v44, v8
	v_lshlrev_b32_e32 v9, 3, v9
	v_lshlrev_b32_e32 v10, 3, v10
	;; [unrolled: 1-line block ×3, first 2 shown]
	s_delay_alu instid0(VALU_DEP_4)
	v_lshlrev_b32_e32 v12, 3, v12
	ds_store_b64 v9, v[67:68]
	v_lshlrev_b32_e32 v9, 3, v13
	ds_store_b64 v10, v[71:72]
	ds_store_b64 v11, v[79:80]
	;; [unrolled: 1-line block ×3, first 2 shown]
	v_sub_nc_u32_e32 v10, v42, v8
	v_sub_nc_u32_e32 v13, v38, v8
	;; [unrolled: 1-line block ×3, first 2 shown]
	ds_store_b64 v9, v[87:88]
	v_sub_nc_u32_e32 v9, v41, v8
	v_lshlrev_b32_e32 v10, 3, v10
	v_sub_nc_u32_e32 v12, v39, v8
	v_lshlrev_b32_e32 v11, 3, v11
	s_delay_alu instid0(VALU_DEP_4)
	v_lshlrev_b32_e32 v9, 3, v9
	ds_store_b64 v10, v[69:70]
	v_lshlrev_b32_e32 v10, 3, v13
	v_lshlrev_b32_e32 v12, 3, v12
	ds_store_b64 v9, v[73:74]
	ds_store_b64 v11, v[89:90]
	;; [unrolled: 1-line block ×4, first 2 shown]
	s_or_b32 exec_lo, exec_lo, s0
	s_delay_alu instid0(SALU_CYCLE_1)
	s_and_b32 exec_lo, exec_lo, s17
	s_cbranch_execnz .LBB476_209
	s_branch .LBB476_210
.LBB476_285:
	v_sub_nc_u32_e32 v54, v114, v65
	v_mov_b32_e32 v55, 0
	s_delay_alu instid0(VALU_DEP_1) | instskip(NEXT) | instid1(VALU_DEP_1)
	v_lshlrev_b64 v[54:55], 3, v[54:55]
	v_add_co_u32 v54, vcc_lo, v51, v54
	s_delay_alu instid0(VALU_DEP_2)
	v_add_co_ci_u32_e32 v55, vcc_lo, v52, v55, vcc_lo
	global_store_b64 v[54:55], v[25:26], off
	s_or_b32 exec_lo, exec_lo, s17
	s_and_saveexec_b32 s17, s11
	s_cbranch_execz .LBB476_219
.LBB476_286:
	v_sub_nc_u32_e32 v54, v48, v65
	v_mov_b32_e32 v55, 0
	s_delay_alu instid0(VALU_DEP_1) | instskip(NEXT) | instid1(VALU_DEP_1)
	v_lshlrev_b64 v[54:55], 3, v[54:55]
	v_add_co_u32 v54, vcc_lo, v51, v54
	s_delay_alu instid0(VALU_DEP_2)
	v_add_co_ci_u32_e32 v55, vcc_lo, v52, v55, vcc_lo
	global_store_b64 v[54:55], v[27:28], off
	s_or_b32 exec_lo, exec_lo, s17
	s_and_saveexec_b32 s17, s9
	s_cbranch_execz .LBB476_220
.LBB476_287:
	v_sub_nc_u32_e32 v54, v50, v65
	v_mov_b32_e32 v55, 0
	s_delay_alu instid0(VALU_DEP_1) | instskip(NEXT) | instid1(VALU_DEP_1)
	v_lshlrev_b64 v[54:55], 3, v[54:55]
	v_add_co_u32 v54, vcc_lo, v51, v54
	s_delay_alu instid0(VALU_DEP_2)
	v_add_co_ci_u32_e32 v55, vcc_lo, v52, v55, vcc_lo
	global_store_b64 v[54:55], v[21:22], off
	s_or_b32 exec_lo, exec_lo, s17
	s_and_saveexec_b32 s17, s8
	s_cbranch_execz .LBB476_221
.LBB476_288:
	v_sub_nc_u32_e32 v54, v49, v65
	v_mov_b32_e32 v55, 0
	s_delay_alu instid0(VALU_DEP_1) | instskip(NEXT) | instid1(VALU_DEP_1)
	v_lshlrev_b64 v[54:55], 3, v[54:55]
	v_add_co_u32 v54, vcc_lo, v51, v54
	s_delay_alu instid0(VALU_DEP_2)
	v_add_co_ci_u32_e32 v55, vcc_lo, v52, v55, vcc_lo
	global_store_b64 v[54:55], v[23:24], off
	s_or_b32 exec_lo, exec_lo, s17
	s_and_saveexec_b32 s17, s14
	s_cbranch_execz .LBB476_222
.LBB476_289:
	v_sub_nc_u32_e32 v54, v47, v65
	v_mov_b32_e32 v55, 0
	s_delay_alu instid0(VALU_DEP_1) | instskip(NEXT) | instid1(VALU_DEP_1)
	v_lshlrev_b64 v[54:55], 3, v[54:55]
	v_add_co_u32 v54, vcc_lo, v51, v54
	s_delay_alu instid0(VALU_DEP_2)
	v_add_co_ci_u32_e32 v55, vcc_lo, v52, v55, vcc_lo
	global_store_b64 v[54:55], v[17:18], off
	s_or_b32 exec_lo, exec_lo, s17
	s_and_saveexec_b32 s17, s13
	s_cbranch_execz .LBB476_223
.LBB476_290:
	v_sub_nc_u32_e32 v54, v46, v65
	v_mov_b32_e32 v55, 0
	s_delay_alu instid0(VALU_DEP_1) | instskip(NEXT) | instid1(VALU_DEP_1)
	v_lshlrev_b64 v[54:55], 3, v[54:55]
	v_add_co_u32 v54, vcc_lo, v51, v54
	s_delay_alu instid0(VALU_DEP_2)
	v_add_co_ci_u32_e32 v55, vcc_lo, v52, v55, vcc_lo
	global_store_b64 v[54:55], v[19:20], off
	s_or_b32 exec_lo, exec_lo, s17
	s_and_saveexec_b32 s17, s10
	s_cbranch_execz .LBB476_224
.LBB476_291:
	v_sub_nc_u32_e32 v54, v45, v65
	v_mov_b32_e32 v55, 0
	s_delay_alu instid0(VALU_DEP_1) | instskip(NEXT) | instid1(VALU_DEP_1)
	v_lshlrev_b64 v[54:55], 3, v[54:55]
	v_add_co_u32 v54, vcc_lo, v51, v54
	s_delay_alu instid0(VALU_DEP_2)
	v_add_co_ci_u32_e32 v55, vcc_lo, v52, v55, vcc_lo
	global_store_b64 v[54:55], v[13:14], off
	s_or_b32 exec_lo, exec_lo, s17
	s_and_saveexec_b32 s17, s7
	s_cbranch_execz .LBB476_225
.LBB476_292:
	v_sub_nc_u32_e32 v54, v44, v65
	v_mov_b32_e32 v55, 0
	s_delay_alu instid0(VALU_DEP_1) | instskip(NEXT) | instid1(VALU_DEP_1)
	v_lshlrev_b64 v[54:55], 3, v[54:55]
	v_add_co_u32 v54, vcc_lo, v51, v54
	s_delay_alu instid0(VALU_DEP_2)
	v_add_co_ci_u32_e32 v55, vcc_lo, v52, v55, vcc_lo
	global_store_b64 v[54:55], v[15:16], off
	s_or_b32 exec_lo, exec_lo, s17
	s_and_saveexec_b32 s17, s6
	s_cbranch_execz .LBB476_226
.LBB476_293:
	v_sub_nc_u32_e32 v54, v43, v65
	v_mov_b32_e32 v55, 0
	s_delay_alu instid0(VALU_DEP_1) | instskip(NEXT) | instid1(VALU_DEP_1)
	v_lshlrev_b64 v[54:55], 3, v[54:55]
	v_add_co_u32 v54, vcc_lo, v51, v54
	s_delay_alu instid0(VALU_DEP_2)
	v_add_co_ci_u32_e32 v55, vcc_lo, v52, v55, vcc_lo
	global_store_b64 v[54:55], v[9:10], off
	s_or_b32 exec_lo, exec_lo, s17
	s_and_saveexec_b32 s17, s5
	s_cbranch_execz .LBB476_227
.LBB476_294:
	v_sub_nc_u32_e32 v54, v42, v65
	v_mov_b32_e32 v55, 0
	s_delay_alu instid0(VALU_DEP_1) | instskip(NEXT) | instid1(VALU_DEP_1)
	v_lshlrev_b64 v[54:55], 3, v[54:55]
	v_add_co_u32 v54, vcc_lo, v51, v54
	s_delay_alu instid0(VALU_DEP_2)
	v_add_co_ci_u32_e32 v55, vcc_lo, v52, v55, vcc_lo
	global_store_b64 v[54:55], v[11:12], off
	s_or_b32 exec_lo, exec_lo, s17
	s_and_saveexec_b32 s17, s4
	s_cbranch_execz .LBB476_228
.LBB476_295:
	v_sub_nc_u32_e32 v54, v41, v65
	v_mov_b32_e32 v55, 0
	s_delay_alu instid0(VALU_DEP_1) | instskip(NEXT) | instid1(VALU_DEP_1)
	v_lshlrev_b64 v[54:55], 3, v[54:55]
	v_add_co_u32 v54, vcc_lo, v51, v54
	s_delay_alu instid0(VALU_DEP_2)
	v_add_co_ci_u32_e32 v55, vcc_lo, v52, v55, vcc_lo
	global_store_b64 v[54:55], v[5:6], off
	s_or_b32 exec_lo, exec_lo, s17
	s_and_saveexec_b32 s17, s3
	s_cbranch_execz .LBB476_229
.LBB476_296:
	v_sub_nc_u32_e32 v54, v40, v65
	v_mov_b32_e32 v55, 0
	s_delay_alu instid0(VALU_DEP_1) | instskip(NEXT) | instid1(VALU_DEP_1)
	v_lshlrev_b64 v[54:55], 3, v[54:55]
	v_add_co_u32 v54, vcc_lo, v51, v54
	s_delay_alu instid0(VALU_DEP_2)
	v_add_co_ci_u32_e32 v55, vcc_lo, v52, v55, vcc_lo
	global_store_b64 v[54:55], v[7:8], off
	s_or_b32 exec_lo, exec_lo, s17
	s_and_saveexec_b32 s17, s2
	s_cbranch_execz .LBB476_230
.LBB476_297:
	v_sub_nc_u32_e32 v54, v39, v65
	v_mov_b32_e32 v55, 0
	s_delay_alu instid0(VALU_DEP_1) | instskip(NEXT) | instid1(VALU_DEP_1)
	v_lshlrev_b64 v[54:55], 3, v[54:55]
	v_add_co_u32 v54, vcc_lo, v51, v54
	s_delay_alu instid0(VALU_DEP_2)
	v_add_co_ci_u32_e32 v55, vcc_lo, v52, v55, vcc_lo
	global_store_b64 v[54:55], v[1:2], off
	s_or_b32 exec_lo, exec_lo, s17
	s_and_saveexec_b32 s17, s1
	s_cbranch_execnz .LBB476_231
	s_branch .LBB476_232
.LBB476_298:
	v_sub_nc_u32_e32 v53, v114, v65
	s_delay_alu instid0(VALU_DEP_1)
	v_lshlrev_b32_e32 v53, 3, v53
	ds_store_b64 v53, v[25:26]
	s_or_b32 exec_lo, exec_lo, s17
	s_and_saveexec_b32 s12, s11
	s_cbranch_execz .LBB476_236
.LBB476_299:
	v_sub_nc_u32_e32 v25, v48, v65
	s_delay_alu instid0(VALU_DEP_1)
	v_lshlrev_b32_e32 v25, 3, v25
	ds_store_b64 v25, v[27:28]
	s_or_b32 exec_lo, exec_lo, s12
	s_and_saveexec_b32 s11, s9
	s_cbranch_execz .LBB476_237
.LBB476_300:
	v_sub_nc_u32_e32 v25, v50, v65
	s_delay_alu instid0(VALU_DEP_1)
	v_lshlrev_b32_e32 v25, 3, v25
	ds_store_b64 v25, v[21:22]
	s_or_b32 exec_lo, exec_lo, s11
	s_and_saveexec_b32 s9, s8
	s_cbranch_execz .LBB476_238
.LBB476_301:
	v_sub_nc_u32_e32 v21, v49, v65
	s_delay_alu instid0(VALU_DEP_1)
	v_lshlrev_b32_e32 v21, 3, v21
	ds_store_b64 v21, v[23:24]
	s_or_b32 exec_lo, exec_lo, s9
	s_and_saveexec_b32 s8, s14
	s_cbranch_execz .LBB476_239
.LBB476_302:
	v_sub_nc_u32_e32 v21, v47, v65
	s_delay_alu instid0(VALU_DEP_1)
	v_lshlrev_b32_e32 v21, 3, v21
	ds_store_b64 v21, v[17:18]
	s_or_b32 exec_lo, exec_lo, s8
	s_and_saveexec_b32 s8, s13
	s_cbranch_execz .LBB476_240
.LBB476_303:
	v_sub_nc_u32_e32 v17, v46, v65
	s_delay_alu instid0(VALU_DEP_1)
	v_lshlrev_b32_e32 v17, 3, v17
	ds_store_b64 v17, v[19:20]
	s_or_b32 exec_lo, exec_lo, s8
	s_and_saveexec_b32 s8, s10
	s_cbranch_execz .LBB476_241
.LBB476_304:
	v_sub_nc_u32_e32 v17, v45, v65
	s_delay_alu instid0(VALU_DEP_1)
	v_lshlrev_b32_e32 v17, 3, v17
	ds_store_b64 v17, v[13:14]
	s_or_b32 exec_lo, exec_lo, s8
	s_and_saveexec_b32 s8, s7
	s_cbranch_execz .LBB476_242
.LBB476_305:
	v_sub_nc_u32_e32 v13, v44, v65
	s_delay_alu instid0(VALU_DEP_1)
	v_lshlrev_b32_e32 v13, 3, v13
	ds_store_b64 v13, v[15:16]
	s_or_b32 exec_lo, exec_lo, s8
	s_and_saveexec_b32 s7, s6
	s_cbranch_execz .LBB476_243
.LBB476_306:
	v_sub_nc_u32_e32 v13, v43, v65
	s_delay_alu instid0(VALU_DEP_1)
	v_lshlrev_b32_e32 v13, 3, v13
	ds_store_b64 v13, v[9:10]
	s_or_b32 exec_lo, exec_lo, s7
	s_and_saveexec_b32 s6, s5
	s_cbranch_execz .LBB476_244
.LBB476_307:
	v_sub_nc_u32_e32 v9, v42, v65
	s_delay_alu instid0(VALU_DEP_1)
	v_lshlrev_b32_e32 v9, 3, v9
	ds_store_b64 v9, v[11:12]
	s_or_b32 exec_lo, exec_lo, s6
	s_and_saveexec_b32 s5, s4
	s_cbranch_execz .LBB476_245
.LBB476_308:
	v_sub_nc_u32_e32 v9, v41, v65
	s_delay_alu instid0(VALU_DEP_1)
	v_lshlrev_b32_e32 v9, 3, v9
	ds_store_b64 v9, v[5:6]
	s_or_b32 exec_lo, exec_lo, s5
	s_and_saveexec_b32 s4, s3
	s_cbranch_execz .LBB476_246
.LBB476_309:
	v_sub_nc_u32_e32 v5, v40, v65
	s_delay_alu instid0(VALU_DEP_1)
	v_lshlrev_b32_e32 v5, 3, v5
	ds_store_b64 v5, v[7:8]
	s_or_b32 exec_lo, exec_lo, s4
	s_and_saveexec_b32 s3, s2
	s_cbranch_execz .LBB476_247
.LBB476_310:
	v_sub_nc_u32_e32 v5, v39, v65
	s_delay_alu instid0(VALU_DEP_1)
	v_lshlrev_b32_e32 v5, 3, v5
	ds_store_b64 v5, v[1:2]
	s_or_b32 exec_lo, exec_lo, s3
	s_and_saveexec_b32 s2, s1
	s_cbranch_execnz .LBB476_248
	s_branch .LBB476_249
.LBB476_311:
	v_sub_nc_u32_e32 v10, v114, v8
	v_mov_b32_e32 v11, 0
	s_delay_alu instid0(VALU_DEP_1) | instskip(NEXT) | instid1(VALU_DEP_1)
	v_lshlrev_b64 v[10:11], 3, v[10:11]
	v_add_co_u32 v10, vcc_lo, v6, v10
	s_delay_alu instid0(VALU_DEP_2)
	v_add_co_ci_u32_e32 v11, vcc_lo, v7, v11, vcc_lo
	global_store_b64 v[10:11], v[77:78], off
	s_or_b32 exec_lo, exec_lo, s17
	s_and_saveexec_b32 s17, s13
	s_cbranch_execz .LBB476_253
.LBB476_312:
	v_sub_nc_u32_e32 v10, v48, v8
	v_mov_b32_e32 v11, 0
	s_delay_alu instid0(VALU_DEP_1) | instskip(NEXT) | instid1(VALU_DEP_1)
	v_lshlrev_b64 v[10:11], 3, v[10:11]
	v_add_co_u32 v10, vcc_lo, v6, v10
	s_delay_alu instid0(VALU_DEP_2)
	v_add_co_ci_u32_e32 v11, vcc_lo, v7, v11, vcc_lo
	global_store_b64 v[10:11], v[75:76], off
	s_or_b32 exec_lo, exec_lo, s17
	s_and_saveexec_b32 s17, s12
	s_cbranch_execz .LBB476_254
.LBB476_313:
	v_sub_nc_u32_e32 v10, v50, v8
	v_mov_b32_e32 v11, 0
	s_delay_alu instid0(VALU_DEP_1) | instskip(NEXT) | instid1(VALU_DEP_1)
	v_lshlrev_b64 v[10:11], 3, v[10:11]
	v_add_co_u32 v10, vcc_lo, v6, v10
	s_delay_alu instid0(VALU_DEP_2)
	v_add_co_ci_u32_e32 v11, vcc_lo, v7, v11, vcc_lo
	global_store_b64 v[10:11], v[81:82], off
	s_or_b32 exec_lo, exec_lo, s17
	s_and_saveexec_b32 s17, s11
	s_cbranch_execz .LBB476_255
.LBB476_314:
	v_sub_nc_u32_e32 v10, v49, v8
	v_mov_b32_e32 v11, 0
	s_delay_alu instid0(VALU_DEP_1) | instskip(NEXT) | instid1(VALU_DEP_1)
	v_lshlrev_b64 v[10:11], 3, v[10:11]
	v_add_co_u32 v10, vcc_lo, v6, v10
	s_delay_alu instid0(VALU_DEP_2)
	v_add_co_ci_u32_e32 v11, vcc_lo, v7, v11, vcc_lo
	global_store_b64 v[10:11], v[85:86], off
	s_or_b32 exec_lo, exec_lo, s17
	s_and_saveexec_b32 s17, s10
	s_cbranch_execz .LBB476_256
.LBB476_315:
	v_sub_nc_u32_e32 v10, v47, v8
	v_mov_b32_e32 v11, 0
	s_delay_alu instid0(VALU_DEP_1) | instskip(NEXT) | instid1(VALU_DEP_1)
	v_lshlrev_b64 v[10:11], 3, v[10:11]
	v_add_co_u32 v10, vcc_lo, v6, v10
	s_delay_alu instid0(VALU_DEP_2)
	v_add_co_ci_u32_e32 v11, vcc_lo, v7, v11, vcc_lo
	global_store_b64 v[10:11], v[67:68], off
	s_or_b32 exec_lo, exec_lo, s17
	s_and_saveexec_b32 s17, s9
	s_cbranch_execz .LBB476_257
.LBB476_316:
	v_sub_nc_u32_e32 v10, v46, v8
	v_mov_b32_e32 v11, 0
	s_delay_alu instid0(VALU_DEP_1) | instskip(NEXT) | instid1(VALU_DEP_1)
	v_lshlrev_b64 v[10:11], 3, v[10:11]
	v_add_co_u32 v10, vcc_lo, v6, v10
	s_delay_alu instid0(VALU_DEP_2)
	v_add_co_ci_u32_e32 v11, vcc_lo, v7, v11, vcc_lo
	global_store_b64 v[10:11], v[71:72], off
	s_or_b32 exec_lo, exec_lo, s17
	s_and_saveexec_b32 s17, s8
	s_cbranch_execz .LBB476_258
.LBB476_317:
	v_sub_nc_u32_e32 v10, v45, v8
	v_mov_b32_e32 v11, 0
	s_delay_alu instid0(VALU_DEP_1) | instskip(NEXT) | instid1(VALU_DEP_1)
	v_lshlrev_b64 v[10:11], 3, v[10:11]
	v_add_co_u32 v10, vcc_lo, v6, v10
	s_delay_alu instid0(VALU_DEP_2)
	v_add_co_ci_u32_e32 v11, vcc_lo, v7, v11, vcc_lo
	global_store_b64 v[10:11], v[79:80], off
	s_or_b32 exec_lo, exec_lo, s17
	s_and_saveexec_b32 s17, s7
	s_cbranch_execz .LBB476_259
.LBB476_318:
	v_sub_nc_u32_e32 v10, v44, v8
	v_mov_b32_e32 v11, 0
	s_delay_alu instid0(VALU_DEP_1) | instskip(NEXT) | instid1(VALU_DEP_1)
	v_lshlrev_b64 v[10:11], 3, v[10:11]
	v_add_co_u32 v10, vcc_lo, v6, v10
	s_delay_alu instid0(VALU_DEP_2)
	v_add_co_ci_u32_e32 v11, vcc_lo, v7, v11, vcc_lo
	global_store_b64 v[10:11], v[83:84], off
	s_or_b32 exec_lo, exec_lo, s17
	s_and_saveexec_b32 s17, s6
	s_cbranch_execz .LBB476_260
.LBB476_319:
	v_sub_nc_u32_e32 v10, v43, v8
	v_mov_b32_e32 v11, 0
	s_delay_alu instid0(VALU_DEP_1) | instskip(NEXT) | instid1(VALU_DEP_1)
	v_lshlrev_b64 v[10:11], 3, v[10:11]
	v_add_co_u32 v10, vcc_lo, v6, v10
	s_delay_alu instid0(VALU_DEP_2)
	v_add_co_ci_u32_e32 v11, vcc_lo, v7, v11, vcc_lo
	global_store_b64 v[10:11], v[87:88], off
	s_or_b32 exec_lo, exec_lo, s17
	s_and_saveexec_b32 s17, s5
	s_cbranch_execz .LBB476_261
.LBB476_320:
	v_sub_nc_u32_e32 v10, v42, v8
	v_mov_b32_e32 v11, 0
	s_delay_alu instid0(VALU_DEP_1) | instskip(NEXT) | instid1(VALU_DEP_1)
	v_lshlrev_b64 v[10:11], 3, v[10:11]
	v_add_co_u32 v10, vcc_lo, v6, v10
	s_delay_alu instid0(VALU_DEP_2)
	v_add_co_ci_u32_e32 v11, vcc_lo, v7, v11, vcc_lo
	global_store_b64 v[10:11], v[69:70], off
	s_or_b32 exec_lo, exec_lo, s17
	s_and_saveexec_b32 s17, s4
	s_cbranch_execz .LBB476_262
.LBB476_321:
	v_sub_nc_u32_e32 v10, v41, v8
	v_mov_b32_e32 v11, 0
	s_delay_alu instid0(VALU_DEP_1) | instskip(NEXT) | instid1(VALU_DEP_1)
	v_lshlrev_b64 v[10:11], 3, v[10:11]
	v_add_co_u32 v10, vcc_lo, v6, v10
	s_delay_alu instid0(VALU_DEP_2)
	v_add_co_ci_u32_e32 v11, vcc_lo, v7, v11, vcc_lo
	global_store_b64 v[10:11], v[73:74], off
	s_or_b32 exec_lo, exec_lo, s17
	s_and_saveexec_b32 s17, s3
	s_cbranch_execz .LBB476_263
.LBB476_322:
	v_sub_nc_u32_e32 v10, v40, v8
	v_mov_b32_e32 v11, 0
	s_delay_alu instid0(VALU_DEP_1) | instskip(NEXT) | instid1(VALU_DEP_1)
	v_lshlrev_b64 v[10:11], 3, v[10:11]
	v_add_co_u32 v10, vcc_lo, v6, v10
	s_delay_alu instid0(VALU_DEP_2)
	v_add_co_ci_u32_e32 v11, vcc_lo, v7, v11, vcc_lo
	global_store_b64 v[10:11], v[89:90], off
	s_or_b32 exec_lo, exec_lo, s17
	s_and_saveexec_b32 s17, s2
	s_cbranch_execz .LBB476_264
.LBB476_323:
	v_sub_nc_u32_e32 v10, v39, v8
	v_mov_b32_e32 v11, 0
	s_delay_alu instid0(VALU_DEP_1) | instskip(NEXT) | instid1(VALU_DEP_1)
	v_lshlrev_b64 v[10:11], 3, v[10:11]
	v_add_co_u32 v10, vcc_lo, v6, v10
	s_delay_alu instid0(VALU_DEP_2)
	v_add_co_ci_u32_e32 v11, vcc_lo, v7, v11, vcc_lo
	global_store_b64 v[10:11], v[93:94], off
	s_or_b32 exec_lo, exec_lo, s17
	s_and_saveexec_b32 s17, s1
	s_cbranch_execnz .LBB476_265
	s_branch .LBB476_266
.LBB476_324:
	v_sub_nc_u32_e32 v9, v114, v8
	s_delay_alu instid0(VALU_DEP_1)
	v_lshlrev_b32_e32 v9, 3, v9
	ds_store_b64 v9, v[77:78]
	s_or_b32 exec_lo, exec_lo, s17
	s_and_saveexec_b32 s14, s13
	s_cbranch_execz .LBB476_270
.LBB476_325:
	v_sub_nc_u32_e32 v9, v48, v8
	s_delay_alu instid0(VALU_DEP_1)
	v_lshlrev_b32_e32 v9, 3, v9
	ds_store_b64 v9, v[75:76]
	s_or_b32 exec_lo, exec_lo, s14
	s_and_saveexec_b32 s13, s12
	s_cbranch_execz .LBB476_271
.LBB476_326:
	v_sub_nc_u32_e32 v9, v50, v8
	s_delay_alu instid0(VALU_DEP_1)
	v_lshlrev_b32_e32 v9, 3, v9
	ds_store_b64 v9, v[81:82]
	s_or_b32 exec_lo, exec_lo, s13
	s_and_saveexec_b32 s12, s11
	s_cbranch_execz .LBB476_272
.LBB476_327:
	v_sub_nc_u32_e32 v9, v49, v8
	s_delay_alu instid0(VALU_DEP_1)
	v_lshlrev_b32_e32 v9, 3, v9
	ds_store_b64 v9, v[85:86]
	s_or_b32 exec_lo, exec_lo, s12
	s_and_saveexec_b32 s11, s10
	s_cbranch_execz .LBB476_273
.LBB476_328:
	v_sub_nc_u32_e32 v9, v47, v8
	s_delay_alu instid0(VALU_DEP_1)
	v_lshlrev_b32_e32 v9, 3, v9
	ds_store_b64 v9, v[67:68]
	s_or_b32 exec_lo, exec_lo, s11
	s_and_saveexec_b32 s10, s9
	s_cbranch_execz .LBB476_274
.LBB476_329:
	v_sub_nc_u32_e32 v9, v46, v8
	s_delay_alu instid0(VALU_DEP_1)
	v_lshlrev_b32_e32 v9, 3, v9
	ds_store_b64 v9, v[71:72]
	s_or_b32 exec_lo, exec_lo, s10
	s_and_saveexec_b32 s9, s8
	s_cbranch_execz .LBB476_275
.LBB476_330:
	v_sub_nc_u32_e32 v9, v45, v8
	s_delay_alu instid0(VALU_DEP_1)
	v_lshlrev_b32_e32 v9, 3, v9
	ds_store_b64 v9, v[79:80]
	s_or_b32 exec_lo, exec_lo, s9
	s_and_saveexec_b32 s8, s7
	s_cbranch_execz .LBB476_276
.LBB476_331:
	v_sub_nc_u32_e32 v9, v44, v8
	s_delay_alu instid0(VALU_DEP_1)
	v_lshlrev_b32_e32 v9, 3, v9
	ds_store_b64 v9, v[83:84]
	s_or_b32 exec_lo, exec_lo, s8
	s_and_saveexec_b32 s7, s6
	s_cbranch_execz .LBB476_277
.LBB476_332:
	v_sub_nc_u32_e32 v9, v43, v8
	s_delay_alu instid0(VALU_DEP_1)
	v_lshlrev_b32_e32 v9, 3, v9
	ds_store_b64 v9, v[87:88]
	s_or_b32 exec_lo, exec_lo, s7
	s_and_saveexec_b32 s6, s5
	s_cbranch_execz .LBB476_278
.LBB476_333:
	v_sub_nc_u32_e32 v9, v42, v8
	s_delay_alu instid0(VALU_DEP_1)
	v_lshlrev_b32_e32 v9, 3, v9
	ds_store_b64 v9, v[69:70]
	s_or_b32 exec_lo, exec_lo, s6
	s_and_saveexec_b32 s5, s4
	s_cbranch_execz .LBB476_279
.LBB476_334:
	v_sub_nc_u32_e32 v9, v41, v8
	s_delay_alu instid0(VALU_DEP_1)
	v_lshlrev_b32_e32 v9, 3, v9
	ds_store_b64 v9, v[73:74]
	s_or_b32 exec_lo, exec_lo, s5
	s_and_saveexec_b32 s4, s3
	s_cbranch_execz .LBB476_280
.LBB476_335:
	v_sub_nc_u32_e32 v9, v40, v8
	s_delay_alu instid0(VALU_DEP_1)
	v_lshlrev_b32_e32 v9, 3, v9
	ds_store_b64 v9, v[89:90]
	s_or_b32 exec_lo, exec_lo, s4
	s_and_saveexec_b32 s3, s2
	s_cbranch_execz .LBB476_281
.LBB476_336:
	v_sub_nc_u32_e32 v9, v39, v8
	s_delay_alu instid0(VALU_DEP_1)
	v_lshlrev_b32_e32 v9, 3, v9
	ds_store_b64 v9, v[93:94]
	s_or_b32 exec_lo, exec_lo, s3
	s_and_saveexec_b32 s2, s1
	s_cbranch_execnz .LBB476_282
	s_branch .LBB476_283
	.section	.rodata,"a",@progbits
	.p2align	6, 0x0
	.amdhsa_kernel _ZN7rocprim17ROCPRIM_400000_NS6detail17trampoline_kernelINS0_14default_configENS1_29reduce_by_key_config_selectorIxxN6thrust23THRUST_200600_302600_NS4plusIxEEEEZZNS1_33reduce_by_key_impl_wrapped_configILNS1_25lookback_scan_determinismE0ES3_S9_NS6_6detail15normal_iteratorINS6_10device_ptrIxEEEESG_SG_SG_PmS8_NS6_8equal_toIxEEEE10hipError_tPvRmT2_T3_mT4_T5_T6_T7_T8_P12ihipStream_tbENKUlT_T0_E_clISt17integral_constantIbLb0EES11_EEDaSW_SX_EUlSW_E_NS1_11comp_targetILNS1_3genE9ELNS1_11target_archE1100ELNS1_3gpuE3ELNS1_3repE0EEENS1_30default_config_static_selectorELNS0_4arch9wavefront6targetE0EEEvT1_
		.amdhsa_group_segment_fixed_size 30720
		.amdhsa_private_segment_fixed_size 0
		.amdhsa_kernarg_size 136
		.amdhsa_user_sgpr_count 15
		.amdhsa_user_sgpr_dispatch_ptr 0
		.amdhsa_user_sgpr_queue_ptr 0
		.amdhsa_user_sgpr_kernarg_segment_ptr 1
		.amdhsa_user_sgpr_dispatch_id 0
		.amdhsa_user_sgpr_private_segment_size 0
		.amdhsa_wavefront_size32 1
		.amdhsa_uses_dynamic_stack 0
		.amdhsa_enable_private_segment 0
		.amdhsa_system_sgpr_workgroup_id_x 1
		.amdhsa_system_sgpr_workgroup_id_y 0
		.amdhsa_system_sgpr_workgroup_id_z 0
		.amdhsa_system_sgpr_workgroup_info 0
		.amdhsa_system_vgpr_workitem_id 0
		.amdhsa_next_free_vgpr 121
		.amdhsa_next_free_sgpr 52
		.amdhsa_reserve_vcc 1
		.amdhsa_float_round_mode_32 0
		.amdhsa_float_round_mode_16_64 0
		.amdhsa_float_denorm_mode_32 3
		.amdhsa_float_denorm_mode_16_64 3
		.amdhsa_dx10_clamp 1
		.amdhsa_ieee_mode 1
		.amdhsa_fp16_overflow 0
		.amdhsa_workgroup_processor_mode 1
		.amdhsa_memory_ordered 1
		.amdhsa_forward_progress 0
		.amdhsa_shared_vgpr_count 0
		.amdhsa_exception_fp_ieee_invalid_op 0
		.amdhsa_exception_fp_denorm_src 0
		.amdhsa_exception_fp_ieee_div_zero 0
		.amdhsa_exception_fp_ieee_overflow 0
		.amdhsa_exception_fp_ieee_underflow 0
		.amdhsa_exception_fp_ieee_inexact 0
		.amdhsa_exception_int_div_zero 0
	.end_amdhsa_kernel
	.section	.text._ZN7rocprim17ROCPRIM_400000_NS6detail17trampoline_kernelINS0_14default_configENS1_29reduce_by_key_config_selectorIxxN6thrust23THRUST_200600_302600_NS4plusIxEEEEZZNS1_33reduce_by_key_impl_wrapped_configILNS1_25lookback_scan_determinismE0ES3_S9_NS6_6detail15normal_iteratorINS6_10device_ptrIxEEEESG_SG_SG_PmS8_NS6_8equal_toIxEEEE10hipError_tPvRmT2_T3_mT4_T5_T6_T7_T8_P12ihipStream_tbENKUlT_T0_E_clISt17integral_constantIbLb0EES11_EEDaSW_SX_EUlSW_E_NS1_11comp_targetILNS1_3genE9ELNS1_11target_archE1100ELNS1_3gpuE3ELNS1_3repE0EEENS1_30default_config_static_selectorELNS0_4arch9wavefront6targetE0EEEvT1_,"axG",@progbits,_ZN7rocprim17ROCPRIM_400000_NS6detail17trampoline_kernelINS0_14default_configENS1_29reduce_by_key_config_selectorIxxN6thrust23THRUST_200600_302600_NS4plusIxEEEEZZNS1_33reduce_by_key_impl_wrapped_configILNS1_25lookback_scan_determinismE0ES3_S9_NS6_6detail15normal_iteratorINS6_10device_ptrIxEEEESG_SG_SG_PmS8_NS6_8equal_toIxEEEE10hipError_tPvRmT2_T3_mT4_T5_T6_T7_T8_P12ihipStream_tbENKUlT_T0_E_clISt17integral_constantIbLb0EES11_EEDaSW_SX_EUlSW_E_NS1_11comp_targetILNS1_3genE9ELNS1_11target_archE1100ELNS1_3gpuE3ELNS1_3repE0EEENS1_30default_config_static_selectorELNS0_4arch9wavefront6targetE0EEEvT1_,comdat
.Lfunc_end476:
	.size	_ZN7rocprim17ROCPRIM_400000_NS6detail17trampoline_kernelINS0_14default_configENS1_29reduce_by_key_config_selectorIxxN6thrust23THRUST_200600_302600_NS4plusIxEEEEZZNS1_33reduce_by_key_impl_wrapped_configILNS1_25lookback_scan_determinismE0ES3_S9_NS6_6detail15normal_iteratorINS6_10device_ptrIxEEEESG_SG_SG_PmS8_NS6_8equal_toIxEEEE10hipError_tPvRmT2_T3_mT4_T5_T6_T7_T8_P12ihipStream_tbENKUlT_T0_E_clISt17integral_constantIbLb0EES11_EEDaSW_SX_EUlSW_E_NS1_11comp_targetILNS1_3genE9ELNS1_11target_archE1100ELNS1_3gpuE3ELNS1_3repE0EEENS1_30default_config_static_selectorELNS0_4arch9wavefront6targetE0EEEvT1_, .Lfunc_end476-_ZN7rocprim17ROCPRIM_400000_NS6detail17trampoline_kernelINS0_14default_configENS1_29reduce_by_key_config_selectorIxxN6thrust23THRUST_200600_302600_NS4plusIxEEEEZZNS1_33reduce_by_key_impl_wrapped_configILNS1_25lookback_scan_determinismE0ES3_S9_NS6_6detail15normal_iteratorINS6_10device_ptrIxEEEESG_SG_SG_PmS8_NS6_8equal_toIxEEEE10hipError_tPvRmT2_T3_mT4_T5_T6_T7_T8_P12ihipStream_tbENKUlT_T0_E_clISt17integral_constantIbLb0EES11_EEDaSW_SX_EUlSW_E_NS1_11comp_targetILNS1_3genE9ELNS1_11target_archE1100ELNS1_3gpuE3ELNS1_3repE0EEENS1_30default_config_static_selectorELNS0_4arch9wavefront6targetE0EEEvT1_
                                        ; -- End function
	.section	.AMDGPU.csdata,"",@progbits
; Kernel info:
; codeLenInByte = 19000
; NumSgprs: 54
; NumVgprs: 121
; ScratchSize: 0
; MemoryBound: 0
; FloatMode: 240
; IeeeMode: 1
; LDSByteSize: 30720 bytes/workgroup (compile time only)
; SGPRBlocks: 6
; VGPRBlocks: 15
; NumSGPRsForWavesPerEU: 54
; NumVGPRsForWavesPerEU: 121
; Occupancy: 8
; WaveLimiterHint : 1
; COMPUTE_PGM_RSRC2:SCRATCH_EN: 0
; COMPUTE_PGM_RSRC2:USER_SGPR: 15
; COMPUTE_PGM_RSRC2:TRAP_HANDLER: 0
; COMPUTE_PGM_RSRC2:TGID_X_EN: 1
; COMPUTE_PGM_RSRC2:TGID_Y_EN: 0
; COMPUTE_PGM_RSRC2:TGID_Z_EN: 0
; COMPUTE_PGM_RSRC2:TIDIG_COMP_CNT: 0
	.section	.text._ZN7rocprim17ROCPRIM_400000_NS6detail17trampoline_kernelINS0_14default_configENS1_29reduce_by_key_config_selectorIxxN6thrust23THRUST_200600_302600_NS4plusIxEEEEZZNS1_33reduce_by_key_impl_wrapped_configILNS1_25lookback_scan_determinismE0ES3_S9_NS6_6detail15normal_iteratorINS6_10device_ptrIxEEEESG_SG_SG_PmS8_NS6_8equal_toIxEEEE10hipError_tPvRmT2_T3_mT4_T5_T6_T7_T8_P12ihipStream_tbENKUlT_T0_E_clISt17integral_constantIbLb0EES11_EEDaSW_SX_EUlSW_E_NS1_11comp_targetILNS1_3genE8ELNS1_11target_archE1030ELNS1_3gpuE2ELNS1_3repE0EEENS1_30default_config_static_selectorELNS0_4arch9wavefront6targetE0EEEvT1_,"axG",@progbits,_ZN7rocprim17ROCPRIM_400000_NS6detail17trampoline_kernelINS0_14default_configENS1_29reduce_by_key_config_selectorIxxN6thrust23THRUST_200600_302600_NS4plusIxEEEEZZNS1_33reduce_by_key_impl_wrapped_configILNS1_25lookback_scan_determinismE0ES3_S9_NS6_6detail15normal_iteratorINS6_10device_ptrIxEEEESG_SG_SG_PmS8_NS6_8equal_toIxEEEE10hipError_tPvRmT2_T3_mT4_T5_T6_T7_T8_P12ihipStream_tbENKUlT_T0_E_clISt17integral_constantIbLb0EES11_EEDaSW_SX_EUlSW_E_NS1_11comp_targetILNS1_3genE8ELNS1_11target_archE1030ELNS1_3gpuE2ELNS1_3repE0EEENS1_30default_config_static_selectorELNS0_4arch9wavefront6targetE0EEEvT1_,comdat
	.protected	_ZN7rocprim17ROCPRIM_400000_NS6detail17trampoline_kernelINS0_14default_configENS1_29reduce_by_key_config_selectorIxxN6thrust23THRUST_200600_302600_NS4plusIxEEEEZZNS1_33reduce_by_key_impl_wrapped_configILNS1_25lookback_scan_determinismE0ES3_S9_NS6_6detail15normal_iteratorINS6_10device_ptrIxEEEESG_SG_SG_PmS8_NS6_8equal_toIxEEEE10hipError_tPvRmT2_T3_mT4_T5_T6_T7_T8_P12ihipStream_tbENKUlT_T0_E_clISt17integral_constantIbLb0EES11_EEDaSW_SX_EUlSW_E_NS1_11comp_targetILNS1_3genE8ELNS1_11target_archE1030ELNS1_3gpuE2ELNS1_3repE0EEENS1_30default_config_static_selectorELNS0_4arch9wavefront6targetE0EEEvT1_ ; -- Begin function _ZN7rocprim17ROCPRIM_400000_NS6detail17trampoline_kernelINS0_14default_configENS1_29reduce_by_key_config_selectorIxxN6thrust23THRUST_200600_302600_NS4plusIxEEEEZZNS1_33reduce_by_key_impl_wrapped_configILNS1_25lookback_scan_determinismE0ES3_S9_NS6_6detail15normal_iteratorINS6_10device_ptrIxEEEESG_SG_SG_PmS8_NS6_8equal_toIxEEEE10hipError_tPvRmT2_T3_mT4_T5_T6_T7_T8_P12ihipStream_tbENKUlT_T0_E_clISt17integral_constantIbLb0EES11_EEDaSW_SX_EUlSW_E_NS1_11comp_targetILNS1_3genE8ELNS1_11target_archE1030ELNS1_3gpuE2ELNS1_3repE0EEENS1_30default_config_static_selectorELNS0_4arch9wavefront6targetE0EEEvT1_
	.globl	_ZN7rocprim17ROCPRIM_400000_NS6detail17trampoline_kernelINS0_14default_configENS1_29reduce_by_key_config_selectorIxxN6thrust23THRUST_200600_302600_NS4plusIxEEEEZZNS1_33reduce_by_key_impl_wrapped_configILNS1_25lookback_scan_determinismE0ES3_S9_NS6_6detail15normal_iteratorINS6_10device_ptrIxEEEESG_SG_SG_PmS8_NS6_8equal_toIxEEEE10hipError_tPvRmT2_T3_mT4_T5_T6_T7_T8_P12ihipStream_tbENKUlT_T0_E_clISt17integral_constantIbLb0EES11_EEDaSW_SX_EUlSW_E_NS1_11comp_targetILNS1_3genE8ELNS1_11target_archE1030ELNS1_3gpuE2ELNS1_3repE0EEENS1_30default_config_static_selectorELNS0_4arch9wavefront6targetE0EEEvT1_
	.p2align	8
	.type	_ZN7rocprim17ROCPRIM_400000_NS6detail17trampoline_kernelINS0_14default_configENS1_29reduce_by_key_config_selectorIxxN6thrust23THRUST_200600_302600_NS4plusIxEEEEZZNS1_33reduce_by_key_impl_wrapped_configILNS1_25lookback_scan_determinismE0ES3_S9_NS6_6detail15normal_iteratorINS6_10device_ptrIxEEEESG_SG_SG_PmS8_NS6_8equal_toIxEEEE10hipError_tPvRmT2_T3_mT4_T5_T6_T7_T8_P12ihipStream_tbENKUlT_T0_E_clISt17integral_constantIbLb0EES11_EEDaSW_SX_EUlSW_E_NS1_11comp_targetILNS1_3genE8ELNS1_11target_archE1030ELNS1_3gpuE2ELNS1_3repE0EEENS1_30default_config_static_selectorELNS0_4arch9wavefront6targetE0EEEvT1_,@function
_ZN7rocprim17ROCPRIM_400000_NS6detail17trampoline_kernelINS0_14default_configENS1_29reduce_by_key_config_selectorIxxN6thrust23THRUST_200600_302600_NS4plusIxEEEEZZNS1_33reduce_by_key_impl_wrapped_configILNS1_25lookback_scan_determinismE0ES3_S9_NS6_6detail15normal_iteratorINS6_10device_ptrIxEEEESG_SG_SG_PmS8_NS6_8equal_toIxEEEE10hipError_tPvRmT2_T3_mT4_T5_T6_T7_T8_P12ihipStream_tbENKUlT_T0_E_clISt17integral_constantIbLb0EES11_EEDaSW_SX_EUlSW_E_NS1_11comp_targetILNS1_3genE8ELNS1_11target_archE1030ELNS1_3gpuE2ELNS1_3repE0EEENS1_30default_config_static_selectorELNS0_4arch9wavefront6targetE0EEEvT1_: ; @_ZN7rocprim17ROCPRIM_400000_NS6detail17trampoline_kernelINS0_14default_configENS1_29reduce_by_key_config_selectorIxxN6thrust23THRUST_200600_302600_NS4plusIxEEEEZZNS1_33reduce_by_key_impl_wrapped_configILNS1_25lookback_scan_determinismE0ES3_S9_NS6_6detail15normal_iteratorINS6_10device_ptrIxEEEESG_SG_SG_PmS8_NS6_8equal_toIxEEEE10hipError_tPvRmT2_T3_mT4_T5_T6_T7_T8_P12ihipStream_tbENKUlT_T0_E_clISt17integral_constantIbLb0EES11_EEDaSW_SX_EUlSW_E_NS1_11comp_targetILNS1_3genE8ELNS1_11target_archE1030ELNS1_3gpuE2ELNS1_3repE0EEENS1_30default_config_static_selectorELNS0_4arch9wavefront6targetE0EEEvT1_
; %bb.0:
	.section	.rodata,"a",@progbits
	.p2align	6, 0x0
	.amdhsa_kernel _ZN7rocprim17ROCPRIM_400000_NS6detail17trampoline_kernelINS0_14default_configENS1_29reduce_by_key_config_selectorIxxN6thrust23THRUST_200600_302600_NS4plusIxEEEEZZNS1_33reduce_by_key_impl_wrapped_configILNS1_25lookback_scan_determinismE0ES3_S9_NS6_6detail15normal_iteratorINS6_10device_ptrIxEEEESG_SG_SG_PmS8_NS6_8equal_toIxEEEE10hipError_tPvRmT2_T3_mT4_T5_T6_T7_T8_P12ihipStream_tbENKUlT_T0_E_clISt17integral_constantIbLb0EES11_EEDaSW_SX_EUlSW_E_NS1_11comp_targetILNS1_3genE8ELNS1_11target_archE1030ELNS1_3gpuE2ELNS1_3repE0EEENS1_30default_config_static_selectorELNS0_4arch9wavefront6targetE0EEEvT1_
		.amdhsa_group_segment_fixed_size 0
		.amdhsa_private_segment_fixed_size 0
		.amdhsa_kernarg_size 136
		.amdhsa_user_sgpr_count 15
		.amdhsa_user_sgpr_dispatch_ptr 0
		.amdhsa_user_sgpr_queue_ptr 0
		.amdhsa_user_sgpr_kernarg_segment_ptr 1
		.amdhsa_user_sgpr_dispatch_id 0
		.amdhsa_user_sgpr_private_segment_size 0
		.amdhsa_wavefront_size32 1
		.amdhsa_uses_dynamic_stack 0
		.amdhsa_enable_private_segment 0
		.amdhsa_system_sgpr_workgroup_id_x 1
		.amdhsa_system_sgpr_workgroup_id_y 0
		.amdhsa_system_sgpr_workgroup_id_z 0
		.amdhsa_system_sgpr_workgroup_info 0
		.amdhsa_system_vgpr_workitem_id 0
		.amdhsa_next_free_vgpr 1
		.amdhsa_next_free_sgpr 1
		.amdhsa_reserve_vcc 0
		.amdhsa_float_round_mode_32 0
		.amdhsa_float_round_mode_16_64 0
		.amdhsa_float_denorm_mode_32 3
		.amdhsa_float_denorm_mode_16_64 3
		.amdhsa_dx10_clamp 1
		.amdhsa_ieee_mode 1
		.amdhsa_fp16_overflow 0
		.amdhsa_workgroup_processor_mode 1
		.amdhsa_memory_ordered 1
		.amdhsa_forward_progress 0
		.amdhsa_shared_vgpr_count 0
		.amdhsa_exception_fp_ieee_invalid_op 0
		.amdhsa_exception_fp_denorm_src 0
		.amdhsa_exception_fp_ieee_div_zero 0
		.amdhsa_exception_fp_ieee_overflow 0
		.amdhsa_exception_fp_ieee_underflow 0
		.amdhsa_exception_fp_ieee_inexact 0
		.amdhsa_exception_int_div_zero 0
	.end_amdhsa_kernel
	.section	.text._ZN7rocprim17ROCPRIM_400000_NS6detail17trampoline_kernelINS0_14default_configENS1_29reduce_by_key_config_selectorIxxN6thrust23THRUST_200600_302600_NS4plusIxEEEEZZNS1_33reduce_by_key_impl_wrapped_configILNS1_25lookback_scan_determinismE0ES3_S9_NS6_6detail15normal_iteratorINS6_10device_ptrIxEEEESG_SG_SG_PmS8_NS6_8equal_toIxEEEE10hipError_tPvRmT2_T3_mT4_T5_T6_T7_T8_P12ihipStream_tbENKUlT_T0_E_clISt17integral_constantIbLb0EES11_EEDaSW_SX_EUlSW_E_NS1_11comp_targetILNS1_3genE8ELNS1_11target_archE1030ELNS1_3gpuE2ELNS1_3repE0EEENS1_30default_config_static_selectorELNS0_4arch9wavefront6targetE0EEEvT1_,"axG",@progbits,_ZN7rocprim17ROCPRIM_400000_NS6detail17trampoline_kernelINS0_14default_configENS1_29reduce_by_key_config_selectorIxxN6thrust23THRUST_200600_302600_NS4plusIxEEEEZZNS1_33reduce_by_key_impl_wrapped_configILNS1_25lookback_scan_determinismE0ES3_S9_NS6_6detail15normal_iteratorINS6_10device_ptrIxEEEESG_SG_SG_PmS8_NS6_8equal_toIxEEEE10hipError_tPvRmT2_T3_mT4_T5_T6_T7_T8_P12ihipStream_tbENKUlT_T0_E_clISt17integral_constantIbLb0EES11_EEDaSW_SX_EUlSW_E_NS1_11comp_targetILNS1_3genE8ELNS1_11target_archE1030ELNS1_3gpuE2ELNS1_3repE0EEENS1_30default_config_static_selectorELNS0_4arch9wavefront6targetE0EEEvT1_,comdat
.Lfunc_end477:
	.size	_ZN7rocprim17ROCPRIM_400000_NS6detail17trampoline_kernelINS0_14default_configENS1_29reduce_by_key_config_selectorIxxN6thrust23THRUST_200600_302600_NS4plusIxEEEEZZNS1_33reduce_by_key_impl_wrapped_configILNS1_25lookback_scan_determinismE0ES3_S9_NS6_6detail15normal_iteratorINS6_10device_ptrIxEEEESG_SG_SG_PmS8_NS6_8equal_toIxEEEE10hipError_tPvRmT2_T3_mT4_T5_T6_T7_T8_P12ihipStream_tbENKUlT_T0_E_clISt17integral_constantIbLb0EES11_EEDaSW_SX_EUlSW_E_NS1_11comp_targetILNS1_3genE8ELNS1_11target_archE1030ELNS1_3gpuE2ELNS1_3repE0EEENS1_30default_config_static_selectorELNS0_4arch9wavefront6targetE0EEEvT1_, .Lfunc_end477-_ZN7rocprim17ROCPRIM_400000_NS6detail17trampoline_kernelINS0_14default_configENS1_29reduce_by_key_config_selectorIxxN6thrust23THRUST_200600_302600_NS4plusIxEEEEZZNS1_33reduce_by_key_impl_wrapped_configILNS1_25lookback_scan_determinismE0ES3_S9_NS6_6detail15normal_iteratorINS6_10device_ptrIxEEEESG_SG_SG_PmS8_NS6_8equal_toIxEEEE10hipError_tPvRmT2_T3_mT4_T5_T6_T7_T8_P12ihipStream_tbENKUlT_T0_E_clISt17integral_constantIbLb0EES11_EEDaSW_SX_EUlSW_E_NS1_11comp_targetILNS1_3genE8ELNS1_11target_archE1030ELNS1_3gpuE2ELNS1_3repE0EEENS1_30default_config_static_selectorELNS0_4arch9wavefront6targetE0EEEvT1_
                                        ; -- End function
	.section	.AMDGPU.csdata,"",@progbits
; Kernel info:
; codeLenInByte = 0
; NumSgprs: 0
; NumVgprs: 0
; ScratchSize: 0
; MemoryBound: 0
; FloatMode: 240
; IeeeMode: 1
; LDSByteSize: 0 bytes/workgroup (compile time only)
; SGPRBlocks: 0
; VGPRBlocks: 0
; NumSGPRsForWavesPerEU: 1
; NumVGPRsForWavesPerEU: 1
; Occupancy: 16
; WaveLimiterHint : 0
; COMPUTE_PGM_RSRC2:SCRATCH_EN: 0
; COMPUTE_PGM_RSRC2:USER_SGPR: 15
; COMPUTE_PGM_RSRC2:TRAP_HANDLER: 0
; COMPUTE_PGM_RSRC2:TGID_X_EN: 1
; COMPUTE_PGM_RSRC2:TGID_Y_EN: 0
; COMPUTE_PGM_RSRC2:TGID_Z_EN: 0
; COMPUTE_PGM_RSRC2:TIDIG_COMP_CNT: 0
	.section	.text._ZN7rocprim17ROCPRIM_400000_NS6detail25reduce_by_key_init_kernelINS1_19lookback_scan_stateINS0_5tupleIJjxEEELb1ELb0EEExNS1_16block_id_wrapperIjLb1EEEEEvT_jbjPmPT0_T1_,"axG",@progbits,_ZN7rocprim17ROCPRIM_400000_NS6detail25reduce_by_key_init_kernelINS1_19lookback_scan_stateINS0_5tupleIJjxEEELb1ELb0EEExNS1_16block_id_wrapperIjLb1EEEEEvT_jbjPmPT0_T1_,comdat
	.protected	_ZN7rocprim17ROCPRIM_400000_NS6detail25reduce_by_key_init_kernelINS1_19lookback_scan_stateINS0_5tupleIJjxEEELb1ELb0EEExNS1_16block_id_wrapperIjLb1EEEEEvT_jbjPmPT0_T1_ ; -- Begin function _ZN7rocprim17ROCPRIM_400000_NS6detail25reduce_by_key_init_kernelINS1_19lookback_scan_stateINS0_5tupleIJjxEEELb1ELb0EEExNS1_16block_id_wrapperIjLb1EEEEEvT_jbjPmPT0_T1_
	.globl	_ZN7rocprim17ROCPRIM_400000_NS6detail25reduce_by_key_init_kernelINS1_19lookback_scan_stateINS0_5tupleIJjxEEELb1ELb0EEExNS1_16block_id_wrapperIjLb1EEEEEvT_jbjPmPT0_T1_
	.p2align	8
	.type	_ZN7rocprim17ROCPRIM_400000_NS6detail25reduce_by_key_init_kernelINS1_19lookback_scan_stateINS0_5tupleIJjxEEELb1ELb0EEExNS1_16block_id_wrapperIjLb1EEEEEvT_jbjPmPT0_T1_,@function
_ZN7rocprim17ROCPRIM_400000_NS6detail25reduce_by_key_init_kernelINS1_19lookback_scan_stateINS0_5tupleIJjxEEELb1ELb0EEExNS1_16block_id_wrapperIjLb1EEEEEvT_jbjPmPT0_T1_: ; @_ZN7rocprim17ROCPRIM_400000_NS6detail25reduce_by_key_init_kernelINS1_19lookback_scan_stateINS0_5tupleIJjxEEELb1ELb0EEExNS1_16block_id_wrapperIjLb1EEEEEvT_jbjPmPT0_T1_
; %bb.0:
	s_clause 0x3
	s_load_b32 s2, s[0:1], 0x4c
	s_load_b256 s[4:11], s[0:1], 0x18
	s_load_b64 s[16:17], s[0:1], 0x38
	s_load_b64 s[12:13], s[0:1], 0x10
	s_waitcnt lgkmcnt(0)
	s_and_b32 s2, s2, 0xffff
	s_delay_alu instid0(SALU_CYCLE_1) | instskip(SKIP_1) | instid1(SALU_CYCLE_1)
	v_mad_u64_u32 v[1:2], null, s15, s2, v[0:1]
	s_and_b32 s2, s5, 1
	s_cmp_eq_u32 s2, 0
	s_mov_b32 s2, -1
	s_cbranch_scc0 .LBB478_11
; %bb.1:
	s_cmp_lt_u32 s6, s4
	s_mov_b32 s5, exec_lo
	s_cselect_b32 s2, s6, 0
	s_delay_alu instid0(SALU_CYCLE_1)
	v_cmpx_eq_u32_e64 s2, v1
	s_cbranch_execz .LBB478_10
; %bb.2:
	s_add_i32 s6, s6, 32
	s_load_b128 s[0:3], s[0:1], 0x0
	v_mov_b32_e32 v0, s6
	s_add_u32 s14, s12, s6
	s_addc_u32 s15, s13, 0
	s_mov_b32 s7, 0
	global_load_u8 v0, v0, s[12:13] glc
	s_waitcnt vmcnt(0)
	v_cmp_ne_u16_e32 vcc_lo, 0, v0
	v_readfirstlane_b32 s18, v0
	s_cbranch_vccz .LBB478_4
; %bb.3:
	s_delay_alu instid0(VALU_DEP_1)
	s_and_b32 s14, 0xffff, s18
	s_branch .LBB478_9
.LBB478_4:
	v_mov_b32_e32 v0, 0
	s_mov_b32 s18, 1
.LBB478_5:                              ; =>This Loop Header: Depth=1
                                        ;     Child Loop BB478_6 Depth 2
	s_delay_alu instid0(SALU_CYCLE_1)
	s_max_u32 s19, s18, 1
.LBB478_6:                              ;   Parent Loop BB478_5 Depth=1
                                        ; =>  This Inner Loop Header: Depth=2
	s_delay_alu instid0(SALU_CYCLE_1)
	s_add_i32 s19, s19, -1
	s_sleep 1
	s_cmp_eq_u32 s19, 0
	s_cbranch_scc0 .LBB478_6
; %bb.7:                                ;   in Loop: Header=BB478_5 Depth=1
	global_load_u8 v2, v0, s[14:15] glc
	s_cmp_lt_u32 s18, 32
	s_cselect_b32 s19, -1, 0
	s_delay_alu instid0(SALU_CYCLE_1)
	s_cmp_lg_u32 s19, 0
	s_addc_u32 s18, s18, 0
	s_waitcnt vmcnt(0)
	v_cmp_ne_u16_e32 vcc_lo, 0, v2
	v_readfirstlane_b32 s19, v2
	s_cbranch_vccz .LBB478_5
; %bb.8:
	s_delay_alu instid0(VALU_DEP_1)
	s_and_b32 s14, 0xffff, s19
.LBB478_9:
	s_delay_alu instid0(SALU_CYCLE_1)
	s_cmp_eq_u32 s14, 1
	v_mov_b32_e32 v0, 0
	s_waitcnt lgkmcnt(0)
	s_cselect_b32 s3, s1, s3
	s_cselect_b32 s2, s0, s2
	s_lshl_b64 s[0:1], s[6:7], 4
	buffer_gl1_inv
	buffer_gl0_inv
	s_add_u32 s0, s2, s0
	s_addc_u32 s1, s3, s1
	s_clause 0x2
	global_load_b64 v[2:3], v0, s[8:9]
	global_load_b32 v6, v0, s[0:1]
	global_load_b64 v[4:5], v0, s[0:1] offset:8
	s_waitcnt vmcnt(1)
	v_add_co_u32 v2, vcc_lo, v2, v6
	v_add_co_ci_u32_e32 v3, vcc_lo, 0, v3, vcc_lo
	global_store_b64 v0, v[2:3], s[8:9]
	s_waitcnt vmcnt(0)
	global_store_b64 v0, v[4:5], s[10:11]
.LBB478_10:
	s_or_b32 exec_lo, exec_lo, s5
	s_mov_b32 s2, 0
.LBB478_11:
	s_delay_alu instid0(VALU_DEP_1)
	v_cmp_eq_u32_e64 s0, 0, v1
	s_and_not1_b32 vcc_lo, exec_lo, s2
	s_cbranch_vccnz .LBB478_15
; %bb.12:
	s_cmp_lg_u64 s[8:9], 0
	s_cselect_b32 s1, -1, 0
	s_delay_alu instid0(SALU_CYCLE_1) | instskip(NEXT) | instid1(SALU_CYCLE_1)
	s_and_b32 s1, s1, s0
	s_and_saveexec_b32 s0, s1
	s_cbranch_execz .LBB478_14
; %bb.13:
	v_mov_b32_e32 v2, 0
	s_delay_alu instid0(VALU_DEP_1)
	v_mov_b32_e32 v3, v2
	global_store_b64 v2, v[2:3], s[8:9]
.LBB478_14:
	s_or_b32 exec_lo, exec_lo, s0
.LBB478_15:
	s_delay_alu instid0(SALU_CYCLE_1)
	s_mov_b32 s0, exec_lo
	v_cmpx_eq_u32_e32 0, v1
	s_cbranch_execz .LBB478_17
; %bb.16:
	v_mov_b32_e32 v0, 0
	global_store_b32 v0, v0, s[16:17]
.LBB478_17:
	s_or_b32 exec_lo, exec_lo, s0
	s_delay_alu instid0(SALU_CYCLE_1)
	s_mov_b32 s0, exec_lo
	v_cmpx_gt_u32_e64 s4, v1
	s_cbranch_execz .LBB478_19
; %bb.18:
	v_add_nc_u32_e32 v0, 32, v1
	v_mov_b32_e32 v2, 0
	global_store_b8 v0, v2, s[12:13]
.LBB478_19:
	s_or_b32 exec_lo, exec_lo, s0
	s_delay_alu instid0(SALU_CYCLE_1)
	s_mov_b32 s0, exec_lo
	v_cmpx_gt_u32_e32 32, v1
	s_cbranch_execz .LBB478_21
; %bb.20:
	v_mov_b32_e32 v0, 0xff
	global_store_b8 v1, v0, s[12:13]
.LBB478_21:
	s_nop 0
	s_sendmsg sendmsg(MSG_DEALLOC_VGPRS)
	s_endpgm
	.section	.rodata,"a",@progbits
	.p2align	6, 0x0
	.amdhsa_kernel _ZN7rocprim17ROCPRIM_400000_NS6detail25reduce_by_key_init_kernelINS1_19lookback_scan_stateINS0_5tupleIJjxEEELb1ELb0EEExNS1_16block_id_wrapperIjLb1EEEEEvT_jbjPmPT0_T1_
		.amdhsa_group_segment_fixed_size 0
		.amdhsa_private_segment_fixed_size 0
		.amdhsa_kernarg_size 320
		.amdhsa_user_sgpr_count 15
		.amdhsa_user_sgpr_dispatch_ptr 0
		.amdhsa_user_sgpr_queue_ptr 0
		.amdhsa_user_sgpr_kernarg_segment_ptr 1
		.amdhsa_user_sgpr_dispatch_id 0
		.amdhsa_user_sgpr_private_segment_size 0
		.amdhsa_wavefront_size32 1
		.amdhsa_uses_dynamic_stack 0
		.amdhsa_enable_private_segment 0
		.amdhsa_system_sgpr_workgroup_id_x 1
		.amdhsa_system_sgpr_workgroup_id_y 0
		.amdhsa_system_sgpr_workgroup_id_z 0
		.amdhsa_system_sgpr_workgroup_info 0
		.amdhsa_system_vgpr_workitem_id 0
		.amdhsa_next_free_vgpr 7
		.amdhsa_next_free_sgpr 20
		.amdhsa_reserve_vcc 1
		.amdhsa_float_round_mode_32 0
		.amdhsa_float_round_mode_16_64 0
		.amdhsa_float_denorm_mode_32 3
		.amdhsa_float_denorm_mode_16_64 3
		.amdhsa_dx10_clamp 1
		.amdhsa_ieee_mode 1
		.amdhsa_fp16_overflow 0
		.amdhsa_workgroup_processor_mode 1
		.amdhsa_memory_ordered 1
		.amdhsa_forward_progress 0
		.amdhsa_shared_vgpr_count 0
		.amdhsa_exception_fp_ieee_invalid_op 0
		.amdhsa_exception_fp_denorm_src 0
		.amdhsa_exception_fp_ieee_div_zero 0
		.amdhsa_exception_fp_ieee_overflow 0
		.amdhsa_exception_fp_ieee_underflow 0
		.amdhsa_exception_fp_ieee_inexact 0
		.amdhsa_exception_int_div_zero 0
	.end_amdhsa_kernel
	.section	.text._ZN7rocprim17ROCPRIM_400000_NS6detail25reduce_by_key_init_kernelINS1_19lookback_scan_stateINS0_5tupleIJjxEEELb1ELb0EEExNS1_16block_id_wrapperIjLb1EEEEEvT_jbjPmPT0_T1_,"axG",@progbits,_ZN7rocprim17ROCPRIM_400000_NS6detail25reduce_by_key_init_kernelINS1_19lookback_scan_stateINS0_5tupleIJjxEEELb1ELb0EEExNS1_16block_id_wrapperIjLb1EEEEEvT_jbjPmPT0_T1_,comdat
.Lfunc_end478:
	.size	_ZN7rocprim17ROCPRIM_400000_NS6detail25reduce_by_key_init_kernelINS1_19lookback_scan_stateINS0_5tupleIJjxEEELb1ELb0EEExNS1_16block_id_wrapperIjLb1EEEEEvT_jbjPmPT0_T1_, .Lfunc_end478-_ZN7rocprim17ROCPRIM_400000_NS6detail25reduce_by_key_init_kernelINS1_19lookback_scan_stateINS0_5tupleIJjxEEELb1ELb0EEExNS1_16block_id_wrapperIjLb1EEEEEvT_jbjPmPT0_T1_
                                        ; -- End function
	.section	.AMDGPU.csdata,"",@progbits
; Kernel info:
; codeLenInByte = 572
; NumSgprs: 22
; NumVgprs: 7
; ScratchSize: 0
; MemoryBound: 0
; FloatMode: 240
; IeeeMode: 1
; LDSByteSize: 0 bytes/workgroup (compile time only)
; SGPRBlocks: 2
; VGPRBlocks: 0
; NumSGPRsForWavesPerEU: 22
; NumVGPRsForWavesPerEU: 7
; Occupancy: 16
; WaveLimiterHint : 0
; COMPUTE_PGM_RSRC2:SCRATCH_EN: 0
; COMPUTE_PGM_RSRC2:USER_SGPR: 15
; COMPUTE_PGM_RSRC2:TRAP_HANDLER: 0
; COMPUTE_PGM_RSRC2:TGID_X_EN: 1
; COMPUTE_PGM_RSRC2:TGID_Y_EN: 0
; COMPUTE_PGM_RSRC2:TGID_Z_EN: 0
; COMPUTE_PGM_RSRC2:TIDIG_COMP_CNT: 0
	.section	.text._ZN7rocprim17ROCPRIM_400000_NS6detail17trampoline_kernelINS0_14default_configENS1_29reduce_by_key_config_selectorIxxN6thrust23THRUST_200600_302600_NS4plusIxEEEEZZNS1_33reduce_by_key_impl_wrapped_configILNS1_25lookback_scan_determinismE0ES3_S9_NS6_6detail15normal_iteratorINS6_10device_ptrIxEEEESG_SG_SG_PmS8_NS6_8equal_toIxEEEE10hipError_tPvRmT2_T3_mT4_T5_T6_T7_T8_P12ihipStream_tbENKUlT_T0_E_clISt17integral_constantIbLb1EES11_EEDaSW_SX_EUlSW_E_NS1_11comp_targetILNS1_3genE0ELNS1_11target_archE4294967295ELNS1_3gpuE0ELNS1_3repE0EEENS1_30default_config_static_selectorELNS0_4arch9wavefront6targetE0EEEvT1_,"axG",@progbits,_ZN7rocprim17ROCPRIM_400000_NS6detail17trampoline_kernelINS0_14default_configENS1_29reduce_by_key_config_selectorIxxN6thrust23THRUST_200600_302600_NS4plusIxEEEEZZNS1_33reduce_by_key_impl_wrapped_configILNS1_25lookback_scan_determinismE0ES3_S9_NS6_6detail15normal_iteratorINS6_10device_ptrIxEEEESG_SG_SG_PmS8_NS6_8equal_toIxEEEE10hipError_tPvRmT2_T3_mT4_T5_T6_T7_T8_P12ihipStream_tbENKUlT_T0_E_clISt17integral_constantIbLb1EES11_EEDaSW_SX_EUlSW_E_NS1_11comp_targetILNS1_3genE0ELNS1_11target_archE4294967295ELNS1_3gpuE0ELNS1_3repE0EEENS1_30default_config_static_selectorELNS0_4arch9wavefront6targetE0EEEvT1_,comdat
	.protected	_ZN7rocprim17ROCPRIM_400000_NS6detail17trampoline_kernelINS0_14default_configENS1_29reduce_by_key_config_selectorIxxN6thrust23THRUST_200600_302600_NS4plusIxEEEEZZNS1_33reduce_by_key_impl_wrapped_configILNS1_25lookback_scan_determinismE0ES3_S9_NS6_6detail15normal_iteratorINS6_10device_ptrIxEEEESG_SG_SG_PmS8_NS6_8equal_toIxEEEE10hipError_tPvRmT2_T3_mT4_T5_T6_T7_T8_P12ihipStream_tbENKUlT_T0_E_clISt17integral_constantIbLb1EES11_EEDaSW_SX_EUlSW_E_NS1_11comp_targetILNS1_3genE0ELNS1_11target_archE4294967295ELNS1_3gpuE0ELNS1_3repE0EEENS1_30default_config_static_selectorELNS0_4arch9wavefront6targetE0EEEvT1_ ; -- Begin function _ZN7rocprim17ROCPRIM_400000_NS6detail17trampoline_kernelINS0_14default_configENS1_29reduce_by_key_config_selectorIxxN6thrust23THRUST_200600_302600_NS4plusIxEEEEZZNS1_33reduce_by_key_impl_wrapped_configILNS1_25lookback_scan_determinismE0ES3_S9_NS6_6detail15normal_iteratorINS6_10device_ptrIxEEEESG_SG_SG_PmS8_NS6_8equal_toIxEEEE10hipError_tPvRmT2_T3_mT4_T5_T6_T7_T8_P12ihipStream_tbENKUlT_T0_E_clISt17integral_constantIbLb1EES11_EEDaSW_SX_EUlSW_E_NS1_11comp_targetILNS1_3genE0ELNS1_11target_archE4294967295ELNS1_3gpuE0ELNS1_3repE0EEENS1_30default_config_static_selectorELNS0_4arch9wavefront6targetE0EEEvT1_
	.globl	_ZN7rocprim17ROCPRIM_400000_NS6detail17trampoline_kernelINS0_14default_configENS1_29reduce_by_key_config_selectorIxxN6thrust23THRUST_200600_302600_NS4plusIxEEEEZZNS1_33reduce_by_key_impl_wrapped_configILNS1_25lookback_scan_determinismE0ES3_S9_NS6_6detail15normal_iteratorINS6_10device_ptrIxEEEESG_SG_SG_PmS8_NS6_8equal_toIxEEEE10hipError_tPvRmT2_T3_mT4_T5_T6_T7_T8_P12ihipStream_tbENKUlT_T0_E_clISt17integral_constantIbLb1EES11_EEDaSW_SX_EUlSW_E_NS1_11comp_targetILNS1_3genE0ELNS1_11target_archE4294967295ELNS1_3gpuE0ELNS1_3repE0EEENS1_30default_config_static_selectorELNS0_4arch9wavefront6targetE0EEEvT1_
	.p2align	8
	.type	_ZN7rocprim17ROCPRIM_400000_NS6detail17trampoline_kernelINS0_14default_configENS1_29reduce_by_key_config_selectorIxxN6thrust23THRUST_200600_302600_NS4plusIxEEEEZZNS1_33reduce_by_key_impl_wrapped_configILNS1_25lookback_scan_determinismE0ES3_S9_NS6_6detail15normal_iteratorINS6_10device_ptrIxEEEESG_SG_SG_PmS8_NS6_8equal_toIxEEEE10hipError_tPvRmT2_T3_mT4_T5_T6_T7_T8_P12ihipStream_tbENKUlT_T0_E_clISt17integral_constantIbLb1EES11_EEDaSW_SX_EUlSW_E_NS1_11comp_targetILNS1_3genE0ELNS1_11target_archE4294967295ELNS1_3gpuE0ELNS1_3repE0EEENS1_30default_config_static_selectorELNS0_4arch9wavefront6targetE0EEEvT1_,@function
_ZN7rocprim17ROCPRIM_400000_NS6detail17trampoline_kernelINS0_14default_configENS1_29reduce_by_key_config_selectorIxxN6thrust23THRUST_200600_302600_NS4plusIxEEEEZZNS1_33reduce_by_key_impl_wrapped_configILNS1_25lookback_scan_determinismE0ES3_S9_NS6_6detail15normal_iteratorINS6_10device_ptrIxEEEESG_SG_SG_PmS8_NS6_8equal_toIxEEEE10hipError_tPvRmT2_T3_mT4_T5_T6_T7_T8_P12ihipStream_tbENKUlT_T0_E_clISt17integral_constantIbLb1EES11_EEDaSW_SX_EUlSW_E_NS1_11comp_targetILNS1_3genE0ELNS1_11target_archE4294967295ELNS1_3gpuE0ELNS1_3repE0EEENS1_30default_config_static_selectorELNS0_4arch9wavefront6targetE0EEEvT1_: ; @_ZN7rocprim17ROCPRIM_400000_NS6detail17trampoline_kernelINS0_14default_configENS1_29reduce_by_key_config_selectorIxxN6thrust23THRUST_200600_302600_NS4plusIxEEEEZZNS1_33reduce_by_key_impl_wrapped_configILNS1_25lookback_scan_determinismE0ES3_S9_NS6_6detail15normal_iteratorINS6_10device_ptrIxEEEESG_SG_SG_PmS8_NS6_8equal_toIxEEEE10hipError_tPvRmT2_T3_mT4_T5_T6_T7_T8_P12ihipStream_tbENKUlT_T0_E_clISt17integral_constantIbLb1EES11_EEDaSW_SX_EUlSW_E_NS1_11comp_targetILNS1_3genE0ELNS1_11target_archE4294967295ELNS1_3gpuE0ELNS1_3repE0EEENS1_30default_config_static_selectorELNS0_4arch9wavefront6targetE0EEEvT1_
; %bb.0:
	.section	.rodata,"a",@progbits
	.p2align	6, 0x0
	.amdhsa_kernel _ZN7rocprim17ROCPRIM_400000_NS6detail17trampoline_kernelINS0_14default_configENS1_29reduce_by_key_config_selectorIxxN6thrust23THRUST_200600_302600_NS4plusIxEEEEZZNS1_33reduce_by_key_impl_wrapped_configILNS1_25lookback_scan_determinismE0ES3_S9_NS6_6detail15normal_iteratorINS6_10device_ptrIxEEEESG_SG_SG_PmS8_NS6_8equal_toIxEEEE10hipError_tPvRmT2_T3_mT4_T5_T6_T7_T8_P12ihipStream_tbENKUlT_T0_E_clISt17integral_constantIbLb1EES11_EEDaSW_SX_EUlSW_E_NS1_11comp_targetILNS1_3genE0ELNS1_11target_archE4294967295ELNS1_3gpuE0ELNS1_3repE0EEENS1_30default_config_static_selectorELNS0_4arch9wavefront6targetE0EEEvT1_
		.amdhsa_group_segment_fixed_size 0
		.amdhsa_private_segment_fixed_size 0
		.amdhsa_kernarg_size 136
		.amdhsa_user_sgpr_count 15
		.amdhsa_user_sgpr_dispatch_ptr 0
		.amdhsa_user_sgpr_queue_ptr 0
		.amdhsa_user_sgpr_kernarg_segment_ptr 1
		.amdhsa_user_sgpr_dispatch_id 0
		.amdhsa_user_sgpr_private_segment_size 0
		.amdhsa_wavefront_size32 1
		.amdhsa_uses_dynamic_stack 0
		.amdhsa_enable_private_segment 0
		.amdhsa_system_sgpr_workgroup_id_x 1
		.amdhsa_system_sgpr_workgroup_id_y 0
		.amdhsa_system_sgpr_workgroup_id_z 0
		.amdhsa_system_sgpr_workgroup_info 0
		.amdhsa_system_vgpr_workitem_id 0
		.amdhsa_next_free_vgpr 1
		.amdhsa_next_free_sgpr 1
		.amdhsa_reserve_vcc 0
		.amdhsa_float_round_mode_32 0
		.amdhsa_float_round_mode_16_64 0
		.amdhsa_float_denorm_mode_32 3
		.amdhsa_float_denorm_mode_16_64 3
		.amdhsa_dx10_clamp 1
		.amdhsa_ieee_mode 1
		.amdhsa_fp16_overflow 0
		.amdhsa_workgroup_processor_mode 1
		.amdhsa_memory_ordered 1
		.amdhsa_forward_progress 0
		.amdhsa_shared_vgpr_count 0
		.amdhsa_exception_fp_ieee_invalid_op 0
		.amdhsa_exception_fp_denorm_src 0
		.amdhsa_exception_fp_ieee_div_zero 0
		.amdhsa_exception_fp_ieee_overflow 0
		.amdhsa_exception_fp_ieee_underflow 0
		.amdhsa_exception_fp_ieee_inexact 0
		.amdhsa_exception_int_div_zero 0
	.end_amdhsa_kernel
	.section	.text._ZN7rocprim17ROCPRIM_400000_NS6detail17trampoline_kernelINS0_14default_configENS1_29reduce_by_key_config_selectorIxxN6thrust23THRUST_200600_302600_NS4plusIxEEEEZZNS1_33reduce_by_key_impl_wrapped_configILNS1_25lookback_scan_determinismE0ES3_S9_NS6_6detail15normal_iteratorINS6_10device_ptrIxEEEESG_SG_SG_PmS8_NS6_8equal_toIxEEEE10hipError_tPvRmT2_T3_mT4_T5_T6_T7_T8_P12ihipStream_tbENKUlT_T0_E_clISt17integral_constantIbLb1EES11_EEDaSW_SX_EUlSW_E_NS1_11comp_targetILNS1_3genE0ELNS1_11target_archE4294967295ELNS1_3gpuE0ELNS1_3repE0EEENS1_30default_config_static_selectorELNS0_4arch9wavefront6targetE0EEEvT1_,"axG",@progbits,_ZN7rocprim17ROCPRIM_400000_NS6detail17trampoline_kernelINS0_14default_configENS1_29reduce_by_key_config_selectorIxxN6thrust23THRUST_200600_302600_NS4plusIxEEEEZZNS1_33reduce_by_key_impl_wrapped_configILNS1_25lookback_scan_determinismE0ES3_S9_NS6_6detail15normal_iteratorINS6_10device_ptrIxEEEESG_SG_SG_PmS8_NS6_8equal_toIxEEEE10hipError_tPvRmT2_T3_mT4_T5_T6_T7_T8_P12ihipStream_tbENKUlT_T0_E_clISt17integral_constantIbLb1EES11_EEDaSW_SX_EUlSW_E_NS1_11comp_targetILNS1_3genE0ELNS1_11target_archE4294967295ELNS1_3gpuE0ELNS1_3repE0EEENS1_30default_config_static_selectorELNS0_4arch9wavefront6targetE0EEEvT1_,comdat
.Lfunc_end479:
	.size	_ZN7rocprim17ROCPRIM_400000_NS6detail17trampoline_kernelINS0_14default_configENS1_29reduce_by_key_config_selectorIxxN6thrust23THRUST_200600_302600_NS4plusIxEEEEZZNS1_33reduce_by_key_impl_wrapped_configILNS1_25lookback_scan_determinismE0ES3_S9_NS6_6detail15normal_iteratorINS6_10device_ptrIxEEEESG_SG_SG_PmS8_NS6_8equal_toIxEEEE10hipError_tPvRmT2_T3_mT4_T5_T6_T7_T8_P12ihipStream_tbENKUlT_T0_E_clISt17integral_constantIbLb1EES11_EEDaSW_SX_EUlSW_E_NS1_11comp_targetILNS1_3genE0ELNS1_11target_archE4294967295ELNS1_3gpuE0ELNS1_3repE0EEENS1_30default_config_static_selectorELNS0_4arch9wavefront6targetE0EEEvT1_, .Lfunc_end479-_ZN7rocprim17ROCPRIM_400000_NS6detail17trampoline_kernelINS0_14default_configENS1_29reduce_by_key_config_selectorIxxN6thrust23THRUST_200600_302600_NS4plusIxEEEEZZNS1_33reduce_by_key_impl_wrapped_configILNS1_25lookback_scan_determinismE0ES3_S9_NS6_6detail15normal_iteratorINS6_10device_ptrIxEEEESG_SG_SG_PmS8_NS6_8equal_toIxEEEE10hipError_tPvRmT2_T3_mT4_T5_T6_T7_T8_P12ihipStream_tbENKUlT_T0_E_clISt17integral_constantIbLb1EES11_EEDaSW_SX_EUlSW_E_NS1_11comp_targetILNS1_3genE0ELNS1_11target_archE4294967295ELNS1_3gpuE0ELNS1_3repE0EEENS1_30default_config_static_selectorELNS0_4arch9wavefront6targetE0EEEvT1_
                                        ; -- End function
	.section	.AMDGPU.csdata,"",@progbits
; Kernel info:
; codeLenInByte = 0
; NumSgprs: 0
; NumVgprs: 0
; ScratchSize: 0
; MemoryBound: 0
; FloatMode: 240
; IeeeMode: 1
; LDSByteSize: 0 bytes/workgroup (compile time only)
; SGPRBlocks: 0
; VGPRBlocks: 0
; NumSGPRsForWavesPerEU: 1
; NumVGPRsForWavesPerEU: 1
; Occupancy: 16
; WaveLimiterHint : 0
; COMPUTE_PGM_RSRC2:SCRATCH_EN: 0
; COMPUTE_PGM_RSRC2:USER_SGPR: 15
; COMPUTE_PGM_RSRC2:TRAP_HANDLER: 0
; COMPUTE_PGM_RSRC2:TGID_X_EN: 1
; COMPUTE_PGM_RSRC2:TGID_Y_EN: 0
; COMPUTE_PGM_RSRC2:TGID_Z_EN: 0
; COMPUTE_PGM_RSRC2:TIDIG_COMP_CNT: 0
	.section	.text._ZN7rocprim17ROCPRIM_400000_NS6detail17trampoline_kernelINS0_14default_configENS1_29reduce_by_key_config_selectorIxxN6thrust23THRUST_200600_302600_NS4plusIxEEEEZZNS1_33reduce_by_key_impl_wrapped_configILNS1_25lookback_scan_determinismE0ES3_S9_NS6_6detail15normal_iteratorINS6_10device_ptrIxEEEESG_SG_SG_PmS8_NS6_8equal_toIxEEEE10hipError_tPvRmT2_T3_mT4_T5_T6_T7_T8_P12ihipStream_tbENKUlT_T0_E_clISt17integral_constantIbLb1EES11_EEDaSW_SX_EUlSW_E_NS1_11comp_targetILNS1_3genE5ELNS1_11target_archE942ELNS1_3gpuE9ELNS1_3repE0EEENS1_30default_config_static_selectorELNS0_4arch9wavefront6targetE0EEEvT1_,"axG",@progbits,_ZN7rocprim17ROCPRIM_400000_NS6detail17trampoline_kernelINS0_14default_configENS1_29reduce_by_key_config_selectorIxxN6thrust23THRUST_200600_302600_NS4plusIxEEEEZZNS1_33reduce_by_key_impl_wrapped_configILNS1_25lookback_scan_determinismE0ES3_S9_NS6_6detail15normal_iteratorINS6_10device_ptrIxEEEESG_SG_SG_PmS8_NS6_8equal_toIxEEEE10hipError_tPvRmT2_T3_mT4_T5_T6_T7_T8_P12ihipStream_tbENKUlT_T0_E_clISt17integral_constantIbLb1EES11_EEDaSW_SX_EUlSW_E_NS1_11comp_targetILNS1_3genE5ELNS1_11target_archE942ELNS1_3gpuE9ELNS1_3repE0EEENS1_30default_config_static_selectorELNS0_4arch9wavefront6targetE0EEEvT1_,comdat
	.protected	_ZN7rocprim17ROCPRIM_400000_NS6detail17trampoline_kernelINS0_14default_configENS1_29reduce_by_key_config_selectorIxxN6thrust23THRUST_200600_302600_NS4plusIxEEEEZZNS1_33reduce_by_key_impl_wrapped_configILNS1_25lookback_scan_determinismE0ES3_S9_NS6_6detail15normal_iteratorINS6_10device_ptrIxEEEESG_SG_SG_PmS8_NS6_8equal_toIxEEEE10hipError_tPvRmT2_T3_mT4_T5_T6_T7_T8_P12ihipStream_tbENKUlT_T0_E_clISt17integral_constantIbLb1EES11_EEDaSW_SX_EUlSW_E_NS1_11comp_targetILNS1_3genE5ELNS1_11target_archE942ELNS1_3gpuE9ELNS1_3repE0EEENS1_30default_config_static_selectorELNS0_4arch9wavefront6targetE0EEEvT1_ ; -- Begin function _ZN7rocprim17ROCPRIM_400000_NS6detail17trampoline_kernelINS0_14default_configENS1_29reduce_by_key_config_selectorIxxN6thrust23THRUST_200600_302600_NS4plusIxEEEEZZNS1_33reduce_by_key_impl_wrapped_configILNS1_25lookback_scan_determinismE0ES3_S9_NS6_6detail15normal_iteratorINS6_10device_ptrIxEEEESG_SG_SG_PmS8_NS6_8equal_toIxEEEE10hipError_tPvRmT2_T3_mT4_T5_T6_T7_T8_P12ihipStream_tbENKUlT_T0_E_clISt17integral_constantIbLb1EES11_EEDaSW_SX_EUlSW_E_NS1_11comp_targetILNS1_3genE5ELNS1_11target_archE942ELNS1_3gpuE9ELNS1_3repE0EEENS1_30default_config_static_selectorELNS0_4arch9wavefront6targetE0EEEvT1_
	.globl	_ZN7rocprim17ROCPRIM_400000_NS6detail17trampoline_kernelINS0_14default_configENS1_29reduce_by_key_config_selectorIxxN6thrust23THRUST_200600_302600_NS4plusIxEEEEZZNS1_33reduce_by_key_impl_wrapped_configILNS1_25lookback_scan_determinismE0ES3_S9_NS6_6detail15normal_iteratorINS6_10device_ptrIxEEEESG_SG_SG_PmS8_NS6_8equal_toIxEEEE10hipError_tPvRmT2_T3_mT4_T5_T6_T7_T8_P12ihipStream_tbENKUlT_T0_E_clISt17integral_constantIbLb1EES11_EEDaSW_SX_EUlSW_E_NS1_11comp_targetILNS1_3genE5ELNS1_11target_archE942ELNS1_3gpuE9ELNS1_3repE0EEENS1_30default_config_static_selectorELNS0_4arch9wavefront6targetE0EEEvT1_
	.p2align	8
	.type	_ZN7rocprim17ROCPRIM_400000_NS6detail17trampoline_kernelINS0_14default_configENS1_29reduce_by_key_config_selectorIxxN6thrust23THRUST_200600_302600_NS4plusIxEEEEZZNS1_33reduce_by_key_impl_wrapped_configILNS1_25lookback_scan_determinismE0ES3_S9_NS6_6detail15normal_iteratorINS6_10device_ptrIxEEEESG_SG_SG_PmS8_NS6_8equal_toIxEEEE10hipError_tPvRmT2_T3_mT4_T5_T6_T7_T8_P12ihipStream_tbENKUlT_T0_E_clISt17integral_constantIbLb1EES11_EEDaSW_SX_EUlSW_E_NS1_11comp_targetILNS1_3genE5ELNS1_11target_archE942ELNS1_3gpuE9ELNS1_3repE0EEENS1_30default_config_static_selectorELNS0_4arch9wavefront6targetE0EEEvT1_,@function
_ZN7rocprim17ROCPRIM_400000_NS6detail17trampoline_kernelINS0_14default_configENS1_29reduce_by_key_config_selectorIxxN6thrust23THRUST_200600_302600_NS4plusIxEEEEZZNS1_33reduce_by_key_impl_wrapped_configILNS1_25lookback_scan_determinismE0ES3_S9_NS6_6detail15normal_iteratorINS6_10device_ptrIxEEEESG_SG_SG_PmS8_NS6_8equal_toIxEEEE10hipError_tPvRmT2_T3_mT4_T5_T6_T7_T8_P12ihipStream_tbENKUlT_T0_E_clISt17integral_constantIbLb1EES11_EEDaSW_SX_EUlSW_E_NS1_11comp_targetILNS1_3genE5ELNS1_11target_archE942ELNS1_3gpuE9ELNS1_3repE0EEENS1_30default_config_static_selectorELNS0_4arch9wavefront6targetE0EEEvT1_: ; @_ZN7rocprim17ROCPRIM_400000_NS6detail17trampoline_kernelINS0_14default_configENS1_29reduce_by_key_config_selectorIxxN6thrust23THRUST_200600_302600_NS4plusIxEEEEZZNS1_33reduce_by_key_impl_wrapped_configILNS1_25lookback_scan_determinismE0ES3_S9_NS6_6detail15normal_iteratorINS6_10device_ptrIxEEEESG_SG_SG_PmS8_NS6_8equal_toIxEEEE10hipError_tPvRmT2_T3_mT4_T5_T6_T7_T8_P12ihipStream_tbENKUlT_T0_E_clISt17integral_constantIbLb1EES11_EEDaSW_SX_EUlSW_E_NS1_11comp_targetILNS1_3genE5ELNS1_11target_archE942ELNS1_3gpuE9ELNS1_3repE0EEENS1_30default_config_static_selectorELNS0_4arch9wavefront6targetE0EEEvT1_
; %bb.0:
	.section	.rodata,"a",@progbits
	.p2align	6, 0x0
	.amdhsa_kernel _ZN7rocprim17ROCPRIM_400000_NS6detail17trampoline_kernelINS0_14default_configENS1_29reduce_by_key_config_selectorIxxN6thrust23THRUST_200600_302600_NS4plusIxEEEEZZNS1_33reduce_by_key_impl_wrapped_configILNS1_25lookback_scan_determinismE0ES3_S9_NS6_6detail15normal_iteratorINS6_10device_ptrIxEEEESG_SG_SG_PmS8_NS6_8equal_toIxEEEE10hipError_tPvRmT2_T3_mT4_T5_T6_T7_T8_P12ihipStream_tbENKUlT_T0_E_clISt17integral_constantIbLb1EES11_EEDaSW_SX_EUlSW_E_NS1_11comp_targetILNS1_3genE5ELNS1_11target_archE942ELNS1_3gpuE9ELNS1_3repE0EEENS1_30default_config_static_selectorELNS0_4arch9wavefront6targetE0EEEvT1_
		.amdhsa_group_segment_fixed_size 0
		.amdhsa_private_segment_fixed_size 0
		.amdhsa_kernarg_size 136
		.amdhsa_user_sgpr_count 15
		.amdhsa_user_sgpr_dispatch_ptr 0
		.amdhsa_user_sgpr_queue_ptr 0
		.amdhsa_user_sgpr_kernarg_segment_ptr 1
		.amdhsa_user_sgpr_dispatch_id 0
		.amdhsa_user_sgpr_private_segment_size 0
		.amdhsa_wavefront_size32 1
		.amdhsa_uses_dynamic_stack 0
		.amdhsa_enable_private_segment 0
		.amdhsa_system_sgpr_workgroup_id_x 1
		.amdhsa_system_sgpr_workgroup_id_y 0
		.amdhsa_system_sgpr_workgroup_id_z 0
		.amdhsa_system_sgpr_workgroup_info 0
		.amdhsa_system_vgpr_workitem_id 0
		.amdhsa_next_free_vgpr 1
		.amdhsa_next_free_sgpr 1
		.amdhsa_reserve_vcc 0
		.amdhsa_float_round_mode_32 0
		.amdhsa_float_round_mode_16_64 0
		.amdhsa_float_denorm_mode_32 3
		.amdhsa_float_denorm_mode_16_64 3
		.amdhsa_dx10_clamp 1
		.amdhsa_ieee_mode 1
		.amdhsa_fp16_overflow 0
		.amdhsa_workgroup_processor_mode 1
		.amdhsa_memory_ordered 1
		.amdhsa_forward_progress 0
		.amdhsa_shared_vgpr_count 0
		.amdhsa_exception_fp_ieee_invalid_op 0
		.amdhsa_exception_fp_denorm_src 0
		.amdhsa_exception_fp_ieee_div_zero 0
		.amdhsa_exception_fp_ieee_overflow 0
		.amdhsa_exception_fp_ieee_underflow 0
		.amdhsa_exception_fp_ieee_inexact 0
		.amdhsa_exception_int_div_zero 0
	.end_amdhsa_kernel
	.section	.text._ZN7rocprim17ROCPRIM_400000_NS6detail17trampoline_kernelINS0_14default_configENS1_29reduce_by_key_config_selectorIxxN6thrust23THRUST_200600_302600_NS4plusIxEEEEZZNS1_33reduce_by_key_impl_wrapped_configILNS1_25lookback_scan_determinismE0ES3_S9_NS6_6detail15normal_iteratorINS6_10device_ptrIxEEEESG_SG_SG_PmS8_NS6_8equal_toIxEEEE10hipError_tPvRmT2_T3_mT4_T5_T6_T7_T8_P12ihipStream_tbENKUlT_T0_E_clISt17integral_constantIbLb1EES11_EEDaSW_SX_EUlSW_E_NS1_11comp_targetILNS1_3genE5ELNS1_11target_archE942ELNS1_3gpuE9ELNS1_3repE0EEENS1_30default_config_static_selectorELNS0_4arch9wavefront6targetE0EEEvT1_,"axG",@progbits,_ZN7rocprim17ROCPRIM_400000_NS6detail17trampoline_kernelINS0_14default_configENS1_29reduce_by_key_config_selectorIxxN6thrust23THRUST_200600_302600_NS4plusIxEEEEZZNS1_33reduce_by_key_impl_wrapped_configILNS1_25lookback_scan_determinismE0ES3_S9_NS6_6detail15normal_iteratorINS6_10device_ptrIxEEEESG_SG_SG_PmS8_NS6_8equal_toIxEEEE10hipError_tPvRmT2_T3_mT4_T5_T6_T7_T8_P12ihipStream_tbENKUlT_T0_E_clISt17integral_constantIbLb1EES11_EEDaSW_SX_EUlSW_E_NS1_11comp_targetILNS1_3genE5ELNS1_11target_archE942ELNS1_3gpuE9ELNS1_3repE0EEENS1_30default_config_static_selectorELNS0_4arch9wavefront6targetE0EEEvT1_,comdat
.Lfunc_end480:
	.size	_ZN7rocprim17ROCPRIM_400000_NS6detail17trampoline_kernelINS0_14default_configENS1_29reduce_by_key_config_selectorIxxN6thrust23THRUST_200600_302600_NS4plusIxEEEEZZNS1_33reduce_by_key_impl_wrapped_configILNS1_25lookback_scan_determinismE0ES3_S9_NS6_6detail15normal_iteratorINS6_10device_ptrIxEEEESG_SG_SG_PmS8_NS6_8equal_toIxEEEE10hipError_tPvRmT2_T3_mT4_T5_T6_T7_T8_P12ihipStream_tbENKUlT_T0_E_clISt17integral_constantIbLb1EES11_EEDaSW_SX_EUlSW_E_NS1_11comp_targetILNS1_3genE5ELNS1_11target_archE942ELNS1_3gpuE9ELNS1_3repE0EEENS1_30default_config_static_selectorELNS0_4arch9wavefront6targetE0EEEvT1_, .Lfunc_end480-_ZN7rocprim17ROCPRIM_400000_NS6detail17trampoline_kernelINS0_14default_configENS1_29reduce_by_key_config_selectorIxxN6thrust23THRUST_200600_302600_NS4plusIxEEEEZZNS1_33reduce_by_key_impl_wrapped_configILNS1_25lookback_scan_determinismE0ES3_S9_NS6_6detail15normal_iteratorINS6_10device_ptrIxEEEESG_SG_SG_PmS8_NS6_8equal_toIxEEEE10hipError_tPvRmT2_T3_mT4_T5_T6_T7_T8_P12ihipStream_tbENKUlT_T0_E_clISt17integral_constantIbLb1EES11_EEDaSW_SX_EUlSW_E_NS1_11comp_targetILNS1_3genE5ELNS1_11target_archE942ELNS1_3gpuE9ELNS1_3repE0EEENS1_30default_config_static_selectorELNS0_4arch9wavefront6targetE0EEEvT1_
                                        ; -- End function
	.section	.AMDGPU.csdata,"",@progbits
; Kernel info:
; codeLenInByte = 0
; NumSgprs: 0
; NumVgprs: 0
; ScratchSize: 0
; MemoryBound: 0
; FloatMode: 240
; IeeeMode: 1
; LDSByteSize: 0 bytes/workgroup (compile time only)
; SGPRBlocks: 0
; VGPRBlocks: 0
; NumSGPRsForWavesPerEU: 1
; NumVGPRsForWavesPerEU: 1
; Occupancy: 16
; WaveLimiterHint : 0
; COMPUTE_PGM_RSRC2:SCRATCH_EN: 0
; COMPUTE_PGM_RSRC2:USER_SGPR: 15
; COMPUTE_PGM_RSRC2:TRAP_HANDLER: 0
; COMPUTE_PGM_RSRC2:TGID_X_EN: 1
; COMPUTE_PGM_RSRC2:TGID_Y_EN: 0
; COMPUTE_PGM_RSRC2:TGID_Z_EN: 0
; COMPUTE_PGM_RSRC2:TIDIG_COMP_CNT: 0
	.section	.text._ZN7rocprim17ROCPRIM_400000_NS6detail17trampoline_kernelINS0_14default_configENS1_29reduce_by_key_config_selectorIxxN6thrust23THRUST_200600_302600_NS4plusIxEEEEZZNS1_33reduce_by_key_impl_wrapped_configILNS1_25lookback_scan_determinismE0ES3_S9_NS6_6detail15normal_iteratorINS6_10device_ptrIxEEEESG_SG_SG_PmS8_NS6_8equal_toIxEEEE10hipError_tPvRmT2_T3_mT4_T5_T6_T7_T8_P12ihipStream_tbENKUlT_T0_E_clISt17integral_constantIbLb1EES11_EEDaSW_SX_EUlSW_E_NS1_11comp_targetILNS1_3genE4ELNS1_11target_archE910ELNS1_3gpuE8ELNS1_3repE0EEENS1_30default_config_static_selectorELNS0_4arch9wavefront6targetE0EEEvT1_,"axG",@progbits,_ZN7rocprim17ROCPRIM_400000_NS6detail17trampoline_kernelINS0_14default_configENS1_29reduce_by_key_config_selectorIxxN6thrust23THRUST_200600_302600_NS4plusIxEEEEZZNS1_33reduce_by_key_impl_wrapped_configILNS1_25lookback_scan_determinismE0ES3_S9_NS6_6detail15normal_iteratorINS6_10device_ptrIxEEEESG_SG_SG_PmS8_NS6_8equal_toIxEEEE10hipError_tPvRmT2_T3_mT4_T5_T6_T7_T8_P12ihipStream_tbENKUlT_T0_E_clISt17integral_constantIbLb1EES11_EEDaSW_SX_EUlSW_E_NS1_11comp_targetILNS1_3genE4ELNS1_11target_archE910ELNS1_3gpuE8ELNS1_3repE0EEENS1_30default_config_static_selectorELNS0_4arch9wavefront6targetE0EEEvT1_,comdat
	.protected	_ZN7rocprim17ROCPRIM_400000_NS6detail17trampoline_kernelINS0_14default_configENS1_29reduce_by_key_config_selectorIxxN6thrust23THRUST_200600_302600_NS4plusIxEEEEZZNS1_33reduce_by_key_impl_wrapped_configILNS1_25lookback_scan_determinismE0ES3_S9_NS6_6detail15normal_iteratorINS6_10device_ptrIxEEEESG_SG_SG_PmS8_NS6_8equal_toIxEEEE10hipError_tPvRmT2_T3_mT4_T5_T6_T7_T8_P12ihipStream_tbENKUlT_T0_E_clISt17integral_constantIbLb1EES11_EEDaSW_SX_EUlSW_E_NS1_11comp_targetILNS1_3genE4ELNS1_11target_archE910ELNS1_3gpuE8ELNS1_3repE0EEENS1_30default_config_static_selectorELNS0_4arch9wavefront6targetE0EEEvT1_ ; -- Begin function _ZN7rocprim17ROCPRIM_400000_NS6detail17trampoline_kernelINS0_14default_configENS1_29reduce_by_key_config_selectorIxxN6thrust23THRUST_200600_302600_NS4plusIxEEEEZZNS1_33reduce_by_key_impl_wrapped_configILNS1_25lookback_scan_determinismE0ES3_S9_NS6_6detail15normal_iteratorINS6_10device_ptrIxEEEESG_SG_SG_PmS8_NS6_8equal_toIxEEEE10hipError_tPvRmT2_T3_mT4_T5_T6_T7_T8_P12ihipStream_tbENKUlT_T0_E_clISt17integral_constantIbLb1EES11_EEDaSW_SX_EUlSW_E_NS1_11comp_targetILNS1_3genE4ELNS1_11target_archE910ELNS1_3gpuE8ELNS1_3repE0EEENS1_30default_config_static_selectorELNS0_4arch9wavefront6targetE0EEEvT1_
	.globl	_ZN7rocprim17ROCPRIM_400000_NS6detail17trampoline_kernelINS0_14default_configENS1_29reduce_by_key_config_selectorIxxN6thrust23THRUST_200600_302600_NS4plusIxEEEEZZNS1_33reduce_by_key_impl_wrapped_configILNS1_25lookback_scan_determinismE0ES3_S9_NS6_6detail15normal_iteratorINS6_10device_ptrIxEEEESG_SG_SG_PmS8_NS6_8equal_toIxEEEE10hipError_tPvRmT2_T3_mT4_T5_T6_T7_T8_P12ihipStream_tbENKUlT_T0_E_clISt17integral_constantIbLb1EES11_EEDaSW_SX_EUlSW_E_NS1_11comp_targetILNS1_3genE4ELNS1_11target_archE910ELNS1_3gpuE8ELNS1_3repE0EEENS1_30default_config_static_selectorELNS0_4arch9wavefront6targetE0EEEvT1_
	.p2align	8
	.type	_ZN7rocprim17ROCPRIM_400000_NS6detail17trampoline_kernelINS0_14default_configENS1_29reduce_by_key_config_selectorIxxN6thrust23THRUST_200600_302600_NS4plusIxEEEEZZNS1_33reduce_by_key_impl_wrapped_configILNS1_25lookback_scan_determinismE0ES3_S9_NS6_6detail15normal_iteratorINS6_10device_ptrIxEEEESG_SG_SG_PmS8_NS6_8equal_toIxEEEE10hipError_tPvRmT2_T3_mT4_T5_T6_T7_T8_P12ihipStream_tbENKUlT_T0_E_clISt17integral_constantIbLb1EES11_EEDaSW_SX_EUlSW_E_NS1_11comp_targetILNS1_3genE4ELNS1_11target_archE910ELNS1_3gpuE8ELNS1_3repE0EEENS1_30default_config_static_selectorELNS0_4arch9wavefront6targetE0EEEvT1_,@function
_ZN7rocprim17ROCPRIM_400000_NS6detail17trampoline_kernelINS0_14default_configENS1_29reduce_by_key_config_selectorIxxN6thrust23THRUST_200600_302600_NS4plusIxEEEEZZNS1_33reduce_by_key_impl_wrapped_configILNS1_25lookback_scan_determinismE0ES3_S9_NS6_6detail15normal_iteratorINS6_10device_ptrIxEEEESG_SG_SG_PmS8_NS6_8equal_toIxEEEE10hipError_tPvRmT2_T3_mT4_T5_T6_T7_T8_P12ihipStream_tbENKUlT_T0_E_clISt17integral_constantIbLb1EES11_EEDaSW_SX_EUlSW_E_NS1_11comp_targetILNS1_3genE4ELNS1_11target_archE910ELNS1_3gpuE8ELNS1_3repE0EEENS1_30default_config_static_selectorELNS0_4arch9wavefront6targetE0EEEvT1_: ; @_ZN7rocprim17ROCPRIM_400000_NS6detail17trampoline_kernelINS0_14default_configENS1_29reduce_by_key_config_selectorIxxN6thrust23THRUST_200600_302600_NS4plusIxEEEEZZNS1_33reduce_by_key_impl_wrapped_configILNS1_25lookback_scan_determinismE0ES3_S9_NS6_6detail15normal_iteratorINS6_10device_ptrIxEEEESG_SG_SG_PmS8_NS6_8equal_toIxEEEE10hipError_tPvRmT2_T3_mT4_T5_T6_T7_T8_P12ihipStream_tbENKUlT_T0_E_clISt17integral_constantIbLb1EES11_EEDaSW_SX_EUlSW_E_NS1_11comp_targetILNS1_3genE4ELNS1_11target_archE910ELNS1_3gpuE8ELNS1_3repE0EEENS1_30default_config_static_selectorELNS0_4arch9wavefront6targetE0EEEvT1_
; %bb.0:
	.section	.rodata,"a",@progbits
	.p2align	6, 0x0
	.amdhsa_kernel _ZN7rocprim17ROCPRIM_400000_NS6detail17trampoline_kernelINS0_14default_configENS1_29reduce_by_key_config_selectorIxxN6thrust23THRUST_200600_302600_NS4plusIxEEEEZZNS1_33reduce_by_key_impl_wrapped_configILNS1_25lookback_scan_determinismE0ES3_S9_NS6_6detail15normal_iteratorINS6_10device_ptrIxEEEESG_SG_SG_PmS8_NS6_8equal_toIxEEEE10hipError_tPvRmT2_T3_mT4_T5_T6_T7_T8_P12ihipStream_tbENKUlT_T0_E_clISt17integral_constantIbLb1EES11_EEDaSW_SX_EUlSW_E_NS1_11comp_targetILNS1_3genE4ELNS1_11target_archE910ELNS1_3gpuE8ELNS1_3repE0EEENS1_30default_config_static_selectorELNS0_4arch9wavefront6targetE0EEEvT1_
		.amdhsa_group_segment_fixed_size 0
		.amdhsa_private_segment_fixed_size 0
		.amdhsa_kernarg_size 136
		.amdhsa_user_sgpr_count 15
		.amdhsa_user_sgpr_dispatch_ptr 0
		.amdhsa_user_sgpr_queue_ptr 0
		.amdhsa_user_sgpr_kernarg_segment_ptr 1
		.amdhsa_user_sgpr_dispatch_id 0
		.amdhsa_user_sgpr_private_segment_size 0
		.amdhsa_wavefront_size32 1
		.amdhsa_uses_dynamic_stack 0
		.amdhsa_enable_private_segment 0
		.amdhsa_system_sgpr_workgroup_id_x 1
		.amdhsa_system_sgpr_workgroup_id_y 0
		.amdhsa_system_sgpr_workgroup_id_z 0
		.amdhsa_system_sgpr_workgroup_info 0
		.amdhsa_system_vgpr_workitem_id 0
		.amdhsa_next_free_vgpr 1
		.amdhsa_next_free_sgpr 1
		.amdhsa_reserve_vcc 0
		.amdhsa_float_round_mode_32 0
		.amdhsa_float_round_mode_16_64 0
		.amdhsa_float_denorm_mode_32 3
		.amdhsa_float_denorm_mode_16_64 3
		.amdhsa_dx10_clamp 1
		.amdhsa_ieee_mode 1
		.amdhsa_fp16_overflow 0
		.amdhsa_workgroup_processor_mode 1
		.amdhsa_memory_ordered 1
		.amdhsa_forward_progress 0
		.amdhsa_shared_vgpr_count 0
		.amdhsa_exception_fp_ieee_invalid_op 0
		.amdhsa_exception_fp_denorm_src 0
		.amdhsa_exception_fp_ieee_div_zero 0
		.amdhsa_exception_fp_ieee_overflow 0
		.amdhsa_exception_fp_ieee_underflow 0
		.amdhsa_exception_fp_ieee_inexact 0
		.amdhsa_exception_int_div_zero 0
	.end_amdhsa_kernel
	.section	.text._ZN7rocprim17ROCPRIM_400000_NS6detail17trampoline_kernelINS0_14default_configENS1_29reduce_by_key_config_selectorIxxN6thrust23THRUST_200600_302600_NS4plusIxEEEEZZNS1_33reduce_by_key_impl_wrapped_configILNS1_25lookback_scan_determinismE0ES3_S9_NS6_6detail15normal_iteratorINS6_10device_ptrIxEEEESG_SG_SG_PmS8_NS6_8equal_toIxEEEE10hipError_tPvRmT2_T3_mT4_T5_T6_T7_T8_P12ihipStream_tbENKUlT_T0_E_clISt17integral_constantIbLb1EES11_EEDaSW_SX_EUlSW_E_NS1_11comp_targetILNS1_3genE4ELNS1_11target_archE910ELNS1_3gpuE8ELNS1_3repE0EEENS1_30default_config_static_selectorELNS0_4arch9wavefront6targetE0EEEvT1_,"axG",@progbits,_ZN7rocprim17ROCPRIM_400000_NS6detail17trampoline_kernelINS0_14default_configENS1_29reduce_by_key_config_selectorIxxN6thrust23THRUST_200600_302600_NS4plusIxEEEEZZNS1_33reduce_by_key_impl_wrapped_configILNS1_25lookback_scan_determinismE0ES3_S9_NS6_6detail15normal_iteratorINS6_10device_ptrIxEEEESG_SG_SG_PmS8_NS6_8equal_toIxEEEE10hipError_tPvRmT2_T3_mT4_T5_T6_T7_T8_P12ihipStream_tbENKUlT_T0_E_clISt17integral_constantIbLb1EES11_EEDaSW_SX_EUlSW_E_NS1_11comp_targetILNS1_3genE4ELNS1_11target_archE910ELNS1_3gpuE8ELNS1_3repE0EEENS1_30default_config_static_selectorELNS0_4arch9wavefront6targetE0EEEvT1_,comdat
.Lfunc_end481:
	.size	_ZN7rocprim17ROCPRIM_400000_NS6detail17trampoline_kernelINS0_14default_configENS1_29reduce_by_key_config_selectorIxxN6thrust23THRUST_200600_302600_NS4plusIxEEEEZZNS1_33reduce_by_key_impl_wrapped_configILNS1_25lookback_scan_determinismE0ES3_S9_NS6_6detail15normal_iteratorINS6_10device_ptrIxEEEESG_SG_SG_PmS8_NS6_8equal_toIxEEEE10hipError_tPvRmT2_T3_mT4_T5_T6_T7_T8_P12ihipStream_tbENKUlT_T0_E_clISt17integral_constantIbLb1EES11_EEDaSW_SX_EUlSW_E_NS1_11comp_targetILNS1_3genE4ELNS1_11target_archE910ELNS1_3gpuE8ELNS1_3repE0EEENS1_30default_config_static_selectorELNS0_4arch9wavefront6targetE0EEEvT1_, .Lfunc_end481-_ZN7rocprim17ROCPRIM_400000_NS6detail17trampoline_kernelINS0_14default_configENS1_29reduce_by_key_config_selectorIxxN6thrust23THRUST_200600_302600_NS4plusIxEEEEZZNS1_33reduce_by_key_impl_wrapped_configILNS1_25lookback_scan_determinismE0ES3_S9_NS6_6detail15normal_iteratorINS6_10device_ptrIxEEEESG_SG_SG_PmS8_NS6_8equal_toIxEEEE10hipError_tPvRmT2_T3_mT4_T5_T6_T7_T8_P12ihipStream_tbENKUlT_T0_E_clISt17integral_constantIbLb1EES11_EEDaSW_SX_EUlSW_E_NS1_11comp_targetILNS1_3genE4ELNS1_11target_archE910ELNS1_3gpuE8ELNS1_3repE0EEENS1_30default_config_static_selectorELNS0_4arch9wavefront6targetE0EEEvT1_
                                        ; -- End function
	.section	.AMDGPU.csdata,"",@progbits
; Kernel info:
; codeLenInByte = 0
; NumSgprs: 0
; NumVgprs: 0
; ScratchSize: 0
; MemoryBound: 0
; FloatMode: 240
; IeeeMode: 1
; LDSByteSize: 0 bytes/workgroup (compile time only)
; SGPRBlocks: 0
; VGPRBlocks: 0
; NumSGPRsForWavesPerEU: 1
; NumVGPRsForWavesPerEU: 1
; Occupancy: 16
; WaveLimiterHint : 0
; COMPUTE_PGM_RSRC2:SCRATCH_EN: 0
; COMPUTE_PGM_RSRC2:USER_SGPR: 15
; COMPUTE_PGM_RSRC2:TRAP_HANDLER: 0
; COMPUTE_PGM_RSRC2:TGID_X_EN: 1
; COMPUTE_PGM_RSRC2:TGID_Y_EN: 0
; COMPUTE_PGM_RSRC2:TGID_Z_EN: 0
; COMPUTE_PGM_RSRC2:TIDIG_COMP_CNT: 0
	.section	.text._ZN7rocprim17ROCPRIM_400000_NS6detail17trampoline_kernelINS0_14default_configENS1_29reduce_by_key_config_selectorIxxN6thrust23THRUST_200600_302600_NS4plusIxEEEEZZNS1_33reduce_by_key_impl_wrapped_configILNS1_25lookback_scan_determinismE0ES3_S9_NS6_6detail15normal_iteratorINS6_10device_ptrIxEEEESG_SG_SG_PmS8_NS6_8equal_toIxEEEE10hipError_tPvRmT2_T3_mT4_T5_T6_T7_T8_P12ihipStream_tbENKUlT_T0_E_clISt17integral_constantIbLb1EES11_EEDaSW_SX_EUlSW_E_NS1_11comp_targetILNS1_3genE3ELNS1_11target_archE908ELNS1_3gpuE7ELNS1_3repE0EEENS1_30default_config_static_selectorELNS0_4arch9wavefront6targetE0EEEvT1_,"axG",@progbits,_ZN7rocprim17ROCPRIM_400000_NS6detail17trampoline_kernelINS0_14default_configENS1_29reduce_by_key_config_selectorIxxN6thrust23THRUST_200600_302600_NS4plusIxEEEEZZNS1_33reduce_by_key_impl_wrapped_configILNS1_25lookback_scan_determinismE0ES3_S9_NS6_6detail15normal_iteratorINS6_10device_ptrIxEEEESG_SG_SG_PmS8_NS6_8equal_toIxEEEE10hipError_tPvRmT2_T3_mT4_T5_T6_T7_T8_P12ihipStream_tbENKUlT_T0_E_clISt17integral_constantIbLb1EES11_EEDaSW_SX_EUlSW_E_NS1_11comp_targetILNS1_3genE3ELNS1_11target_archE908ELNS1_3gpuE7ELNS1_3repE0EEENS1_30default_config_static_selectorELNS0_4arch9wavefront6targetE0EEEvT1_,comdat
	.protected	_ZN7rocprim17ROCPRIM_400000_NS6detail17trampoline_kernelINS0_14default_configENS1_29reduce_by_key_config_selectorIxxN6thrust23THRUST_200600_302600_NS4plusIxEEEEZZNS1_33reduce_by_key_impl_wrapped_configILNS1_25lookback_scan_determinismE0ES3_S9_NS6_6detail15normal_iteratorINS6_10device_ptrIxEEEESG_SG_SG_PmS8_NS6_8equal_toIxEEEE10hipError_tPvRmT2_T3_mT4_T5_T6_T7_T8_P12ihipStream_tbENKUlT_T0_E_clISt17integral_constantIbLb1EES11_EEDaSW_SX_EUlSW_E_NS1_11comp_targetILNS1_3genE3ELNS1_11target_archE908ELNS1_3gpuE7ELNS1_3repE0EEENS1_30default_config_static_selectorELNS0_4arch9wavefront6targetE0EEEvT1_ ; -- Begin function _ZN7rocprim17ROCPRIM_400000_NS6detail17trampoline_kernelINS0_14default_configENS1_29reduce_by_key_config_selectorIxxN6thrust23THRUST_200600_302600_NS4plusIxEEEEZZNS1_33reduce_by_key_impl_wrapped_configILNS1_25lookback_scan_determinismE0ES3_S9_NS6_6detail15normal_iteratorINS6_10device_ptrIxEEEESG_SG_SG_PmS8_NS6_8equal_toIxEEEE10hipError_tPvRmT2_T3_mT4_T5_T6_T7_T8_P12ihipStream_tbENKUlT_T0_E_clISt17integral_constantIbLb1EES11_EEDaSW_SX_EUlSW_E_NS1_11comp_targetILNS1_3genE3ELNS1_11target_archE908ELNS1_3gpuE7ELNS1_3repE0EEENS1_30default_config_static_selectorELNS0_4arch9wavefront6targetE0EEEvT1_
	.globl	_ZN7rocprim17ROCPRIM_400000_NS6detail17trampoline_kernelINS0_14default_configENS1_29reduce_by_key_config_selectorIxxN6thrust23THRUST_200600_302600_NS4plusIxEEEEZZNS1_33reduce_by_key_impl_wrapped_configILNS1_25lookback_scan_determinismE0ES3_S9_NS6_6detail15normal_iteratorINS6_10device_ptrIxEEEESG_SG_SG_PmS8_NS6_8equal_toIxEEEE10hipError_tPvRmT2_T3_mT4_T5_T6_T7_T8_P12ihipStream_tbENKUlT_T0_E_clISt17integral_constantIbLb1EES11_EEDaSW_SX_EUlSW_E_NS1_11comp_targetILNS1_3genE3ELNS1_11target_archE908ELNS1_3gpuE7ELNS1_3repE0EEENS1_30default_config_static_selectorELNS0_4arch9wavefront6targetE0EEEvT1_
	.p2align	8
	.type	_ZN7rocprim17ROCPRIM_400000_NS6detail17trampoline_kernelINS0_14default_configENS1_29reduce_by_key_config_selectorIxxN6thrust23THRUST_200600_302600_NS4plusIxEEEEZZNS1_33reduce_by_key_impl_wrapped_configILNS1_25lookback_scan_determinismE0ES3_S9_NS6_6detail15normal_iteratorINS6_10device_ptrIxEEEESG_SG_SG_PmS8_NS6_8equal_toIxEEEE10hipError_tPvRmT2_T3_mT4_T5_T6_T7_T8_P12ihipStream_tbENKUlT_T0_E_clISt17integral_constantIbLb1EES11_EEDaSW_SX_EUlSW_E_NS1_11comp_targetILNS1_3genE3ELNS1_11target_archE908ELNS1_3gpuE7ELNS1_3repE0EEENS1_30default_config_static_selectorELNS0_4arch9wavefront6targetE0EEEvT1_,@function
_ZN7rocprim17ROCPRIM_400000_NS6detail17trampoline_kernelINS0_14default_configENS1_29reduce_by_key_config_selectorIxxN6thrust23THRUST_200600_302600_NS4plusIxEEEEZZNS1_33reduce_by_key_impl_wrapped_configILNS1_25lookback_scan_determinismE0ES3_S9_NS6_6detail15normal_iteratorINS6_10device_ptrIxEEEESG_SG_SG_PmS8_NS6_8equal_toIxEEEE10hipError_tPvRmT2_T3_mT4_T5_T6_T7_T8_P12ihipStream_tbENKUlT_T0_E_clISt17integral_constantIbLb1EES11_EEDaSW_SX_EUlSW_E_NS1_11comp_targetILNS1_3genE3ELNS1_11target_archE908ELNS1_3gpuE7ELNS1_3repE0EEENS1_30default_config_static_selectorELNS0_4arch9wavefront6targetE0EEEvT1_: ; @_ZN7rocprim17ROCPRIM_400000_NS6detail17trampoline_kernelINS0_14default_configENS1_29reduce_by_key_config_selectorIxxN6thrust23THRUST_200600_302600_NS4plusIxEEEEZZNS1_33reduce_by_key_impl_wrapped_configILNS1_25lookback_scan_determinismE0ES3_S9_NS6_6detail15normal_iteratorINS6_10device_ptrIxEEEESG_SG_SG_PmS8_NS6_8equal_toIxEEEE10hipError_tPvRmT2_T3_mT4_T5_T6_T7_T8_P12ihipStream_tbENKUlT_T0_E_clISt17integral_constantIbLb1EES11_EEDaSW_SX_EUlSW_E_NS1_11comp_targetILNS1_3genE3ELNS1_11target_archE908ELNS1_3gpuE7ELNS1_3repE0EEENS1_30default_config_static_selectorELNS0_4arch9wavefront6targetE0EEEvT1_
; %bb.0:
	.section	.rodata,"a",@progbits
	.p2align	6, 0x0
	.amdhsa_kernel _ZN7rocprim17ROCPRIM_400000_NS6detail17trampoline_kernelINS0_14default_configENS1_29reduce_by_key_config_selectorIxxN6thrust23THRUST_200600_302600_NS4plusIxEEEEZZNS1_33reduce_by_key_impl_wrapped_configILNS1_25lookback_scan_determinismE0ES3_S9_NS6_6detail15normal_iteratorINS6_10device_ptrIxEEEESG_SG_SG_PmS8_NS6_8equal_toIxEEEE10hipError_tPvRmT2_T3_mT4_T5_T6_T7_T8_P12ihipStream_tbENKUlT_T0_E_clISt17integral_constantIbLb1EES11_EEDaSW_SX_EUlSW_E_NS1_11comp_targetILNS1_3genE3ELNS1_11target_archE908ELNS1_3gpuE7ELNS1_3repE0EEENS1_30default_config_static_selectorELNS0_4arch9wavefront6targetE0EEEvT1_
		.amdhsa_group_segment_fixed_size 0
		.amdhsa_private_segment_fixed_size 0
		.amdhsa_kernarg_size 136
		.amdhsa_user_sgpr_count 15
		.amdhsa_user_sgpr_dispatch_ptr 0
		.amdhsa_user_sgpr_queue_ptr 0
		.amdhsa_user_sgpr_kernarg_segment_ptr 1
		.amdhsa_user_sgpr_dispatch_id 0
		.amdhsa_user_sgpr_private_segment_size 0
		.amdhsa_wavefront_size32 1
		.amdhsa_uses_dynamic_stack 0
		.amdhsa_enable_private_segment 0
		.amdhsa_system_sgpr_workgroup_id_x 1
		.amdhsa_system_sgpr_workgroup_id_y 0
		.amdhsa_system_sgpr_workgroup_id_z 0
		.amdhsa_system_sgpr_workgroup_info 0
		.amdhsa_system_vgpr_workitem_id 0
		.amdhsa_next_free_vgpr 1
		.amdhsa_next_free_sgpr 1
		.amdhsa_reserve_vcc 0
		.amdhsa_float_round_mode_32 0
		.amdhsa_float_round_mode_16_64 0
		.amdhsa_float_denorm_mode_32 3
		.amdhsa_float_denorm_mode_16_64 3
		.amdhsa_dx10_clamp 1
		.amdhsa_ieee_mode 1
		.amdhsa_fp16_overflow 0
		.amdhsa_workgroup_processor_mode 1
		.amdhsa_memory_ordered 1
		.amdhsa_forward_progress 0
		.amdhsa_shared_vgpr_count 0
		.amdhsa_exception_fp_ieee_invalid_op 0
		.amdhsa_exception_fp_denorm_src 0
		.amdhsa_exception_fp_ieee_div_zero 0
		.amdhsa_exception_fp_ieee_overflow 0
		.amdhsa_exception_fp_ieee_underflow 0
		.amdhsa_exception_fp_ieee_inexact 0
		.amdhsa_exception_int_div_zero 0
	.end_amdhsa_kernel
	.section	.text._ZN7rocprim17ROCPRIM_400000_NS6detail17trampoline_kernelINS0_14default_configENS1_29reduce_by_key_config_selectorIxxN6thrust23THRUST_200600_302600_NS4plusIxEEEEZZNS1_33reduce_by_key_impl_wrapped_configILNS1_25lookback_scan_determinismE0ES3_S9_NS6_6detail15normal_iteratorINS6_10device_ptrIxEEEESG_SG_SG_PmS8_NS6_8equal_toIxEEEE10hipError_tPvRmT2_T3_mT4_T5_T6_T7_T8_P12ihipStream_tbENKUlT_T0_E_clISt17integral_constantIbLb1EES11_EEDaSW_SX_EUlSW_E_NS1_11comp_targetILNS1_3genE3ELNS1_11target_archE908ELNS1_3gpuE7ELNS1_3repE0EEENS1_30default_config_static_selectorELNS0_4arch9wavefront6targetE0EEEvT1_,"axG",@progbits,_ZN7rocprim17ROCPRIM_400000_NS6detail17trampoline_kernelINS0_14default_configENS1_29reduce_by_key_config_selectorIxxN6thrust23THRUST_200600_302600_NS4plusIxEEEEZZNS1_33reduce_by_key_impl_wrapped_configILNS1_25lookback_scan_determinismE0ES3_S9_NS6_6detail15normal_iteratorINS6_10device_ptrIxEEEESG_SG_SG_PmS8_NS6_8equal_toIxEEEE10hipError_tPvRmT2_T3_mT4_T5_T6_T7_T8_P12ihipStream_tbENKUlT_T0_E_clISt17integral_constantIbLb1EES11_EEDaSW_SX_EUlSW_E_NS1_11comp_targetILNS1_3genE3ELNS1_11target_archE908ELNS1_3gpuE7ELNS1_3repE0EEENS1_30default_config_static_selectorELNS0_4arch9wavefront6targetE0EEEvT1_,comdat
.Lfunc_end482:
	.size	_ZN7rocprim17ROCPRIM_400000_NS6detail17trampoline_kernelINS0_14default_configENS1_29reduce_by_key_config_selectorIxxN6thrust23THRUST_200600_302600_NS4plusIxEEEEZZNS1_33reduce_by_key_impl_wrapped_configILNS1_25lookback_scan_determinismE0ES3_S9_NS6_6detail15normal_iteratorINS6_10device_ptrIxEEEESG_SG_SG_PmS8_NS6_8equal_toIxEEEE10hipError_tPvRmT2_T3_mT4_T5_T6_T7_T8_P12ihipStream_tbENKUlT_T0_E_clISt17integral_constantIbLb1EES11_EEDaSW_SX_EUlSW_E_NS1_11comp_targetILNS1_3genE3ELNS1_11target_archE908ELNS1_3gpuE7ELNS1_3repE0EEENS1_30default_config_static_selectorELNS0_4arch9wavefront6targetE0EEEvT1_, .Lfunc_end482-_ZN7rocprim17ROCPRIM_400000_NS6detail17trampoline_kernelINS0_14default_configENS1_29reduce_by_key_config_selectorIxxN6thrust23THRUST_200600_302600_NS4plusIxEEEEZZNS1_33reduce_by_key_impl_wrapped_configILNS1_25lookback_scan_determinismE0ES3_S9_NS6_6detail15normal_iteratorINS6_10device_ptrIxEEEESG_SG_SG_PmS8_NS6_8equal_toIxEEEE10hipError_tPvRmT2_T3_mT4_T5_T6_T7_T8_P12ihipStream_tbENKUlT_T0_E_clISt17integral_constantIbLb1EES11_EEDaSW_SX_EUlSW_E_NS1_11comp_targetILNS1_3genE3ELNS1_11target_archE908ELNS1_3gpuE7ELNS1_3repE0EEENS1_30default_config_static_selectorELNS0_4arch9wavefront6targetE0EEEvT1_
                                        ; -- End function
	.section	.AMDGPU.csdata,"",@progbits
; Kernel info:
; codeLenInByte = 0
; NumSgprs: 0
; NumVgprs: 0
; ScratchSize: 0
; MemoryBound: 0
; FloatMode: 240
; IeeeMode: 1
; LDSByteSize: 0 bytes/workgroup (compile time only)
; SGPRBlocks: 0
; VGPRBlocks: 0
; NumSGPRsForWavesPerEU: 1
; NumVGPRsForWavesPerEU: 1
; Occupancy: 16
; WaveLimiterHint : 0
; COMPUTE_PGM_RSRC2:SCRATCH_EN: 0
; COMPUTE_PGM_RSRC2:USER_SGPR: 15
; COMPUTE_PGM_RSRC2:TRAP_HANDLER: 0
; COMPUTE_PGM_RSRC2:TGID_X_EN: 1
; COMPUTE_PGM_RSRC2:TGID_Y_EN: 0
; COMPUTE_PGM_RSRC2:TGID_Z_EN: 0
; COMPUTE_PGM_RSRC2:TIDIG_COMP_CNT: 0
	.section	.text._ZN7rocprim17ROCPRIM_400000_NS6detail17trampoline_kernelINS0_14default_configENS1_29reduce_by_key_config_selectorIxxN6thrust23THRUST_200600_302600_NS4plusIxEEEEZZNS1_33reduce_by_key_impl_wrapped_configILNS1_25lookback_scan_determinismE0ES3_S9_NS6_6detail15normal_iteratorINS6_10device_ptrIxEEEESG_SG_SG_PmS8_NS6_8equal_toIxEEEE10hipError_tPvRmT2_T3_mT4_T5_T6_T7_T8_P12ihipStream_tbENKUlT_T0_E_clISt17integral_constantIbLb1EES11_EEDaSW_SX_EUlSW_E_NS1_11comp_targetILNS1_3genE2ELNS1_11target_archE906ELNS1_3gpuE6ELNS1_3repE0EEENS1_30default_config_static_selectorELNS0_4arch9wavefront6targetE0EEEvT1_,"axG",@progbits,_ZN7rocprim17ROCPRIM_400000_NS6detail17trampoline_kernelINS0_14default_configENS1_29reduce_by_key_config_selectorIxxN6thrust23THRUST_200600_302600_NS4plusIxEEEEZZNS1_33reduce_by_key_impl_wrapped_configILNS1_25lookback_scan_determinismE0ES3_S9_NS6_6detail15normal_iteratorINS6_10device_ptrIxEEEESG_SG_SG_PmS8_NS6_8equal_toIxEEEE10hipError_tPvRmT2_T3_mT4_T5_T6_T7_T8_P12ihipStream_tbENKUlT_T0_E_clISt17integral_constantIbLb1EES11_EEDaSW_SX_EUlSW_E_NS1_11comp_targetILNS1_3genE2ELNS1_11target_archE906ELNS1_3gpuE6ELNS1_3repE0EEENS1_30default_config_static_selectorELNS0_4arch9wavefront6targetE0EEEvT1_,comdat
	.protected	_ZN7rocprim17ROCPRIM_400000_NS6detail17trampoline_kernelINS0_14default_configENS1_29reduce_by_key_config_selectorIxxN6thrust23THRUST_200600_302600_NS4plusIxEEEEZZNS1_33reduce_by_key_impl_wrapped_configILNS1_25lookback_scan_determinismE0ES3_S9_NS6_6detail15normal_iteratorINS6_10device_ptrIxEEEESG_SG_SG_PmS8_NS6_8equal_toIxEEEE10hipError_tPvRmT2_T3_mT4_T5_T6_T7_T8_P12ihipStream_tbENKUlT_T0_E_clISt17integral_constantIbLb1EES11_EEDaSW_SX_EUlSW_E_NS1_11comp_targetILNS1_3genE2ELNS1_11target_archE906ELNS1_3gpuE6ELNS1_3repE0EEENS1_30default_config_static_selectorELNS0_4arch9wavefront6targetE0EEEvT1_ ; -- Begin function _ZN7rocprim17ROCPRIM_400000_NS6detail17trampoline_kernelINS0_14default_configENS1_29reduce_by_key_config_selectorIxxN6thrust23THRUST_200600_302600_NS4plusIxEEEEZZNS1_33reduce_by_key_impl_wrapped_configILNS1_25lookback_scan_determinismE0ES3_S9_NS6_6detail15normal_iteratorINS6_10device_ptrIxEEEESG_SG_SG_PmS8_NS6_8equal_toIxEEEE10hipError_tPvRmT2_T3_mT4_T5_T6_T7_T8_P12ihipStream_tbENKUlT_T0_E_clISt17integral_constantIbLb1EES11_EEDaSW_SX_EUlSW_E_NS1_11comp_targetILNS1_3genE2ELNS1_11target_archE906ELNS1_3gpuE6ELNS1_3repE0EEENS1_30default_config_static_selectorELNS0_4arch9wavefront6targetE0EEEvT1_
	.globl	_ZN7rocprim17ROCPRIM_400000_NS6detail17trampoline_kernelINS0_14default_configENS1_29reduce_by_key_config_selectorIxxN6thrust23THRUST_200600_302600_NS4plusIxEEEEZZNS1_33reduce_by_key_impl_wrapped_configILNS1_25lookback_scan_determinismE0ES3_S9_NS6_6detail15normal_iteratorINS6_10device_ptrIxEEEESG_SG_SG_PmS8_NS6_8equal_toIxEEEE10hipError_tPvRmT2_T3_mT4_T5_T6_T7_T8_P12ihipStream_tbENKUlT_T0_E_clISt17integral_constantIbLb1EES11_EEDaSW_SX_EUlSW_E_NS1_11comp_targetILNS1_3genE2ELNS1_11target_archE906ELNS1_3gpuE6ELNS1_3repE0EEENS1_30default_config_static_selectorELNS0_4arch9wavefront6targetE0EEEvT1_
	.p2align	8
	.type	_ZN7rocprim17ROCPRIM_400000_NS6detail17trampoline_kernelINS0_14default_configENS1_29reduce_by_key_config_selectorIxxN6thrust23THRUST_200600_302600_NS4plusIxEEEEZZNS1_33reduce_by_key_impl_wrapped_configILNS1_25lookback_scan_determinismE0ES3_S9_NS6_6detail15normal_iteratorINS6_10device_ptrIxEEEESG_SG_SG_PmS8_NS6_8equal_toIxEEEE10hipError_tPvRmT2_T3_mT4_T5_T6_T7_T8_P12ihipStream_tbENKUlT_T0_E_clISt17integral_constantIbLb1EES11_EEDaSW_SX_EUlSW_E_NS1_11comp_targetILNS1_3genE2ELNS1_11target_archE906ELNS1_3gpuE6ELNS1_3repE0EEENS1_30default_config_static_selectorELNS0_4arch9wavefront6targetE0EEEvT1_,@function
_ZN7rocprim17ROCPRIM_400000_NS6detail17trampoline_kernelINS0_14default_configENS1_29reduce_by_key_config_selectorIxxN6thrust23THRUST_200600_302600_NS4plusIxEEEEZZNS1_33reduce_by_key_impl_wrapped_configILNS1_25lookback_scan_determinismE0ES3_S9_NS6_6detail15normal_iteratorINS6_10device_ptrIxEEEESG_SG_SG_PmS8_NS6_8equal_toIxEEEE10hipError_tPvRmT2_T3_mT4_T5_T6_T7_T8_P12ihipStream_tbENKUlT_T0_E_clISt17integral_constantIbLb1EES11_EEDaSW_SX_EUlSW_E_NS1_11comp_targetILNS1_3genE2ELNS1_11target_archE906ELNS1_3gpuE6ELNS1_3repE0EEENS1_30default_config_static_selectorELNS0_4arch9wavefront6targetE0EEEvT1_: ; @_ZN7rocprim17ROCPRIM_400000_NS6detail17trampoline_kernelINS0_14default_configENS1_29reduce_by_key_config_selectorIxxN6thrust23THRUST_200600_302600_NS4plusIxEEEEZZNS1_33reduce_by_key_impl_wrapped_configILNS1_25lookback_scan_determinismE0ES3_S9_NS6_6detail15normal_iteratorINS6_10device_ptrIxEEEESG_SG_SG_PmS8_NS6_8equal_toIxEEEE10hipError_tPvRmT2_T3_mT4_T5_T6_T7_T8_P12ihipStream_tbENKUlT_T0_E_clISt17integral_constantIbLb1EES11_EEDaSW_SX_EUlSW_E_NS1_11comp_targetILNS1_3genE2ELNS1_11target_archE906ELNS1_3gpuE6ELNS1_3repE0EEENS1_30default_config_static_selectorELNS0_4arch9wavefront6targetE0EEEvT1_
; %bb.0:
	.section	.rodata,"a",@progbits
	.p2align	6, 0x0
	.amdhsa_kernel _ZN7rocprim17ROCPRIM_400000_NS6detail17trampoline_kernelINS0_14default_configENS1_29reduce_by_key_config_selectorIxxN6thrust23THRUST_200600_302600_NS4plusIxEEEEZZNS1_33reduce_by_key_impl_wrapped_configILNS1_25lookback_scan_determinismE0ES3_S9_NS6_6detail15normal_iteratorINS6_10device_ptrIxEEEESG_SG_SG_PmS8_NS6_8equal_toIxEEEE10hipError_tPvRmT2_T3_mT4_T5_T6_T7_T8_P12ihipStream_tbENKUlT_T0_E_clISt17integral_constantIbLb1EES11_EEDaSW_SX_EUlSW_E_NS1_11comp_targetILNS1_3genE2ELNS1_11target_archE906ELNS1_3gpuE6ELNS1_3repE0EEENS1_30default_config_static_selectorELNS0_4arch9wavefront6targetE0EEEvT1_
		.amdhsa_group_segment_fixed_size 0
		.amdhsa_private_segment_fixed_size 0
		.amdhsa_kernarg_size 136
		.amdhsa_user_sgpr_count 15
		.amdhsa_user_sgpr_dispatch_ptr 0
		.amdhsa_user_sgpr_queue_ptr 0
		.amdhsa_user_sgpr_kernarg_segment_ptr 1
		.amdhsa_user_sgpr_dispatch_id 0
		.amdhsa_user_sgpr_private_segment_size 0
		.amdhsa_wavefront_size32 1
		.amdhsa_uses_dynamic_stack 0
		.amdhsa_enable_private_segment 0
		.amdhsa_system_sgpr_workgroup_id_x 1
		.amdhsa_system_sgpr_workgroup_id_y 0
		.amdhsa_system_sgpr_workgroup_id_z 0
		.amdhsa_system_sgpr_workgroup_info 0
		.amdhsa_system_vgpr_workitem_id 0
		.amdhsa_next_free_vgpr 1
		.amdhsa_next_free_sgpr 1
		.amdhsa_reserve_vcc 0
		.amdhsa_float_round_mode_32 0
		.amdhsa_float_round_mode_16_64 0
		.amdhsa_float_denorm_mode_32 3
		.amdhsa_float_denorm_mode_16_64 3
		.amdhsa_dx10_clamp 1
		.amdhsa_ieee_mode 1
		.amdhsa_fp16_overflow 0
		.amdhsa_workgroup_processor_mode 1
		.amdhsa_memory_ordered 1
		.amdhsa_forward_progress 0
		.amdhsa_shared_vgpr_count 0
		.amdhsa_exception_fp_ieee_invalid_op 0
		.amdhsa_exception_fp_denorm_src 0
		.amdhsa_exception_fp_ieee_div_zero 0
		.amdhsa_exception_fp_ieee_overflow 0
		.amdhsa_exception_fp_ieee_underflow 0
		.amdhsa_exception_fp_ieee_inexact 0
		.amdhsa_exception_int_div_zero 0
	.end_amdhsa_kernel
	.section	.text._ZN7rocprim17ROCPRIM_400000_NS6detail17trampoline_kernelINS0_14default_configENS1_29reduce_by_key_config_selectorIxxN6thrust23THRUST_200600_302600_NS4plusIxEEEEZZNS1_33reduce_by_key_impl_wrapped_configILNS1_25lookback_scan_determinismE0ES3_S9_NS6_6detail15normal_iteratorINS6_10device_ptrIxEEEESG_SG_SG_PmS8_NS6_8equal_toIxEEEE10hipError_tPvRmT2_T3_mT4_T5_T6_T7_T8_P12ihipStream_tbENKUlT_T0_E_clISt17integral_constantIbLb1EES11_EEDaSW_SX_EUlSW_E_NS1_11comp_targetILNS1_3genE2ELNS1_11target_archE906ELNS1_3gpuE6ELNS1_3repE0EEENS1_30default_config_static_selectorELNS0_4arch9wavefront6targetE0EEEvT1_,"axG",@progbits,_ZN7rocprim17ROCPRIM_400000_NS6detail17trampoline_kernelINS0_14default_configENS1_29reduce_by_key_config_selectorIxxN6thrust23THRUST_200600_302600_NS4plusIxEEEEZZNS1_33reduce_by_key_impl_wrapped_configILNS1_25lookback_scan_determinismE0ES3_S9_NS6_6detail15normal_iteratorINS6_10device_ptrIxEEEESG_SG_SG_PmS8_NS6_8equal_toIxEEEE10hipError_tPvRmT2_T3_mT4_T5_T6_T7_T8_P12ihipStream_tbENKUlT_T0_E_clISt17integral_constantIbLb1EES11_EEDaSW_SX_EUlSW_E_NS1_11comp_targetILNS1_3genE2ELNS1_11target_archE906ELNS1_3gpuE6ELNS1_3repE0EEENS1_30default_config_static_selectorELNS0_4arch9wavefront6targetE0EEEvT1_,comdat
.Lfunc_end483:
	.size	_ZN7rocprim17ROCPRIM_400000_NS6detail17trampoline_kernelINS0_14default_configENS1_29reduce_by_key_config_selectorIxxN6thrust23THRUST_200600_302600_NS4plusIxEEEEZZNS1_33reduce_by_key_impl_wrapped_configILNS1_25lookback_scan_determinismE0ES3_S9_NS6_6detail15normal_iteratorINS6_10device_ptrIxEEEESG_SG_SG_PmS8_NS6_8equal_toIxEEEE10hipError_tPvRmT2_T3_mT4_T5_T6_T7_T8_P12ihipStream_tbENKUlT_T0_E_clISt17integral_constantIbLb1EES11_EEDaSW_SX_EUlSW_E_NS1_11comp_targetILNS1_3genE2ELNS1_11target_archE906ELNS1_3gpuE6ELNS1_3repE0EEENS1_30default_config_static_selectorELNS0_4arch9wavefront6targetE0EEEvT1_, .Lfunc_end483-_ZN7rocprim17ROCPRIM_400000_NS6detail17trampoline_kernelINS0_14default_configENS1_29reduce_by_key_config_selectorIxxN6thrust23THRUST_200600_302600_NS4plusIxEEEEZZNS1_33reduce_by_key_impl_wrapped_configILNS1_25lookback_scan_determinismE0ES3_S9_NS6_6detail15normal_iteratorINS6_10device_ptrIxEEEESG_SG_SG_PmS8_NS6_8equal_toIxEEEE10hipError_tPvRmT2_T3_mT4_T5_T6_T7_T8_P12ihipStream_tbENKUlT_T0_E_clISt17integral_constantIbLb1EES11_EEDaSW_SX_EUlSW_E_NS1_11comp_targetILNS1_3genE2ELNS1_11target_archE906ELNS1_3gpuE6ELNS1_3repE0EEENS1_30default_config_static_selectorELNS0_4arch9wavefront6targetE0EEEvT1_
                                        ; -- End function
	.section	.AMDGPU.csdata,"",@progbits
; Kernel info:
; codeLenInByte = 0
; NumSgprs: 0
; NumVgprs: 0
; ScratchSize: 0
; MemoryBound: 0
; FloatMode: 240
; IeeeMode: 1
; LDSByteSize: 0 bytes/workgroup (compile time only)
; SGPRBlocks: 0
; VGPRBlocks: 0
; NumSGPRsForWavesPerEU: 1
; NumVGPRsForWavesPerEU: 1
; Occupancy: 16
; WaveLimiterHint : 0
; COMPUTE_PGM_RSRC2:SCRATCH_EN: 0
; COMPUTE_PGM_RSRC2:USER_SGPR: 15
; COMPUTE_PGM_RSRC2:TRAP_HANDLER: 0
; COMPUTE_PGM_RSRC2:TGID_X_EN: 1
; COMPUTE_PGM_RSRC2:TGID_Y_EN: 0
; COMPUTE_PGM_RSRC2:TGID_Z_EN: 0
; COMPUTE_PGM_RSRC2:TIDIG_COMP_CNT: 0
	.section	.text._ZN7rocprim17ROCPRIM_400000_NS6detail17trampoline_kernelINS0_14default_configENS1_29reduce_by_key_config_selectorIxxN6thrust23THRUST_200600_302600_NS4plusIxEEEEZZNS1_33reduce_by_key_impl_wrapped_configILNS1_25lookback_scan_determinismE0ES3_S9_NS6_6detail15normal_iteratorINS6_10device_ptrIxEEEESG_SG_SG_PmS8_NS6_8equal_toIxEEEE10hipError_tPvRmT2_T3_mT4_T5_T6_T7_T8_P12ihipStream_tbENKUlT_T0_E_clISt17integral_constantIbLb1EES11_EEDaSW_SX_EUlSW_E_NS1_11comp_targetILNS1_3genE10ELNS1_11target_archE1201ELNS1_3gpuE5ELNS1_3repE0EEENS1_30default_config_static_selectorELNS0_4arch9wavefront6targetE0EEEvT1_,"axG",@progbits,_ZN7rocprim17ROCPRIM_400000_NS6detail17trampoline_kernelINS0_14default_configENS1_29reduce_by_key_config_selectorIxxN6thrust23THRUST_200600_302600_NS4plusIxEEEEZZNS1_33reduce_by_key_impl_wrapped_configILNS1_25lookback_scan_determinismE0ES3_S9_NS6_6detail15normal_iteratorINS6_10device_ptrIxEEEESG_SG_SG_PmS8_NS6_8equal_toIxEEEE10hipError_tPvRmT2_T3_mT4_T5_T6_T7_T8_P12ihipStream_tbENKUlT_T0_E_clISt17integral_constantIbLb1EES11_EEDaSW_SX_EUlSW_E_NS1_11comp_targetILNS1_3genE10ELNS1_11target_archE1201ELNS1_3gpuE5ELNS1_3repE0EEENS1_30default_config_static_selectorELNS0_4arch9wavefront6targetE0EEEvT1_,comdat
	.protected	_ZN7rocprim17ROCPRIM_400000_NS6detail17trampoline_kernelINS0_14default_configENS1_29reduce_by_key_config_selectorIxxN6thrust23THRUST_200600_302600_NS4plusIxEEEEZZNS1_33reduce_by_key_impl_wrapped_configILNS1_25lookback_scan_determinismE0ES3_S9_NS6_6detail15normal_iteratorINS6_10device_ptrIxEEEESG_SG_SG_PmS8_NS6_8equal_toIxEEEE10hipError_tPvRmT2_T3_mT4_T5_T6_T7_T8_P12ihipStream_tbENKUlT_T0_E_clISt17integral_constantIbLb1EES11_EEDaSW_SX_EUlSW_E_NS1_11comp_targetILNS1_3genE10ELNS1_11target_archE1201ELNS1_3gpuE5ELNS1_3repE0EEENS1_30default_config_static_selectorELNS0_4arch9wavefront6targetE0EEEvT1_ ; -- Begin function _ZN7rocprim17ROCPRIM_400000_NS6detail17trampoline_kernelINS0_14default_configENS1_29reduce_by_key_config_selectorIxxN6thrust23THRUST_200600_302600_NS4plusIxEEEEZZNS1_33reduce_by_key_impl_wrapped_configILNS1_25lookback_scan_determinismE0ES3_S9_NS6_6detail15normal_iteratorINS6_10device_ptrIxEEEESG_SG_SG_PmS8_NS6_8equal_toIxEEEE10hipError_tPvRmT2_T3_mT4_T5_T6_T7_T8_P12ihipStream_tbENKUlT_T0_E_clISt17integral_constantIbLb1EES11_EEDaSW_SX_EUlSW_E_NS1_11comp_targetILNS1_3genE10ELNS1_11target_archE1201ELNS1_3gpuE5ELNS1_3repE0EEENS1_30default_config_static_selectorELNS0_4arch9wavefront6targetE0EEEvT1_
	.globl	_ZN7rocprim17ROCPRIM_400000_NS6detail17trampoline_kernelINS0_14default_configENS1_29reduce_by_key_config_selectorIxxN6thrust23THRUST_200600_302600_NS4plusIxEEEEZZNS1_33reduce_by_key_impl_wrapped_configILNS1_25lookback_scan_determinismE0ES3_S9_NS6_6detail15normal_iteratorINS6_10device_ptrIxEEEESG_SG_SG_PmS8_NS6_8equal_toIxEEEE10hipError_tPvRmT2_T3_mT4_T5_T6_T7_T8_P12ihipStream_tbENKUlT_T0_E_clISt17integral_constantIbLb1EES11_EEDaSW_SX_EUlSW_E_NS1_11comp_targetILNS1_3genE10ELNS1_11target_archE1201ELNS1_3gpuE5ELNS1_3repE0EEENS1_30default_config_static_selectorELNS0_4arch9wavefront6targetE0EEEvT1_
	.p2align	8
	.type	_ZN7rocprim17ROCPRIM_400000_NS6detail17trampoline_kernelINS0_14default_configENS1_29reduce_by_key_config_selectorIxxN6thrust23THRUST_200600_302600_NS4plusIxEEEEZZNS1_33reduce_by_key_impl_wrapped_configILNS1_25lookback_scan_determinismE0ES3_S9_NS6_6detail15normal_iteratorINS6_10device_ptrIxEEEESG_SG_SG_PmS8_NS6_8equal_toIxEEEE10hipError_tPvRmT2_T3_mT4_T5_T6_T7_T8_P12ihipStream_tbENKUlT_T0_E_clISt17integral_constantIbLb1EES11_EEDaSW_SX_EUlSW_E_NS1_11comp_targetILNS1_3genE10ELNS1_11target_archE1201ELNS1_3gpuE5ELNS1_3repE0EEENS1_30default_config_static_selectorELNS0_4arch9wavefront6targetE0EEEvT1_,@function
_ZN7rocprim17ROCPRIM_400000_NS6detail17trampoline_kernelINS0_14default_configENS1_29reduce_by_key_config_selectorIxxN6thrust23THRUST_200600_302600_NS4plusIxEEEEZZNS1_33reduce_by_key_impl_wrapped_configILNS1_25lookback_scan_determinismE0ES3_S9_NS6_6detail15normal_iteratorINS6_10device_ptrIxEEEESG_SG_SG_PmS8_NS6_8equal_toIxEEEE10hipError_tPvRmT2_T3_mT4_T5_T6_T7_T8_P12ihipStream_tbENKUlT_T0_E_clISt17integral_constantIbLb1EES11_EEDaSW_SX_EUlSW_E_NS1_11comp_targetILNS1_3genE10ELNS1_11target_archE1201ELNS1_3gpuE5ELNS1_3repE0EEENS1_30default_config_static_selectorELNS0_4arch9wavefront6targetE0EEEvT1_: ; @_ZN7rocprim17ROCPRIM_400000_NS6detail17trampoline_kernelINS0_14default_configENS1_29reduce_by_key_config_selectorIxxN6thrust23THRUST_200600_302600_NS4plusIxEEEEZZNS1_33reduce_by_key_impl_wrapped_configILNS1_25lookback_scan_determinismE0ES3_S9_NS6_6detail15normal_iteratorINS6_10device_ptrIxEEEESG_SG_SG_PmS8_NS6_8equal_toIxEEEE10hipError_tPvRmT2_T3_mT4_T5_T6_T7_T8_P12ihipStream_tbENKUlT_T0_E_clISt17integral_constantIbLb1EES11_EEDaSW_SX_EUlSW_E_NS1_11comp_targetILNS1_3genE10ELNS1_11target_archE1201ELNS1_3gpuE5ELNS1_3repE0EEENS1_30default_config_static_selectorELNS0_4arch9wavefront6targetE0EEEvT1_
; %bb.0:
	.section	.rodata,"a",@progbits
	.p2align	6, 0x0
	.amdhsa_kernel _ZN7rocprim17ROCPRIM_400000_NS6detail17trampoline_kernelINS0_14default_configENS1_29reduce_by_key_config_selectorIxxN6thrust23THRUST_200600_302600_NS4plusIxEEEEZZNS1_33reduce_by_key_impl_wrapped_configILNS1_25lookback_scan_determinismE0ES3_S9_NS6_6detail15normal_iteratorINS6_10device_ptrIxEEEESG_SG_SG_PmS8_NS6_8equal_toIxEEEE10hipError_tPvRmT2_T3_mT4_T5_T6_T7_T8_P12ihipStream_tbENKUlT_T0_E_clISt17integral_constantIbLb1EES11_EEDaSW_SX_EUlSW_E_NS1_11comp_targetILNS1_3genE10ELNS1_11target_archE1201ELNS1_3gpuE5ELNS1_3repE0EEENS1_30default_config_static_selectorELNS0_4arch9wavefront6targetE0EEEvT1_
		.amdhsa_group_segment_fixed_size 0
		.amdhsa_private_segment_fixed_size 0
		.amdhsa_kernarg_size 136
		.amdhsa_user_sgpr_count 15
		.amdhsa_user_sgpr_dispatch_ptr 0
		.amdhsa_user_sgpr_queue_ptr 0
		.amdhsa_user_sgpr_kernarg_segment_ptr 1
		.amdhsa_user_sgpr_dispatch_id 0
		.amdhsa_user_sgpr_private_segment_size 0
		.amdhsa_wavefront_size32 1
		.amdhsa_uses_dynamic_stack 0
		.amdhsa_enable_private_segment 0
		.amdhsa_system_sgpr_workgroup_id_x 1
		.amdhsa_system_sgpr_workgroup_id_y 0
		.amdhsa_system_sgpr_workgroup_id_z 0
		.amdhsa_system_sgpr_workgroup_info 0
		.amdhsa_system_vgpr_workitem_id 0
		.amdhsa_next_free_vgpr 1
		.amdhsa_next_free_sgpr 1
		.amdhsa_reserve_vcc 0
		.amdhsa_float_round_mode_32 0
		.amdhsa_float_round_mode_16_64 0
		.amdhsa_float_denorm_mode_32 3
		.amdhsa_float_denorm_mode_16_64 3
		.amdhsa_dx10_clamp 1
		.amdhsa_ieee_mode 1
		.amdhsa_fp16_overflow 0
		.amdhsa_workgroup_processor_mode 1
		.amdhsa_memory_ordered 1
		.amdhsa_forward_progress 0
		.amdhsa_shared_vgpr_count 0
		.amdhsa_exception_fp_ieee_invalid_op 0
		.amdhsa_exception_fp_denorm_src 0
		.amdhsa_exception_fp_ieee_div_zero 0
		.amdhsa_exception_fp_ieee_overflow 0
		.amdhsa_exception_fp_ieee_underflow 0
		.amdhsa_exception_fp_ieee_inexact 0
		.amdhsa_exception_int_div_zero 0
	.end_amdhsa_kernel
	.section	.text._ZN7rocprim17ROCPRIM_400000_NS6detail17trampoline_kernelINS0_14default_configENS1_29reduce_by_key_config_selectorIxxN6thrust23THRUST_200600_302600_NS4plusIxEEEEZZNS1_33reduce_by_key_impl_wrapped_configILNS1_25lookback_scan_determinismE0ES3_S9_NS6_6detail15normal_iteratorINS6_10device_ptrIxEEEESG_SG_SG_PmS8_NS6_8equal_toIxEEEE10hipError_tPvRmT2_T3_mT4_T5_T6_T7_T8_P12ihipStream_tbENKUlT_T0_E_clISt17integral_constantIbLb1EES11_EEDaSW_SX_EUlSW_E_NS1_11comp_targetILNS1_3genE10ELNS1_11target_archE1201ELNS1_3gpuE5ELNS1_3repE0EEENS1_30default_config_static_selectorELNS0_4arch9wavefront6targetE0EEEvT1_,"axG",@progbits,_ZN7rocprim17ROCPRIM_400000_NS6detail17trampoline_kernelINS0_14default_configENS1_29reduce_by_key_config_selectorIxxN6thrust23THRUST_200600_302600_NS4plusIxEEEEZZNS1_33reduce_by_key_impl_wrapped_configILNS1_25lookback_scan_determinismE0ES3_S9_NS6_6detail15normal_iteratorINS6_10device_ptrIxEEEESG_SG_SG_PmS8_NS6_8equal_toIxEEEE10hipError_tPvRmT2_T3_mT4_T5_T6_T7_T8_P12ihipStream_tbENKUlT_T0_E_clISt17integral_constantIbLb1EES11_EEDaSW_SX_EUlSW_E_NS1_11comp_targetILNS1_3genE10ELNS1_11target_archE1201ELNS1_3gpuE5ELNS1_3repE0EEENS1_30default_config_static_selectorELNS0_4arch9wavefront6targetE0EEEvT1_,comdat
.Lfunc_end484:
	.size	_ZN7rocprim17ROCPRIM_400000_NS6detail17trampoline_kernelINS0_14default_configENS1_29reduce_by_key_config_selectorIxxN6thrust23THRUST_200600_302600_NS4plusIxEEEEZZNS1_33reduce_by_key_impl_wrapped_configILNS1_25lookback_scan_determinismE0ES3_S9_NS6_6detail15normal_iteratorINS6_10device_ptrIxEEEESG_SG_SG_PmS8_NS6_8equal_toIxEEEE10hipError_tPvRmT2_T3_mT4_T5_T6_T7_T8_P12ihipStream_tbENKUlT_T0_E_clISt17integral_constantIbLb1EES11_EEDaSW_SX_EUlSW_E_NS1_11comp_targetILNS1_3genE10ELNS1_11target_archE1201ELNS1_3gpuE5ELNS1_3repE0EEENS1_30default_config_static_selectorELNS0_4arch9wavefront6targetE0EEEvT1_, .Lfunc_end484-_ZN7rocprim17ROCPRIM_400000_NS6detail17trampoline_kernelINS0_14default_configENS1_29reduce_by_key_config_selectorIxxN6thrust23THRUST_200600_302600_NS4plusIxEEEEZZNS1_33reduce_by_key_impl_wrapped_configILNS1_25lookback_scan_determinismE0ES3_S9_NS6_6detail15normal_iteratorINS6_10device_ptrIxEEEESG_SG_SG_PmS8_NS6_8equal_toIxEEEE10hipError_tPvRmT2_T3_mT4_T5_T6_T7_T8_P12ihipStream_tbENKUlT_T0_E_clISt17integral_constantIbLb1EES11_EEDaSW_SX_EUlSW_E_NS1_11comp_targetILNS1_3genE10ELNS1_11target_archE1201ELNS1_3gpuE5ELNS1_3repE0EEENS1_30default_config_static_selectorELNS0_4arch9wavefront6targetE0EEEvT1_
                                        ; -- End function
	.section	.AMDGPU.csdata,"",@progbits
; Kernel info:
; codeLenInByte = 0
; NumSgprs: 0
; NumVgprs: 0
; ScratchSize: 0
; MemoryBound: 0
; FloatMode: 240
; IeeeMode: 1
; LDSByteSize: 0 bytes/workgroup (compile time only)
; SGPRBlocks: 0
; VGPRBlocks: 0
; NumSGPRsForWavesPerEU: 1
; NumVGPRsForWavesPerEU: 1
; Occupancy: 16
; WaveLimiterHint : 0
; COMPUTE_PGM_RSRC2:SCRATCH_EN: 0
; COMPUTE_PGM_RSRC2:USER_SGPR: 15
; COMPUTE_PGM_RSRC2:TRAP_HANDLER: 0
; COMPUTE_PGM_RSRC2:TGID_X_EN: 1
; COMPUTE_PGM_RSRC2:TGID_Y_EN: 0
; COMPUTE_PGM_RSRC2:TGID_Z_EN: 0
; COMPUTE_PGM_RSRC2:TIDIG_COMP_CNT: 0
	.section	.text._ZN7rocprim17ROCPRIM_400000_NS6detail17trampoline_kernelINS0_14default_configENS1_29reduce_by_key_config_selectorIxxN6thrust23THRUST_200600_302600_NS4plusIxEEEEZZNS1_33reduce_by_key_impl_wrapped_configILNS1_25lookback_scan_determinismE0ES3_S9_NS6_6detail15normal_iteratorINS6_10device_ptrIxEEEESG_SG_SG_PmS8_NS6_8equal_toIxEEEE10hipError_tPvRmT2_T3_mT4_T5_T6_T7_T8_P12ihipStream_tbENKUlT_T0_E_clISt17integral_constantIbLb1EES11_EEDaSW_SX_EUlSW_E_NS1_11comp_targetILNS1_3genE10ELNS1_11target_archE1200ELNS1_3gpuE4ELNS1_3repE0EEENS1_30default_config_static_selectorELNS0_4arch9wavefront6targetE0EEEvT1_,"axG",@progbits,_ZN7rocprim17ROCPRIM_400000_NS6detail17trampoline_kernelINS0_14default_configENS1_29reduce_by_key_config_selectorIxxN6thrust23THRUST_200600_302600_NS4plusIxEEEEZZNS1_33reduce_by_key_impl_wrapped_configILNS1_25lookback_scan_determinismE0ES3_S9_NS6_6detail15normal_iteratorINS6_10device_ptrIxEEEESG_SG_SG_PmS8_NS6_8equal_toIxEEEE10hipError_tPvRmT2_T3_mT4_T5_T6_T7_T8_P12ihipStream_tbENKUlT_T0_E_clISt17integral_constantIbLb1EES11_EEDaSW_SX_EUlSW_E_NS1_11comp_targetILNS1_3genE10ELNS1_11target_archE1200ELNS1_3gpuE4ELNS1_3repE0EEENS1_30default_config_static_selectorELNS0_4arch9wavefront6targetE0EEEvT1_,comdat
	.protected	_ZN7rocprim17ROCPRIM_400000_NS6detail17trampoline_kernelINS0_14default_configENS1_29reduce_by_key_config_selectorIxxN6thrust23THRUST_200600_302600_NS4plusIxEEEEZZNS1_33reduce_by_key_impl_wrapped_configILNS1_25lookback_scan_determinismE0ES3_S9_NS6_6detail15normal_iteratorINS6_10device_ptrIxEEEESG_SG_SG_PmS8_NS6_8equal_toIxEEEE10hipError_tPvRmT2_T3_mT4_T5_T6_T7_T8_P12ihipStream_tbENKUlT_T0_E_clISt17integral_constantIbLb1EES11_EEDaSW_SX_EUlSW_E_NS1_11comp_targetILNS1_3genE10ELNS1_11target_archE1200ELNS1_3gpuE4ELNS1_3repE0EEENS1_30default_config_static_selectorELNS0_4arch9wavefront6targetE0EEEvT1_ ; -- Begin function _ZN7rocprim17ROCPRIM_400000_NS6detail17trampoline_kernelINS0_14default_configENS1_29reduce_by_key_config_selectorIxxN6thrust23THRUST_200600_302600_NS4plusIxEEEEZZNS1_33reduce_by_key_impl_wrapped_configILNS1_25lookback_scan_determinismE0ES3_S9_NS6_6detail15normal_iteratorINS6_10device_ptrIxEEEESG_SG_SG_PmS8_NS6_8equal_toIxEEEE10hipError_tPvRmT2_T3_mT4_T5_T6_T7_T8_P12ihipStream_tbENKUlT_T0_E_clISt17integral_constantIbLb1EES11_EEDaSW_SX_EUlSW_E_NS1_11comp_targetILNS1_3genE10ELNS1_11target_archE1200ELNS1_3gpuE4ELNS1_3repE0EEENS1_30default_config_static_selectorELNS0_4arch9wavefront6targetE0EEEvT1_
	.globl	_ZN7rocprim17ROCPRIM_400000_NS6detail17trampoline_kernelINS0_14default_configENS1_29reduce_by_key_config_selectorIxxN6thrust23THRUST_200600_302600_NS4plusIxEEEEZZNS1_33reduce_by_key_impl_wrapped_configILNS1_25lookback_scan_determinismE0ES3_S9_NS6_6detail15normal_iteratorINS6_10device_ptrIxEEEESG_SG_SG_PmS8_NS6_8equal_toIxEEEE10hipError_tPvRmT2_T3_mT4_T5_T6_T7_T8_P12ihipStream_tbENKUlT_T0_E_clISt17integral_constantIbLb1EES11_EEDaSW_SX_EUlSW_E_NS1_11comp_targetILNS1_3genE10ELNS1_11target_archE1200ELNS1_3gpuE4ELNS1_3repE0EEENS1_30default_config_static_selectorELNS0_4arch9wavefront6targetE0EEEvT1_
	.p2align	8
	.type	_ZN7rocprim17ROCPRIM_400000_NS6detail17trampoline_kernelINS0_14default_configENS1_29reduce_by_key_config_selectorIxxN6thrust23THRUST_200600_302600_NS4plusIxEEEEZZNS1_33reduce_by_key_impl_wrapped_configILNS1_25lookback_scan_determinismE0ES3_S9_NS6_6detail15normal_iteratorINS6_10device_ptrIxEEEESG_SG_SG_PmS8_NS6_8equal_toIxEEEE10hipError_tPvRmT2_T3_mT4_T5_T6_T7_T8_P12ihipStream_tbENKUlT_T0_E_clISt17integral_constantIbLb1EES11_EEDaSW_SX_EUlSW_E_NS1_11comp_targetILNS1_3genE10ELNS1_11target_archE1200ELNS1_3gpuE4ELNS1_3repE0EEENS1_30default_config_static_selectorELNS0_4arch9wavefront6targetE0EEEvT1_,@function
_ZN7rocprim17ROCPRIM_400000_NS6detail17trampoline_kernelINS0_14default_configENS1_29reduce_by_key_config_selectorIxxN6thrust23THRUST_200600_302600_NS4plusIxEEEEZZNS1_33reduce_by_key_impl_wrapped_configILNS1_25lookback_scan_determinismE0ES3_S9_NS6_6detail15normal_iteratorINS6_10device_ptrIxEEEESG_SG_SG_PmS8_NS6_8equal_toIxEEEE10hipError_tPvRmT2_T3_mT4_T5_T6_T7_T8_P12ihipStream_tbENKUlT_T0_E_clISt17integral_constantIbLb1EES11_EEDaSW_SX_EUlSW_E_NS1_11comp_targetILNS1_3genE10ELNS1_11target_archE1200ELNS1_3gpuE4ELNS1_3repE0EEENS1_30default_config_static_selectorELNS0_4arch9wavefront6targetE0EEEvT1_: ; @_ZN7rocprim17ROCPRIM_400000_NS6detail17trampoline_kernelINS0_14default_configENS1_29reduce_by_key_config_selectorIxxN6thrust23THRUST_200600_302600_NS4plusIxEEEEZZNS1_33reduce_by_key_impl_wrapped_configILNS1_25lookback_scan_determinismE0ES3_S9_NS6_6detail15normal_iteratorINS6_10device_ptrIxEEEESG_SG_SG_PmS8_NS6_8equal_toIxEEEE10hipError_tPvRmT2_T3_mT4_T5_T6_T7_T8_P12ihipStream_tbENKUlT_T0_E_clISt17integral_constantIbLb1EES11_EEDaSW_SX_EUlSW_E_NS1_11comp_targetILNS1_3genE10ELNS1_11target_archE1200ELNS1_3gpuE4ELNS1_3repE0EEENS1_30default_config_static_selectorELNS0_4arch9wavefront6targetE0EEEvT1_
; %bb.0:
	.section	.rodata,"a",@progbits
	.p2align	6, 0x0
	.amdhsa_kernel _ZN7rocprim17ROCPRIM_400000_NS6detail17trampoline_kernelINS0_14default_configENS1_29reduce_by_key_config_selectorIxxN6thrust23THRUST_200600_302600_NS4plusIxEEEEZZNS1_33reduce_by_key_impl_wrapped_configILNS1_25lookback_scan_determinismE0ES3_S9_NS6_6detail15normal_iteratorINS6_10device_ptrIxEEEESG_SG_SG_PmS8_NS6_8equal_toIxEEEE10hipError_tPvRmT2_T3_mT4_T5_T6_T7_T8_P12ihipStream_tbENKUlT_T0_E_clISt17integral_constantIbLb1EES11_EEDaSW_SX_EUlSW_E_NS1_11comp_targetILNS1_3genE10ELNS1_11target_archE1200ELNS1_3gpuE4ELNS1_3repE0EEENS1_30default_config_static_selectorELNS0_4arch9wavefront6targetE0EEEvT1_
		.amdhsa_group_segment_fixed_size 0
		.amdhsa_private_segment_fixed_size 0
		.amdhsa_kernarg_size 136
		.amdhsa_user_sgpr_count 15
		.amdhsa_user_sgpr_dispatch_ptr 0
		.amdhsa_user_sgpr_queue_ptr 0
		.amdhsa_user_sgpr_kernarg_segment_ptr 1
		.amdhsa_user_sgpr_dispatch_id 0
		.amdhsa_user_sgpr_private_segment_size 0
		.amdhsa_wavefront_size32 1
		.amdhsa_uses_dynamic_stack 0
		.amdhsa_enable_private_segment 0
		.amdhsa_system_sgpr_workgroup_id_x 1
		.amdhsa_system_sgpr_workgroup_id_y 0
		.amdhsa_system_sgpr_workgroup_id_z 0
		.amdhsa_system_sgpr_workgroup_info 0
		.amdhsa_system_vgpr_workitem_id 0
		.amdhsa_next_free_vgpr 1
		.amdhsa_next_free_sgpr 1
		.amdhsa_reserve_vcc 0
		.amdhsa_float_round_mode_32 0
		.amdhsa_float_round_mode_16_64 0
		.amdhsa_float_denorm_mode_32 3
		.amdhsa_float_denorm_mode_16_64 3
		.amdhsa_dx10_clamp 1
		.amdhsa_ieee_mode 1
		.amdhsa_fp16_overflow 0
		.amdhsa_workgroup_processor_mode 1
		.amdhsa_memory_ordered 1
		.amdhsa_forward_progress 0
		.amdhsa_shared_vgpr_count 0
		.amdhsa_exception_fp_ieee_invalid_op 0
		.amdhsa_exception_fp_denorm_src 0
		.amdhsa_exception_fp_ieee_div_zero 0
		.amdhsa_exception_fp_ieee_overflow 0
		.amdhsa_exception_fp_ieee_underflow 0
		.amdhsa_exception_fp_ieee_inexact 0
		.amdhsa_exception_int_div_zero 0
	.end_amdhsa_kernel
	.section	.text._ZN7rocprim17ROCPRIM_400000_NS6detail17trampoline_kernelINS0_14default_configENS1_29reduce_by_key_config_selectorIxxN6thrust23THRUST_200600_302600_NS4plusIxEEEEZZNS1_33reduce_by_key_impl_wrapped_configILNS1_25lookback_scan_determinismE0ES3_S9_NS6_6detail15normal_iteratorINS6_10device_ptrIxEEEESG_SG_SG_PmS8_NS6_8equal_toIxEEEE10hipError_tPvRmT2_T3_mT4_T5_T6_T7_T8_P12ihipStream_tbENKUlT_T0_E_clISt17integral_constantIbLb1EES11_EEDaSW_SX_EUlSW_E_NS1_11comp_targetILNS1_3genE10ELNS1_11target_archE1200ELNS1_3gpuE4ELNS1_3repE0EEENS1_30default_config_static_selectorELNS0_4arch9wavefront6targetE0EEEvT1_,"axG",@progbits,_ZN7rocprim17ROCPRIM_400000_NS6detail17trampoline_kernelINS0_14default_configENS1_29reduce_by_key_config_selectorIxxN6thrust23THRUST_200600_302600_NS4plusIxEEEEZZNS1_33reduce_by_key_impl_wrapped_configILNS1_25lookback_scan_determinismE0ES3_S9_NS6_6detail15normal_iteratorINS6_10device_ptrIxEEEESG_SG_SG_PmS8_NS6_8equal_toIxEEEE10hipError_tPvRmT2_T3_mT4_T5_T6_T7_T8_P12ihipStream_tbENKUlT_T0_E_clISt17integral_constantIbLb1EES11_EEDaSW_SX_EUlSW_E_NS1_11comp_targetILNS1_3genE10ELNS1_11target_archE1200ELNS1_3gpuE4ELNS1_3repE0EEENS1_30default_config_static_selectorELNS0_4arch9wavefront6targetE0EEEvT1_,comdat
.Lfunc_end485:
	.size	_ZN7rocprim17ROCPRIM_400000_NS6detail17trampoline_kernelINS0_14default_configENS1_29reduce_by_key_config_selectorIxxN6thrust23THRUST_200600_302600_NS4plusIxEEEEZZNS1_33reduce_by_key_impl_wrapped_configILNS1_25lookback_scan_determinismE0ES3_S9_NS6_6detail15normal_iteratorINS6_10device_ptrIxEEEESG_SG_SG_PmS8_NS6_8equal_toIxEEEE10hipError_tPvRmT2_T3_mT4_T5_T6_T7_T8_P12ihipStream_tbENKUlT_T0_E_clISt17integral_constantIbLb1EES11_EEDaSW_SX_EUlSW_E_NS1_11comp_targetILNS1_3genE10ELNS1_11target_archE1200ELNS1_3gpuE4ELNS1_3repE0EEENS1_30default_config_static_selectorELNS0_4arch9wavefront6targetE0EEEvT1_, .Lfunc_end485-_ZN7rocprim17ROCPRIM_400000_NS6detail17trampoline_kernelINS0_14default_configENS1_29reduce_by_key_config_selectorIxxN6thrust23THRUST_200600_302600_NS4plusIxEEEEZZNS1_33reduce_by_key_impl_wrapped_configILNS1_25lookback_scan_determinismE0ES3_S9_NS6_6detail15normal_iteratorINS6_10device_ptrIxEEEESG_SG_SG_PmS8_NS6_8equal_toIxEEEE10hipError_tPvRmT2_T3_mT4_T5_T6_T7_T8_P12ihipStream_tbENKUlT_T0_E_clISt17integral_constantIbLb1EES11_EEDaSW_SX_EUlSW_E_NS1_11comp_targetILNS1_3genE10ELNS1_11target_archE1200ELNS1_3gpuE4ELNS1_3repE0EEENS1_30default_config_static_selectorELNS0_4arch9wavefront6targetE0EEEvT1_
                                        ; -- End function
	.section	.AMDGPU.csdata,"",@progbits
; Kernel info:
; codeLenInByte = 0
; NumSgprs: 0
; NumVgprs: 0
; ScratchSize: 0
; MemoryBound: 0
; FloatMode: 240
; IeeeMode: 1
; LDSByteSize: 0 bytes/workgroup (compile time only)
; SGPRBlocks: 0
; VGPRBlocks: 0
; NumSGPRsForWavesPerEU: 1
; NumVGPRsForWavesPerEU: 1
; Occupancy: 16
; WaveLimiterHint : 0
; COMPUTE_PGM_RSRC2:SCRATCH_EN: 0
; COMPUTE_PGM_RSRC2:USER_SGPR: 15
; COMPUTE_PGM_RSRC2:TRAP_HANDLER: 0
; COMPUTE_PGM_RSRC2:TGID_X_EN: 1
; COMPUTE_PGM_RSRC2:TGID_Y_EN: 0
; COMPUTE_PGM_RSRC2:TGID_Z_EN: 0
; COMPUTE_PGM_RSRC2:TIDIG_COMP_CNT: 0
	.section	.text._ZN7rocprim17ROCPRIM_400000_NS6detail17trampoline_kernelINS0_14default_configENS1_29reduce_by_key_config_selectorIxxN6thrust23THRUST_200600_302600_NS4plusIxEEEEZZNS1_33reduce_by_key_impl_wrapped_configILNS1_25lookback_scan_determinismE0ES3_S9_NS6_6detail15normal_iteratorINS6_10device_ptrIxEEEESG_SG_SG_PmS8_NS6_8equal_toIxEEEE10hipError_tPvRmT2_T3_mT4_T5_T6_T7_T8_P12ihipStream_tbENKUlT_T0_E_clISt17integral_constantIbLb1EES11_EEDaSW_SX_EUlSW_E_NS1_11comp_targetILNS1_3genE9ELNS1_11target_archE1100ELNS1_3gpuE3ELNS1_3repE0EEENS1_30default_config_static_selectorELNS0_4arch9wavefront6targetE0EEEvT1_,"axG",@progbits,_ZN7rocprim17ROCPRIM_400000_NS6detail17trampoline_kernelINS0_14default_configENS1_29reduce_by_key_config_selectorIxxN6thrust23THRUST_200600_302600_NS4plusIxEEEEZZNS1_33reduce_by_key_impl_wrapped_configILNS1_25lookback_scan_determinismE0ES3_S9_NS6_6detail15normal_iteratorINS6_10device_ptrIxEEEESG_SG_SG_PmS8_NS6_8equal_toIxEEEE10hipError_tPvRmT2_T3_mT4_T5_T6_T7_T8_P12ihipStream_tbENKUlT_T0_E_clISt17integral_constantIbLb1EES11_EEDaSW_SX_EUlSW_E_NS1_11comp_targetILNS1_3genE9ELNS1_11target_archE1100ELNS1_3gpuE3ELNS1_3repE0EEENS1_30default_config_static_selectorELNS0_4arch9wavefront6targetE0EEEvT1_,comdat
	.protected	_ZN7rocprim17ROCPRIM_400000_NS6detail17trampoline_kernelINS0_14default_configENS1_29reduce_by_key_config_selectorIxxN6thrust23THRUST_200600_302600_NS4plusIxEEEEZZNS1_33reduce_by_key_impl_wrapped_configILNS1_25lookback_scan_determinismE0ES3_S9_NS6_6detail15normal_iteratorINS6_10device_ptrIxEEEESG_SG_SG_PmS8_NS6_8equal_toIxEEEE10hipError_tPvRmT2_T3_mT4_T5_T6_T7_T8_P12ihipStream_tbENKUlT_T0_E_clISt17integral_constantIbLb1EES11_EEDaSW_SX_EUlSW_E_NS1_11comp_targetILNS1_3genE9ELNS1_11target_archE1100ELNS1_3gpuE3ELNS1_3repE0EEENS1_30default_config_static_selectorELNS0_4arch9wavefront6targetE0EEEvT1_ ; -- Begin function _ZN7rocprim17ROCPRIM_400000_NS6detail17trampoline_kernelINS0_14default_configENS1_29reduce_by_key_config_selectorIxxN6thrust23THRUST_200600_302600_NS4plusIxEEEEZZNS1_33reduce_by_key_impl_wrapped_configILNS1_25lookback_scan_determinismE0ES3_S9_NS6_6detail15normal_iteratorINS6_10device_ptrIxEEEESG_SG_SG_PmS8_NS6_8equal_toIxEEEE10hipError_tPvRmT2_T3_mT4_T5_T6_T7_T8_P12ihipStream_tbENKUlT_T0_E_clISt17integral_constantIbLb1EES11_EEDaSW_SX_EUlSW_E_NS1_11comp_targetILNS1_3genE9ELNS1_11target_archE1100ELNS1_3gpuE3ELNS1_3repE0EEENS1_30default_config_static_selectorELNS0_4arch9wavefront6targetE0EEEvT1_
	.globl	_ZN7rocprim17ROCPRIM_400000_NS6detail17trampoline_kernelINS0_14default_configENS1_29reduce_by_key_config_selectorIxxN6thrust23THRUST_200600_302600_NS4plusIxEEEEZZNS1_33reduce_by_key_impl_wrapped_configILNS1_25lookback_scan_determinismE0ES3_S9_NS6_6detail15normal_iteratorINS6_10device_ptrIxEEEESG_SG_SG_PmS8_NS6_8equal_toIxEEEE10hipError_tPvRmT2_T3_mT4_T5_T6_T7_T8_P12ihipStream_tbENKUlT_T0_E_clISt17integral_constantIbLb1EES11_EEDaSW_SX_EUlSW_E_NS1_11comp_targetILNS1_3genE9ELNS1_11target_archE1100ELNS1_3gpuE3ELNS1_3repE0EEENS1_30default_config_static_selectorELNS0_4arch9wavefront6targetE0EEEvT1_
	.p2align	8
	.type	_ZN7rocprim17ROCPRIM_400000_NS6detail17trampoline_kernelINS0_14default_configENS1_29reduce_by_key_config_selectorIxxN6thrust23THRUST_200600_302600_NS4plusIxEEEEZZNS1_33reduce_by_key_impl_wrapped_configILNS1_25lookback_scan_determinismE0ES3_S9_NS6_6detail15normal_iteratorINS6_10device_ptrIxEEEESG_SG_SG_PmS8_NS6_8equal_toIxEEEE10hipError_tPvRmT2_T3_mT4_T5_T6_T7_T8_P12ihipStream_tbENKUlT_T0_E_clISt17integral_constantIbLb1EES11_EEDaSW_SX_EUlSW_E_NS1_11comp_targetILNS1_3genE9ELNS1_11target_archE1100ELNS1_3gpuE3ELNS1_3repE0EEENS1_30default_config_static_selectorELNS0_4arch9wavefront6targetE0EEEvT1_,@function
_ZN7rocprim17ROCPRIM_400000_NS6detail17trampoline_kernelINS0_14default_configENS1_29reduce_by_key_config_selectorIxxN6thrust23THRUST_200600_302600_NS4plusIxEEEEZZNS1_33reduce_by_key_impl_wrapped_configILNS1_25lookback_scan_determinismE0ES3_S9_NS6_6detail15normal_iteratorINS6_10device_ptrIxEEEESG_SG_SG_PmS8_NS6_8equal_toIxEEEE10hipError_tPvRmT2_T3_mT4_T5_T6_T7_T8_P12ihipStream_tbENKUlT_T0_E_clISt17integral_constantIbLb1EES11_EEDaSW_SX_EUlSW_E_NS1_11comp_targetILNS1_3genE9ELNS1_11target_archE1100ELNS1_3gpuE3ELNS1_3repE0EEENS1_30default_config_static_selectorELNS0_4arch9wavefront6targetE0EEEvT1_: ; @_ZN7rocprim17ROCPRIM_400000_NS6detail17trampoline_kernelINS0_14default_configENS1_29reduce_by_key_config_selectorIxxN6thrust23THRUST_200600_302600_NS4plusIxEEEEZZNS1_33reduce_by_key_impl_wrapped_configILNS1_25lookback_scan_determinismE0ES3_S9_NS6_6detail15normal_iteratorINS6_10device_ptrIxEEEESG_SG_SG_PmS8_NS6_8equal_toIxEEEE10hipError_tPvRmT2_T3_mT4_T5_T6_T7_T8_P12ihipStream_tbENKUlT_T0_E_clISt17integral_constantIbLb1EES11_EEDaSW_SX_EUlSW_E_NS1_11comp_targetILNS1_3genE9ELNS1_11target_archE1100ELNS1_3gpuE3ELNS1_3repE0EEENS1_30default_config_static_selectorELNS0_4arch9wavefront6targetE0EEEvT1_
; %bb.0:
	s_clause 0x2
	s_load_b256 s[20:27], s[0:1], 0x0
	s_load_b128 s[28:31], s[0:1], 0x20
	s_load_b64 s[34:35], s[0:1], 0x78
	v_cmp_ne_u32_e64 s3, 0, v0
	v_cmp_eq_u32_e64 s2, 0, v0
	s_delay_alu instid0(VALU_DEP_1)
	s_and_saveexec_b32 s4, s2
	s_cbranch_execz .LBB486_4
; %bb.1:
	s_mov_b32 s6, exec_lo
	s_mov_b32 s5, exec_lo
	v_mbcnt_lo_u32_b32 v1, s6, 0
                                        ; implicit-def: $vgpr2
	s_delay_alu instid0(VALU_DEP_1)
	v_cmpx_eq_u32_e32 0, v1
	s_cbranch_execz .LBB486_3
; %bb.2:
	s_load_b64 s[8:9], s[0:1], 0x80
	s_bcnt1_i32_b32 s6, s6
	s_delay_alu instid0(SALU_CYCLE_1)
	v_dual_mov_b32 v2, 0 :: v_dual_mov_b32 v3, s6
	s_waitcnt lgkmcnt(0)
	global_atomic_add_u32 v2, v2, v3, s[8:9] glc
.LBB486_3:
	s_or_b32 exec_lo, exec_lo, s5
	s_waitcnt vmcnt(0)
	v_readfirstlane_b32 s5, v2
	s_delay_alu instid0(VALU_DEP_1)
	v_dual_mov_b32 v2, 0 :: v_dual_add_nc_u32 v1, s5, v1
	ds_store_b32 v2, v1
.LBB486_4:
	s_or_b32 exec_lo, exec_lo, s4
	v_mov_b32_e32 v2, 0
	s_waitcnt lgkmcnt(0)
	s_barrier
	buffer_gl0_inv
	s_load_b512 s[36:51], s[0:1], 0x38
	ds_load_b32 v1, v2
	s_lshl_b64 s[4:5], s[22:23], 3
	s_mov_b32 s0, 0
	s_add_u32 s9, s20, s4
	s_addc_u32 s10, s21, s5
	s_add_u32 s11, s24, s4
	s_addc_u32 s12, s25, s5
	s_waitcnt lgkmcnt(0)
	s_barrier
	buffer_gl0_inv
	s_mul_i32 s1, s44, s43
	v_readfirstlane_b32 s52, v1
	v_mul_lo_u32 v1, 0xf00, v1
	s_mul_hi_u32 s6, s44, s42
	s_mul_i32 s7, s45, s42
	s_add_i32 s1, s6, s1
	s_mul_i32 s8, s44, s42
	s_add_i32 s1, s1, s7
	s_add_u32 s18, s8, s52
	s_addc_u32 s19, s1, 0
	v_lshlrev_b64 v[1:2], 3, v[1:2]
	s_add_u32 s4, s46, -1
	s_addc_u32 s5, s47, -1
	s_mul_i32 s44, s4, 0xfffff100
	s_cmp_eq_u64 s[18:19], s[4:5]
	s_delay_alu instid0(VALU_DEP_1)
	v_add_co_u32 v64, vcc_lo, s9, v1
	v_add_co_ci_u32_e32 v63, vcc_lo, s10, v2, vcc_lo
	v_add_co_u32 v61, vcc_lo, s11, v1
	v_add_co_ci_u32_e32 v62, vcc_lo, s12, v2, vcc_lo
	s_cselect_b32 s33, -1, 0
	s_cmp_lg_u64 s[18:19], s[4:5]
	s_cselect_b32 s17, -1, 0
	s_and_b32 vcc_lo, exec_lo, s33
	s_cbranch_vccnz .LBB486_6
; %bb.5:
	v_lshlrev_b32_e32 v66, 3, v0
	s_delay_alu instid0(VALU_DEP_1) | instskip(SKIP_2) | instid1(VALU_DEP_3)
	v_add_co_u32 v1, vcc_lo, v64, v66
	v_add_co_ci_u32_e32 v2, vcc_lo, 0, v63, vcc_lo
	v_mad_u32_u24 v65, 0x70, v0, v66
	v_add_co_u32 v3, vcc_lo, 0x1000, v1
	s_delay_alu instid0(VALU_DEP_3)
	v_add_co_ci_u32_e32 v4, vcc_lo, 0, v2, vcc_lo
	v_add_co_u32 v5, vcc_lo, 0x2000, v1
	v_add_co_ci_u32_e32 v6, vcc_lo, 0, v2, vcc_lo
	v_add_co_u32 v7, vcc_lo, 0x3000, v1
	;; [unrolled: 2-line block ×5, first 2 shown]
	v_add_co_ci_u32_e32 v24, vcc_lo, 0, v2, vcc_lo
	s_clause 0x7
	flat_load_b64 v[9:10], v[1:2]
	flat_load_b64 v[11:12], v[1:2] offset:2048
	flat_load_b64 v[13:14], v[3:4]
	flat_load_b64 v[3:4], v[3:4] offset:2048
	;; [unrolled: 2-line block ×4, first 2 shown]
	v_add_co_u32 v1, vcc_lo, 0x7000, v1
	v_add_co_ci_u32_e32 v2, vcc_lo, 0, v2, vcc_lo
	s_clause 0x6
	flat_load_b64 v[25:26], v[19:20]
	flat_load_b64 v[19:20], v[19:20] offset:2048
	flat_load_b64 v[27:28], v[21:22]
	flat_load_b64 v[21:22], v[21:22] offset:2048
	;; [unrolled: 2-line block ×3, first 2 shown]
	flat_load_b64 v[1:2], v[1:2]
	v_add_co_u32 v31, vcc_lo, v61, v66
	v_add_co_ci_u32_e32 v32, vcc_lo, 0, v62, vcc_lo
	s_waitcnt vmcnt(13) lgkmcnt(13)
	ds_store_2addr_stride64_b64 v66, v[9:10], v[11:12] offset1:4
	s_waitcnt vmcnt(11) lgkmcnt(12)
	ds_store_2addr_stride64_b64 v66, v[13:14], v[3:4] offset0:8 offset1:12
	s_waitcnt vmcnt(9) lgkmcnt(11)
	ds_store_2addr_stride64_b64 v66, v[15:16], v[5:6] offset0:16 offset1:20
	;; [unrolled: 2-line block ×6, first 2 shown]
	s_waitcnt vmcnt(0) lgkmcnt(7)
	ds_store_b64 v66, v[1:2] offset:28672
	v_add_co_u32 v33, vcc_lo, 0x1000, v31
	v_add_co_ci_u32_e32 v34, vcc_lo, 0, v32, vcc_lo
	v_add_co_u32 v35, vcc_lo, 0x2000, v31
	v_add_co_ci_u32_e32 v36, vcc_lo, 0, v32, vcc_lo
	v_add_co_u32 v37, vcc_lo, 0x3000, v31
	v_add_co_ci_u32_e32 v38, vcc_lo, 0, v32, vcc_lo
	v_add_co_u32 v39, vcc_lo, 0x4000, v31
	v_add_co_ci_u32_e32 v40, vcc_lo, 0, v32, vcc_lo
	v_add_co_u32 v41, vcc_lo, 0x5000, v31
	v_add_co_ci_u32_e32 v42, vcc_lo, 0, v32, vcc_lo
	v_add_co_u32 v43, vcc_lo, 0x6000, v31
	v_add_co_ci_u32_e32 v44, vcc_lo, 0, v32, vcc_lo
	v_add_co_u32 v45, vcc_lo, 0x7000, v31
	v_add_co_ci_u32_e32 v46, vcc_lo, 0, v32, vcc_lo
	s_waitcnt lgkmcnt(0)
	s_barrier
	buffer_gl0_inv
	ds_load_2addr_b64 v[25:28], v65 offset1:1
	ds_load_2addr_b64 v[21:24], v65 offset0:2 offset1:3
	ds_load_2addr_b64 v[17:20], v65 offset0:4 offset1:5
	;; [unrolled: 1-line block ×6, first 2 shown]
	ds_load_b64 v[57:58], v65 offset:112
	s_waitcnt lgkmcnt(0)
	s_barrier
	buffer_gl0_inv
	s_clause 0xe
	flat_load_b64 v[29:30], v[31:32]
	flat_load_b64 v[31:32], v[31:32] offset:2048
	flat_load_b64 v[47:48], v[33:34]
	flat_load_b64 v[33:34], v[33:34] offset:2048
	;; [unrolled: 2-line block ×7, first 2 shown]
	flat_load_b64 v[45:46], v[45:46]
	s_waitcnt vmcnt(13) lgkmcnt(13)
	ds_store_2addr_stride64_b64 v66, v[29:30], v[31:32] offset1:4
	s_waitcnt vmcnt(11) lgkmcnt(12)
	ds_store_2addr_stride64_b64 v66, v[47:48], v[33:34] offset0:8 offset1:12
	s_waitcnt vmcnt(9) lgkmcnt(11)
	ds_store_2addr_stride64_b64 v66, v[49:50], v[35:36] offset0:16 offset1:20
	;; [unrolled: 2-line block ×6, first 2 shown]
	s_waitcnt vmcnt(0) lgkmcnt(7)
	ds_store_b64 v66, v[45:46] offset:28672
	s_waitcnt lgkmcnt(0)
	s_barrier
	s_and_not1_b32 vcc_lo, exec_lo, s0
	s_add_i32 s44, s44, s48
	s_cbranch_vccz .LBB486_7
	s_branch .LBB486_54
.LBB486_6:
                                        ; implicit-def: $vgpr65
                                        ; implicit-def: $vgpr25_vgpr26
                                        ; implicit-def: $vgpr21_vgpr22
                                        ; implicit-def: $vgpr17_vgpr18
                                        ; implicit-def: $vgpr13_vgpr14
                                        ; implicit-def: $vgpr9_vgpr10
                                        ; implicit-def: $vgpr5_vgpr6
                                        ; implicit-def: $vgpr1_vgpr2
                                        ; implicit-def: $vgpr57_vgpr58
	s_add_i32 s44, s44, s48
.LBB486_7:
	s_delay_alu instid0(SALU_CYCLE_1)
	v_cmp_gt_u32_e32 vcc_lo, s44, v0
                                        ; implicit-def: $vgpr1_vgpr2
	s_and_saveexec_b32 s1, vcc_lo
	s_cbranch_execz .LBB486_9
; %bb.8:
	v_lshlrev_b32_e32 v1, 3, v0
	s_delay_alu instid0(VALU_DEP_1) | instskip(NEXT) | instid1(VALU_DEP_1)
	v_add_co_u32 v1, s0, v64, v1
	v_add_co_ci_u32_e64 v2, s0, 0, v63, s0
	flat_load_b64 v[1:2], v[1:2]
.LBB486_9:
	s_or_b32 exec_lo, exec_lo, s1
	v_or_b32_e32 v3, 0x100, v0
	s_delay_alu instid0(VALU_DEP_1) | instskip(NEXT) | instid1(VALU_DEP_1)
	v_cmp_gt_u32_e64 s0, s44, v3
                                        ; implicit-def: $vgpr3_vgpr4
	s_and_saveexec_b32 s4, s0
	s_cbranch_execz .LBB486_11
; %bb.10:
	v_lshlrev_b32_e32 v3, 3, v0
	s_delay_alu instid0(VALU_DEP_1) | instskip(NEXT) | instid1(VALU_DEP_1)
	v_add_co_u32 v3, s1, v64, v3
	v_add_co_ci_u32_e64 v4, s1, 0, v63, s1
	flat_load_b64 v[3:4], v[3:4] offset:2048
.LBB486_11:
	s_or_b32 exec_lo, exec_lo, s4
	v_or_b32_e32 v35, 0x200, v0
                                        ; implicit-def: $vgpr5_vgpr6
	s_delay_alu instid0(VALU_DEP_1) | instskip(NEXT) | instid1(VALU_DEP_1)
	v_cmp_gt_u32_e64 s1, s44, v35
	s_and_saveexec_b32 s5, s1
	s_cbranch_execz .LBB486_13
; %bb.12:
	v_lshlrev_b32_e32 v5, 3, v35
	s_delay_alu instid0(VALU_DEP_1) | instskip(NEXT) | instid1(VALU_DEP_1)
	v_add_co_u32 v5, s4, v64, v5
	v_add_co_ci_u32_e64 v6, s4, 0, v63, s4
	flat_load_b64 v[5:6], v[5:6]
.LBB486_13:
	s_or_b32 exec_lo, exec_lo, s5
	v_or_b32_e32 v37, 0x300, v0
                                        ; implicit-def: $vgpr7_vgpr8
	s_delay_alu instid0(VALU_DEP_1) | instskip(NEXT) | instid1(VALU_DEP_1)
	v_cmp_gt_u32_e64 s4, s44, v37
	s_and_saveexec_b32 s6, s4
	s_cbranch_execz .LBB486_15
; %bb.14:
	v_lshlrev_b32_e32 v7, 3, v37
	s_delay_alu instid0(VALU_DEP_1) | instskip(NEXT) | instid1(VALU_DEP_1)
	v_add_co_u32 v7, s5, v64, v7
	v_add_co_ci_u32_e64 v8, s5, 0, v63, s5
	flat_load_b64 v[7:8], v[7:8]
.LBB486_15:
	s_or_b32 exec_lo, exec_lo, s6
	v_or_b32_e32 v39, 0x400, v0
                                        ; implicit-def: $vgpr9_vgpr10
	s_delay_alu instid0(VALU_DEP_1) | instskip(NEXT) | instid1(VALU_DEP_1)
	v_cmp_gt_u32_e64 s5, s44, v39
	s_and_saveexec_b32 s7, s5
	s_cbranch_execz .LBB486_17
; %bb.16:
	v_lshlrev_b32_e32 v9, 3, v39
	s_delay_alu instid0(VALU_DEP_1) | instskip(NEXT) | instid1(VALU_DEP_1)
	v_add_co_u32 v9, s6, v64, v9
	v_add_co_ci_u32_e64 v10, s6, 0, v63, s6
	flat_load_b64 v[9:10], v[9:10]
.LBB486_17:
	s_or_b32 exec_lo, exec_lo, s7
	v_or_b32_e32 v41, 0x500, v0
                                        ; implicit-def: $vgpr11_vgpr12
	s_delay_alu instid0(VALU_DEP_1) | instskip(NEXT) | instid1(VALU_DEP_1)
	v_cmp_gt_u32_e64 s6, s44, v41
	s_and_saveexec_b32 s8, s6
	s_cbranch_execz .LBB486_19
; %bb.18:
	v_lshlrev_b32_e32 v11, 3, v41
	s_delay_alu instid0(VALU_DEP_1) | instskip(NEXT) | instid1(VALU_DEP_1)
	v_add_co_u32 v11, s7, v64, v11
	v_add_co_ci_u32_e64 v12, s7, 0, v63, s7
	flat_load_b64 v[11:12], v[11:12]
.LBB486_19:
	s_or_b32 exec_lo, exec_lo, s8
	v_or_b32_e32 v43, 0x600, v0
                                        ; implicit-def: $vgpr13_vgpr14
	s_delay_alu instid0(VALU_DEP_1) | instskip(NEXT) | instid1(VALU_DEP_1)
	v_cmp_gt_u32_e64 s7, s44, v43
	s_and_saveexec_b32 s9, s7
	s_cbranch_execz .LBB486_21
; %bb.20:
	v_lshlrev_b32_e32 v13, 3, v43
	s_delay_alu instid0(VALU_DEP_1) | instskip(NEXT) | instid1(VALU_DEP_1)
	v_add_co_u32 v13, s8, v64, v13
	v_add_co_ci_u32_e64 v14, s8, 0, v63, s8
	flat_load_b64 v[13:14], v[13:14]
.LBB486_21:
	s_or_b32 exec_lo, exec_lo, s9
	v_or_b32_e32 v45, 0x700, v0
                                        ; implicit-def: $vgpr15_vgpr16
	s_delay_alu instid0(VALU_DEP_1) | instskip(NEXT) | instid1(VALU_DEP_1)
	v_cmp_gt_u32_e64 s8, s44, v45
	s_and_saveexec_b32 s10, s8
	s_cbranch_execz .LBB486_23
; %bb.22:
	v_lshlrev_b32_e32 v15, 3, v45
	s_delay_alu instid0(VALU_DEP_1) | instskip(NEXT) | instid1(VALU_DEP_1)
	v_add_co_u32 v15, s9, v64, v15
	v_add_co_ci_u32_e64 v16, s9, 0, v63, s9
	flat_load_b64 v[15:16], v[15:16]
.LBB486_23:
	s_or_b32 exec_lo, exec_lo, s10
	v_or_b32_e32 v47, 0x800, v0
                                        ; implicit-def: $vgpr17_vgpr18
	s_delay_alu instid0(VALU_DEP_1) | instskip(NEXT) | instid1(VALU_DEP_1)
	v_cmp_gt_u32_e64 s9, s44, v47
	s_and_saveexec_b32 s11, s9
	s_cbranch_execz .LBB486_25
; %bb.24:
	v_lshlrev_b32_e32 v17, 3, v47
	s_delay_alu instid0(VALU_DEP_1) | instskip(NEXT) | instid1(VALU_DEP_1)
	v_add_co_u32 v17, s10, v64, v17
	v_add_co_ci_u32_e64 v18, s10, 0, v63, s10
	flat_load_b64 v[17:18], v[17:18]
.LBB486_25:
	s_or_b32 exec_lo, exec_lo, s11
	v_or_b32_e32 v49, 0x900, v0
                                        ; implicit-def: $vgpr19_vgpr20
	s_delay_alu instid0(VALU_DEP_1) | instskip(NEXT) | instid1(VALU_DEP_1)
	v_cmp_gt_u32_e64 s10, s44, v49
	s_and_saveexec_b32 s12, s10
	s_cbranch_execz .LBB486_27
; %bb.26:
	v_lshlrev_b32_e32 v19, 3, v49
	s_delay_alu instid0(VALU_DEP_1) | instskip(NEXT) | instid1(VALU_DEP_1)
	v_add_co_u32 v19, s11, v64, v19
	v_add_co_ci_u32_e64 v20, s11, 0, v63, s11
	flat_load_b64 v[19:20], v[19:20]
.LBB486_27:
	s_or_b32 exec_lo, exec_lo, s12
	v_or_b32_e32 v51, 0xa00, v0
                                        ; implicit-def: $vgpr21_vgpr22
	s_delay_alu instid0(VALU_DEP_1) | instskip(NEXT) | instid1(VALU_DEP_1)
	v_cmp_gt_u32_e64 s11, s44, v51
	s_and_saveexec_b32 s13, s11
	s_cbranch_execz .LBB486_29
; %bb.28:
	v_lshlrev_b32_e32 v21, 3, v51
	s_delay_alu instid0(VALU_DEP_1) | instskip(NEXT) | instid1(VALU_DEP_1)
	v_add_co_u32 v21, s12, v64, v21
	v_add_co_ci_u32_e64 v22, s12, 0, v63, s12
	flat_load_b64 v[21:22], v[21:22]
.LBB486_29:
	s_or_b32 exec_lo, exec_lo, s13
	v_or_b32_e32 v53, 0xb00, v0
                                        ; implicit-def: $vgpr23_vgpr24
	s_delay_alu instid0(VALU_DEP_1) | instskip(NEXT) | instid1(VALU_DEP_1)
	v_cmp_gt_u32_e64 s12, s44, v53
	s_and_saveexec_b32 s14, s12
	s_cbranch_execz .LBB486_31
; %bb.30:
	v_lshlrev_b32_e32 v23, 3, v53
	s_delay_alu instid0(VALU_DEP_1) | instskip(NEXT) | instid1(VALU_DEP_1)
	v_add_co_u32 v23, s13, v64, v23
	v_add_co_ci_u32_e64 v24, s13, 0, v63, s13
	flat_load_b64 v[23:24], v[23:24]
.LBB486_31:
	s_or_b32 exec_lo, exec_lo, s14
	v_or_b32_e32 v55, 0xc00, v0
                                        ; implicit-def: $vgpr25_vgpr26
	s_delay_alu instid0(VALU_DEP_1) | instskip(NEXT) | instid1(VALU_DEP_1)
	v_cmp_gt_u32_e64 s13, s44, v55
	s_and_saveexec_b32 s15, s13
	s_cbranch_execz .LBB486_33
; %bb.32:
	v_lshlrev_b32_e32 v25, 3, v55
	s_delay_alu instid0(VALU_DEP_1) | instskip(NEXT) | instid1(VALU_DEP_1)
	v_add_co_u32 v25, s14, v64, v25
	v_add_co_ci_u32_e64 v26, s14, 0, v63, s14
	flat_load_b64 v[25:26], v[25:26]
.LBB486_33:
	s_or_b32 exec_lo, exec_lo, s15
	v_or_b32_e32 v59, 0xd00, v0
                                        ; implicit-def: $vgpr27_vgpr28
	s_delay_alu instid0(VALU_DEP_1) | instskip(NEXT) | instid1(VALU_DEP_1)
	v_cmp_gt_u32_e64 s14, s44, v59
	s_and_saveexec_b32 s16, s14
	s_cbranch_execz .LBB486_35
; %bb.34:
	v_lshlrev_b32_e32 v27, 3, v59
	s_delay_alu instid0(VALU_DEP_1) | instskip(NEXT) | instid1(VALU_DEP_1)
	v_add_co_u32 v27, s15, v64, v27
	v_add_co_ci_u32_e64 v28, s15, 0, v63, s15
	flat_load_b64 v[27:28], v[27:28]
.LBB486_35:
	s_or_b32 exec_lo, exec_lo, s16
	v_or_b32_e32 v67, 0xe00, v0
                                        ; implicit-def: $vgpr29_vgpr30
	s_delay_alu instid0(VALU_DEP_1) | instskip(NEXT) | instid1(VALU_DEP_1)
	v_cmp_gt_u32_e64 s15, s44, v67
	s_and_saveexec_b32 s20, s15
	s_cbranch_execz .LBB486_37
; %bb.36:
	v_lshlrev_b32_e32 v29, 3, v67
	s_delay_alu instid0(VALU_DEP_1) | instskip(NEXT) | instid1(VALU_DEP_1)
	v_add_co_u32 v29, s16, v64, v29
	v_add_co_ci_u32_e64 v30, s16, 0, v63, s16
	flat_load_b64 v[29:30], v[29:30]
.LBB486_37:
	s_or_b32 exec_lo, exec_lo, s20
	v_lshlrev_b32_e32 v66, 3, v0
	s_waitcnt vmcnt(0) lgkmcnt(0)
	ds_store_2addr_stride64_b64 v66, v[1:2], v[3:4] offset1:4
	ds_store_2addr_stride64_b64 v66, v[5:6], v[7:8] offset0:8 offset1:12
	ds_store_2addr_stride64_b64 v66, v[9:10], v[11:12] offset0:16 offset1:20
	;; [unrolled: 1-line block ×6, first 2 shown]
	v_mad_u32_u24 v65, 0x70, v0, v66
	ds_store_b64 v66, v[29:30] offset:28672
	s_waitcnt lgkmcnt(0)
	s_barrier
	buffer_gl0_inv
	ds_load_2addr_b64 v[25:28], v65 offset1:1
	ds_load_2addr_b64 v[21:24], v65 offset0:2 offset1:3
	ds_load_2addr_b64 v[17:20], v65 offset0:4 offset1:5
	;; [unrolled: 1-line block ×6, first 2 shown]
	ds_load_b64 v[57:58], v65 offset:112
	s_waitcnt lgkmcnt(0)
	s_barrier
	buffer_gl0_inv
                                        ; implicit-def: $vgpr29_vgpr30
	s_and_saveexec_b32 s16, vcc_lo
	s_cbranch_execnz .LBB486_61
; %bb.38:
	s_or_b32 exec_lo, exec_lo, s16
                                        ; implicit-def: $vgpr31_vgpr32
	s_and_saveexec_b32 s16, s0
	s_cbranch_execnz .LBB486_62
.LBB486_39:
	s_or_b32 exec_lo, exec_lo, s16
                                        ; implicit-def: $vgpr33_vgpr34
	s_and_saveexec_b32 s0, s1
	s_cbranch_execnz .LBB486_63
.LBB486_40:
	s_or_b32 exec_lo, exec_lo, s0
                                        ; implicit-def: $vgpr35_vgpr36
	s_and_saveexec_b32 s0, s4
	s_cbranch_execnz .LBB486_64
.LBB486_41:
	s_or_b32 exec_lo, exec_lo, s0
                                        ; implicit-def: $vgpr37_vgpr38
	s_and_saveexec_b32 s0, s5
	s_cbranch_execnz .LBB486_65
.LBB486_42:
	s_or_b32 exec_lo, exec_lo, s0
                                        ; implicit-def: $vgpr39_vgpr40
	s_and_saveexec_b32 s0, s6
	s_cbranch_execnz .LBB486_66
.LBB486_43:
	s_or_b32 exec_lo, exec_lo, s0
                                        ; implicit-def: $vgpr41_vgpr42
	s_and_saveexec_b32 s0, s7
	s_cbranch_execnz .LBB486_67
.LBB486_44:
	s_or_b32 exec_lo, exec_lo, s0
                                        ; implicit-def: $vgpr43_vgpr44
	s_and_saveexec_b32 s0, s8
	s_cbranch_execnz .LBB486_68
.LBB486_45:
	s_or_b32 exec_lo, exec_lo, s0
                                        ; implicit-def: $vgpr45_vgpr46
	s_and_saveexec_b32 s0, s9
	s_cbranch_execnz .LBB486_69
.LBB486_46:
	s_or_b32 exec_lo, exec_lo, s0
                                        ; implicit-def: $vgpr47_vgpr48
	s_and_saveexec_b32 s0, s10
	s_cbranch_execnz .LBB486_70
.LBB486_47:
	s_or_b32 exec_lo, exec_lo, s0
                                        ; implicit-def: $vgpr49_vgpr50
	s_and_saveexec_b32 s0, s11
	s_cbranch_execnz .LBB486_71
.LBB486_48:
	s_or_b32 exec_lo, exec_lo, s0
                                        ; implicit-def: $vgpr51_vgpr52
	s_and_saveexec_b32 s0, s12
	s_cbranch_execnz .LBB486_72
.LBB486_49:
	s_or_b32 exec_lo, exec_lo, s0
                                        ; implicit-def: $vgpr53_vgpr54
	s_and_saveexec_b32 s0, s13
	s_cbranch_execnz .LBB486_73
.LBB486_50:
	s_or_b32 exec_lo, exec_lo, s0
                                        ; implicit-def: $vgpr55_vgpr56
	s_and_saveexec_b32 s0, s14
	s_cbranch_execnz .LBB486_74
.LBB486_51:
	s_or_b32 exec_lo, exec_lo, s0
                                        ; implicit-def: $vgpr59_vgpr60
	s_and_saveexec_b32 s0, s15
	s_cbranch_execz .LBB486_53
.LBB486_52:
	v_lshlrev_b32_e32 v59, 3, v67
	s_delay_alu instid0(VALU_DEP_1)
	v_add_co_u32 v59, vcc_lo, v61, v59
	v_add_co_ci_u32_e32 v60, vcc_lo, 0, v62, vcc_lo
	flat_load_b64 v[59:60], v[59:60]
.LBB486_53:
	s_or_b32 exec_lo, exec_lo, s0
	s_waitcnt vmcnt(0) lgkmcnt(0)
	ds_store_2addr_stride64_b64 v66, v[29:30], v[31:32] offset1:4
	ds_store_2addr_stride64_b64 v66, v[33:34], v[35:36] offset0:8 offset1:12
	ds_store_2addr_stride64_b64 v66, v[37:38], v[39:40] offset0:16 offset1:20
	ds_store_2addr_stride64_b64 v66, v[41:42], v[43:44] offset0:24 offset1:28
	ds_store_2addr_stride64_b64 v66, v[45:46], v[47:48] offset0:32 offset1:36
	ds_store_2addr_stride64_b64 v66, v[49:50], v[51:52] offset0:40 offset1:44
	ds_store_2addr_stride64_b64 v66, v[53:54], v[55:56] offset0:48 offset1:52
	ds_store_b64 v66, v[59:60] offset:28672
	s_waitcnt lgkmcnt(0)
	s_barrier
.LBB486_54:
	buffer_gl0_inv
	ds_load_2addr_b64 v[53:56], v65 offset1:1
	ds_load_2addr_b64 v[49:52], v65 offset0:2 offset1:3
	ds_load_2addr_b64 v[45:48], v65 offset0:4 offset1:5
	;; [unrolled: 1-line block ×6, first 2 shown]
	ds_load_b64 v[59:60], v65 offset:112
	s_cmp_eq_u64 s[18:19], 0
	s_waitcnt lgkmcnt(0)
	s_cselect_b32 s45, -1, 0
	s_cmp_lg_u64 s[18:19], 0
	s_barrier
	s_cselect_b32 s15, -1, 0
	s_and_b32 vcc_lo, exec_lo, s17
	buffer_gl0_inv
	s_cbranch_vccz .LBB486_60
; %bb.55:
	s_and_b32 vcc_lo, exec_lo, s15
	s_cbranch_vccz .LBB486_75
; %bb.56:
	v_add_co_u32 v61, vcc_lo, -8, v64
	v_add_co_ci_u32_e32 v62, vcc_lo, -1, v63, vcc_lo
	v_cmp_ne_u64_e64 s0, v[3:4], v[57:58]
	v_cmp_ne_u64_e64 s1, v[1:2], v[3:4]
	;; [unrolled: 1-line block ×3, first 2 shown]
	flat_load_b64 v[61:62], v[61:62]
	v_cmp_ne_u64_e64 s5, v[5:6], v[7:8]
	v_cmp_ne_u64_e64 s6, v[11:12], v[5:6]
	;; [unrolled: 1-line block ×10, first 2 shown]
	v_cmp_ne_u64_e32 vcc_lo, v[25:26], v[27:28]
	v_lshlrev_b32_e32 v65, 3, v0
	s_mov_b32 s46, -1
	ds_store_b64 v65, v[57:58]
	s_waitcnt vmcnt(0) lgkmcnt(0)
	s_barrier
	buffer_gl0_inv
	s_and_saveexec_b32 s16, s3
	s_cbranch_execz .LBB486_58
; %bb.57:
	v_add_nc_u32_e32 v61, -8, v65
	ds_load_b64 v[61:62], v61
.LBB486_58:
	s_or_b32 exec_lo, exec_lo, s16
	v_cndmask_b32_e64 v105, 0, 1, s0
	v_cndmask_b32_e64 v99, 0, 1, s1
	;; [unrolled: 1-line block ×13, first 2 shown]
	s_waitcnt lgkmcnt(0)
	v_cmp_ne_u64_e64 s0, v[61:62], v[25:26]
	v_cndmask_b32_e64 v112, 0, 1, vcc_lo
.LBB486_59:
                                        ; implicit-def: $sgpr1
	s_branch .LBB486_87
.LBB486_60:
	s_mov_b32 s46, 0
                                        ; implicit-def: $sgpr0
                                        ; implicit-def: $vgpr105
                                        ; implicit-def: $vgpr99
                                        ; implicit-def: $vgpr100
                                        ; implicit-def: $vgpr101
                                        ; implicit-def: $vgpr102
                                        ; implicit-def: $vgpr103
                                        ; implicit-def: $vgpr104
                                        ; implicit-def: $vgpr106
                                        ; implicit-def: $vgpr107
                                        ; implicit-def: $vgpr108
                                        ; implicit-def: $vgpr109
                                        ; implicit-def: $vgpr110
                                        ; implicit-def: $vgpr111
                                        ; implicit-def: $vgpr112
                                        ; implicit-def: $sgpr1
	s_cbranch_execnz .LBB486_79
	s_branch .LBB486_87
.LBB486_61:
	v_add_co_u32 v29, vcc_lo, v61, v66
	v_add_co_ci_u32_e32 v30, vcc_lo, 0, v62, vcc_lo
	flat_load_b64 v[29:30], v[29:30]
	s_or_b32 exec_lo, exec_lo, s16
                                        ; implicit-def: $vgpr31_vgpr32
	s_and_saveexec_b32 s16, s0
	s_cbranch_execz .LBB486_39
.LBB486_62:
	v_add_co_u32 v31, vcc_lo, v61, v66
	v_add_co_ci_u32_e32 v32, vcc_lo, 0, v62, vcc_lo
	flat_load_b64 v[31:32], v[31:32] offset:2048
	s_or_b32 exec_lo, exec_lo, s16
                                        ; implicit-def: $vgpr33_vgpr34
	s_and_saveexec_b32 s0, s1
	s_cbranch_execz .LBB486_40
.LBB486_63:
	v_lshlrev_b32_e32 v33, 3, v35
	s_delay_alu instid0(VALU_DEP_1)
	v_add_co_u32 v33, vcc_lo, v61, v33
	v_add_co_ci_u32_e32 v34, vcc_lo, 0, v62, vcc_lo
	flat_load_b64 v[33:34], v[33:34]
	s_or_b32 exec_lo, exec_lo, s0
                                        ; implicit-def: $vgpr35_vgpr36
	s_and_saveexec_b32 s0, s4
	s_cbranch_execz .LBB486_41
.LBB486_64:
	v_lshlrev_b32_e32 v35, 3, v37
	s_delay_alu instid0(VALU_DEP_1)
	v_add_co_u32 v35, vcc_lo, v61, v35
	v_add_co_ci_u32_e32 v36, vcc_lo, 0, v62, vcc_lo
	flat_load_b64 v[35:36], v[35:36]
	s_or_b32 exec_lo, exec_lo, s0
                                        ; implicit-def: $vgpr37_vgpr38
	s_and_saveexec_b32 s0, s5
	s_cbranch_execz .LBB486_42
.LBB486_65:
	v_lshlrev_b32_e32 v37, 3, v39
	s_delay_alu instid0(VALU_DEP_1)
	v_add_co_u32 v37, vcc_lo, v61, v37
	v_add_co_ci_u32_e32 v38, vcc_lo, 0, v62, vcc_lo
	flat_load_b64 v[37:38], v[37:38]
	s_or_b32 exec_lo, exec_lo, s0
                                        ; implicit-def: $vgpr39_vgpr40
	s_and_saveexec_b32 s0, s6
	s_cbranch_execz .LBB486_43
.LBB486_66:
	v_lshlrev_b32_e32 v39, 3, v41
	s_delay_alu instid0(VALU_DEP_1)
	v_add_co_u32 v39, vcc_lo, v61, v39
	v_add_co_ci_u32_e32 v40, vcc_lo, 0, v62, vcc_lo
	flat_load_b64 v[39:40], v[39:40]
	s_or_b32 exec_lo, exec_lo, s0
                                        ; implicit-def: $vgpr41_vgpr42
	s_and_saveexec_b32 s0, s7
	s_cbranch_execz .LBB486_44
.LBB486_67:
	v_lshlrev_b32_e32 v41, 3, v43
	s_delay_alu instid0(VALU_DEP_1)
	v_add_co_u32 v41, vcc_lo, v61, v41
	v_add_co_ci_u32_e32 v42, vcc_lo, 0, v62, vcc_lo
	flat_load_b64 v[41:42], v[41:42]
	s_or_b32 exec_lo, exec_lo, s0
                                        ; implicit-def: $vgpr43_vgpr44
	s_and_saveexec_b32 s0, s8
	s_cbranch_execz .LBB486_45
.LBB486_68:
	v_lshlrev_b32_e32 v43, 3, v45
	s_delay_alu instid0(VALU_DEP_1)
	v_add_co_u32 v43, vcc_lo, v61, v43
	v_add_co_ci_u32_e32 v44, vcc_lo, 0, v62, vcc_lo
	flat_load_b64 v[43:44], v[43:44]
	s_or_b32 exec_lo, exec_lo, s0
                                        ; implicit-def: $vgpr45_vgpr46
	s_and_saveexec_b32 s0, s9
	s_cbranch_execz .LBB486_46
.LBB486_69:
	v_lshlrev_b32_e32 v45, 3, v47
	s_delay_alu instid0(VALU_DEP_1)
	v_add_co_u32 v45, vcc_lo, v61, v45
	v_add_co_ci_u32_e32 v46, vcc_lo, 0, v62, vcc_lo
	flat_load_b64 v[45:46], v[45:46]
	s_or_b32 exec_lo, exec_lo, s0
                                        ; implicit-def: $vgpr47_vgpr48
	s_and_saveexec_b32 s0, s10
	s_cbranch_execz .LBB486_47
.LBB486_70:
	v_lshlrev_b32_e32 v47, 3, v49
	s_delay_alu instid0(VALU_DEP_1)
	v_add_co_u32 v47, vcc_lo, v61, v47
	v_add_co_ci_u32_e32 v48, vcc_lo, 0, v62, vcc_lo
	flat_load_b64 v[47:48], v[47:48]
	s_or_b32 exec_lo, exec_lo, s0
                                        ; implicit-def: $vgpr49_vgpr50
	s_and_saveexec_b32 s0, s11
	s_cbranch_execz .LBB486_48
.LBB486_71:
	v_lshlrev_b32_e32 v49, 3, v51
	s_delay_alu instid0(VALU_DEP_1)
	v_add_co_u32 v49, vcc_lo, v61, v49
	v_add_co_ci_u32_e32 v50, vcc_lo, 0, v62, vcc_lo
	flat_load_b64 v[49:50], v[49:50]
	s_or_b32 exec_lo, exec_lo, s0
                                        ; implicit-def: $vgpr51_vgpr52
	s_and_saveexec_b32 s0, s12
	s_cbranch_execz .LBB486_49
.LBB486_72:
	v_lshlrev_b32_e32 v51, 3, v53
	s_delay_alu instid0(VALU_DEP_1)
	v_add_co_u32 v51, vcc_lo, v61, v51
	v_add_co_ci_u32_e32 v52, vcc_lo, 0, v62, vcc_lo
	flat_load_b64 v[51:52], v[51:52]
	s_or_b32 exec_lo, exec_lo, s0
                                        ; implicit-def: $vgpr53_vgpr54
	s_and_saveexec_b32 s0, s13
	s_cbranch_execz .LBB486_50
.LBB486_73:
	v_lshlrev_b32_e32 v53, 3, v55
	s_delay_alu instid0(VALU_DEP_1)
	v_add_co_u32 v53, vcc_lo, v61, v53
	v_add_co_ci_u32_e32 v54, vcc_lo, 0, v62, vcc_lo
	flat_load_b64 v[53:54], v[53:54]
	s_or_b32 exec_lo, exec_lo, s0
                                        ; implicit-def: $vgpr55_vgpr56
	s_and_saveexec_b32 s0, s14
	s_cbranch_execz .LBB486_51
.LBB486_74:
	v_lshlrev_b32_e32 v55, 3, v59
	s_delay_alu instid0(VALU_DEP_1)
	v_add_co_u32 v55, vcc_lo, v61, v55
	v_add_co_ci_u32_e32 v56, vcc_lo, 0, v62, vcc_lo
	flat_load_b64 v[55:56], v[55:56]
	s_or_b32 exec_lo, exec_lo, s0
                                        ; implicit-def: $vgpr59_vgpr60
	s_and_saveexec_b32 s0, s15
	s_cbranch_execnz .LBB486_52
	s_branch .LBB486_53
.LBB486_75:
	s_mov_b32 s46, 0
                                        ; implicit-def: $sgpr0
                                        ; implicit-def: $vgpr105
                                        ; implicit-def: $vgpr99
                                        ; implicit-def: $vgpr100
                                        ; implicit-def: $vgpr101
                                        ; implicit-def: $vgpr102
                                        ; implicit-def: $vgpr103
                                        ; implicit-def: $vgpr104
                                        ; implicit-def: $vgpr106
                                        ; implicit-def: $vgpr107
                                        ; implicit-def: $vgpr108
                                        ; implicit-def: $vgpr109
                                        ; implicit-def: $vgpr110
                                        ; implicit-def: $vgpr111
                                        ; implicit-def: $vgpr112
	s_cbranch_execz .LBB486_59
; %bb.76:
	v_cmp_ne_u64_e32 vcc_lo, v[3:4], v[57:58]
	v_lshlrev_b32_e32 v61, 3, v0
                                        ; implicit-def: $sgpr0
	ds_store_b64 v61, v[57:58]
	v_cndmask_b32_e64 v105, 0, 1, vcc_lo
	v_cmp_ne_u64_e32 vcc_lo, v[1:2], v[3:4]
	s_waitcnt lgkmcnt(0)
	s_barrier
	buffer_gl0_inv
	v_cndmask_b32_e64 v99, 0, 1, vcc_lo
	v_cmp_ne_u64_e32 vcc_lo, v[7:8], v[1:2]
	v_cndmask_b32_e64 v100, 0, 1, vcc_lo
	v_cmp_ne_u64_e32 vcc_lo, v[5:6], v[7:8]
	;; [unrolled: 2-line block ×12, first 2 shown]
	v_cndmask_b32_e64 v112, 0, 1, vcc_lo
	s_and_saveexec_b32 s1, s3
	s_delay_alu instid0(SALU_CYCLE_1)
	s_xor_b32 s1, exec_lo, s1
	s_cbranch_execz .LBB486_78
; %bb.77:
	v_add_nc_u32_e32 v61, -8, v61
	s_or_b32 s46, s46, exec_lo
	ds_load_b64 v[61:62], v61
	s_waitcnt lgkmcnt(0)
	v_cmp_ne_u64_e32 vcc_lo, v[61:62], v[25:26]
	s_and_b32 s0, vcc_lo, exec_lo
.LBB486_78:
	s_or_b32 exec_lo, exec_lo, s1
	s_mov_b32 s1, 1
	s_branch .LBB486_87
.LBB486_79:
	s_mul_hi_u32 s0, s18, 0xfffff100
	s_mul_i32 s1, s19, 0xfffff100
	s_sub_i32 s0, s0, s18
	s_mul_i32 s4, s18, 0xfffff100
	s_add_i32 s0, s0, s1
	s_add_u32 s24, s4, s48
	s_addc_u32 s25, s0, s49
	s_and_b32 vcc_lo, exec_lo, s15
	s_cbranch_vccz .LBB486_84
; %bb.80:
	v_add_co_u32 v61, vcc_lo, -8, v64
	v_add_co_ci_u32_e32 v62, vcc_lo, -1, v63, vcc_lo
	v_mad_u32_u24 v63, v0, 15, 14
	v_mov_b32_e32 v64, 0
	v_cmp_ne_u64_e64 s9, v[3:4], v[57:58]
	flat_load_b64 v[61:62], v[61:62]
	v_cmp_ne_u64_e64 s11, v[1:2], v[3:4]
	v_cmp_ne_u64_e64 s12, v[7:8], v[1:2]
	v_cmp_gt_u64_e32 vcc_lo, s[24:25], v[63:64]
	v_mad_u32_u24 v63, v0, 15, 13
	v_cmp_ne_u64_e64 s13, v[5:6], v[7:8]
	v_lshlrev_b32_e32 v66, 3, v0
	v_mul_u32_u24_e32 v65, 15, v0
	s_mov_b32 s46, -1
	v_cmp_gt_u64_e64 s0, s[24:25], v[63:64]
	v_mad_u32_u24 v63, v0, 15, 12
	s_and_b32 s15, vcc_lo, s9
	v_cmp_ne_u64_e64 s9, v[15:16], v[9:10]
	s_mov_b32 s14, 0
	ds_store_b64 v66, v[57:58]
	v_cmp_gt_u64_e64 s1, s[24:25], v[63:64]
	v_mad_u32_u24 v63, v0, 15, 11
	s_and_b32 s16, s0, s11
	v_cmp_ne_u64_e64 s0, v[11:12], v[5:6]
	v_cmp_ne_u64_e64 s11, v[13:14], v[15:16]
	s_waitcnt vmcnt(0) lgkmcnt(0)
	v_cmp_gt_u64_e64 s4, s[24:25], v[63:64]
	v_mad_u32_u24 v63, v0, 15, 10
	s_and_b32 s17, s1, s12
	v_cmp_ne_u64_e64 s12, v[25:26], v[27:28]
	s_barrier
	buffer_gl0_inv
	v_cmp_gt_u64_e64 s5, s[24:25], v[63:64]
	v_mad_u32_u24 v63, v0, 15, 9
	s_and_b32 s13, s4, s13
	v_cmp_ne_u64_e64 s4, v[9:10], v[11:12]
	s_delay_alu instid0(VALU_DEP_2) | instskip(SKIP_2) | instid1(VALU_DEP_1)
	v_cmp_gt_u64_e64 s6, s[24:25], v[63:64]
	v_mad_u32_u24 v63, v0, 15, 8
	s_and_b32 s19, s5, s0
	v_cmp_gt_u64_e64 s7, s[24:25], v[63:64]
	v_mad_u32_u24 v63, v0, 15, 7
	s_delay_alu instid0(VALU_DEP_4) | instskip(SKIP_2) | instid1(VALU_DEP_3)
	s_and_b32 s20, s6, s4
	v_cmp_ne_u64_e64 s4, v[19:20], v[13:14]
	v_cmp_ne_u64_e64 s6, v[17:18], v[19:20]
	v_cmp_gt_u64_e64 s8, s[24:25], v[63:64]
	v_mad_u32_u24 v63, v0, 15, 6
	s_and_b32 s21, s7, s9
	v_cmp_ne_u64_e64 s7, v[23:24], v[17:18]
	v_cmp_ne_u64_e64 s9, v[27:28], v[21:22]
	s_delay_alu instid0(VALU_DEP_3) | instskip(SKIP_3) | instid1(VALU_DEP_2)
	v_cmp_gt_u64_e64 s10, s[24:25], v[63:64]
	v_mad_u32_u24 v63, v0, 15, 5
	s_and_b32 s18, s8, s11
	v_cmp_ne_u64_e64 s8, v[21:22], v[23:24]
	v_cmp_gt_u64_e32 vcc_lo, s[24:25], v[63:64]
	v_mad_u32_u24 v63, v0, 15, 4
	s_and_b32 s10, s10, s4
	s_delay_alu instid0(VALU_DEP_1) | instskip(SKIP_2) | instid1(VALU_DEP_1)
	v_cmp_gt_u64_e64 s1, s[24:25], v[63:64]
	v_mad_u32_u24 v63, v0, 15, 3
	s_and_b32 s6, vcc_lo, s6
	v_cmp_gt_u64_e64 s0, s[24:25], v[63:64]
	v_mad_u32_u24 v63, v0, 15, 2
	s_delay_alu instid0(VALU_DEP_4) | instskip(NEXT) | instid1(VALU_DEP_1)
	s_and_b32 s7, s1, s7
	v_cmp_gt_u64_e64 s5, s[24:25], v[63:64]
	v_mad_u32_u24 v63, v0, 15, 1
	s_delay_alu instid0(VALU_DEP_4) | instskip(NEXT) | instid1(VALU_DEP_1)
	s_and_b32 s1, s0, s8
	v_cmp_gt_u64_e64 s11, s[24:25], v[63:64]
	s_delay_alu instid0(VALU_DEP_3) | instskip(NEXT) | instid1(VALU_DEP_1)
	s_and_b32 s4, s5, s9
	s_and_b32 s5, s11, s12
	s_and_saveexec_b32 s0, s3
	s_cbranch_execz .LBB486_82
; %bb.81:
	v_add_nc_u32_e32 v61, -8, v66
	ds_load_b64 v[61:62], v61
.LBB486_82:
	s_or_b32 exec_lo, exec_lo, s0
	v_mov_b32_e32 v66, v64
	s_waitcnt lgkmcnt(0)
	v_cmp_ne_u64_e64 s0, v[61:62], v[25:26]
	v_cndmask_b32_e64 v105, 0, 1, s15
	v_cndmask_b32_e64 v99, 0, 1, s16
	;; [unrolled: 1-line block ×3, first 2 shown]
	v_cmp_gt_u64_e32 vcc_lo, s[24:25], v[65:66]
	v_cndmask_b32_e64 v101, 0, 1, s13
	v_cndmask_b32_e64 v102, 0, 1, s19
	;; [unrolled: 1-line block ×11, first 2 shown]
	s_and_b32 s0, vcc_lo, s0
	s_and_b32 vcc_lo, exec_lo, s14
	s_cbranch_vccnz .LBB486_85
.LBB486_83:
                                        ; implicit-def: $sgpr1
	v_mov_b32_e32 v113, s1
	s_and_saveexec_b32 s1, s46
	s_cbranch_execnz .LBB486_88
	s_branch .LBB486_89
.LBB486_84:
                                        ; implicit-def: $sgpr0
                                        ; implicit-def: $vgpr105
                                        ; implicit-def: $vgpr99
                                        ; implicit-def: $vgpr100
                                        ; implicit-def: $vgpr101
                                        ; implicit-def: $vgpr102
                                        ; implicit-def: $vgpr103
                                        ; implicit-def: $vgpr104
                                        ; implicit-def: $vgpr106
                                        ; implicit-def: $vgpr107
                                        ; implicit-def: $vgpr108
                                        ; implicit-def: $vgpr109
                                        ; implicit-def: $vgpr110
                                        ; implicit-def: $vgpr111
                                        ; implicit-def: $vgpr112
	s_cbranch_execz .LBB486_83
.LBB486_85:
	v_mad_u32_u24 v61, v0, 15, 14
	v_dual_mov_b32 v62, 0 :: v_dual_lshlrev_b32 v63, 3, v0
	v_cmp_ne_u64_e64 s7, v[1:2], v[3:4]
	v_cmp_ne_u64_e64 s6, v[3:4], v[57:58]
	;; [unrolled: 1-line block ×3, first 2 shown]
	s_delay_alu instid0(VALU_DEP_4)
	v_cmp_gt_u64_e32 vcc_lo, s[24:25], v[61:62]
	v_mad_u32_u24 v61, v0, 15, 13
	v_cmp_ne_u64_e64 s10, v[5:6], v[7:8]
	v_cmp_ne_u64_e64 s11, v[11:12], v[5:6]
	;; [unrolled: 1-line block ×4, first 2 shown]
	v_cmp_gt_u64_e64 s0, s[24:25], v[61:62]
	v_mad_u32_u24 v61, v0, 15, 12
	s_and_b32 s6, vcc_lo, s6
	v_cmp_ne_u64_e64 s15, v[13:14], v[15:16]
	v_cmp_ne_u64_e64 s16, v[19:20], v[13:14]
	;; [unrolled: 1-line block ×3, first 2 shown]
	v_cmp_gt_u64_e64 s1, s[24:25], v[61:62]
	v_mad_u32_u24 v61, v0, 15, 11
	s_and_b32 s0, s0, s7
	v_cmp_ne_u64_e64 s18, v[23:24], v[17:18]
	v_cndmask_b32_e64 v99, 0, 1, s0
	v_cmp_ne_u64_e64 s20, v[21:22], v[23:24]
	v_cmp_gt_u64_e64 s4, s[24:25], v[61:62]
	v_mad_u32_u24 v61, v0, 15, 10
	s_and_b32 s0, s1, s8
	v_cmp_ne_u64_e64 s21, v[27:28], v[21:22]
	v_cndmask_b32_e64 v100, 0, 1, s0
	v_cmp_ne_u64_e64 s22, v[25:26], v[27:28]
	v_cmp_gt_u64_e64 s5, s[24:25], v[61:62]
	v_mad_u32_u24 v61, v0, 15, 9
	s_and_b32 s0, s4, s10
	v_cndmask_b32_e64 v105, 0, 1, s6
	v_cndmask_b32_e64 v101, 0, 1, s0
	ds_store_b64 v63, v[57:58]
	v_cmp_gt_u64_e64 s9, s[24:25], v[61:62]
	v_mad_u32_u24 v61, v0, 15, 8
	s_and_b32 s1, s5, s11
	s_waitcnt lgkmcnt(0)
	v_cndmask_b32_e64 v102, 0, 1, s1
	s_barrier
	v_cmp_gt_u64_e64 s14, s[24:25], v[61:62]
	v_mad_u32_u24 v61, v0, 15, 7
	s_and_b32 s1, s9, s12
	buffer_gl0_inv
	v_cndmask_b32_e64 v103, 0, 1, s1
	v_cmp_gt_u64_e64 s19, s[24:25], v[61:62]
	v_mad_u32_u24 v61, v0, 15, 6
	s_and_b32 s4, s14, s13
	s_delay_alu instid0(SALU_CYCLE_1) | instskip(NEXT) | instid1(VALU_DEP_2)
	v_cndmask_b32_e64 v104, 0, 1, s4
	v_cmp_gt_u64_e64 s23, s[24:25], v[61:62]
	v_mad_u32_u24 v61, v0, 15, 5
	s_and_b32 s4, s19, s15
	s_delay_alu instid0(SALU_CYCLE_1) | instskip(NEXT) | instid1(VALU_DEP_2)
	v_cndmask_b32_e64 v106, 0, 1, s4
	v_cmp_gt_u64_e32 vcc_lo, s[24:25], v[61:62]
	v_mad_u32_u24 v61, v0, 15, 4
	s_and_b32 s5, s23, s16
	s_delay_alu instid0(SALU_CYCLE_1) | instskip(NEXT) | instid1(VALU_DEP_2)
	v_cndmask_b32_e64 v107, 0, 1, s5
	v_cmp_gt_u64_e64 s0, s[24:25], v[61:62]
	v_mad_u32_u24 v61, v0, 15, 3
	s_and_b32 s5, vcc_lo, s17
	s_delay_alu instid0(SALU_CYCLE_1) | instskip(NEXT) | instid1(VALU_DEP_2)
	v_cndmask_b32_e64 v108, 0, 1, s5
	v_cmp_gt_u64_e64 s1, s[24:25], v[61:62]
	v_mad_u32_u24 v61, v0, 15, 2
	s_and_b32 s0, s0, s18
	s_delay_alu instid0(SALU_CYCLE_1) | instskip(NEXT) | instid1(VALU_DEP_2)
	v_cndmask_b32_e64 v109, 0, 1, s0
	v_cmp_gt_u64_e64 s4, s[24:25], v[61:62]
	v_mad_u32_u24 v61, v0, 15, 1
	s_and_b32 s0, s1, s20
	s_mov_b32 s1, 1
	v_cndmask_b32_e64 v110, 0, 1, s0
	s_delay_alu instid0(VALU_DEP_2) | instskip(SKIP_1) | instid1(SALU_CYCLE_1)
	v_cmp_gt_u64_e32 vcc_lo, s[24:25], v[61:62]
	s_and_b32 s0, s4, s21
	v_cndmask_b32_e64 v111, 0, 1, s0
	s_and_b32 s0, vcc_lo, s22
	s_delay_alu instid0(SALU_CYCLE_1)
	v_cndmask_b32_e64 v112, 0, 1, s0
                                        ; implicit-def: $sgpr0
	s_and_saveexec_b32 s4, s3
	s_cbranch_execz .LBB486_224
; %bb.86:
	v_add_nc_u32_e32 v61, -8, v63
	s_or_b32 s46, s46, exec_lo
	ds_load_b64 v[63:64], v61
	v_mul_u32_u24_e32 v61, 15, v0
	s_delay_alu instid0(VALU_DEP_1) | instskip(SKIP_2) | instid1(VALU_DEP_1)
	v_cmp_gt_u64_e32 vcc_lo, s[24:25], v[61:62]
	s_waitcnt lgkmcnt(0)
	v_cmp_ne_u64_e64 s0, v[63:64], v[25:26]
	s_and_b32 s0, vcc_lo, s0
	s_delay_alu instid0(SALU_CYCLE_1)
	s_and_b32 s0, s0, exec_lo
	s_or_b32 exec_lo, exec_lo, s4
.LBB486_87:
	v_mov_b32_e32 v113, s1
	s_and_saveexec_b32 s1, s46
.LBB486_88:
	s_delay_alu instid0(VALU_DEP_3)
	v_cndmask_b32_e64 v113, 0, 1, s0
.LBB486_89:
	s_or_b32 exec_lo, exec_lo, s1
	s_delay_alu instid0(VALU_DEP_1)
	v_add3_u32 v61, v112, v113, v111
	v_dual_mov_b32 v95, v53 :: v_dual_mov_b32 v96, v54
	v_cmp_eq_u32_e64 s13, 0, v112
	v_cmp_eq_u32_e64 s12, 0, v111
	;; [unrolled: 1-line block ×3, first 2 shown]
	v_add3_u32 v116, v61, v110, v109
	v_cmp_eq_u32_e64 s10, 0, v109
	v_cmp_eq_u32_e64 s9, 0, v108
	;; [unrolled: 1-line block ×10, first 2 shown]
	v_cmp_eq_u32_e32 vcc_lo, 0, v105
	v_mbcnt_lo_u32_b32 v115, -1, 0
	s_cmp_eq_u64 s[42:43], 0
	s_cselect_b32 s15, -1, 0
	s_cmp_lg_u32 s52, 0
	s_cbranch_scc0 .LBB486_156
; %bb.90:
	v_cndmask_b32_e64 v61, 0, v53, s13
	v_cndmask_b32_e64 v62, 0, v54, s13
	v_add3_u32 v63, v116, v108, v107
	s_delay_alu instid0(VALU_DEP_3) | instskip(NEXT) | instid1(VALU_DEP_1)
	v_add_co_u32 v61, s14, v61, v55
	v_add_co_ci_u32_e64 v62, s14, v62, v56, s14
	s_delay_alu instid0(VALU_DEP_3) | instskip(NEXT) | instid1(VALU_DEP_3)
	v_add3_u32 v63, v63, v106, v104
	v_cndmask_b32_e64 v61, 0, v61, s12
	s_delay_alu instid0(VALU_DEP_3) | instskip(NEXT) | instid1(VALU_DEP_3)
	v_cndmask_b32_e64 v62, 0, v62, s12
	v_add3_u32 v63, v63, v103, v102
	s_delay_alu instid0(VALU_DEP_3) | instskip(NEXT) | instid1(VALU_DEP_1)
	v_add_co_u32 v61, s14, v61, v49
	v_add_co_ci_u32_e64 v62, s14, v62, v50, s14
	s_delay_alu instid0(VALU_DEP_3) | instskip(NEXT) | instid1(VALU_DEP_3)
	v_add3_u32 v63, v63, v101, v100
	v_cndmask_b32_e64 v61, 0, v61, s11
	s_delay_alu instid0(VALU_DEP_3) | instskip(NEXT) | instid1(VALU_DEP_3)
	v_cndmask_b32_e64 v62, 0, v62, s11
	v_add3_u32 v65, v63, v99, v105
	s_delay_alu instid0(VALU_DEP_3) | instskip(NEXT) | instid1(VALU_DEP_1)
	v_add_co_u32 v61, s14, v61, v51
	v_add_co_ci_u32_e64 v62, s14, v62, v52, s14
	s_delay_alu instid0(VALU_DEP_2) | instskip(NEXT) | instid1(VALU_DEP_2)
	v_cndmask_b32_e64 v61, 0, v61, s10
	v_cndmask_b32_e64 v62, 0, v62, s10
	s_delay_alu instid0(VALU_DEP_2) | instskip(NEXT) | instid1(VALU_DEP_1)
	v_add_co_u32 v61, s14, v61, v45
	v_add_co_ci_u32_e64 v62, s14, v62, v46, s14
	s_delay_alu instid0(VALU_DEP_2) | instskip(NEXT) | instid1(VALU_DEP_2)
	v_cndmask_b32_e64 v61, 0, v61, s9
	v_cndmask_b32_e64 v62, 0, v62, s9
	s_delay_alu instid0(VALU_DEP_2) | instskip(NEXT) | instid1(VALU_DEP_1)
	;; [unrolled: 6-line block ×10, first 2 shown]
	v_add_co_u32 v61, s14, v61, v31
	v_add_co_ci_u32_e64 v62, s14, v62, v32, s14
	s_mov_b32 s14, exec_lo
	s_delay_alu instid0(VALU_DEP_1) | instskip(NEXT) | instid1(VALU_DEP_1)
	v_dual_cndmask_b32 v61, 0, v61 :: v_dual_cndmask_b32 v62, 0, v62
	v_add_co_u32 v63, vcc_lo, v61, v59
	s_delay_alu instid0(VALU_DEP_2) | instskip(SKIP_2) | instid1(VALU_DEP_4)
	v_add_co_ci_u32_e32 v64, vcc_lo, v62, v60, vcc_lo
	v_and_b32_e32 v61, 15, v115
	v_mov_b32_dpp v62, v65 row_shr:1 row_mask:0xf bank_mask:0xf
	v_mov_b32_dpp v66, v63 row_shr:1 row_mask:0xf bank_mask:0xf
	s_delay_alu instid0(VALU_DEP_4) | instskip(NEXT) | instid1(VALU_DEP_4)
	v_mov_b32_dpp v67, v64 row_shr:1 row_mask:0xf bank_mask:0xf
	v_cmpx_ne_u32_e32 0, v61
; %bb.91:
	v_cmp_eq_u32_e32 vcc_lo, 0, v65
	v_add_nc_u32_e32 v65, v62, v65
	s_delay_alu instid0(VALU_DEP_4) | instskip(NEXT) | instid1(VALU_DEP_1)
	v_dual_cndmask_b32 v67, 0, v67 :: v_dual_cndmask_b32 v66, 0, v66
	v_add_co_u32 v63, vcc_lo, v66, v63
	s_delay_alu instid0(VALU_DEP_2)
	v_add_co_ci_u32_e32 v64, vcc_lo, v67, v64, vcc_lo
; %bb.92:
	s_or_b32 exec_lo, exec_lo, s14
	v_mov_b32_dpp v62, v65 row_shr:2 row_mask:0xf bank_mask:0xf
	s_delay_alu instid0(VALU_DEP_3) | instskip(NEXT) | instid1(VALU_DEP_3)
	v_mov_b32_dpp v66, v63 row_shr:2 row_mask:0xf bank_mask:0xf
	v_mov_b32_dpp v67, v64 row_shr:2 row_mask:0xf bank_mask:0xf
	s_mov_b32 s14, exec_lo
	v_cmpx_lt_u32_e32 1, v61
; %bb.93:
	v_cmp_eq_u32_e32 vcc_lo, 0, v65
	v_add_nc_u32_e32 v65, v62, v65
	v_dual_cndmask_b32 v67, 0, v67 :: v_dual_cndmask_b32 v66, 0, v66
	s_delay_alu instid0(VALU_DEP_1) | instskip(NEXT) | instid1(VALU_DEP_2)
	v_add_co_u32 v63, vcc_lo, v66, v63
	v_add_co_ci_u32_e32 v64, vcc_lo, v67, v64, vcc_lo
; %bb.94:
	s_or_b32 exec_lo, exec_lo, s14
	v_mov_b32_dpp v62, v65 row_shr:4 row_mask:0xf bank_mask:0xf
	s_delay_alu instid0(VALU_DEP_3) | instskip(NEXT) | instid1(VALU_DEP_3)
	v_mov_b32_dpp v66, v63 row_shr:4 row_mask:0xf bank_mask:0xf
	v_mov_b32_dpp v67, v64 row_shr:4 row_mask:0xf bank_mask:0xf
	s_mov_b32 s14, exec_lo
	v_cmpx_lt_u32_e32 3, v61
; %bb.95:
	v_cmp_eq_u32_e32 vcc_lo, 0, v65
	v_add_nc_u32_e32 v65, v62, v65
	v_dual_cndmask_b32 v67, 0, v67 :: v_dual_cndmask_b32 v66, 0, v66
	s_delay_alu instid0(VALU_DEP_1) | instskip(NEXT) | instid1(VALU_DEP_2)
	v_add_co_u32 v63, vcc_lo, v66, v63
	;; [unrolled: 15-line block ×3, first 2 shown]
	v_add_co_ci_u32_e32 v64, vcc_lo, v61, v64, vcc_lo
; %bb.98:
	s_or_b32 exec_lo, exec_lo, s14
	ds_swizzle_b32 v61, v65 offset:swizzle(BROADCAST,32,15)
	ds_swizzle_b32 v62, v63 offset:swizzle(BROADCAST,32,15)
	;; [unrolled: 1-line block ×3, first 2 shown]
	v_and_b32_e32 v67, 16, v115
	s_mov_b32 s14, exec_lo
	s_delay_alu instid0(VALU_DEP_1)
	v_cmpx_ne_u32_e32 0, v67
	s_cbranch_execz .LBB486_100
; %bb.99:
	v_cmp_eq_u32_e32 vcc_lo, 0, v65
	s_waitcnt lgkmcnt(1)
	v_dual_cndmask_b32 v62, 0, v62 :: v_dual_add_nc_u32 v65, v61, v65
	s_waitcnt lgkmcnt(0)
	v_cndmask_b32_e32 v66, 0, v66, vcc_lo
	s_delay_alu instid0(VALU_DEP_2) | instskip(NEXT) | instid1(VALU_DEP_2)
	v_add_co_u32 v63, vcc_lo, v62, v63
	v_add_co_ci_u32_e32 v64, vcc_lo, v66, v64, vcc_lo
.LBB486_100:
	s_or_b32 exec_lo, exec_lo, s14
	s_waitcnt lgkmcnt(1)
	v_lshrrev_b32_e32 v62, 5, v0
	v_or_b32_e32 v61, 31, v0
	s_mov_b32 s14, exec_lo
	s_waitcnt lgkmcnt(0)
	s_delay_alu instid0(VALU_DEP_2) | instskip(NEXT) | instid1(VALU_DEP_2)
	v_lshlrev_b32_e32 v66, 4, v62
	v_cmpx_eq_u32_e64 v61, v0
	s_cbranch_execz .LBB486_102
; %bb.101:
	ds_store_b32 v66, v65 offset:4128
	ds_store_b64 v66, v[63:64] offset:4136
.LBB486_102:
	s_or_b32 exec_lo, exec_lo, s14
	s_delay_alu instid0(SALU_CYCLE_1)
	s_mov_b32 s14, exec_lo
	s_waitcnt lgkmcnt(0)
	s_barrier
	buffer_gl0_inv
	v_cmpx_gt_u32_e32 8, v0
	s_cbranch_execz .LBB486_110
; %bb.103:
	v_lshlrev_b32_e32 v67, 4, v0
	v_and_b32_e32 v69, 7, v115
	s_mov_b32 s16, exec_lo
	ds_load_b32 v68, v67 offset:4128
	ds_load_b64 v[61:62], v67 offset:4136
	s_waitcnt lgkmcnt(1)
	v_mov_b32_dpp v70, v68 row_shr:1 row_mask:0xf bank_mask:0xf
	s_waitcnt lgkmcnt(0)
	v_mov_b32_dpp v71, v61 row_shr:1 row_mask:0xf bank_mask:0xf
	v_mov_b32_dpp v72, v62 row_shr:1 row_mask:0xf bank_mask:0xf
	v_cmpx_ne_u32_e32 0, v69
; %bb.104:
	v_cmp_eq_u32_e32 vcc_lo, 0, v68
	v_add_nc_u32_e32 v68, v70, v68
	s_delay_alu instid0(VALU_DEP_4) | instskip(NEXT) | instid1(VALU_DEP_1)
	v_dual_cndmask_b32 v72, 0, v72 :: v_dual_cndmask_b32 v71, 0, v71
	v_add_co_u32 v61, vcc_lo, v71, v61
	s_delay_alu instid0(VALU_DEP_2)
	v_add_co_ci_u32_e32 v62, vcc_lo, v72, v62, vcc_lo
; %bb.105:
	s_or_b32 exec_lo, exec_lo, s16
	v_mov_b32_dpp v70, v68 row_shr:2 row_mask:0xf bank_mask:0xf
	s_delay_alu instid0(VALU_DEP_3) | instskip(NEXT) | instid1(VALU_DEP_3)
	v_mov_b32_dpp v71, v61 row_shr:2 row_mask:0xf bank_mask:0xf
	v_mov_b32_dpp v72, v62 row_shr:2 row_mask:0xf bank_mask:0xf
	s_mov_b32 s16, exec_lo
	v_cmpx_lt_u32_e32 1, v69
; %bb.106:
	v_cmp_eq_u32_e32 vcc_lo, 0, v68
	v_add_nc_u32_e32 v68, v70, v68
	v_dual_cndmask_b32 v72, 0, v72 :: v_dual_cndmask_b32 v71, 0, v71
	s_delay_alu instid0(VALU_DEP_1) | instskip(NEXT) | instid1(VALU_DEP_2)
	v_add_co_u32 v61, vcc_lo, v71, v61
	v_add_co_ci_u32_e32 v62, vcc_lo, v72, v62, vcc_lo
; %bb.107:
	s_or_b32 exec_lo, exec_lo, s16
	v_mov_b32_dpp v70, v68 row_shr:4 row_mask:0xf bank_mask:0xf
	s_delay_alu instid0(VALU_DEP_3) | instskip(NEXT) | instid1(VALU_DEP_3)
	v_mov_b32_dpp v71, v61 row_shr:4 row_mask:0xf bank_mask:0xf
	v_mov_b32_dpp v72, v62 row_shr:4 row_mask:0xf bank_mask:0xf
	s_mov_b32 s16, exec_lo
	v_cmpx_lt_u32_e32 3, v69
; %bb.108:
	v_cmp_eq_u32_e32 vcc_lo, 0, v68
	v_dual_cndmask_b32 v71, 0, v71 :: v_dual_add_nc_u32 v68, v70, v68
	v_cndmask_b32_e32 v69, 0, v72, vcc_lo
	s_delay_alu instid0(VALU_DEP_2) | instskip(NEXT) | instid1(VALU_DEP_2)
	v_add_co_u32 v61, vcc_lo, v71, v61
	v_add_co_ci_u32_e32 v62, vcc_lo, v69, v62, vcc_lo
; %bb.109:
	s_or_b32 exec_lo, exec_lo, s16
	ds_store_b32 v67, v68 offset:4128
	ds_store_b64 v67, v[61:62] offset:4136
.LBB486_110:
	s_or_b32 exec_lo, exec_lo, s14
	v_mov_b32_e32 v61, 0
	v_cmp_gt_u32_e32 vcc_lo, 32, v0
	v_dual_mov_b32 v62, 0 :: v_dual_mov_b32 v71, 0
	s_mov_b32 s16, exec_lo
	s_waitcnt lgkmcnt(0)
	s_barrier
	buffer_gl0_inv
	v_cmpx_lt_u32_e32 31, v0
	s_cbranch_execz .LBB486_112
; %bb.111:
	ds_load_b64 v[61:62], v66 offset:4120
	ds_load_b32 v71, v66 offset:4112
	v_cmp_eq_u32_e64 s14, 0, v65
	s_waitcnt lgkmcnt(1)
	s_delay_alu instid0(VALU_DEP_1) | instskip(SKIP_3) | instid1(VALU_DEP_3)
	v_cndmask_b32_e64 v67, 0, v61, s14
	v_cndmask_b32_e64 v66, 0, v62, s14
	s_waitcnt lgkmcnt(0)
	v_add_nc_u32_e32 v65, v71, v65
	v_add_co_u32 v63, s14, v67, v63
	s_delay_alu instid0(VALU_DEP_1)
	v_add_co_ci_u32_e64 v64, s14, v66, v64, s14
.LBB486_112:
	s_or_b32 exec_lo, exec_lo, s16
	v_add_nc_u32_e32 v66, -1, v115
	s_delay_alu instid0(VALU_DEP_1) | instskip(NEXT) | instid1(VALU_DEP_1)
	v_cmp_gt_i32_e64 s14, 0, v66
	v_cndmask_b32_e64 v66, v66, v115, s14
	v_cmp_eq_u32_e64 s14, 0, v115
	s_delay_alu instid0(VALU_DEP_2)
	v_lshlrev_b32_e32 v66, 2, v66
	ds_bpermute_b32 v74, v66, v65
	ds_bpermute_b32 v73, v66, v63
	;; [unrolled: 1-line block ×3, first 2 shown]
	s_and_saveexec_b32 s16, vcc_lo
	s_cbranch_execz .LBB486_155
; %bb.113:
	v_mov_b32_e32 v67, 0
	ds_load_b32 v75, v67 offset:4240
	ds_load_b64 v[63:64], v67 offset:4248
	s_and_saveexec_b32 s17, s14
	s_cbranch_execz .LBB486_115
; %bb.114:
	s_add_i32 s18, s52, 32
	s_mov_b32 s19, 0
	v_dual_mov_b32 v65, s18 :: v_dual_mov_b32 v66, 1
	s_lshl_b64 s[20:21], s[18:19], 4
	s_delay_alu instid0(SALU_CYCLE_1)
	s_add_u32 s18, s36, s20
	s_addc_u32 s19, s37, s21
	s_waitcnt lgkmcnt(1)
	global_store_b32 v67, v75, s[18:19]
	s_waitcnt lgkmcnt(0)
	global_store_b64 v67, v[63:64], s[18:19] offset:8
	s_waitcnt_vscnt null, 0x0
	buffer_gl1_inv
	buffer_gl0_inv
	global_store_b8 v65, v66, s[40:41]
.LBB486_115:
	s_or_b32 exec_lo, exec_lo, s17
	v_xad_u32 v65, v115, -1, s52
	s_mov_b32 s18, 0
	s_mov_b32 s17, exec_lo
	s_delay_alu instid0(VALU_DEP_1)
	v_add_nc_u32_e32 v66, 32, v65
	global_load_u8 v76, v66, s[40:41] glc
	s_waitcnt vmcnt(0)
	v_cmpx_eq_u16_e32 0, v76
	s_cbranch_execz .LBB486_121
; %bb.116:
	v_add_co_u32 v68, s19, s40, v66
	s_delay_alu instid0(VALU_DEP_1)
	v_add_co_ci_u32_e64 v69, null, s41, 0, s19
	s_mov_b32 s19, 1
.LBB486_117:                            ; =>This Loop Header: Depth=1
                                        ;     Child Loop BB486_118 Depth 2
	s_delay_alu instid0(SALU_CYCLE_1)
	s_max_u32 s20, s19, 1
.LBB486_118:                            ;   Parent Loop BB486_117 Depth=1
                                        ; =>  This Inner Loop Header: Depth=2
	s_delay_alu instid0(SALU_CYCLE_1)
	s_add_i32 s20, s20, -1
	s_sleep 1
	s_cmp_eq_u32 s20, 0
	s_cbranch_scc0 .LBB486_118
; %bb.119:                              ;   in Loop: Header=BB486_117 Depth=1
	global_load_u8 v76, v[68:69], off glc
	s_cmp_lt_u32 s19, 32
	s_cselect_b32 s20, -1, 0
	s_delay_alu instid0(SALU_CYCLE_1) | instskip(SKIP_4) | instid1(SALU_CYCLE_1)
	s_cmp_lg_u32 s20, 0
	s_addc_u32 s19, s19, 0
	s_waitcnt vmcnt(0)
	v_cmp_ne_u16_e32 vcc_lo, 0, v76
	s_or_b32 s18, vcc_lo, s18
	s_and_not1_b32 exec_lo, exec_lo, s18
	s_cbranch_execnz .LBB486_117
; %bb.120:
	s_or_b32 exec_lo, exec_lo, s18
.LBB486_121:
	s_delay_alu instid0(SALU_CYCLE_1)
	s_or_b32 exec_lo, exec_lo, s17
	v_dual_mov_b32 v68, s37 :: v_dual_mov_b32 v69, s36
	v_cmp_eq_u16_e32 vcc_lo, 1, v76
	v_lshlrev_b64 v[66:67], 4, v[66:67]
	s_waitcnt lgkmcnt(0)
	s_waitcnt_vscnt null, 0x0
	buffer_gl1_inv
	buffer_gl0_inv
	v_lshlrev_b32_e64 v78, v115, -1
	s_mov_b32 s17, exec_lo
	v_cndmask_b32_e32 v69, s38, v69, vcc_lo
	v_cndmask_b32_e32 v68, s39, v68, vcc_lo
	s_delay_alu instid0(VALU_DEP_2) | instskip(NEXT) | instid1(VALU_DEP_2)
	v_add_co_u32 v66, vcc_lo, v69, v66
	v_add_co_ci_u32_e32 v67, vcc_lo, v68, v67, vcc_lo
	v_cmp_ne_u32_e32 vcc_lo, 31, v115
	s_clause 0x1
	global_load_b32 v88, v[66:67], off
	global_load_b64 v[69:70], v[66:67], off offset:8
	v_add_co_ci_u32_e32 v66, vcc_lo, 0, v115, vcc_lo
	v_cmp_eq_u16_e32 vcc_lo, 2, v76
	s_delay_alu instid0(VALU_DEP_2) | instskip(SKIP_1) | instid1(VALU_DEP_1)
	v_lshlrev_b32_e32 v77, 2, v66
	v_and_or_b32 v66, vcc_lo, v78, 0x80000000
	v_ctz_i32_b32_e32 v66, v66
	s_waitcnt vmcnt(1)
	ds_bpermute_b32 v67, v77, v88
	s_waitcnt vmcnt(0)
	ds_bpermute_b32 v68, v77, v69
	ds_bpermute_b32 v79, v77, v70
	v_cmpx_lt_u32_e64 v115, v66
	s_cbranch_execz .LBB486_123
; %bb.122:
	v_cmp_eq_u32_e32 vcc_lo, 0, v88
	s_waitcnt lgkmcnt(0)
	v_dual_cndmask_b32 v79, 0, v79 :: v_dual_add_nc_u32 v88, v67, v88
	v_cndmask_b32_e32 v68, 0, v68, vcc_lo
	s_delay_alu instid0(VALU_DEP_1) | instskip(NEXT) | instid1(VALU_DEP_3)
	v_add_co_u32 v69, vcc_lo, v68, v69
	v_add_co_ci_u32_e32 v70, vcc_lo, v79, v70, vcc_lo
.LBB486_123:
	s_or_b32 exec_lo, exec_lo, s17
	v_cmp_gt_u32_e32 vcc_lo, 30, v115
	v_add_nc_u32_e32 v80, 2, v115
	s_mov_b32 s17, exec_lo
	s_waitcnt lgkmcnt(2)
	v_cndmask_b32_e64 v67, 0, 1, vcc_lo
	s_delay_alu instid0(VALU_DEP_1) | instskip(SKIP_1) | instid1(VALU_DEP_1)
	v_lshlrev_b32_e32 v67, 1, v67
	s_waitcnt lgkmcnt(0)
	v_add_lshl_u32 v79, v67, v115, 2
	ds_bpermute_b32 v67, v79, v88
	ds_bpermute_b32 v68, v79, v69
	ds_bpermute_b32 v81, v79, v70
	v_cmpx_le_u32_e64 v80, v66
	s_cbranch_execz .LBB486_125
; %bb.124:
	v_cmp_eq_u32_e32 vcc_lo, 0, v88
	s_waitcnt lgkmcnt(0)
	v_dual_cndmask_b32 v81, 0, v81 :: v_dual_add_nc_u32 v88, v67, v88
	v_cndmask_b32_e32 v68, 0, v68, vcc_lo
	s_delay_alu instid0(VALU_DEP_1) | instskip(NEXT) | instid1(VALU_DEP_3)
	v_add_co_u32 v69, vcc_lo, v68, v69
	v_add_co_ci_u32_e32 v70, vcc_lo, v81, v70, vcc_lo
.LBB486_125:
	s_or_b32 exec_lo, exec_lo, s17
	v_cmp_gt_u32_e32 vcc_lo, 28, v115
	v_add_nc_u32_e32 v82, 4, v115
	s_mov_b32 s17, exec_lo
	s_waitcnt lgkmcnt(2)
	v_cndmask_b32_e64 v67, 0, 1, vcc_lo
	s_delay_alu instid0(VALU_DEP_1) | instskip(SKIP_1) | instid1(VALU_DEP_1)
	v_lshlrev_b32_e32 v67, 2, v67
	s_waitcnt lgkmcnt(0)
	v_add_lshl_u32 v81, v67, v115, 2
	ds_bpermute_b32 v67, v81, v88
	ds_bpermute_b32 v68, v81, v69
	ds_bpermute_b32 v83, v81, v70
	v_cmpx_le_u32_e64 v82, v66
	;; [unrolled: 24-line block ×3, first 2 shown]
	s_cbranch_execz .LBB486_129
; %bb.128:
	v_cmp_eq_u32_e32 vcc_lo, 0, v88
	s_waitcnt lgkmcnt(0)
	v_dual_cndmask_b32 v85, 0, v85 :: v_dual_add_nc_u32 v88, v67, v88
	v_cndmask_b32_e32 v68, 0, v68, vcc_lo
	s_delay_alu instid0(VALU_DEP_1) | instskip(NEXT) | instid1(VALU_DEP_3)
	v_add_co_u32 v69, vcc_lo, v68, v69
	v_add_co_ci_u32_e32 v70, vcc_lo, v85, v70, vcc_lo
.LBB486_129:
	s_or_b32 exec_lo, exec_lo, s17
	v_cmp_gt_u32_e32 vcc_lo, 16, v115
	v_add_nc_u32_e32 v87, 16, v115
	s_mov_b32 s17, exec_lo
	s_waitcnt lgkmcnt(2)
	v_cndmask_b32_e64 v67, 0, 1, vcc_lo
	s_delay_alu instid0(VALU_DEP_1) | instskip(NEXT) | instid1(VALU_DEP_1)
	v_lshlrev_b32_e32 v67, 4, v67
	v_add_lshl_u32 v86, v67, v115, 2
	ds_bpermute_b32 v67, v86, v88
	s_waitcnt lgkmcnt(2)
	ds_bpermute_b32 v68, v86, v69
	s_waitcnt lgkmcnt(2)
	ds_bpermute_b32 v85, v86, v70
	v_cmpx_le_u32_e64 v87, v66
	s_cbranch_execz .LBB486_131
; %bb.130:
	v_cmp_eq_u32_e32 vcc_lo, 0, v88
	s_waitcnt lgkmcnt(2)
	v_add_nc_u32_e32 v88, v67, v88
	s_waitcnt lgkmcnt(1)
	v_cndmask_b32_e32 v68, 0, v68, vcc_lo
	s_waitcnt lgkmcnt(0)
	v_cndmask_b32_e32 v66, 0, v85, vcc_lo
	s_delay_alu instid0(VALU_DEP_2) | instskip(NEXT) | instid1(VALU_DEP_2)
	v_add_co_u32 v69, vcc_lo, v68, v69
	v_add_co_ci_u32_e32 v70, vcc_lo, v66, v70, vcc_lo
.LBB486_131:
	s_or_b32 exec_lo, exec_lo, s17
	v_mov_b32_e32 v66, 0
	s_branch .LBB486_133
.LBB486_132:                            ;   in Loop: Header=BB486_133 Depth=1
	s_or_b32 exec_lo, exec_lo, s17
	v_cmp_eq_u32_e32 vcc_lo, 0, v85
	v_subrev_nc_u32_e32 v65, 32, v65
	v_add_nc_u32_e32 v88, v88, v85
	v_dual_cndmask_b32 v70, 0, v70 :: v_dual_cndmask_b32 v69, 0, v69
	s_delay_alu instid0(VALU_DEP_1) | instskip(NEXT) | instid1(VALU_DEP_2)
	v_add_co_u32 v69, vcc_lo, v69, v67
	v_add_co_ci_u32_e32 v70, vcc_lo, v70, v68, vcc_lo
.LBB486_133:                            ; =>This Loop Header: Depth=1
                                        ;     Child Loop BB486_136 Depth 2
                                        ;       Child Loop BB486_137 Depth 3
	s_waitcnt lgkmcnt(2)
	v_and_b32_e32 v67, 0xff, v76
	s_waitcnt lgkmcnt(0)
	v_mov_b32_e32 v85, v88
	s_delay_alu instid0(VALU_DEP_2) | instskip(SKIP_2) | instid1(VALU_DEP_1)
	v_cmp_ne_u16_e32 vcc_lo, 2, v67
	v_cndmask_b32_e64 v67, 0, 1, vcc_lo
	;;#ASMSTART
	;;#ASMEND
	v_cmp_ne_u32_e32 vcc_lo, 0, v67
	v_dual_mov_b32 v67, v69 :: v_dual_mov_b32 v68, v70
	s_cmp_lg_u32 vcc_lo, exec_lo
	s_cbranch_scc1 .LBB486_150
; %bb.134:                              ;   in Loop: Header=BB486_133 Depth=1
	global_load_u8 v76, v65, s[40:41] glc
	s_mov_b32 s17, exec_lo
	s_waitcnt vmcnt(0)
	v_cmpx_eq_u16_e32 0, v76
	s_cbranch_execz .LBB486_140
; %bb.135:                              ;   in Loop: Header=BB486_133 Depth=1
	v_add_co_u32 v69, s18, s40, v65
	s_delay_alu instid0(VALU_DEP_1)
	v_add_co_ci_u32_e64 v70, null, s41, 0, s18
	s_mov_b32 s19, 1
	s_mov_b32 s18, 0
.LBB486_136:                            ;   Parent Loop BB486_133 Depth=1
                                        ; =>  This Loop Header: Depth=2
                                        ;       Child Loop BB486_137 Depth 3
	s_max_u32 s20, s19, 1
.LBB486_137:                            ;   Parent Loop BB486_133 Depth=1
                                        ;     Parent Loop BB486_136 Depth=2
                                        ; =>    This Inner Loop Header: Depth=3
	s_delay_alu instid0(SALU_CYCLE_1)
	s_add_i32 s20, s20, -1
	s_sleep 1
	s_cmp_eq_u32 s20, 0
	s_cbranch_scc0 .LBB486_137
; %bb.138:                              ;   in Loop: Header=BB486_136 Depth=2
	global_load_u8 v76, v[69:70], off glc
	s_cmp_lt_u32 s19, 32
	s_cselect_b32 s20, -1, 0
	s_delay_alu instid0(SALU_CYCLE_1) | instskip(SKIP_4) | instid1(SALU_CYCLE_1)
	s_cmp_lg_u32 s20, 0
	s_addc_u32 s19, s19, 0
	s_waitcnt vmcnt(0)
	v_cmp_ne_u16_e32 vcc_lo, 0, v76
	s_or_b32 s18, vcc_lo, s18
	s_and_not1_b32 exec_lo, exec_lo, s18
	s_cbranch_execnz .LBB486_136
; %bb.139:                              ;   in Loop: Header=BB486_133 Depth=1
	s_or_b32 exec_lo, exec_lo, s18
.LBB486_140:                            ;   in Loop: Header=BB486_133 Depth=1
	s_delay_alu instid0(SALU_CYCLE_1)
	s_or_b32 exec_lo, exec_lo, s17
	v_dual_mov_b32 v88, s37 :: v_dual_mov_b32 v89, s36
	v_cmp_eq_u16_e32 vcc_lo, 1, v76
	v_lshlrev_b64 v[69:70], 4, v[65:66]
	buffer_gl1_inv
	buffer_gl0_inv
	s_mov_b32 s17, exec_lo
	v_cndmask_b32_e32 v89, s38, v89, vcc_lo
	v_cndmask_b32_e32 v88, s39, v88, vcc_lo
	s_delay_alu instid0(VALU_DEP_2) | instskip(NEXT) | instid1(VALU_DEP_2)
	v_add_co_u32 v69, vcc_lo, v89, v69
	v_add_co_ci_u32_e32 v70, vcc_lo, v88, v70, vcc_lo
	v_cmp_eq_u16_e32 vcc_lo, 2, v76
	s_clause 0x1
	global_load_b32 v88, v[69:70], off
	global_load_b64 v[69:70], v[69:70], off offset:8
	v_and_or_b32 v89, vcc_lo, v78, 0x80000000
	s_delay_alu instid0(VALU_DEP_1)
	v_ctz_i32_b32_e32 v89, v89
	s_waitcnt vmcnt(1)
	ds_bpermute_b32 v90, v77, v88
	s_waitcnt vmcnt(0)
	ds_bpermute_b32 v91, v77, v69
	ds_bpermute_b32 v92, v77, v70
	v_cmpx_lt_u32_e64 v115, v89
	s_cbranch_execz .LBB486_142
; %bb.141:                              ;   in Loop: Header=BB486_133 Depth=1
	v_cmp_eq_u32_e32 vcc_lo, 0, v88
	s_waitcnt lgkmcnt(2)
	v_add_nc_u32_e32 v88, v90, v88
	s_waitcnt lgkmcnt(0)
	v_dual_cndmask_b32 v92, 0, v92 :: v_dual_cndmask_b32 v91, 0, v91
	s_delay_alu instid0(VALU_DEP_1) | instskip(NEXT) | instid1(VALU_DEP_2)
	v_add_co_u32 v69, vcc_lo, v91, v69
	v_add_co_ci_u32_e32 v70, vcc_lo, v92, v70, vcc_lo
.LBB486_142:                            ;   in Loop: Header=BB486_133 Depth=1
	s_or_b32 exec_lo, exec_lo, s17
	s_waitcnt lgkmcnt(2)
	ds_bpermute_b32 v90, v79, v88
	s_waitcnt lgkmcnt(2)
	ds_bpermute_b32 v91, v79, v69
	s_waitcnt lgkmcnt(2)
	ds_bpermute_b32 v92, v79, v70
	s_mov_b32 s17, exec_lo
	v_cmpx_le_u32_e64 v80, v89
	s_cbranch_execz .LBB486_144
; %bb.143:                              ;   in Loop: Header=BB486_133 Depth=1
	v_cmp_eq_u32_e32 vcc_lo, 0, v88
	s_waitcnt lgkmcnt(2)
	v_add_nc_u32_e32 v88, v90, v88
	s_waitcnt lgkmcnt(0)
	v_dual_cndmask_b32 v92, 0, v92 :: v_dual_cndmask_b32 v91, 0, v91
	s_delay_alu instid0(VALU_DEP_1) | instskip(NEXT) | instid1(VALU_DEP_2)
	v_add_co_u32 v69, vcc_lo, v91, v69
	v_add_co_ci_u32_e32 v70, vcc_lo, v92, v70, vcc_lo
.LBB486_144:                            ;   in Loop: Header=BB486_133 Depth=1
	s_or_b32 exec_lo, exec_lo, s17
	s_waitcnt lgkmcnt(2)
	ds_bpermute_b32 v90, v81, v88
	s_waitcnt lgkmcnt(2)
	ds_bpermute_b32 v91, v81, v69
	s_waitcnt lgkmcnt(2)
	ds_bpermute_b32 v92, v81, v70
	s_mov_b32 s17, exec_lo
	v_cmpx_le_u32_e64 v82, v89
	s_cbranch_execz .LBB486_146
; %bb.145:                              ;   in Loop: Header=BB486_133 Depth=1
	v_cmp_eq_u32_e32 vcc_lo, 0, v88
	s_waitcnt lgkmcnt(2)
	v_add_nc_u32_e32 v88, v90, v88
	s_waitcnt lgkmcnt(0)
	v_dual_cndmask_b32 v92, 0, v92 :: v_dual_cndmask_b32 v91, 0, v91
	s_delay_alu instid0(VALU_DEP_1) | instskip(NEXT) | instid1(VALU_DEP_2)
	v_add_co_u32 v69, vcc_lo, v91, v69
	v_add_co_ci_u32_e32 v70, vcc_lo, v92, v70, vcc_lo
.LBB486_146:                            ;   in Loop: Header=BB486_133 Depth=1
	s_or_b32 exec_lo, exec_lo, s17
	s_waitcnt lgkmcnt(2)
	ds_bpermute_b32 v90, v83, v88
	s_waitcnt lgkmcnt(2)
	ds_bpermute_b32 v91, v83, v69
	s_waitcnt lgkmcnt(2)
	ds_bpermute_b32 v92, v83, v70
	s_mov_b32 s17, exec_lo
	v_cmpx_le_u32_e64 v84, v89
	s_cbranch_execz .LBB486_148
; %bb.147:                              ;   in Loop: Header=BB486_133 Depth=1
	v_cmp_eq_u32_e32 vcc_lo, 0, v88
	s_waitcnt lgkmcnt(2)
	v_add_nc_u32_e32 v88, v90, v88
	s_waitcnt lgkmcnt(0)
	v_dual_cndmask_b32 v92, 0, v92 :: v_dual_cndmask_b32 v91, 0, v91
	s_delay_alu instid0(VALU_DEP_1) | instskip(NEXT) | instid1(VALU_DEP_2)
	v_add_co_u32 v69, vcc_lo, v91, v69
	v_add_co_ci_u32_e32 v70, vcc_lo, v92, v70, vcc_lo
.LBB486_148:                            ;   in Loop: Header=BB486_133 Depth=1
	s_or_b32 exec_lo, exec_lo, s17
	s_waitcnt lgkmcnt(2)
	ds_bpermute_b32 v90, v86, v88
	s_waitcnt lgkmcnt(2)
	ds_bpermute_b32 v91, v86, v69
	s_waitcnt lgkmcnt(2)
	ds_bpermute_b32 v92, v86, v70
	s_mov_b32 s17, exec_lo
	v_cmpx_le_u32_e64 v87, v89
	s_cbranch_execz .LBB486_132
; %bb.149:                              ;   in Loop: Header=BB486_133 Depth=1
	v_cmp_eq_u32_e32 vcc_lo, 0, v88
	s_waitcnt lgkmcnt(1)
	v_dual_cndmask_b32 v91, 0, v91 :: v_dual_add_nc_u32 v88, v90, v88
	s_waitcnt lgkmcnt(0)
	v_cndmask_b32_e32 v89, 0, v92, vcc_lo
	s_delay_alu instid0(VALU_DEP_2) | instskip(NEXT) | instid1(VALU_DEP_2)
	v_add_co_u32 v69, vcc_lo, v91, v69
	v_add_co_ci_u32_e32 v70, vcc_lo, v89, v70, vcc_lo
	s_branch .LBB486_132
.LBB486_150:                            ;   in Loop: Header=BB486_133 Depth=1
                                        ; implicit-def: $vgpr69_vgpr70
                                        ; implicit-def: $vgpr88
                                        ; implicit-def: $vgpr76
	s_cbranch_execz .LBB486_133
; %bb.151:
	s_and_saveexec_b32 s17, s14
	s_cbranch_execz .LBB486_153
; %bb.152:
	v_cmp_eq_u32_e32 vcc_lo, 0, v75
	s_mov_b32 s19, 0
	s_add_i32 s18, s52, 32
	v_dual_mov_b32 v70, 0 :: v_dual_add_nc_u32 v69, v85, v75
	v_dual_cndmask_b32 v66, 0, v68 :: v_dual_cndmask_b32 v65, 0, v67
	s_lshl_b64 s[20:21], s[18:19], 4
	v_dual_mov_b32 v76, s18 :: v_dual_mov_b32 v77, 2
	s_add_u32 s20, s38, s20
	s_delay_alu instid0(VALU_DEP_2)
	v_add_co_u32 v65, vcc_lo, v65, v63
	v_add_co_ci_u32_e32 v66, vcc_lo, v66, v64, vcc_lo
	s_addc_u32 s21, s39, s21
	s_clause 0x1
	global_store_b32 v70, v69, s[20:21]
	global_store_b64 v70, v[65:66], s[20:21] offset:8
	s_waitcnt lgkmcnt(0)
	s_waitcnt_vscnt null, 0x0
	buffer_gl1_inv
	buffer_gl0_inv
	global_store_b8 v76, v77, s[40:41]
	ds_store_b32 v70, v75 offset:4096
	ds_store_b64 v70, v[63:64] offset:4104
	ds_store_b32 v70, v85 offset:4112
	ds_store_b64 v70, v[67:68] offset:4120
.LBB486_153:
	s_or_b32 exec_lo, exec_lo, s17
	s_delay_alu instid0(SALU_CYCLE_1)
	s_and_b32 exec_lo, exec_lo, s2
	s_cbranch_execz .LBB486_155
; %bb.154:
	v_mov_b32_e32 v63, 0
	ds_store_b32 v63, v85 offset:4240
	ds_store_b64 v63, v[67:68] offset:4248
.LBB486_155:
	s_or_b32 exec_lo, exec_lo, s16
	s_waitcnt lgkmcnt(2)
	v_cndmask_b32_e64 v66, v74, v71, s14
	s_waitcnt lgkmcnt(0)
	s_waitcnt_vscnt null, 0x0
	s_barrier
	buffer_gl0_inv
	v_cndmask_b32_e64 v61, v73, v61, s14
	v_cmp_eq_u32_e32 vcc_lo, 0, v66
	v_mov_b32_e32 v65, 0
	v_cndmask_b32_e64 v62, v72, v62, s14
	v_cndmask_b32_e64 v66, v66, 0, s2
	ds_load_b64 v[63:64], v65 offset:4248
	s_waitcnt lgkmcnt(0)
	v_dual_cndmask_b32 v68, 0, v63 :: v_dual_cndmask_b32 v67, 0, v64
	s_delay_alu instid0(VALU_DEP_1) | instskip(NEXT) | instid1(VALU_DEP_2)
	v_add_co_u32 v61, vcc_lo, v68, v61
	v_add_co_ci_u32_e32 v62, vcc_lo, v67, v62, vcc_lo
	v_cmp_eq_u32_e32 vcc_lo, 0, v113
	s_delay_alu instid0(VALU_DEP_3) | instskip(NEXT) | instid1(VALU_DEP_3)
	v_cndmask_b32_e64 v79, v61, v63, s2
	v_cndmask_b32_e64 v80, v62, v64, s2
	ds_load_b32 v64, v65 offset:4240
	s_waitcnt lgkmcnt(0)
	v_cndmask_b32_e32 v62, 0, v79, vcc_lo
	s_barrier
	v_cndmask_b32_e32 v61, 0, v80, vcc_lo
	buffer_gl0_inv
	ds_load_b64 v[117:118], v65 offset:4104
	v_add_co_u32 v75, vcc_lo, v62, v53
	v_add_co_ci_u32_e32 v76, vcc_lo, v61, v54, vcc_lo
	s_delay_alu instid0(VALU_DEP_2) | instskip(NEXT) | instid1(VALU_DEP_2)
	v_cndmask_b32_e64 v61, 0, v75, s13
	v_cndmask_b32_e64 v62, 0, v76, s13
	s_delay_alu instid0(VALU_DEP_2) | instskip(NEXT) | instid1(VALU_DEP_2)
	v_add_co_u32 v81, vcc_lo, v61, v55
	v_add_co_ci_u32_e32 v82, vcc_lo, v62, v56, vcc_lo
	v_add_nc_u32_e32 v114, v64, v66
	s_delay_alu instid0(VALU_DEP_3) | instskip(NEXT) | instid1(VALU_DEP_3)
	v_cndmask_b32_e64 v61, 0, v81, s12
	v_cndmask_b32_e64 v62, 0, v82, s12
	s_delay_alu instid0(VALU_DEP_2) | instskip(NEXT) | instid1(VALU_DEP_2)
	v_add_co_u32 v85, vcc_lo, v61, v49
	v_add_co_ci_u32_e32 v86, vcc_lo, v62, v50, vcc_lo
	s_delay_alu instid0(VALU_DEP_2) | instskip(NEXT) | instid1(VALU_DEP_2)
	v_cndmask_b32_e64 v61, 0, v85, s11
	v_cndmask_b32_e64 v62, 0, v86, s11
	s_delay_alu instid0(VALU_DEP_2) | instskip(NEXT) | instid1(VALU_DEP_2)
	v_add_co_u32 v67, vcc_lo, v61, v51
	v_add_co_ci_u32_e32 v68, vcc_lo, v62, v52, vcc_lo
	s_delay_alu instid0(VALU_DEP_2) | instskip(NEXT) | instid1(VALU_DEP_2)
	;; [unrolled: 6-line block ×7, first 2 shown]
	v_cndmask_b32_e64 v61, 0, v69, s5
	v_cndmask_b32_e64 v62, 0, v70, s5
	s_delay_alu instid0(VALU_DEP_2) | instskip(NEXT) | instid1(VALU_DEP_2)
	v_add_co_u32 v73, vcc_lo, v61, v39
	v_add_co_ci_u32_e32 v74, vcc_lo, v62, v40, vcc_lo
	ds_load_b32 v61, v65 offset:4096
	v_cndmask_b32_e64 v62, 0, v73, s4
	v_cndmask_b32_e64 v63, 0, v74, s4
	s_delay_alu instid0(VALU_DEP_2) | instskip(NEXT) | instid1(VALU_DEP_2)
	v_add_co_u32 v89, vcc_lo, v62, v33
	v_add_co_ci_u32_e32 v90, vcc_lo, v63, v34, vcc_lo
	ds_load_b64 v[62:63], v65 offset:4120
	v_cndmask_b32_e64 v91, 0, v89, s3
	ds_load_b32 v65, v65 offset:4112
	v_cndmask_b32_e64 v92, 0, v90, s3
	v_add_co_u32 v91, vcc_lo, v91, v35
	s_delay_alu instid0(VALU_DEP_2) | instskip(SKIP_2) | instid1(VALU_DEP_3)
	v_add_co_ci_u32_e32 v92, vcc_lo, v92, v36, vcc_lo
	s_waitcnt lgkmcnt(2)
	v_cmp_eq_u32_e32 vcc_lo, 0, v61
	v_cndmask_b32_e64 v93, 0, v91, s1
	s_delay_alu instid0(VALU_DEP_3) | instskip(NEXT) | instid1(VALU_DEP_2)
	v_cndmask_b32_e64 v94, 0, v92, s1
	v_add_co_u32 v93, s1, v93, v29
	s_delay_alu instid0(VALU_DEP_1) | instskip(SKIP_2) | instid1(VALU_DEP_3)
	v_add_co_ci_u32_e64 v94, s1, v94, v30, s1
	s_waitcnt lgkmcnt(1)
	v_dual_cndmask_b32 v62, 0, v62 :: v_dual_cndmask_b32 v119, 0, v63
	v_cndmask_b32_e64 v97, 0, v93, s0
	s_delay_alu instid0(VALU_DEP_3) | instskip(NEXT) | instid1(VALU_DEP_3)
	v_cndmask_b32_e64 v98, 0, v94, s0
	v_add_co_u32 v63, vcc_lo, v62, v117
	s_delay_alu instid0(VALU_DEP_4)
	v_add_co_ci_u32_e32 v64, vcc_lo, v119, v118, vcc_lo
	s_branch .LBB486_184
.LBB486_156:
                                        ; implicit-def: $vgpr61
                                        ; implicit-def: $vgpr63_vgpr64
                                        ; implicit-def: $vgpr65
                                        ; implicit-def: $vgpr79_vgpr80
                                        ; implicit-def: $vgpr75_vgpr76
                                        ; implicit-def: $vgpr81_vgpr82
                                        ; implicit-def: $vgpr85_vgpr86
                                        ; implicit-def: $vgpr67_vgpr68
                                        ; implicit-def: $vgpr71_vgpr72
                                        ; implicit-def: $vgpr77_vgpr78
                                        ; implicit-def: $vgpr83_vgpr84
                                        ; implicit-def: $vgpr87_vgpr88
                                        ; implicit-def: $vgpr69_vgpr70
                                        ; implicit-def: $vgpr73_vgpr74
                                        ; implicit-def: $vgpr89_vgpr90
                                        ; implicit-def: $vgpr91_vgpr92
                                        ; implicit-def: $vgpr93_vgpr94
                                        ; implicit-def: $vgpr97_vgpr98
                                        ; implicit-def: $vgpr114
	s_cbranch_execz .LBB486_184
; %bb.157:
	s_and_b32 s0, s15, exec_lo
	s_cselect_b32 s1, 0, s35
	s_cselect_b32 s0, 0, s34
	s_delay_alu instid0(SALU_CYCLE_1)
	s_cmp_eq_u64 s[0:1], 0
	s_cbranch_scc1 .LBB486_159
; %bb.158:
	v_mov_b32_e32 v61, 0
	global_load_b64 v[95:96], v61, s[0:1]
.LBB486_159:
	v_cmp_eq_u32_e64 s12, 0, v112
	v_cmp_eq_u32_e64 s11, 0, v111
	;; [unrolled: 1-line block ×5, first 2 shown]
	v_cndmask_b32_e64 v62, 0, v53, s12
	v_cndmask_b32_e64 v61, 0, v54, s12
	v_cmp_eq_u32_e64 s7, 0, v107
	v_cmp_eq_u32_e64 s6, 0, v106
	;; [unrolled: 1-line block ×3, first 2 shown]
	v_add_co_u32 v62, vcc_lo, v62, v55
	v_add_co_ci_u32_e32 v61, vcc_lo, v61, v56, vcc_lo
	v_cmp_eq_u32_e64 s4, 0, v103
	s_delay_alu instid0(VALU_DEP_3) | instskip(SKIP_1) | instid1(VALU_DEP_4)
	v_cndmask_b32_e64 v62, 0, v62, s11
	v_cmp_eq_u32_e64 s3, 0, v102
	v_cndmask_b32_e64 v61, 0, v61, s11
	v_cmp_eq_u32_e64 s1, 0, v100
	v_add3_u32 v63, v116, v108, v107
	v_add_co_u32 v62, vcc_lo, v62, v49
	s_delay_alu instid0(VALU_DEP_4) | instskip(NEXT) | instid1(VALU_DEP_3)
	v_add_co_ci_u32_e32 v61, vcc_lo, v61, v50, vcc_lo
	v_add3_u32 v63, v63, v106, v104
	s_delay_alu instid0(VALU_DEP_3) | instskip(SKIP_1) | instid1(VALU_DEP_3)
	v_cndmask_b32_e64 v62, 0, v62, s10
	s_mov_b32 s14, exec_lo
	v_cndmask_b32_e64 v61, 0, v61, s10
	s_delay_alu instid0(VALU_DEP_3) | instskip(NEXT) | instid1(VALU_DEP_3)
	v_add3_u32 v63, v63, v103, v102
	v_add_co_u32 v62, vcc_lo, v62, v51
	s_delay_alu instid0(VALU_DEP_3) | instskip(NEXT) | instid1(VALU_DEP_3)
	v_add_co_ci_u32_e32 v61, vcc_lo, v61, v52, vcc_lo
	v_add3_u32 v63, v63, v101, v100
	s_delay_alu instid0(VALU_DEP_3) | instskip(NEXT) | instid1(VALU_DEP_3)
	v_cndmask_b32_e64 v62, 0, v62, s9
	v_cndmask_b32_e64 v61, 0, v61, s9
	s_delay_alu instid0(VALU_DEP_3) | instskip(NEXT) | instid1(VALU_DEP_3)
	v_add3_u32 v63, v63, v99, v105
	v_add_co_u32 v62, vcc_lo, v62, v45
	s_delay_alu instid0(VALU_DEP_3) | instskip(NEXT) | instid1(VALU_DEP_2)
	v_add_co_ci_u32_e32 v61, vcc_lo, v61, v46, vcc_lo
	v_cndmask_b32_e64 v62, 0, v62, s8
	s_delay_alu instid0(VALU_DEP_2) | instskip(NEXT) | instid1(VALU_DEP_2)
	v_cndmask_b32_e64 v61, 0, v61, s8
	v_add_co_u32 v62, vcc_lo, v62, v47
	s_delay_alu instid0(VALU_DEP_2) | instskip(NEXT) | instid1(VALU_DEP_2)
	v_add_co_ci_u32_e32 v61, vcc_lo, v61, v48, vcc_lo
	v_cndmask_b32_e64 v62, 0, v62, s7
	s_delay_alu instid0(VALU_DEP_2) | instskip(NEXT) | instid1(VALU_DEP_2)
	v_cndmask_b32_e64 v61, 0, v61, s7
	v_add_co_u32 v62, vcc_lo, v62, v41
	s_delay_alu instid0(VALU_DEP_2) | instskip(NEXT) | instid1(VALU_DEP_2)
	;; [unrolled: 6-line block ×5, first 2 shown]
	v_add_co_ci_u32_e32 v61, vcc_lo, v61, v40, vcc_lo
	v_cndmask_b32_e64 v62, 0, v62, s3
	s_delay_alu instid0(VALU_DEP_2) | instskip(NEXT) | instid1(VALU_DEP_2)
	v_cndmask_b32_e64 v61, 0, v61, s3
	v_add_co_u32 v62, vcc_lo, v62, v33
	s_delay_alu instid0(VALU_DEP_2) | instskip(SKIP_1) | instid1(VALU_DEP_2)
	v_add_co_ci_u32_e32 v61, vcc_lo, v61, v34, vcc_lo
	v_cmp_eq_u32_e32 vcc_lo, 0, v101
	v_dual_cndmask_b32 v61, 0, v61 :: v_dual_cndmask_b32 v62, 0, v62
	s_delay_alu instid0(VALU_DEP_1) | instskip(NEXT) | instid1(VALU_DEP_1)
	v_add_co_u32 v62, s0, v62, v35
	v_add_co_ci_u32_e64 v61, s0, v61, v36, s0
	s_delay_alu instid0(VALU_DEP_2) | instskip(NEXT) | instid1(VALU_DEP_2)
	v_cndmask_b32_e64 v62, 0, v62, s1
	v_cndmask_b32_e64 v61, 0, v61, s1
	s_delay_alu instid0(VALU_DEP_2) | instskip(NEXT) | instid1(VALU_DEP_1)
	v_add_co_u32 v62, s0, v62, v29
	v_add_co_ci_u32_e64 v61, s0, v61, v30, s0
	v_cmp_eq_u32_e64 s0, 0, v99
	s_delay_alu instid0(VALU_DEP_1) | instskip(NEXT) | instid1(VALU_DEP_3)
	v_cndmask_b32_e64 v62, 0, v62, s0
	v_cndmask_b32_e64 v61, 0, v61, s0
	s_delay_alu instid0(VALU_DEP_2) | instskip(NEXT) | instid1(VALU_DEP_1)
	v_add_co_u32 v62, s13, v62, v31
	v_add_co_ci_u32_e64 v61, s13, v61, v32, s13
	v_cmp_eq_u32_e64 s13, 0, v105
	s_delay_alu instid0(VALU_DEP_1) | instskip(NEXT) | instid1(VALU_DEP_3)
	v_cndmask_b32_e64 v62, 0, v62, s13
	v_cndmask_b32_e64 v61, 0, v61, s13
	s_delay_alu instid0(VALU_DEP_2) | instskip(NEXT) | instid1(VALU_DEP_1)
	v_add_co_u32 v59, s13, v62, v59
	v_add_co_ci_u32_e64 v60, s13, v61, v60, s13
	v_and_b32_e32 v61, 15, v115
	v_mov_b32_dpp v62, v63 row_shr:1 row_mask:0xf bank_mask:0xf
	s_delay_alu instid0(VALU_DEP_4)
	v_mov_b32_dpp v64, v59 row_shr:1 row_mask:0xf bank_mask:0xf
	s_waitcnt lgkmcnt(0)
	v_mov_b32_dpp v65, v60 row_shr:1 row_mask:0xf bank_mask:0xf
	v_cmpx_ne_u32_e32 0, v61
; %bb.160:
	v_cmp_eq_u32_e64 s13, 0, v63
	v_add_nc_u32_e32 v63, v62, v63
	s_delay_alu instid0(VALU_DEP_2) | instskip(SKIP_1) | instid1(VALU_DEP_2)
	v_cndmask_b32_e64 v64, 0, v64, s13
	v_cndmask_b32_e64 v65, 0, v65, s13
	v_add_co_u32 v59, s13, v64, v59
	s_delay_alu instid0(VALU_DEP_1)
	v_add_co_ci_u32_e64 v60, s13, v65, v60, s13
; %bb.161:
	s_or_b32 exec_lo, exec_lo, s14
	v_mov_b32_dpp v62, v63 row_shr:2 row_mask:0xf bank_mask:0xf
	s_delay_alu instid0(VALU_DEP_3) | instskip(NEXT) | instid1(VALU_DEP_3)
	v_mov_b32_dpp v64, v59 row_shr:2 row_mask:0xf bank_mask:0xf
	v_mov_b32_dpp v65, v60 row_shr:2 row_mask:0xf bank_mask:0xf
	s_mov_b32 s14, exec_lo
	v_cmpx_lt_u32_e32 1, v61
; %bb.162:
	v_cmp_eq_u32_e64 s13, 0, v63
	v_add_nc_u32_e32 v63, v62, v63
	s_delay_alu instid0(VALU_DEP_2) | instskip(SKIP_1) | instid1(VALU_DEP_2)
	v_cndmask_b32_e64 v64, 0, v64, s13
	v_cndmask_b32_e64 v65, 0, v65, s13
	v_add_co_u32 v59, s13, v64, v59
	s_delay_alu instid0(VALU_DEP_1)
	v_add_co_ci_u32_e64 v60, s13, v65, v60, s13
; %bb.163:
	s_or_b32 exec_lo, exec_lo, s14
	v_mov_b32_dpp v62, v63 row_shr:4 row_mask:0xf bank_mask:0xf
	s_delay_alu instid0(VALU_DEP_3) | instskip(NEXT) | instid1(VALU_DEP_3)
	v_mov_b32_dpp v64, v59 row_shr:4 row_mask:0xf bank_mask:0xf
	v_mov_b32_dpp v65, v60 row_shr:4 row_mask:0xf bank_mask:0xf
	s_mov_b32 s14, exec_lo
	v_cmpx_lt_u32_e32 3, v61
	;; [unrolled: 17-line block ×3, first 2 shown]
; %bb.166:
	v_cmp_eq_u32_e64 s13, 0, v63
	v_add_nc_u32_e32 v63, v62, v63
	s_delay_alu instid0(VALU_DEP_2) | instskip(SKIP_1) | instid1(VALU_DEP_2)
	v_cndmask_b32_e64 v64, 0, v64, s13
	v_cndmask_b32_e64 v61, 0, v65, s13
	v_add_co_u32 v59, s13, v64, v59
	s_delay_alu instid0(VALU_DEP_1)
	v_add_co_ci_u32_e64 v60, s13, v61, v60, s13
; %bb.167:
	s_or_b32 exec_lo, exec_lo, s14
	ds_swizzle_b32 v61, v63 offset:swizzle(BROADCAST,32,15)
	ds_swizzle_b32 v62, v59 offset:swizzle(BROADCAST,32,15)
	;; [unrolled: 1-line block ×3, first 2 shown]
	v_and_b32_e32 v65, 16, v115
	s_mov_b32 s14, exec_lo
	s_delay_alu instid0(VALU_DEP_1)
	v_cmpx_ne_u32_e32 0, v65
	s_cbranch_execz .LBB486_169
; %bb.168:
	v_cmp_eq_u32_e64 s13, 0, v63
	s_waitcnt lgkmcnt(2)
	v_add_nc_u32_e32 v63, v61, v63
	s_waitcnt lgkmcnt(1)
	s_delay_alu instid0(VALU_DEP_2) | instskip(SKIP_2) | instid1(VALU_DEP_2)
	v_cndmask_b32_e64 v62, 0, v62, s13
	s_waitcnt lgkmcnt(0)
	v_cndmask_b32_e64 v64, 0, v64, s13
	v_add_co_u32 v59, s13, v62, v59
	s_delay_alu instid0(VALU_DEP_1)
	v_add_co_ci_u32_e64 v60, s13, v64, v60, s13
.LBB486_169:
	s_or_b32 exec_lo, exec_lo, s14
	s_waitcnt lgkmcnt(2)
	v_or_b32_e32 v61, 31, v0
	s_waitcnt lgkmcnt(0)
	v_lshrrev_b32_e32 v64, 5, v0
	s_mov_b32 s14, exec_lo
	s_delay_alu instid0(VALU_DEP_2)
	v_cmpx_eq_u32_e64 v61, v0
	s_cbranch_execz .LBB486_171
; %bb.170:
	s_delay_alu instid0(VALU_DEP_2)
	v_lshlrev_b32_e32 v61, 4, v64
	ds_store_b32 v61, v63 offset:4128
	ds_store_b64 v61, v[59:60] offset:4136
.LBB486_171:
	s_or_b32 exec_lo, exec_lo, s14
	s_delay_alu instid0(SALU_CYCLE_1)
	s_mov_b32 s14, exec_lo
	s_waitcnt vmcnt(0) lgkmcnt(0)
	s_barrier
	buffer_gl0_inv
	v_cmpx_gt_u32_e32 8, v0
	s_cbranch_execz .LBB486_179
; %bb.172:
	v_lshlrev_b32_e32 v65, 4, v0
	v_and_b32_e32 v67, 7, v115
	s_mov_b32 s16, exec_lo
	ds_load_b32 v66, v65 offset:4128
	ds_load_b64 v[61:62], v65 offset:4136
	s_waitcnt lgkmcnt(1)
	v_mov_b32_dpp v68, v66 row_shr:1 row_mask:0xf bank_mask:0xf
	s_waitcnt lgkmcnt(0)
	v_mov_b32_dpp v69, v61 row_shr:1 row_mask:0xf bank_mask:0xf
	v_mov_b32_dpp v70, v62 row_shr:1 row_mask:0xf bank_mask:0xf
	v_cmpx_ne_u32_e32 0, v67
; %bb.173:
	v_cmp_eq_u32_e64 s13, 0, v66
	v_add_nc_u32_e32 v66, v68, v66
	s_delay_alu instid0(VALU_DEP_2) | instskip(SKIP_1) | instid1(VALU_DEP_2)
	v_cndmask_b32_e64 v69, 0, v69, s13
	v_cndmask_b32_e64 v70, 0, v70, s13
	v_add_co_u32 v61, s13, v69, v61
	s_delay_alu instid0(VALU_DEP_1)
	v_add_co_ci_u32_e64 v62, s13, v70, v62, s13
; %bb.174:
	s_or_b32 exec_lo, exec_lo, s16
	v_mov_b32_dpp v68, v66 row_shr:2 row_mask:0xf bank_mask:0xf
	s_delay_alu instid0(VALU_DEP_3) | instskip(NEXT) | instid1(VALU_DEP_3)
	v_mov_b32_dpp v69, v61 row_shr:2 row_mask:0xf bank_mask:0xf
	v_mov_b32_dpp v70, v62 row_shr:2 row_mask:0xf bank_mask:0xf
	s_mov_b32 s16, exec_lo
	v_cmpx_lt_u32_e32 1, v67
; %bb.175:
	v_cmp_eq_u32_e64 s13, 0, v66
	v_add_nc_u32_e32 v66, v68, v66
	s_delay_alu instid0(VALU_DEP_2) | instskip(SKIP_1) | instid1(VALU_DEP_2)
	v_cndmask_b32_e64 v69, 0, v69, s13
	v_cndmask_b32_e64 v70, 0, v70, s13
	v_add_co_u32 v61, s13, v69, v61
	s_delay_alu instid0(VALU_DEP_1)
	v_add_co_ci_u32_e64 v62, s13, v70, v62, s13
; %bb.176:
	s_or_b32 exec_lo, exec_lo, s16
	v_mov_b32_dpp v68, v66 row_shr:4 row_mask:0xf bank_mask:0xf
	s_delay_alu instid0(VALU_DEP_3) | instskip(NEXT) | instid1(VALU_DEP_3)
	v_mov_b32_dpp v69, v61 row_shr:4 row_mask:0xf bank_mask:0xf
	v_mov_b32_dpp v70, v62 row_shr:4 row_mask:0xf bank_mask:0xf
	s_mov_b32 s16, exec_lo
	v_cmpx_lt_u32_e32 3, v67
; %bb.177:
	v_cmp_eq_u32_e64 s13, 0, v66
	v_add_nc_u32_e32 v66, v68, v66
	s_delay_alu instid0(VALU_DEP_2) | instskip(SKIP_1) | instid1(VALU_DEP_2)
	v_cndmask_b32_e64 v69, 0, v69, s13
	v_cndmask_b32_e64 v67, 0, v70, s13
	v_add_co_u32 v61, s13, v69, v61
	s_delay_alu instid0(VALU_DEP_1)
	v_add_co_ci_u32_e64 v62, s13, v67, v62, s13
; %bb.178:
	s_or_b32 exec_lo, exec_lo, s16
	ds_store_b32 v65, v66 offset:4128
	ds_store_b64 v65, v[61:62] offset:4136
.LBB486_179:
	s_or_b32 exec_lo, exec_lo, s14
	v_dual_mov_b32 v65, 0 :: v_dual_mov_b32 v66, 0
	v_dual_mov_b32 v61, v95 :: v_dual_mov_b32 v62, v96
	s_mov_b32 s14, exec_lo
	s_waitcnt lgkmcnt(0)
	s_barrier
	buffer_gl0_inv
	v_cmpx_lt_u32_e32 31, v0
	s_cbranch_execz .LBB486_181
; %bb.180:
	v_lshlrev_b32_e32 v61, 4, v64
	ds_load_b32 v66, v61 offset:4112
	ds_load_b64 v[61:62], v61 offset:4120
	s_waitcnt lgkmcnt(1)
	v_cmp_eq_u32_e64 s13, 0, v66
	s_delay_alu instid0(VALU_DEP_1) | instskip(SKIP_2) | instid1(VALU_DEP_2)
	v_cndmask_b32_e64 v67, 0, v95, s13
	v_cndmask_b32_e64 v64, 0, v96, s13
	s_waitcnt lgkmcnt(0)
	v_add_co_u32 v61, s13, v67, v61
	s_delay_alu instid0(VALU_DEP_1)
	v_add_co_ci_u32_e64 v62, s13, v64, v62, s13
.LBB486_181:
	s_or_b32 exec_lo, exec_lo, s14
	v_add_nc_u32_e32 v64, -1, v115
	v_cmp_eq_u32_e64 s13, 0, v63
	v_add_nc_u32_e32 v63, v66, v63
	s_delay_alu instid0(VALU_DEP_3) | instskip(NEXT) | instid1(VALU_DEP_3)
	v_cmp_gt_i32_e64 s14, 0, v64
	v_cndmask_b32_e64 v68, 0, v61, s13
	v_cndmask_b32_e64 v67, 0, v62, s13
	s_delay_alu instid0(VALU_DEP_3) | instskip(NEXT) | instid1(VALU_DEP_3)
	v_cndmask_b32_e64 v64, v64, v115, s14
	v_add_co_u32 v59, s13, v68, v59
	s_delay_alu instid0(VALU_DEP_1) | instskip(NEXT) | instid1(VALU_DEP_3)
	v_add_co_ci_u32_e64 v60, s13, v67, v60, s13
	v_lshlrev_b32_e32 v64, 2, v64
	v_cmp_eq_u32_e64 s13, 0, v115
	ds_bpermute_b32 v59, v64, v59
	ds_bpermute_b32 v60, v64, v60
	;; [unrolled: 1-line block ×3, first 2 shown]
	s_waitcnt lgkmcnt(2)
	v_cndmask_b32_e64 v79, v59, v61, s13
	s_waitcnt lgkmcnt(1)
	v_cndmask_b32_e64 v80, v60, v62, s13
	;; [unrolled: 2-line block ×3, first 2 shown]
	v_cmp_eq_u32_e64 s13, 0, v113
	ds_load_b32 v61, v65 offset:4240
	v_cndmask_b32_e64 v59, v79, v95, s2
	v_cndmask_b32_e64 v60, v80, v96, s2
	s_delay_alu instid0(VALU_DEP_2) | instskip(NEXT) | instid1(VALU_DEP_2)
	v_cndmask_b32_e64 v59, 0, v59, s13
	v_cndmask_b32_e64 v60, 0, v60, s13
	s_delay_alu instid0(VALU_DEP_2) | instskip(NEXT) | instid1(VALU_DEP_1)
	v_add_co_u32 v75, s13, v59, v53
	v_add_co_ci_u32_e64 v76, s13, v60, v54, s13
	s_delay_alu instid0(VALU_DEP_2) | instskip(NEXT) | instid1(VALU_DEP_2)
	v_cndmask_b32_e64 v53, 0, v75, s12
	v_cndmask_b32_e64 v54, 0, v76, s12
	s_delay_alu instid0(VALU_DEP_2) | instskip(NEXT) | instid1(VALU_DEP_1)
	v_add_co_u32 v81, s12, v53, v55
	v_add_co_ci_u32_e64 v82, s12, v54, v56, s12
	;; [unrolled: 6-line block ×11, first 2 shown]
	ds_load_b64 v[33:34], v65 offset:4248
	v_dual_cndmask_b32 v37, 0, v89 :: v_dual_cndmask_b32 v38, 0, v90
	s_delay_alu instid0(VALU_DEP_1) | instskip(NEXT) | instid1(VALU_DEP_2)
	v_add_co_u32 v91, vcc_lo, v37, v35
	v_add_co_ci_u32_e32 v92, vcc_lo, v38, v36, vcc_lo
	s_waitcnt lgkmcnt(1)
	v_cmp_eq_u32_e32 vcc_lo, 0, v61
	s_delay_alu instid0(VALU_DEP_3) | instskip(NEXT) | instid1(VALU_DEP_3)
	v_cndmask_b32_e64 v35, 0, v91, s1
	v_cndmask_b32_e64 v36, 0, v92, s1
	s_delay_alu instid0(VALU_DEP_2) | instskip(NEXT) | instid1(VALU_DEP_1)
	v_add_co_u32 v93, s1, v35, v29
	v_add_co_ci_u32_e64 v94, s1, v36, v30, s1
	v_dual_cndmask_b32 v29, 0, v96 :: v_dual_cndmask_b32 v30, 0, v95
	s_delay_alu instid0(VALU_DEP_3) | instskip(NEXT) | instid1(VALU_DEP_3)
	v_cndmask_b32_e64 v97, 0, v93, s0
	v_cndmask_b32_e64 v98, 0, v94, s0
	s_waitcnt lgkmcnt(0)
	s_delay_alu instid0(VALU_DEP_3)
	v_add_co_u32 v63, vcc_lo, v30, v33
	v_add_co_ci_u32_e32 v64, vcc_lo, v29, v34, vcc_lo
	s_and_saveexec_b32 s0, s2
	s_cbranch_execz .LBB486_183
; %bb.182:
	v_dual_mov_b32 v114, 0 :: v_dual_mov_b32 v29, 2
	v_dual_mov_b32 v79, v95 :: v_dual_mov_b32 v80, v96
	s_clause 0x1
	global_store_b32 v114, v61, s[38:39] offset:512
	global_store_b64 v114, v[63:64], s[38:39] offset:520
	s_waitcnt_vscnt null, 0x0
	buffer_gl1_inv
	buffer_gl0_inv
	global_store_b8 v114, v29, s[40:41] offset:32
.LBB486_183:
	s_or_b32 exec_lo, exec_lo, s0
	v_mov_b32_e32 v65, 0
.LBB486_184:
	v_mov_b32_e32 v29, 0
	s_and_b32 s0, s15, exec_lo
	v_mov_b32_e32 v30, 0
	s_cselect_b32 s1, 0, s51
	s_cselect_b32 s0, 0, s50
	s_waitcnt lgkmcnt(0)
	s_waitcnt_vscnt null, 0x0
	s_cmp_eq_u64 s[0:1], 0
	s_barrier
	buffer_gl0_inv
	s_cbranch_scc1 .LBB486_186
; %bb.185:
	v_mov_b32_e32 v29, 0
	global_load_b64 v[29:30], v29, s[0:1]
.LBB486_186:
	v_cmp_eq_u32_e32 vcc_lo, 0, v113
	v_add_nc_u32_e32 v48, v114, v113
	v_cmp_ne_u32_e64 s13, 0, v113
	v_cmp_ne_u32_e64 s12, 0, v112
	;; [unrolled: 1-line block ×3, first 2 shown]
	v_cndmask_b32_e64 v33, 1, 2, vcc_lo
	v_cmp_eq_u32_e32 vcc_lo, 0, v112
	v_add_nc_u32_e32 v50, v48, v112
	v_cmp_ne_u32_e64 s9, 0, v110
	v_cmp_ne_u32_e64 s15, 0, v109
	;; [unrolled: 1-line block ×3, first 2 shown]
	v_cndmask_b32_e64 v34, 1, 2, vcc_lo
	v_cmp_eq_u32_e32 vcc_lo, 0, v111
	v_add_nc_u32_e32 v49, v50, v111
	v_cmp_ne_u32_e64 s11, 0, v107
	s_delay_alu instid0(VALU_DEP_4)
	v_dual_mov_b32 v66, 0 :: v_dual_and_b32 v33, v34, v33
	v_cndmask_b32_e64 v35, 1, 2, vcc_lo
	v_cmp_eq_u32_e32 vcc_lo, 0, v110
	v_add_nc_u32_e32 v47, v49, v110
	v_cmp_ne_u32_e64 s8, 0, v106
	v_cmp_ne_u32_e64 s7, 0, v104
	v_and_b32_e32 v35, v33, v35
	v_cndmask_b32_e64 v36, 1, 2, vcc_lo
	v_cmp_eq_u32_e32 vcc_lo, 0, v109
	v_add_nc_u32_e32 v46, v47, v109
	s_waitcnt vmcnt(0)
	v_lshlrev_b64 v[33:34], 3, v[29:30]
	v_cmp_ne_u32_e64 s6, 0, v103
	v_and_b32_e32 v35, v35, v36
	v_cndmask_b32_e64 v37, 1, 2, vcc_lo
	v_cmp_eq_u32_e32 vcc_lo, 0, v108
	v_add_nc_u32_e32 v45, v46, v108
	v_cmp_ne_u32_e64 s5, 0, v102
	v_cmp_ne_u32_e64 s4, 0, v101
	v_and_b32_e32 v35, v35, v37
	v_cndmask_b32_e64 v36, 1, 2, vcc_lo
	v_cmp_eq_u32_e32 vcc_lo, 0, v107
	v_add_nc_u32_e32 v44, v45, v107
	v_cmp_ne_u32_e64 s3, 0, v100
	v_cmp_ne_u32_e64 s1, 0, v99
	v_and_b32_e32 v35, v35, v36
	v_cndmask_b32_e64 v37, 1, 2, vcc_lo
	v_cmp_eq_u32_e32 vcc_lo, 0, v106
	v_add_nc_u32_e32 v43, v44, v106
	v_cmp_ne_u32_e64 s0, 0, v105
	s_mov_b32 s17, -1
	v_and_b32_e32 v35, v35, v37
	v_cndmask_b32_e64 v36, 1, 2, vcc_lo
	v_cmp_eq_u32_e32 vcc_lo, 0, v104
	v_add_nc_u32_e32 v42, v43, v104
	s_delay_alu instid0(VALU_DEP_3) | instskip(SKIP_2) | instid1(VALU_DEP_4)
	v_and_b32_e32 v35, v35, v36
	v_cndmask_b32_e64 v37, 1, 2, vcc_lo
	v_cmp_eq_u32_e32 vcc_lo, 0, v103
	v_add_nc_u32_e32 v41, v42, v103
	s_delay_alu instid0(VALU_DEP_3) | instskip(SKIP_2) | instid1(VALU_DEP_4)
	v_and_b32_e32 v35, v35, v37
	v_cndmask_b32_e64 v36, 1, 2, vcc_lo
	v_cmp_eq_u32_e32 vcc_lo, 0, v102
	v_add_nc_u32_e32 v40, v41, v102
	s_delay_alu instid0(VALU_DEP_3) | instskip(SKIP_3) | instid1(VALU_DEP_3)
	v_and_b32_e32 v39, v35, v36
	v_cndmask_b32_e64 v37, 1, 2, vcc_lo
	v_cmp_eq_u32_e32 vcc_lo, 0, v101
	v_lshlrev_b64 v[35:36], 3, v[65:66]
	v_and_b32_e32 v37, v39, v37
	v_cndmask_b32_e64 v38, 1, 2, vcc_lo
	v_cmp_eq_u32_e32 vcc_lo, 0, v100
	v_add_nc_u32_e32 v39, v40, v101
	s_delay_alu instid0(VALU_DEP_3) | instskip(SKIP_3) | instid1(VALU_DEP_3)
	v_and_b32_e32 v54, v37, v38
	v_cndmask_b32_e64 v53, 1, 2, vcc_lo
	v_add_co_u32 v51, vcc_lo, s26, v33
	v_add_co_ci_u32_e32 v52, vcc_lo, s27, v34, vcc_lo
	v_and_b32_e32 v53, v54, v53
	s_delay_alu instid0(VALU_DEP_3) | instskip(NEXT) | instid1(VALU_DEP_3)
	v_add_co_u32 v51, vcc_lo, v51, v35
	v_add_co_ci_u32_e32 v52, vcc_lo, v52, v36, vcc_lo
	v_cmp_eq_u32_e32 vcc_lo, 0, v99
	v_add_nc_u32_e32 v38, v39, v100
	v_cndmask_b32_e64 v54, 1, 2, vcc_lo
	v_cmp_eq_u32_e32 vcc_lo, 0, v105
	s_delay_alu instid0(VALU_DEP_3) | instskip(NEXT) | instid1(VALU_DEP_3)
	v_add_nc_u32_e32 v37, v38, v99
	v_and_b32_e32 v53, v53, v54
	v_cndmask_b32_e64 v54, 1, 2, vcc_lo
	v_cmp_gt_u32_e32 vcc_lo, 0x100, v61
	s_delay_alu instid0(VALU_DEP_2) | instskip(NEXT) | instid1(VALU_DEP_1)
	v_and_b32_e32 v53, v53, v54
	v_cmp_gt_i16_e64 s16, 2, v53
	s_cbranch_vccz .LBB486_193
; %bb.187:
	s_delay_alu instid0(VALU_DEP_1)
	s_and_saveexec_b32 s17, s16
	s_cbranch_execz .LBB486_192
; %bb.188:
	s_mov_b32 s18, 0
	s_mov_b32 s16, exec_lo
	v_cmpx_ne_u16_e32 1, v53
	s_xor_b32 s16, exec_lo, s16
	s_cbranch_execnz .LBB486_225
; %bb.189:
	s_and_not1_saveexec_b32 s16, s16
	s_cbranch_execnz .LBB486_241
.LBB486_190:
	s_or_b32 exec_lo, exec_lo, s16
	s_delay_alu instid0(SALU_CYCLE_1)
	s_and_b32 exec_lo, exec_lo, s18
	s_cbranch_execz .LBB486_192
.LBB486_191:
	v_sub_nc_u32_e32 v54, v37, v65
	v_mov_b32_e32 v55, 0
	s_delay_alu instid0(VALU_DEP_1) | instskip(NEXT) | instid1(VALU_DEP_1)
	v_lshlrev_b64 v[54:55], 3, v[54:55]
	v_add_co_u32 v54, vcc_lo, v51, v54
	s_delay_alu instid0(VALU_DEP_2)
	v_add_co_ci_u32_e32 v55, vcc_lo, v52, v55, vcc_lo
	global_store_b64 v[54:55], v[57:58], off
.LBB486_192:
	s_or_b32 exec_lo, exec_lo, s17
	s_mov_b32 s17, 0
.LBB486_193:
	s_delay_alu instid0(SALU_CYCLE_1)
	s_and_b32 vcc_lo, exec_lo, s17
	s_cbranch_vccz .LBB486_203
; %bb.194:
	s_mov_b32 s16, exec_lo
	v_cmpx_gt_i16_e32 2, v53
	s_cbranch_execz .LBB486_199
; %bb.195:
	s_mov_b32 s18, 0
	s_mov_b32 s17, exec_lo
	v_cmpx_ne_u16_e32 1, v53
	s_xor_b32 s17, exec_lo, s17
	s_cbranch_execnz .LBB486_242
; %bb.196:
	s_and_not1_saveexec_b32 s0, s17
	s_cbranch_execnz .LBB486_258
.LBB486_197:
	s_or_b32 exec_lo, exec_lo, s0
	s_delay_alu instid0(SALU_CYCLE_1)
	s_and_b32 exec_lo, exec_lo, s18
	s_cbranch_execz .LBB486_199
.LBB486_198:
	v_sub_nc_u32_e32 v1, v37, v65
	s_delay_alu instid0(VALU_DEP_1)
	v_lshlrev_b32_e32 v1, 3, v1
	ds_store_b64 v1, v[57:58]
.LBB486_199:
	s_or_b32 exec_lo, exec_lo, s16
	s_delay_alu instid0(SALU_CYCLE_1)
	s_mov_b32 s1, exec_lo
	s_waitcnt lgkmcnt(0)
	s_waitcnt_vscnt null, 0x0
	s_barrier
	buffer_gl0_inv
	v_cmpx_lt_u32_e64 v0, v61
	s_cbranch_execz .LBB486_202
; %bb.200:
	v_dual_mov_b32 v2, 0 :: v_dual_lshlrev_b32 v3, 3, v0
	v_mov_b32_e32 v1, v0
	s_mov_b32 s3, 0
	.p2align	6
.LBB486_201:                            ; =>This Inner Loop Header: Depth=1
	ds_load_b64 v[4:5], v3
	v_lshlrev_b64 v[6:7], 3, v[1:2]
	v_add_nc_u32_e32 v1, 0x100, v1
	v_add_nc_u32_e32 v3, 0x800, v3
	s_delay_alu instid0(VALU_DEP_2) | instskip(NEXT) | instid1(VALU_DEP_4)
	v_cmp_ge_u32_e32 vcc_lo, v1, v61
	v_add_co_u32 v6, s0, v51, v6
	s_delay_alu instid0(VALU_DEP_1)
	v_add_co_ci_u32_e64 v7, s0, v52, v7, s0
	s_or_b32 s3, vcc_lo, s3
	s_waitcnt lgkmcnt(0)
	global_store_b64 v[6:7], v[4:5], off
	s_and_not1_b32 exec_lo, exec_lo, s3
	s_cbranch_execnz .LBB486_201
.LBB486_202:
	s_or_b32 exec_lo, exec_lo, s1
.LBB486_203:
	s_cmpk_lg_i32 s44, 0xf00
	v_cndmask_b32_e64 v8, 0, 1, s45
	s_cselect_b32 s0, -1, 0
	v_mad_i32_i24 v5, v0, -15, s44
	s_and_b32 s0, s0, s33
	v_add_co_u32 v1, vcc_lo, v97, v31
	v_cndmask_b32_e64 v4, 0, 1, s0
	s_mul_hi_u32 s0, s44, 0x88888889
	s_and_b32 s1, s2, s45
	s_lshr_b32 s0, s0, 3
	v_add_co_ci_u32_e32 v2, vcc_lo, v98, v32, vcc_lo
	v_sub_nc_u32_e32 v3, v61, v8
	v_cndmask_b32_e64 v6, v113, 0, s1
	v_cmp_eq_u32_e32 vcc_lo, s0, v0
	v_cmp_ne_u32_e64 s0, 0, v5
	s_mov_b32 s16, -1
	s_waitcnt_vscnt null, 0x0
	s_barrier
	s_and_b32 vcc_lo, vcc_lo, s33
	v_add_nc_u32_e32 v3, v3, v4
	v_cndmask_b32_e64 v4, 1, v6, s0
	v_cmp_ne_u32_e64 s0, 1, v5
	buffer_gl0_inv
	v_cndmask_b32_e64 v7, 1, v112, s0
	v_cmp_ne_u32_e64 s0, 14, v5
	s_delay_alu instid0(VALU_DEP_1) | instskip(SKIP_1) | instid1(VALU_DEP_2)
	v_cndmask_b32_e64 v9, 1, v105, s0
	v_cmp_ne_u32_e64 s0, 2, v5
	v_cndmask_b32_e32 v12, v105, v9, vcc_lo
	s_delay_alu instid0(VALU_DEP_2) | instskip(SKIP_1) | instid1(VALU_DEP_2)
	v_cndmask_b32_e64 v10, 1, v111, s0
	v_cmp_ne_u32_e64 s0, 3, v5
	v_dual_cndmask_b32 v9, v6, v4 :: v_dual_cndmask_b32 v10, v111, v10
	s_delay_alu instid0(VALU_DEP_2) | instskip(SKIP_1) | instid1(VALU_DEP_3)
	v_cndmask_b32_e64 v11, 1, v110, s0
	v_cmp_ne_u32_e64 s0, 4, v5
	v_cmp_ne_u32_e64 s14, 0, v9
	s_delay_alu instid0(VALU_DEP_4) | instskip(NEXT) | instid1(VALU_DEP_3)
	v_cmp_ne_u32_e64 s12, 0, v10
	v_cndmask_b32_e64 v4, 1, v109, s0
	v_cmp_ne_u32_e64 s0, 5, v5
	s_delay_alu instid0(VALU_DEP_2) | instskip(NEXT) | instid1(VALU_DEP_2)
	v_dual_cndmask_b32 v13, v112, v7 :: v_dual_cndmask_b32 v18, v109, v4
	v_cndmask_b32_e64 v6, 1, v108, s0
	v_cmp_eq_u32_e64 s0, 0, v9
	s_delay_alu instid0(VALU_DEP_3) | instskip(NEXT) | instid1(VALU_DEP_4)
	v_cmp_ne_u32_e64 s13, 0, v13
	v_cmp_ne_u32_e64 s10, 0, v18
	s_delay_alu instid0(VALU_DEP_4) | instskip(NEXT) | instid1(VALU_DEP_4)
	v_cndmask_b32_e32 v19, v108, v6, vcc_lo
	v_cndmask_b32_e64 v7, 1, 2, s0
	v_cmp_eq_u32_e64 s0, 0, v13
	s_delay_alu instid0(VALU_DEP_1) | instskip(SKIP_1) | instid1(VALU_DEP_2)
	v_cndmask_b32_e64 v14, 1, 2, s0
	v_cmp_ne_u32_e64 s0, 6, v5
	v_and_b32_e32 v7, v14, v7
	s_delay_alu instid0(VALU_DEP_2) | instskip(SKIP_1) | instid1(VALU_DEP_2)
	v_cndmask_b32_e64 v15, 1, v107, s0
	v_cmp_eq_u32_e64 s0, 0, v10
	v_cndmask_b32_e32 v15, v107, v15, vcc_lo
	s_delay_alu instid0(VALU_DEP_2) | instskip(SKIP_1) | instid1(VALU_DEP_1)
	v_cndmask_b32_e64 v14, 1, 2, s0
	v_cmp_ne_u32_e64 s0, 7, v5
	v_cndmask_b32_e64 v16, 1, v106, s0
	v_cmp_ne_u32_e64 s0, 8, v5
	s_delay_alu instid0(VALU_DEP_2) | instskip(SKIP_1) | instid1(VALU_DEP_3)
	v_dual_cndmask_b32 v16, v106, v16 :: v_dual_and_b32 v7, v7, v14
	v_cndmask_b32_e32 v11, v110, v11, vcc_lo
	v_cndmask_b32_e64 v17, 1, v104, s0
	s_delay_alu instid0(VALU_DEP_3) | instskip(NEXT) | instid1(VALU_DEP_3)
	v_cmp_ne_u32_e64 s7, 0, v16
	v_cmp_eq_u32_e64 s0, 0, v11
	s_delay_alu instid0(VALU_DEP_3) | instskip(NEXT) | instid1(VALU_DEP_2)
	v_cndmask_b32_e32 v17, v104, v17, vcc_lo
	v_cndmask_b32_e64 v14, 1, 2, s0
	v_cmp_ne_u32_e64 s0, 9, v5
	s_delay_alu instid0(VALU_DEP_3) | instskip(NEXT) | instid1(VALU_DEP_3)
	v_cmp_ne_u32_e64 s6, 0, v17
	v_and_b32_e32 v6, v7, v14
	s_delay_alu instid0(VALU_DEP_3) | instskip(SKIP_2) | instid1(VALU_DEP_3)
	v_cndmask_b32_e64 v4, 1, v103, s0
	v_cmp_eq_u32_e64 s0, 0, v18
	v_cmp_ne_u32_e64 s11, 0, v11
	v_cndmask_b32_e32 v23, v103, v4, vcc_lo
	s_delay_alu instid0(VALU_DEP_3) | instskip(SKIP_1) | instid1(VALU_DEP_3)
	v_cndmask_b32_e64 v7, 1, 2, s0
	v_cmp_ne_u32_e64 s0, 10, v5
	v_cmp_ne_u32_e64 s5, 0, v23
	s_delay_alu instid0(VALU_DEP_3) | instskip(NEXT) | instid1(VALU_DEP_3)
	v_and_b32_e32 v6, v6, v7
	v_cndmask_b32_e64 v14, 1, v102, s0
	v_cmp_ne_u32_e64 s0, 12, v5
	v_cmp_ne_u32_e64 s9, 0, v19
	s_delay_alu instid0(VALU_DEP_3) | instskip(NEXT) | instid1(VALU_DEP_3)
	v_cndmask_b32_e32 v14, v102, v14, vcc_lo
	v_cndmask_b32_e64 v20, 1, v100, s0
	v_cmp_eq_u32_e64 s0, 0, v19
	s_delay_alu instid0(VALU_DEP_3) | instskip(NEXT) | instid1(VALU_DEP_3)
	v_cmp_ne_u32_e64 s4, 0, v14
	v_cndmask_b32_e32 v20, v100, v20, vcc_lo
	s_delay_alu instid0(VALU_DEP_3) | instskip(SKIP_1) | instid1(VALU_DEP_3)
	v_cndmask_b32_e64 v7, 1, 2, s0
	v_cmp_ne_u32_e64 s0, 13, v5
	v_cmp_ne_u32_e64 s2, 0, v20
	s_delay_alu instid0(VALU_DEP_2) | instskip(SKIP_1) | instid1(VALU_DEP_2)
	v_cndmask_b32_e64 v21, 1, v99, s0
	v_cmp_eq_u32_e64 s0, 0, v15
	v_dual_cndmask_b32 v21, v99, v21 :: v_dual_and_b32 v6, v6, v7
	s_delay_alu instid0(VALU_DEP_2) | instskip(SKIP_1) | instid1(VALU_DEP_3)
	v_cndmask_b32_e64 v7, 1, 2, s0
	v_cmp_ne_u32_e64 s0, 11, v5
	v_cmp_ne_u32_e64 s1, 0, v21
	s_delay_alu instid0(VALU_DEP_3) | instskip(NEXT) | instid1(VALU_DEP_3)
	v_and_b32_e32 v6, v6, v7
	v_cndmask_b32_e64 v5, 1, v101, s0
	v_cmp_eq_u32_e64 s0, 0, v16
	s_delay_alu instid0(VALU_DEP_2) | instskip(NEXT) | instid1(VALU_DEP_2)
	v_cndmask_b32_e32 v22, v101, v5, vcc_lo
	v_cndmask_b32_e64 v7, 1, 2, s0
	v_cmp_eq_u32_e32 vcc_lo, 0, v17
	v_cmp_ne_u32_e64 s8, 0, v15
	v_cmp_ne_u32_e64 s0, 0, v12
	;; [unrolled: 1-line block ×3, first 2 shown]
	v_and_b32_e32 v4, v6, v7
	v_cndmask_b32_e64 v5, 1, 2, vcc_lo
	v_add_co_u32 v6, vcc_lo, s28, v33
	v_add_co_ci_u32_e32 v7, vcc_lo, s29, v34, vcc_lo
	v_cmp_eq_u32_e32 vcc_lo, 0, v23
	s_delay_alu instid0(VALU_DEP_4)
	v_and_b32_e32 v24, v4, v5
	v_cndmask_b32_e64 v25, 1, 2, vcc_lo
	v_add_co_u32 v4, vcc_lo, v6, v35
	v_add_co_ci_u32_e32 v5, vcc_lo, v7, v36, vcc_lo
	v_lshlrev_b32_e32 v6, 3, v8
	v_cmp_eq_u32_e32 vcc_lo, 0, v14
	v_and_b32_e32 v7, v24, v25
	v_add_nc_u32_e32 v8, v65, v8
	v_cndmask_b32_e64 v24, 1, 2, vcc_lo
	v_add_co_u32 v6, vcc_lo, v6, v4
	v_add_co_ci_u32_e32 v25, vcc_lo, 0, v5, vcc_lo
	v_cmp_eq_u32_e32 vcc_lo, 0, v22
	s_delay_alu instid0(VALU_DEP_4) | instskip(SKIP_4) | instid1(VALU_DEP_4)
	v_and_b32_e32 v24, v7, v24
	v_cndmask_b32_e64 v26, 1, 2, vcc_lo
	v_add_co_u32 v6, vcc_lo, v6, -8
	v_add_co_ci_u32_e32 v7, vcc_lo, -1, v25, vcc_lo
	v_cmp_eq_u32_e32 vcc_lo, 0, v20
	v_and_b32_e32 v24, v24, v26
	v_cndmask_b32_e64 v25, 1, 2, vcc_lo
	v_cmp_eq_u32_e32 vcc_lo, 0, v21
	s_delay_alu instid0(VALU_DEP_2) | instskip(SKIP_2) | instid1(VALU_DEP_2)
	v_and_b32_e32 v9, v24, v25
	v_cndmask_b32_e64 v10, 1, 2, vcc_lo
	v_cmp_eq_u32_e32 vcc_lo, 0, v12
	v_and_b32_e32 v9, v9, v10
	v_cndmask_b32_e64 v10, 1, 2, vcc_lo
	v_cmp_gt_u32_e32 vcc_lo, 0x100, v3
	s_delay_alu instid0(VALU_DEP_2) | instskip(NEXT) | instid1(VALU_DEP_1)
	v_and_b32_e32 v9, v9, v10
	v_cmp_gt_i16_e64 s15, 2, v9
	s_cbranch_vccnz .LBB486_207
; %bb.204:
	s_and_b32 vcc_lo, exec_lo, s16
	s_cbranch_vccnz .LBB486_213
.LBB486_205:
	v_cmp_eq_u32_e32 vcc_lo, 0xff, v0
	s_and_b32 s0, vcc_lo, s33
	s_delay_alu instid0(SALU_CYCLE_1)
	s_and_saveexec_b32 s1, s0
	s_cbranch_execnz .LBB486_222
.LBB486_206:
	s_nop 0
	s_sendmsg sendmsg(MSG_DEALLOC_VGPRS)
	s_endpgm
.LBB486_207:
	s_delay_alu instid0(VALU_DEP_1)
	s_and_saveexec_b32 s16, s15
	s_cbranch_execz .LBB486_212
; %bb.208:
	s_mov_b32 s17, 0
	s_mov_b32 s15, exec_lo
	v_cmpx_ne_u16_e32 1, v9
	s_xor_b32 s15, exec_lo, s15
	s_cbranch_execnz .LBB486_259
; %bb.209:
	s_and_not1_saveexec_b32 s15, s15
	s_cbranch_execnz .LBB486_275
.LBB486_210:
	s_or_b32 exec_lo, exec_lo, s15
	s_delay_alu instid0(SALU_CYCLE_1)
	s_and_b32 exec_lo, exec_lo, s17
	s_cbranch_execz .LBB486_212
.LBB486_211:
	v_sub_nc_u32_e32 v10, v37, v8
	v_mov_b32_e32 v11, 0
	s_delay_alu instid0(VALU_DEP_1) | instskip(NEXT) | instid1(VALU_DEP_1)
	v_lshlrev_b64 v[10:11], 3, v[10:11]
	v_add_co_u32 v10, vcc_lo, v6, v10
	s_delay_alu instid0(VALU_DEP_2)
	v_add_co_ci_u32_e32 v11, vcc_lo, v7, v11, vcc_lo
	global_store_b64 v[10:11], v[1:2], off
.LBB486_212:
	s_or_b32 exec_lo, exec_lo, s16
	s_branch .LBB486_205
.LBB486_213:
	s_mov_b32 s15, exec_lo
	v_cmpx_gt_i16_e32 2, v9
	s_cbranch_execz .LBB486_218
; %bb.214:
	s_mov_b32 s17, 0
	s_mov_b32 s16, exec_lo
	v_cmpx_ne_u16_e32 1, v9
	s_xor_b32 s16, exec_lo, s16
	s_cbranch_execnz .LBB486_276
; %bb.215:
	s_and_not1_saveexec_b32 s0, s16
	s_cbranch_execnz .LBB486_292
.LBB486_216:
	s_or_b32 exec_lo, exec_lo, s0
	s_delay_alu instid0(SALU_CYCLE_1)
	s_and_b32 exec_lo, exec_lo, s17
	s_cbranch_execz .LBB486_218
.LBB486_217:
	v_sub_nc_u32_e32 v8, v37, v8
	s_delay_alu instid0(VALU_DEP_1)
	v_lshlrev_b32_e32 v8, 3, v8
	ds_store_b64 v8, v[1:2]
.LBB486_218:
	s_or_b32 exec_lo, exec_lo, s15
	s_delay_alu instid0(SALU_CYCLE_1)
	s_mov_b32 s1, exec_lo
	s_waitcnt lgkmcnt(0)
	s_waitcnt_vscnt null, 0x0
	s_barrier
	buffer_gl0_inv
	v_cmpx_lt_u32_e64 v0, v3
	s_cbranch_execz .LBB486_221
; %bb.219:
	v_dual_mov_b32 v1, v0 :: v_dual_lshlrev_b32 v8, 3, v0
	v_mov_b32_e32 v2, 0
	s_mov_b32 s2, 0
	.p2align	6
.LBB486_220:                            ; =>This Inner Loop Header: Depth=1
	ds_load_b64 v[9:10], v8
	v_lshlrev_b64 v[11:12], 3, v[1:2]
	v_add_nc_u32_e32 v1, 0x100, v1
	v_add_nc_u32_e32 v8, 0x800, v8
	s_delay_alu instid0(VALU_DEP_2) | instskip(NEXT) | instid1(VALU_DEP_4)
	v_cmp_ge_u32_e32 vcc_lo, v1, v3
	v_add_co_u32 v11, s0, v6, v11
	s_delay_alu instid0(VALU_DEP_1)
	v_add_co_ci_u32_e64 v12, s0, v7, v12, s0
	s_or_b32 s2, vcc_lo, s2
	s_waitcnt lgkmcnt(0)
	global_store_b64 v[11:12], v[9:10], off
	s_and_not1_b32 exec_lo, exec_lo, s2
	s_cbranch_execnz .LBB486_220
.LBB486_221:
	s_or_b32 exec_lo, exec_lo, s1
	v_cmp_eq_u32_e32 vcc_lo, 0xff, v0
	s_and_b32 s0, vcc_lo, s33
	s_delay_alu instid0(SALU_CYCLE_1)
	s_and_saveexec_b32 s1, s0
	s_cbranch_execz .LBB486_206
.LBB486_222:
	v_add_co_u32 v0, s0, v61, v65
	s_delay_alu instid0(VALU_DEP_1) | instskip(SKIP_1) | instid1(VALU_DEP_3)
	v_add_co_ci_u32_e64 v1, null, 0, 0, s0
	v_mov_b32_e32 v62, 0
	v_add_co_u32 v0, vcc_lo, v0, v29
	s_delay_alu instid0(VALU_DEP_3)
	v_add_co_ci_u32_e32 v1, vcc_lo, v1, v30, vcc_lo
	s_cmpk_lg_i32 s44, 0xf00
	global_store_b64 v62, v[0:1], s[30:31]
	s_cbranch_scc1 .LBB486_206
; %bb.223:
	v_lshlrev_b64 v[0:1], 3, v[61:62]
	s_delay_alu instid0(VALU_DEP_1) | instskip(NEXT) | instid1(VALU_DEP_2)
	v_add_co_u32 v0, vcc_lo, v4, v0
	v_add_co_ci_u32_e32 v1, vcc_lo, v5, v1, vcc_lo
	global_store_b64 v[0:1], v[63:64], off offset:-8
	s_nop 0
	s_sendmsg sendmsg(MSG_DEALLOC_VGPRS)
	s_endpgm
.LBB486_224:
	s_or_b32 exec_lo, exec_lo, s4
	v_mov_b32_e32 v113, s1
	s_and_saveexec_b32 s1, s46
	s_cbranch_execnz .LBB486_88
	s_branch .LBB486_89
.LBB486_225:
	s_and_saveexec_b32 s18, s13
	s_cbranch_execnz .LBB486_293
; %bb.226:
	s_or_b32 exec_lo, exec_lo, s18
	s_and_saveexec_b32 s18, s12
	s_cbranch_execnz .LBB486_294
.LBB486_227:
	s_or_b32 exec_lo, exec_lo, s18
	s_and_saveexec_b32 s18, s10
	s_cbranch_execnz .LBB486_295
.LBB486_228:
	s_or_b32 exec_lo, exec_lo, s18
	s_and_saveexec_b32 s18, s9
	s_cbranch_execnz .LBB486_296
.LBB486_229:
	s_or_b32 exec_lo, exec_lo, s18
	s_and_saveexec_b32 s18, s15
	s_cbranch_execnz .LBB486_297
.LBB486_230:
	s_or_b32 exec_lo, exec_lo, s18
	s_and_saveexec_b32 s18, s14
	s_cbranch_execnz .LBB486_298
.LBB486_231:
	s_or_b32 exec_lo, exec_lo, s18
	s_and_saveexec_b32 s18, s11
	s_cbranch_execnz .LBB486_299
.LBB486_232:
	s_or_b32 exec_lo, exec_lo, s18
	s_and_saveexec_b32 s18, s8
	s_cbranch_execnz .LBB486_300
.LBB486_233:
	s_or_b32 exec_lo, exec_lo, s18
	s_and_saveexec_b32 s18, s7
	s_cbranch_execnz .LBB486_301
.LBB486_234:
	s_or_b32 exec_lo, exec_lo, s18
	s_and_saveexec_b32 s18, s6
	s_cbranch_execnz .LBB486_302
.LBB486_235:
	s_or_b32 exec_lo, exec_lo, s18
	s_and_saveexec_b32 s18, s5
	s_cbranch_execnz .LBB486_303
.LBB486_236:
	s_or_b32 exec_lo, exec_lo, s18
	s_and_saveexec_b32 s18, s4
	s_cbranch_execnz .LBB486_304
.LBB486_237:
	s_or_b32 exec_lo, exec_lo, s18
	s_and_saveexec_b32 s18, s3
	s_cbranch_execnz .LBB486_305
.LBB486_238:
	s_or_b32 exec_lo, exec_lo, s18
	s_and_saveexec_b32 s18, s1
	s_cbranch_execz .LBB486_240
.LBB486_239:
	v_sub_nc_u32_e32 v54, v38, v65
	v_mov_b32_e32 v55, 0
	s_delay_alu instid0(VALU_DEP_1) | instskip(NEXT) | instid1(VALU_DEP_1)
	v_lshlrev_b64 v[54:55], 3, v[54:55]
	v_add_co_u32 v54, vcc_lo, v51, v54
	s_delay_alu instid0(VALU_DEP_2)
	v_add_co_ci_u32_e32 v55, vcc_lo, v52, v55, vcc_lo
	global_store_b64 v[54:55], v[3:4], off
.LBB486_240:
	s_or_b32 exec_lo, exec_lo, s18
	s_delay_alu instid0(SALU_CYCLE_1)
	s_and_b32 s18, s0, exec_lo
	s_and_not1_saveexec_b32 s16, s16
	s_cbranch_execz .LBB486_190
.LBB486_241:
	v_sub_nc_u32_e32 v54, v114, v65
	v_mov_b32_e32 v55, 0
	s_or_b32 s18, s18, exec_lo
	s_delay_alu instid0(VALU_DEP_1) | instskip(SKIP_1) | instid1(VALU_DEP_1)
	v_lshlrev_b64 v[59:60], 3, v[54:55]
	v_sub_nc_u32_e32 v54, v48, v65
	v_lshlrev_b64 v[95:96], 3, v[54:55]
	v_sub_nc_u32_e32 v54, v50, v65
	s_delay_alu instid0(VALU_DEP_4) | instskip(SKIP_1) | instid1(VALU_DEP_3)
	v_add_co_u32 v59, vcc_lo, v51, v59
	v_add_co_ci_u32_e32 v60, vcc_lo, v52, v60, vcc_lo
	v_lshlrev_b64 v[115:116], 3, v[54:55]
	v_sub_nc_u32_e32 v54, v49, v65
	v_add_co_u32 v95, vcc_lo, v51, v95
	v_add_co_ci_u32_e32 v96, vcc_lo, v52, v96, vcc_lo
	global_store_b64 v[59:60], v[25:26], off
	v_lshlrev_b64 v[59:60], 3, v[54:55]
	v_sub_nc_u32_e32 v54, v47, v65
	global_store_b64 v[95:96], v[27:28], off
	v_add_co_u32 v95, vcc_lo, v51, v115
	v_add_co_ci_u32_e32 v96, vcc_lo, v52, v116, vcc_lo
	v_lshlrev_b64 v[115:116], 3, v[54:55]
	v_sub_nc_u32_e32 v54, v46, v65
	v_add_co_u32 v59, vcc_lo, v51, v59
	v_add_co_ci_u32_e32 v60, vcc_lo, v52, v60, vcc_lo
	s_delay_alu instid0(VALU_DEP_3) | instskip(SKIP_3) | instid1(VALU_DEP_3)
	v_lshlrev_b64 v[117:118], 3, v[54:55]
	v_sub_nc_u32_e32 v54, v45, v65
	v_add_co_u32 v115, vcc_lo, v51, v115
	v_add_co_ci_u32_e32 v116, vcc_lo, v52, v116, vcc_lo
	v_lshlrev_b64 v[119:120], 3, v[54:55]
	v_sub_nc_u32_e32 v54, v44, v65
	v_add_co_u32 v117, vcc_lo, v51, v117
	v_add_co_ci_u32_e32 v118, vcc_lo, v52, v118, vcc_lo
	s_clause 0x3
	global_store_b64 v[95:96], v[21:22], off
	global_store_b64 v[59:60], v[23:24], off
	;; [unrolled: 1-line block ×4, first 2 shown]
	v_lshlrev_b64 v[59:60], 3, v[54:55]
	v_sub_nc_u32_e32 v54, v43, v65
	v_add_co_u32 v95, vcc_lo, v51, v119
	v_add_co_ci_u32_e32 v96, vcc_lo, v52, v120, vcc_lo
	s_delay_alu instid0(VALU_DEP_3) | instskip(SKIP_3) | instid1(VALU_DEP_3)
	v_lshlrev_b64 v[115:116], 3, v[54:55]
	v_sub_nc_u32_e32 v54, v42, v65
	v_add_co_u32 v59, vcc_lo, v51, v59
	v_add_co_ci_u32_e32 v60, vcc_lo, v52, v60, vcc_lo
	v_lshlrev_b64 v[117:118], 3, v[54:55]
	v_sub_nc_u32_e32 v54, v41, v65
	v_add_co_u32 v115, vcc_lo, v51, v115
	v_add_co_ci_u32_e32 v116, vcc_lo, v52, v116, vcc_lo
	s_delay_alu instid0(VALU_DEP_3)
	v_lshlrev_b64 v[119:120], 3, v[54:55]
	v_sub_nc_u32_e32 v54, v40, v65
	v_add_co_u32 v117, vcc_lo, v51, v117
	v_add_co_ci_u32_e32 v118, vcc_lo, v52, v118, vcc_lo
	s_clause 0x3
	global_store_b64 v[95:96], v[13:14], off
	global_store_b64 v[59:60], v[15:16], off
	global_store_b64 v[115:116], v[9:10], off
	global_store_b64 v[117:118], v[11:12], off
	v_lshlrev_b64 v[59:60], 3, v[54:55]
	v_sub_nc_u32_e32 v54, v39, v65
	v_add_co_u32 v95, vcc_lo, v51, v119
	v_add_co_ci_u32_e32 v96, vcc_lo, v52, v120, vcc_lo
	s_delay_alu instid0(VALU_DEP_3) | instskip(SKIP_3) | instid1(VALU_DEP_3)
	v_lshlrev_b64 v[115:116], 3, v[54:55]
	v_sub_nc_u32_e32 v54, v38, v65
	v_add_co_u32 v59, vcc_lo, v51, v59
	v_add_co_ci_u32_e32 v60, vcc_lo, v52, v60, vcc_lo
	v_lshlrev_b64 v[54:55], 3, v[54:55]
	v_add_co_u32 v115, vcc_lo, v51, v115
	v_add_co_ci_u32_e32 v116, vcc_lo, v52, v116, vcc_lo
	s_clause 0x2
	global_store_b64 v[95:96], v[5:6], off
	global_store_b64 v[59:60], v[7:8], off
	;; [unrolled: 1-line block ×3, first 2 shown]
	v_add_co_u32 v54, vcc_lo, v51, v54
	v_add_co_ci_u32_e32 v55, vcc_lo, v52, v55, vcc_lo
	global_store_b64 v[54:55], v[3:4], off
	s_or_b32 exec_lo, exec_lo, s16
	s_delay_alu instid0(SALU_CYCLE_1)
	s_and_b32 exec_lo, exec_lo, s18
	s_cbranch_execnz .LBB486_191
	s_branch .LBB486_192
.LBB486_242:
	s_and_saveexec_b32 s18, s13
	s_cbranch_execnz .LBB486_306
; %bb.243:
	s_or_b32 exec_lo, exec_lo, s18
	s_and_saveexec_b32 s13, s12
	s_cbranch_execnz .LBB486_307
.LBB486_244:
	s_or_b32 exec_lo, exec_lo, s13
	s_and_saveexec_b32 s12, s10
	s_cbranch_execnz .LBB486_308
.LBB486_245:
	s_or_b32 exec_lo, exec_lo, s12
	s_and_saveexec_b32 s10, s9
	s_cbranch_execnz .LBB486_309
.LBB486_246:
	s_or_b32 exec_lo, exec_lo, s10
	s_and_saveexec_b32 s9, s15
	s_cbranch_execnz .LBB486_310
.LBB486_247:
	s_or_b32 exec_lo, exec_lo, s9
	s_and_saveexec_b32 s9, s14
	s_cbranch_execnz .LBB486_311
.LBB486_248:
	s_or_b32 exec_lo, exec_lo, s9
	s_and_saveexec_b32 s9, s11
	s_cbranch_execnz .LBB486_312
.LBB486_249:
	s_or_b32 exec_lo, exec_lo, s9
	s_and_saveexec_b32 s9, s8
	s_cbranch_execnz .LBB486_313
.LBB486_250:
	s_or_b32 exec_lo, exec_lo, s9
	s_and_saveexec_b32 s8, s7
	s_cbranch_execnz .LBB486_314
.LBB486_251:
	s_or_b32 exec_lo, exec_lo, s8
	s_and_saveexec_b32 s7, s6
	s_cbranch_execnz .LBB486_315
.LBB486_252:
	s_or_b32 exec_lo, exec_lo, s7
	s_and_saveexec_b32 s6, s5
	s_cbranch_execnz .LBB486_316
.LBB486_253:
	s_or_b32 exec_lo, exec_lo, s6
	s_and_saveexec_b32 s5, s4
	s_cbranch_execnz .LBB486_317
.LBB486_254:
	s_or_b32 exec_lo, exec_lo, s5
	s_and_saveexec_b32 s4, s3
	s_cbranch_execnz .LBB486_318
.LBB486_255:
	s_or_b32 exec_lo, exec_lo, s4
	s_and_saveexec_b32 s3, s1
	s_cbranch_execz .LBB486_257
.LBB486_256:
	v_sub_nc_u32_e32 v1, v38, v65
	s_delay_alu instid0(VALU_DEP_1)
	v_lshlrev_b32_e32 v1, 3, v1
	ds_store_b64 v1, v[3:4]
.LBB486_257:
	s_or_b32 exec_lo, exec_lo, s3
	s_delay_alu instid0(SALU_CYCLE_1)
	s_and_b32 s18, s0, exec_lo
                                        ; implicit-def: $vgpr25_vgpr26
                                        ; implicit-def: $vgpr21_vgpr22
                                        ; implicit-def: $vgpr17_vgpr18
                                        ; implicit-def: $vgpr13_vgpr14
                                        ; implicit-def: $vgpr9_vgpr10
                                        ; implicit-def: $vgpr5_vgpr6
                                        ; implicit-def: $vgpr1_vgpr2
	s_and_not1_saveexec_b32 s0, s17
	s_cbranch_execz .LBB486_197
.LBB486_258:
	v_sub_nc_u32_e32 v53, v114, v65
	v_sub_nc_u32_e32 v54, v48, v65
	;; [unrolled: 1-line block ×4, first 2 shown]
	s_or_b32 s18, s18, exec_lo
	v_lshlrev_b32_e32 v53, 3, v53
	v_lshlrev_b32_e32 v54, 3, v54
	;; [unrolled: 1-line block ×4, first 2 shown]
	ds_store_b64 v53, v[25:26]
	ds_store_b64 v54, v[27:28]
	;; [unrolled: 1-line block ×3, first 2 shown]
	v_sub_nc_u32_e32 v21, v47, v65
	v_sub_nc_u32_e32 v22, v46, v65
	ds_store_b64 v56, v[23:24]
	v_sub_nc_u32_e32 v23, v45, v65
	v_sub_nc_u32_e32 v24, v44, v65
	v_lshlrev_b32_e32 v21, 3, v21
	v_sub_nc_u32_e32 v25, v43, v65
	v_lshlrev_b32_e32 v22, 3, v22
	v_lshlrev_b32_e32 v23, 3, v23
	;; [unrolled: 1-line block ×3, first 2 shown]
	ds_store_b64 v21, v[17:18]
	v_lshlrev_b32_e32 v17, 3, v25
	ds_store_b64 v22, v[19:20]
	ds_store_b64 v23, v[13:14]
	;; [unrolled: 1-line block ×3, first 2 shown]
	v_sub_nc_u32_e32 v13, v42, v65
	v_sub_nc_u32_e32 v15, v38, v65
	;; [unrolled: 1-line block ×3, first 2 shown]
	ds_store_b64 v17, v[9:10]
	v_sub_nc_u32_e32 v9, v41, v65
	v_lshlrev_b32_e32 v13, 3, v13
	v_sub_nc_u32_e32 v10, v40, v65
	v_lshlrev_b32_e32 v14, 3, v14
	s_delay_alu instid0(VALU_DEP_4)
	v_lshlrev_b32_e32 v9, 3, v9
	ds_store_b64 v13, v[11:12]
	v_lshlrev_b32_e32 v11, 3, v15
	v_lshlrev_b32_e32 v10, 3, v10
	ds_store_b64 v9, v[5:6]
	ds_store_b64 v10, v[7:8]
	ds_store_b64 v14, v[1:2]
	ds_store_b64 v11, v[3:4]
	s_or_b32 exec_lo, exec_lo, s0
	s_delay_alu instid0(SALU_CYCLE_1)
	s_and_b32 exec_lo, exec_lo, s18
	s_cbranch_execnz .LBB486_198
	s_branch .LBB486_199
.LBB486_259:
	s_and_saveexec_b32 s17, s14
	s_cbranch_execnz .LBB486_319
; %bb.260:
	s_or_b32 exec_lo, exec_lo, s17
	s_and_saveexec_b32 s17, s13
	s_cbranch_execnz .LBB486_320
.LBB486_261:
	s_or_b32 exec_lo, exec_lo, s17
	s_and_saveexec_b32 s17, s12
	s_cbranch_execnz .LBB486_321
.LBB486_262:
	s_or_b32 exec_lo, exec_lo, s17
	s_and_saveexec_b32 s17, s11
	s_cbranch_execnz .LBB486_322
.LBB486_263:
	s_or_b32 exec_lo, exec_lo, s17
	s_and_saveexec_b32 s17, s10
	s_cbranch_execnz .LBB486_323
.LBB486_264:
	s_or_b32 exec_lo, exec_lo, s17
	s_and_saveexec_b32 s17, s9
	s_cbranch_execnz .LBB486_324
.LBB486_265:
	s_or_b32 exec_lo, exec_lo, s17
	s_and_saveexec_b32 s17, s8
	s_cbranch_execnz .LBB486_325
.LBB486_266:
	s_or_b32 exec_lo, exec_lo, s17
	s_and_saveexec_b32 s17, s7
	s_cbranch_execnz .LBB486_326
.LBB486_267:
	s_or_b32 exec_lo, exec_lo, s17
	s_and_saveexec_b32 s17, s6
	s_cbranch_execnz .LBB486_327
.LBB486_268:
	s_or_b32 exec_lo, exec_lo, s17
	s_and_saveexec_b32 s17, s5
	s_cbranch_execnz .LBB486_328
.LBB486_269:
	s_or_b32 exec_lo, exec_lo, s17
	s_and_saveexec_b32 s17, s4
	s_cbranch_execnz .LBB486_329
.LBB486_270:
	s_or_b32 exec_lo, exec_lo, s17
	s_and_saveexec_b32 s17, s3
	s_cbranch_execnz .LBB486_330
.LBB486_271:
	s_or_b32 exec_lo, exec_lo, s17
	s_and_saveexec_b32 s17, s2
	s_cbranch_execnz .LBB486_331
.LBB486_272:
	s_or_b32 exec_lo, exec_lo, s17
	s_and_saveexec_b32 s17, s1
	s_cbranch_execz .LBB486_274
.LBB486_273:
	v_sub_nc_u32_e32 v10, v38, v8
	v_mov_b32_e32 v11, 0
	s_delay_alu instid0(VALU_DEP_1) | instskip(NEXT) | instid1(VALU_DEP_1)
	v_lshlrev_b64 v[10:11], 3, v[10:11]
	v_add_co_u32 v10, vcc_lo, v6, v10
	s_delay_alu instid0(VALU_DEP_2)
	v_add_co_ci_u32_e32 v11, vcc_lo, v7, v11, vcc_lo
	global_store_b64 v[10:11], v[93:94], off
.LBB486_274:
	s_or_b32 exec_lo, exec_lo, s17
	s_delay_alu instid0(SALU_CYCLE_1)
	s_and_b32 s17, s0, exec_lo
	s_and_not1_saveexec_b32 s15, s15
	s_cbranch_execz .LBB486_210
.LBB486_275:
	v_sub_nc_u32_e32 v10, v114, v8
	v_mov_b32_e32 v11, 0
	s_or_b32 s17, s17, exec_lo
	s_delay_alu instid0(VALU_DEP_1) | instskip(SKIP_1) | instid1(VALU_DEP_1)
	v_lshlrev_b64 v[12:13], 3, v[10:11]
	v_sub_nc_u32_e32 v10, v48, v8
	v_lshlrev_b64 v[14:15], 3, v[10:11]
	v_sub_nc_u32_e32 v10, v50, v8
	s_delay_alu instid0(VALU_DEP_4) | instskip(SKIP_1) | instid1(VALU_DEP_3)
	v_add_co_u32 v12, vcc_lo, v6, v12
	v_add_co_ci_u32_e32 v13, vcc_lo, v7, v13, vcc_lo
	v_lshlrev_b64 v[16:17], 3, v[10:11]
	v_sub_nc_u32_e32 v10, v49, v8
	v_add_co_u32 v14, vcc_lo, v6, v14
	v_add_co_ci_u32_e32 v15, vcc_lo, v7, v15, vcc_lo
	global_store_b64 v[12:13], v[79:80], off
	v_lshlrev_b64 v[12:13], 3, v[10:11]
	v_sub_nc_u32_e32 v10, v47, v8
	global_store_b64 v[14:15], v[75:76], off
	v_add_co_u32 v14, vcc_lo, v6, v16
	v_add_co_ci_u32_e32 v15, vcc_lo, v7, v17, vcc_lo
	v_lshlrev_b64 v[16:17], 3, v[10:11]
	v_sub_nc_u32_e32 v10, v46, v8
	v_add_co_u32 v12, vcc_lo, v6, v12
	v_add_co_ci_u32_e32 v13, vcc_lo, v7, v13, vcc_lo
	s_delay_alu instid0(VALU_DEP_3) | instskip(SKIP_3) | instid1(VALU_DEP_3)
	v_lshlrev_b64 v[18:19], 3, v[10:11]
	v_sub_nc_u32_e32 v10, v45, v8
	v_add_co_u32 v16, vcc_lo, v6, v16
	v_add_co_ci_u32_e32 v17, vcc_lo, v7, v17, vcc_lo
	v_lshlrev_b64 v[20:21], 3, v[10:11]
	v_sub_nc_u32_e32 v10, v44, v8
	v_add_co_u32 v18, vcc_lo, v6, v18
	v_add_co_ci_u32_e32 v19, vcc_lo, v7, v19, vcc_lo
	s_clause 0x3
	global_store_b64 v[14:15], v[81:82], off
	global_store_b64 v[12:13], v[85:86], off
	;; [unrolled: 1-line block ×4, first 2 shown]
	v_lshlrev_b64 v[12:13], 3, v[10:11]
	v_sub_nc_u32_e32 v10, v43, v8
	v_add_co_u32 v14, vcc_lo, v6, v20
	v_add_co_ci_u32_e32 v15, vcc_lo, v7, v21, vcc_lo
	s_delay_alu instid0(VALU_DEP_3) | instskip(SKIP_3) | instid1(VALU_DEP_3)
	v_lshlrev_b64 v[16:17], 3, v[10:11]
	v_sub_nc_u32_e32 v10, v42, v8
	v_add_co_u32 v12, vcc_lo, v6, v12
	v_add_co_ci_u32_e32 v13, vcc_lo, v7, v13, vcc_lo
	v_lshlrev_b64 v[18:19], 3, v[10:11]
	v_sub_nc_u32_e32 v10, v41, v8
	v_add_co_u32 v16, vcc_lo, v6, v16
	v_add_co_ci_u32_e32 v17, vcc_lo, v7, v17, vcc_lo
	s_delay_alu instid0(VALU_DEP_3)
	v_lshlrev_b64 v[20:21], 3, v[10:11]
	v_sub_nc_u32_e32 v10, v40, v8
	v_add_co_u32 v18, vcc_lo, v6, v18
	v_add_co_ci_u32_e32 v19, vcc_lo, v7, v19, vcc_lo
	s_clause 0x3
	global_store_b64 v[14:15], v[77:78], off
	global_store_b64 v[12:13], v[83:84], off
	;; [unrolled: 1-line block ×4, first 2 shown]
	v_lshlrev_b64 v[12:13], 3, v[10:11]
	v_sub_nc_u32_e32 v10, v39, v8
	v_add_co_u32 v14, vcc_lo, v6, v20
	v_add_co_ci_u32_e32 v15, vcc_lo, v7, v21, vcc_lo
	s_delay_alu instid0(VALU_DEP_3) | instskip(SKIP_3) | instid1(VALU_DEP_3)
	v_lshlrev_b64 v[16:17], 3, v[10:11]
	v_sub_nc_u32_e32 v10, v38, v8
	v_add_co_u32 v12, vcc_lo, v6, v12
	v_add_co_ci_u32_e32 v13, vcc_lo, v7, v13, vcc_lo
	v_lshlrev_b64 v[10:11], 3, v[10:11]
	v_add_co_u32 v16, vcc_lo, v6, v16
	v_add_co_ci_u32_e32 v17, vcc_lo, v7, v17, vcc_lo
	s_clause 0x2
	global_store_b64 v[14:15], v[73:74], off
	global_store_b64 v[12:13], v[89:90], off
	;; [unrolled: 1-line block ×3, first 2 shown]
	v_add_co_u32 v10, vcc_lo, v6, v10
	v_add_co_ci_u32_e32 v11, vcc_lo, v7, v11, vcc_lo
	global_store_b64 v[10:11], v[93:94], off
	s_or_b32 exec_lo, exec_lo, s15
	s_delay_alu instid0(SALU_CYCLE_1)
	s_and_b32 exec_lo, exec_lo, s17
	s_cbranch_execnz .LBB486_211
	s_branch .LBB486_212
.LBB486_276:
	s_and_saveexec_b32 s17, s14
	s_cbranch_execnz .LBB486_332
; %bb.277:
	s_or_b32 exec_lo, exec_lo, s17
	s_and_saveexec_b32 s14, s13
	s_cbranch_execnz .LBB486_333
.LBB486_278:
	s_or_b32 exec_lo, exec_lo, s14
	s_and_saveexec_b32 s13, s12
	s_cbranch_execnz .LBB486_334
.LBB486_279:
	s_or_b32 exec_lo, exec_lo, s13
	s_and_saveexec_b32 s12, s11
	s_cbranch_execnz .LBB486_335
.LBB486_280:
	s_or_b32 exec_lo, exec_lo, s12
	s_and_saveexec_b32 s11, s10
	s_cbranch_execnz .LBB486_336
.LBB486_281:
	s_or_b32 exec_lo, exec_lo, s11
	s_and_saveexec_b32 s10, s9
	s_cbranch_execnz .LBB486_337
.LBB486_282:
	s_or_b32 exec_lo, exec_lo, s10
	s_and_saveexec_b32 s9, s8
	s_cbranch_execnz .LBB486_338
.LBB486_283:
	s_or_b32 exec_lo, exec_lo, s9
	s_and_saveexec_b32 s8, s7
	s_cbranch_execnz .LBB486_339
.LBB486_284:
	s_or_b32 exec_lo, exec_lo, s8
	s_and_saveexec_b32 s7, s6
	s_cbranch_execnz .LBB486_340
.LBB486_285:
	s_or_b32 exec_lo, exec_lo, s7
	s_and_saveexec_b32 s6, s5
	s_cbranch_execnz .LBB486_341
.LBB486_286:
	s_or_b32 exec_lo, exec_lo, s6
	s_and_saveexec_b32 s5, s4
	s_cbranch_execnz .LBB486_342
.LBB486_287:
	s_or_b32 exec_lo, exec_lo, s5
	s_and_saveexec_b32 s4, s3
	s_cbranch_execnz .LBB486_343
.LBB486_288:
	s_or_b32 exec_lo, exec_lo, s4
	s_and_saveexec_b32 s3, s2
	s_cbranch_execnz .LBB486_344
.LBB486_289:
	s_or_b32 exec_lo, exec_lo, s3
	s_and_saveexec_b32 s2, s1
	s_cbranch_execz .LBB486_291
.LBB486_290:
	v_sub_nc_u32_e32 v9, v38, v8
	s_delay_alu instid0(VALU_DEP_1)
	v_lshlrev_b32_e32 v9, 3, v9
	ds_store_b64 v9, v[93:94]
.LBB486_291:
	s_or_b32 exec_lo, exec_lo, s2
	s_delay_alu instid0(SALU_CYCLE_1)
	s_and_b32 s17, s0, exec_lo
                                        ; implicit-def: $vgpr79_vgpr80
                                        ; implicit-def: $vgpr75_vgpr76
                                        ; implicit-def: $vgpr81_vgpr82
                                        ; implicit-def: $vgpr85_vgpr86
                                        ; implicit-def: $vgpr67_vgpr68
                                        ; implicit-def: $vgpr71_vgpr72
                                        ; implicit-def: $vgpr77_vgpr78
                                        ; implicit-def: $vgpr83_vgpr84
                                        ; implicit-def: $vgpr87_vgpr88
                                        ; implicit-def: $vgpr69_vgpr70
                                        ; implicit-def: $vgpr73_vgpr74
                                        ; implicit-def: $vgpr89_vgpr90
                                        ; implicit-def: $vgpr91_vgpr92
                                        ; implicit-def: $vgpr93_vgpr94
                                        ; implicit-def: $vgpr114
                                        ; implicit-def: $vgpr48
                                        ; implicit-def: $vgpr50
                                        ; implicit-def: $vgpr49
                                        ; implicit-def: $vgpr47
                                        ; implicit-def: $vgpr46
                                        ; implicit-def: $vgpr45
                                        ; implicit-def: $vgpr44
                                        ; implicit-def: $vgpr43
                                        ; implicit-def: $vgpr42
                                        ; implicit-def: $vgpr41
                                        ; implicit-def: $vgpr40
                                        ; implicit-def: $vgpr39
                                        ; implicit-def: $vgpr38
	s_and_not1_saveexec_b32 s0, s16
	s_cbranch_execz .LBB486_216
.LBB486_292:
	v_sub_nc_u32_e32 v9, v114, v8
	v_sub_nc_u32_e32 v10, v48, v8
	;; [unrolled: 1-line block ×5, first 2 shown]
	v_lshlrev_b32_e32 v9, 3, v9
	v_lshlrev_b32_e32 v10, 3, v10
	;; [unrolled: 1-line block ×4, first 2 shown]
	s_or_b32 s17, s17, exec_lo
	ds_store_b64 v9, v[79:80]
	ds_store_b64 v10, v[75:76]
	ds_store_b64 v11, v[81:82]
	v_sub_nc_u32_e32 v9, v47, v8
	v_sub_nc_u32_e32 v10, v46, v8
	;; [unrolled: 1-line block ×3, first 2 shown]
	ds_store_b64 v12, v[85:86]
	v_sub_nc_u32_e32 v12, v44, v8
	v_lshlrev_b32_e32 v9, 3, v9
	v_lshlrev_b32_e32 v10, 3, v10
	;; [unrolled: 1-line block ×3, first 2 shown]
	s_delay_alu instid0(VALU_DEP_4)
	v_lshlrev_b32_e32 v12, 3, v12
	ds_store_b64 v9, v[67:68]
	v_lshlrev_b32_e32 v9, 3, v13
	ds_store_b64 v10, v[71:72]
	ds_store_b64 v11, v[77:78]
	;; [unrolled: 1-line block ×3, first 2 shown]
	v_sub_nc_u32_e32 v10, v42, v8
	v_sub_nc_u32_e32 v13, v38, v8
	;; [unrolled: 1-line block ×3, first 2 shown]
	ds_store_b64 v9, v[87:88]
	v_sub_nc_u32_e32 v9, v41, v8
	v_lshlrev_b32_e32 v10, 3, v10
	v_sub_nc_u32_e32 v12, v39, v8
	v_lshlrev_b32_e32 v11, 3, v11
	s_delay_alu instid0(VALU_DEP_4)
	v_lshlrev_b32_e32 v9, 3, v9
	ds_store_b64 v10, v[69:70]
	v_lshlrev_b32_e32 v10, 3, v13
	v_lshlrev_b32_e32 v12, 3, v12
	ds_store_b64 v9, v[73:74]
	ds_store_b64 v11, v[89:90]
	;; [unrolled: 1-line block ×4, first 2 shown]
	s_or_b32 exec_lo, exec_lo, s0
	s_delay_alu instid0(SALU_CYCLE_1)
	s_and_b32 exec_lo, exec_lo, s17
	s_cbranch_execnz .LBB486_217
	s_branch .LBB486_218
.LBB486_293:
	v_sub_nc_u32_e32 v54, v114, v65
	v_mov_b32_e32 v55, 0
	s_delay_alu instid0(VALU_DEP_1) | instskip(NEXT) | instid1(VALU_DEP_1)
	v_lshlrev_b64 v[54:55], 3, v[54:55]
	v_add_co_u32 v54, vcc_lo, v51, v54
	s_delay_alu instid0(VALU_DEP_2)
	v_add_co_ci_u32_e32 v55, vcc_lo, v52, v55, vcc_lo
	global_store_b64 v[54:55], v[25:26], off
	s_or_b32 exec_lo, exec_lo, s18
	s_and_saveexec_b32 s18, s12
	s_cbranch_execz .LBB486_227
.LBB486_294:
	v_sub_nc_u32_e32 v54, v48, v65
	v_mov_b32_e32 v55, 0
	s_delay_alu instid0(VALU_DEP_1) | instskip(NEXT) | instid1(VALU_DEP_1)
	v_lshlrev_b64 v[54:55], 3, v[54:55]
	v_add_co_u32 v54, vcc_lo, v51, v54
	s_delay_alu instid0(VALU_DEP_2)
	v_add_co_ci_u32_e32 v55, vcc_lo, v52, v55, vcc_lo
	global_store_b64 v[54:55], v[27:28], off
	s_or_b32 exec_lo, exec_lo, s18
	s_and_saveexec_b32 s18, s10
	s_cbranch_execz .LBB486_228
.LBB486_295:
	v_sub_nc_u32_e32 v54, v50, v65
	v_mov_b32_e32 v55, 0
	s_delay_alu instid0(VALU_DEP_1) | instskip(NEXT) | instid1(VALU_DEP_1)
	v_lshlrev_b64 v[54:55], 3, v[54:55]
	v_add_co_u32 v54, vcc_lo, v51, v54
	s_delay_alu instid0(VALU_DEP_2)
	v_add_co_ci_u32_e32 v55, vcc_lo, v52, v55, vcc_lo
	global_store_b64 v[54:55], v[21:22], off
	s_or_b32 exec_lo, exec_lo, s18
	s_and_saveexec_b32 s18, s9
	s_cbranch_execz .LBB486_229
.LBB486_296:
	v_sub_nc_u32_e32 v54, v49, v65
	v_mov_b32_e32 v55, 0
	s_delay_alu instid0(VALU_DEP_1) | instskip(NEXT) | instid1(VALU_DEP_1)
	v_lshlrev_b64 v[54:55], 3, v[54:55]
	v_add_co_u32 v54, vcc_lo, v51, v54
	s_delay_alu instid0(VALU_DEP_2)
	v_add_co_ci_u32_e32 v55, vcc_lo, v52, v55, vcc_lo
	global_store_b64 v[54:55], v[23:24], off
	s_or_b32 exec_lo, exec_lo, s18
	s_and_saveexec_b32 s18, s15
	s_cbranch_execz .LBB486_230
.LBB486_297:
	v_sub_nc_u32_e32 v54, v47, v65
	v_mov_b32_e32 v55, 0
	s_delay_alu instid0(VALU_DEP_1) | instskip(NEXT) | instid1(VALU_DEP_1)
	v_lshlrev_b64 v[54:55], 3, v[54:55]
	v_add_co_u32 v54, vcc_lo, v51, v54
	s_delay_alu instid0(VALU_DEP_2)
	v_add_co_ci_u32_e32 v55, vcc_lo, v52, v55, vcc_lo
	global_store_b64 v[54:55], v[17:18], off
	s_or_b32 exec_lo, exec_lo, s18
	s_and_saveexec_b32 s18, s14
	s_cbranch_execz .LBB486_231
.LBB486_298:
	v_sub_nc_u32_e32 v54, v46, v65
	v_mov_b32_e32 v55, 0
	s_delay_alu instid0(VALU_DEP_1) | instskip(NEXT) | instid1(VALU_DEP_1)
	v_lshlrev_b64 v[54:55], 3, v[54:55]
	v_add_co_u32 v54, vcc_lo, v51, v54
	s_delay_alu instid0(VALU_DEP_2)
	v_add_co_ci_u32_e32 v55, vcc_lo, v52, v55, vcc_lo
	global_store_b64 v[54:55], v[19:20], off
	s_or_b32 exec_lo, exec_lo, s18
	s_and_saveexec_b32 s18, s11
	s_cbranch_execz .LBB486_232
.LBB486_299:
	v_sub_nc_u32_e32 v54, v45, v65
	v_mov_b32_e32 v55, 0
	s_delay_alu instid0(VALU_DEP_1) | instskip(NEXT) | instid1(VALU_DEP_1)
	v_lshlrev_b64 v[54:55], 3, v[54:55]
	v_add_co_u32 v54, vcc_lo, v51, v54
	s_delay_alu instid0(VALU_DEP_2)
	v_add_co_ci_u32_e32 v55, vcc_lo, v52, v55, vcc_lo
	global_store_b64 v[54:55], v[13:14], off
	s_or_b32 exec_lo, exec_lo, s18
	s_and_saveexec_b32 s18, s8
	s_cbranch_execz .LBB486_233
.LBB486_300:
	v_sub_nc_u32_e32 v54, v44, v65
	v_mov_b32_e32 v55, 0
	s_delay_alu instid0(VALU_DEP_1) | instskip(NEXT) | instid1(VALU_DEP_1)
	v_lshlrev_b64 v[54:55], 3, v[54:55]
	v_add_co_u32 v54, vcc_lo, v51, v54
	s_delay_alu instid0(VALU_DEP_2)
	v_add_co_ci_u32_e32 v55, vcc_lo, v52, v55, vcc_lo
	global_store_b64 v[54:55], v[15:16], off
	s_or_b32 exec_lo, exec_lo, s18
	s_and_saveexec_b32 s18, s7
	s_cbranch_execz .LBB486_234
.LBB486_301:
	v_sub_nc_u32_e32 v54, v43, v65
	v_mov_b32_e32 v55, 0
	s_delay_alu instid0(VALU_DEP_1) | instskip(NEXT) | instid1(VALU_DEP_1)
	v_lshlrev_b64 v[54:55], 3, v[54:55]
	v_add_co_u32 v54, vcc_lo, v51, v54
	s_delay_alu instid0(VALU_DEP_2)
	v_add_co_ci_u32_e32 v55, vcc_lo, v52, v55, vcc_lo
	global_store_b64 v[54:55], v[9:10], off
	s_or_b32 exec_lo, exec_lo, s18
	s_and_saveexec_b32 s18, s6
	s_cbranch_execz .LBB486_235
.LBB486_302:
	v_sub_nc_u32_e32 v54, v42, v65
	v_mov_b32_e32 v55, 0
	s_delay_alu instid0(VALU_DEP_1) | instskip(NEXT) | instid1(VALU_DEP_1)
	v_lshlrev_b64 v[54:55], 3, v[54:55]
	v_add_co_u32 v54, vcc_lo, v51, v54
	s_delay_alu instid0(VALU_DEP_2)
	v_add_co_ci_u32_e32 v55, vcc_lo, v52, v55, vcc_lo
	global_store_b64 v[54:55], v[11:12], off
	s_or_b32 exec_lo, exec_lo, s18
	s_and_saveexec_b32 s18, s5
	s_cbranch_execz .LBB486_236
.LBB486_303:
	v_sub_nc_u32_e32 v54, v41, v65
	v_mov_b32_e32 v55, 0
	s_delay_alu instid0(VALU_DEP_1) | instskip(NEXT) | instid1(VALU_DEP_1)
	v_lshlrev_b64 v[54:55], 3, v[54:55]
	v_add_co_u32 v54, vcc_lo, v51, v54
	s_delay_alu instid0(VALU_DEP_2)
	v_add_co_ci_u32_e32 v55, vcc_lo, v52, v55, vcc_lo
	global_store_b64 v[54:55], v[5:6], off
	s_or_b32 exec_lo, exec_lo, s18
	s_and_saveexec_b32 s18, s4
	s_cbranch_execz .LBB486_237
.LBB486_304:
	v_sub_nc_u32_e32 v54, v40, v65
	v_mov_b32_e32 v55, 0
	s_delay_alu instid0(VALU_DEP_1) | instskip(NEXT) | instid1(VALU_DEP_1)
	v_lshlrev_b64 v[54:55], 3, v[54:55]
	v_add_co_u32 v54, vcc_lo, v51, v54
	s_delay_alu instid0(VALU_DEP_2)
	v_add_co_ci_u32_e32 v55, vcc_lo, v52, v55, vcc_lo
	global_store_b64 v[54:55], v[7:8], off
	s_or_b32 exec_lo, exec_lo, s18
	s_and_saveexec_b32 s18, s3
	s_cbranch_execz .LBB486_238
.LBB486_305:
	v_sub_nc_u32_e32 v54, v39, v65
	v_mov_b32_e32 v55, 0
	s_delay_alu instid0(VALU_DEP_1) | instskip(NEXT) | instid1(VALU_DEP_1)
	v_lshlrev_b64 v[54:55], 3, v[54:55]
	v_add_co_u32 v54, vcc_lo, v51, v54
	s_delay_alu instid0(VALU_DEP_2)
	v_add_co_ci_u32_e32 v55, vcc_lo, v52, v55, vcc_lo
	global_store_b64 v[54:55], v[1:2], off
	s_or_b32 exec_lo, exec_lo, s18
	s_and_saveexec_b32 s18, s1
	s_cbranch_execnz .LBB486_239
	s_branch .LBB486_240
.LBB486_306:
	v_sub_nc_u32_e32 v53, v114, v65
	s_delay_alu instid0(VALU_DEP_1)
	v_lshlrev_b32_e32 v53, 3, v53
	ds_store_b64 v53, v[25:26]
	s_or_b32 exec_lo, exec_lo, s18
	s_and_saveexec_b32 s13, s12
	s_cbranch_execz .LBB486_244
.LBB486_307:
	v_sub_nc_u32_e32 v25, v48, v65
	s_delay_alu instid0(VALU_DEP_1)
	v_lshlrev_b32_e32 v25, 3, v25
	ds_store_b64 v25, v[27:28]
	s_or_b32 exec_lo, exec_lo, s13
	s_and_saveexec_b32 s12, s10
	s_cbranch_execz .LBB486_245
.LBB486_308:
	v_sub_nc_u32_e32 v25, v50, v65
	s_delay_alu instid0(VALU_DEP_1)
	v_lshlrev_b32_e32 v25, 3, v25
	ds_store_b64 v25, v[21:22]
	s_or_b32 exec_lo, exec_lo, s12
	s_and_saveexec_b32 s10, s9
	s_cbranch_execz .LBB486_246
.LBB486_309:
	v_sub_nc_u32_e32 v21, v49, v65
	s_delay_alu instid0(VALU_DEP_1)
	v_lshlrev_b32_e32 v21, 3, v21
	ds_store_b64 v21, v[23:24]
	s_or_b32 exec_lo, exec_lo, s10
	s_and_saveexec_b32 s9, s15
	s_cbranch_execz .LBB486_247
.LBB486_310:
	v_sub_nc_u32_e32 v21, v47, v65
	s_delay_alu instid0(VALU_DEP_1)
	v_lshlrev_b32_e32 v21, 3, v21
	ds_store_b64 v21, v[17:18]
	s_or_b32 exec_lo, exec_lo, s9
	s_and_saveexec_b32 s9, s14
	s_cbranch_execz .LBB486_248
.LBB486_311:
	v_sub_nc_u32_e32 v17, v46, v65
	s_delay_alu instid0(VALU_DEP_1)
	v_lshlrev_b32_e32 v17, 3, v17
	ds_store_b64 v17, v[19:20]
	s_or_b32 exec_lo, exec_lo, s9
	s_and_saveexec_b32 s9, s11
	s_cbranch_execz .LBB486_249
.LBB486_312:
	v_sub_nc_u32_e32 v17, v45, v65
	s_delay_alu instid0(VALU_DEP_1)
	v_lshlrev_b32_e32 v17, 3, v17
	ds_store_b64 v17, v[13:14]
	s_or_b32 exec_lo, exec_lo, s9
	s_and_saveexec_b32 s9, s8
	s_cbranch_execz .LBB486_250
.LBB486_313:
	v_sub_nc_u32_e32 v13, v44, v65
	s_delay_alu instid0(VALU_DEP_1)
	v_lshlrev_b32_e32 v13, 3, v13
	ds_store_b64 v13, v[15:16]
	s_or_b32 exec_lo, exec_lo, s9
	s_and_saveexec_b32 s8, s7
	s_cbranch_execz .LBB486_251
.LBB486_314:
	v_sub_nc_u32_e32 v13, v43, v65
	s_delay_alu instid0(VALU_DEP_1)
	v_lshlrev_b32_e32 v13, 3, v13
	ds_store_b64 v13, v[9:10]
	s_or_b32 exec_lo, exec_lo, s8
	s_and_saveexec_b32 s7, s6
	s_cbranch_execz .LBB486_252
.LBB486_315:
	v_sub_nc_u32_e32 v9, v42, v65
	s_delay_alu instid0(VALU_DEP_1)
	v_lshlrev_b32_e32 v9, 3, v9
	ds_store_b64 v9, v[11:12]
	s_or_b32 exec_lo, exec_lo, s7
	s_and_saveexec_b32 s6, s5
	s_cbranch_execz .LBB486_253
.LBB486_316:
	v_sub_nc_u32_e32 v9, v41, v65
	s_delay_alu instid0(VALU_DEP_1)
	v_lshlrev_b32_e32 v9, 3, v9
	ds_store_b64 v9, v[5:6]
	s_or_b32 exec_lo, exec_lo, s6
	s_and_saveexec_b32 s5, s4
	s_cbranch_execz .LBB486_254
.LBB486_317:
	v_sub_nc_u32_e32 v5, v40, v65
	s_delay_alu instid0(VALU_DEP_1)
	v_lshlrev_b32_e32 v5, 3, v5
	ds_store_b64 v5, v[7:8]
	s_or_b32 exec_lo, exec_lo, s5
	s_and_saveexec_b32 s4, s3
	s_cbranch_execz .LBB486_255
.LBB486_318:
	v_sub_nc_u32_e32 v5, v39, v65
	s_delay_alu instid0(VALU_DEP_1)
	v_lshlrev_b32_e32 v5, 3, v5
	ds_store_b64 v5, v[1:2]
	s_or_b32 exec_lo, exec_lo, s4
	s_and_saveexec_b32 s3, s1
	s_cbranch_execnz .LBB486_256
	s_branch .LBB486_257
.LBB486_319:
	v_sub_nc_u32_e32 v10, v114, v8
	v_mov_b32_e32 v11, 0
	s_delay_alu instid0(VALU_DEP_1) | instskip(NEXT) | instid1(VALU_DEP_1)
	v_lshlrev_b64 v[10:11], 3, v[10:11]
	v_add_co_u32 v10, vcc_lo, v6, v10
	s_delay_alu instid0(VALU_DEP_2)
	v_add_co_ci_u32_e32 v11, vcc_lo, v7, v11, vcc_lo
	global_store_b64 v[10:11], v[79:80], off
	s_or_b32 exec_lo, exec_lo, s17
	s_and_saveexec_b32 s17, s13
	s_cbranch_execz .LBB486_261
.LBB486_320:
	v_sub_nc_u32_e32 v10, v48, v8
	v_mov_b32_e32 v11, 0
	s_delay_alu instid0(VALU_DEP_1) | instskip(NEXT) | instid1(VALU_DEP_1)
	v_lshlrev_b64 v[10:11], 3, v[10:11]
	v_add_co_u32 v10, vcc_lo, v6, v10
	s_delay_alu instid0(VALU_DEP_2)
	v_add_co_ci_u32_e32 v11, vcc_lo, v7, v11, vcc_lo
	global_store_b64 v[10:11], v[75:76], off
	s_or_b32 exec_lo, exec_lo, s17
	s_and_saveexec_b32 s17, s12
	s_cbranch_execz .LBB486_262
.LBB486_321:
	v_sub_nc_u32_e32 v10, v50, v8
	v_mov_b32_e32 v11, 0
	s_delay_alu instid0(VALU_DEP_1) | instskip(NEXT) | instid1(VALU_DEP_1)
	v_lshlrev_b64 v[10:11], 3, v[10:11]
	v_add_co_u32 v10, vcc_lo, v6, v10
	s_delay_alu instid0(VALU_DEP_2)
	v_add_co_ci_u32_e32 v11, vcc_lo, v7, v11, vcc_lo
	global_store_b64 v[10:11], v[81:82], off
	s_or_b32 exec_lo, exec_lo, s17
	s_and_saveexec_b32 s17, s11
	s_cbranch_execz .LBB486_263
.LBB486_322:
	v_sub_nc_u32_e32 v10, v49, v8
	v_mov_b32_e32 v11, 0
	s_delay_alu instid0(VALU_DEP_1) | instskip(NEXT) | instid1(VALU_DEP_1)
	v_lshlrev_b64 v[10:11], 3, v[10:11]
	v_add_co_u32 v10, vcc_lo, v6, v10
	s_delay_alu instid0(VALU_DEP_2)
	v_add_co_ci_u32_e32 v11, vcc_lo, v7, v11, vcc_lo
	global_store_b64 v[10:11], v[85:86], off
	s_or_b32 exec_lo, exec_lo, s17
	s_and_saveexec_b32 s17, s10
	s_cbranch_execz .LBB486_264
.LBB486_323:
	v_sub_nc_u32_e32 v10, v47, v8
	v_mov_b32_e32 v11, 0
	s_delay_alu instid0(VALU_DEP_1) | instskip(NEXT) | instid1(VALU_DEP_1)
	v_lshlrev_b64 v[10:11], 3, v[10:11]
	v_add_co_u32 v10, vcc_lo, v6, v10
	s_delay_alu instid0(VALU_DEP_2)
	v_add_co_ci_u32_e32 v11, vcc_lo, v7, v11, vcc_lo
	global_store_b64 v[10:11], v[67:68], off
	s_or_b32 exec_lo, exec_lo, s17
	s_and_saveexec_b32 s17, s9
	s_cbranch_execz .LBB486_265
.LBB486_324:
	v_sub_nc_u32_e32 v10, v46, v8
	v_mov_b32_e32 v11, 0
	s_delay_alu instid0(VALU_DEP_1) | instskip(NEXT) | instid1(VALU_DEP_1)
	v_lshlrev_b64 v[10:11], 3, v[10:11]
	v_add_co_u32 v10, vcc_lo, v6, v10
	s_delay_alu instid0(VALU_DEP_2)
	v_add_co_ci_u32_e32 v11, vcc_lo, v7, v11, vcc_lo
	global_store_b64 v[10:11], v[71:72], off
	s_or_b32 exec_lo, exec_lo, s17
	s_and_saveexec_b32 s17, s8
	s_cbranch_execz .LBB486_266
.LBB486_325:
	v_sub_nc_u32_e32 v10, v45, v8
	v_mov_b32_e32 v11, 0
	s_delay_alu instid0(VALU_DEP_1) | instskip(NEXT) | instid1(VALU_DEP_1)
	v_lshlrev_b64 v[10:11], 3, v[10:11]
	v_add_co_u32 v10, vcc_lo, v6, v10
	s_delay_alu instid0(VALU_DEP_2)
	v_add_co_ci_u32_e32 v11, vcc_lo, v7, v11, vcc_lo
	global_store_b64 v[10:11], v[77:78], off
	s_or_b32 exec_lo, exec_lo, s17
	s_and_saveexec_b32 s17, s7
	s_cbranch_execz .LBB486_267
.LBB486_326:
	v_sub_nc_u32_e32 v10, v44, v8
	v_mov_b32_e32 v11, 0
	s_delay_alu instid0(VALU_DEP_1) | instskip(NEXT) | instid1(VALU_DEP_1)
	v_lshlrev_b64 v[10:11], 3, v[10:11]
	v_add_co_u32 v10, vcc_lo, v6, v10
	s_delay_alu instid0(VALU_DEP_2)
	v_add_co_ci_u32_e32 v11, vcc_lo, v7, v11, vcc_lo
	global_store_b64 v[10:11], v[83:84], off
	s_or_b32 exec_lo, exec_lo, s17
	s_and_saveexec_b32 s17, s6
	s_cbranch_execz .LBB486_268
.LBB486_327:
	v_sub_nc_u32_e32 v10, v43, v8
	v_mov_b32_e32 v11, 0
	s_delay_alu instid0(VALU_DEP_1) | instskip(NEXT) | instid1(VALU_DEP_1)
	v_lshlrev_b64 v[10:11], 3, v[10:11]
	v_add_co_u32 v10, vcc_lo, v6, v10
	s_delay_alu instid0(VALU_DEP_2)
	v_add_co_ci_u32_e32 v11, vcc_lo, v7, v11, vcc_lo
	global_store_b64 v[10:11], v[87:88], off
	s_or_b32 exec_lo, exec_lo, s17
	s_and_saveexec_b32 s17, s5
	s_cbranch_execz .LBB486_269
.LBB486_328:
	v_sub_nc_u32_e32 v10, v42, v8
	v_mov_b32_e32 v11, 0
	s_delay_alu instid0(VALU_DEP_1) | instskip(NEXT) | instid1(VALU_DEP_1)
	v_lshlrev_b64 v[10:11], 3, v[10:11]
	v_add_co_u32 v10, vcc_lo, v6, v10
	s_delay_alu instid0(VALU_DEP_2)
	v_add_co_ci_u32_e32 v11, vcc_lo, v7, v11, vcc_lo
	global_store_b64 v[10:11], v[69:70], off
	s_or_b32 exec_lo, exec_lo, s17
	s_and_saveexec_b32 s17, s4
	s_cbranch_execz .LBB486_270
.LBB486_329:
	v_sub_nc_u32_e32 v10, v41, v8
	v_mov_b32_e32 v11, 0
	s_delay_alu instid0(VALU_DEP_1) | instskip(NEXT) | instid1(VALU_DEP_1)
	v_lshlrev_b64 v[10:11], 3, v[10:11]
	v_add_co_u32 v10, vcc_lo, v6, v10
	s_delay_alu instid0(VALU_DEP_2)
	v_add_co_ci_u32_e32 v11, vcc_lo, v7, v11, vcc_lo
	global_store_b64 v[10:11], v[73:74], off
	s_or_b32 exec_lo, exec_lo, s17
	s_and_saveexec_b32 s17, s3
	s_cbranch_execz .LBB486_271
.LBB486_330:
	v_sub_nc_u32_e32 v10, v40, v8
	v_mov_b32_e32 v11, 0
	s_delay_alu instid0(VALU_DEP_1) | instskip(NEXT) | instid1(VALU_DEP_1)
	v_lshlrev_b64 v[10:11], 3, v[10:11]
	v_add_co_u32 v10, vcc_lo, v6, v10
	s_delay_alu instid0(VALU_DEP_2)
	v_add_co_ci_u32_e32 v11, vcc_lo, v7, v11, vcc_lo
	global_store_b64 v[10:11], v[89:90], off
	s_or_b32 exec_lo, exec_lo, s17
	s_and_saveexec_b32 s17, s2
	s_cbranch_execz .LBB486_272
.LBB486_331:
	v_sub_nc_u32_e32 v10, v39, v8
	v_mov_b32_e32 v11, 0
	s_delay_alu instid0(VALU_DEP_1) | instskip(NEXT) | instid1(VALU_DEP_1)
	v_lshlrev_b64 v[10:11], 3, v[10:11]
	v_add_co_u32 v10, vcc_lo, v6, v10
	s_delay_alu instid0(VALU_DEP_2)
	v_add_co_ci_u32_e32 v11, vcc_lo, v7, v11, vcc_lo
	global_store_b64 v[10:11], v[91:92], off
	s_or_b32 exec_lo, exec_lo, s17
	s_and_saveexec_b32 s17, s1
	s_cbranch_execnz .LBB486_273
	s_branch .LBB486_274
.LBB486_332:
	v_sub_nc_u32_e32 v9, v114, v8
	s_delay_alu instid0(VALU_DEP_1)
	v_lshlrev_b32_e32 v9, 3, v9
	ds_store_b64 v9, v[79:80]
	s_or_b32 exec_lo, exec_lo, s17
	s_and_saveexec_b32 s14, s13
	s_cbranch_execz .LBB486_278
.LBB486_333:
	v_sub_nc_u32_e32 v9, v48, v8
	s_delay_alu instid0(VALU_DEP_1)
	v_lshlrev_b32_e32 v9, 3, v9
	ds_store_b64 v9, v[75:76]
	s_or_b32 exec_lo, exec_lo, s14
	s_and_saveexec_b32 s13, s12
	s_cbranch_execz .LBB486_279
.LBB486_334:
	v_sub_nc_u32_e32 v9, v50, v8
	s_delay_alu instid0(VALU_DEP_1)
	v_lshlrev_b32_e32 v9, 3, v9
	ds_store_b64 v9, v[81:82]
	s_or_b32 exec_lo, exec_lo, s13
	s_and_saveexec_b32 s12, s11
	s_cbranch_execz .LBB486_280
.LBB486_335:
	v_sub_nc_u32_e32 v9, v49, v8
	s_delay_alu instid0(VALU_DEP_1)
	v_lshlrev_b32_e32 v9, 3, v9
	ds_store_b64 v9, v[85:86]
	s_or_b32 exec_lo, exec_lo, s12
	s_and_saveexec_b32 s11, s10
	s_cbranch_execz .LBB486_281
.LBB486_336:
	v_sub_nc_u32_e32 v9, v47, v8
	s_delay_alu instid0(VALU_DEP_1)
	v_lshlrev_b32_e32 v9, 3, v9
	ds_store_b64 v9, v[67:68]
	s_or_b32 exec_lo, exec_lo, s11
	s_and_saveexec_b32 s10, s9
	s_cbranch_execz .LBB486_282
.LBB486_337:
	v_sub_nc_u32_e32 v9, v46, v8
	s_delay_alu instid0(VALU_DEP_1)
	v_lshlrev_b32_e32 v9, 3, v9
	ds_store_b64 v9, v[71:72]
	s_or_b32 exec_lo, exec_lo, s10
	s_and_saveexec_b32 s9, s8
	s_cbranch_execz .LBB486_283
.LBB486_338:
	v_sub_nc_u32_e32 v9, v45, v8
	s_delay_alu instid0(VALU_DEP_1)
	v_lshlrev_b32_e32 v9, 3, v9
	ds_store_b64 v9, v[77:78]
	s_or_b32 exec_lo, exec_lo, s9
	s_and_saveexec_b32 s8, s7
	s_cbranch_execz .LBB486_284
.LBB486_339:
	v_sub_nc_u32_e32 v9, v44, v8
	s_delay_alu instid0(VALU_DEP_1)
	v_lshlrev_b32_e32 v9, 3, v9
	ds_store_b64 v9, v[83:84]
	s_or_b32 exec_lo, exec_lo, s8
	s_and_saveexec_b32 s7, s6
	s_cbranch_execz .LBB486_285
.LBB486_340:
	v_sub_nc_u32_e32 v9, v43, v8
	s_delay_alu instid0(VALU_DEP_1)
	v_lshlrev_b32_e32 v9, 3, v9
	ds_store_b64 v9, v[87:88]
	s_or_b32 exec_lo, exec_lo, s7
	s_and_saveexec_b32 s6, s5
	s_cbranch_execz .LBB486_286
.LBB486_341:
	v_sub_nc_u32_e32 v9, v42, v8
	s_delay_alu instid0(VALU_DEP_1)
	v_lshlrev_b32_e32 v9, 3, v9
	ds_store_b64 v9, v[69:70]
	s_or_b32 exec_lo, exec_lo, s6
	s_and_saveexec_b32 s5, s4
	s_cbranch_execz .LBB486_287
.LBB486_342:
	v_sub_nc_u32_e32 v9, v41, v8
	s_delay_alu instid0(VALU_DEP_1)
	v_lshlrev_b32_e32 v9, 3, v9
	ds_store_b64 v9, v[73:74]
	s_or_b32 exec_lo, exec_lo, s5
	s_and_saveexec_b32 s4, s3
	s_cbranch_execz .LBB486_288
.LBB486_343:
	v_sub_nc_u32_e32 v9, v40, v8
	s_delay_alu instid0(VALU_DEP_1)
	v_lshlrev_b32_e32 v9, 3, v9
	ds_store_b64 v9, v[89:90]
	s_or_b32 exec_lo, exec_lo, s4
	s_and_saveexec_b32 s3, s2
	s_cbranch_execz .LBB486_289
.LBB486_344:
	v_sub_nc_u32_e32 v9, v39, v8
	s_delay_alu instid0(VALU_DEP_1)
	v_lshlrev_b32_e32 v9, 3, v9
	ds_store_b64 v9, v[91:92]
	s_or_b32 exec_lo, exec_lo, s3
	s_and_saveexec_b32 s2, s1
	s_cbranch_execnz .LBB486_290
	s_branch .LBB486_291
	.section	.rodata,"a",@progbits
	.p2align	6, 0x0
	.amdhsa_kernel _ZN7rocprim17ROCPRIM_400000_NS6detail17trampoline_kernelINS0_14default_configENS1_29reduce_by_key_config_selectorIxxN6thrust23THRUST_200600_302600_NS4plusIxEEEEZZNS1_33reduce_by_key_impl_wrapped_configILNS1_25lookback_scan_determinismE0ES3_S9_NS6_6detail15normal_iteratorINS6_10device_ptrIxEEEESG_SG_SG_PmS8_NS6_8equal_toIxEEEE10hipError_tPvRmT2_T3_mT4_T5_T6_T7_T8_P12ihipStream_tbENKUlT_T0_E_clISt17integral_constantIbLb1EES11_EEDaSW_SX_EUlSW_E_NS1_11comp_targetILNS1_3genE9ELNS1_11target_archE1100ELNS1_3gpuE3ELNS1_3repE0EEENS1_30default_config_static_selectorELNS0_4arch9wavefront6targetE0EEEvT1_
		.amdhsa_group_segment_fixed_size 30720
		.amdhsa_private_segment_fixed_size 0
		.amdhsa_kernarg_size 136
		.amdhsa_user_sgpr_count 15
		.amdhsa_user_sgpr_dispatch_ptr 0
		.amdhsa_user_sgpr_queue_ptr 0
		.amdhsa_user_sgpr_kernarg_segment_ptr 1
		.amdhsa_user_sgpr_dispatch_id 0
		.amdhsa_user_sgpr_private_segment_size 0
		.amdhsa_wavefront_size32 1
		.amdhsa_uses_dynamic_stack 0
		.amdhsa_enable_private_segment 0
		.amdhsa_system_sgpr_workgroup_id_x 1
		.amdhsa_system_sgpr_workgroup_id_y 0
		.amdhsa_system_sgpr_workgroup_id_z 0
		.amdhsa_system_sgpr_workgroup_info 0
		.amdhsa_system_vgpr_workitem_id 0
		.amdhsa_next_free_vgpr 121
		.amdhsa_next_free_sgpr 53
		.amdhsa_reserve_vcc 1
		.amdhsa_float_round_mode_32 0
		.amdhsa_float_round_mode_16_64 0
		.amdhsa_float_denorm_mode_32 3
		.amdhsa_float_denorm_mode_16_64 3
		.amdhsa_dx10_clamp 1
		.amdhsa_ieee_mode 1
		.amdhsa_fp16_overflow 0
		.amdhsa_workgroup_processor_mode 1
		.amdhsa_memory_ordered 1
		.amdhsa_forward_progress 0
		.amdhsa_shared_vgpr_count 0
		.amdhsa_exception_fp_ieee_invalid_op 0
		.amdhsa_exception_fp_denorm_src 0
		.amdhsa_exception_fp_ieee_div_zero 0
		.amdhsa_exception_fp_ieee_overflow 0
		.amdhsa_exception_fp_ieee_underflow 0
		.amdhsa_exception_fp_ieee_inexact 0
		.amdhsa_exception_int_div_zero 0
	.end_amdhsa_kernel
	.section	.text._ZN7rocprim17ROCPRIM_400000_NS6detail17trampoline_kernelINS0_14default_configENS1_29reduce_by_key_config_selectorIxxN6thrust23THRUST_200600_302600_NS4plusIxEEEEZZNS1_33reduce_by_key_impl_wrapped_configILNS1_25lookback_scan_determinismE0ES3_S9_NS6_6detail15normal_iteratorINS6_10device_ptrIxEEEESG_SG_SG_PmS8_NS6_8equal_toIxEEEE10hipError_tPvRmT2_T3_mT4_T5_T6_T7_T8_P12ihipStream_tbENKUlT_T0_E_clISt17integral_constantIbLb1EES11_EEDaSW_SX_EUlSW_E_NS1_11comp_targetILNS1_3genE9ELNS1_11target_archE1100ELNS1_3gpuE3ELNS1_3repE0EEENS1_30default_config_static_selectorELNS0_4arch9wavefront6targetE0EEEvT1_,"axG",@progbits,_ZN7rocprim17ROCPRIM_400000_NS6detail17trampoline_kernelINS0_14default_configENS1_29reduce_by_key_config_selectorIxxN6thrust23THRUST_200600_302600_NS4plusIxEEEEZZNS1_33reduce_by_key_impl_wrapped_configILNS1_25lookback_scan_determinismE0ES3_S9_NS6_6detail15normal_iteratorINS6_10device_ptrIxEEEESG_SG_SG_PmS8_NS6_8equal_toIxEEEE10hipError_tPvRmT2_T3_mT4_T5_T6_T7_T8_P12ihipStream_tbENKUlT_T0_E_clISt17integral_constantIbLb1EES11_EEDaSW_SX_EUlSW_E_NS1_11comp_targetILNS1_3genE9ELNS1_11target_archE1100ELNS1_3gpuE3ELNS1_3repE0EEENS1_30default_config_static_selectorELNS0_4arch9wavefront6targetE0EEEvT1_,comdat
.Lfunc_end486:
	.size	_ZN7rocprim17ROCPRIM_400000_NS6detail17trampoline_kernelINS0_14default_configENS1_29reduce_by_key_config_selectorIxxN6thrust23THRUST_200600_302600_NS4plusIxEEEEZZNS1_33reduce_by_key_impl_wrapped_configILNS1_25lookback_scan_determinismE0ES3_S9_NS6_6detail15normal_iteratorINS6_10device_ptrIxEEEESG_SG_SG_PmS8_NS6_8equal_toIxEEEE10hipError_tPvRmT2_T3_mT4_T5_T6_T7_T8_P12ihipStream_tbENKUlT_T0_E_clISt17integral_constantIbLb1EES11_EEDaSW_SX_EUlSW_E_NS1_11comp_targetILNS1_3genE9ELNS1_11target_archE1100ELNS1_3gpuE3ELNS1_3repE0EEENS1_30default_config_static_selectorELNS0_4arch9wavefront6targetE0EEEvT1_, .Lfunc_end486-_ZN7rocprim17ROCPRIM_400000_NS6detail17trampoline_kernelINS0_14default_configENS1_29reduce_by_key_config_selectorIxxN6thrust23THRUST_200600_302600_NS4plusIxEEEEZZNS1_33reduce_by_key_impl_wrapped_configILNS1_25lookback_scan_determinismE0ES3_S9_NS6_6detail15normal_iteratorINS6_10device_ptrIxEEEESG_SG_SG_PmS8_NS6_8equal_toIxEEEE10hipError_tPvRmT2_T3_mT4_T5_T6_T7_T8_P12ihipStream_tbENKUlT_T0_E_clISt17integral_constantIbLb1EES11_EEDaSW_SX_EUlSW_E_NS1_11comp_targetILNS1_3genE9ELNS1_11target_archE1100ELNS1_3gpuE3ELNS1_3repE0EEENS1_30default_config_static_selectorELNS0_4arch9wavefront6targetE0EEEvT1_
                                        ; -- End function
	.section	.AMDGPU.csdata,"",@progbits
; Kernel info:
; codeLenInByte = 19288
; NumSgprs: 55
; NumVgprs: 121
; ScratchSize: 0
; MemoryBound: 0
; FloatMode: 240
; IeeeMode: 1
; LDSByteSize: 30720 bytes/workgroup (compile time only)
; SGPRBlocks: 6
; VGPRBlocks: 15
; NumSGPRsForWavesPerEU: 55
; NumVGPRsForWavesPerEU: 121
; Occupancy: 8
; WaveLimiterHint : 1
; COMPUTE_PGM_RSRC2:SCRATCH_EN: 0
; COMPUTE_PGM_RSRC2:USER_SGPR: 15
; COMPUTE_PGM_RSRC2:TRAP_HANDLER: 0
; COMPUTE_PGM_RSRC2:TGID_X_EN: 1
; COMPUTE_PGM_RSRC2:TGID_Y_EN: 0
; COMPUTE_PGM_RSRC2:TGID_Z_EN: 0
; COMPUTE_PGM_RSRC2:TIDIG_COMP_CNT: 0
	.section	.text._ZN7rocprim17ROCPRIM_400000_NS6detail17trampoline_kernelINS0_14default_configENS1_29reduce_by_key_config_selectorIxxN6thrust23THRUST_200600_302600_NS4plusIxEEEEZZNS1_33reduce_by_key_impl_wrapped_configILNS1_25lookback_scan_determinismE0ES3_S9_NS6_6detail15normal_iteratorINS6_10device_ptrIxEEEESG_SG_SG_PmS8_NS6_8equal_toIxEEEE10hipError_tPvRmT2_T3_mT4_T5_T6_T7_T8_P12ihipStream_tbENKUlT_T0_E_clISt17integral_constantIbLb1EES11_EEDaSW_SX_EUlSW_E_NS1_11comp_targetILNS1_3genE8ELNS1_11target_archE1030ELNS1_3gpuE2ELNS1_3repE0EEENS1_30default_config_static_selectorELNS0_4arch9wavefront6targetE0EEEvT1_,"axG",@progbits,_ZN7rocprim17ROCPRIM_400000_NS6detail17trampoline_kernelINS0_14default_configENS1_29reduce_by_key_config_selectorIxxN6thrust23THRUST_200600_302600_NS4plusIxEEEEZZNS1_33reduce_by_key_impl_wrapped_configILNS1_25lookback_scan_determinismE0ES3_S9_NS6_6detail15normal_iteratorINS6_10device_ptrIxEEEESG_SG_SG_PmS8_NS6_8equal_toIxEEEE10hipError_tPvRmT2_T3_mT4_T5_T6_T7_T8_P12ihipStream_tbENKUlT_T0_E_clISt17integral_constantIbLb1EES11_EEDaSW_SX_EUlSW_E_NS1_11comp_targetILNS1_3genE8ELNS1_11target_archE1030ELNS1_3gpuE2ELNS1_3repE0EEENS1_30default_config_static_selectorELNS0_4arch9wavefront6targetE0EEEvT1_,comdat
	.protected	_ZN7rocprim17ROCPRIM_400000_NS6detail17trampoline_kernelINS0_14default_configENS1_29reduce_by_key_config_selectorIxxN6thrust23THRUST_200600_302600_NS4plusIxEEEEZZNS1_33reduce_by_key_impl_wrapped_configILNS1_25lookback_scan_determinismE0ES3_S9_NS6_6detail15normal_iteratorINS6_10device_ptrIxEEEESG_SG_SG_PmS8_NS6_8equal_toIxEEEE10hipError_tPvRmT2_T3_mT4_T5_T6_T7_T8_P12ihipStream_tbENKUlT_T0_E_clISt17integral_constantIbLb1EES11_EEDaSW_SX_EUlSW_E_NS1_11comp_targetILNS1_3genE8ELNS1_11target_archE1030ELNS1_3gpuE2ELNS1_3repE0EEENS1_30default_config_static_selectorELNS0_4arch9wavefront6targetE0EEEvT1_ ; -- Begin function _ZN7rocprim17ROCPRIM_400000_NS6detail17trampoline_kernelINS0_14default_configENS1_29reduce_by_key_config_selectorIxxN6thrust23THRUST_200600_302600_NS4plusIxEEEEZZNS1_33reduce_by_key_impl_wrapped_configILNS1_25lookback_scan_determinismE0ES3_S9_NS6_6detail15normal_iteratorINS6_10device_ptrIxEEEESG_SG_SG_PmS8_NS6_8equal_toIxEEEE10hipError_tPvRmT2_T3_mT4_T5_T6_T7_T8_P12ihipStream_tbENKUlT_T0_E_clISt17integral_constantIbLb1EES11_EEDaSW_SX_EUlSW_E_NS1_11comp_targetILNS1_3genE8ELNS1_11target_archE1030ELNS1_3gpuE2ELNS1_3repE0EEENS1_30default_config_static_selectorELNS0_4arch9wavefront6targetE0EEEvT1_
	.globl	_ZN7rocprim17ROCPRIM_400000_NS6detail17trampoline_kernelINS0_14default_configENS1_29reduce_by_key_config_selectorIxxN6thrust23THRUST_200600_302600_NS4plusIxEEEEZZNS1_33reduce_by_key_impl_wrapped_configILNS1_25lookback_scan_determinismE0ES3_S9_NS6_6detail15normal_iteratorINS6_10device_ptrIxEEEESG_SG_SG_PmS8_NS6_8equal_toIxEEEE10hipError_tPvRmT2_T3_mT4_T5_T6_T7_T8_P12ihipStream_tbENKUlT_T0_E_clISt17integral_constantIbLb1EES11_EEDaSW_SX_EUlSW_E_NS1_11comp_targetILNS1_3genE8ELNS1_11target_archE1030ELNS1_3gpuE2ELNS1_3repE0EEENS1_30default_config_static_selectorELNS0_4arch9wavefront6targetE0EEEvT1_
	.p2align	8
	.type	_ZN7rocprim17ROCPRIM_400000_NS6detail17trampoline_kernelINS0_14default_configENS1_29reduce_by_key_config_selectorIxxN6thrust23THRUST_200600_302600_NS4plusIxEEEEZZNS1_33reduce_by_key_impl_wrapped_configILNS1_25lookback_scan_determinismE0ES3_S9_NS6_6detail15normal_iteratorINS6_10device_ptrIxEEEESG_SG_SG_PmS8_NS6_8equal_toIxEEEE10hipError_tPvRmT2_T3_mT4_T5_T6_T7_T8_P12ihipStream_tbENKUlT_T0_E_clISt17integral_constantIbLb1EES11_EEDaSW_SX_EUlSW_E_NS1_11comp_targetILNS1_3genE8ELNS1_11target_archE1030ELNS1_3gpuE2ELNS1_3repE0EEENS1_30default_config_static_selectorELNS0_4arch9wavefront6targetE0EEEvT1_,@function
_ZN7rocprim17ROCPRIM_400000_NS6detail17trampoline_kernelINS0_14default_configENS1_29reduce_by_key_config_selectorIxxN6thrust23THRUST_200600_302600_NS4plusIxEEEEZZNS1_33reduce_by_key_impl_wrapped_configILNS1_25lookback_scan_determinismE0ES3_S9_NS6_6detail15normal_iteratorINS6_10device_ptrIxEEEESG_SG_SG_PmS8_NS6_8equal_toIxEEEE10hipError_tPvRmT2_T3_mT4_T5_T6_T7_T8_P12ihipStream_tbENKUlT_T0_E_clISt17integral_constantIbLb1EES11_EEDaSW_SX_EUlSW_E_NS1_11comp_targetILNS1_3genE8ELNS1_11target_archE1030ELNS1_3gpuE2ELNS1_3repE0EEENS1_30default_config_static_selectorELNS0_4arch9wavefront6targetE0EEEvT1_: ; @_ZN7rocprim17ROCPRIM_400000_NS6detail17trampoline_kernelINS0_14default_configENS1_29reduce_by_key_config_selectorIxxN6thrust23THRUST_200600_302600_NS4plusIxEEEEZZNS1_33reduce_by_key_impl_wrapped_configILNS1_25lookback_scan_determinismE0ES3_S9_NS6_6detail15normal_iteratorINS6_10device_ptrIxEEEESG_SG_SG_PmS8_NS6_8equal_toIxEEEE10hipError_tPvRmT2_T3_mT4_T5_T6_T7_T8_P12ihipStream_tbENKUlT_T0_E_clISt17integral_constantIbLb1EES11_EEDaSW_SX_EUlSW_E_NS1_11comp_targetILNS1_3genE8ELNS1_11target_archE1030ELNS1_3gpuE2ELNS1_3repE0EEENS1_30default_config_static_selectorELNS0_4arch9wavefront6targetE0EEEvT1_
; %bb.0:
	.section	.rodata,"a",@progbits
	.p2align	6, 0x0
	.amdhsa_kernel _ZN7rocprim17ROCPRIM_400000_NS6detail17trampoline_kernelINS0_14default_configENS1_29reduce_by_key_config_selectorIxxN6thrust23THRUST_200600_302600_NS4plusIxEEEEZZNS1_33reduce_by_key_impl_wrapped_configILNS1_25lookback_scan_determinismE0ES3_S9_NS6_6detail15normal_iteratorINS6_10device_ptrIxEEEESG_SG_SG_PmS8_NS6_8equal_toIxEEEE10hipError_tPvRmT2_T3_mT4_T5_T6_T7_T8_P12ihipStream_tbENKUlT_T0_E_clISt17integral_constantIbLb1EES11_EEDaSW_SX_EUlSW_E_NS1_11comp_targetILNS1_3genE8ELNS1_11target_archE1030ELNS1_3gpuE2ELNS1_3repE0EEENS1_30default_config_static_selectorELNS0_4arch9wavefront6targetE0EEEvT1_
		.amdhsa_group_segment_fixed_size 0
		.amdhsa_private_segment_fixed_size 0
		.amdhsa_kernarg_size 136
		.amdhsa_user_sgpr_count 15
		.amdhsa_user_sgpr_dispatch_ptr 0
		.amdhsa_user_sgpr_queue_ptr 0
		.amdhsa_user_sgpr_kernarg_segment_ptr 1
		.amdhsa_user_sgpr_dispatch_id 0
		.amdhsa_user_sgpr_private_segment_size 0
		.amdhsa_wavefront_size32 1
		.amdhsa_uses_dynamic_stack 0
		.amdhsa_enable_private_segment 0
		.amdhsa_system_sgpr_workgroup_id_x 1
		.amdhsa_system_sgpr_workgroup_id_y 0
		.amdhsa_system_sgpr_workgroup_id_z 0
		.amdhsa_system_sgpr_workgroup_info 0
		.amdhsa_system_vgpr_workitem_id 0
		.amdhsa_next_free_vgpr 1
		.amdhsa_next_free_sgpr 1
		.amdhsa_reserve_vcc 0
		.amdhsa_float_round_mode_32 0
		.amdhsa_float_round_mode_16_64 0
		.amdhsa_float_denorm_mode_32 3
		.amdhsa_float_denorm_mode_16_64 3
		.amdhsa_dx10_clamp 1
		.amdhsa_ieee_mode 1
		.amdhsa_fp16_overflow 0
		.amdhsa_workgroup_processor_mode 1
		.amdhsa_memory_ordered 1
		.amdhsa_forward_progress 0
		.amdhsa_shared_vgpr_count 0
		.amdhsa_exception_fp_ieee_invalid_op 0
		.amdhsa_exception_fp_denorm_src 0
		.amdhsa_exception_fp_ieee_div_zero 0
		.amdhsa_exception_fp_ieee_overflow 0
		.amdhsa_exception_fp_ieee_underflow 0
		.amdhsa_exception_fp_ieee_inexact 0
		.amdhsa_exception_int_div_zero 0
	.end_amdhsa_kernel
	.section	.text._ZN7rocprim17ROCPRIM_400000_NS6detail17trampoline_kernelINS0_14default_configENS1_29reduce_by_key_config_selectorIxxN6thrust23THRUST_200600_302600_NS4plusIxEEEEZZNS1_33reduce_by_key_impl_wrapped_configILNS1_25lookback_scan_determinismE0ES3_S9_NS6_6detail15normal_iteratorINS6_10device_ptrIxEEEESG_SG_SG_PmS8_NS6_8equal_toIxEEEE10hipError_tPvRmT2_T3_mT4_T5_T6_T7_T8_P12ihipStream_tbENKUlT_T0_E_clISt17integral_constantIbLb1EES11_EEDaSW_SX_EUlSW_E_NS1_11comp_targetILNS1_3genE8ELNS1_11target_archE1030ELNS1_3gpuE2ELNS1_3repE0EEENS1_30default_config_static_selectorELNS0_4arch9wavefront6targetE0EEEvT1_,"axG",@progbits,_ZN7rocprim17ROCPRIM_400000_NS6detail17trampoline_kernelINS0_14default_configENS1_29reduce_by_key_config_selectorIxxN6thrust23THRUST_200600_302600_NS4plusIxEEEEZZNS1_33reduce_by_key_impl_wrapped_configILNS1_25lookback_scan_determinismE0ES3_S9_NS6_6detail15normal_iteratorINS6_10device_ptrIxEEEESG_SG_SG_PmS8_NS6_8equal_toIxEEEE10hipError_tPvRmT2_T3_mT4_T5_T6_T7_T8_P12ihipStream_tbENKUlT_T0_E_clISt17integral_constantIbLb1EES11_EEDaSW_SX_EUlSW_E_NS1_11comp_targetILNS1_3genE8ELNS1_11target_archE1030ELNS1_3gpuE2ELNS1_3repE0EEENS1_30default_config_static_selectorELNS0_4arch9wavefront6targetE0EEEvT1_,comdat
.Lfunc_end487:
	.size	_ZN7rocprim17ROCPRIM_400000_NS6detail17trampoline_kernelINS0_14default_configENS1_29reduce_by_key_config_selectorIxxN6thrust23THRUST_200600_302600_NS4plusIxEEEEZZNS1_33reduce_by_key_impl_wrapped_configILNS1_25lookback_scan_determinismE0ES3_S9_NS6_6detail15normal_iteratorINS6_10device_ptrIxEEEESG_SG_SG_PmS8_NS6_8equal_toIxEEEE10hipError_tPvRmT2_T3_mT4_T5_T6_T7_T8_P12ihipStream_tbENKUlT_T0_E_clISt17integral_constantIbLb1EES11_EEDaSW_SX_EUlSW_E_NS1_11comp_targetILNS1_3genE8ELNS1_11target_archE1030ELNS1_3gpuE2ELNS1_3repE0EEENS1_30default_config_static_selectorELNS0_4arch9wavefront6targetE0EEEvT1_, .Lfunc_end487-_ZN7rocprim17ROCPRIM_400000_NS6detail17trampoline_kernelINS0_14default_configENS1_29reduce_by_key_config_selectorIxxN6thrust23THRUST_200600_302600_NS4plusIxEEEEZZNS1_33reduce_by_key_impl_wrapped_configILNS1_25lookback_scan_determinismE0ES3_S9_NS6_6detail15normal_iteratorINS6_10device_ptrIxEEEESG_SG_SG_PmS8_NS6_8equal_toIxEEEE10hipError_tPvRmT2_T3_mT4_T5_T6_T7_T8_P12ihipStream_tbENKUlT_T0_E_clISt17integral_constantIbLb1EES11_EEDaSW_SX_EUlSW_E_NS1_11comp_targetILNS1_3genE8ELNS1_11target_archE1030ELNS1_3gpuE2ELNS1_3repE0EEENS1_30default_config_static_selectorELNS0_4arch9wavefront6targetE0EEEvT1_
                                        ; -- End function
	.section	.AMDGPU.csdata,"",@progbits
; Kernel info:
; codeLenInByte = 0
; NumSgprs: 0
; NumVgprs: 0
; ScratchSize: 0
; MemoryBound: 0
; FloatMode: 240
; IeeeMode: 1
; LDSByteSize: 0 bytes/workgroup (compile time only)
; SGPRBlocks: 0
; VGPRBlocks: 0
; NumSGPRsForWavesPerEU: 1
; NumVGPRsForWavesPerEU: 1
; Occupancy: 16
; WaveLimiterHint : 0
; COMPUTE_PGM_RSRC2:SCRATCH_EN: 0
; COMPUTE_PGM_RSRC2:USER_SGPR: 15
; COMPUTE_PGM_RSRC2:TRAP_HANDLER: 0
; COMPUTE_PGM_RSRC2:TGID_X_EN: 1
; COMPUTE_PGM_RSRC2:TGID_Y_EN: 0
; COMPUTE_PGM_RSRC2:TGID_Z_EN: 0
; COMPUTE_PGM_RSRC2:TIDIG_COMP_CNT: 0
	.section	.text._ZN7rocprim17ROCPRIM_400000_NS6detail25reduce_by_key_init_kernelINS1_19lookback_scan_stateINS0_5tupleIJjxEEELb1ELb0EEExNS1_16block_id_wrapperIjLb0EEEEEvT_jbjPmPT0_T1_,"axG",@progbits,_ZN7rocprim17ROCPRIM_400000_NS6detail25reduce_by_key_init_kernelINS1_19lookback_scan_stateINS0_5tupleIJjxEEELb1ELb0EEExNS1_16block_id_wrapperIjLb0EEEEEvT_jbjPmPT0_T1_,comdat
	.protected	_ZN7rocprim17ROCPRIM_400000_NS6detail25reduce_by_key_init_kernelINS1_19lookback_scan_stateINS0_5tupleIJjxEEELb1ELb0EEExNS1_16block_id_wrapperIjLb0EEEEEvT_jbjPmPT0_T1_ ; -- Begin function _ZN7rocprim17ROCPRIM_400000_NS6detail25reduce_by_key_init_kernelINS1_19lookback_scan_stateINS0_5tupleIJjxEEELb1ELb0EEExNS1_16block_id_wrapperIjLb0EEEEEvT_jbjPmPT0_T1_
	.globl	_ZN7rocprim17ROCPRIM_400000_NS6detail25reduce_by_key_init_kernelINS1_19lookback_scan_stateINS0_5tupleIJjxEEELb1ELb0EEExNS1_16block_id_wrapperIjLb0EEEEEvT_jbjPmPT0_T1_
	.p2align	8
	.type	_ZN7rocprim17ROCPRIM_400000_NS6detail25reduce_by_key_init_kernelINS1_19lookback_scan_stateINS0_5tupleIJjxEEELb1ELb0EEExNS1_16block_id_wrapperIjLb0EEEEEvT_jbjPmPT0_T1_,@function
_ZN7rocprim17ROCPRIM_400000_NS6detail25reduce_by_key_init_kernelINS1_19lookback_scan_stateINS0_5tupleIJjxEEELb1ELb0EEExNS1_16block_id_wrapperIjLb0EEEEEvT_jbjPmPT0_T1_: ; @_ZN7rocprim17ROCPRIM_400000_NS6detail25reduce_by_key_init_kernelINS1_19lookback_scan_stateINS0_5tupleIJjxEEELb1ELb0EEExNS1_16block_id_wrapperIjLb0EEEEEvT_jbjPmPT0_T1_
; %bb.0:
	s_clause 0x2
	s_load_b32 s2, s[0:1], 0x4c
	s_load_b256 s[4:11], s[0:1], 0x18
	s_load_b64 s[12:13], s[0:1], 0x10
	s_waitcnt lgkmcnt(0)
	s_and_b32 s2, s2, 0xffff
	s_delay_alu instid0(SALU_CYCLE_1) | instskip(SKIP_1) | instid1(SALU_CYCLE_1)
	v_mad_u64_u32 v[1:2], null, s15, s2, v[0:1]
	s_and_b32 s2, s5, 1
	s_cmp_eq_u32 s2, 0
	s_mov_b32 s2, -1
	s_cbranch_scc1 .LBB488_7
; %bb.1:
	s_and_not1_b32 vcc_lo, exec_lo, s2
	s_cbranch_vccz .LBB488_17
.LBB488_2:
	s_mov_b32 s0, exec_lo
	v_cmpx_gt_u32_e64 s4, v1
	s_cbranch_execz .LBB488_4
.LBB488_3:
	v_add_nc_u32_e32 v0, 32, v1
	v_mov_b32_e32 v2, 0
	global_store_b8 v0, v2, s[12:13]
.LBB488_4:
	s_or_b32 exec_lo, exec_lo, s0
	s_delay_alu instid0(SALU_CYCLE_1)
	s_mov_b32 s0, exec_lo
	v_cmpx_gt_u32_e32 32, v1
	s_cbranch_execz .LBB488_6
; %bb.5:
	v_mov_b32_e32 v0, 0xff
	global_store_b8 v1, v0, s[12:13]
.LBB488_6:
	s_nop 0
	s_sendmsg sendmsg(MSG_DEALLOC_VGPRS)
	s_endpgm
.LBB488_7:
	s_cmp_lt_u32 s6, s4
	s_mov_b32 s5, exec_lo
	s_cselect_b32 s2, s6, 0
	s_delay_alu instid0(SALU_CYCLE_1)
	v_cmpx_eq_u32_e64 s2, v1
	s_cbranch_execz .LBB488_16
; %bb.8:
	s_add_i32 s6, s6, 32
	s_load_b128 s[0:3], s[0:1], 0x0
	v_mov_b32_e32 v0, s6
	s_add_u32 s14, s12, s6
	s_addc_u32 s15, s13, 0
	s_mov_b32 s7, 0
	global_load_u8 v0, v0, s[12:13] glc
	s_waitcnt vmcnt(0)
	v_cmp_ne_u16_e32 vcc_lo, 0, v0
	v_readfirstlane_b32 s16, v0
	s_cbranch_vccz .LBB488_10
; %bb.9:
	s_delay_alu instid0(VALU_DEP_1)
	s_and_b32 s14, 0xffff, s16
	s_branch .LBB488_15
.LBB488_10:
	v_mov_b32_e32 v0, 0
	s_mov_b32 s16, 1
.LBB488_11:                             ; =>This Loop Header: Depth=1
                                        ;     Child Loop BB488_12 Depth 2
	s_delay_alu instid0(SALU_CYCLE_1)
	s_max_u32 s17, s16, 1
.LBB488_12:                             ;   Parent Loop BB488_11 Depth=1
                                        ; =>  This Inner Loop Header: Depth=2
	s_delay_alu instid0(SALU_CYCLE_1)
	s_add_i32 s17, s17, -1
	s_sleep 1
	s_cmp_eq_u32 s17, 0
	s_cbranch_scc0 .LBB488_12
; %bb.13:                               ;   in Loop: Header=BB488_11 Depth=1
	global_load_u8 v2, v0, s[14:15] glc
	s_cmp_lt_u32 s16, 32
	s_cselect_b32 s17, -1, 0
	s_delay_alu instid0(SALU_CYCLE_1)
	s_cmp_lg_u32 s17, 0
	s_addc_u32 s16, s16, 0
	s_waitcnt vmcnt(0)
	v_cmp_ne_u16_e32 vcc_lo, 0, v2
	v_readfirstlane_b32 s17, v2
	s_cbranch_vccz .LBB488_11
; %bb.14:
	s_delay_alu instid0(VALU_DEP_1)
	s_and_b32 s14, 0xffff, s17
.LBB488_15:
	s_delay_alu instid0(SALU_CYCLE_1)
	s_cmp_eq_u32 s14, 1
	v_mov_b32_e32 v0, 0
	s_waitcnt lgkmcnt(0)
	s_cselect_b32 s3, s1, s3
	s_cselect_b32 s2, s0, s2
	s_lshl_b64 s[0:1], s[6:7], 4
	buffer_gl1_inv
	buffer_gl0_inv
	s_add_u32 s0, s2, s0
	s_addc_u32 s1, s3, s1
	s_clause 0x2
	global_load_b64 v[2:3], v0, s[8:9]
	global_load_b32 v6, v0, s[0:1]
	global_load_b64 v[4:5], v0, s[0:1] offset:8
	s_waitcnt vmcnt(1)
	v_add_co_u32 v2, vcc_lo, v2, v6
	v_add_co_ci_u32_e32 v3, vcc_lo, 0, v3, vcc_lo
	global_store_b64 v0, v[2:3], s[8:9]
	s_waitcnt vmcnt(0)
	global_store_b64 v0, v[4:5], s[10:11]
.LBB488_16:
	s_or_b32 exec_lo, exec_lo, s5
	s_cbranch_execnz .LBB488_2
.LBB488_17:
	s_delay_alu instid0(VALU_DEP_1) | instskip(SKIP_2) | instid1(SALU_CYCLE_1)
	v_cmp_eq_u32_e32 vcc_lo, 0, v1
	s_cmp_lg_u64 s[8:9], 0
	s_cselect_b32 s0, -1, 0
	s_and_b32 s1, s0, vcc_lo
	s_delay_alu instid0(SALU_CYCLE_1)
	s_and_saveexec_b32 s0, s1
	s_cbranch_execz .LBB488_19
; %bb.18:
	v_mov_b32_e32 v2, 0
	s_delay_alu instid0(VALU_DEP_1)
	v_mov_b32_e32 v3, v2
	global_store_b64 v2, v[2:3], s[8:9]
.LBB488_19:
	s_or_b32 exec_lo, exec_lo, s0
	s_delay_alu instid0(SALU_CYCLE_1)
	s_mov_b32 s0, exec_lo
	v_cmpx_gt_u32_e64 s4, v1
	s_cbranch_execnz .LBB488_3
	s_branch .LBB488_4
	.section	.rodata,"a",@progbits
	.p2align	6, 0x0
	.amdhsa_kernel _ZN7rocprim17ROCPRIM_400000_NS6detail25reduce_by_key_init_kernelINS1_19lookback_scan_stateINS0_5tupleIJjxEEELb1ELb0EEExNS1_16block_id_wrapperIjLb0EEEEEvT_jbjPmPT0_T1_
		.amdhsa_group_segment_fixed_size 0
		.amdhsa_private_segment_fixed_size 0
		.amdhsa_kernarg_size 320
		.amdhsa_user_sgpr_count 15
		.amdhsa_user_sgpr_dispatch_ptr 0
		.amdhsa_user_sgpr_queue_ptr 0
		.amdhsa_user_sgpr_kernarg_segment_ptr 1
		.amdhsa_user_sgpr_dispatch_id 0
		.amdhsa_user_sgpr_private_segment_size 0
		.amdhsa_wavefront_size32 1
		.amdhsa_uses_dynamic_stack 0
		.amdhsa_enable_private_segment 0
		.amdhsa_system_sgpr_workgroup_id_x 1
		.amdhsa_system_sgpr_workgroup_id_y 0
		.amdhsa_system_sgpr_workgroup_id_z 0
		.amdhsa_system_sgpr_workgroup_info 0
		.amdhsa_system_vgpr_workitem_id 0
		.amdhsa_next_free_vgpr 7
		.amdhsa_next_free_sgpr 18
		.amdhsa_reserve_vcc 1
		.amdhsa_float_round_mode_32 0
		.amdhsa_float_round_mode_16_64 0
		.amdhsa_float_denorm_mode_32 3
		.amdhsa_float_denorm_mode_16_64 3
		.amdhsa_dx10_clamp 1
		.amdhsa_ieee_mode 1
		.amdhsa_fp16_overflow 0
		.amdhsa_workgroup_processor_mode 1
		.amdhsa_memory_ordered 1
		.amdhsa_forward_progress 0
		.amdhsa_shared_vgpr_count 0
		.amdhsa_exception_fp_ieee_invalid_op 0
		.amdhsa_exception_fp_denorm_src 0
		.amdhsa_exception_fp_ieee_div_zero 0
		.amdhsa_exception_fp_ieee_overflow 0
		.amdhsa_exception_fp_ieee_underflow 0
		.amdhsa_exception_fp_ieee_inexact 0
		.amdhsa_exception_int_div_zero 0
	.end_amdhsa_kernel
	.section	.text._ZN7rocprim17ROCPRIM_400000_NS6detail25reduce_by_key_init_kernelINS1_19lookback_scan_stateINS0_5tupleIJjxEEELb1ELb0EEExNS1_16block_id_wrapperIjLb0EEEEEvT_jbjPmPT0_T1_,"axG",@progbits,_ZN7rocprim17ROCPRIM_400000_NS6detail25reduce_by_key_init_kernelINS1_19lookback_scan_stateINS0_5tupleIJjxEEELb1ELb0EEExNS1_16block_id_wrapperIjLb0EEEEEvT_jbjPmPT0_T1_,comdat
.Lfunc_end488:
	.size	_ZN7rocprim17ROCPRIM_400000_NS6detail25reduce_by_key_init_kernelINS1_19lookback_scan_stateINS0_5tupleIJjxEEELb1ELb0EEExNS1_16block_id_wrapperIjLb0EEEEEvT_jbjPmPT0_T1_, .Lfunc_end488-_ZN7rocprim17ROCPRIM_400000_NS6detail25reduce_by_key_init_kernelINS1_19lookback_scan_stateINS0_5tupleIJjxEEELb1ELb0EEExNS1_16block_id_wrapperIjLb0EEEEEvT_jbjPmPT0_T1_
                                        ; -- End function
	.section	.AMDGPU.csdata,"",@progbits
; Kernel info:
; codeLenInByte = 548
; NumSgprs: 20
; NumVgprs: 7
; ScratchSize: 0
; MemoryBound: 0
; FloatMode: 240
; IeeeMode: 1
; LDSByteSize: 0 bytes/workgroup (compile time only)
; SGPRBlocks: 2
; VGPRBlocks: 0
; NumSGPRsForWavesPerEU: 20
; NumVGPRsForWavesPerEU: 7
; Occupancy: 16
; WaveLimiterHint : 0
; COMPUTE_PGM_RSRC2:SCRATCH_EN: 0
; COMPUTE_PGM_RSRC2:USER_SGPR: 15
; COMPUTE_PGM_RSRC2:TRAP_HANDLER: 0
; COMPUTE_PGM_RSRC2:TGID_X_EN: 1
; COMPUTE_PGM_RSRC2:TGID_Y_EN: 0
; COMPUTE_PGM_RSRC2:TGID_Z_EN: 0
; COMPUTE_PGM_RSRC2:TIDIG_COMP_CNT: 0
	.section	.text._ZN7rocprim17ROCPRIM_400000_NS6detail17trampoline_kernelINS0_14default_configENS1_29reduce_by_key_config_selectorIxxN6thrust23THRUST_200600_302600_NS4plusIxEEEEZZNS1_33reduce_by_key_impl_wrapped_configILNS1_25lookback_scan_determinismE0ES3_S9_NS6_6detail15normal_iteratorINS6_10device_ptrIxEEEESG_SG_SG_PmS8_NS6_8equal_toIxEEEE10hipError_tPvRmT2_T3_mT4_T5_T6_T7_T8_P12ihipStream_tbENKUlT_T0_E_clISt17integral_constantIbLb1EES10_IbLb0EEEEDaSW_SX_EUlSW_E_NS1_11comp_targetILNS1_3genE0ELNS1_11target_archE4294967295ELNS1_3gpuE0ELNS1_3repE0EEENS1_30default_config_static_selectorELNS0_4arch9wavefront6targetE0EEEvT1_,"axG",@progbits,_ZN7rocprim17ROCPRIM_400000_NS6detail17trampoline_kernelINS0_14default_configENS1_29reduce_by_key_config_selectorIxxN6thrust23THRUST_200600_302600_NS4plusIxEEEEZZNS1_33reduce_by_key_impl_wrapped_configILNS1_25lookback_scan_determinismE0ES3_S9_NS6_6detail15normal_iteratorINS6_10device_ptrIxEEEESG_SG_SG_PmS8_NS6_8equal_toIxEEEE10hipError_tPvRmT2_T3_mT4_T5_T6_T7_T8_P12ihipStream_tbENKUlT_T0_E_clISt17integral_constantIbLb1EES10_IbLb0EEEEDaSW_SX_EUlSW_E_NS1_11comp_targetILNS1_3genE0ELNS1_11target_archE4294967295ELNS1_3gpuE0ELNS1_3repE0EEENS1_30default_config_static_selectorELNS0_4arch9wavefront6targetE0EEEvT1_,comdat
	.protected	_ZN7rocprim17ROCPRIM_400000_NS6detail17trampoline_kernelINS0_14default_configENS1_29reduce_by_key_config_selectorIxxN6thrust23THRUST_200600_302600_NS4plusIxEEEEZZNS1_33reduce_by_key_impl_wrapped_configILNS1_25lookback_scan_determinismE0ES3_S9_NS6_6detail15normal_iteratorINS6_10device_ptrIxEEEESG_SG_SG_PmS8_NS6_8equal_toIxEEEE10hipError_tPvRmT2_T3_mT4_T5_T6_T7_T8_P12ihipStream_tbENKUlT_T0_E_clISt17integral_constantIbLb1EES10_IbLb0EEEEDaSW_SX_EUlSW_E_NS1_11comp_targetILNS1_3genE0ELNS1_11target_archE4294967295ELNS1_3gpuE0ELNS1_3repE0EEENS1_30default_config_static_selectorELNS0_4arch9wavefront6targetE0EEEvT1_ ; -- Begin function _ZN7rocprim17ROCPRIM_400000_NS6detail17trampoline_kernelINS0_14default_configENS1_29reduce_by_key_config_selectorIxxN6thrust23THRUST_200600_302600_NS4plusIxEEEEZZNS1_33reduce_by_key_impl_wrapped_configILNS1_25lookback_scan_determinismE0ES3_S9_NS6_6detail15normal_iteratorINS6_10device_ptrIxEEEESG_SG_SG_PmS8_NS6_8equal_toIxEEEE10hipError_tPvRmT2_T3_mT4_T5_T6_T7_T8_P12ihipStream_tbENKUlT_T0_E_clISt17integral_constantIbLb1EES10_IbLb0EEEEDaSW_SX_EUlSW_E_NS1_11comp_targetILNS1_3genE0ELNS1_11target_archE4294967295ELNS1_3gpuE0ELNS1_3repE0EEENS1_30default_config_static_selectorELNS0_4arch9wavefront6targetE0EEEvT1_
	.globl	_ZN7rocprim17ROCPRIM_400000_NS6detail17trampoline_kernelINS0_14default_configENS1_29reduce_by_key_config_selectorIxxN6thrust23THRUST_200600_302600_NS4plusIxEEEEZZNS1_33reduce_by_key_impl_wrapped_configILNS1_25lookback_scan_determinismE0ES3_S9_NS6_6detail15normal_iteratorINS6_10device_ptrIxEEEESG_SG_SG_PmS8_NS6_8equal_toIxEEEE10hipError_tPvRmT2_T3_mT4_T5_T6_T7_T8_P12ihipStream_tbENKUlT_T0_E_clISt17integral_constantIbLb1EES10_IbLb0EEEEDaSW_SX_EUlSW_E_NS1_11comp_targetILNS1_3genE0ELNS1_11target_archE4294967295ELNS1_3gpuE0ELNS1_3repE0EEENS1_30default_config_static_selectorELNS0_4arch9wavefront6targetE0EEEvT1_
	.p2align	8
	.type	_ZN7rocprim17ROCPRIM_400000_NS6detail17trampoline_kernelINS0_14default_configENS1_29reduce_by_key_config_selectorIxxN6thrust23THRUST_200600_302600_NS4plusIxEEEEZZNS1_33reduce_by_key_impl_wrapped_configILNS1_25lookback_scan_determinismE0ES3_S9_NS6_6detail15normal_iteratorINS6_10device_ptrIxEEEESG_SG_SG_PmS8_NS6_8equal_toIxEEEE10hipError_tPvRmT2_T3_mT4_T5_T6_T7_T8_P12ihipStream_tbENKUlT_T0_E_clISt17integral_constantIbLb1EES10_IbLb0EEEEDaSW_SX_EUlSW_E_NS1_11comp_targetILNS1_3genE0ELNS1_11target_archE4294967295ELNS1_3gpuE0ELNS1_3repE0EEENS1_30default_config_static_selectorELNS0_4arch9wavefront6targetE0EEEvT1_,@function
_ZN7rocprim17ROCPRIM_400000_NS6detail17trampoline_kernelINS0_14default_configENS1_29reduce_by_key_config_selectorIxxN6thrust23THRUST_200600_302600_NS4plusIxEEEEZZNS1_33reduce_by_key_impl_wrapped_configILNS1_25lookback_scan_determinismE0ES3_S9_NS6_6detail15normal_iteratorINS6_10device_ptrIxEEEESG_SG_SG_PmS8_NS6_8equal_toIxEEEE10hipError_tPvRmT2_T3_mT4_T5_T6_T7_T8_P12ihipStream_tbENKUlT_T0_E_clISt17integral_constantIbLb1EES10_IbLb0EEEEDaSW_SX_EUlSW_E_NS1_11comp_targetILNS1_3genE0ELNS1_11target_archE4294967295ELNS1_3gpuE0ELNS1_3repE0EEENS1_30default_config_static_selectorELNS0_4arch9wavefront6targetE0EEEvT1_: ; @_ZN7rocprim17ROCPRIM_400000_NS6detail17trampoline_kernelINS0_14default_configENS1_29reduce_by_key_config_selectorIxxN6thrust23THRUST_200600_302600_NS4plusIxEEEEZZNS1_33reduce_by_key_impl_wrapped_configILNS1_25lookback_scan_determinismE0ES3_S9_NS6_6detail15normal_iteratorINS6_10device_ptrIxEEEESG_SG_SG_PmS8_NS6_8equal_toIxEEEE10hipError_tPvRmT2_T3_mT4_T5_T6_T7_T8_P12ihipStream_tbENKUlT_T0_E_clISt17integral_constantIbLb1EES10_IbLb0EEEEDaSW_SX_EUlSW_E_NS1_11comp_targetILNS1_3genE0ELNS1_11target_archE4294967295ELNS1_3gpuE0ELNS1_3repE0EEENS1_30default_config_static_selectorELNS0_4arch9wavefront6targetE0EEEvT1_
; %bb.0:
	.section	.rodata,"a",@progbits
	.p2align	6, 0x0
	.amdhsa_kernel _ZN7rocprim17ROCPRIM_400000_NS6detail17trampoline_kernelINS0_14default_configENS1_29reduce_by_key_config_selectorIxxN6thrust23THRUST_200600_302600_NS4plusIxEEEEZZNS1_33reduce_by_key_impl_wrapped_configILNS1_25lookback_scan_determinismE0ES3_S9_NS6_6detail15normal_iteratorINS6_10device_ptrIxEEEESG_SG_SG_PmS8_NS6_8equal_toIxEEEE10hipError_tPvRmT2_T3_mT4_T5_T6_T7_T8_P12ihipStream_tbENKUlT_T0_E_clISt17integral_constantIbLb1EES10_IbLb0EEEEDaSW_SX_EUlSW_E_NS1_11comp_targetILNS1_3genE0ELNS1_11target_archE4294967295ELNS1_3gpuE0ELNS1_3repE0EEENS1_30default_config_static_selectorELNS0_4arch9wavefront6targetE0EEEvT1_
		.amdhsa_group_segment_fixed_size 0
		.amdhsa_private_segment_fixed_size 0
		.amdhsa_kernarg_size 136
		.amdhsa_user_sgpr_count 15
		.amdhsa_user_sgpr_dispatch_ptr 0
		.amdhsa_user_sgpr_queue_ptr 0
		.amdhsa_user_sgpr_kernarg_segment_ptr 1
		.amdhsa_user_sgpr_dispatch_id 0
		.amdhsa_user_sgpr_private_segment_size 0
		.amdhsa_wavefront_size32 1
		.amdhsa_uses_dynamic_stack 0
		.amdhsa_enable_private_segment 0
		.amdhsa_system_sgpr_workgroup_id_x 1
		.amdhsa_system_sgpr_workgroup_id_y 0
		.amdhsa_system_sgpr_workgroup_id_z 0
		.amdhsa_system_sgpr_workgroup_info 0
		.amdhsa_system_vgpr_workitem_id 0
		.amdhsa_next_free_vgpr 1
		.amdhsa_next_free_sgpr 1
		.amdhsa_reserve_vcc 0
		.amdhsa_float_round_mode_32 0
		.amdhsa_float_round_mode_16_64 0
		.amdhsa_float_denorm_mode_32 3
		.amdhsa_float_denorm_mode_16_64 3
		.amdhsa_dx10_clamp 1
		.amdhsa_ieee_mode 1
		.amdhsa_fp16_overflow 0
		.amdhsa_workgroup_processor_mode 1
		.amdhsa_memory_ordered 1
		.amdhsa_forward_progress 0
		.amdhsa_shared_vgpr_count 0
		.amdhsa_exception_fp_ieee_invalid_op 0
		.amdhsa_exception_fp_denorm_src 0
		.amdhsa_exception_fp_ieee_div_zero 0
		.amdhsa_exception_fp_ieee_overflow 0
		.amdhsa_exception_fp_ieee_underflow 0
		.amdhsa_exception_fp_ieee_inexact 0
		.amdhsa_exception_int_div_zero 0
	.end_amdhsa_kernel
	.section	.text._ZN7rocprim17ROCPRIM_400000_NS6detail17trampoline_kernelINS0_14default_configENS1_29reduce_by_key_config_selectorIxxN6thrust23THRUST_200600_302600_NS4plusIxEEEEZZNS1_33reduce_by_key_impl_wrapped_configILNS1_25lookback_scan_determinismE0ES3_S9_NS6_6detail15normal_iteratorINS6_10device_ptrIxEEEESG_SG_SG_PmS8_NS6_8equal_toIxEEEE10hipError_tPvRmT2_T3_mT4_T5_T6_T7_T8_P12ihipStream_tbENKUlT_T0_E_clISt17integral_constantIbLb1EES10_IbLb0EEEEDaSW_SX_EUlSW_E_NS1_11comp_targetILNS1_3genE0ELNS1_11target_archE4294967295ELNS1_3gpuE0ELNS1_3repE0EEENS1_30default_config_static_selectorELNS0_4arch9wavefront6targetE0EEEvT1_,"axG",@progbits,_ZN7rocprim17ROCPRIM_400000_NS6detail17trampoline_kernelINS0_14default_configENS1_29reduce_by_key_config_selectorIxxN6thrust23THRUST_200600_302600_NS4plusIxEEEEZZNS1_33reduce_by_key_impl_wrapped_configILNS1_25lookback_scan_determinismE0ES3_S9_NS6_6detail15normal_iteratorINS6_10device_ptrIxEEEESG_SG_SG_PmS8_NS6_8equal_toIxEEEE10hipError_tPvRmT2_T3_mT4_T5_T6_T7_T8_P12ihipStream_tbENKUlT_T0_E_clISt17integral_constantIbLb1EES10_IbLb0EEEEDaSW_SX_EUlSW_E_NS1_11comp_targetILNS1_3genE0ELNS1_11target_archE4294967295ELNS1_3gpuE0ELNS1_3repE0EEENS1_30default_config_static_selectorELNS0_4arch9wavefront6targetE0EEEvT1_,comdat
.Lfunc_end489:
	.size	_ZN7rocprim17ROCPRIM_400000_NS6detail17trampoline_kernelINS0_14default_configENS1_29reduce_by_key_config_selectorIxxN6thrust23THRUST_200600_302600_NS4plusIxEEEEZZNS1_33reduce_by_key_impl_wrapped_configILNS1_25lookback_scan_determinismE0ES3_S9_NS6_6detail15normal_iteratorINS6_10device_ptrIxEEEESG_SG_SG_PmS8_NS6_8equal_toIxEEEE10hipError_tPvRmT2_T3_mT4_T5_T6_T7_T8_P12ihipStream_tbENKUlT_T0_E_clISt17integral_constantIbLb1EES10_IbLb0EEEEDaSW_SX_EUlSW_E_NS1_11comp_targetILNS1_3genE0ELNS1_11target_archE4294967295ELNS1_3gpuE0ELNS1_3repE0EEENS1_30default_config_static_selectorELNS0_4arch9wavefront6targetE0EEEvT1_, .Lfunc_end489-_ZN7rocprim17ROCPRIM_400000_NS6detail17trampoline_kernelINS0_14default_configENS1_29reduce_by_key_config_selectorIxxN6thrust23THRUST_200600_302600_NS4plusIxEEEEZZNS1_33reduce_by_key_impl_wrapped_configILNS1_25lookback_scan_determinismE0ES3_S9_NS6_6detail15normal_iteratorINS6_10device_ptrIxEEEESG_SG_SG_PmS8_NS6_8equal_toIxEEEE10hipError_tPvRmT2_T3_mT4_T5_T6_T7_T8_P12ihipStream_tbENKUlT_T0_E_clISt17integral_constantIbLb1EES10_IbLb0EEEEDaSW_SX_EUlSW_E_NS1_11comp_targetILNS1_3genE0ELNS1_11target_archE4294967295ELNS1_3gpuE0ELNS1_3repE0EEENS1_30default_config_static_selectorELNS0_4arch9wavefront6targetE0EEEvT1_
                                        ; -- End function
	.section	.AMDGPU.csdata,"",@progbits
; Kernel info:
; codeLenInByte = 0
; NumSgprs: 0
; NumVgprs: 0
; ScratchSize: 0
; MemoryBound: 0
; FloatMode: 240
; IeeeMode: 1
; LDSByteSize: 0 bytes/workgroup (compile time only)
; SGPRBlocks: 0
; VGPRBlocks: 0
; NumSGPRsForWavesPerEU: 1
; NumVGPRsForWavesPerEU: 1
; Occupancy: 16
; WaveLimiterHint : 0
; COMPUTE_PGM_RSRC2:SCRATCH_EN: 0
; COMPUTE_PGM_RSRC2:USER_SGPR: 15
; COMPUTE_PGM_RSRC2:TRAP_HANDLER: 0
; COMPUTE_PGM_RSRC2:TGID_X_EN: 1
; COMPUTE_PGM_RSRC2:TGID_Y_EN: 0
; COMPUTE_PGM_RSRC2:TGID_Z_EN: 0
; COMPUTE_PGM_RSRC2:TIDIG_COMP_CNT: 0
	.section	.text._ZN7rocprim17ROCPRIM_400000_NS6detail17trampoline_kernelINS0_14default_configENS1_29reduce_by_key_config_selectorIxxN6thrust23THRUST_200600_302600_NS4plusIxEEEEZZNS1_33reduce_by_key_impl_wrapped_configILNS1_25lookback_scan_determinismE0ES3_S9_NS6_6detail15normal_iteratorINS6_10device_ptrIxEEEESG_SG_SG_PmS8_NS6_8equal_toIxEEEE10hipError_tPvRmT2_T3_mT4_T5_T6_T7_T8_P12ihipStream_tbENKUlT_T0_E_clISt17integral_constantIbLb1EES10_IbLb0EEEEDaSW_SX_EUlSW_E_NS1_11comp_targetILNS1_3genE5ELNS1_11target_archE942ELNS1_3gpuE9ELNS1_3repE0EEENS1_30default_config_static_selectorELNS0_4arch9wavefront6targetE0EEEvT1_,"axG",@progbits,_ZN7rocprim17ROCPRIM_400000_NS6detail17trampoline_kernelINS0_14default_configENS1_29reduce_by_key_config_selectorIxxN6thrust23THRUST_200600_302600_NS4plusIxEEEEZZNS1_33reduce_by_key_impl_wrapped_configILNS1_25lookback_scan_determinismE0ES3_S9_NS6_6detail15normal_iteratorINS6_10device_ptrIxEEEESG_SG_SG_PmS8_NS6_8equal_toIxEEEE10hipError_tPvRmT2_T3_mT4_T5_T6_T7_T8_P12ihipStream_tbENKUlT_T0_E_clISt17integral_constantIbLb1EES10_IbLb0EEEEDaSW_SX_EUlSW_E_NS1_11comp_targetILNS1_3genE5ELNS1_11target_archE942ELNS1_3gpuE9ELNS1_3repE0EEENS1_30default_config_static_selectorELNS0_4arch9wavefront6targetE0EEEvT1_,comdat
	.protected	_ZN7rocprim17ROCPRIM_400000_NS6detail17trampoline_kernelINS0_14default_configENS1_29reduce_by_key_config_selectorIxxN6thrust23THRUST_200600_302600_NS4plusIxEEEEZZNS1_33reduce_by_key_impl_wrapped_configILNS1_25lookback_scan_determinismE0ES3_S9_NS6_6detail15normal_iteratorINS6_10device_ptrIxEEEESG_SG_SG_PmS8_NS6_8equal_toIxEEEE10hipError_tPvRmT2_T3_mT4_T5_T6_T7_T8_P12ihipStream_tbENKUlT_T0_E_clISt17integral_constantIbLb1EES10_IbLb0EEEEDaSW_SX_EUlSW_E_NS1_11comp_targetILNS1_3genE5ELNS1_11target_archE942ELNS1_3gpuE9ELNS1_3repE0EEENS1_30default_config_static_selectorELNS0_4arch9wavefront6targetE0EEEvT1_ ; -- Begin function _ZN7rocprim17ROCPRIM_400000_NS6detail17trampoline_kernelINS0_14default_configENS1_29reduce_by_key_config_selectorIxxN6thrust23THRUST_200600_302600_NS4plusIxEEEEZZNS1_33reduce_by_key_impl_wrapped_configILNS1_25lookback_scan_determinismE0ES3_S9_NS6_6detail15normal_iteratorINS6_10device_ptrIxEEEESG_SG_SG_PmS8_NS6_8equal_toIxEEEE10hipError_tPvRmT2_T3_mT4_T5_T6_T7_T8_P12ihipStream_tbENKUlT_T0_E_clISt17integral_constantIbLb1EES10_IbLb0EEEEDaSW_SX_EUlSW_E_NS1_11comp_targetILNS1_3genE5ELNS1_11target_archE942ELNS1_3gpuE9ELNS1_3repE0EEENS1_30default_config_static_selectorELNS0_4arch9wavefront6targetE0EEEvT1_
	.globl	_ZN7rocprim17ROCPRIM_400000_NS6detail17trampoline_kernelINS0_14default_configENS1_29reduce_by_key_config_selectorIxxN6thrust23THRUST_200600_302600_NS4plusIxEEEEZZNS1_33reduce_by_key_impl_wrapped_configILNS1_25lookback_scan_determinismE0ES3_S9_NS6_6detail15normal_iteratorINS6_10device_ptrIxEEEESG_SG_SG_PmS8_NS6_8equal_toIxEEEE10hipError_tPvRmT2_T3_mT4_T5_T6_T7_T8_P12ihipStream_tbENKUlT_T0_E_clISt17integral_constantIbLb1EES10_IbLb0EEEEDaSW_SX_EUlSW_E_NS1_11comp_targetILNS1_3genE5ELNS1_11target_archE942ELNS1_3gpuE9ELNS1_3repE0EEENS1_30default_config_static_selectorELNS0_4arch9wavefront6targetE0EEEvT1_
	.p2align	8
	.type	_ZN7rocprim17ROCPRIM_400000_NS6detail17trampoline_kernelINS0_14default_configENS1_29reduce_by_key_config_selectorIxxN6thrust23THRUST_200600_302600_NS4plusIxEEEEZZNS1_33reduce_by_key_impl_wrapped_configILNS1_25lookback_scan_determinismE0ES3_S9_NS6_6detail15normal_iteratorINS6_10device_ptrIxEEEESG_SG_SG_PmS8_NS6_8equal_toIxEEEE10hipError_tPvRmT2_T3_mT4_T5_T6_T7_T8_P12ihipStream_tbENKUlT_T0_E_clISt17integral_constantIbLb1EES10_IbLb0EEEEDaSW_SX_EUlSW_E_NS1_11comp_targetILNS1_3genE5ELNS1_11target_archE942ELNS1_3gpuE9ELNS1_3repE0EEENS1_30default_config_static_selectorELNS0_4arch9wavefront6targetE0EEEvT1_,@function
_ZN7rocprim17ROCPRIM_400000_NS6detail17trampoline_kernelINS0_14default_configENS1_29reduce_by_key_config_selectorIxxN6thrust23THRUST_200600_302600_NS4plusIxEEEEZZNS1_33reduce_by_key_impl_wrapped_configILNS1_25lookback_scan_determinismE0ES3_S9_NS6_6detail15normal_iteratorINS6_10device_ptrIxEEEESG_SG_SG_PmS8_NS6_8equal_toIxEEEE10hipError_tPvRmT2_T3_mT4_T5_T6_T7_T8_P12ihipStream_tbENKUlT_T0_E_clISt17integral_constantIbLb1EES10_IbLb0EEEEDaSW_SX_EUlSW_E_NS1_11comp_targetILNS1_3genE5ELNS1_11target_archE942ELNS1_3gpuE9ELNS1_3repE0EEENS1_30default_config_static_selectorELNS0_4arch9wavefront6targetE0EEEvT1_: ; @_ZN7rocprim17ROCPRIM_400000_NS6detail17trampoline_kernelINS0_14default_configENS1_29reduce_by_key_config_selectorIxxN6thrust23THRUST_200600_302600_NS4plusIxEEEEZZNS1_33reduce_by_key_impl_wrapped_configILNS1_25lookback_scan_determinismE0ES3_S9_NS6_6detail15normal_iteratorINS6_10device_ptrIxEEEESG_SG_SG_PmS8_NS6_8equal_toIxEEEE10hipError_tPvRmT2_T3_mT4_T5_T6_T7_T8_P12ihipStream_tbENKUlT_T0_E_clISt17integral_constantIbLb1EES10_IbLb0EEEEDaSW_SX_EUlSW_E_NS1_11comp_targetILNS1_3genE5ELNS1_11target_archE942ELNS1_3gpuE9ELNS1_3repE0EEENS1_30default_config_static_selectorELNS0_4arch9wavefront6targetE0EEEvT1_
; %bb.0:
	.section	.rodata,"a",@progbits
	.p2align	6, 0x0
	.amdhsa_kernel _ZN7rocprim17ROCPRIM_400000_NS6detail17trampoline_kernelINS0_14default_configENS1_29reduce_by_key_config_selectorIxxN6thrust23THRUST_200600_302600_NS4plusIxEEEEZZNS1_33reduce_by_key_impl_wrapped_configILNS1_25lookback_scan_determinismE0ES3_S9_NS6_6detail15normal_iteratorINS6_10device_ptrIxEEEESG_SG_SG_PmS8_NS6_8equal_toIxEEEE10hipError_tPvRmT2_T3_mT4_T5_T6_T7_T8_P12ihipStream_tbENKUlT_T0_E_clISt17integral_constantIbLb1EES10_IbLb0EEEEDaSW_SX_EUlSW_E_NS1_11comp_targetILNS1_3genE5ELNS1_11target_archE942ELNS1_3gpuE9ELNS1_3repE0EEENS1_30default_config_static_selectorELNS0_4arch9wavefront6targetE0EEEvT1_
		.amdhsa_group_segment_fixed_size 0
		.amdhsa_private_segment_fixed_size 0
		.amdhsa_kernarg_size 136
		.amdhsa_user_sgpr_count 15
		.amdhsa_user_sgpr_dispatch_ptr 0
		.amdhsa_user_sgpr_queue_ptr 0
		.amdhsa_user_sgpr_kernarg_segment_ptr 1
		.amdhsa_user_sgpr_dispatch_id 0
		.amdhsa_user_sgpr_private_segment_size 0
		.amdhsa_wavefront_size32 1
		.amdhsa_uses_dynamic_stack 0
		.amdhsa_enable_private_segment 0
		.amdhsa_system_sgpr_workgroup_id_x 1
		.amdhsa_system_sgpr_workgroup_id_y 0
		.amdhsa_system_sgpr_workgroup_id_z 0
		.amdhsa_system_sgpr_workgroup_info 0
		.amdhsa_system_vgpr_workitem_id 0
		.amdhsa_next_free_vgpr 1
		.amdhsa_next_free_sgpr 1
		.amdhsa_reserve_vcc 0
		.amdhsa_float_round_mode_32 0
		.amdhsa_float_round_mode_16_64 0
		.amdhsa_float_denorm_mode_32 3
		.amdhsa_float_denorm_mode_16_64 3
		.amdhsa_dx10_clamp 1
		.amdhsa_ieee_mode 1
		.amdhsa_fp16_overflow 0
		.amdhsa_workgroup_processor_mode 1
		.amdhsa_memory_ordered 1
		.amdhsa_forward_progress 0
		.amdhsa_shared_vgpr_count 0
		.amdhsa_exception_fp_ieee_invalid_op 0
		.amdhsa_exception_fp_denorm_src 0
		.amdhsa_exception_fp_ieee_div_zero 0
		.amdhsa_exception_fp_ieee_overflow 0
		.amdhsa_exception_fp_ieee_underflow 0
		.amdhsa_exception_fp_ieee_inexact 0
		.amdhsa_exception_int_div_zero 0
	.end_amdhsa_kernel
	.section	.text._ZN7rocprim17ROCPRIM_400000_NS6detail17trampoline_kernelINS0_14default_configENS1_29reduce_by_key_config_selectorIxxN6thrust23THRUST_200600_302600_NS4plusIxEEEEZZNS1_33reduce_by_key_impl_wrapped_configILNS1_25lookback_scan_determinismE0ES3_S9_NS6_6detail15normal_iteratorINS6_10device_ptrIxEEEESG_SG_SG_PmS8_NS6_8equal_toIxEEEE10hipError_tPvRmT2_T3_mT4_T5_T6_T7_T8_P12ihipStream_tbENKUlT_T0_E_clISt17integral_constantIbLb1EES10_IbLb0EEEEDaSW_SX_EUlSW_E_NS1_11comp_targetILNS1_3genE5ELNS1_11target_archE942ELNS1_3gpuE9ELNS1_3repE0EEENS1_30default_config_static_selectorELNS0_4arch9wavefront6targetE0EEEvT1_,"axG",@progbits,_ZN7rocprim17ROCPRIM_400000_NS6detail17trampoline_kernelINS0_14default_configENS1_29reduce_by_key_config_selectorIxxN6thrust23THRUST_200600_302600_NS4plusIxEEEEZZNS1_33reduce_by_key_impl_wrapped_configILNS1_25lookback_scan_determinismE0ES3_S9_NS6_6detail15normal_iteratorINS6_10device_ptrIxEEEESG_SG_SG_PmS8_NS6_8equal_toIxEEEE10hipError_tPvRmT2_T3_mT4_T5_T6_T7_T8_P12ihipStream_tbENKUlT_T0_E_clISt17integral_constantIbLb1EES10_IbLb0EEEEDaSW_SX_EUlSW_E_NS1_11comp_targetILNS1_3genE5ELNS1_11target_archE942ELNS1_3gpuE9ELNS1_3repE0EEENS1_30default_config_static_selectorELNS0_4arch9wavefront6targetE0EEEvT1_,comdat
.Lfunc_end490:
	.size	_ZN7rocprim17ROCPRIM_400000_NS6detail17trampoline_kernelINS0_14default_configENS1_29reduce_by_key_config_selectorIxxN6thrust23THRUST_200600_302600_NS4plusIxEEEEZZNS1_33reduce_by_key_impl_wrapped_configILNS1_25lookback_scan_determinismE0ES3_S9_NS6_6detail15normal_iteratorINS6_10device_ptrIxEEEESG_SG_SG_PmS8_NS6_8equal_toIxEEEE10hipError_tPvRmT2_T3_mT4_T5_T6_T7_T8_P12ihipStream_tbENKUlT_T0_E_clISt17integral_constantIbLb1EES10_IbLb0EEEEDaSW_SX_EUlSW_E_NS1_11comp_targetILNS1_3genE5ELNS1_11target_archE942ELNS1_3gpuE9ELNS1_3repE0EEENS1_30default_config_static_selectorELNS0_4arch9wavefront6targetE0EEEvT1_, .Lfunc_end490-_ZN7rocprim17ROCPRIM_400000_NS6detail17trampoline_kernelINS0_14default_configENS1_29reduce_by_key_config_selectorIxxN6thrust23THRUST_200600_302600_NS4plusIxEEEEZZNS1_33reduce_by_key_impl_wrapped_configILNS1_25lookback_scan_determinismE0ES3_S9_NS6_6detail15normal_iteratorINS6_10device_ptrIxEEEESG_SG_SG_PmS8_NS6_8equal_toIxEEEE10hipError_tPvRmT2_T3_mT4_T5_T6_T7_T8_P12ihipStream_tbENKUlT_T0_E_clISt17integral_constantIbLb1EES10_IbLb0EEEEDaSW_SX_EUlSW_E_NS1_11comp_targetILNS1_3genE5ELNS1_11target_archE942ELNS1_3gpuE9ELNS1_3repE0EEENS1_30default_config_static_selectorELNS0_4arch9wavefront6targetE0EEEvT1_
                                        ; -- End function
	.section	.AMDGPU.csdata,"",@progbits
; Kernel info:
; codeLenInByte = 0
; NumSgprs: 0
; NumVgprs: 0
; ScratchSize: 0
; MemoryBound: 0
; FloatMode: 240
; IeeeMode: 1
; LDSByteSize: 0 bytes/workgroup (compile time only)
; SGPRBlocks: 0
; VGPRBlocks: 0
; NumSGPRsForWavesPerEU: 1
; NumVGPRsForWavesPerEU: 1
; Occupancy: 16
; WaveLimiterHint : 0
; COMPUTE_PGM_RSRC2:SCRATCH_EN: 0
; COMPUTE_PGM_RSRC2:USER_SGPR: 15
; COMPUTE_PGM_RSRC2:TRAP_HANDLER: 0
; COMPUTE_PGM_RSRC2:TGID_X_EN: 1
; COMPUTE_PGM_RSRC2:TGID_Y_EN: 0
; COMPUTE_PGM_RSRC2:TGID_Z_EN: 0
; COMPUTE_PGM_RSRC2:TIDIG_COMP_CNT: 0
	.section	.text._ZN7rocprim17ROCPRIM_400000_NS6detail17trampoline_kernelINS0_14default_configENS1_29reduce_by_key_config_selectorIxxN6thrust23THRUST_200600_302600_NS4plusIxEEEEZZNS1_33reduce_by_key_impl_wrapped_configILNS1_25lookback_scan_determinismE0ES3_S9_NS6_6detail15normal_iteratorINS6_10device_ptrIxEEEESG_SG_SG_PmS8_NS6_8equal_toIxEEEE10hipError_tPvRmT2_T3_mT4_T5_T6_T7_T8_P12ihipStream_tbENKUlT_T0_E_clISt17integral_constantIbLb1EES10_IbLb0EEEEDaSW_SX_EUlSW_E_NS1_11comp_targetILNS1_3genE4ELNS1_11target_archE910ELNS1_3gpuE8ELNS1_3repE0EEENS1_30default_config_static_selectorELNS0_4arch9wavefront6targetE0EEEvT1_,"axG",@progbits,_ZN7rocprim17ROCPRIM_400000_NS6detail17trampoline_kernelINS0_14default_configENS1_29reduce_by_key_config_selectorIxxN6thrust23THRUST_200600_302600_NS4plusIxEEEEZZNS1_33reduce_by_key_impl_wrapped_configILNS1_25lookback_scan_determinismE0ES3_S9_NS6_6detail15normal_iteratorINS6_10device_ptrIxEEEESG_SG_SG_PmS8_NS6_8equal_toIxEEEE10hipError_tPvRmT2_T3_mT4_T5_T6_T7_T8_P12ihipStream_tbENKUlT_T0_E_clISt17integral_constantIbLb1EES10_IbLb0EEEEDaSW_SX_EUlSW_E_NS1_11comp_targetILNS1_3genE4ELNS1_11target_archE910ELNS1_3gpuE8ELNS1_3repE0EEENS1_30default_config_static_selectorELNS0_4arch9wavefront6targetE0EEEvT1_,comdat
	.protected	_ZN7rocprim17ROCPRIM_400000_NS6detail17trampoline_kernelINS0_14default_configENS1_29reduce_by_key_config_selectorIxxN6thrust23THRUST_200600_302600_NS4plusIxEEEEZZNS1_33reduce_by_key_impl_wrapped_configILNS1_25lookback_scan_determinismE0ES3_S9_NS6_6detail15normal_iteratorINS6_10device_ptrIxEEEESG_SG_SG_PmS8_NS6_8equal_toIxEEEE10hipError_tPvRmT2_T3_mT4_T5_T6_T7_T8_P12ihipStream_tbENKUlT_T0_E_clISt17integral_constantIbLb1EES10_IbLb0EEEEDaSW_SX_EUlSW_E_NS1_11comp_targetILNS1_3genE4ELNS1_11target_archE910ELNS1_3gpuE8ELNS1_3repE0EEENS1_30default_config_static_selectorELNS0_4arch9wavefront6targetE0EEEvT1_ ; -- Begin function _ZN7rocprim17ROCPRIM_400000_NS6detail17trampoline_kernelINS0_14default_configENS1_29reduce_by_key_config_selectorIxxN6thrust23THRUST_200600_302600_NS4plusIxEEEEZZNS1_33reduce_by_key_impl_wrapped_configILNS1_25lookback_scan_determinismE0ES3_S9_NS6_6detail15normal_iteratorINS6_10device_ptrIxEEEESG_SG_SG_PmS8_NS6_8equal_toIxEEEE10hipError_tPvRmT2_T3_mT4_T5_T6_T7_T8_P12ihipStream_tbENKUlT_T0_E_clISt17integral_constantIbLb1EES10_IbLb0EEEEDaSW_SX_EUlSW_E_NS1_11comp_targetILNS1_3genE4ELNS1_11target_archE910ELNS1_3gpuE8ELNS1_3repE0EEENS1_30default_config_static_selectorELNS0_4arch9wavefront6targetE0EEEvT1_
	.globl	_ZN7rocprim17ROCPRIM_400000_NS6detail17trampoline_kernelINS0_14default_configENS1_29reduce_by_key_config_selectorIxxN6thrust23THRUST_200600_302600_NS4plusIxEEEEZZNS1_33reduce_by_key_impl_wrapped_configILNS1_25lookback_scan_determinismE0ES3_S9_NS6_6detail15normal_iteratorINS6_10device_ptrIxEEEESG_SG_SG_PmS8_NS6_8equal_toIxEEEE10hipError_tPvRmT2_T3_mT4_T5_T6_T7_T8_P12ihipStream_tbENKUlT_T0_E_clISt17integral_constantIbLb1EES10_IbLb0EEEEDaSW_SX_EUlSW_E_NS1_11comp_targetILNS1_3genE4ELNS1_11target_archE910ELNS1_3gpuE8ELNS1_3repE0EEENS1_30default_config_static_selectorELNS0_4arch9wavefront6targetE0EEEvT1_
	.p2align	8
	.type	_ZN7rocprim17ROCPRIM_400000_NS6detail17trampoline_kernelINS0_14default_configENS1_29reduce_by_key_config_selectorIxxN6thrust23THRUST_200600_302600_NS4plusIxEEEEZZNS1_33reduce_by_key_impl_wrapped_configILNS1_25lookback_scan_determinismE0ES3_S9_NS6_6detail15normal_iteratorINS6_10device_ptrIxEEEESG_SG_SG_PmS8_NS6_8equal_toIxEEEE10hipError_tPvRmT2_T3_mT4_T5_T6_T7_T8_P12ihipStream_tbENKUlT_T0_E_clISt17integral_constantIbLb1EES10_IbLb0EEEEDaSW_SX_EUlSW_E_NS1_11comp_targetILNS1_3genE4ELNS1_11target_archE910ELNS1_3gpuE8ELNS1_3repE0EEENS1_30default_config_static_selectorELNS0_4arch9wavefront6targetE0EEEvT1_,@function
_ZN7rocprim17ROCPRIM_400000_NS6detail17trampoline_kernelINS0_14default_configENS1_29reduce_by_key_config_selectorIxxN6thrust23THRUST_200600_302600_NS4plusIxEEEEZZNS1_33reduce_by_key_impl_wrapped_configILNS1_25lookback_scan_determinismE0ES3_S9_NS6_6detail15normal_iteratorINS6_10device_ptrIxEEEESG_SG_SG_PmS8_NS6_8equal_toIxEEEE10hipError_tPvRmT2_T3_mT4_T5_T6_T7_T8_P12ihipStream_tbENKUlT_T0_E_clISt17integral_constantIbLb1EES10_IbLb0EEEEDaSW_SX_EUlSW_E_NS1_11comp_targetILNS1_3genE4ELNS1_11target_archE910ELNS1_3gpuE8ELNS1_3repE0EEENS1_30default_config_static_selectorELNS0_4arch9wavefront6targetE0EEEvT1_: ; @_ZN7rocprim17ROCPRIM_400000_NS6detail17trampoline_kernelINS0_14default_configENS1_29reduce_by_key_config_selectorIxxN6thrust23THRUST_200600_302600_NS4plusIxEEEEZZNS1_33reduce_by_key_impl_wrapped_configILNS1_25lookback_scan_determinismE0ES3_S9_NS6_6detail15normal_iteratorINS6_10device_ptrIxEEEESG_SG_SG_PmS8_NS6_8equal_toIxEEEE10hipError_tPvRmT2_T3_mT4_T5_T6_T7_T8_P12ihipStream_tbENKUlT_T0_E_clISt17integral_constantIbLb1EES10_IbLb0EEEEDaSW_SX_EUlSW_E_NS1_11comp_targetILNS1_3genE4ELNS1_11target_archE910ELNS1_3gpuE8ELNS1_3repE0EEENS1_30default_config_static_selectorELNS0_4arch9wavefront6targetE0EEEvT1_
; %bb.0:
	.section	.rodata,"a",@progbits
	.p2align	6, 0x0
	.amdhsa_kernel _ZN7rocprim17ROCPRIM_400000_NS6detail17trampoline_kernelINS0_14default_configENS1_29reduce_by_key_config_selectorIxxN6thrust23THRUST_200600_302600_NS4plusIxEEEEZZNS1_33reduce_by_key_impl_wrapped_configILNS1_25lookback_scan_determinismE0ES3_S9_NS6_6detail15normal_iteratorINS6_10device_ptrIxEEEESG_SG_SG_PmS8_NS6_8equal_toIxEEEE10hipError_tPvRmT2_T3_mT4_T5_T6_T7_T8_P12ihipStream_tbENKUlT_T0_E_clISt17integral_constantIbLb1EES10_IbLb0EEEEDaSW_SX_EUlSW_E_NS1_11comp_targetILNS1_3genE4ELNS1_11target_archE910ELNS1_3gpuE8ELNS1_3repE0EEENS1_30default_config_static_selectorELNS0_4arch9wavefront6targetE0EEEvT1_
		.amdhsa_group_segment_fixed_size 0
		.amdhsa_private_segment_fixed_size 0
		.amdhsa_kernarg_size 136
		.amdhsa_user_sgpr_count 15
		.amdhsa_user_sgpr_dispatch_ptr 0
		.amdhsa_user_sgpr_queue_ptr 0
		.amdhsa_user_sgpr_kernarg_segment_ptr 1
		.amdhsa_user_sgpr_dispatch_id 0
		.amdhsa_user_sgpr_private_segment_size 0
		.amdhsa_wavefront_size32 1
		.amdhsa_uses_dynamic_stack 0
		.amdhsa_enable_private_segment 0
		.amdhsa_system_sgpr_workgroup_id_x 1
		.amdhsa_system_sgpr_workgroup_id_y 0
		.amdhsa_system_sgpr_workgroup_id_z 0
		.amdhsa_system_sgpr_workgroup_info 0
		.amdhsa_system_vgpr_workitem_id 0
		.amdhsa_next_free_vgpr 1
		.amdhsa_next_free_sgpr 1
		.amdhsa_reserve_vcc 0
		.amdhsa_float_round_mode_32 0
		.amdhsa_float_round_mode_16_64 0
		.amdhsa_float_denorm_mode_32 3
		.amdhsa_float_denorm_mode_16_64 3
		.amdhsa_dx10_clamp 1
		.amdhsa_ieee_mode 1
		.amdhsa_fp16_overflow 0
		.amdhsa_workgroup_processor_mode 1
		.amdhsa_memory_ordered 1
		.amdhsa_forward_progress 0
		.amdhsa_shared_vgpr_count 0
		.amdhsa_exception_fp_ieee_invalid_op 0
		.amdhsa_exception_fp_denorm_src 0
		.amdhsa_exception_fp_ieee_div_zero 0
		.amdhsa_exception_fp_ieee_overflow 0
		.amdhsa_exception_fp_ieee_underflow 0
		.amdhsa_exception_fp_ieee_inexact 0
		.amdhsa_exception_int_div_zero 0
	.end_amdhsa_kernel
	.section	.text._ZN7rocprim17ROCPRIM_400000_NS6detail17trampoline_kernelINS0_14default_configENS1_29reduce_by_key_config_selectorIxxN6thrust23THRUST_200600_302600_NS4plusIxEEEEZZNS1_33reduce_by_key_impl_wrapped_configILNS1_25lookback_scan_determinismE0ES3_S9_NS6_6detail15normal_iteratorINS6_10device_ptrIxEEEESG_SG_SG_PmS8_NS6_8equal_toIxEEEE10hipError_tPvRmT2_T3_mT4_T5_T6_T7_T8_P12ihipStream_tbENKUlT_T0_E_clISt17integral_constantIbLb1EES10_IbLb0EEEEDaSW_SX_EUlSW_E_NS1_11comp_targetILNS1_3genE4ELNS1_11target_archE910ELNS1_3gpuE8ELNS1_3repE0EEENS1_30default_config_static_selectorELNS0_4arch9wavefront6targetE0EEEvT1_,"axG",@progbits,_ZN7rocprim17ROCPRIM_400000_NS6detail17trampoline_kernelINS0_14default_configENS1_29reduce_by_key_config_selectorIxxN6thrust23THRUST_200600_302600_NS4plusIxEEEEZZNS1_33reduce_by_key_impl_wrapped_configILNS1_25lookback_scan_determinismE0ES3_S9_NS6_6detail15normal_iteratorINS6_10device_ptrIxEEEESG_SG_SG_PmS8_NS6_8equal_toIxEEEE10hipError_tPvRmT2_T3_mT4_T5_T6_T7_T8_P12ihipStream_tbENKUlT_T0_E_clISt17integral_constantIbLb1EES10_IbLb0EEEEDaSW_SX_EUlSW_E_NS1_11comp_targetILNS1_3genE4ELNS1_11target_archE910ELNS1_3gpuE8ELNS1_3repE0EEENS1_30default_config_static_selectorELNS0_4arch9wavefront6targetE0EEEvT1_,comdat
.Lfunc_end491:
	.size	_ZN7rocprim17ROCPRIM_400000_NS6detail17trampoline_kernelINS0_14default_configENS1_29reduce_by_key_config_selectorIxxN6thrust23THRUST_200600_302600_NS4plusIxEEEEZZNS1_33reduce_by_key_impl_wrapped_configILNS1_25lookback_scan_determinismE0ES3_S9_NS6_6detail15normal_iteratorINS6_10device_ptrIxEEEESG_SG_SG_PmS8_NS6_8equal_toIxEEEE10hipError_tPvRmT2_T3_mT4_T5_T6_T7_T8_P12ihipStream_tbENKUlT_T0_E_clISt17integral_constantIbLb1EES10_IbLb0EEEEDaSW_SX_EUlSW_E_NS1_11comp_targetILNS1_3genE4ELNS1_11target_archE910ELNS1_3gpuE8ELNS1_3repE0EEENS1_30default_config_static_selectorELNS0_4arch9wavefront6targetE0EEEvT1_, .Lfunc_end491-_ZN7rocprim17ROCPRIM_400000_NS6detail17trampoline_kernelINS0_14default_configENS1_29reduce_by_key_config_selectorIxxN6thrust23THRUST_200600_302600_NS4plusIxEEEEZZNS1_33reduce_by_key_impl_wrapped_configILNS1_25lookback_scan_determinismE0ES3_S9_NS6_6detail15normal_iteratorINS6_10device_ptrIxEEEESG_SG_SG_PmS8_NS6_8equal_toIxEEEE10hipError_tPvRmT2_T3_mT4_T5_T6_T7_T8_P12ihipStream_tbENKUlT_T0_E_clISt17integral_constantIbLb1EES10_IbLb0EEEEDaSW_SX_EUlSW_E_NS1_11comp_targetILNS1_3genE4ELNS1_11target_archE910ELNS1_3gpuE8ELNS1_3repE0EEENS1_30default_config_static_selectorELNS0_4arch9wavefront6targetE0EEEvT1_
                                        ; -- End function
	.section	.AMDGPU.csdata,"",@progbits
; Kernel info:
; codeLenInByte = 0
; NumSgprs: 0
; NumVgprs: 0
; ScratchSize: 0
; MemoryBound: 0
; FloatMode: 240
; IeeeMode: 1
; LDSByteSize: 0 bytes/workgroup (compile time only)
; SGPRBlocks: 0
; VGPRBlocks: 0
; NumSGPRsForWavesPerEU: 1
; NumVGPRsForWavesPerEU: 1
; Occupancy: 16
; WaveLimiterHint : 0
; COMPUTE_PGM_RSRC2:SCRATCH_EN: 0
; COMPUTE_PGM_RSRC2:USER_SGPR: 15
; COMPUTE_PGM_RSRC2:TRAP_HANDLER: 0
; COMPUTE_PGM_RSRC2:TGID_X_EN: 1
; COMPUTE_PGM_RSRC2:TGID_Y_EN: 0
; COMPUTE_PGM_RSRC2:TGID_Z_EN: 0
; COMPUTE_PGM_RSRC2:TIDIG_COMP_CNT: 0
	.section	.text._ZN7rocprim17ROCPRIM_400000_NS6detail17trampoline_kernelINS0_14default_configENS1_29reduce_by_key_config_selectorIxxN6thrust23THRUST_200600_302600_NS4plusIxEEEEZZNS1_33reduce_by_key_impl_wrapped_configILNS1_25lookback_scan_determinismE0ES3_S9_NS6_6detail15normal_iteratorINS6_10device_ptrIxEEEESG_SG_SG_PmS8_NS6_8equal_toIxEEEE10hipError_tPvRmT2_T3_mT4_T5_T6_T7_T8_P12ihipStream_tbENKUlT_T0_E_clISt17integral_constantIbLb1EES10_IbLb0EEEEDaSW_SX_EUlSW_E_NS1_11comp_targetILNS1_3genE3ELNS1_11target_archE908ELNS1_3gpuE7ELNS1_3repE0EEENS1_30default_config_static_selectorELNS0_4arch9wavefront6targetE0EEEvT1_,"axG",@progbits,_ZN7rocprim17ROCPRIM_400000_NS6detail17trampoline_kernelINS0_14default_configENS1_29reduce_by_key_config_selectorIxxN6thrust23THRUST_200600_302600_NS4plusIxEEEEZZNS1_33reduce_by_key_impl_wrapped_configILNS1_25lookback_scan_determinismE0ES3_S9_NS6_6detail15normal_iteratorINS6_10device_ptrIxEEEESG_SG_SG_PmS8_NS6_8equal_toIxEEEE10hipError_tPvRmT2_T3_mT4_T5_T6_T7_T8_P12ihipStream_tbENKUlT_T0_E_clISt17integral_constantIbLb1EES10_IbLb0EEEEDaSW_SX_EUlSW_E_NS1_11comp_targetILNS1_3genE3ELNS1_11target_archE908ELNS1_3gpuE7ELNS1_3repE0EEENS1_30default_config_static_selectorELNS0_4arch9wavefront6targetE0EEEvT1_,comdat
	.protected	_ZN7rocprim17ROCPRIM_400000_NS6detail17trampoline_kernelINS0_14default_configENS1_29reduce_by_key_config_selectorIxxN6thrust23THRUST_200600_302600_NS4plusIxEEEEZZNS1_33reduce_by_key_impl_wrapped_configILNS1_25lookback_scan_determinismE0ES3_S9_NS6_6detail15normal_iteratorINS6_10device_ptrIxEEEESG_SG_SG_PmS8_NS6_8equal_toIxEEEE10hipError_tPvRmT2_T3_mT4_T5_T6_T7_T8_P12ihipStream_tbENKUlT_T0_E_clISt17integral_constantIbLb1EES10_IbLb0EEEEDaSW_SX_EUlSW_E_NS1_11comp_targetILNS1_3genE3ELNS1_11target_archE908ELNS1_3gpuE7ELNS1_3repE0EEENS1_30default_config_static_selectorELNS0_4arch9wavefront6targetE0EEEvT1_ ; -- Begin function _ZN7rocprim17ROCPRIM_400000_NS6detail17trampoline_kernelINS0_14default_configENS1_29reduce_by_key_config_selectorIxxN6thrust23THRUST_200600_302600_NS4plusIxEEEEZZNS1_33reduce_by_key_impl_wrapped_configILNS1_25lookback_scan_determinismE0ES3_S9_NS6_6detail15normal_iteratorINS6_10device_ptrIxEEEESG_SG_SG_PmS8_NS6_8equal_toIxEEEE10hipError_tPvRmT2_T3_mT4_T5_T6_T7_T8_P12ihipStream_tbENKUlT_T0_E_clISt17integral_constantIbLb1EES10_IbLb0EEEEDaSW_SX_EUlSW_E_NS1_11comp_targetILNS1_3genE3ELNS1_11target_archE908ELNS1_3gpuE7ELNS1_3repE0EEENS1_30default_config_static_selectorELNS0_4arch9wavefront6targetE0EEEvT1_
	.globl	_ZN7rocprim17ROCPRIM_400000_NS6detail17trampoline_kernelINS0_14default_configENS1_29reduce_by_key_config_selectorIxxN6thrust23THRUST_200600_302600_NS4plusIxEEEEZZNS1_33reduce_by_key_impl_wrapped_configILNS1_25lookback_scan_determinismE0ES3_S9_NS6_6detail15normal_iteratorINS6_10device_ptrIxEEEESG_SG_SG_PmS8_NS6_8equal_toIxEEEE10hipError_tPvRmT2_T3_mT4_T5_T6_T7_T8_P12ihipStream_tbENKUlT_T0_E_clISt17integral_constantIbLb1EES10_IbLb0EEEEDaSW_SX_EUlSW_E_NS1_11comp_targetILNS1_3genE3ELNS1_11target_archE908ELNS1_3gpuE7ELNS1_3repE0EEENS1_30default_config_static_selectorELNS0_4arch9wavefront6targetE0EEEvT1_
	.p2align	8
	.type	_ZN7rocprim17ROCPRIM_400000_NS6detail17trampoline_kernelINS0_14default_configENS1_29reduce_by_key_config_selectorIxxN6thrust23THRUST_200600_302600_NS4plusIxEEEEZZNS1_33reduce_by_key_impl_wrapped_configILNS1_25lookback_scan_determinismE0ES3_S9_NS6_6detail15normal_iteratorINS6_10device_ptrIxEEEESG_SG_SG_PmS8_NS6_8equal_toIxEEEE10hipError_tPvRmT2_T3_mT4_T5_T6_T7_T8_P12ihipStream_tbENKUlT_T0_E_clISt17integral_constantIbLb1EES10_IbLb0EEEEDaSW_SX_EUlSW_E_NS1_11comp_targetILNS1_3genE3ELNS1_11target_archE908ELNS1_3gpuE7ELNS1_3repE0EEENS1_30default_config_static_selectorELNS0_4arch9wavefront6targetE0EEEvT1_,@function
_ZN7rocprim17ROCPRIM_400000_NS6detail17trampoline_kernelINS0_14default_configENS1_29reduce_by_key_config_selectorIxxN6thrust23THRUST_200600_302600_NS4plusIxEEEEZZNS1_33reduce_by_key_impl_wrapped_configILNS1_25lookback_scan_determinismE0ES3_S9_NS6_6detail15normal_iteratorINS6_10device_ptrIxEEEESG_SG_SG_PmS8_NS6_8equal_toIxEEEE10hipError_tPvRmT2_T3_mT4_T5_T6_T7_T8_P12ihipStream_tbENKUlT_T0_E_clISt17integral_constantIbLb1EES10_IbLb0EEEEDaSW_SX_EUlSW_E_NS1_11comp_targetILNS1_3genE3ELNS1_11target_archE908ELNS1_3gpuE7ELNS1_3repE0EEENS1_30default_config_static_selectorELNS0_4arch9wavefront6targetE0EEEvT1_: ; @_ZN7rocprim17ROCPRIM_400000_NS6detail17trampoline_kernelINS0_14default_configENS1_29reduce_by_key_config_selectorIxxN6thrust23THRUST_200600_302600_NS4plusIxEEEEZZNS1_33reduce_by_key_impl_wrapped_configILNS1_25lookback_scan_determinismE0ES3_S9_NS6_6detail15normal_iteratorINS6_10device_ptrIxEEEESG_SG_SG_PmS8_NS6_8equal_toIxEEEE10hipError_tPvRmT2_T3_mT4_T5_T6_T7_T8_P12ihipStream_tbENKUlT_T0_E_clISt17integral_constantIbLb1EES10_IbLb0EEEEDaSW_SX_EUlSW_E_NS1_11comp_targetILNS1_3genE3ELNS1_11target_archE908ELNS1_3gpuE7ELNS1_3repE0EEENS1_30default_config_static_selectorELNS0_4arch9wavefront6targetE0EEEvT1_
; %bb.0:
	.section	.rodata,"a",@progbits
	.p2align	6, 0x0
	.amdhsa_kernel _ZN7rocprim17ROCPRIM_400000_NS6detail17trampoline_kernelINS0_14default_configENS1_29reduce_by_key_config_selectorIxxN6thrust23THRUST_200600_302600_NS4plusIxEEEEZZNS1_33reduce_by_key_impl_wrapped_configILNS1_25lookback_scan_determinismE0ES3_S9_NS6_6detail15normal_iteratorINS6_10device_ptrIxEEEESG_SG_SG_PmS8_NS6_8equal_toIxEEEE10hipError_tPvRmT2_T3_mT4_T5_T6_T7_T8_P12ihipStream_tbENKUlT_T0_E_clISt17integral_constantIbLb1EES10_IbLb0EEEEDaSW_SX_EUlSW_E_NS1_11comp_targetILNS1_3genE3ELNS1_11target_archE908ELNS1_3gpuE7ELNS1_3repE0EEENS1_30default_config_static_selectorELNS0_4arch9wavefront6targetE0EEEvT1_
		.amdhsa_group_segment_fixed_size 0
		.amdhsa_private_segment_fixed_size 0
		.amdhsa_kernarg_size 136
		.amdhsa_user_sgpr_count 15
		.amdhsa_user_sgpr_dispatch_ptr 0
		.amdhsa_user_sgpr_queue_ptr 0
		.amdhsa_user_sgpr_kernarg_segment_ptr 1
		.amdhsa_user_sgpr_dispatch_id 0
		.amdhsa_user_sgpr_private_segment_size 0
		.amdhsa_wavefront_size32 1
		.amdhsa_uses_dynamic_stack 0
		.amdhsa_enable_private_segment 0
		.amdhsa_system_sgpr_workgroup_id_x 1
		.amdhsa_system_sgpr_workgroup_id_y 0
		.amdhsa_system_sgpr_workgroup_id_z 0
		.amdhsa_system_sgpr_workgroup_info 0
		.amdhsa_system_vgpr_workitem_id 0
		.amdhsa_next_free_vgpr 1
		.amdhsa_next_free_sgpr 1
		.amdhsa_reserve_vcc 0
		.amdhsa_float_round_mode_32 0
		.amdhsa_float_round_mode_16_64 0
		.amdhsa_float_denorm_mode_32 3
		.amdhsa_float_denorm_mode_16_64 3
		.amdhsa_dx10_clamp 1
		.amdhsa_ieee_mode 1
		.amdhsa_fp16_overflow 0
		.amdhsa_workgroup_processor_mode 1
		.amdhsa_memory_ordered 1
		.amdhsa_forward_progress 0
		.amdhsa_shared_vgpr_count 0
		.amdhsa_exception_fp_ieee_invalid_op 0
		.amdhsa_exception_fp_denorm_src 0
		.amdhsa_exception_fp_ieee_div_zero 0
		.amdhsa_exception_fp_ieee_overflow 0
		.amdhsa_exception_fp_ieee_underflow 0
		.amdhsa_exception_fp_ieee_inexact 0
		.amdhsa_exception_int_div_zero 0
	.end_amdhsa_kernel
	.section	.text._ZN7rocprim17ROCPRIM_400000_NS6detail17trampoline_kernelINS0_14default_configENS1_29reduce_by_key_config_selectorIxxN6thrust23THRUST_200600_302600_NS4plusIxEEEEZZNS1_33reduce_by_key_impl_wrapped_configILNS1_25lookback_scan_determinismE0ES3_S9_NS6_6detail15normal_iteratorINS6_10device_ptrIxEEEESG_SG_SG_PmS8_NS6_8equal_toIxEEEE10hipError_tPvRmT2_T3_mT4_T5_T6_T7_T8_P12ihipStream_tbENKUlT_T0_E_clISt17integral_constantIbLb1EES10_IbLb0EEEEDaSW_SX_EUlSW_E_NS1_11comp_targetILNS1_3genE3ELNS1_11target_archE908ELNS1_3gpuE7ELNS1_3repE0EEENS1_30default_config_static_selectorELNS0_4arch9wavefront6targetE0EEEvT1_,"axG",@progbits,_ZN7rocprim17ROCPRIM_400000_NS6detail17trampoline_kernelINS0_14default_configENS1_29reduce_by_key_config_selectorIxxN6thrust23THRUST_200600_302600_NS4plusIxEEEEZZNS1_33reduce_by_key_impl_wrapped_configILNS1_25lookback_scan_determinismE0ES3_S9_NS6_6detail15normal_iteratorINS6_10device_ptrIxEEEESG_SG_SG_PmS8_NS6_8equal_toIxEEEE10hipError_tPvRmT2_T3_mT4_T5_T6_T7_T8_P12ihipStream_tbENKUlT_T0_E_clISt17integral_constantIbLb1EES10_IbLb0EEEEDaSW_SX_EUlSW_E_NS1_11comp_targetILNS1_3genE3ELNS1_11target_archE908ELNS1_3gpuE7ELNS1_3repE0EEENS1_30default_config_static_selectorELNS0_4arch9wavefront6targetE0EEEvT1_,comdat
.Lfunc_end492:
	.size	_ZN7rocprim17ROCPRIM_400000_NS6detail17trampoline_kernelINS0_14default_configENS1_29reduce_by_key_config_selectorIxxN6thrust23THRUST_200600_302600_NS4plusIxEEEEZZNS1_33reduce_by_key_impl_wrapped_configILNS1_25lookback_scan_determinismE0ES3_S9_NS6_6detail15normal_iteratorINS6_10device_ptrIxEEEESG_SG_SG_PmS8_NS6_8equal_toIxEEEE10hipError_tPvRmT2_T3_mT4_T5_T6_T7_T8_P12ihipStream_tbENKUlT_T0_E_clISt17integral_constantIbLb1EES10_IbLb0EEEEDaSW_SX_EUlSW_E_NS1_11comp_targetILNS1_3genE3ELNS1_11target_archE908ELNS1_3gpuE7ELNS1_3repE0EEENS1_30default_config_static_selectorELNS0_4arch9wavefront6targetE0EEEvT1_, .Lfunc_end492-_ZN7rocprim17ROCPRIM_400000_NS6detail17trampoline_kernelINS0_14default_configENS1_29reduce_by_key_config_selectorIxxN6thrust23THRUST_200600_302600_NS4plusIxEEEEZZNS1_33reduce_by_key_impl_wrapped_configILNS1_25lookback_scan_determinismE0ES3_S9_NS6_6detail15normal_iteratorINS6_10device_ptrIxEEEESG_SG_SG_PmS8_NS6_8equal_toIxEEEE10hipError_tPvRmT2_T3_mT4_T5_T6_T7_T8_P12ihipStream_tbENKUlT_T0_E_clISt17integral_constantIbLb1EES10_IbLb0EEEEDaSW_SX_EUlSW_E_NS1_11comp_targetILNS1_3genE3ELNS1_11target_archE908ELNS1_3gpuE7ELNS1_3repE0EEENS1_30default_config_static_selectorELNS0_4arch9wavefront6targetE0EEEvT1_
                                        ; -- End function
	.section	.AMDGPU.csdata,"",@progbits
; Kernel info:
; codeLenInByte = 0
; NumSgprs: 0
; NumVgprs: 0
; ScratchSize: 0
; MemoryBound: 0
; FloatMode: 240
; IeeeMode: 1
; LDSByteSize: 0 bytes/workgroup (compile time only)
; SGPRBlocks: 0
; VGPRBlocks: 0
; NumSGPRsForWavesPerEU: 1
; NumVGPRsForWavesPerEU: 1
; Occupancy: 16
; WaveLimiterHint : 0
; COMPUTE_PGM_RSRC2:SCRATCH_EN: 0
; COMPUTE_PGM_RSRC2:USER_SGPR: 15
; COMPUTE_PGM_RSRC2:TRAP_HANDLER: 0
; COMPUTE_PGM_RSRC2:TGID_X_EN: 1
; COMPUTE_PGM_RSRC2:TGID_Y_EN: 0
; COMPUTE_PGM_RSRC2:TGID_Z_EN: 0
; COMPUTE_PGM_RSRC2:TIDIG_COMP_CNT: 0
	.section	.text._ZN7rocprim17ROCPRIM_400000_NS6detail17trampoline_kernelINS0_14default_configENS1_29reduce_by_key_config_selectorIxxN6thrust23THRUST_200600_302600_NS4plusIxEEEEZZNS1_33reduce_by_key_impl_wrapped_configILNS1_25lookback_scan_determinismE0ES3_S9_NS6_6detail15normal_iteratorINS6_10device_ptrIxEEEESG_SG_SG_PmS8_NS6_8equal_toIxEEEE10hipError_tPvRmT2_T3_mT4_T5_T6_T7_T8_P12ihipStream_tbENKUlT_T0_E_clISt17integral_constantIbLb1EES10_IbLb0EEEEDaSW_SX_EUlSW_E_NS1_11comp_targetILNS1_3genE2ELNS1_11target_archE906ELNS1_3gpuE6ELNS1_3repE0EEENS1_30default_config_static_selectorELNS0_4arch9wavefront6targetE0EEEvT1_,"axG",@progbits,_ZN7rocprim17ROCPRIM_400000_NS6detail17trampoline_kernelINS0_14default_configENS1_29reduce_by_key_config_selectorIxxN6thrust23THRUST_200600_302600_NS4plusIxEEEEZZNS1_33reduce_by_key_impl_wrapped_configILNS1_25lookback_scan_determinismE0ES3_S9_NS6_6detail15normal_iteratorINS6_10device_ptrIxEEEESG_SG_SG_PmS8_NS6_8equal_toIxEEEE10hipError_tPvRmT2_T3_mT4_T5_T6_T7_T8_P12ihipStream_tbENKUlT_T0_E_clISt17integral_constantIbLb1EES10_IbLb0EEEEDaSW_SX_EUlSW_E_NS1_11comp_targetILNS1_3genE2ELNS1_11target_archE906ELNS1_3gpuE6ELNS1_3repE0EEENS1_30default_config_static_selectorELNS0_4arch9wavefront6targetE0EEEvT1_,comdat
	.protected	_ZN7rocprim17ROCPRIM_400000_NS6detail17trampoline_kernelINS0_14default_configENS1_29reduce_by_key_config_selectorIxxN6thrust23THRUST_200600_302600_NS4plusIxEEEEZZNS1_33reduce_by_key_impl_wrapped_configILNS1_25lookback_scan_determinismE0ES3_S9_NS6_6detail15normal_iteratorINS6_10device_ptrIxEEEESG_SG_SG_PmS8_NS6_8equal_toIxEEEE10hipError_tPvRmT2_T3_mT4_T5_T6_T7_T8_P12ihipStream_tbENKUlT_T0_E_clISt17integral_constantIbLb1EES10_IbLb0EEEEDaSW_SX_EUlSW_E_NS1_11comp_targetILNS1_3genE2ELNS1_11target_archE906ELNS1_3gpuE6ELNS1_3repE0EEENS1_30default_config_static_selectorELNS0_4arch9wavefront6targetE0EEEvT1_ ; -- Begin function _ZN7rocprim17ROCPRIM_400000_NS6detail17trampoline_kernelINS0_14default_configENS1_29reduce_by_key_config_selectorIxxN6thrust23THRUST_200600_302600_NS4plusIxEEEEZZNS1_33reduce_by_key_impl_wrapped_configILNS1_25lookback_scan_determinismE0ES3_S9_NS6_6detail15normal_iteratorINS6_10device_ptrIxEEEESG_SG_SG_PmS8_NS6_8equal_toIxEEEE10hipError_tPvRmT2_T3_mT4_T5_T6_T7_T8_P12ihipStream_tbENKUlT_T0_E_clISt17integral_constantIbLb1EES10_IbLb0EEEEDaSW_SX_EUlSW_E_NS1_11comp_targetILNS1_3genE2ELNS1_11target_archE906ELNS1_3gpuE6ELNS1_3repE0EEENS1_30default_config_static_selectorELNS0_4arch9wavefront6targetE0EEEvT1_
	.globl	_ZN7rocprim17ROCPRIM_400000_NS6detail17trampoline_kernelINS0_14default_configENS1_29reduce_by_key_config_selectorIxxN6thrust23THRUST_200600_302600_NS4plusIxEEEEZZNS1_33reduce_by_key_impl_wrapped_configILNS1_25lookback_scan_determinismE0ES3_S9_NS6_6detail15normal_iteratorINS6_10device_ptrIxEEEESG_SG_SG_PmS8_NS6_8equal_toIxEEEE10hipError_tPvRmT2_T3_mT4_T5_T6_T7_T8_P12ihipStream_tbENKUlT_T0_E_clISt17integral_constantIbLb1EES10_IbLb0EEEEDaSW_SX_EUlSW_E_NS1_11comp_targetILNS1_3genE2ELNS1_11target_archE906ELNS1_3gpuE6ELNS1_3repE0EEENS1_30default_config_static_selectorELNS0_4arch9wavefront6targetE0EEEvT1_
	.p2align	8
	.type	_ZN7rocprim17ROCPRIM_400000_NS6detail17trampoline_kernelINS0_14default_configENS1_29reduce_by_key_config_selectorIxxN6thrust23THRUST_200600_302600_NS4plusIxEEEEZZNS1_33reduce_by_key_impl_wrapped_configILNS1_25lookback_scan_determinismE0ES3_S9_NS6_6detail15normal_iteratorINS6_10device_ptrIxEEEESG_SG_SG_PmS8_NS6_8equal_toIxEEEE10hipError_tPvRmT2_T3_mT4_T5_T6_T7_T8_P12ihipStream_tbENKUlT_T0_E_clISt17integral_constantIbLb1EES10_IbLb0EEEEDaSW_SX_EUlSW_E_NS1_11comp_targetILNS1_3genE2ELNS1_11target_archE906ELNS1_3gpuE6ELNS1_3repE0EEENS1_30default_config_static_selectorELNS0_4arch9wavefront6targetE0EEEvT1_,@function
_ZN7rocprim17ROCPRIM_400000_NS6detail17trampoline_kernelINS0_14default_configENS1_29reduce_by_key_config_selectorIxxN6thrust23THRUST_200600_302600_NS4plusIxEEEEZZNS1_33reduce_by_key_impl_wrapped_configILNS1_25lookback_scan_determinismE0ES3_S9_NS6_6detail15normal_iteratorINS6_10device_ptrIxEEEESG_SG_SG_PmS8_NS6_8equal_toIxEEEE10hipError_tPvRmT2_T3_mT4_T5_T6_T7_T8_P12ihipStream_tbENKUlT_T0_E_clISt17integral_constantIbLb1EES10_IbLb0EEEEDaSW_SX_EUlSW_E_NS1_11comp_targetILNS1_3genE2ELNS1_11target_archE906ELNS1_3gpuE6ELNS1_3repE0EEENS1_30default_config_static_selectorELNS0_4arch9wavefront6targetE0EEEvT1_: ; @_ZN7rocprim17ROCPRIM_400000_NS6detail17trampoline_kernelINS0_14default_configENS1_29reduce_by_key_config_selectorIxxN6thrust23THRUST_200600_302600_NS4plusIxEEEEZZNS1_33reduce_by_key_impl_wrapped_configILNS1_25lookback_scan_determinismE0ES3_S9_NS6_6detail15normal_iteratorINS6_10device_ptrIxEEEESG_SG_SG_PmS8_NS6_8equal_toIxEEEE10hipError_tPvRmT2_T3_mT4_T5_T6_T7_T8_P12ihipStream_tbENKUlT_T0_E_clISt17integral_constantIbLb1EES10_IbLb0EEEEDaSW_SX_EUlSW_E_NS1_11comp_targetILNS1_3genE2ELNS1_11target_archE906ELNS1_3gpuE6ELNS1_3repE0EEENS1_30default_config_static_selectorELNS0_4arch9wavefront6targetE0EEEvT1_
; %bb.0:
	.section	.rodata,"a",@progbits
	.p2align	6, 0x0
	.amdhsa_kernel _ZN7rocprim17ROCPRIM_400000_NS6detail17trampoline_kernelINS0_14default_configENS1_29reduce_by_key_config_selectorIxxN6thrust23THRUST_200600_302600_NS4plusIxEEEEZZNS1_33reduce_by_key_impl_wrapped_configILNS1_25lookback_scan_determinismE0ES3_S9_NS6_6detail15normal_iteratorINS6_10device_ptrIxEEEESG_SG_SG_PmS8_NS6_8equal_toIxEEEE10hipError_tPvRmT2_T3_mT4_T5_T6_T7_T8_P12ihipStream_tbENKUlT_T0_E_clISt17integral_constantIbLb1EES10_IbLb0EEEEDaSW_SX_EUlSW_E_NS1_11comp_targetILNS1_3genE2ELNS1_11target_archE906ELNS1_3gpuE6ELNS1_3repE0EEENS1_30default_config_static_selectorELNS0_4arch9wavefront6targetE0EEEvT1_
		.amdhsa_group_segment_fixed_size 0
		.amdhsa_private_segment_fixed_size 0
		.amdhsa_kernarg_size 136
		.amdhsa_user_sgpr_count 15
		.amdhsa_user_sgpr_dispatch_ptr 0
		.amdhsa_user_sgpr_queue_ptr 0
		.amdhsa_user_sgpr_kernarg_segment_ptr 1
		.amdhsa_user_sgpr_dispatch_id 0
		.amdhsa_user_sgpr_private_segment_size 0
		.amdhsa_wavefront_size32 1
		.amdhsa_uses_dynamic_stack 0
		.amdhsa_enable_private_segment 0
		.amdhsa_system_sgpr_workgroup_id_x 1
		.amdhsa_system_sgpr_workgroup_id_y 0
		.amdhsa_system_sgpr_workgroup_id_z 0
		.amdhsa_system_sgpr_workgroup_info 0
		.amdhsa_system_vgpr_workitem_id 0
		.amdhsa_next_free_vgpr 1
		.amdhsa_next_free_sgpr 1
		.amdhsa_reserve_vcc 0
		.amdhsa_float_round_mode_32 0
		.amdhsa_float_round_mode_16_64 0
		.amdhsa_float_denorm_mode_32 3
		.amdhsa_float_denorm_mode_16_64 3
		.amdhsa_dx10_clamp 1
		.amdhsa_ieee_mode 1
		.amdhsa_fp16_overflow 0
		.amdhsa_workgroup_processor_mode 1
		.amdhsa_memory_ordered 1
		.amdhsa_forward_progress 0
		.amdhsa_shared_vgpr_count 0
		.amdhsa_exception_fp_ieee_invalid_op 0
		.amdhsa_exception_fp_denorm_src 0
		.amdhsa_exception_fp_ieee_div_zero 0
		.amdhsa_exception_fp_ieee_overflow 0
		.amdhsa_exception_fp_ieee_underflow 0
		.amdhsa_exception_fp_ieee_inexact 0
		.amdhsa_exception_int_div_zero 0
	.end_amdhsa_kernel
	.section	.text._ZN7rocprim17ROCPRIM_400000_NS6detail17trampoline_kernelINS0_14default_configENS1_29reduce_by_key_config_selectorIxxN6thrust23THRUST_200600_302600_NS4plusIxEEEEZZNS1_33reduce_by_key_impl_wrapped_configILNS1_25lookback_scan_determinismE0ES3_S9_NS6_6detail15normal_iteratorINS6_10device_ptrIxEEEESG_SG_SG_PmS8_NS6_8equal_toIxEEEE10hipError_tPvRmT2_T3_mT4_T5_T6_T7_T8_P12ihipStream_tbENKUlT_T0_E_clISt17integral_constantIbLb1EES10_IbLb0EEEEDaSW_SX_EUlSW_E_NS1_11comp_targetILNS1_3genE2ELNS1_11target_archE906ELNS1_3gpuE6ELNS1_3repE0EEENS1_30default_config_static_selectorELNS0_4arch9wavefront6targetE0EEEvT1_,"axG",@progbits,_ZN7rocprim17ROCPRIM_400000_NS6detail17trampoline_kernelINS0_14default_configENS1_29reduce_by_key_config_selectorIxxN6thrust23THRUST_200600_302600_NS4plusIxEEEEZZNS1_33reduce_by_key_impl_wrapped_configILNS1_25lookback_scan_determinismE0ES3_S9_NS6_6detail15normal_iteratorINS6_10device_ptrIxEEEESG_SG_SG_PmS8_NS6_8equal_toIxEEEE10hipError_tPvRmT2_T3_mT4_T5_T6_T7_T8_P12ihipStream_tbENKUlT_T0_E_clISt17integral_constantIbLb1EES10_IbLb0EEEEDaSW_SX_EUlSW_E_NS1_11comp_targetILNS1_3genE2ELNS1_11target_archE906ELNS1_3gpuE6ELNS1_3repE0EEENS1_30default_config_static_selectorELNS0_4arch9wavefront6targetE0EEEvT1_,comdat
.Lfunc_end493:
	.size	_ZN7rocprim17ROCPRIM_400000_NS6detail17trampoline_kernelINS0_14default_configENS1_29reduce_by_key_config_selectorIxxN6thrust23THRUST_200600_302600_NS4plusIxEEEEZZNS1_33reduce_by_key_impl_wrapped_configILNS1_25lookback_scan_determinismE0ES3_S9_NS6_6detail15normal_iteratorINS6_10device_ptrIxEEEESG_SG_SG_PmS8_NS6_8equal_toIxEEEE10hipError_tPvRmT2_T3_mT4_T5_T6_T7_T8_P12ihipStream_tbENKUlT_T0_E_clISt17integral_constantIbLb1EES10_IbLb0EEEEDaSW_SX_EUlSW_E_NS1_11comp_targetILNS1_3genE2ELNS1_11target_archE906ELNS1_3gpuE6ELNS1_3repE0EEENS1_30default_config_static_selectorELNS0_4arch9wavefront6targetE0EEEvT1_, .Lfunc_end493-_ZN7rocprim17ROCPRIM_400000_NS6detail17trampoline_kernelINS0_14default_configENS1_29reduce_by_key_config_selectorIxxN6thrust23THRUST_200600_302600_NS4plusIxEEEEZZNS1_33reduce_by_key_impl_wrapped_configILNS1_25lookback_scan_determinismE0ES3_S9_NS6_6detail15normal_iteratorINS6_10device_ptrIxEEEESG_SG_SG_PmS8_NS6_8equal_toIxEEEE10hipError_tPvRmT2_T3_mT4_T5_T6_T7_T8_P12ihipStream_tbENKUlT_T0_E_clISt17integral_constantIbLb1EES10_IbLb0EEEEDaSW_SX_EUlSW_E_NS1_11comp_targetILNS1_3genE2ELNS1_11target_archE906ELNS1_3gpuE6ELNS1_3repE0EEENS1_30default_config_static_selectorELNS0_4arch9wavefront6targetE0EEEvT1_
                                        ; -- End function
	.section	.AMDGPU.csdata,"",@progbits
; Kernel info:
; codeLenInByte = 0
; NumSgprs: 0
; NumVgprs: 0
; ScratchSize: 0
; MemoryBound: 0
; FloatMode: 240
; IeeeMode: 1
; LDSByteSize: 0 bytes/workgroup (compile time only)
; SGPRBlocks: 0
; VGPRBlocks: 0
; NumSGPRsForWavesPerEU: 1
; NumVGPRsForWavesPerEU: 1
; Occupancy: 16
; WaveLimiterHint : 0
; COMPUTE_PGM_RSRC2:SCRATCH_EN: 0
; COMPUTE_PGM_RSRC2:USER_SGPR: 15
; COMPUTE_PGM_RSRC2:TRAP_HANDLER: 0
; COMPUTE_PGM_RSRC2:TGID_X_EN: 1
; COMPUTE_PGM_RSRC2:TGID_Y_EN: 0
; COMPUTE_PGM_RSRC2:TGID_Z_EN: 0
; COMPUTE_PGM_RSRC2:TIDIG_COMP_CNT: 0
	.section	.text._ZN7rocprim17ROCPRIM_400000_NS6detail17trampoline_kernelINS0_14default_configENS1_29reduce_by_key_config_selectorIxxN6thrust23THRUST_200600_302600_NS4plusIxEEEEZZNS1_33reduce_by_key_impl_wrapped_configILNS1_25lookback_scan_determinismE0ES3_S9_NS6_6detail15normal_iteratorINS6_10device_ptrIxEEEESG_SG_SG_PmS8_NS6_8equal_toIxEEEE10hipError_tPvRmT2_T3_mT4_T5_T6_T7_T8_P12ihipStream_tbENKUlT_T0_E_clISt17integral_constantIbLb1EES10_IbLb0EEEEDaSW_SX_EUlSW_E_NS1_11comp_targetILNS1_3genE10ELNS1_11target_archE1201ELNS1_3gpuE5ELNS1_3repE0EEENS1_30default_config_static_selectorELNS0_4arch9wavefront6targetE0EEEvT1_,"axG",@progbits,_ZN7rocprim17ROCPRIM_400000_NS6detail17trampoline_kernelINS0_14default_configENS1_29reduce_by_key_config_selectorIxxN6thrust23THRUST_200600_302600_NS4plusIxEEEEZZNS1_33reduce_by_key_impl_wrapped_configILNS1_25lookback_scan_determinismE0ES3_S9_NS6_6detail15normal_iteratorINS6_10device_ptrIxEEEESG_SG_SG_PmS8_NS6_8equal_toIxEEEE10hipError_tPvRmT2_T3_mT4_T5_T6_T7_T8_P12ihipStream_tbENKUlT_T0_E_clISt17integral_constantIbLb1EES10_IbLb0EEEEDaSW_SX_EUlSW_E_NS1_11comp_targetILNS1_3genE10ELNS1_11target_archE1201ELNS1_3gpuE5ELNS1_3repE0EEENS1_30default_config_static_selectorELNS0_4arch9wavefront6targetE0EEEvT1_,comdat
	.protected	_ZN7rocprim17ROCPRIM_400000_NS6detail17trampoline_kernelINS0_14default_configENS1_29reduce_by_key_config_selectorIxxN6thrust23THRUST_200600_302600_NS4plusIxEEEEZZNS1_33reduce_by_key_impl_wrapped_configILNS1_25lookback_scan_determinismE0ES3_S9_NS6_6detail15normal_iteratorINS6_10device_ptrIxEEEESG_SG_SG_PmS8_NS6_8equal_toIxEEEE10hipError_tPvRmT2_T3_mT4_T5_T6_T7_T8_P12ihipStream_tbENKUlT_T0_E_clISt17integral_constantIbLb1EES10_IbLb0EEEEDaSW_SX_EUlSW_E_NS1_11comp_targetILNS1_3genE10ELNS1_11target_archE1201ELNS1_3gpuE5ELNS1_3repE0EEENS1_30default_config_static_selectorELNS0_4arch9wavefront6targetE0EEEvT1_ ; -- Begin function _ZN7rocprim17ROCPRIM_400000_NS6detail17trampoline_kernelINS0_14default_configENS1_29reduce_by_key_config_selectorIxxN6thrust23THRUST_200600_302600_NS4plusIxEEEEZZNS1_33reduce_by_key_impl_wrapped_configILNS1_25lookback_scan_determinismE0ES3_S9_NS6_6detail15normal_iteratorINS6_10device_ptrIxEEEESG_SG_SG_PmS8_NS6_8equal_toIxEEEE10hipError_tPvRmT2_T3_mT4_T5_T6_T7_T8_P12ihipStream_tbENKUlT_T0_E_clISt17integral_constantIbLb1EES10_IbLb0EEEEDaSW_SX_EUlSW_E_NS1_11comp_targetILNS1_3genE10ELNS1_11target_archE1201ELNS1_3gpuE5ELNS1_3repE0EEENS1_30default_config_static_selectorELNS0_4arch9wavefront6targetE0EEEvT1_
	.globl	_ZN7rocprim17ROCPRIM_400000_NS6detail17trampoline_kernelINS0_14default_configENS1_29reduce_by_key_config_selectorIxxN6thrust23THRUST_200600_302600_NS4plusIxEEEEZZNS1_33reduce_by_key_impl_wrapped_configILNS1_25lookback_scan_determinismE0ES3_S9_NS6_6detail15normal_iteratorINS6_10device_ptrIxEEEESG_SG_SG_PmS8_NS6_8equal_toIxEEEE10hipError_tPvRmT2_T3_mT4_T5_T6_T7_T8_P12ihipStream_tbENKUlT_T0_E_clISt17integral_constantIbLb1EES10_IbLb0EEEEDaSW_SX_EUlSW_E_NS1_11comp_targetILNS1_3genE10ELNS1_11target_archE1201ELNS1_3gpuE5ELNS1_3repE0EEENS1_30default_config_static_selectorELNS0_4arch9wavefront6targetE0EEEvT1_
	.p2align	8
	.type	_ZN7rocprim17ROCPRIM_400000_NS6detail17trampoline_kernelINS0_14default_configENS1_29reduce_by_key_config_selectorIxxN6thrust23THRUST_200600_302600_NS4plusIxEEEEZZNS1_33reduce_by_key_impl_wrapped_configILNS1_25lookback_scan_determinismE0ES3_S9_NS6_6detail15normal_iteratorINS6_10device_ptrIxEEEESG_SG_SG_PmS8_NS6_8equal_toIxEEEE10hipError_tPvRmT2_T3_mT4_T5_T6_T7_T8_P12ihipStream_tbENKUlT_T0_E_clISt17integral_constantIbLb1EES10_IbLb0EEEEDaSW_SX_EUlSW_E_NS1_11comp_targetILNS1_3genE10ELNS1_11target_archE1201ELNS1_3gpuE5ELNS1_3repE0EEENS1_30default_config_static_selectorELNS0_4arch9wavefront6targetE0EEEvT1_,@function
_ZN7rocprim17ROCPRIM_400000_NS6detail17trampoline_kernelINS0_14default_configENS1_29reduce_by_key_config_selectorIxxN6thrust23THRUST_200600_302600_NS4plusIxEEEEZZNS1_33reduce_by_key_impl_wrapped_configILNS1_25lookback_scan_determinismE0ES3_S9_NS6_6detail15normal_iteratorINS6_10device_ptrIxEEEESG_SG_SG_PmS8_NS6_8equal_toIxEEEE10hipError_tPvRmT2_T3_mT4_T5_T6_T7_T8_P12ihipStream_tbENKUlT_T0_E_clISt17integral_constantIbLb1EES10_IbLb0EEEEDaSW_SX_EUlSW_E_NS1_11comp_targetILNS1_3genE10ELNS1_11target_archE1201ELNS1_3gpuE5ELNS1_3repE0EEENS1_30default_config_static_selectorELNS0_4arch9wavefront6targetE0EEEvT1_: ; @_ZN7rocprim17ROCPRIM_400000_NS6detail17trampoline_kernelINS0_14default_configENS1_29reduce_by_key_config_selectorIxxN6thrust23THRUST_200600_302600_NS4plusIxEEEEZZNS1_33reduce_by_key_impl_wrapped_configILNS1_25lookback_scan_determinismE0ES3_S9_NS6_6detail15normal_iteratorINS6_10device_ptrIxEEEESG_SG_SG_PmS8_NS6_8equal_toIxEEEE10hipError_tPvRmT2_T3_mT4_T5_T6_T7_T8_P12ihipStream_tbENKUlT_T0_E_clISt17integral_constantIbLb1EES10_IbLb0EEEEDaSW_SX_EUlSW_E_NS1_11comp_targetILNS1_3genE10ELNS1_11target_archE1201ELNS1_3gpuE5ELNS1_3repE0EEENS1_30default_config_static_selectorELNS0_4arch9wavefront6targetE0EEEvT1_
; %bb.0:
	.section	.rodata,"a",@progbits
	.p2align	6, 0x0
	.amdhsa_kernel _ZN7rocprim17ROCPRIM_400000_NS6detail17trampoline_kernelINS0_14default_configENS1_29reduce_by_key_config_selectorIxxN6thrust23THRUST_200600_302600_NS4plusIxEEEEZZNS1_33reduce_by_key_impl_wrapped_configILNS1_25lookback_scan_determinismE0ES3_S9_NS6_6detail15normal_iteratorINS6_10device_ptrIxEEEESG_SG_SG_PmS8_NS6_8equal_toIxEEEE10hipError_tPvRmT2_T3_mT4_T5_T6_T7_T8_P12ihipStream_tbENKUlT_T0_E_clISt17integral_constantIbLb1EES10_IbLb0EEEEDaSW_SX_EUlSW_E_NS1_11comp_targetILNS1_3genE10ELNS1_11target_archE1201ELNS1_3gpuE5ELNS1_3repE0EEENS1_30default_config_static_selectorELNS0_4arch9wavefront6targetE0EEEvT1_
		.amdhsa_group_segment_fixed_size 0
		.amdhsa_private_segment_fixed_size 0
		.amdhsa_kernarg_size 136
		.amdhsa_user_sgpr_count 15
		.amdhsa_user_sgpr_dispatch_ptr 0
		.amdhsa_user_sgpr_queue_ptr 0
		.amdhsa_user_sgpr_kernarg_segment_ptr 1
		.amdhsa_user_sgpr_dispatch_id 0
		.amdhsa_user_sgpr_private_segment_size 0
		.amdhsa_wavefront_size32 1
		.amdhsa_uses_dynamic_stack 0
		.amdhsa_enable_private_segment 0
		.amdhsa_system_sgpr_workgroup_id_x 1
		.amdhsa_system_sgpr_workgroup_id_y 0
		.amdhsa_system_sgpr_workgroup_id_z 0
		.amdhsa_system_sgpr_workgroup_info 0
		.amdhsa_system_vgpr_workitem_id 0
		.amdhsa_next_free_vgpr 1
		.amdhsa_next_free_sgpr 1
		.amdhsa_reserve_vcc 0
		.amdhsa_float_round_mode_32 0
		.amdhsa_float_round_mode_16_64 0
		.amdhsa_float_denorm_mode_32 3
		.amdhsa_float_denorm_mode_16_64 3
		.amdhsa_dx10_clamp 1
		.amdhsa_ieee_mode 1
		.amdhsa_fp16_overflow 0
		.amdhsa_workgroup_processor_mode 1
		.amdhsa_memory_ordered 1
		.amdhsa_forward_progress 0
		.amdhsa_shared_vgpr_count 0
		.amdhsa_exception_fp_ieee_invalid_op 0
		.amdhsa_exception_fp_denorm_src 0
		.amdhsa_exception_fp_ieee_div_zero 0
		.amdhsa_exception_fp_ieee_overflow 0
		.amdhsa_exception_fp_ieee_underflow 0
		.amdhsa_exception_fp_ieee_inexact 0
		.amdhsa_exception_int_div_zero 0
	.end_amdhsa_kernel
	.section	.text._ZN7rocprim17ROCPRIM_400000_NS6detail17trampoline_kernelINS0_14default_configENS1_29reduce_by_key_config_selectorIxxN6thrust23THRUST_200600_302600_NS4plusIxEEEEZZNS1_33reduce_by_key_impl_wrapped_configILNS1_25lookback_scan_determinismE0ES3_S9_NS6_6detail15normal_iteratorINS6_10device_ptrIxEEEESG_SG_SG_PmS8_NS6_8equal_toIxEEEE10hipError_tPvRmT2_T3_mT4_T5_T6_T7_T8_P12ihipStream_tbENKUlT_T0_E_clISt17integral_constantIbLb1EES10_IbLb0EEEEDaSW_SX_EUlSW_E_NS1_11comp_targetILNS1_3genE10ELNS1_11target_archE1201ELNS1_3gpuE5ELNS1_3repE0EEENS1_30default_config_static_selectorELNS0_4arch9wavefront6targetE0EEEvT1_,"axG",@progbits,_ZN7rocprim17ROCPRIM_400000_NS6detail17trampoline_kernelINS0_14default_configENS1_29reduce_by_key_config_selectorIxxN6thrust23THRUST_200600_302600_NS4plusIxEEEEZZNS1_33reduce_by_key_impl_wrapped_configILNS1_25lookback_scan_determinismE0ES3_S9_NS6_6detail15normal_iteratorINS6_10device_ptrIxEEEESG_SG_SG_PmS8_NS6_8equal_toIxEEEE10hipError_tPvRmT2_T3_mT4_T5_T6_T7_T8_P12ihipStream_tbENKUlT_T0_E_clISt17integral_constantIbLb1EES10_IbLb0EEEEDaSW_SX_EUlSW_E_NS1_11comp_targetILNS1_3genE10ELNS1_11target_archE1201ELNS1_3gpuE5ELNS1_3repE0EEENS1_30default_config_static_selectorELNS0_4arch9wavefront6targetE0EEEvT1_,comdat
.Lfunc_end494:
	.size	_ZN7rocprim17ROCPRIM_400000_NS6detail17trampoline_kernelINS0_14default_configENS1_29reduce_by_key_config_selectorIxxN6thrust23THRUST_200600_302600_NS4plusIxEEEEZZNS1_33reduce_by_key_impl_wrapped_configILNS1_25lookback_scan_determinismE0ES3_S9_NS6_6detail15normal_iteratorINS6_10device_ptrIxEEEESG_SG_SG_PmS8_NS6_8equal_toIxEEEE10hipError_tPvRmT2_T3_mT4_T5_T6_T7_T8_P12ihipStream_tbENKUlT_T0_E_clISt17integral_constantIbLb1EES10_IbLb0EEEEDaSW_SX_EUlSW_E_NS1_11comp_targetILNS1_3genE10ELNS1_11target_archE1201ELNS1_3gpuE5ELNS1_3repE0EEENS1_30default_config_static_selectorELNS0_4arch9wavefront6targetE0EEEvT1_, .Lfunc_end494-_ZN7rocprim17ROCPRIM_400000_NS6detail17trampoline_kernelINS0_14default_configENS1_29reduce_by_key_config_selectorIxxN6thrust23THRUST_200600_302600_NS4plusIxEEEEZZNS1_33reduce_by_key_impl_wrapped_configILNS1_25lookback_scan_determinismE0ES3_S9_NS6_6detail15normal_iteratorINS6_10device_ptrIxEEEESG_SG_SG_PmS8_NS6_8equal_toIxEEEE10hipError_tPvRmT2_T3_mT4_T5_T6_T7_T8_P12ihipStream_tbENKUlT_T0_E_clISt17integral_constantIbLb1EES10_IbLb0EEEEDaSW_SX_EUlSW_E_NS1_11comp_targetILNS1_3genE10ELNS1_11target_archE1201ELNS1_3gpuE5ELNS1_3repE0EEENS1_30default_config_static_selectorELNS0_4arch9wavefront6targetE0EEEvT1_
                                        ; -- End function
	.section	.AMDGPU.csdata,"",@progbits
; Kernel info:
; codeLenInByte = 0
; NumSgprs: 0
; NumVgprs: 0
; ScratchSize: 0
; MemoryBound: 0
; FloatMode: 240
; IeeeMode: 1
; LDSByteSize: 0 bytes/workgroup (compile time only)
; SGPRBlocks: 0
; VGPRBlocks: 0
; NumSGPRsForWavesPerEU: 1
; NumVGPRsForWavesPerEU: 1
; Occupancy: 16
; WaveLimiterHint : 0
; COMPUTE_PGM_RSRC2:SCRATCH_EN: 0
; COMPUTE_PGM_RSRC2:USER_SGPR: 15
; COMPUTE_PGM_RSRC2:TRAP_HANDLER: 0
; COMPUTE_PGM_RSRC2:TGID_X_EN: 1
; COMPUTE_PGM_RSRC2:TGID_Y_EN: 0
; COMPUTE_PGM_RSRC2:TGID_Z_EN: 0
; COMPUTE_PGM_RSRC2:TIDIG_COMP_CNT: 0
	.section	.text._ZN7rocprim17ROCPRIM_400000_NS6detail17trampoline_kernelINS0_14default_configENS1_29reduce_by_key_config_selectorIxxN6thrust23THRUST_200600_302600_NS4plusIxEEEEZZNS1_33reduce_by_key_impl_wrapped_configILNS1_25lookback_scan_determinismE0ES3_S9_NS6_6detail15normal_iteratorINS6_10device_ptrIxEEEESG_SG_SG_PmS8_NS6_8equal_toIxEEEE10hipError_tPvRmT2_T3_mT4_T5_T6_T7_T8_P12ihipStream_tbENKUlT_T0_E_clISt17integral_constantIbLb1EES10_IbLb0EEEEDaSW_SX_EUlSW_E_NS1_11comp_targetILNS1_3genE10ELNS1_11target_archE1200ELNS1_3gpuE4ELNS1_3repE0EEENS1_30default_config_static_selectorELNS0_4arch9wavefront6targetE0EEEvT1_,"axG",@progbits,_ZN7rocprim17ROCPRIM_400000_NS6detail17trampoline_kernelINS0_14default_configENS1_29reduce_by_key_config_selectorIxxN6thrust23THRUST_200600_302600_NS4plusIxEEEEZZNS1_33reduce_by_key_impl_wrapped_configILNS1_25lookback_scan_determinismE0ES3_S9_NS6_6detail15normal_iteratorINS6_10device_ptrIxEEEESG_SG_SG_PmS8_NS6_8equal_toIxEEEE10hipError_tPvRmT2_T3_mT4_T5_T6_T7_T8_P12ihipStream_tbENKUlT_T0_E_clISt17integral_constantIbLb1EES10_IbLb0EEEEDaSW_SX_EUlSW_E_NS1_11comp_targetILNS1_3genE10ELNS1_11target_archE1200ELNS1_3gpuE4ELNS1_3repE0EEENS1_30default_config_static_selectorELNS0_4arch9wavefront6targetE0EEEvT1_,comdat
	.protected	_ZN7rocprim17ROCPRIM_400000_NS6detail17trampoline_kernelINS0_14default_configENS1_29reduce_by_key_config_selectorIxxN6thrust23THRUST_200600_302600_NS4plusIxEEEEZZNS1_33reduce_by_key_impl_wrapped_configILNS1_25lookback_scan_determinismE0ES3_S9_NS6_6detail15normal_iteratorINS6_10device_ptrIxEEEESG_SG_SG_PmS8_NS6_8equal_toIxEEEE10hipError_tPvRmT2_T3_mT4_T5_T6_T7_T8_P12ihipStream_tbENKUlT_T0_E_clISt17integral_constantIbLb1EES10_IbLb0EEEEDaSW_SX_EUlSW_E_NS1_11comp_targetILNS1_3genE10ELNS1_11target_archE1200ELNS1_3gpuE4ELNS1_3repE0EEENS1_30default_config_static_selectorELNS0_4arch9wavefront6targetE0EEEvT1_ ; -- Begin function _ZN7rocprim17ROCPRIM_400000_NS6detail17trampoline_kernelINS0_14default_configENS1_29reduce_by_key_config_selectorIxxN6thrust23THRUST_200600_302600_NS4plusIxEEEEZZNS1_33reduce_by_key_impl_wrapped_configILNS1_25lookback_scan_determinismE0ES3_S9_NS6_6detail15normal_iteratorINS6_10device_ptrIxEEEESG_SG_SG_PmS8_NS6_8equal_toIxEEEE10hipError_tPvRmT2_T3_mT4_T5_T6_T7_T8_P12ihipStream_tbENKUlT_T0_E_clISt17integral_constantIbLb1EES10_IbLb0EEEEDaSW_SX_EUlSW_E_NS1_11comp_targetILNS1_3genE10ELNS1_11target_archE1200ELNS1_3gpuE4ELNS1_3repE0EEENS1_30default_config_static_selectorELNS0_4arch9wavefront6targetE0EEEvT1_
	.globl	_ZN7rocprim17ROCPRIM_400000_NS6detail17trampoline_kernelINS0_14default_configENS1_29reduce_by_key_config_selectorIxxN6thrust23THRUST_200600_302600_NS4plusIxEEEEZZNS1_33reduce_by_key_impl_wrapped_configILNS1_25lookback_scan_determinismE0ES3_S9_NS6_6detail15normal_iteratorINS6_10device_ptrIxEEEESG_SG_SG_PmS8_NS6_8equal_toIxEEEE10hipError_tPvRmT2_T3_mT4_T5_T6_T7_T8_P12ihipStream_tbENKUlT_T0_E_clISt17integral_constantIbLb1EES10_IbLb0EEEEDaSW_SX_EUlSW_E_NS1_11comp_targetILNS1_3genE10ELNS1_11target_archE1200ELNS1_3gpuE4ELNS1_3repE0EEENS1_30default_config_static_selectorELNS0_4arch9wavefront6targetE0EEEvT1_
	.p2align	8
	.type	_ZN7rocprim17ROCPRIM_400000_NS6detail17trampoline_kernelINS0_14default_configENS1_29reduce_by_key_config_selectorIxxN6thrust23THRUST_200600_302600_NS4plusIxEEEEZZNS1_33reduce_by_key_impl_wrapped_configILNS1_25lookback_scan_determinismE0ES3_S9_NS6_6detail15normal_iteratorINS6_10device_ptrIxEEEESG_SG_SG_PmS8_NS6_8equal_toIxEEEE10hipError_tPvRmT2_T3_mT4_T5_T6_T7_T8_P12ihipStream_tbENKUlT_T0_E_clISt17integral_constantIbLb1EES10_IbLb0EEEEDaSW_SX_EUlSW_E_NS1_11comp_targetILNS1_3genE10ELNS1_11target_archE1200ELNS1_3gpuE4ELNS1_3repE0EEENS1_30default_config_static_selectorELNS0_4arch9wavefront6targetE0EEEvT1_,@function
_ZN7rocprim17ROCPRIM_400000_NS6detail17trampoline_kernelINS0_14default_configENS1_29reduce_by_key_config_selectorIxxN6thrust23THRUST_200600_302600_NS4plusIxEEEEZZNS1_33reduce_by_key_impl_wrapped_configILNS1_25lookback_scan_determinismE0ES3_S9_NS6_6detail15normal_iteratorINS6_10device_ptrIxEEEESG_SG_SG_PmS8_NS6_8equal_toIxEEEE10hipError_tPvRmT2_T3_mT4_T5_T6_T7_T8_P12ihipStream_tbENKUlT_T0_E_clISt17integral_constantIbLb1EES10_IbLb0EEEEDaSW_SX_EUlSW_E_NS1_11comp_targetILNS1_3genE10ELNS1_11target_archE1200ELNS1_3gpuE4ELNS1_3repE0EEENS1_30default_config_static_selectorELNS0_4arch9wavefront6targetE0EEEvT1_: ; @_ZN7rocprim17ROCPRIM_400000_NS6detail17trampoline_kernelINS0_14default_configENS1_29reduce_by_key_config_selectorIxxN6thrust23THRUST_200600_302600_NS4plusIxEEEEZZNS1_33reduce_by_key_impl_wrapped_configILNS1_25lookback_scan_determinismE0ES3_S9_NS6_6detail15normal_iteratorINS6_10device_ptrIxEEEESG_SG_SG_PmS8_NS6_8equal_toIxEEEE10hipError_tPvRmT2_T3_mT4_T5_T6_T7_T8_P12ihipStream_tbENKUlT_T0_E_clISt17integral_constantIbLb1EES10_IbLb0EEEEDaSW_SX_EUlSW_E_NS1_11comp_targetILNS1_3genE10ELNS1_11target_archE1200ELNS1_3gpuE4ELNS1_3repE0EEENS1_30default_config_static_selectorELNS0_4arch9wavefront6targetE0EEEvT1_
; %bb.0:
	.section	.rodata,"a",@progbits
	.p2align	6, 0x0
	.amdhsa_kernel _ZN7rocprim17ROCPRIM_400000_NS6detail17trampoline_kernelINS0_14default_configENS1_29reduce_by_key_config_selectorIxxN6thrust23THRUST_200600_302600_NS4plusIxEEEEZZNS1_33reduce_by_key_impl_wrapped_configILNS1_25lookback_scan_determinismE0ES3_S9_NS6_6detail15normal_iteratorINS6_10device_ptrIxEEEESG_SG_SG_PmS8_NS6_8equal_toIxEEEE10hipError_tPvRmT2_T3_mT4_T5_T6_T7_T8_P12ihipStream_tbENKUlT_T0_E_clISt17integral_constantIbLb1EES10_IbLb0EEEEDaSW_SX_EUlSW_E_NS1_11comp_targetILNS1_3genE10ELNS1_11target_archE1200ELNS1_3gpuE4ELNS1_3repE0EEENS1_30default_config_static_selectorELNS0_4arch9wavefront6targetE0EEEvT1_
		.amdhsa_group_segment_fixed_size 0
		.amdhsa_private_segment_fixed_size 0
		.amdhsa_kernarg_size 136
		.amdhsa_user_sgpr_count 15
		.amdhsa_user_sgpr_dispatch_ptr 0
		.amdhsa_user_sgpr_queue_ptr 0
		.amdhsa_user_sgpr_kernarg_segment_ptr 1
		.amdhsa_user_sgpr_dispatch_id 0
		.amdhsa_user_sgpr_private_segment_size 0
		.amdhsa_wavefront_size32 1
		.amdhsa_uses_dynamic_stack 0
		.amdhsa_enable_private_segment 0
		.amdhsa_system_sgpr_workgroup_id_x 1
		.amdhsa_system_sgpr_workgroup_id_y 0
		.amdhsa_system_sgpr_workgroup_id_z 0
		.amdhsa_system_sgpr_workgroup_info 0
		.amdhsa_system_vgpr_workitem_id 0
		.amdhsa_next_free_vgpr 1
		.amdhsa_next_free_sgpr 1
		.amdhsa_reserve_vcc 0
		.amdhsa_float_round_mode_32 0
		.amdhsa_float_round_mode_16_64 0
		.amdhsa_float_denorm_mode_32 3
		.amdhsa_float_denorm_mode_16_64 3
		.amdhsa_dx10_clamp 1
		.amdhsa_ieee_mode 1
		.amdhsa_fp16_overflow 0
		.amdhsa_workgroup_processor_mode 1
		.amdhsa_memory_ordered 1
		.amdhsa_forward_progress 0
		.amdhsa_shared_vgpr_count 0
		.amdhsa_exception_fp_ieee_invalid_op 0
		.amdhsa_exception_fp_denorm_src 0
		.amdhsa_exception_fp_ieee_div_zero 0
		.amdhsa_exception_fp_ieee_overflow 0
		.amdhsa_exception_fp_ieee_underflow 0
		.amdhsa_exception_fp_ieee_inexact 0
		.amdhsa_exception_int_div_zero 0
	.end_amdhsa_kernel
	.section	.text._ZN7rocprim17ROCPRIM_400000_NS6detail17trampoline_kernelINS0_14default_configENS1_29reduce_by_key_config_selectorIxxN6thrust23THRUST_200600_302600_NS4plusIxEEEEZZNS1_33reduce_by_key_impl_wrapped_configILNS1_25lookback_scan_determinismE0ES3_S9_NS6_6detail15normal_iteratorINS6_10device_ptrIxEEEESG_SG_SG_PmS8_NS6_8equal_toIxEEEE10hipError_tPvRmT2_T3_mT4_T5_T6_T7_T8_P12ihipStream_tbENKUlT_T0_E_clISt17integral_constantIbLb1EES10_IbLb0EEEEDaSW_SX_EUlSW_E_NS1_11comp_targetILNS1_3genE10ELNS1_11target_archE1200ELNS1_3gpuE4ELNS1_3repE0EEENS1_30default_config_static_selectorELNS0_4arch9wavefront6targetE0EEEvT1_,"axG",@progbits,_ZN7rocprim17ROCPRIM_400000_NS6detail17trampoline_kernelINS0_14default_configENS1_29reduce_by_key_config_selectorIxxN6thrust23THRUST_200600_302600_NS4plusIxEEEEZZNS1_33reduce_by_key_impl_wrapped_configILNS1_25lookback_scan_determinismE0ES3_S9_NS6_6detail15normal_iteratorINS6_10device_ptrIxEEEESG_SG_SG_PmS8_NS6_8equal_toIxEEEE10hipError_tPvRmT2_T3_mT4_T5_T6_T7_T8_P12ihipStream_tbENKUlT_T0_E_clISt17integral_constantIbLb1EES10_IbLb0EEEEDaSW_SX_EUlSW_E_NS1_11comp_targetILNS1_3genE10ELNS1_11target_archE1200ELNS1_3gpuE4ELNS1_3repE0EEENS1_30default_config_static_selectorELNS0_4arch9wavefront6targetE0EEEvT1_,comdat
.Lfunc_end495:
	.size	_ZN7rocprim17ROCPRIM_400000_NS6detail17trampoline_kernelINS0_14default_configENS1_29reduce_by_key_config_selectorIxxN6thrust23THRUST_200600_302600_NS4plusIxEEEEZZNS1_33reduce_by_key_impl_wrapped_configILNS1_25lookback_scan_determinismE0ES3_S9_NS6_6detail15normal_iteratorINS6_10device_ptrIxEEEESG_SG_SG_PmS8_NS6_8equal_toIxEEEE10hipError_tPvRmT2_T3_mT4_T5_T6_T7_T8_P12ihipStream_tbENKUlT_T0_E_clISt17integral_constantIbLb1EES10_IbLb0EEEEDaSW_SX_EUlSW_E_NS1_11comp_targetILNS1_3genE10ELNS1_11target_archE1200ELNS1_3gpuE4ELNS1_3repE0EEENS1_30default_config_static_selectorELNS0_4arch9wavefront6targetE0EEEvT1_, .Lfunc_end495-_ZN7rocprim17ROCPRIM_400000_NS6detail17trampoline_kernelINS0_14default_configENS1_29reduce_by_key_config_selectorIxxN6thrust23THRUST_200600_302600_NS4plusIxEEEEZZNS1_33reduce_by_key_impl_wrapped_configILNS1_25lookback_scan_determinismE0ES3_S9_NS6_6detail15normal_iteratorINS6_10device_ptrIxEEEESG_SG_SG_PmS8_NS6_8equal_toIxEEEE10hipError_tPvRmT2_T3_mT4_T5_T6_T7_T8_P12ihipStream_tbENKUlT_T0_E_clISt17integral_constantIbLb1EES10_IbLb0EEEEDaSW_SX_EUlSW_E_NS1_11comp_targetILNS1_3genE10ELNS1_11target_archE1200ELNS1_3gpuE4ELNS1_3repE0EEENS1_30default_config_static_selectorELNS0_4arch9wavefront6targetE0EEEvT1_
                                        ; -- End function
	.section	.AMDGPU.csdata,"",@progbits
; Kernel info:
; codeLenInByte = 0
; NumSgprs: 0
; NumVgprs: 0
; ScratchSize: 0
; MemoryBound: 0
; FloatMode: 240
; IeeeMode: 1
; LDSByteSize: 0 bytes/workgroup (compile time only)
; SGPRBlocks: 0
; VGPRBlocks: 0
; NumSGPRsForWavesPerEU: 1
; NumVGPRsForWavesPerEU: 1
; Occupancy: 16
; WaveLimiterHint : 0
; COMPUTE_PGM_RSRC2:SCRATCH_EN: 0
; COMPUTE_PGM_RSRC2:USER_SGPR: 15
; COMPUTE_PGM_RSRC2:TRAP_HANDLER: 0
; COMPUTE_PGM_RSRC2:TGID_X_EN: 1
; COMPUTE_PGM_RSRC2:TGID_Y_EN: 0
; COMPUTE_PGM_RSRC2:TGID_Z_EN: 0
; COMPUTE_PGM_RSRC2:TIDIG_COMP_CNT: 0
	.section	.text._ZN7rocprim17ROCPRIM_400000_NS6detail17trampoline_kernelINS0_14default_configENS1_29reduce_by_key_config_selectorIxxN6thrust23THRUST_200600_302600_NS4plusIxEEEEZZNS1_33reduce_by_key_impl_wrapped_configILNS1_25lookback_scan_determinismE0ES3_S9_NS6_6detail15normal_iteratorINS6_10device_ptrIxEEEESG_SG_SG_PmS8_NS6_8equal_toIxEEEE10hipError_tPvRmT2_T3_mT4_T5_T6_T7_T8_P12ihipStream_tbENKUlT_T0_E_clISt17integral_constantIbLb1EES10_IbLb0EEEEDaSW_SX_EUlSW_E_NS1_11comp_targetILNS1_3genE9ELNS1_11target_archE1100ELNS1_3gpuE3ELNS1_3repE0EEENS1_30default_config_static_selectorELNS0_4arch9wavefront6targetE0EEEvT1_,"axG",@progbits,_ZN7rocprim17ROCPRIM_400000_NS6detail17trampoline_kernelINS0_14default_configENS1_29reduce_by_key_config_selectorIxxN6thrust23THRUST_200600_302600_NS4plusIxEEEEZZNS1_33reduce_by_key_impl_wrapped_configILNS1_25lookback_scan_determinismE0ES3_S9_NS6_6detail15normal_iteratorINS6_10device_ptrIxEEEESG_SG_SG_PmS8_NS6_8equal_toIxEEEE10hipError_tPvRmT2_T3_mT4_T5_T6_T7_T8_P12ihipStream_tbENKUlT_T0_E_clISt17integral_constantIbLb1EES10_IbLb0EEEEDaSW_SX_EUlSW_E_NS1_11comp_targetILNS1_3genE9ELNS1_11target_archE1100ELNS1_3gpuE3ELNS1_3repE0EEENS1_30default_config_static_selectorELNS0_4arch9wavefront6targetE0EEEvT1_,comdat
	.protected	_ZN7rocprim17ROCPRIM_400000_NS6detail17trampoline_kernelINS0_14default_configENS1_29reduce_by_key_config_selectorIxxN6thrust23THRUST_200600_302600_NS4plusIxEEEEZZNS1_33reduce_by_key_impl_wrapped_configILNS1_25lookback_scan_determinismE0ES3_S9_NS6_6detail15normal_iteratorINS6_10device_ptrIxEEEESG_SG_SG_PmS8_NS6_8equal_toIxEEEE10hipError_tPvRmT2_T3_mT4_T5_T6_T7_T8_P12ihipStream_tbENKUlT_T0_E_clISt17integral_constantIbLb1EES10_IbLb0EEEEDaSW_SX_EUlSW_E_NS1_11comp_targetILNS1_3genE9ELNS1_11target_archE1100ELNS1_3gpuE3ELNS1_3repE0EEENS1_30default_config_static_selectorELNS0_4arch9wavefront6targetE0EEEvT1_ ; -- Begin function _ZN7rocprim17ROCPRIM_400000_NS6detail17trampoline_kernelINS0_14default_configENS1_29reduce_by_key_config_selectorIxxN6thrust23THRUST_200600_302600_NS4plusIxEEEEZZNS1_33reduce_by_key_impl_wrapped_configILNS1_25lookback_scan_determinismE0ES3_S9_NS6_6detail15normal_iteratorINS6_10device_ptrIxEEEESG_SG_SG_PmS8_NS6_8equal_toIxEEEE10hipError_tPvRmT2_T3_mT4_T5_T6_T7_T8_P12ihipStream_tbENKUlT_T0_E_clISt17integral_constantIbLb1EES10_IbLb0EEEEDaSW_SX_EUlSW_E_NS1_11comp_targetILNS1_3genE9ELNS1_11target_archE1100ELNS1_3gpuE3ELNS1_3repE0EEENS1_30default_config_static_selectorELNS0_4arch9wavefront6targetE0EEEvT1_
	.globl	_ZN7rocprim17ROCPRIM_400000_NS6detail17trampoline_kernelINS0_14default_configENS1_29reduce_by_key_config_selectorIxxN6thrust23THRUST_200600_302600_NS4plusIxEEEEZZNS1_33reduce_by_key_impl_wrapped_configILNS1_25lookback_scan_determinismE0ES3_S9_NS6_6detail15normal_iteratorINS6_10device_ptrIxEEEESG_SG_SG_PmS8_NS6_8equal_toIxEEEE10hipError_tPvRmT2_T3_mT4_T5_T6_T7_T8_P12ihipStream_tbENKUlT_T0_E_clISt17integral_constantIbLb1EES10_IbLb0EEEEDaSW_SX_EUlSW_E_NS1_11comp_targetILNS1_3genE9ELNS1_11target_archE1100ELNS1_3gpuE3ELNS1_3repE0EEENS1_30default_config_static_selectorELNS0_4arch9wavefront6targetE0EEEvT1_
	.p2align	8
	.type	_ZN7rocprim17ROCPRIM_400000_NS6detail17trampoline_kernelINS0_14default_configENS1_29reduce_by_key_config_selectorIxxN6thrust23THRUST_200600_302600_NS4plusIxEEEEZZNS1_33reduce_by_key_impl_wrapped_configILNS1_25lookback_scan_determinismE0ES3_S9_NS6_6detail15normal_iteratorINS6_10device_ptrIxEEEESG_SG_SG_PmS8_NS6_8equal_toIxEEEE10hipError_tPvRmT2_T3_mT4_T5_T6_T7_T8_P12ihipStream_tbENKUlT_T0_E_clISt17integral_constantIbLb1EES10_IbLb0EEEEDaSW_SX_EUlSW_E_NS1_11comp_targetILNS1_3genE9ELNS1_11target_archE1100ELNS1_3gpuE3ELNS1_3repE0EEENS1_30default_config_static_selectorELNS0_4arch9wavefront6targetE0EEEvT1_,@function
_ZN7rocprim17ROCPRIM_400000_NS6detail17trampoline_kernelINS0_14default_configENS1_29reduce_by_key_config_selectorIxxN6thrust23THRUST_200600_302600_NS4plusIxEEEEZZNS1_33reduce_by_key_impl_wrapped_configILNS1_25lookback_scan_determinismE0ES3_S9_NS6_6detail15normal_iteratorINS6_10device_ptrIxEEEESG_SG_SG_PmS8_NS6_8equal_toIxEEEE10hipError_tPvRmT2_T3_mT4_T5_T6_T7_T8_P12ihipStream_tbENKUlT_T0_E_clISt17integral_constantIbLb1EES10_IbLb0EEEEDaSW_SX_EUlSW_E_NS1_11comp_targetILNS1_3genE9ELNS1_11target_archE1100ELNS1_3gpuE3ELNS1_3repE0EEENS1_30default_config_static_selectorELNS0_4arch9wavefront6targetE0EEEvT1_: ; @_ZN7rocprim17ROCPRIM_400000_NS6detail17trampoline_kernelINS0_14default_configENS1_29reduce_by_key_config_selectorIxxN6thrust23THRUST_200600_302600_NS4plusIxEEEEZZNS1_33reduce_by_key_impl_wrapped_configILNS1_25lookback_scan_determinismE0ES3_S9_NS6_6detail15normal_iteratorINS6_10device_ptrIxEEEESG_SG_SG_PmS8_NS6_8equal_toIxEEEE10hipError_tPvRmT2_T3_mT4_T5_T6_T7_T8_P12ihipStream_tbENKUlT_T0_E_clISt17integral_constantIbLb1EES10_IbLb0EEEEDaSW_SX_EUlSW_E_NS1_11comp_targetILNS1_3genE9ELNS1_11target_archE1100ELNS1_3gpuE3ELNS1_3repE0EEENS1_30default_config_static_selectorELNS0_4arch9wavefront6targetE0EEEvT1_
; %bb.0:
	s_clause 0x2
	s_load_b256 s[20:27], s[0:1], 0x0
	s_load_b512 s[36:51], s[0:1], 0x38
	s_load_b128 s[28:31], s[0:1], 0x20
	s_mov_b32 s3, 0
	s_mul_i32 s2, s15, 0xf00
	s_waitcnt lgkmcnt(0)
	s_lshl_b64 s[4:5], s[22:23], 3
	s_mul_i32 s6, s44, s43
	s_add_u32 s10, s20, s4
	s_mul_hi_u32 s7, s44, s42
	s_addc_u32 s11, s21, s5
	s_add_u32 s12, s24, s4
	s_mul_i32 s8, s45, s42
	s_addc_u32 s13, s25, s5
	s_add_i32 s6, s7, s6
	s_lshl_b64 s[4:5], s[2:3], 3
	s_add_i32 s6, s6, s8
	s_add_u32 s18, s10, s4
	s_addc_u32 s14, s11, s5
	s_mul_i32 s9, s44, s42
	s_add_u32 s20, s12, s4
	s_addc_u32 s21, s13, s5
	s_add_u32 s16, s9, s15
	s_addc_u32 s17, s6, 0
	s_add_u32 s4, s46, -1
	s_addc_u32 s5, s47, -1
	s_mul_i32 s33, s4, 0xfffff100
	s_cmp_eq_u64 s[16:17], s[4:5]
	s_cselect_b32 s23, -1, 0
	s_cmp_lg_u64 s[16:17], s[4:5]
	s_cselect_b32 s19, -1, 0
	s_and_b32 vcc_lo, exec_lo, s23
	s_cbranch_vccnz .LBB496_2
; %bb.1:
	v_lshlrev_b32_e32 v62, 3, v0
	s_delay_alu instid0(VALU_DEP_1) | instskip(NEXT) | instid1(VALU_DEP_1)
	v_add_co_u32 v1, s2, s18, v62
	v_add_co_ci_u32_e64 v2, null, s14, 0, s2
	v_add_co_u32 v31, s2, s20, v62
	s_delay_alu instid0(VALU_DEP_3) | instskip(NEXT) | instid1(VALU_DEP_3)
	v_add_co_u32 v3, vcc_lo, 0x1000, v1
	v_add_co_ci_u32_e32 v4, vcc_lo, 0, v2, vcc_lo
	v_add_co_u32 v5, vcc_lo, 0x2000, v1
	v_add_co_ci_u32_e32 v6, vcc_lo, 0, v2, vcc_lo
	;; [unrolled: 2-line block ×6, first 2 shown]
	s_clause 0x7
	flat_load_b64 v[9:10], v[1:2]
	flat_load_b64 v[11:12], v[1:2] offset:2048
	flat_load_b64 v[13:14], v[3:4]
	flat_load_b64 v[3:4], v[3:4] offset:2048
	;; [unrolled: 2-line block ×4, first 2 shown]
	v_add_co_u32 v1, vcc_lo, 0x7000, v1
	v_add_co_ci_u32_e32 v2, vcc_lo, 0, v2, vcc_lo
	s_clause 0x6
	flat_load_b64 v[25:26], v[19:20]
	flat_load_b64 v[19:20], v[19:20] offset:2048
	flat_load_b64 v[27:28], v[21:22]
	flat_load_b64 v[21:22], v[21:22] offset:2048
	;; [unrolled: 2-line block ×3, first 2 shown]
	flat_load_b64 v[1:2], v[1:2]
	v_add_co_ci_u32_e64 v32, null, s21, 0, s2
	v_add_co_u32 v33, vcc_lo, 0x1000, v31
	v_mad_u32_u24 v61, 0x70, v0, v62
	s_delay_alu instid0(VALU_DEP_3)
	v_add_co_ci_u32_e32 v34, vcc_lo, 0, v32, vcc_lo
	v_add_co_u32 v35, vcc_lo, 0x2000, v31
	v_add_co_ci_u32_e32 v36, vcc_lo, 0, v32, vcc_lo
	v_add_co_u32 v37, vcc_lo, 0x3000, v31
	;; [unrolled: 2-line block ×6, first 2 shown]
	v_add_co_ci_u32_e32 v46, vcc_lo, 0, v32, vcc_lo
	s_waitcnt vmcnt(13) lgkmcnt(13)
	ds_store_2addr_stride64_b64 v62, v[9:10], v[11:12] offset1:4
	s_waitcnt vmcnt(11) lgkmcnt(12)
	ds_store_2addr_stride64_b64 v62, v[13:14], v[3:4] offset0:8 offset1:12
	s_waitcnt vmcnt(9) lgkmcnt(11)
	ds_store_2addr_stride64_b64 v62, v[15:16], v[5:6] offset0:16 offset1:20
	;; [unrolled: 2-line block ×6, first 2 shown]
	s_waitcnt vmcnt(0) lgkmcnt(7)
	ds_store_b64 v62, v[1:2] offset:28672
	s_waitcnt lgkmcnt(0)
	s_barrier
	buffer_gl0_inv
	ds_load_2addr_b64 v[25:28], v61 offset1:1
	ds_load_2addr_b64 v[21:24], v61 offset0:2 offset1:3
	ds_load_2addr_b64 v[17:20], v61 offset0:4 offset1:5
	;; [unrolled: 1-line block ×6, first 2 shown]
	ds_load_b64 v[57:58], v61 offset:112
	s_waitcnt lgkmcnt(0)
	s_barrier
	buffer_gl0_inv
	s_clause 0xe
	flat_load_b64 v[29:30], v[31:32]
	flat_load_b64 v[31:32], v[31:32] offset:2048
	flat_load_b64 v[47:48], v[33:34]
	flat_load_b64 v[33:34], v[33:34] offset:2048
	;; [unrolled: 2-line block ×7, first 2 shown]
	flat_load_b64 v[45:46], v[45:46]
	s_waitcnt vmcnt(13) lgkmcnt(13)
	ds_store_2addr_stride64_b64 v62, v[29:30], v[31:32] offset1:4
	s_waitcnt vmcnt(11) lgkmcnt(12)
	ds_store_2addr_stride64_b64 v62, v[47:48], v[33:34] offset0:8 offset1:12
	s_waitcnt vmcnt(9) lgkmcnt(11)
	ds_store_2addr_stride64_b64 v62, v[49:50], v[35:36] offset0:16 offset1:20
	;; [unrolled: 2-line block ×6, first 2 shown]
	s_waitcnt vmcnt(0) lgkmcnt(7)
	ds_store_b64 v62, v[45:46] offset:28672
	s_waitcnt lgkmcnt(0)
	s_barrier
	s_load_b64 s[24:25], s[0:1], 0x78
	s_and_not1_b32 vcc_lo, exec_lo, s3
	s_add_i32 s33, s33, s48
	s_cbranch_vccz .LBB496_3
	s_branch .LBB496_50
.LBB496_2:
                                        ; implicit-def: $vgpr61
                                        ; implicit-def: $vgpr25_vgpr26
                                        ; implicit-def: $vgpr21_vgpr22
                                        ; implicit-def: $vgpr17_vgpr18
                                        ; implicit-def: $vgpr13_vgpr14
                                        ; implicit-def: $vgpr9_vgpr10
                                        ; implicit-def: $vgpr5_vgpr6
                                        ; implicit-def: $vgpr1_vgpr2
                                        ; implicit-def: $vgpr57_vgpr58
	s_load_b64 s[24:25], s[0:1], 0x78
	s_add_i32 s33, s33, s48
.LBB496_3:
	s_delay_alu instid0(SALU_CYCLE_1)
	v_cmp_gt_u32_e32 vcc_lo, s33, v0
                                        ; implicit-def: $vgpr1_vgpr2
	s_and_saveexec_b32 s0, vcc_lo
	s_cbranch_execz .LBB496_5
; %bb.4:
	v_lshlrev_b32_e32 v1, 3, v0
	s_delay_alu instid0(VALU_DEP_1) | instskip(NEXT) | instid1(VALU_DEP_1)
	v_add_co_u32 v1, s1, s18, v1
	v_add_co_ci_u32_e64 v2, null, s14, 0, s1
	flat_load_b64 v[1:2], v[1:2]
.LBB496_5:
	s_or_b32 exec_lo, exec_lo, s0
	v_or_b32_e32 v3, 0x100, v0
	s_delay_alu instid0(VALU_DEP_1) | instskip(NEXT) | instid1(VALU_DEP_1)
	v_cmp_gt_u32_e64 s0, s33, v3
                                        ; implicit-def: $vgpr3_vgpr4
	s_and_saveexec_b32 s1, s0
	s_cbranch_execz .LBB496_7
; %bb.6:
	v_lshlrev_b32_e32 v3, 3, v0
	s_delay_alu instid0(VALU_DEP_1) | instskip(NEXT) | instid1(VALU_DEP_1)
	v_add_co_u32 v3, s2, s18, v3
	v_add_co_ci_u32_e64 v4, null, s14, 0, s2
	flat_load_b64 v[3:4], v[3:4] offset:2048
.LBB496_7:
	s_or_b32 exec_lo, exec_lo, s1
	v_or_b32_e32 v35, 0x200, v0
                                        ; implicit-def: $vgpr5_vgpr6
	s_delay_alu instid0(VALU_DEP_1) | instskip(NEXT) | instid1(VALU_DEP_1)
	v_cmp_gt_u32_e64 s1, s33, v35
	s_and_saveexec_b32 s2, s1
	s_cbranch_execz .LBB496_9
; %bb.8:
	v_lshlrev_b32_e32 v5, 3, v35
	s_delay_alu instid0(VALU_DEP_1) | instskip(NEXT) | instid1(VALU_DEP_1)
	v_add_co_u32 v5, s3, s18, v5
	v_add_co_ci_u32_e64 v6, null, s14, 0, s3
	flat_load_b64 v[5:6], v[5:6]
.LBB496_9:
	s_or_b32 exec_lo, exec_lo, s2
	v_or_b32_e32 v37, 0x300, v0
                                        ; implicit-def: $vgpr7_vgpr8
	s_delay_alu instid0(VALU_DEP_1) | instskip(NEXT) | instid1(VALU_DEP_1)
	v_cmp_gt_u32_e64 s2, s33, v37
	s_and_saveexec_b32 s3, s2
	s_cbranch_execz .LBB496_11
; %bb.10:
	v_lshlrev_b32_e32 v7, 3, v37
	s_delay_alu instid0(VALU_DEP_1) | instskip(NEXT) | instid1(VALU_DEP_1)
	v_add_co_u32 v7, s4, s18, v7
	v_add_co_ci_u32_e64 v8, null, s14, 0, s4
	flat_load_b64 v[7:8], v[7:8]
.LBB496_11:
	s_or_b32 exec_lo, exec_lo, s3
	v_or_b32_e32 v39, 0x400, v0
                                        ; implicit-def: $vgpr9_vgpr10
	s_delay_alu instid0(VALU_DEP_1) | instskip(NEXT) | instid1(VALU_DEP_1)
	v_cmp_gt_u32_e64 s3, s33, v39
	s_and_saveexec_b32 s4, s3
	s_cbranch_execz .LBB496_13
; %bb.12:
	v_lshlrev_b32_e32 v9, 3, v39
	s_delay_alu instid0(VALU_DEP_1) | instskip(NEXT) | instid1(VALU_DEP_1)
	v_add_co_u32 v9, s5, s18, v9
	v_add_co_ci_u32_e64 v10, null, s14, 0, s5
	flat_load_b64 v[9:10], v[9:10]
.LBB496_13:
	s_or_b32 exec_lo, exec_lo, s4
	v_or_b32_e32 v41, 0x500, v0
                                        ; implicit-def: $vgpr11_vgpr12
	s_delay_alu instid0(VALU_DEP_1) | instskip(NEXT) | instid1(VALU_DEP_1)
	v_cmp_gt_u32_e64 s4, s33, v41
	s_and_saveexec_b32 s5, s4
	s_cbranch_execz .LBB496_15
; %bb.14:
	v_lshlrev_b32_e32 v11, 3, v41
	s_delay_alu instid0(VALU_DEP_1) | instskip(NEXT) | instid1(VALU_DEP_1)
	v_add_co_u32 v11, s6, s18, v11
	v_add_co_ci_u32_e64 v12, null, s14, 0, s6
	flat_load_b64 v[11:12], v[11:12]
.LBB496_15:
	s_or_b32 exec_lo, exec_lo, s5
	v_or_b32_e32 v43, 0x600, v0
                                        ; implicit-def: $vgpr13_vgpr14
	s_delay_alu instid0(VALU_DEP_1) | instskip(NEXT) | instid1(VALU_DEP_1)
	v_cmp_gt_u32_e64 s5, s33, v43
	s_and_saveexec_b32 s6, s5
	s_cbranch_execz .LBB496_17
; %bb.16:
	v_lshlrev_b32_e32 v13, 3, v43
	s_delay_alu instid0(VALU_DEP_1) | instskip(NEXT) | instid1(VALU_DEP_1)
	v_add_co_u32 v13, s7, s18, v13
	v_add_co_ci_u32_e64 v14, null, s14, 0, s7
	flat_load_b64 v[13:14], v[13:14]
.LBB496_17:
	s_or_b32 exec_lo, exec_lo, s6
	v_or_b32_e32 v45, 0x700, v0
                                        ; implicit-def: $vgpr15_vgpr16
	s_delay_alu instid0(VALU_DEP_1) | instskip(NEXT) | instid1(VALU_DEP_1)
	v_cmp_gt_u32_e64 s6, s33, v45
	s_and_saveexec_b32 s7, s6
	s_cbranch_execz .LBB496_19
; %bb.18:
	v_lshlrev_b32_e32 v15, 3, v45
	s_delay_alu instid0(VALU_DEP_1) | instskip(NEXT) | instid1(VALU_DEP_1)
	v_add_co_u32 v15, s8, s18, v15
	v_add_co_ci_u32_e64 v16, null, s14, 0, s8
	flat_load_b64 v[15:16], v[15:16]
.LBB496_19:
	s_or_b32 exec_lo, exec_lo, s7
	v_or_b32_e32 v47, 0x800, v0
                                        ; implicit-def: $vgpr17_vgpr18
	s_delay_alu instid0(VALU_DEP_1) | instskip(NEXT) | instid1(VALU_DEP_1)
	v_cmp_gt_u32_e64 s7, s33, v47
	s_and_saveexec_b32 s8, s7
	s_cbranch_execz .LBB496_21
; %bb.20:
	v_lshlrev_b32_e32 v17, 3, v47
	s_delay_alu instid0(VALU_DEP_1) | instskip(NEXT) | instid1(VALU_DEP_1)
	v_add_co_u32 v17, s9, s18, v17
	v_add_co_ci_u32_e64 v18, null, s14, 0, s9
	flat_load_b64 v[17:18], v[17:18]
.LBB496_21:
	s_or_b32 exec_lo, exec_lo, s8
	v_or_b32_e32 v49, 0x900, v0
                                        ; implicit-def: $vgpr19_vgpr20
	s_delay_alu instid0(VALU_DEP_1) | instskip(NEXT) | instid1(VALU_DEP_1)
	v_cmp_gt_u32_e64 s8, s33, v49
	s_and_saveexec_b32 s9, s8
	s_cbranch_execz .LBB496_23
; %bb.22:
	v_lshlrev_b32_e32 v19, 3, v49
	s_delay_alu instid0(VALU_DEP_1) | instskip(NEXT) | instid1(VALU_DEP_1)
	v_add_co_u32 v19, s10, s18, v19
	v_add_co_ci_u32_e64 v20, null, s14, 0, s10
	flat_load_b64 v[19:20], v[19:20]
.LBB496_23:
	s_or_b32 exec_lo, exec_lo, s9
	v_or_b32_e32 v51, 0xa00, v0
                                        ; implicit-def: $vgpr21_vgpr22
	s_delay_alu instid0(VALU_DEP_1) | instskip(NEXT) | instid1(VALU_DEP_1)
	v_cmp_gt_u32_e64 s9, s33, v51
	s_and_saveexec_b32 s10, s9
	s_cbranch_execz .LBB496_25
; %bb.24:
	v_lshlrev_b32_e32 v21, 3, v51
	s_delay_alu instid0(VALU_DEP_1) | instskip(NEXT) | instid1(VALU_DEP_1)
	v_add_co_u32 v21, s11, s18, v21
	v_add_co_ci_u32_e64 v22, null, s14, 0, s11
	flat_load_b64 v[21:22], v[21:22]
.LBB496_25:
	s_or_b32 exec_lo, exec_lo, s10
	v_or_b32_e32 v53, 0xb00, v0
                                        ; implicit-def: $vgpr23_vgpr24
	s_delay_alu instid0(VALU_DEP_1) | instskip(NEXT) | instid1(VALU_DEP_1)
	v_cmp_gt_u32_e64 s10, s33, v53
	s_and_saveexec_b32 s11, s10
	s_cbranch_execz .LBB496_27
; %bb.26:
	v_lshlrev_b32_e32 v23, 3, v53
	s_delay_alu instid0(VALU_DEP_1) | instskip(NEXT) | instid1(VALU_DEP_1)
	v_add_co_u32 v23, s12, s18, v23
	v_add_co_ci_u32_e64 v24, null, s14, 0, s12
	flat_load_b64 v[23:24], v[23:24]
.LBB496_27:
	s_or_b32 exec_lo, exec_lo, s11
	v_or_b32_e32 v55, 0xc00, v0
                                        ; implicit-def: $vgpr25_vgpr26
	s_delay_alu instid0(VALU_DEP_1) | instskip(NEXT) | instid1(VALU_DEP_1)
	v_cmp_gt_u32_e64 s11, s33, v55
	s_and_saveexec_b32 s12, s11
	s_cbranch_execz .LBB496_29
; %bb.28:
	v_lshlrev_b32_e32 v25, 3, v55
	s_delay_alu instid0(VALU_DEP_1) | instskip(NEXT) | instid1(VALU_DEP_1)
	v_add_co_u32 v25, s13, s18, v25
	v_add_co_ci_u32_e64 v26, null, s14, 0, s13
	flat_load_b64 v[25:26], v[25:26]
.LBB496_29:
	s_or_b32 exec_lo, exec_lo, s12
	v_or_b32_e32 v59, 0xd00, v0
                                        ; implicit-def: $vgpr27_vgpr28
	s_delay_alu instid0(VALU_DEP_1) | instskip(NEXT) | instid1(VALU_DEP_1)
	v_cmp_gt_u32_e64 s12, s33, v59
	s_and_saveexec_b32 s13, s12
	s_cbranch_execz .LBB496_31
; %bb.30:
	v_lshlrev_b32_e32 v27, 3, v59
	s_delay_alu instid0(VALU_DEP_1) | instskip(NEXT) | instid1(VALU_DEP_1)
	v_add_co_u32 v27, s22, s18, v27
	v_add_co_ci_u32_e64 v28, null, s14, 0, s22
	flat_load_b64 v[27:28], v[27:28]
.LBB496_31:
	s_or_b32 exec_lo, exec_lo, s13
	v_or_b32_e32 v63, 0xe00, v0
                                        ; implicit-def: $vgpr29_vgpr30
	s_delay_alu instid0(VALU_DEP_1) | instskip(NEXT) | instid1(VALU_DEP_1)
	v_cmp_gt_u32_e64 s13, s33, v63
	s_and_saveexec_b32 s22, s13
	s_cbranch_execz .LBB496_33
; %bb.32:
	v_lshlrev_b32_e32 v29, 3, v63
	s_delay_alu instid0(VALU_DEP_1) | instskip(NEXT) | instid1(VALU_DEP_1)
	v_add_co_u32 v29, s34, s18, v29
	v_add_co_ci_u32_e64 v30, null, s14, 0, s34
	flat_load_b64 v[29:30], v[29:30]
.LBB496_33:
	s_or_b32 exec_lo, exec_lo, s22
	v_lshlrev_b32_e32 v62, 3, v0
	s_waitcnt vmcnt(0) lgkmcnt(0)
	ds_store_2addr_stride64_b64 v62, v[1:2], v[3:4] offset1:4
	ds_store_2addr_stride64_b64 v62, v[5:6], v[7:8] offset0:8 offset1:12
	ds_store_2addr_stride64_b64 v62, v[9:10], v[11:12] offset0:16 offset1:20
	;; [unrolled: 1-line block ×6, first 2 shown]
	v_mad_u32_u24 v61, 0x70, v0, v62
	ds_store_b64 v62, v[29:30] offset:28672
	s_waitcnt lgkmcnt(0)
	s_barrier
	buffer_gl0_inv
	ds_load_2addr_b64 v[25:28], v61 offset1:1
	ds_load_2addr_b64 v[21:24], v61 offset0:2 offset1:3
	ds_load_2addr_b64 v[17:20], v61 offset0:4 offset1:5
	;; [unrolled: 1-line block ×6, first 2 shown]
	ds_load_b64 v[57:58], v61 offset:112
	s_waitcnt lgkmcnt(0)
	s_barrier
	buffer_gl0_inv
                                        ; implicit-def: $vgpr29_vgpr30
	s_and_saveexec_b32 s22, vcc_lo
	s_cbranch_execnz .LBB496_57
; %bb.34:
	s_or_b32 exec_lo, exec_lo, s22
                                        ; implicit-def: $vgpr31_vgpr32
	s_and_saveexec_b32 s22, s0
	s_cbranch_execnz .LBB496_58
.LBB496_35:
	s_or_b32 exec_lo, exec_lo, s22
                                        ; implicit-def: $vgpr33_vgpr34
	s_and_saveexec_b32 s0, s1
	s_cbranch_execnz .LBB496_59
.LBB496_36:
	s_or_b32 exec_lo, exec_lo, s0
                                        ; implicit-def: $vgpr35_vgpr36
	s_and_saveexec_b32 s0, s2
	s_cbranch_execnz .LBB496_60
.LBB496_37:
	s_or_b32 exec_lo, exec_lo, s0
                                        ; implicit-def: $vgpr37_vgpr38
	s_and_saveexec_b32 s0, s3
	s_cbranch_execnz .LBB496_61
.LBB496_38:
	s_or_b32 exec_lo, exec_lo, s0
                                        ; implicit-def: $vgpr39_vgpr40
	s_and_saveexec_b32 s0, s4
	s_cbranch_execnz .LBB496_62
.LBB496_39:
	s_or_b32 exec_lo, exec_lo, s0
                                        ; implicit-def: $vgpr41_vgpr42
	s_and_saveexec_b32 s0, s5
	s_cbranch_execnz .LBB496_63
.LBB496_40:
	s_or_b32 exec_lo, exec_lo, s0
                                        ; implicit-def: $vgpr43_vgpr44
	s_and_saveexec_b32 s0, s6
	s_cbranch_execnz .LBB496_64
.LBB496_41:
	s_or_b32 exec_lo, exec_lo, s0
                                        ; implicit-def: $vgpr45_vgpr46
	s_and_saveexec_b32 s0, s7
	s_cbranch_execnz .LBB496_65
.LBB496_42:
	s_or_b32 exec_lo, exec_lo, s0
                                        ; implicit-def: $vgpr47_vgpr48
	s_and_saveexec_b32 s0, s8
	s_cbranch_execnz .LBB496_66
.LBB496_43:
	s_or_b32 exec_lo, exec_lo, s0
                                        ; implicit-def: $vgpr49_vgpr50
	s_and_saveexec_b32 s0, s9
	s_cbranch_execnz .LBB496_67
.LBB496_44:
	s_or_b32 exec_lo, exec_lo, s0
                                        ; implicit-def: $vgpr51_vgpr52
	s_and_saveexec_b32 s0, s10
	s_cbranch_execnz .LBB496_68
.LBB496_45:
	s_or_b32 exec_lo, exec_lo, s0
                                        ; implicit-def: $vgpr53_vgpr54
	s_and_saveexec_b32 s0, s11
	s_cbranch_execnz .LBB496_69
.LBB496_46:
	s_or_b32 exec_lo, exec_lo, s0
                                        ; implicit-def: $vgpr55_vgpr56
	s_and_saveexec_b32 s0, s12
	s_cbranch_execnz .LBB496_70
.LBB496_47:
	s_or_b32 exec_lo, exec_lo, s0
                                        ; implicit-def: $vgpr59_vgpr60
	s_and_saveexec_b32 s0, s13
	s_cbranch_execz .LBB496_49
.LBB496_48:
	v_lshlrev_b32_e32 v59, 3, v63
	s_delay_alu instid0(VALU_DEP_1) | instskip(NEXT) | instid1(VALU_DEP_1)
	v_add_co_u32 v59, s1, s20, v59
	v_add_co_ci_u32_e64 v60, null, s21, 0, s1
	flat_load_b64 v[59:60], v[59:60]
.LBB496_49:
	s_or_b32 exec_lo, exec_lo, s0
	s_waitcnt vmcnt(0) lgkmcnt(0)
	ds_store_2addr_stride64_b64 v62, v[29:30], v[31:32] offset1:4
	ds_store_2addr_stride64_b64 v62, v[33:34], v[35:36] offset0:8 offset1:12
	ds_store_2addr_stride64_b64 v62, v[37:38], v[39:40] offset0:16 offset1:20
	;; [unrolled: 1-line block ×6, first 2 shown]
	ds_store_b64 v62, v[59:60] offset:28672
	s_waitcnt lgkmcnt(0)
	s_barrier
.LBB496_50:
	s_waitcnt lgkmcnt(0)
	buffer_gl0_inv
	ds_load_2addr_b64 v[53:56], v61 offset1:1
	ds_load_2addr_b64 v[49:52], v61 offset0:2 offset1:3
	ds_load_2addr_b64 v[45:48], v61 offset0:4 offset1:5
	;; [unrolled: 1-line block ×6, first 2 shown]
	ds_load_b64 v[59:60], v61 offset:112
	s_cmp_eq_u64 s[16:17], 0
	s_waitcnt lgkmcnt(0)
	s_cselect_b32 s44, -1, 0
	s_cmp_lg_u64 s[16:17], 0
	s_barrier
	s_cselect_b32 s20, -1, 0
	s_and_b32 vcc_lo, exec_lo, s19
	buffer_gl0_inv
	s_cbranch_vccz .LBB496_56
; %bb.51:
	s_and_b32 vcc_lo, exec_lo, s20
	s_cbranch_vccz .LBB496_71
; %bb.52:
	v_add_co_u32 v61, s0, -8, s18
	s_delay_alu instid0(VALU_DEP_1)
	v_add_co_ci_u32_e64 v62, null, -1, s14, s0
	v_cmp_ne_u64_e64 s0, v[3:4], v[57:58]
	v_cmp_ne_u64_e64 s1, v[1:2], v[3:4]
	;; [unrolled: 1-line block ×3, first 2 shown]
	flat_load_b64 v[61:62], v[61:62]
	v_cmp_ne_u64_e64 s3, v[5:6], v[7:8]
	v_cmp_ne_u64_e64 s4, v[11:12], v[5:6]
	;; [unrolled: 1-line block ×10, first 2 shown]
	v_cmp_ne_u64_e32 vcc_lo, v[25:26], v[27:28]
	v_lshlrev_b32_e32 v63, 3, v0
	s_mov_b32 s45, -1
	s_mov_b32 s19, 0
	s_mov_b32 s21, exec_lo
	ds_store_b64 v63, v[57:58]
	s_waitcnt vmcnt(0) lgkmcnt(0)
	s_barrier
	buffer_gl0_inv
	v_cmpx_ne_u32_e32 0, v0
	s_cbranch_execz .LBB496_54
; %bb.53:
	v_add_nc_u32_e32 v61, -8, v63
	ds_load_b64 v[61:62], v61
.LBB496_54:
	s_or_b32 exec_lo, exec_lo, s21
	v_cndmask_b32_e64 v105, 0, 1, s0
	v_cndmask_b32_e64 v99, 0, 1, s1
	;; [unrolled: 1-line block ×13, first 2 shown]
	s_waitcnt lgkmcnt(0)
	v_cmp_ne_u64_e64 s0, v[61:62], v[25:26]
	v_cndmask_b32_e64 v112, 0, 1, vcc_lo
	s_and_b32 vcc_lo, exec_lo, s19
	s_cbranch_vccnz .LBB496_72
.LBB496_55:
                                        ; implicit-def: $sgpr1
	s_branch .LBB496_83
.LBB496_56:
	s_mov_b32 s45, 0
                                        ; implicit-def: $sgpr0
                                        ; implicit-def: $vgpr105
                                        ; implicit-def: $vgpr99
                                        ; implicit-def: $vgpr100
                                        ; implicit-def: $vgpr101
                                        ; implicit-def: $vgpr102
                                        ; implicit-def: $vgpr103
                                        ; implicit-def: $vgpr104
                                        ; implicit-def: $vgpr106
                                        ; implicit-def: $vgpr107
                                        ; implicit-def: $vgpr108
                                        ; implicit-def: $vgpr109
                                        ; implicit-def: $vgpr110
                                        ; implicit-def: $vgpr111
                                        ; implicit-def: $vgpr112
                                        ; implicit-def: $sgpr1
	s_cbranch_execnz .LBB496_75
	s_branch .LBB496_83
.LBB496_57:
	v_add_co_u32 v29, s34, s20, v62
	s_delay_alu instid0(VALU_DEP_1)
	v_add_co_ci_u32_e64 v30, null, s21, 0, s34
	flat_load_b64 v[29:30], v[29:30]
	s_or_b32 exec_lo, exec_lo, s22
                                        ; implicit-def: $vgpr31_vgpr32
	s_and_saveexec_b32 s22, s0
	s_cbranch_execz .LBB496_35
.LBB496_58:
	v_add_co_u32 v31, s0, s20, v62
	s_delay_alu instid0(VALU_DEP_1)
	v_add_co_ci_u32_e64 v32, null, s21, 0, s0
	flat_load_b64 v[31:32], v[31:32] offset:2048
	s_or_b32 exec_lo, exec_lo, s22
                                        ; implicit-def: $vgpr33_vgpr34
	s_and_saveexec_b32 s0, s1
	s_cbranch_execz .LBB496_36
.LBB496_59:
	v_lshlrev_b32_e32 v33, 3, v35
	s_delay_alu instid0(VALU_DEP_1) | instskip(NEXT) | instid1(VALU_DEP_1)
	v_add_co_u32 v33, s1, s20, v33
	v_add_co_ci_u32_e64 v34, null, s21, 0, s1
	flat_load_b64 v[33:34], v[33:34]
	s_or_b32 exec_lo, exec_lo, s0
                                        ; implicit-def: $vgpr35_vgpr36
	s_and_saveexec_b32 s0, s2
	s_cbranch_execz .LBB496_37
.LBB496_60:
	v_lshlrev_b32_e32 v35, 3, v37
	s_delay_alu instid0(VALU_DEP_1) | instskip(NEXT) | instid1(VALU_DEP_1)
	v_add_co_u32 v35, s1, s20, v35
	v_add_co_ci_u32_e64 v36, null, s21, 0, s1
	flat_load_b64 v[35:36], v[35:36]
	s_or_b32 exec_lo, exec_lo, s0
                                        ; implicit-def: $vgpr37_vgpr38
	s_and_saveexec_b32 s0, s3
	s_cbranch_execz .LBB496_38
.LBB496_61:
	v_lshlrev_b32_e32 v37, 3, v39
	s_delay_alu instid0(VALU_DEP_1) | instskip(NEXT) | instid1(VALU_DEP_1)
	v_add_co_u32 v37, s1, s20, v37
	v_add_co_ci_u32_e64 v38, null, s21, 0, s1
	flat_load_b64 v[37:38], v[37:38]
	s_or_b32 exec_lo, exec_lo, s0
                                        ; implicit-def: $vgpr39_vgpr40
	s_and_saveexec_b32 s0, s4
	s_cbranch_execz .LBB496_39
.LBB496_62:
	v_lshlrev_b32_e32 v39, 3, v41
	s_delay_alu instid0(VALU_DEP_1) | instskip(NEXT) | instid1(VALU_DEP_1)
	v_add_co_u32 v39, s1, s20, v39
	v_add_co_ci_u32_e64 v40, null, s21, 0, s1
	flat_load_b64 v[39:40], v[39:40]
	s_or_b32 exec_lo, exec_lo, s0
                                        ; implicit-def: $vgpr41_vgpr42
	s_and_saveexec_b32 s0, s5
	s_cbranch_execz .LBB496_40
.LBB496_63:
	v_lshlrev_b32_e32 v41, 3, v43
	s_delay_alu instid0(VALU_DEP_1) | instskip(NEXT) | instid1(VALU_DEP_1)
	v_add_co_u32 v41, s1, s20, v41
	v_add_co_ci_u32_e64 v42, null, s21, 0, s1
	flat_load_b64 v[41:42], v[41:42]
	s_or_b32 exec_lo, exec_lo, s0
                                        ; implicit-def: $vgpr43_vgpr44
	s_and_saveexec_b32 s0, s6
	s_cbranch_execz .LBB496_41
.LBB496_64:
	v_lshlrev_b32_e32 v43, 3, v45
	s_delay_alu instid0(VALU_DEP_1) | instskip(NEXT) | instid1(VALU_DEP_1)
	v_add_co_u32 v43, s1, s20, v43
	v_add_co_ci_u32_e64 v44, null, s21, 0, s1
	flat_load_b64 v[43:44], v[43:44]
	s_or_b32 exec_lo, exec_lo, s0
                                        ; implicit-def: $vgpr45_vgpr46
	s_and_saveexec_b32 s0, s7
	s_cbranch_execz .LBB496_42
.LBB496_65:
	v_lshlrev_b32_e32 v45, 3, v47
	s_delay_alu instid0(VALU_DEP_1) | instskip(NEXT) | instid1(VALU_DEP_1)
	v_add_co_u32 v45, s1, s20, v45
	v_add_co_ci_u32_e64 v46, null, s21, 0, s1
	flat_load_b64 v[45:46], v[45:46]
	s_or_b32 exec_lo, exec_lo, s0
                                        ; implicit-def: $vgpr47_vgpr48
	s_and_saveexec_b32 s0, s8
	s_cbranch_execz .LBB496_43
.LBB496_66:
	v_lshlrev_b32_e32 v47, 3, v49
	s_delay_alu instid0(VALU_DEP_1) | instskip(NEXT) | instid1(VALU_DEP_1)
	v_add_co_u32 v47, s1, s20, v47
	v_add_co_ci_u32_e64 v48, null, s21, 0, s1
	flat_load_b64 v[47:48], v[47:48]
	s_or_b32 exec_lo, exec_lo, s0
                                        ; implicit-def: $vgpr49_vgpr50
	s_and_saveexec_b32 s0, s9
	s_cbranch_execz .LBB496_44
.LBB496_67:
	v_lshlrev_b32_e32 v49, 3, v51
	s_delay_alu instid0(VALU_DEP_1) | instskip(NEXT) | instid1(VALU_DEP_1)
	v_add_co_u32 v49, s1, s20, v49
	v_add_co_ci_u32_e64 v50, null, s21, 0, s1
	flat_load_b64 v[49:50], v[49:50]
	s_or_b32 exec_lo, exec_lo, s0
                                        ; implicit-def: $vgpr51_vgpr52
	s_and_saveexec_b32 s0, s10
	s_cbranch_execz .LBB496_45
.LBB496_68:
	v_lshlrev_b32_e32 v51, 3, v53
	s_delay_alu instid0(VALU_DEP_1) | instskip(NEXT) | instid1(VALU_DEP_1)
	v_add_co_u32 v51, s1, s20, v51
	v_add_co_ci_u32_e64 v52, null, s21, 0, s1
	flat_load_b64 v[51:52], v[51:52]
	s_or_b32 exec_lo, exec_lo, s0
                                        ; implicit-def: $vgpr53_vgpr54
	s_and_saveexec_b32 s0, s11
	s_cbranch_execz .LBB496_46
.LBB496_69:
	v_lshlrev_b32_e32 v53, 3, v55
	s_delay_alu instid0(VALU_DEP_1) | instskip(NEXT) | instid1(VALU_DEP_1)
	v_add_co_u32 v53, s1, s20, v53
	v_add_co_ci_u32_e64 v54, null, s21, 0, s1
	flat_load_b64 v[53:54], v[53:54]
	s_or_b32 exec_lo, exec_lo, s0
                                        ; implicit-def: $vgpr55_vgpr56
	s_and_saveexec_b32 s0, s12
	s_cbranch_execz .LBB496_47
.LBB496_70:
	v_lshlrev_b32_e32 v55, 3, v59
	s_delay_alu instid0(VALU_DEP_1) | instskip(NEXT) | instid1(VALU_DEP_1)
	v_add_co_u32 v55, s1, s20, v55
	v_add_co_ci_u32_e64 v56, null, s21, 0, s1
	flat_load_b64 v[55:56], v[55:56]
	s_or_b32 exec_lo, exec_lo, s0
                                        ; implicit-def: $vgpr59_vgpr60
	s_and_saveexec_b32 s0, s13
	s_cbranch_execnz .LBB496_48
	s_branch .LBB496_49
.LBB496_71:
	s_mov_b32 s45, 0
                                        ; implicit-def: $sgpr0
                                        ; implicit-def: $vgpr105
                                        ; implicit-def: $vgpr99
                                        ; implicit-def: $vgpr100
                                        ; implicit-def: $vgpr101
                                        ; implicit-def: $vgpr102
                                        ; implicit-def: $vgpr103
                                        ; implicit-def: $vgpr104
                                        ; implicit-def: $vgpr106
                                        ; implicit-def: $vgpr107
                                        ; implicit-def: $vgpr108
                                        ; implicit-def: $vgpr109
                                        ; implicit-def: $vgpr110
                                        ; implicit-def: $vgpr111
                                        ; implicit-def: $vgpr112
	s_cbranch_execz .LBB496_55
.LBB496_72:
	v_cmp_ne_u64_e32 vcc_lo, v[3:4], v[57:58]
	v_lshlrev_b32_e32 v61, 3, v0
	s_mov_b32 s1, exec_lo
                                        ; implicit-def: $sgpr0
	ds_store_b64 v61, v[57:58]
	v_cndmask_b32_e64 v105, 0, 1, vcc_lo
	v_cmp_ne_u64_e32 vcc_lo, v[1:2], v[3:4]
	s_waitcnt lgkmcnt(0)
	s_barrier
	buffer_gl0_inv
	v_cndmask_b32_e64 v99, 0, 1, vcc_lo
	v_cmp_ne_u64_e32 vcc_lo, v[7:8], v[1:2]
	v_cndmask_b32_e64 v100, 0, 1, vcc_lo
	v_cmp_ne_u64_e32 vcc_lo, v[5:6], v[7:8]
	;; [unrolled: 2-line block ×12, first 2 shown]
	v_cndmask_b32_e64 v112, 0, 1, vcc_lo
	v_cmpx_ne_u32_e32 0, v0
	s_xor_b32 s1, exec_lo, s1
	s_cbranch_execz .LBB496_74
; %bb.73:
	v_add_nc_u32_e32 v61, -8, v61
	s_or_b32 s45, s45, exec_lo
	ds_load_b64 v[61:62], v61
	s_waitcnt lgkmcnt(0)
	v_cmp_ne_u64_e32 vcc_lo, v[61:62], v[25:26]
	s_and_b32 s0, vcc_lo, exec_lo
.LBB496_74:
	s_or_b32 exec_lo, exec_lo, s1
	s_mov_b32 s1, 1
	s_branch .LBB496_83
.LBB496_75:
	s_mul_hi_u32 s0, s16, 0xfffff100
	s_mul_i32 s1, s17, 0xfffff100
	s_sub_i32 s0, s0, s16
	s_mul_i32 s2, s16, 0xfffff100
	s_add_i32 s0, s0, s1
	s_add_u32 s34, s2, s48
	s_addc_u32 s35, s0, s49
	s_and_b32 vcc_lo, exec_lo, s20
	s_cbranch_vccz .LBB496_80
; %bb.76:
	v_add_co_u32 v61, s0, -8, s18
	s_delay_alu instid0(VALU_DEP_1)
	v_add_co_ci_u32_e64 v62, null, -1, s14, s0
	v_mad_u32_u24 v63, v0, 15, 14
	v_mov_b32_e32 v64, 0
	v_cmp_ne_u64_e64 s6, v[3:4], v[57:58]
	flat_load_b64 v[61:62], v[61:62]
	v_cmp_ne_u64_e64 s8, v[7:8], v[1:2]
	v_cmp_ne_u64_e64 s9, v[5:6], v[7:8]
	v_cmp_gt_u64_e32 vcc_lo, s[34:35], v[63:64]
	v_mad_u32_u24 v63, v0, 15, 13
	v_cmp_ne_u64_e64 s10, v[11:12], v[5:6]
	v_lshlrev_b32_e32 v66, 3, v0
	v_mul_u32_u24_e32 v65, 15, v0
	s_mov_b32 s45, -1
	v_cmp_gt_u64_e64 s0, s[34:35], v[63:64]
	v_mad_u32_u24 v63, v0, 15, 12
	s_and_b32 s13, vcc_lo, s6
	v_cmp_ne_u64_e64 s6, v[1:2], v[3:4]
	s_mov_b32 s12, 0
	ds_store_b64 v66, v[57:58]
	v_cmp_gt_u64_e64 s1, s[34:35], v[63:64]
	v_mad_u32_u24 v63, v0, 15, 11
	s_waitcnt vmcnt(0) lgkmcnt(0)
	s_and_b32 s14, s0, s6
	v_cmp_ne_u64_e64 s6, v[19:20], v[13:14]
	s_barrier
	v_cmp_gt_u64_e64 s2, s[34:35], v[63:64]
	v_mad_u32_u24 v63, v0, 15, 10
	s_and_b32 s16, s1, s8
	v_cmp_ne_u64_e64 s1, v[9:10], v[11:12]
	buffer_gl0_inv
	v_cmp_gt_u64_e64 s3, s[34:35], v[63:64]
	v_mad_u32_u24 v63, v0, 15, 9
	s_and_b32 s9, s2, s9
	v_cmp_ne_u64_e64 s2, v[15:16], v[9:10]
	s_delay_alu instid0(VALU_DEP_2) | instskip(SKIP_3) | instid1(VALU_DEP_2)
	v_cmp_gt_u64_e64 s4, s[34:35], v[63:64]
	v_mad_u32_u24 v63, v0, 15, 8
	s_and_b32 s10, s3, s10
	v_cmp_ne_u64_e64 s3, v[13:14], v[15:16]
	v_cmp_gt_u64_e64 s5, s[34:35], v[63:64]
	v_mad_u32_u24 v63, v0, 15, 7
	s_and_b32 s18, s4, s1
	v_cmp_ne_u64_e64 s1, v[17:18], v[19:20]
	v_cmp_ne_u64_e64 s4, v[27:28], v[21:22]
	s_delay_alu instid0(VALU_DEP_3) | instskip(SKIP_3) | instid1(VALU_DEP_2)
	v_cmp_gt_u64_e64 s7, s[34:35], v[63:64]
	v_mad_u32_u24 v63, v0, 15, 6
	s_and_b32 s19, s5, s2
	v_cmp_ne_u64_e64 s2, v[23:24], v[17:18]
	v_cmp_gt_u64_e32 vcc_lo, s[34:35], v[63:64]
	v_mad_u32_u24 v63, v0, 15, 5
	s_and_b32 s7, s7, s3
	v_cmp_ne_u64_e64 s3, v[21:22], v[23:24]
	s_delay_alu instid0(VALU_DEP_2) | instskip(SKIP_3) | instid1(VALU_DEP_2)
	v_cmp_gt_u64_e64 s11, s[34:35], v[63:64]
	v_mad_u32_u24 v63, v0, 15, 4
	s_and_b32 s17, vcc_lo, s6
	v_cmp_ne_u64_e64 s6, v[25:26], v[27:28]
	v_cmp_gt_u64_e64 s0, s[34:35], v[63:64]
	v_mad_u32_u24 v63, v0, 15, 3
	s_and_b32 s11, s11, s1
	s_delay_alu instid0(VALU_DEP_1) | instskip(SKIP_1) | instid1(VALU_DEP_4)
	v_cmp_gt_u64_e64 s8, s[34:35], v[63:64]
	v_mad_u32_u24 v63, v0, 15, 2
	s_and_b32 s0, s0, s2
	s_delay_alu instid0(VALU_DEP_1) | instskip(SKIP_1) | instid1(VALU_DEP_4)
	v_cmp_gt_u64_e32 vcc_lo, s[34:35], v[63:64]
	v_mad_u32_u24 v63, v0, 15, 1
	s_and_b32 s1, s8, s3
	s_delay_alu instid0(VALU_DEP_1) | instskip(SKIP_2) | instid1(VALU_DEP_1)
	v_cmp_gt_u64_e64 s5, s[34:35], v[63:64]
	s_and_b32 s2, vcc_lo, s4
	s_mov_b32 s4, exec_lo
	s_and_b32 s3, s5, s6
	v_cmpx_ne_u32_e32 0, v0
	s_cbranch_execz .LBB496_78
; %bb.77:
	v_add_nc_u32_e32 v61, -8, v66
	ds_load_b64 v[61:62], v61
.LBB496_78:
	s_or_b32 exec_lo, exec_lo, s4
	v_mov_b32_e32 v66, v64
	v_cndmask_b32_e64 v109, 0, 1, s0
	s_waitcnt lgkmcnt(0)
	v_cmp_ne_u64_e64 s0, v[61:62], v[25:26]
	v_cndmask_b32_e64 v105, 0, 1, s13
	v_cndmask_b32_e64 v99, 0, 1, s14
	v_cmp_gt_u64_e32 vcc_lo, s[34:35], v[65:66]
	v_cndmask_b32_e64 v100, 0, 1, s16
	v_cndmask_b32_e64 v101, 0, 1, s9
	;; [unrolled: 1-line block ×11, first 2 shown]
	s_and_b32 s0, vcc_lo, s0
	s_and_b32 vcc_lo, exec_lo, s12
	s_cbranch_vccnz .LBB496_81
.LBB496_79:
                                        ; implicit-def: $sgpr1
	v_mov_b32_e32 v113, s1
	s_and_saveexec_b32 s1, s45
	s_cbranch_execnz .LBB496_84
	s_branch .LBB496_85
.LBB496_80:
                                        ; implicit-def: $sgpr0
                                        ; implicit-def: $vgpr105
                                        ; implicit-def: $vgpr99
                                        ; implicit-def: $vgpr100
                                        ; implicit-def: $vgpr101
                                        ; implicit-def: $vgpr102
                                        ; implicit-def: $vgpr103
                                        ; implicit-def: $vgpr104
                                        ; implicit-def: $vgpr106
                                        ; implicit-def: $vgpr107
                                        ; implicit-def: $vgpr108
                                        ; implicit-def: $vgpr109
                                        ; implicit-def: $vgpr110
                                        ; implicit-def: $vgpr111
                                        ; implicit-def: $vgpr112
	s_cbranch_execz .LBB496_79
.LBB496_81:
	v_mad_u32_u24 v61, v0, 15, 14
	v_dual_mov_b32 v62, 0 :: v_dual_lshlrev_b32 v63, 3, v0
	v_cmp_ne_u64_e64 s5, v[1:2], v[3:4]
	v_cmp_ne_u64_e64 s4, v[3:4], v[57:58]
	;; [unrolled: 1-line block ×3, first 2 shown]
	s_delay_alu instid0(VALU_DEP_4)
	v_cmp_gt_u64_e32 vcc_lo, s[34:35], v[61:62]
	v_mad_u32_u24 v61, v0, 15, 13
	v_cmp_ne_u64_e64 s8, v[5:6], v[7:8]
	v_cmp_ne_u64_e64 s9, v[11:12], v[5:6]
	;; [unrolled: 1-line block ×4, first 2 shown]
	v_cmp_gt_u64_e64 s0, s[34:35], v[61:62]
	v_mad_u32_u24 v61, v0, 15, 12
	s_and_b32 s4, vcc_lo, s4
	v_cmp_ne_u64_e64 s13, v[13:14], v[15:16]
	v_cmp_ne_u64_e64 s14, v[19:20], v[13:14]
	;; [unrolled: 1-line block ×3, first 2 shown]
	v_cmp_gt_u64_e64 s1, s[34:35], v[61:62]
	v_mad_u32_u24 v61, v0, 15, 11
	s_and_b32 s0, s0, s5
	v_cmp_ne_u64_e64 s17, v[23:24], v[17:18]
	v_cndmask_b32_e64 v99, 0, 1, s0
	v_cmp_ne_u64_e64 s19, v[21:22], v[23:24]
	v_cmp_gt_u64_e64 s2, s[34:35], v[61:62]
	v_mad_u32_u24 v61, v0, 15, 10
	s_and_b32 s0, s1, s6
	v_cmp_ne_u64_e64 s20, v[27:28], v[21:22]
	v_cndmask_b32_e64 v100, 0, 1, s0
	v_cmp_ne_u64_e64 s21, v[25:26], v[27:28]
	v_cmp_gt_u64_e64 s3, s[34:35], v[61:62]
	v_mad_u32_u24 v61, v0, 15, 9
	s_and_b32 s0, s2, s8
	v_cndmask_b32_e64 v105, 0, 1, s4
	v_cndmask_b32_e64 v101, 0, 1, s0
	ds_store_b64 v63, v[57:58]
	v_cmp_gt_u64_e64 s7, s[34:35], v[61:62]
	v_mad_u32_u24 v61, v0, 15, 8
	s_and_b32 s1, s3, s9
	s_waitcnt lgkmcnt(0)
	v_cndmask_b32_e64 v102, 0, 1, s1
	s_barrier
	v_cmp_gt_u64_e64 s12, s[34:35], v[61:62]
	v_mad_u32_u24 v61, v0, 15, 7
	s_and_b32 s1, s7, s10
	buffer_gl0_inv
	v_cndmask_b32_e64 v103, 0, 1, s1
	v_cmp_gt_u64_e64 s18, s[34:35], v[61:62]
	v_mad_u32_u24 v61, v0, 15, 6
	s_and_b32 s2, s12, s11
	s_delay_alu instid0(SALU_CYCLE_1) | instskip(NEXT) | instid1(VALU_DEP_2)
	v_cndmask_b32_e64 v104, 0, 1, s2
	v_cmp_gt_u64_e64 s22, s[34:35], v[61:62]
	v_mad_u32_u24 v61, v0, 15, 5
	s_and_b32 s2, s18, s13
	s_delay_alu instid0(SALU_CYCLE_1) | instskip(NEXT) | instid1(VALU_DEP_2)
	v_cndmask_b32_e64 v106, 0, 1, s2
	v_cmp_gt_u64_e32 vcc_lo, s[34:35], v[61:62]
	v_mad_u32_u24 v61, v0, 15, 4
	s_and_b32 s3, s22, s14
	s_delay_alu instid0(SALU_CYCLE_1) | instskip(NEXT) | instid1(VALU_DEP_2)
	v_cndmask_b32_e64 v107, 0, 1, s3
	v_cmp_gt_u64_e64 s0, s[34:35], v[61:62]
	v_mad_u32_u24 v61, v0, 15, 3
	s_and_b32 s3, vcc_lo, s16
	s_delay_alu instid0(SALU_CYCLE_1) | instskip(NEXT) | instid1(VALU_DEP_2)
	v_cndmask_b32_e64 v108, 0, 1, s3
	v_cmp_gt_u64_e64 s1, s[34:35], v[61:62]
	v_mad_u32_u24 v61, v0, 15, 2
	s_and_b32 s0, s0, s17
	s_delay_alu instid0(SALU_CYCLE_1) | instskip(NEXT) | instid1(VALU_DEP_2)
	v_cndmask_b32_e64 v109, 0, 1, s0
	v_cmp_gt_u64_e64 s2, s[34:35], v[61:62]
	v_mad_u32_u24 v61, v0, 15, 1
	s_and_b32 s0, s1, s19
	s_mov_b32 s1, 1
	v_cndmask_b32_e64 v110, 0, 1, s0
	s_delay_alu instid0(VALU_DEP_2) | instskip(SKIP_4) | instid1(SALU_CYCLE_1)
	v_cmp_gt_u64_e32 vcc_lo, s[34:35], v[61:62]
	s_and_b32 s0, s2, s20
	s_mov_b32 s2, exec_lo
	v_cndmask_b32_e64 v111, 0, 1, s0
	s_and_b32 s0, vcc_lo, s21
	v_cndmask_b32_e64 v112, 0, 1, s0
                                        ; implicit-def: $sgpr0
	v_cmpx_ne_u32_e32 0, v0
	s_cbranch_execz .LBB496_220
; %bb.82:
	v_add_nc_u32_e32 v61, -8, v63
	s_or_b32 s45, s45, exec_lo
	ds_load_b64 v[63:64], v61
	v_mul_u32_u24_e32 v61, 15, v0
	s_delay_alu instid0(VALU_DEP_1) | instskip(SKIP_2) | instid1(VALU_DEP_1)
	v_cmp_gt_u64_e32 vcc_lo, s[34:35], v[61:62]
	s_waitcnt lgkmcnt(0)
	v_cmp_ne_u64_e64 s0, v[63:64], v[25:26]
	s_and_b32 s0, vcc_lo, s0
	s_delay_alu instid0(SALU_CYCLE_1)
	s_and_b32 s0, s0, exec_lo
	s_or_b32 exec_lo, exec_lo, s2
.LBB496_83:
	v_mov_b32_e32 v113, s1
	s_and_saveexec_b32 s1, s45
.LBB496_84:
	v_cndmask_b32_e64 v113, 0, 1, s0
.LBB496_85:
	s_or_b32 exec_lo, exec_lo, s1
	s_delay_alu instid0(VALU_DEP_1)
	v_add3_u32 v61, v112, v113, v111
	v_dual_mov_b32 v95, v53 :: v_dual_mov_b32 v96, v54
	v_cmp_eq_u32_e64 s12, 0, v112
	v_cmp_eq_u32_e64 s11, 0, v111
	;; [unrolled: 1-line block ×3, first 2 shown]
	v_add3_u32 v116, v61, v110, v109
	v_cmp_eq_u32_e64 s9, 0, v109
	v_cmp_eq_u32_e64 s8, 0, v108
	v_cmp_eq_u32_e64 s7, 0, v107
	v_cmp_eq_u32_e64 s6, 0, v106
	v_cmp_eq_u32_e64 s5, 0, v104
	v_cmp_eq_u32_e64 s4, 0, v103
	v_cmp_eq_u32_e64 s3, 0, v102
	v_cmp_eq_u32_e64 s2, 0, v101
	v_cmp_eq_u32_e64 s1, 0, v100
	v_cmp_eq_u32_e64 s0, 0, v99
	v_cmp_eq_u32_e32 vcc_lo, 0, v105
	v_mbcnt_lo_u32_b32 v115, -1, 0
	s_cmp_eq_u64 s[42:43], 0
	s_cselect_b32 s14, -1, 0
	s_cmp_lg_u32 s15, 0
	s_cbranch_scc0 .LBB496_152
; %bb.86:
	v_cndmask_b32_e64 v61, 0, v53, s12
	v_cndmask_b32_e64 v62, 0, v54, s12
	v_add3_u32 v63, v116, v108, v107
	s_delay_alu instid0(VALU_DEP_3) | instskip(NEXT) | instid1(VALU_DEP_1)
	v_add_co_u32 v61, s13, v61, v55
	v_add_co_ci_u32_e64 v62, s13, v62, v56, s13
	s_delay_alu instid0(VALU_DEP_3) | instskip(NEXT) | instid1(VALU_DEP_3)
	v_add3_u32 v63, v63, v106, v104
	v_cndmask_b32_e64 v61, 0, v61, s11
	s_delay_alu instid0(VALU_DEP_3) | instskip(NEXT) | instid1(VALU_DEP_3)
	v_cndmask_b32_e64 v62, 0, v62, s11
	v_add3_u32 v63, v63, v103, v102
	s_delay_alu instid0(VALU_DEP_3) | instskip(NEXT) | instid1(VALU_DEP_1)
	v_add_co_u32 v61, s13, v61, v49
	v_add_co_ci_u32_e64 v62, s13, v62, v50, s13
	s_delay_alu instid0(VALU_DEP_3) | instskip(NEXT) | instid1(VALU_DEP_3)
	v_add3_u32 v63, v63, v101, v100
	v_cndmask_b32_e64 v61, 0, v61, s10
	s_delay_alu instid0(VALU_DEP_3) | instskip(NEXT) | instid1(VALU_DEP_3)
	v_cndmask_b32_e64 v62, 0, v62, s10
	v_add3_u32 v65, v63, v99, v105
	s_delay_alu instid0(VALU_DEP_3) | instskip(NEXT) | instid1(VALU_DEP_1)
	v_add_co_u32 v61, s13, v61, v51
	v_add_co_ci_u32_e64 v62, s13, v62, v52, s13
	s_delay_alu instid0(VALU_DEP_2) | instskip(NEXT) | instid1(VALU_DEP_2)
	v_cndmask_b32_e64 v61, 0, v61, s9
	v_cndmask_b32_e64 v62, 0, v62, s9
	s_delay_alu instid0(VALU_DEP_2) | instskip(NEXT) | instid1(VALU_DEP_1)
	v_add_co_u32 v61, s13, v61, v45
	v_add_co_ci_u32_e64 v62, s13, v62, v46, s13
	s_delay_alu instid0(VALU_DEP_2) | instskip(NEXT) | instid1(VALU_DEP_2)
	v_cndmask_b32_e64 v61, 0, v61, s8
	v_cndmask_b32_e64 v62, 0, v62, s8
	s_delay_alu instid0(VALU_DEP_2) | instskip(NEXT) | instid1(VALU_DEP_1)
	;; [unrolled: 6-line block ×10, first 2 shown]
	v_add_co_u32 v61, s13, v61, v31
	v_add_co_ci_u32_e64 v62, s13, v62, v32, s13
	s_mov_b32 s13, exec_lo
	s_delay_alu instid0(VALU_DEP_1) | instskip(NEXT) | instid1(VALU_DEP_1)
	v_dual_cndmask_b32 v61, 0, v61 :: v_dual_cndmask_b32 v62, 0, v62
	v_add_co_u32 v63, vcc_lo, v61, v59
	s_delay_alu instid0(VALU_DEP_2) | instskip(SKIP_2) | instid1(VALU_DEP_4)
	v_add_co_ci_u32_e32 v64, vcc_lo, v62, v60, vcc_lo
	v_and_b32_e32 v61, 15, v115
	v_mov_b32_dpp v62, v65 row_shr:1 row_mask:0xf bank_mask:0xf
	v_mov_b32_dpp v66, v63 row_shr:1 row_mask:0xf bank_mask:0xf
	s_delay_alu instid0(VALU_DEP_4) | instskip(NEXT) | instid1(VALU_DEP_4)
	v_mov_b32_dpp v67, v64 row_shr:1 row_mask:0xf bank_mask:0xf
	v_cmpx_ne_u32_e32 0, v61
; %bb.87:
	v_cmp_eq_u32_e32 vcc_lo, 0, v65
	v_add_nc_u32_e32 v65, v62, v65
	s_delay_alu instid0(VALU_DEP_4) | instskip(NEXT) | instid1(VALU_DEP_1)
	v_dual_cndmask_b32 v67, 0, v67 :: v_dual_cndmask_b32 v66, 0, v66
	v_add_co_u32 v63, vcc_lo, v66, v63
	s_delay_alu instid0(VALU_DEP_2)
	v_add_co_ci_u32_e32 v64, vcc_lo, v67, v64, vcc_lo
; %bb.88:
	s_or_b32 exec_lo, exec_lo, s13
	v_mov_b32_dpp v62, v65 row_shr:2 row_mask:0xf bank_mask:0xf
	s_delay_alu instid0(VALU_DEP_3) | instskip(NEXT) | instid1(VALU_DEP_3)
	v_mov_b32_dpp v66, v63 row_shr:2 row_mask:0xf bank_mask:0xf
	v_mov_b32_dpp v67, v64 row_shr:2 row_mask:0xf bank_mask:0xf
	s_mov_b32 s13, exec_lo
	v_cmpx_lt_u32_e32 1, v61
; %bb.89:
	v_cmp_eq_u32_e32 vcc_lo, 0, v65
	v_add_nc_u32_e32 v65, v62, v65
	v_dual_cndmask_b32 v67, 0, v67 :: v_dual_cndmask_b32 v66, 0, v66
	s_delay_alu instid0(VALU_DEP_1) | instskip(NEXT) | instid1(VALU_DEP_2)
	v_add_co_u32 v63, vcc_lo, v66, v63
	v_add_co_ci_u32_e32 v64, vcc_lo, v67, v64, vcc_lo
; %bb.90:
	s_or_b32 exec_lo, exec_lo, s13
	v_mov_b32_dpp v62, v65 row_shr:4 row_mask:0xf bank_mask:0xf
	s_delay_alu instid0(VALU_DEP_3) | instskip(NEXT) | instid1(VALU_DEP_3)
	v_mov_b32_dpp v66, v63 row_shr:4 row_mask:0xf bank_mask:0xf
	v_mov_b32_dpp v67, v64 row_shr:4 row_mask:0xf bank_mask:0xf
	s_mov_b32 s13, exec_lo
	v_cmpx_lt_u32_e32 3, v61
; %bb.91:
	v_cmp_eq_u32_e32 vcc_lo, 0, v65
	v_add_nc_u32_e32 v65, v62, v65
	v_dual_cndmask_b32 v67, 0, v67 :: v_dual_cndmask_b32 v66, 0, v66
	s_delay_alu instid0(VALU_DEP_1) | instskip(NEXT) | instid1(VALU_DEP_2)
	v_add_co_u32 v63, vcc_lo, v66, v63
	;; [unrolled: 15-line block ×3, first 2 shown]
	v_add_co_ci_u32_e32 v64, vcc_lo, v61, v64, vcc_lo
; %bb.94:
	s_or_b32 exec_lo, exec_lo, s13
	ds_swizzle_b32 v61, v65 offset:swizzle(BROADCAST,32,15)
	ds_swizzle_b32 v62, v63 offset:swizzle(BROADCAST,32,15)
	;; [unrolled: 1-line block ×3, first 2 shown]
	v_and_b32_e32 v67, 16, v115
	s_mov_b32 s13, exec_lo
	s_delay_alu instid0(VALU_DEP_1)
	v_cmpx_ne_u32_e32 0, v67
	s_cbranch_execz .LBB496_96
; %bb.95:
	v_cmp_eq_u32_e32 vcc_lo, 0, v65
	s_waitcnt lgkmcnt(1)
	v_dual_cndmask_b32 v62, 0, v62 :: v_dual_add_nc_u32 v65, v61, v65
	s_waitcnt lgkmcnt(0)
	v_cndmask_b32_e32 v66, 0, v66, vcc_lo
	s_delay_alu instid0(VALU_DEP_2) | instskip(NEXT) | instid1(VALU_DEP_2)
	v_add_co_u32 v63, vcc_lo, v62, v63
	v_add_co_ci_u32_e32 v64, vcc_lo, v66, v64, vcc_lo
.LBB496_96:
	s_or_b32 exec_lo, exec_lo, s13
	s_waitcnt lgkmcnt(1)
	v_lshrrev_b32_e32 v62, 5, v0
	v_or_b32_e32 v61, 31, v0
	s_mov_b32 s13, exec_lo
	s_waitcnt lgkmcnt(0)
	s_delay_alu instid0(VALU_DEP_2) | instskip(NEXT) | instid1(VALU_DEP_2)
	v_lshlrev_b32_e32 v66, 4, v62
	v_cmpx_eq_u32_e64 v61, v0
	s_cbranch_execz .LBB496_98
; %bb.97:
	ds_store_b32 v66, v65 offset:4128
	ds_store_b64 v66, v[63:64] offset:4136
.LBB496_98:
	s_or_b32 exec_lo, exec_lo, s13
	s_delay_alu instid0(SALU_CYCLE_1)
	s_mov_b32 s13, exec_lo
	s_waitcnt lgkmcnt(0)
	s_barrier
	buffer_gl0_inv
	v_cmpx_gt_u32_e32 8, v0
	s_cbranch_execz .LBB496_106
; %bb.99:
	v_lshlrev_b32_e32 v67, 4, v0
	v_and_b32_e32 v69, 7, v115
	s_mov_b32 s16, exec_lo
	ds_load_b32 v68, v67 offset:4128
	ds_load_b64 v[61:62], v67 offset:4136
	s_waitcnt lgkmcnt(1)
	v_mov_b32_dpp v70, v68 row_shr:1 row_mask:0xf bank_mask:0xf
	s_waitcnt lgkmcnt(0)
	v_mov_b32_dpp v71, v61 row_shr:1 row_mask:0xf bank_mask:0xf
	v_mov_b32_dpp v72, v62 row_shr:1 row_mask:0xf bank_mask:0xf
	v_cmpx_ne_u32_e32 0, v69
; %bb.100:
	v_cmp_eq_u32_e32 vcc_lo, 0, v68
	v_add_nc_u32_e32 v68, v70, v68
	s_delay_alu instid0(VALU_DEP_4) | instskip(NEXT) | instid1(VALU_DEP_1)
	v_dual_cndmask_b32 v72, 0, v72 :: v_dual_cndmask_b32 v71, 0, v71
	v_add_co_u32 v61, vcc_lo, v71, v61
	s_delay_alu instid0(VALU_DEP_2)
	v_add_co_ci_u32_e32 v62, vcc_lo, v72, v62, vcc_lo
; %bb.101:
	s_or_b32 exec_lo, exec_lo, s16
	v_mov_b32_dpp v70, v68 row_shr:2 row_mask:0xf bank_mask:0xf
	s_delay_alu instid0(VALU_DEP_3) | instskip(NEXT) | instid1(VALU_DEP_3)
	v_mov_b32_dpp v71, v61 row_shr:2 row_mask:0xf bank_mask:0xf
	v_mov_b32_dpp v72, v62 row_shr:2 row_mask:0xf bank_mask:0xf
	s_mov_b32 s16, exec_lo
	v_cmpx_lt_u32_e32 1, v69
; %bb.102:
	v_cmp_eq_u32_e32 vcc_lo, 0, v68
	v_add_nc_u32_e32 v68, v70, v68
	v_dual_cndmask_b32 v72, 0, v72 :: v_dual_cndmask_b32 v71, 0, v71
	s_delay_alu instid0(VALU_DEP_1) | instskip(NEXT) | instid1(VALU_DEP_2)
	v_add_co_u32 v61, vcc_lo, v71, v61
	v_add_co_ci_u32_e32 v62, vcc_lo, v72, v62, vcc_lo
; %bb.103:
	s_or_b32 exec_lo, exec_lo, s16
	v_mov_b32_dpp v70, v68 row_shr:4 row_mask:0xf bank_mask:0xf
	s_delay_alu instid0(VALU_DEP_3) | instskip(NEXT) | instid1(VALU_DEP_3)
	v_mov_b32_dpp v71, v61 row_shr:4 row_mask:0xf bank_mask:0xf
	v_mov_b32_dpp v72, v62 row_shr:4 row_mask:0xf bank_mask:0xf
	s_mov_b32 s16, exec_lo
	v_cmpx_lt_u32_e32 3, v69
; %bb.104:
	v_cmp_eq_u32_e32 vcc_lo, 0, v68
	v_dual_cndmask_b32 v71, 0, v71 :: v_dual_add_nc_u32 v68, v70, v68
	v_cndmask_b32_e32 v69, 0, v72, vcc_lo
	s_delay_alu instid0(VALU_DEP_2) | instskip(NEXT) | instid1(VALU_DEP_2)
	v_add_co_u32 v61, vcc_lo, v71, v61
	v_add_co_ci_u32_e32 v62, vcc_lo, v69, v62, vcc_lo
; %bb.105:
	s_or_b32 exec_lo, exec_lo, s16
	ds_store_b32 v67, v68 offset:4128
	ds_store_b64 v67, v[61:62] offset:4136
.LBB496_106:
	s_or_b32 exec_lo, exec_lo, s13
	v_mov_b32_e32 v61, 0
	v_cmp_gt_u32_e32 vcc_lo, 32, v0
	v_dual_mov_b32 v62, 0 :: v_dual_mov_b32 v71, 0
	s_mov_b32 s16, exec_lo
	s_waitcnt lgkmcnt(0)
	s_barrier
	buffer_gl0_inv
	v_cmpx_lt_u32_e32 31, v0
	s_cbranch_execz .LBB496_108
; %bb.107:
	ds_load_b64 v[61:62], v66 offset:4120
	ds_load_b32 v71, v66 offset:4112
	v_cmp_eq_u32_e64 s13, 0, v65
	s_waitcnt lgkmcnt(1)
	s_delay_alu instid0(VALU_DEP_1) | instskip(SKIP_3) | instid1(VALU_DEP_3)
	v_cndmask_b32_e64 v67, 0, v61, s13
	v_cndmask_b32_e64 v66, 0, v62, s13
	s_waitcnt lgkmcnt(0)
	v_add_nc_u32_e32 v65, v71, v65
	v_add_co_u32 v63, s13, v67, v63
	s_delay_alu instid0(VALU_DEP_1)
	v_add_co_ci_u32_e64 v64, s13, v66, v64, s13
.LBB496_108:
	s_or_b32 exec_lo, exec_lo, s16
	v_add_nc_u32_e32 v66, -1, v115
	s_delay_alu instid0(VALU_DEP_1) | instskip(NEXT) | instid1(VALU_DEP_1)
	v_cmp_gt_i32_e64 s13, 0, v66
	v_cndmask_b32_e64 v66, v66, v115, s13
	v_cmp_eq_u32_e64 s13, 0, v115
	s_delay_alu instid0(VALU_DEP_2)
	v_lshlrev_b32_e32 v66, 2, v66
	ds_bpermute_b32 v74, v66, v65
	ds_bpermute_b32 v73, v66, v63
	ds_bpermute_b32 v72, v66, v64
	s_and_saveexec_b32 s16, vcc_lo
	s_cbranch_execz .LBB496_151
; %bb.109:
	v_mov_b32_e32 v67, 0
	ds_load_b32 v75, v67 offset:4240
	ds_load_b64 v[63:64], v67 offset:4248
	s_and_saveexec_b32 s17, s13
	s_cbranch_execz .LBB496_111
; %bb.110:
	s_add_i32 s18, s15, 32
	s_mov_b32 s19, 0
	v_dual_mov_b32 v65, s18 :: v_dual_mov_b32 v66, 1
	s_lshl_b64 s[20:21], s[18:19], 4
	s_delay_alu instid0(SALU_CYCLE_1)
	s_add_u32 s18, s36, s20
	s_addc_u32 s19, s37, s21
	s_waitcnt lgkmcnt(1)
	global_store_b32 v67, v75, s[18:19]
	s_waitcnt lgkmcnt(0)
	global_store_b64 v67, v[63:64], s[18:19] offset:8
	s_waitcnt_vscnt null, 0x0
	buffer_gl1_inv
	buffer_gl0_inv
	global_store_b8 v65, v66, s[40:41]
.LBB496_111:
	s_or_b32 exec_lo, exec_lo, s17
	v_xad_u32 v65, v115, -1, s15
	s_mov_b32 s18, 0
	s_mov_b32 s17, exec_lo
	s_delay_alu instid0(VALU_DEP_1)
	v_add_nc_u32_e32 v66, 32, v65
	global_load_u8 v76, v66, s[40:41] glc
	s_waitcnt vmcnt(0)
	v_cmpx_eq_u16_e32 0, v76
	s_cbranch_execz .LBB496_117
; %bb.112:
	v_add_co_u32 v68, s19, s40, v66
	s_delay_alu instid0(VALU_DEP_1)
	v_add_co_ci_u32_e64 v69, null, s41, 0, s19
	s_mov_b32 s19, 1
.LBB496_113:                            ; =>This Loop Header: Depth=1
                                        ;     Child Loop BB496_114 Depth 2
	s_delay_alu instid0(SALU_CYCLE_1)
	s_max_u32 s20, s19, 1
.LBB496_114:                            ;   Parent Loop BB496_113 Depth=1
                                        ; =>  This Inner Loop Header: Depth=2
	s_delay_alu instid0(SALU_CYCLE_1)
	s_add_i32 s20, s20, -1
	s_sleep 1
	s_cmp_eq_u32 s20, 0
	s_cbranch_scc0 .LBB496_114
; %bb.115:                              ;   in Loop: Header=BB496_113 Depth=1
	global_load_u8 v76, v[68:69], off glc
	s_cmp_lt_u32 s19, 32
	s_cselect_b32 s20, -1, 0
	s_delay_alu instid0(SALU_CYCLE_1) | instskip(SKIP_4) | instid1(SALU_CYCLE_1)
	s_cmp_lg_u32 s20, 0
	s_addc_u32 s19, s19, 0
	s_waitcnt vmcnt(0)
	v_cmp_ne_u16_e32 vcc_lo, 0, v76
	s_or_b32 s18, vcc_lo, s18
	s_and_not1_b32 exec_lo, exec_lo, s18
	s_cbranch_execnz .LBB496_113
; %bb.116:
	s_or_b32 exec_lo, exec_lo, s18
.LBB496_117:
	s_delay_alu instid0(SALU_CYCLE_1)
	s_or_b32 exec_lo, exec_lo, s17
	v_dual_mov_b32 v68, s37 :: v_dual_mov_b32 v69, s36
	v_cmp_eq_u16_e32 vcc_lo, 1, v76
	v_lshlrev_b64 v[66:67], 4, v[66:67]
	s_waitcnt lgkmcnt(0)
	s_waitcnt_vscnt null, 0x0
	buffer_gl1_inv
	buffer_gl0_inv
	v_lshlrev_b32_e64 v78, v115, -1
	s_mov_b32 s17, exec_lo
	v_cndmask_b32_e32 v69, s38, v69, vcc_lo
	v_cndmask_b32_e32 v68, s39, v68, vcc_lo
	s_delay_alu instid0(VALU_DEP_2) | instskip(NEXT) | instid1(VALU_DEP_2)
	v_add_co_u32 v66, vcc_lo, v69, v66
	v_add_co_ci_u32_e32 v67, vcc_lo, v68, v67, vcc_lo
	v_cmp_ne_u32_e32 vcc_lo, 31, v115
	s_clause 0x1
	global_load_b32 v88, v[66:67], off
	global_load_b64 v[69:70], v[66:67], off offset:8
	v_add_co_ci_u32_e32 v66, vcc_lo, 0, v115, vcc_lo
	v_cmp_eq_u16_e32 vcc_lo, 2, v76
	s_delay_alu instid0(VALU_DEP_2) | instskip(SKIP_1) | instid1(VALU_DEP_1)
	v_lshlrev_b32_e32 v77, 2, v66
	v_and_or_b32 v66, vcc_lo, v78, 0x80000000
	v_ctz_i32_b32_e32 v66, v66
	s_waitcnt vmcnt(1)
	ds_bpermute_b32 v67, v77, v88
	s_waitcnt vmcnt(0)
	ds_bpermute_b32 v68, v77, v69
	ds_bpermute_b32 v79, v77, v70
	v_cmpx_lt_u32_e64 v115, v66
	s_cbranch_execz .LBB496_119
; %bb.118:
	v_cmp_eq_u32_e32 vcc_lo, 0, v88
	s_waitcnt lgkmcnt(0)
	v_dual_cndmask_b32 v79, 0, v79 :: v_dual_add_nc_u32 v88, v67, v88
	v_cndmask_b32_e32 v68, 0, v68, vcc_lo
	s_delay_alu instid0(VALU_DEP_1) | instskip(NEXT) | instid1(VALU_DEP_3)
	v_add_co_u32 v69, vcc_lo, v68, v69
	v_add_co_ci_u32_e32 v70, vcc_lo, v79, v70, vcc_lo
.LBB496_119:
	s_or_b32 exec_lo, exec_lo, s17
	v_cmp_gt_u32_e32 vcc_lo, 30, v115
	v_add_nc_u32_e32 v80, 2, v115
	s_mov_b32 s17, exec_lo
	s_waitcnt lgkmcnt(2)
	v_cndmask_b32_e64 v67, 0, 1, vcc_lo
	s_delay_alu instid0(VALU_DEP_1) | instskip(SKIP_1) | instid1(VALU_DEP_1)
	v_lshlrev_b32_e32 v67, 1, v67
	s_waitcnt lgkmcnt(0)
	v_add_lshl_u32 v79, v67, v115, 2
	ds_bpermute_b32 v67, v79, v88
	ds_bpermute_b32 v68, v79, v69
	ds_bpermute_b32 v81, v79, v70
	v_cmpx_le_u32_e64 v80, v66
	s_cbranch_execz .LBB496_121
; %bb.120:
	v_cmp_eq_u32_e32 vcc_lo, 0, v88
	s_waitcnt lgkmcnt(0)
	v_dual_cndmask_b32 v81, 0, v81 :: v_dual_add_nc_u32 v88, v67, v88
	v_cndmask_b32_e32 v68, 0, v68, vcc_lo
	s_delay_alu instid0(VALU_DEP_1) | instskip(NEXT) | instid1(VALU_DEP_3)
	v_add_co_u32 v69, vcc_lo, v68, v69
	v_add_co_ci_u32_e32 v70, vcc_lo, v81, v70, vcc_lo
.LBB496_121:
	s_or_b32 exec_lo, exec_lo, s17
	v_cmp_gt_u32_e32 vcc_lo, 28, v115
	v_add_nc_u32_e32 v82, 4, v115
	s_mov_b32 s17, exec_lo
	s_waitcnt lgkmcnt(2)
	v_cndmask_b32_e64 v67, 0, 1, vcc_lo
	s_delay_alu instid0(VALU_DEP_1) | instskip(SKIP_1) | instid1(VALU_DEP_1)
	v_lshlrev_b32_e32 v67, 2, v67
	s_waitcnt lgkmcnt(0)
	v_add_lshl_u32 v81, v67, v115, 2
	ds_bpermute_b32 v67, v81, v88
	ds_bpermute_b32 v68, v81, v69
	ds_bpermute_b32 v83, v81, v70
	v_cmpx_le_u32_e64 v82, v66
	;; [unrolled: 24-line block ×3, first 2 shown]
	s_cbranch_execz .LBB496_125
; %bb.124:
	v_cmp_eq_u32_e32 vcc_lo, 0, v88
	s_waitcnt lgkmcnt(0)
	v_dual_cndmask_b32 v85, 0, v85 :: v_dual_add_nc_u32 v88, v67, v88
	v_cndmask_b32_e32 v68, 0, v68, vcc_lo
	s_delay_alu instid0(VALU_DEP_1) | instskip(NEXT) | instid1(VALU_DEP_3)
	v_add_co_u32 v69, vcc_lo, v68, v69
	v_add_co_ci_u32_e32 v70, vcc_lo, v85, v70, vcc_lo
.LBB496_125:
	s_or_b32 exec_lo, exec_lo, s17
	v_cmp_gt_u32_e32 vcc_lo, 16, v115
	v_add_nc_u32_e32 v87, 16, v115
	s_mov_b32 s17, exec_lo
	s_waitcnt lgkmcnt(2)
	v_cndmask_b32_e64 v67, 0, 1, vcc_lo
	s_delay_alu instid0(VALU_DEP_1) | instskip(NEXT) | instid1(VALU_DEP_1)
	v_lshlrev_b32_e32 v67, 4, v67
	v_add_lshl_u32 v86, v67, v115, 2
	ds_bpermute_b32 v67, v86, v88
	s_waitcnt lgkmcnt(2)
	ds_bpermute_b32 v68, v86, v69
	s_waitcnt lgkmcnt(2)
	ds_bpermute_b32 v85, v86, v70
	v_cmpx_le_u32_e64 v87, v66
	s_cbranch_execz .LBB496_127
; %bb.126:
	v_cmp_eq_u32_e32 vcc_lo, 0, v88
	s_waitcnt lgkmcnt(2)
	v_add_nc_u32_e32 v88, v67, v88
	s_waitcnt lgkmcnt(1)
	v_cndmask_b32_e32 v68, 0, v68, vcc_lo
	s_waitcnt lgkmcnt(0)
	v_cndmask_b32_e32 v66, 0, v85, vcc_lo
	s_delay_alu instid0(VALU_DEP_2) | instskip(NEXT) | instid1(VALU_DEP_2)
	v_add_co_u32 v69, vcc_lo, v68, v69
	v_add_co_ci_u32_e32 v70, vcc_lo, v66, v70, vcc_lo
.LBB496_127:
	s_or_b32 exec_lo, exec_lo, s17
	v_mov_b32_e32 v66, 0
	s_branch .LBB496_129
.LBB496_128:                            ;   in Loop: Header=BB496_129 Depth=1
	s_or_b32 exec_lo, exec_lo, s17
	v_cmp_eq_u32_e32 vcc_lo, 0, v85
	v_subrev_nc_u32_e32 v65, 32, v65
	v_add_nc_u32_e32 v88, v88, v85
	v_dual_cndmask_b32 v70, 0, v70 :: v_dual_cndmask_b32 v69, 0, v69
	s_delay_alu instid0(VALU_DEP_1) | instskip(NEXT) | instid1(VALU_DEP_2)
	v_add_co_u32 v69, vcc_lo, v69, v67
	v_add_co_ci_u32_e32 v70, vcc_lo, v70, v68, vcc_lo
.LBB496_129:                            ; =>This Loop Header: Depth=1
                                        ;     Child Loop BB496_132 Depth 2
                                        ;       Child Loop BB496_133 Depth 3
	s_waitcnt lgkmcnt(2)
	v_and_b32_e32 v67, 0xff, v76
	s_waitcnt lgkmcnt(0)
	v_mov_b32_e32 v85, v88
	s_delay_alu instid0(VALU_DEP_2) | instskip(SKIP_2) | instid1(VALU_DEP_1)
	v_cmp_ne_u16_e32 vcc_lo, 2, v67
	v_cndmask_b32_e64 v67, 0, 1, vcc_lo
	;;#ASMSTART
	;;#ASMEND
	v_cmp_ne_u32_e32 vcc_lo, 0, v67
	v_dual_mov_b32 v67, v69 :: v_dual_mov_b32 v68, v70
	s_cmp_lg_u32 vcc_lo, exec_lo
	s_cbranch_scc1 .LBB496_146
; %bb.130:                              ;   in Loop: Header=BB496_129 Depth=1
	global_load_u8 v76, v65, s[40:41] glc
	s_mov_b32 s17, exec_lo
	s_waitcnt vmcnt(0)
	v_cmpx_eq_u16_e32 0, v76
	s_cbranch_execz .LBB496_136
; %bb.131:                              ;   in Loop: Header=BB496_129 Depth=1
	v_add_co_u32 v69, s18, s40, v65
	s_delay_alu instid0(VALU_DEP_1)
	v_add_co_ci_u32_e64 v70, null, s41, 0, s18
	s_mov_b32 s19, 1
	s_mov_b32 s18, 0
.LBB496_132:                            ;   Parent Loop BB496_129 Depth=1
                                        ; =>  This Loop Header: Depth=2
                                        ;       Child Loop BB496_133 Depth 3
	s_max_u32 s20, s19, 1
.LBB496_133:                            ;   Parent Loop BB496_129 Depth=1
                                        ;     Parent Loop BB496_132 Depth=2
                                        ; =>    This Inner Loop Header: Depth=3
	s_delay_alu instid0(SALU_CYCLE_1)
	s_add_i32 s20, s20, -1
	s_sleep 1
	s_cmp_eq_u32 s20, 0
	s_cbranch_scc0 .LBB496_133
; %bb.134:                              ;   in Loop: Header=BB496_132 Depth=2
	global_load_u8 v76, v[69:70], off glc
	s_cmp_lt_u32 s19, 32
	s_cselect_b32 s20, -1, 0
	s_delay_alu instid0(SALU_CYCLE_1) | instskip(SKIP_4) | instid1(SALU_CYCLE_1)
	s_cmp_lg_u32 s20, 0
	s_addc_u32 s19, s19, 0
	s_waitcnt vmcnt(0)
	v_cmp_ne_u16_e32 vcc_lo, 0, v76
	s_or_b32 s18, vcc_lo, s18
	s_and_not1_b32 exec_lo, exec_lo, s18
	s_cbranch_execnz .LBB496_132
; %bb.135:                              ;   in Loop: Header=BB496_129 Depth=1
	s_or_b32 exec_lo, exec_lo, s18
.LBB496_136:                            ;   in Loop: Header=BB496_129 Depth=1
	s_delay_alu instid0(SALU_CYCLE_1)
	s_or_b32 exec_lo, exec_lo, s17
	v_dual_mov_b32 v88, s37 :: v_dual_mov_b32 v89, s36
	v_cmp_eq_u16_e32 vcc_lo, 1, v76
	v_lshlrev_b64 v[69:70], 4, v[65:66]
	buffer_gl1_inv
	buffer_gl0_inv
	s_mov_b32 s17, exec_lo
	v_cndmask_b32_e32 v89, s38, v89, vcc_lo
	v_cndmask_b32_e32 v88, s39, v88, vcc_lo
	s_delay_alu instid0(VALU_DEP_2) | instskip(NEXT) | instid1(VALU_DEP_2)
	v_add_co_u32 v69, vcc_lo, v89, v69
	v_add_co_ci_u32_e32 v70, vcc_lo, v88, v70, vcc_lo
	v_cmp_eq_u16_e32 vcc_lo, 2, v76
	s_clause 0x1
	global_load_b32 v88, v[69:70], off
	global_load_b64 v[69:70], v[69:70], off offset:8
	v_and_or_b32 v89, vcc_lo, v78, 0x80000000
	s_delay_alu instid0(VALU_DEP_1)
	v_ctz_i32_b32_e32 v89, v89
	s_waitcnt vmcnt(1)
	ds_bpermute_b32 v90, v77, v88
	s_waitcnt vmcnt(0)
	ds_bpermute_b32 v91, v77, v69
	ds_bpermute_b32 v92, v77, v70
	v_cmpx_lt_u32_e64 v115, v89
	s_cbranch_execz .LBB496_138
; %bb.137:                              ;   in Loop: Header=BB496_129 Depth=1
	v_cmp_eq_u32_e32 vcc_lo, 0, v88
	s_waitcnt lgkmcnt(2)
	v_add_nc_u32_e32 v88, v90, v88
	s_waitcnt lgkmcnt(0)
	v_dual_cndmask_b32 v92, 0, v92 :: v_dual_cndmask_b32 v91, 0, v91
	s_delay_alu instid0(VALU_DEP_1) | instskip(NEXT) | instid1(VALU_DEP_2)
	v_add_co_u32 v69, vcc_lo, v91, v69
	v_add_co_ci_u32_e32 v70, vcc_lo, v92, v70, vcc_lo
.LBB496_138:                            ;   in Loop: Header=BB496_129 Depth=1
	s_or_b32 exec_lo, exec_lo, s17
	s_waitcnt lgkmcnt(2)
	ds_bpermute_b32 v90, v79, v88
	s_waitcnt lgkmcnt(2)
	ds_bpermute_b32 v91, v79, v69
	s_waitcnt lgkmcnt(2)
	ds_bpermute_b32 v92, v79, v70
	s_mov_b32 s17, exec_lo
	v_cmpx_le_u32_e64 v80, v89
	s_cbranch_execz .LBB496_140
; %bb.139:                              ;   in Loop: Header=BB496_129 Depth=1
	v_cmp_eq_u32_e32 vcc_lo, 0, v88
	s_waitcnt lgkmcnt(2)
	v_add_nc_u32_e32 v88, v90, v88
	s_waitcnt lgkmcnt(0)
	v_dual_cndmask_b32 v92, 0, v92 :: v_dual_cndmask_b32 v91, 0, v91
	s_delay_alu instid0(VALU_DEP_1) | instskip(NEXT) | instid1(VALU_DEP_2)
	v_add_co_u32 v69, vcc_lo, v91, v69
	v_add_co_ci_u32_e32 v70, vcc_lo, v92, v70, vcc_lo
.LBB496_140:                            ;   in Loop: Header=BB496_129 Depth=1
	s_or_b32 exec_lo, exec_lo, s17
	s_waitcnt lgkmcnt(2)
	ds_bpermute_b32 v90, v81, v88
	s_waitcnt lgkmcnt(2)
	ds_bpermute_b32 v91, v81, v69
	s_waitcnt lgkmcnt(2)
	ds_bpermute_b32 v92, v81, v70
	s_mov_b32 s17, exec_lo
	v_cmpx_le_u32_e64 v82, v89
	;; [unrolled: 20-line block ×4, first 2 shown]
	s_cbranch_execz .LBB496_128
; %bb.145:                              ;   in Loop: Header=BB496_129 Depth=1
	v_cmp_eq_u32_e32 vcc_lo, 0, v88
	s_waitcnt lgkmcnt(1)
	v_dual_cndmask_b32 v91, 0, v91 :: v_dual_add_nc_u32 v88, v90, v88
	s_waitcnt lgkmcnt(0)
	v_cndmask_b32_e32 v89, 0, v92, vcc_lo
	s_delay_alu instid0(VALU_DEP_2) | instskip(NEXT) | instid1(VALU_DEP_2)
	v_add_co_u32 v69, vcc_lo, v91, v69
	v_add_co_ci_u32_e32 v70, vcc_lo, v89, v70, vcc_lo
	s_branch .LBB496_128
.LBB496_146:                            ;   in Loop: Header=BB496_129 Depth=1
                                        ; implicit-def: $vgpr69_vgpr70
                                        ; implicit-def: $vgpr88
                                        ; implicit-def: $vgpr76
	s_cbranch_execz .LBB496_129
; %bb.147:
	s_and_saveexec_b32 s17, s13
	s_cbranch_execz .LBB496_149
; %bb.148:
	v_cmp_eq_u32_e32 vcc_lo, 0, v75
	s_mov_b32 s19, 0
	s_add_i32 s18, s15, 32
	v_dual_mov_b32 v70, 0 :: v_dual_add_nc_u32 v69, v85, v75
	v_dual_cndmask_b32 v66, 0, v68 :: v_dual_cndmask_b32 v65, 0, v67
	s_lshl_b64 s[20:21], s[18:19], 4
	v_dual_mov_b32 v76, s18 :: v_dual_mov_b32 v77, 2
	s_add_u32 s20, s38, s20
	s_delay_alu instid0(VALU_DEP_2)
	v_add_co_u32 v65, vcc_lo, v65, v63
	v_add_co_ci_u32_e32 v66, vcc_lo, v66, v64, vcc_lo
	s_addc_u32 s21, s39, s21
	s_clause 0x1
	global_store_b32 v70, v69, s[20:21]
	global_store_b64 v70, v[65:66], s[20:21] offset:8
	s_waitcnt lgkmcnt(0)
	s_waitcnt_vscnt null, 0x0
	buffer_gl1_inv
	buffer_gl0_inv
	global_store_b8 v76, v77, s[40:41]
	ds_store_b32 v70, v75 offset:4096
	ds_store_b64 v70, v[63:64] offset:4104
	ds_store_b32 v70, v85 offset:4112
	ds_store_b64 v70, v[67:68] offset:4120
.LBB496_149:
	s_or_b32 exec_lo, exec_lo, s17
	v_cmp_eq_u32_e32 vcc_lo, 0, v0
	s_and_b32 exec_lo, exec_lo, vcc_lo
	s_cbranch_execz .LBB496_151
; %bb.150:
	v_mov_b32_e32 v63, 0
	ds_store_b32 v63, v85 offset:4240
	ds_store_b64 v63, v[67:68] offset:4248
.LBB496_151:
	s_or_b32 exec_lo, exec_lo, s16
	s_waitcnt lgkmcnt(2)
	v_cndmask_b32_e64 v66, v74, v71, s13
	s_waitcnt lgkmcnt(0)
	s_waitcnt_vscnt null, 0x0
	s_barrier
	buffer_gl0_inv
	v_cndmask_b32_e64 v61, v73, v61, s13
	v_cmp_eq_u32_e32 vcc_lo, 0, v66
	v_mov_b32_e32 v65, 0
	v_cndmask_b32_e64 v62, v72, v62, s13
	ds_load_b64 v[63:64], v65 offset:4248
	s_waitcnt lgkmcnt(0)
	v_dual_cndmask_b32 v68, 0, v63 :: v_dual_cndmask_b32 v67, 0, v64
	s_delay_alu instid0(VALU_DEP_1) | instskip(NEXT) | instid1(VALU_DEP_2)
	v_add_co_u32 v61, vcc_lo, v68, v61
	v_add_co_ci_u32_e32 v62, vcc_lo, v67, v62, vcc_lo
	v_cmp_eq_u32_e32 vcc_lo, 0, v0
	v_cndmask_b32_e64 v66, v66, 0, vcc_lo
	s_delay_alu instid0(VALU_DEP_3)
	v_dual_cndmask_b32 v78, v62, v64 :: v_dual_cndmask_b32 v77, v61, v63
	v_cmp_eq_u32_e32 vcc_lo, 0, v113
	ds_load_b32 v64, v65 offset:4240
	s_waitcnt lgkmcnt(0)
	s_barrier
	buffer_gl0_inv
	v_dual_cndmask_b32 v62, 0, v77 :: v_dual_cndmask_b32 v61, 0, v78
	ds_load_b64 v[117:118], v65 offset:4104
	v_add_co_u32 v75, vcc_lo, v62, v53
	v_add_co_ci_u32_e32 v76, vcc_lo, v61, v54, vcc_lo
	s_delay_alu instid0(VALU_DEP_2) | instskip(NEXT) | instid1(VALU_DEP_2)
	v_cndmask_b32_e64 v61, 0, v75, s12
	v_cndmask_b32_e64 v62, 0, v76, s12
	s_delay_alu instid0(VALU_DEP_2) | instskip(NEXT) | instid1(VALU_DEP_2)
	v_add_co_u32 v81, vcc_lo, v61, v55
	v_add_co_ci_u32_e32 v82, vcc_lo, v62, v56, vcc_lo
	v_add_nc_u32_e32 v114, v64, v66
	s_delay_alu instid0(VALU_DEP_3) | instskip(NEXT) | instid1(VALU_DEP_3)
	v_cndmask_b32_e64 v61, 0, v81, s11
	v_cndmask_b32_e64 v62, 0, v82, s11
	s_delay_alu instid0(VALU_DEP_2) | instskip(NEXT) | instid1(VALU_DEP_2)
	v_add_co_u32 v85, vcc_lo, v61, v49
	v_add_co_ci_u32_e32 v86, vcc_lo, v62, v50, vcc_lo
	s_delay_alu instid0(VALU_DEP_2) | instskip(NEXT) | instid1(VALU_DEP_2)
	v_cndmask_b32_e64 v61, 0, v85, s10
	v_cndmask_b32_e64 v62, 0, v86, s10
	s_delay_alu instid0(VALU_DEP_2) | instskip(NEXT) | instid1(VALU_DEP_2)
	v_add_co_u32 v67, vcc_lo, v61, v51
	v_add_co_ci_u32_e32 v68, vcc_lo, v62, v52, vcc_lo
	s_delay_alu instid0(VALU_DEP_2) | instskip(NEXT) | instid1(VALU_DEP_2)
	v_cndmask_b32_e64 v61, 0, v67, s9
	v_cndmask_b32_e64 v62, 0, v68, s9
	s_delay_alu instid0(VALU_DEP_2) | instskip(NEXT) | instid1(VALU_DEP_2)
	v_add_co_u32 v71, vcc_lo, v61, v45
	v_add_co_ci_u32_e32 v72, vcc_lo, v62, v46, vcc_lo
	s_delay_alu instid0(VALU_DEP_2) | instskip(NEXT) | instid1(VALU_DEP_2)
	v_cndmask_b32_e64 v61, 0, v71, s8
	v_cndmask_b32_e64 v62, 0, v72, s8
	s_delay_alu instid0(VALU_DEP_2) | instskip(NEXT) | instid1(VALU_DEP_2)
	v_add_co_u32 v79, vcc_lo, v61, v47
	v_add_co_ci_u32_e32 v80, vcc_lo, v62, v48, vcc_lo
	s_delay_alu instid0(VALU_DEP_2) | instskip(NEXT) | instid1(VALU_DEP_2)
	v_cndmask_b32_e64 v61, 0, v79, s7
	v_cndmask_b32_e64 v62, 0, v80, s7
	s_delay_alu instid0(VALU_DEP_2) | instskip(NEXT) | instid1(VALU_DEP_2)
	v_add_co_u32 v83, vcc_lo, v61, v41
	v_add_co_ci_u32_e32 v84, vcc_lo, v62, v42, vcc_lo
	s_delay_alu instid0(VALU_DEP_2) | instskip(NEXT) | instid1(VALU_DEP_2)
	v_cndmask_b32_e64 v61, 0, v83, s6
	v_cndmask_b32_e64 v62, 0, v84, s6
	s_delay_alu instid0(VALU_DEP_2) | instskip(NEXT) | instid1(VALU_DEP_2)
	v_add_co_u32 v87, vcc_lo, v61, v43
	v_add_co_ci_u32_e32 v88, vcc_lo, v62, v44, vcc_lo
	s_delay_alu instid0(VALU_DEP_2) | instskip(NEXT) | instid1(VALU_DEP_2)
	v_cndmask_b32_e64 v61, 0, v87, s5
	v_cndmask_b32_e64 v62, 0, v88, s5
	s_delay_alu instid0(VALU_DEP_2) | instskip(NEXT) | instid1(VALU_DEP_2)
	v_add_co_u32 v69, vcc_lo, v61, v37
	v_add_co_ci_u32_e32 v70, vcc_lo, v62, v38, vcc_lo
	s_delay_alu instid0(VALU_DEP_2) | instskip(NEXT) | instid1(VALU_DEP_2)
	v_cndmask_b32_e64 v61, 0, v69, s4
	v_cndmask_b32_e64 v62, 0, v70, s4
	s_delay_alu instid0(VALU_DEP_2) | instskip(NEXT) | instid1(VALU_DEP_2)
	v_add_co_u32 v73, vcc_lo, v61, v39
	v_add_co_ci_u32_e32 v74, vcc_lo, v62, v40, vcc_lo
	ds_load_b32 v61, v65 offset:4096
	v_cndmask_b32_e64 v62, 0, v73, s3
	v_cndmask_b32_e64 v63, 0, v74, s3
	s_delay_alu instid0(VALU_DEP_2) | instskip(NEXT) | instid1(VALU_DEP_2)
	v_add_co_u32 v89, vcc_lo, v62, v33
	v_add_co_ci_u32_e32 v90, vcc_lo, v63, v34, vcc_lo
	ds_load_b64 v[62:63], v65 offset:4120
	v_cndmask_b32_e64 v91, 0, v89, s2
	ds_load_b32 v65, v65 offset:4112
	v_cndmask_b32_e64 v92, 0, v90, s2
	v_add_co_u32 v93, vcc_lo, v91, v35
	s_delay_alu instid0(VALU_DEP_2) | instskip(SKIP_2) | instid1(VALU_DEP_3)
	v_add_co_ci_u32_e32 v94, vcc_lo, v92, v36, vcc_lo
	s_waitcnt lgkmcnt(2)
	v_cmp_eq_u32_e32 vcc_lo, 0, v61
	v_cndmask_b32_e64 v91, 0, v93, s1
	s_delay_alu instid0(VALU_DEP_3) | instskip(NEXT) | instid1(VALU_DEP_2)
	v_cndmask_b32_e64 v92, 0, v94, s1
	v_add_co_u32 v91, s1, v91, v29
	s_delay_alu instid0(VALU_DEP_1) | instskip(SKIP_2) | instid1(VALU_DEP_3)
	v_add_co_ci_u32_e64 v92, s1, v92, v30, s1
	s_waitcnt lgkmcnt(1)
	v_dual_cndmask_b32 v119, 0, v63 :: v_dual_cndmask_b32 v62, 0, v62
	v_cndmask_b32_e64 v97, 0, v91, s0
	s_delay_alu instid0(VALU_DEP_3) | instskip(NEXT) | instid1(VALU_DEP_3)
	v_cndmask_b32_e64 v98, 0, v92, s0
	v_add_co_u32 v63, vcc_lo, v62, v117
	s_delay_alu instid0(VALU_DEP_4)
	v_add_co_ci_u32_e32 v64, vcc_lo, v119, v118, vcc_lo
	s_branch .LBB496_180
.LBB496_152:
                                        ; implicit-def: $vgpr61
                                        ; implicit-def: $vgpr63_vgpr64
                                        ; implicit-def: $vgpr65
                                        ; implicit-def: $vgpr77_vgpr78
                                        ; implicit-def: $vgpr75_vgpr76
                                        ; implicit-def: $vgpr81_vgpr82
                                        ; implicit-def: $vgpr85_vgpr86
                                        ; implicit-def: $vgpr67_vgpr68
                                        ; implicit-def: $vgpr71_vgpr72
                                        ; implicit-def: $vgpr79_vgpr80
                                        ; implicit-def: $vgpr83_vgpr84
                                        ; implicit-def: $vgpr87_vgpr88
                                        ; implicit-def: $vgpr69_vgpr70
                                        ; implicit-def: $vgpr73_vgpr74
                                        ; implicit-def: $vgpr89_vgpr90
                                        ; implicit-def: $vgpr93_vgpr94
                                        ; implicit-def: $vgpr91_vgpr92
                                        ; implicit-def: $vgpr97_vgpr98
                                        ; implicit-def: $vgpr114
	s_cbranch_execz .LBB496_180
; %bb.153:
	s_and_b32 s0, s14, exec_lo
	s_cselect_b32 s1, 0, s25
	s_cselect_b32 s0, 0, s24
	s_delay_alu instid0(SALU_CYCLE_1)
	s_cmp_eq_u64 s[0:1], 0
	s_cbranch_scc1 .LBB496_155
; %bb.154:
	v_mov_b32_e32 v61, 0
	global_load_b64 v[95:96], v61, s[0:1]
.LBB496_155:
	v_cmp_eq_u32_e64 s11, 0, v112
	v_cmp_eq_u32_e64 s10, 0, v111
	v_cmp_eq_u32_e64 s9, 0, v110
	v_cmp_eq_u32_e64 s8, 0, v109
	v_cmp_eq_u32_e64 s7, 0, v108
	v_cndmask_b32_e64 v62, 0, v53, s11
	v_cndmask_b32_e64 v61, 0, v54, s11
	v_cmp_eq_u32_e64 s6, 0, v107
	v_cmp_eq_u32_e64 s5, 0, v106
	;; [unrolled: 1-line block ×3, first 2 shown]
	v_add_co_u32 v62, vcc_lo, v62, v55
	v_add_co_ci_u32_e32 v61, vcc_lo, v61, v56, vcc_lo
	v_cmp_eq_u32_e64 s3, 0, v103
	s_delay_alu instid0(VALU_DEP_3) | instskip(SKIP_1) | instid1(VALU_DEP_4)
	v_cndmask_b32_e64 v62, 0, v62, s10
	v_cmp_eq_u32_e64 s2, 0, v102
	v_cndmask_b32_e64 v61, 0, v61, s10
	v_cmp_eq_u32_e64 s1, 0, v100
	v_add3_u32 v63, v116, v108, v107
	v_add_co_u32 v62, vcc_lo, v62, v49
	s_delay_alu instid0(VALU_DEP_4) | instskip(NEXT) | instid1(VALU_DEP_3)
	v_add_co_ci_u32_e32 v61, vcc_lo, v61, v50, vcc_lo
	v_add3_u32 v63, v63, v106, v104
	s_delay_alu instid0(VALU_DEP_3) | instskip(SKIP_1) | instid1(VALU_DEP_3)
	v_cndmask_b32_e64 v62, 0, v62, s9
	s_mov_b32 s13, exec_lo
	v_cndmask_b32_e64 v61, 0, v61, s9
	s_delay_alu instid0(VALU_DEP_3) | instskip(NEXT) | instid1(VALU_DEP_3)
	v_add3_u32 v63, v63, v103, v102
	v_add_co_u32 v62, vcc_lo, v62, v51
	s_delay_alu instid0(VALU_DEP_3) | instskip(NEXT) | instid1(VALU_DEP_3)
	v_add_co_ci_u32_e32 v61, vcc_lo, v61, v52, vcc_lo
	v_add3_u32 v63, v63, v101, v100
	s_delay_alu instid0(VALU_DEP_3) | instskip(NEXT) | instid1(VALU_DEP_3)
	v_cndmask_b32_e64 v62, 0, v62, s8
	v_cndmask_b32_e64 v61, 0, v61, s8
	s_delay_alu instid0(VALU_DEP_3) | instskip(NEXT) | instid1(VALU_DEP_3)
	v_add3_u32 v63, v63, v99, v105
	v_add_co_u32 v62, vcc_lo, v62, v45
	s_delay_alu instid0(VALU_DEP_3) | instskip(NEXT) | instid1(VALU_DEP_2)
	v_add_co_ci_u32_e32 v61, vcc_lo, v61, v46, vcc_lo
	v_cndmask_b32_e64 v62, 0, v62, s7
	s_delay_alu instid0(VALU_DEP_2) | instskip(NEXT) | instid1(VALU_DEP_2)
	v_cndmask_b32_e64 v61, 0, v61, s7
	v_add_co_u32 v62, vcc_lo, v62, v47
	s_delay_alu instid0(VALU_DEP_2) | instskip(NEXT) | instid1(VALU_DEP_2)
	v_add_co_ci_u32_e32 v61, vcc_lo, v61, v48, vcc_lo
	v_cndmask_b32_e64 v62, 0, v62, s6
	s_delay_alu instid0(VALU_DEP_2) | instskip(NEXT) | instid1(VALU_DEP_2)
	v_cndmask_b32_e64 v61, 0, v61, s6
	v_add_co_u32 v62, vcc_lo, v62, v41
	s_delay_alu instid0(VALU_DEP_2) | instskip(NEXT) | instid1(VALU_DEP_2)
	;; [unrolled: 6-line block ×5, first 2 shown]
	v_add_co_ci_u32_e32 v61, vcc_lo, v61, v40, vcc_lo
	v_cndmask_b32_e64 v62, 0, v62, s2
	s_delay_alu instid0(VALU_DEP_2) | instskip(NEXT) | instid1(VALU_DEP_2)
	v_cndmask_b32_e64 v61, 0, v61, s2
	v_add_co_u32 v62, vcc_lo, v62, v33
	s_delay_alu instid0(VALU_DEP_2) | instskip(SKIP_1) | instid1(VALU_DEP_2)
	v_add_co_ci_u32_e32 v61, vcc_lo, v61, v34, vcc_lo
	v_cmp_eq_u32_e32 vcc_lo, 0, v101
	v_dual_cndmask_b32 v61, 0, v61 :: v_dual_cndmask_b32 v62, 0, v62
	s_delay_alu instid0(VALU_DEP_1) | instskip(NEXT) | instid1(VALU_DEP_1)
	v_add_co_u32 v62, s0, v62, v35
	v_add_co_ci_u32_e64 v61, s0, v61, v36, s0
	s_delay_alu instid0(VALU_DEP_2) | instskip(NEXT) | instid1(VALU_DEP_2)
	v_cndmask_b32_e64 v62, 0, v62, s1
	v_cndmask_b32_e64 v61, 0, v61, s1
	s_delay_alu instid0(VALU_DEP_2) | instskip(NEXT) | instid1(VALU_DEP_1)
	v_add_co_u32 v62, s0, v62, v29
	v_add_co_ci_u32_e64 v61, s0, v61, v30, s0
	v_cmp_eq_u32_e64 s0, 0, v99
	s_delay_alu instid0(VALU_DEP_1) | instskip(NEXT) | instid1(VALU_DEP_3)
	v_cndmask_b32_e64 v62, 0, v62, s0
	v_cndmask_b32_e64 v61, 0, v61, s0
	s_delay_alu instid0(VALU_DEP_2) | instskip(NEXT) | instid1(VALU_DEP_1)
	v_add_co_u32 v62, s12, v62, v31
	v_add_co_ci_u32_e64 v61, s12, v61, v32, s12
	v_cmp_eq_u32_e64 s12, 0, v105
	s_delay_alu instid0(VALU_DEP_1) | instskip(NEXT) | instid1(VALU_DEP_3)
	v_cndmask_b32_e64 v62, 0, v62, s12
	v_cndmask_b32_e64 v61, 0, v61, s12
	s_delay_alu instid0(VALU_DEP_2) | instskip(NEXT) | instid1(VALU_DEP_1)
	v_add_co_u32 v59, s12, v62, v59
	v_add_co_ci_u32_e64 v60, s12, v61, v60, s12
	v_and_b32_e32 v61, 15, v115
	v_mov_b32_dpp v62, v63 row_shr:1 row_mask:0xf bank_mask:0xf
	s_delay_alu instid0(VALU_DEP_4)
	v_mov_b32_dpp v64, v59 row_shr:1 row_mask:0xf bank_mask:0xf
	s_waitcnt lgkmcnt(0)
	v_mov_b32_dpp v65, v60 row_shr:1 row_mask:0xf bank_mask:0xf
	v_cmpx_ne_u32_e32 0, v61
; %bb.156:
	v_cmp_eq_u32_e64 s12, 0, v63
	v_add_nc_u32_e32 v63, v62, v63
	s_delay_alu instid0(VALU_DEP_2) | instskip(SKIP_1) | instid1(VALU_DEP_2)
	v_cndmask_b32_e64 v64, 0, v64, s12
	v_cndmask_b32_e64 v65, 0, v65, s12
	v_add_co_u32 v59, s12, v64, v59
	s_delay_alu instid0(VALU_DEP_1)
	v_add_co_ci_u32_e64 v60, s12, v65, v60, s12
; %bb.157:
	s_or_b32 exec_lo, exec_lo, s13
	v_mov_b32_dpp v62, v63 row_shr:2 row_mask:0xf bank_mask:0xf
	s_delay_alu instid0(VALU_DEP_3) | instskip(NEXT) | instid1(VALU_DEP_3)
	v_mov_b32_dpp v64, v59 row_shr:2 row_mask:0xf bank_mask:0xf
	v_mov_b32_dpp v65, v60 row_shr:2 row_mask:0xf bank_mask:0xf
	s_mov_b32 s13, exec_lo
	v_cmpx_lt_u32_e32 1, v61
; %bb.158:
	v_cmp_eq_u32_e64 s12, 0, v63
	v_add_nc_u32_e32 v63, v62, v63
	s_delay_alu instid0(VALU_DEP_2) | instskip(SKIP_1) | instid1(VALU_DEP_2)
	v_cndmask_b32_e64 v64, 0, v64, s12
	v_cndmask_b32_e64 v65, 0, v65, s12
	v_add_co_u32 v59, s12, v64, v59
	s_delay_alu instid0(VALU_DEP_1)
	v_add_co_ci_u32_e64 v60, s12, v65, v60, s12
; %bb.159:
	s_or_b32 exec_lo, exec_lo, s13
	v_mov_b32_dpp v62, v63 row_shr:4 row_mask:0xf bank_mask:0xf
	s_delay_alu instid0(VALU_DEP_3) | instskip(NEXT) | instid1(VALU_DEP_3)
	v_mov_b32_dpp v64, v59 row_shr:4 row_mask:0xf bank_mask:0xf
	v_mov_b32_dpp v65, v60 row_shr:4 row_mask:0xf bank_mask:0xf
	s_mov_b32 s13, exec_lo
	v_cmpx_lt_u32_e32 3, v61
; %bb.160:
	v_cmp_eq_u32_e64 s12, 0, v63
	v_add_nc_u32_e32 v63, v62, v63
	s_delay_alu instid0(VALU_DEP_2) | instskip(SKIP_1) | instid1(VALU_DEP_2)
	v_cndmask_b32_e64 v64, 0, v64, s12
	v_cndmask_b32_e64 v65, 0, v65, s12
	v_add_co_u32 v59, s12, v64, v59
	s_delay_alu instid0(VALU_DEP_1)
	v_add_co_ci_u32_e64 v60, s12, v65, v60, s12
; %bb.161:
	s_or_b32 exec_lo, exec_lo, s13
	v_mov_b32_dpp v62, v63 row_shr:8 row_mask:0xf bank_mask:0xf
	s_delay_alu instid0(VALU_DEP_3) | instskip(NEXT) | instid1(VALU_DEP_3)
	v_mov_b32_dpp v64, v59 row_shr:8 row_mask:0xf bank_mask:0xf
	v_mov_b32_dpp v65, v60 row_shr:8 row_mask:0xf bank_mask:0xf
	s_mov_b32 s13, exec_lo
	v_cmpx_lt_u32_e32 7, v61
; %bb.162:
	v_cmp_eq_u32_e64 s12, 0, v63
	v_add_nc_u32_e32 v63, v62, v63
	s_delay_alu instid0(VALU_DEP_2) | instskip(SKIP_1) | instid1(VALU_DEP_2)
	v_cndmask_b32_e64 v64, 0, v64, s12
	v_cndmask_b32_e64 v61, 0, v65, s12
	v_add_co_u32 v59, s12, v64, v59
	s_delay_alu instid0(VALU_DEP_1)
	v_add_co_ci_u32_e64 v60, s12, v61, v60, s12
; %bb.163:
	s_or_b32 exec_lo, exec_lo, s13
	ds_swizzle_b32 v61, v63 offset:swizzle(BROADCAST,32,15)
	ds_swizzle_b32 v62, v59 offset:swizzle(BROADCAST,32,15)
	;; [unrolled: 1-line block ×3, first 2 shown]
	v_and_b32_e32 v65, 16, v115
	s_mov_b32 s13, exec_lo
	s_delay_alu instid0(VALU_DEP_1)
	v_cmpx_ne_u32_e32 0, v65
	s_cbranch_execz .LBB496_165
; %bb.164:
	v_cmp_eq_u32_e64 s12, 0, v63
	s_waitcnt lgkmcnt(2)
	v_add_nc_u32_e32 v63, v61, v63
	s_waitcnt lgkmcnt(1)
	s_delay_alu instid0(VALU_DEP_2) | instskip(SKIP_2) | instid1(VALU_DEP_2)
	v_cndmask_b32_e64 v62, 0, v62, s12
	s_waitcnt lgkmcnt(0)
	v_cndmask_b32_e64 v64, 0, v64, s12
	v_add_co_u32 v59, s12, v62, v59
	s_delay_alu instid0(VALU_DEP_1)
	v_add_co_ci_u32_e64 v60, s12, v64, v60, s12
.LBB496_165:
	s_or_b32 exec_lo, exec_lo, s13
	s_waitcnt lgkmcnt(2)
	v_or_b32_e32 v61, 31, v0
	s_waitcnt lgkmcnt(0)
	v_lshrrev_b32_e32 v64, 5, v0
	s_mov_b32 s13, exec_lo
	s_delay_alu instid0(VALU_DEP_2)
	v_cmpx_eq_u32_e64 v61, v0
	s_cbranch_execz .LBB496_167
; %bb.166:
	s_delay_alu instid0(VALU_DEP_2)
	v_lshlrev_b32_e32 v61, 4, v64
	ds_store_b32 v61, v63 offset:4128
	ds_store_b64 v61, v[59:60] offset:4136
.LBB496_167:
	s_or_b32 exec_lo, exec_lo, s13
	s_delay_alu instid0(SALU_CYCLE_1)
	s_mov_b32 s13, exec_lo
	s_waitcnt vmcnt(0) lgkmcnt(0)
	s_barrier
	buffer_gl0_inv
	v_cmpx_gt_u32_e32 8, v0
	s_cbranch_execz .LBB496_175
; %bb.168:
	v_lshlrev_b32_e32 v65, 4, v0
	v_and_b32_e32 v67, 7, v115
	s_mov_b32 s15, exec_lo
	ds_load_b32 v66, v65 offset:4128
	ds_load_b64 v[61:62], v65 offset:4136
	s_waitcnt lgkmcnt(1)
	v_mov_b32_dpp v68, v66 row_shr:1 row_mask:0xf bank_mask:0xf
	s_waitcnt lgkmcnt(0)
	v_mov_b32_dpp v69, v61 row_shr:1 row_mask:0xf bank_mask:0xf
	v_mov_b32_dpp v70, v62 row_shr:1 row_mask:0xf bank_mask:0xf
	v_cmpx_ne_u32_e32 0, v67
; %bb.169:
	v_cmp_eq_u32_e64 s12, 0, v66
	v_add_nc_u32_e32 v66, v68, v66
	s_delay_alu instid0(VALU_DEP_2) | instskip(SKIP_1) | instid1(VALU_DEP_2)
	v_cndmask_b32_e64 v69, 0, v69, s12
	v_cndmask_b32_e64 v70, 0, v70, s12
	v_add_co_u32 v61, s12, v69, v61
	s_delay_alu instid0(VALU_DEP_1)
	v_add_co_ci_u32_e64 v62, s12, v70, v62, s12
; %bb.170:
	s_or_b32 exec_lo, exec_lo, s15
	v_mov_b32_dpp v68, v66 row_shr:2 row_mask:0xf bank_mask:0xf
	s_delay_alu instid0(VALU_DEP_3) | instskip(NEXT) | instid1(VALU_DEP_3)
	v_mov_b32_dpp v69, v61 row_shr:2 row_mask:0xf bank_mask:0xf
	v_mov_b32_dpp v70, v62 row_shr:2 row_mask:0xf bank_mask:0xf
	s_mov_b32 s15, exec_lo
	v_cmpx_lt_u32_e32 1, v67
; %bb.171:
	v_cmp_eq_u32_e64 s12, 0, v66
	v_add_nc_u32_e32 v66, v68, v66
	s_delay_alu instid0(VALU_DEP_2) | instskip(SKIP_1) | instid1(VALU_DEP_2)
	v_cndmask_b32_e64 v69, 0, v69, s12
	v_cndmask_b32_e64 v70, 0, v70, s12
	v_add_co_u32 v61, s12, v69, v61
	s_delay_alu instid0(VALU_DEP_1)
	v_add_co_ci_u32_e64 v62, s12, v70, v62, s12
; %bb.172:
	s_or_b32 exec_lo, exec_lo, s15
	v_mov_b32_dpp v68, v66 row_shr:4 row_mask:0xf bank_mask:0xf
	s_delay_alu instid0(VALU_DEP_3) | instskip(NEXT) | instid1(VALU_DEP_3)
	v_mov_b32_dpp v69, v61 row_shr:4 row_mask:0xf bank_mask:0xf
	v_mov_b32_dpp v70, v62 row_shr:4 row_mask:0xf bank_mask:0xf
	s_mov_b32 s15, exec_lo
	v_cmpx_lt_u32_e32 3, v67
; %bb.173:
	v_cmp_eq_u32_e64 s12, 0, v66
	v_add_nc_u32_e32 v66, v68, v66
	s_delay_alu instid0(VALU_DEP_2) | instskip(SKIP_1) | instid1(VALU_DEP_2)
	v_cndmask_b32_e64 v69, 0, v69, s12
	v_cndmask_b32_e64 v67, 0, v70, s12
	v_add_co_u32 v61, s12, v69, v61
	s_delay_alu instid0(VALU_DEP_1)
	v_add_co_ci_u32_e64 v62, s12, v67, v62, s12
; %bb.174:
	s_or_b32 exec_lo, exec_lo, s15
	ds_store_b32 v65, v66 offset:4128
	ds_store_b64 v65, v[61:62] offset:4136
.LBB496_175:
	s_or_b32 exec_lo, exec_lo, s13
	v_dual_mov_b32 v65, 0 :: v_dual_mov_b32 v66, 0
	v_dual_mov_b32 v61, v95 :: v_dual_mov_b32 v62, v96
	s_mov_b32 s13, exec_lo
	s_waitcnt lgkmcnt(0)
	s_barrier
	buffer_gl0_inv
	v_cmpx_lt_u32_e32 31, v0
	s_cbranch_execz .LBB496_177
; %bb.176:
	v_lshlrev_b32_e32 v61, 4, v64
	ds_load_b32 v66, v61 offset:4112
	ds_load_b64 v[61:62], v61 offset:4120
	s_waitcnt lgkmcnt(1)
	v_cmp_eq_u32_e64 s12, 0, v66
	s_delay_alu instid0(VALU_DEP_1) | instskip(SKIP_2) | instid1(VALU_DEP_2)
	v_cndmask_b32_e64 v67, 0, v95, s12
	v_cndmask_b32_e64 v64, 0, v96, s12
	s_waitcnt lgkmcnt(0)
	v_add_co_u32 v61, s12, v67, v61
	s_delay_alu instid0(VALU_DEP_1)
	v_add_co_ci_u32_e64 v62, s12, v64, v62, s12
.LBB496_177:
	s_or_b32 exec_lo, exec_lo, s13
	v_add_nc_u32_e32 v64, -1, v115
	v_cmp_eq_u32_e64 s12, 0, v63
	v_add_nc_u32_e32 v63, v66, v63
	s_delay_alu instid0(VALU_DEP_3) | instskip(NEXT) | instid1(VALU_DEP_3)
	v_cmp_gt_i32_e64 s13, 0, v64
	v_cndmask_b32_e64 v68, 0, v61, s12
	v_cndmask_b32_e64 v67, 0, v62, s12
	s_delay_alu instid0(VALU_DEP_3) | instskip(NEXT) | instid1(VALU_DEP_3)
	v_cndmask_b32_e64 v64, v64, v115, s13
	v_add_co_u32 v59, s12, v68, v59
	s_delay_alu instid0(VALU_DEP_1) | instskip(NEXT) | instid1(VALU_DEP_3)
	v_add_co_ci_u32_e64 v60, s12, v67, v60, s12
	v_lshlrev_b32_e32 v64, 2, v64
	v_cmp_eq_u32_e64 s12, 0, v115
	v_cmp_eq_u32_e64 s13, 0, v113
	ds_bpermute_b32 v63, v64, v63
	ds_bpermute_b32 v60, v64, v60
	;; [unrolled: 1-line block ×3, first 2 shown]
	s_waitcnt lgkmcnt(2)
	v_cndmask_b32_e64 v114, v63, v66, s12
	s_waitcnt lgkmcnt(1)
	v_cndmask_b32_e64 v78, v60, v62, s12
	;; [unrolled: 2-line block ×3, first 2 shown]
	v_cmp_eq_u32_e64 s12, 0, v0
	ds_load_b32 v61, v65 offset:4240
	v_cndmask_b32_e64 v59, v77, v95, s12
	v_cndmask_b32_e64 v60, v78, v96, s12
	s_delay_alu instid0(VALU_DEP_2) | instskip(NEXT) | instid1(VALU_DEP_2)
	v_cndmask_b32_e64 v59, 0, v59, s13
	v_cndmask_b32_e64 v60, 0, v60, s13
	s_delay_alu instid0(VALU_DEP_2) | instskip(NEXT) | instid1(VALU_DEP_1)
	v_add_co_u32 v75, s13, v59, v53
	v_add_co_ci_u32_e64 v76, s13, v60, v54, s13
	s_delay_alu instid0(VALU_DEP_2) | instskip(NEXT) | instid1(VALU_DEP_2)
	v_cndmask_b32_e64 v53, 0, v75, s11
	v_cndmask_b32_e64 v54, 0, v76, s11
	s_delay_alu instid0(VALU_DEP_2) | instskip(NEXT) | instid1(VALU_DEP_1)
	v_add_co_u32 v81, s11, v53, v55
	v_add_co_ci_u32_e64 v82, s11, v54, v56, s11
	;; [unrolled: 6-line block ×11, first 2 shown]
	ds_load_b64 v[33:34], v65 offset:4248
	v_dual_cndmask_b32 v37, 0, v89 :: v_dual_cndmask_b32 v38, 0, v90
	s_delay_alu instid0(VALU_DEP_1) | instskip(NEXT) | instid1(VALU_DEP_2)
	v_add_co_u32 v93, vcc_lo, v37, v35
	v_add_co_ci_u32_e32 v94, vcc_lo, v38, v36, vcc_lo
	s_waitcnt lgkmcnt(1)
	v_cmp_eq_u32_e32 vcc_lo, 0, v61
	s_delay_alu instid0(VALU_DEP_3) | instskip(NEXT) | instid1(VALU_DEP_3)
	v_cndmask_b32_e64 v35, 0, v93, s1
	v_cndmask_b32_e64 v36, 0, v94, s1
	s_delay_alu instid0(VALU_DEP_2) | instskip(NEXT) | instid1(VALU_DEP_1)
	v_add_co_u32 v91, s1, v35, v29
	v_add_co_ci_u32_e64 v92, s1, v36, v30, s1
	v_dual_cndmask_b32 v29, 0, v96 :: v_dual_cndmask_b32 v30, 0, v95
	s_delay_alu instid0(VALU_DEP_3) | instskip(NEXT) | instid1(VALU_DEP_3)
	v_cndmask_b32_e64 v97, 0, v91, s0
	v_cndmask_b32_e64 v98, 0, v92, s0
	s_waitcnt lgkmcnt(0)
	s_delay_alu instid0(VALU_DEP_3)
	v_add_co_u32 v63, vcc_lo, v30, v33
	v_add_co_ci_u32_e32 v64, vcc_lo, v29, v34, vcc_lo
	s_and_saveexec_b32 s0, s12
	s_cbranch_execz .LBB496_179
; %bb.178:
	v_dual_mov_b32 v114, 0 :: v_dual_mov_b32 v29, 2
	v_dual_mov_b32 v77, v95 :: v_dual_mov_b32 v78, v96
	s_clause 0x1
	global_store_b32 v114, v61, s[38:39] offset:512
	global_store_b64 v114, v[63:64], s[38:39] offset:520
	s_waitcnt_vscnt null, 0x0
	buffer_gl1_inv
	buffer_gl0_inv
	global_store_b8 v114, v29, s[40:41] offset:32
.LBB496_179:
	s_or_b32 exec_lo, exec_lo, s0
	v_mov_b32_e32 v65, 0
.LBB496_180:
	v_mov_b32_e32 v29, 0
	s_and_b32 s0, s14, exec_lo
	v_mov_b32_e32 v30, 0
	s_cselect_b32 s1, 0, s51
	s_cselect_b32 s0, 0, s50
	s_waitcnt lgkmcnt(0)
	s_waitcnt_vscnt null, 0x0
	s_cmp_eq_u64 s[0:1], 0
	s_barrier
	buffer_gl0_inv
	s_cbranch_scc1 .LBB496_182
; %bb.181:
	v_mov_b32_e32 v29, 0
	global_load_b64 v[29:30], v29, s[0:1]
.LBB496_182:
	v_cmp_eq_u32_e32 vcc_lo, 0, v113
	v_add_nc_u32_e32 v48, v114, v113
	v_cmp_ne_u32_e64 s12, 0, v113
	v_cmp_ne_u32_e64 s11, 0, v112
	;; [unrolled: 1-line block ×3, first 2 shown]
	v_cndmask_b32_e64 v33, 1, 2, vcc_lo
	v_cmp_eq_u32_e32 vcc_lo, 0, v112
	v_add_nc_u32_e32 v50, v48, v112
	v_cmp_ne_u32_e64 s8, 0, v110
	v_cmp_ne_u32_e64 s14, 0, v109
	;; [unrolled: 1-line block ×3, first 2 shown]
	v_cndmask_b32_e64 v34, 1, 2, vcc_lo
	v_cmp_eq_u32_e32 vcc_lo, 0, v111
	v_add_nc_u32_e32 v49, v50, v111
	v_cmp_ne_u32_e64 s10, 0, v107
	s_delay_alu instid0(VALU_DEP_4)
	v_dual_mov_b32 v66, 0 :: v_dual_and_b32 v33, v34, v33
	v_cndmask_b32_e64 v35, 1, 2, vcc_lo
	v_cmp_eq_u32_e32 vcc_lo, 0, v110
	v_add_nc_u32_e32 v47, v49, v110
	v_cmp_ne_u32_e64 s7, 0, v106
	v_cmp_ne_u32_e64 s6, 0, v104
	v_and_b32_e32 v35, v33, v35
	v_cndmask_b32_e64 v36, 1, 2, vcc_lo
	v_cmp_eq_u32_e32 vcc_lo, 0, v109
	v_add_nc_u32_e32 v46, v47, v109
	s_waitcnt vmcnt(0)
	v_lshlrev_b64 v[33:34], 3, v[29:30]
	v_cmp_ne_u32_e64 s5, 0, v103
	v_and_b32_e32 v35, v35, v36
	v_cndmask_b32_e64 v37, 1, 2, vcc_lo
	v_cmp_eq_u32_e32 vcc_lo, 0, v108
	v_add_nc_u32_e32 v45, v46, v108
	v_cmp_ne_u32_e64 s4, 0, v102
	v_cmp_ne_u32_e64 s3, 0, v101
	v_and_b32_e32 v35, v35, v37
	v_cndmask_b32_e64 v36, 1, 2, vcc_lo
	v_cmp_eq_u32_e32 vcc_lo, 0, v107
	v_add_nc_u32_e32 v44, v45, v107
	v_cmp_ne_u32_e64 s2, 0, v100
	;; [unrolled: 6-line block ×3, first 2 shown]
	s_mov_b32 s16, -1
	v_and_b32_e32 v35, v35, v37
	v_cndmask_b32_e64 v36, 1, 2, vcc_lo
	v_cmp_eq_u32_e32 vcc_lo, 0, v104
	v_add_nc_u32_e32 v42, v43, v104
	s_delay_alu instid0(VALU_DEP_3) | instskip(SKIP_2) | instid1(VALU_DEP_4)
	v_and_b32_e32 v35, v35, v36
	v_cndmask_b32_e64 v37, 1, 2, vcc_lo
	v_cmp_eq_u32_e32 vcc_lo, 0, v103
	v_add_nc_u32_e32 v41, v42, v103
	s_delay_alu instid0(VALU_DEP_3) | instskip(SKIP_2) | instid1(VALU_DEP_4)
	v_and_b32_e32 v35, v35, v37
	v_cndmask_b32_e64 v36, 1, 2, vcc_lo
	v_cmp_eq_u32_e32 vcc_lo, 0, v102
	v_add_nc_u32_e32 v40, v41, v102
	s_delay_alu instid0(VALU_DEP_3) | instskip(SKIP_3) | instid1(VALU_DEP_3)
	v_and_b32_e32 v39, v35, v36
	v_cndmask_b32_e64 v37, 1, 2, vcc_lo
	v_cmp_eq_u32_e32 vcc_lo, 0, v101
	v_lshlrev_b64 v[35:36], 3, v[65:66]
	v_and_b32_e32 v37, v39, v37
	v_cndmask_b32_e64 v38, 1, 2, vcc_lo
	v_cmp_eq_u32_e32 vcc_lo, 0, v100
	v_add_nc_u32_e32 v39, v40, v101
	s_delay_alu instid0(VALU_DEP_3) | instskip(SKIP_3) | instid1(VALU_DEP_3)
	v_and_b32_e32 v54, v37, v38
	v_cndmask_b32_e64 v53, 1, 2, vcc_lo
	v_add_co_u32 v51, vcc_lo, s26, v33
	v_add_co_ci_u32_e32 v52, vcc_lo, s27, v34, vcc_lo
	v_and_b32_e32 v53, v54, v53
	s_delay_alu instid0(VALU_DEP_3) | instskip(NEXT) | instid1(VALU_DEP_3)
	v_add_co_u32 v51, vcc_lo, v51, v35
	v_add_co_ci_u32_e32 v52, vcc_lo, v52, v36, vcc_lo
	v_cmp_eq_u32_e32 vcc_lo, 0, v99
	v_add_nc_u32_e32 v38, v39, v100
	v_cndmask_b32_e64 v54, 1, 2, vcc_lo
	v_cmp_eq_u32_e32 vcc_lo, 0, v105
	s_delay_alu instid0(VALU_DEP_3) | instskip(NEXT) | instid1(VALU_DEP_3)
	v_add_nc_u32_e32 v37, v38, v99
	v_and_b32_e32 v53, v53, v54
	v_cndmask_b32_e64 v54, 1, 2, vcc_lo
	v_cmp_gt_u32_e32 vcc_lo, 0x100, v61
	s_delay_alu instid0(VALU_DEP_2) | instskip(NEXT) | instid1(VALU_DEP_1)
	v_and_b32_e32 v53, v53, v54
	v_cmp_gt_i16_e64 s15, 2, v53
	s_cbranch_vccz .LBB496_189
; %bb.183:
	s_delay_alu instid0(VALU_DEP_1)
	s_and_saveexec_b32 s16, s15
	s_cbranch_execz .LBB496_188
; %bb.184:
	s_mov_b32 s17, 0
	s_mov_b32 s15, exec_lo
	v_cmpx_ne_u16_e32 1, v53
	s_xor_b32 s15, exec_lo, s15
	s_cbranch_execnz .LBB496_221
; %bb.185:
	s_and_not1_saveexec_b32 s15, s15
	s_cbranch_execnz .LBB496_237
.LBB496_186:
	s_or_b32 exec_lo, exec_lo, s15
	s_delay_alu instid0(SALU_CYCLE_1)
	s_and_b32 exec_lo, exec_lo, s17
	s_cbranch_execz .LBB496_188
.LBB496_187:
	v_sub_nc_u32_e32 v54, v37, v65
	v_mov_b32_e32 v55, 0
	s_delay_alu instid0(VALU_DEP_1) | instskip(NEXT) | instid1(VALU_DEP_1)
	v_lshlrev_b64 v[54:55], 3, v[54:55]
	v_add_co_u32 v54, vcc_lo, v51, v54
	s_delay_alu instid0(VALU_DEP_2)
	v_add_co_ci_u32_e32 v55, vcc_lo, v52, v55, vcc_lo
	global_store_b64 v[54:55], v[57:58], off
.LBB496_188:
	s_or_b32 exec_lo, exec_lo, s16
	s_mov_b32 s16, 0
.LBB496_189:
	s_delay_alu instid0(SALU_CYCLE_1)
	s_and_b32 vcc_lo, exec_lo, s16
	s_cbranch_vccz .LBB496_199
; %bb.190:
	s_mov_b32 s15, exec_lo
	v_cmpx_gt_i16_e32 2, v53
	s_cbranch_execz .LBB496_195
; %bb.191:
	s_mov_b32 s17, 0
	s_mov_b32 s16, exec_lo
	v_cmpx_ne_u16_e32 1, v53
	s_xor_b32 s16, exec_lo, s16
	s_cbranch_execnz .LBB496_238
; %bb.192:
	s_and_not1_saveexec_b32 s0, s16
	s_cbranch_execnz .LBB496_254
.LBB496_193:
	s_or_b32 exec_lo, exec_lo, s0
	s_delay_alu instid0(SALU_CYCLE_1)
	s_and_b32 exec_lo, exec_lo, s17
	s_cbranch_execz .LBB496_195
.LBB496_194:
	v_sub_nc_u32_e32 v1, v37, v65
	s_delay_alu instid0(VALU_DEP_1)
	v_lshlrev_b32_e32 v1, 3, v1
	ds_store_b64 v1, v[57:58]
.LBB496_195:
	s_or_b32 exec_lo, exec_lo, s15
	s_delay_alu instid0(SALU_CYCLE_1)
	s_mov_b32 s1, exec_lo
	s_waitcnt lgkmcnt(0)
	s_waitcnt_vscnt null, 0x0
	s_barrier
	buffer_gl0_inv
	v_cmpx_lt_u32_e64 v0, v61
	s_cbranch_execz .LBB496_198
; %bb.196:
	v_dual_mov_b32 v2, 0 :: v_dual_lshlrev_b32 v3, 3, v0
	v_mov_b32_e32 v1, v0
	s_mov_b32 s2, 0
	.p2align	6
.LBB496_197:                            ; =>This Inner Loop Header: Depth=1
	ds_load_b64 v[4:5], v3
	v_lshlrev_b64 v[6:7], 3, v[1:2]
	v_add_nc_u32_e32 v1, 0x100, v1
	v_add_nc_u32_e32 v3, 0x800, v3
	s_delay_alu instid0(VALU_DEP_2) | instskip(NEXT) | instid1(VALU_DEP_4)
	v_cmp_ge_u32_e32 vcc_lo, v1, v61
	v_add_co_u32 v6, s0, v51, v6
	s_delay_alu instid0(VALU_DEP_1)
	v_add_co_ci_u32_e64 v7, s0, v52, v7, s0
	s_or_b32 s2, vcc_lo, s2
	s_waitcnt lgkmcnt(0)
	global_store_b64 v[6:7], v[4:5], off
	s_and_not1_b32 exec_lo, exec_lo, s2
	s_cbranch_execnz .LBB496_197
.LBB496_198:
	s_or_b32 exec_lo, exec_lo, s1
.LBB496_199:
	v_add_co_u32 v1, vcc_lo, v97, v31
	s_cmpk_lg_i32 s33, 0xf00
	v_add_co_ci_u32_e32 v2, vcc_lo, v98, v32, vcc_lo
	s_cselect_b32 s0, -1, 0
	v_cmp_eq_u32_e32 vcc_lo, 0, v0
	s_and_b32 s0, s23, s0
	v_cndmask_b32_e64 v8, 0, 1, s44
	v_mad_i32_i24 v5, v0, -15, s33
	v_cndmask_b32_e64 v4, 0, 1, s0
	s_mul_hi_u32 s0, s33, 0x88888889
	s_and_b32 s1, vcc_lo, s44
	s_lshr_b32 s0, s0, 3
	v_sub_nc_u32_e32 v3, v61, v8
	v_cndmask_b32_e64 v6, v113, 0, s1
	v_cmp_eq_u32_e32 vcc_lo, s0, v0
	v_cmp_ne_u32_e64 s0, 0, v5
	s_mov_b32 s16, -1
	s_waitcnt_vscnt null, 0x0
	s_barrier
	s_and_b32 vcc_lo, s23, vcc_lo
	v_add_nc_u32_e32 v3, v3, v4
	v_cndmask_b32_e64 v4, 1, v6, s0
	v_cmp_ne_u32_e64 s0, 1, v5
	buffer_gl0_inv
	v_cndmask_b32_e64 v7, 1, v112, s0
	v_cmp_ne_u32_e64 s0, 14, v5
	s_delay_alu instid0(VALU_DEP_1) | instskip(SKIP_1) | instid1(VALU_DEP_2)
	v_cndmask_b32_e64 v9, 1, v105, s0
	v_cmp_ne_u32_e64 s0, 2, v5
	v_cndmask_b32_e32 v12, v105, v9, vcc_lo
	s_delay_alu instid0(VALU_DEP_2) | instskip(SKIP_1) | instid1(VALU_DEP_2)
	v_cndmask_b32_e64 v10, 1, v111, s0
	v_cmp_ne_u32_e64 s0, 3, v5
	v_dual_cndmask_b32 v9, v6, v4 :: v_dual_cndmask_b32 v10, v111, v10
	s_delay_alu instid0(VALU_DEP_2) | instskip(SKIP_1) | instid1(VALU_DEP_3)
	v_cndmask_b32_e64 v11, 1, v110, s0
	v_cmp_ne_u32_e64 s0, 4, v5
	v_cmp_ne_u32_e64 s14, 0, v9
	s_delay_alu instid0(VALU_DEP_4) | instskip(NEXT) | instid1(VALU_DEP_3)
	v_cmp_ne_u32_e64 s12, 0, v10
	v_cndmask_b32_e64 v4, 1, v109, s0
	v_cmp_ne_u32_e64 s0, 5, v5
	s_delay_alu instid0(VALU_DEP_2) | instskip(NEXT) | instid1(VALU_DEP_2)
	v_dual_cndmask_b32 v13, v112, v7 :: v_dual_cndmask_b32 v18, v109, v4
	v_cndmask_b32_e64 v6, 1, v108, s0
	v_cmp_eq_u32_e64 s0, 0, v9
	s_delay_alu instid0(VALU_DEP_3) | instskip(NEXT) | instid1(VALU_DEP_4)
	v_cmp_ne_u32_e64 s13, 0, v13
	v_cmp_ne_u32_e64 s10, 0, v18
	s_delay_alu instid0(VALU_DEP_4) | instskip(NEXT) | instid1(VALU_DEP_4)
	v_cndmask_b32_e32 v19, v108, v6, vcc_lo
	v_cndmask_b32_e64 v7, 1, 2, s0
	v_cmp_eq_u32_e64 s0, 0, v13
	s_delay_alu instid0(VALU_DEP_1) | instskip(SKIP_1) | instid1(VALU_DEP_2)
	v_cndmask_b32_e64 v14, 1, 2, s0
	v_cmp_ne_u32_e64 s0, 6, v5
	v_and_b32_e32 v7, v14, v7
	s_delay_alu instid0(VALU_DEP_2) | instskip(SKIP_1) | instid1(VALU_DEP_2)
	v_cndmask_b32_e64 v15, 1, v107, s0
	v_cmp_eq_u32_e64 s0, 0, v10
	v_cndmask_b32_e32 v15, v107, v15, vcc_lo
	s_delay_alu instid0(VALU_DEP_2) | instskip(SKIP_1) | instid1(VALU_DEP_1)
	v_cndmask_b32_e64 v14, 1, 2, s0
	v_cmp_ne_u32_e64 s0, 7, v5
	v_cndmask_b32_e64 v16, 1, v106, s0
	v_cmp_ne_u32_e64 s0, 8, v5
	s_delay_alu instid0(VALU_DEP_2) | instskip(SKIP_1) | instid1(VALU_DEP_3)
	v_dual_cndmask_b32 v16, v106, v16 :: v_dual_and_b32 v7, v7, v14
	v_cndmask_b32_e32 v11, v110, v11, vcc_lo
	v_cndmask_b32_e64 v17, 1, v104, s0
	s_delay_alu instid0(VALU_DEP_3) | instskip(NEXT) | instid1(VALU_DEP_3)
	v_cmp_ne_u32_e64 s7, 0, v16
	v_cmp_eq_u32_e64 s0, 0, v11
	s_delay_alu instid0(VALU_DEP_3) | instskip(NEXT) | instid1(VALU_DEP_2)
	v_cndmask_b32_e32 v17, v104, v17, vcc_lo
	v_cndmask_b32_e64 v14, 1, 2, s0
	v_cmp_ne_u32_e64 s0, 9, v5
	s_delay_alu instid0(VALU_DEP_3) | instskip(NEXT) | instid1(VALU_DEP_3)
	v_cmp_ne_u32_e64 s6, 0, v17
	v_and_b32_e32 v6, v7, v14
	s_delay_alu instid0(VALU_DEP_3) | instskip(SKIP_2) | instid1(VALU_DEP_3)
	v_cndmask_b32_e64 v4, 1, v103, s0
	v_cmp_eq_u32_e64 s0, 0, v18
	v_cmp_ne_u32_e64 s11, 0, v11
	v_cndmask_b32_e32 v23, v103, v4, vcc_lo
	s_delay_alu instid0(VALU_DEP_3) | instskip(SKIP_1) | instid1(VALU_DEP_3)
	v_cndmask_b32_e64 v7, 1, 2, s0
	v_cmp_ne_u32_e64 s0, 10, v5
	v_cmp_ne_u32_e64 s5, 0, v23
	s_delay_alu instid0(VALU_DEP_3) | instskip(NEXT) | instid1(VALU_DEP_3)
	v_and_b32_e32 v6, v6, v7
	v_cndmask_b32_e64 v14, 1, v102, s0
	v_cmp_ne_u32_e64 s0, 12, v5
	v_cmp_ne_u32_e64 s9, 0, v19
	s_delay_alu instid0(VALU_DEP_3) | instskip(NEXT) | instid1(VALU_DEP_3)
	v_cndmask_b32_e32 v14, v102, v14, vcc_lo
	v_cndmask_b32_e64 v20, 1, v100, s0
	v_cmp_eq_u32_e64 s0, 0, v19
	s_delay_alu instid0(VALU_DEP_3) | instskip(NEXT) | instid1(VALU_DEP_3)
	v_cmp_ne_u32_e64 s4, 0, v14
	v_cndmask_b32_e32 v20, v100, v20, vcc_lo
	s_delay_alu instid0(VALU_DEP_3) | instskip(SKIP_1) | instid1(VALU_DEP_3)
	v_cndmask_b32_e64 v7, 1, 2, s0
	v_cmp_ne_u32_e64 s0, 13, v5
	v_cmp_ne_u32_e64 s2, 0, v20
	s_delay_alu instid0(VALU_DEP_2) | instskip(SKIP_1) | instid1(VALU_DEP_2)
	v_cndmask_b32_e64 v21, 1, v99, s0
	v_cmp_eq_u32_e64 s0, 0, v15
	v_dual_cndmask_b32 v21, v99, v21 :: v_dual_and_b32 v6, v6, v7
	s_delay_alu instid0(VALU_DEP_2) | instskip(SKIP_1) | instid1(VALU_DEP_3)
	v_cndmask_b32_e64 v7, 1, 2, s0
	v_cmp_ne_u32_e64 s0, 11, v5
	v_cmp_ne_u32_e64 s1, 0, v21
	s_delay_alu instid0(VALU_DEP_3) | instskip(NEXT) | instid1(VALU_DEP_3)
	v_and_b32_e32 v6, v6, v7
	v_cndmask_b32_e64 v5, 1, v101, s0
	v_cmp_eq_u32_e64 s0, 0, v16
	s_delay_alu instid0(VALU_DEP_2) | instskip(NEXT) | instid1(VALU_DEP_2)
	v_cndmask_b32_e32 v22, v101, v5, vcc_lo
	v_cndmask_b32_e64 v7, 1, 2, s0
	v_cmp_eq_u32_e32 vcc_lo, 0, v17
	v_cmp_ne_u32_e64 s8, 0, v15
	v_cmp_ne_u32_e64 s0, 0, v12
	;; [unrolled: 1-line block ×3, first 2 shown]
	v_and_b32_e32 v4, v6, v7
	v_cndmask_b32_e64 v5, 1, 2, vcc_lo
	v_add_co_u32 v6, vcc_lo, s28, v33
	v_add_co_ci_u32_e32 v7, vcc_lo, s29, v34, vcc_lo
	v_cmp_eq_u32_e32 vcc_lo, 0, v23
	s_delay_alu instid0(VALU_DEP_4)
	v_and_b32_e32 v24, v4, v5
	v_cndmask_b32_e64 v25, 1, 2, vcc_lo
	v_add_co_u32 v4, vcc_lo, v6, v35
	v_add_co_ci_u32_e32 v5, vcc_lo, v7, v36, vcc_lo
	v_lshlrev_b32_e32 v6, 3, v8
	v_cmp_eq_u32_e32 vcc_lo, 0, v14
	v_and_b32_e32 v7, v24, v25
	v_add_nc_u32_e32 v8, v65, v8
	v_cndmask_b32_e64 v24, 1, 2, vcc_lo
	v_add_co_u32 v6, vcc_lo, v6, v4
	v_add_co_ci_u32_e32 v25, vcc_lo, 0, v5, vcc_lo
	v_cmp_eq_u32_e32 vcc_lo, 0, v22
	s_delay_alu instid0(VALU_DEP_4) | instskip(SKIP_4) | instid1(VALU_DEP_4)
	v_and_b32_e32 v24, v7, v24
	v_cndmask_b32_e64 v26, 1, 2, vcc_lo
	v_add_co_u32 v6, vcc_lo, v6, -8
	v_add_co_ci_u32_e32 v7, vcc_lo, -1, v25, vcc_lo
	v_cmp_eq_u32_e32 vcc_lo, 0, v20
	v_and_b32_e32 v24, v24, v26
	v_cndmask_b32_e64 v25, 1, 2, vcc_lo
	v_cmp_eq_u32_e32 vcc_lo, 0, v21
	s_delay_alu instid0(VALU_DEP_2) | instskip(SKIP_2) | instid1(VALU_DEP_2)
	v_and_b32_e32 v9, v24, v25
	v_cndmask_b32_e64 v10, 1, 2, vcc_lo
	v_cmp_eq_u32_e32 vcc_lo, 0, v12
	v_and_b32_e32 v9, v9, v10
	v_cndmask_b32_e64 v10, 1, 2, vcc_lo
	v_cmp_gt_u32_e32 vcc_lo, 0x100, v3
	s_delay_alu instid0(VALU_DEP_2) | instskip(NEXT) | instid1(VALU_DEP_1)
	v_and_b32_e32 v9, v9, v10
	v_cmp_gt_i16_e64 s15, 2, v9
	s_cbranch_vccnz .LBB496_203
; %bb.200:
	s_and_b32 vcc_lo, exec_lo, s16
	s_cbranch_vccnz .LBB496_209
.LBB496_201:
	v_cmp_eq_u32_e32 vcc_lo, 0xff, v0
	s_and_b32 s0, vcc_lo, s23
	s_delay_alu instid0(SALU_CYCLE_1)
	s_and_saveexec_b32 s1, s0
	s_cbranch_execnz .LBB496_218
.LBB496_202:
	s_nop 0
	s_sendmsg sendmsg(MSG_DEALLOC_VGPRS)
	s_endpgm
.LBB496_203:
	s_delay_alu instid0(VALU_DEP_1)
	s_and_saveexec_b32 s16, s15
	s_cbranch_execz .LBB496_208
; %bb.204:
	s_mov_b32 s17, 0
	s_mov_b32 s15, exec_lo
	v_cmpx_ne_u16_e32 1, v9
	s_xor_b32 s15, exec_lo, s15
	s_cbranch_execnz .LBB496_255
; %bb.205:
	s_and_not1_saveexec_b32 s15, s15
	s_cbranch_execnz .LBB496_271
.LBB496_206:
	s_or_b32 exec_lo, exec_lo, s15
	s_delay_alu instid0(SALU_CYCLE_1)
	s_and_b32 exec_lo, exec_lo, s17
	s_cbranch_execz .LBB496_208
.LBB496_207:
	v_sub_nc_u32_e32 v10, v37, v8
	v_mov_b32_e32 v11, 0
	s_delay_alu instid0(VALU_DEP_1) | instskip(NEXT) | instid1(VALU_DEP_1)
	v_lshlrev_b64 v[10:11], 3, v[10:11]
	v_add_co_u32 v10, vcc_lo, v6, v10
	s_delay_alu instid0(VALU_DEP_2)
	v_add_co_ci_u32_e32 v11, vcc_lo, v7, v11, vcc_lo
	global_store_b64 v[10:11], v[1:2], off
.LBB496_208:
	s_or_b32 exec_lo, exec_lo, s16
	s_branch .LBB496_201
.LBB496_209:
	s_mov_b32 s15, exec_lo
	v_cmpx_gt_i16_e32 2, v9
	s_cbranch_execz .LBB496_214
; %bb.210:
	s_mov_b32 s17, 0
	s_mov_b32 s16, exec_lo
	v_cmpx_ne_u16_e32 1, v9
	s_xor_b32 s16, exec_lo, s16
	s_cbranch_execnz .LBB496_272
; %bb.211:
	s_and_not1_saveexec_b32 s0, s16
	s_cbranch_execnz .LBB496_288
.LBB496_212:
	s_or_b32 exec_lo, exec_lo, s0
	s_delay_alu instid0(SALU_CYCLE_1)
	s_and_b32 exec_lo, exec_lo, s17
	s_cbranch_execz .LBB496_214
.LBB496_213:
	v_sub_nc_u32_e32 v8, v37, v8
	s_delay_alu instid0(VALU_DEP_1)
	v_lshlrev_b32_e32 v8, 3, v8
	ds_store_b64 v8, v[1:2]
.LBB496_214:
	s_or_b32 exec_lo, exec_lo, s15
	s_delay_alu instid0(SALU_CYCLE_1)
	s_mov_b32 s1, exec_lo
	s_waitcnt lgkmcnt(0)
	s_waitcnt_vscnt null, 0x0
	s_barrier
	buffer_gl0_inv
	v_cmpx_lt_u32_e64 v0, v3
	s_cbranch_execz .LBB496_217
; %bb.215:
	v_dual_mov_b32 v1, v0 :: v_dual_lshlrev_b32 v8, 3, v0
	v_mov_b32_e32 v2, 0
	s_mov_b32 s2, 0
	.p2align	6
.LBB496_216:                            ; =>This Inner Loop Header: Depth=1
	ds_load_b64 v[9:10], v8
	v_lshlrev_b64 v[11:12], 3, v[1:2]
	v_add_nc_u32_e32 v1, 0x100, v1
	v_add_nc_u32_e32 v8, 0x800, v8
	s_delay_alu instid0(VALU_DEP_2) | instskip(NEXT) | instid1(VALU_DEP_4)
	v_cmp_ge_u32_e32 vcc_lo, v1, v3
	v_add_co_u32 v11, s0, v6, v11
	s_delay_alu instid0(VALU_DEP_1)
	v_add_co_ci_u32_e64 v12, s0, v7, v12, s0
	s_or_b32 s2, vcc_lo, s2
	s_waitcnt lgkmcnt(0)
	global_store_b64 v[11:12], v[9:10], off
	s_and_not1_b32 exec_lo, exec_lo, s2
	s_cbranch_execnz .LBB496_216
.LBB496_217:
	s_or_b32 exec_lo, exec_lo, s1
	v_cmp_eq_u32_e32 vcc_lo, 0xff, v0
	s_and_b32 s0, vcc_lo, s23
	s_delay_alu instid0(SALU_CYCLE_1)
	s_and_saveexec_b32 s1, s0
	s_cbranch_execz .LBB496_202
.LBB496_218:
	v_add_co_u32 v0, s0, v61, v65
	s_delay_alu instid0(VALU_DEP_1) | instskip(SKIP_1) | instid1(VALU_DEP_3)
	v_add_co_ci_u32_e64 v1, null, 0, 0, s0
	v_mov_b32_e32 v62, 0
	v_add_co_u32 v0, vcc_lo, v0, v29
	s_delay_alu instid0(VALU_DEP_3)
	v_add_co_ci_u32_e32 v1, vcc_lo, v1, v30, vcc_lo
	s_cmpk_lg_i32 s33, 0xf00
	global_store_b64 v62, v[0:1], s[30:31]
	s_cbranch_scc1 .LBB496_202
; %bb.219:
	v_lshlrev_b64 v[0:1], 3, v[61:62]
	s_delay_alu instid0(VALU_DEP_1) | instskip(NEXT) | instid1(VALU_DEP_2)
	v_add_co_u32 v0, vcc_lo, v4, v0
	v_add_co_ci_u32_e32 v1, vcc_lo, v5, v1, vcc_lo
	global_store_b64 v[0:1], v[63:64], off offset:-8
	s_nop 0
	s_sendmsg sendmsg(MSG_DEALLOC_VGPRS)
	s_endpgm
.LBB496_220:
	s_or_b32 exec_lo, exec_lo, s2
	v_mov_b32_e32 v113, s1
	s_and_saveexec_b32 s1, s45
	s_cbranch_execnz .LBB496_84
	s_branch .LBB496_85
.LBB496_221:
	s_and_saveexec_b32 s17, s12
	s_cbranch_execnz .LBB496_289
; %bb.222:
	s_or_b32 exec_lo, exec_lo, s17
	s_and_saveexec_b32 s17, s11
	s_cbranch_execnz .LBB496_290
.LBB496_223:
	s_or_b32 exec_lo, exec_lo, s17
	s_and_saveexec_b32 s17, s9
	s_cbranch_execnz .LBB496_291
.LBB496_224:
	s_or_b32 exec_lo, exec_lo, s17
	s_and_saveexec_b32 s17, s8
	s_cbranch_execnz .LBB496_292
.LBB496_225:
	s_or_b32 exec_lo, exec_lo, s17
	s_and_saveexec_b32 s17, s14
	s_cbranch_execnz .LBB496_293
.LBB496_226:
	s_or_b32 exec_lo, exec_lo, s17
	s_and_saveexec_b32 s17, s13
	s_cbranch_execnz .LBB496_294
.LBB496_227:
	s_or_b32 exec_lo, exec_lo, s17
	s_and_saveexec_b32 s17, s10
	s_cbranch_execnz .LBB496_295
.LBB496_228:
	s_or_b32 exec_lo, exec_lo, s17
	s_and_saveexec_b32 s17, s7
	s_cbranch_execnz .LBB496_296
.LBB496_229:
	s_or_b32 exec_lo, exec_lo, s17
	s_and_saveexec_b32 s17, s6
	s_cbranch_execnz .LBB496_297
.LBB496_230:
	s_or_b32 exec_lo, exec_lo, s17
	s_and_saveexec_b32 s17, s5
	s_cbranch_execnz .LBB496_298
.LBB496_231:
	s_or_b32 exec_lo, exec_lo, s17
	s_and_saveexec_b32 s17, s4
	s_cbranch_execnz .LBB496_299
.LBB496_232:
	s_or_b32 exec_lo, exec_lo, s17
	s_and_saveexec_b32 s17, s3
	s_cbranch_execnz .LBB496_300
.LBB496_233:
	s_or_b32 exec_lo, exec_lo, s17
	s_and_saveexec_b32 s17, s2
	s_cbranch_execnz .LBB496_301
.LBB496_234:
	s_or_b32 exec_lo, exec_lo, s17
	s_and_saveexec_b32 s17, s1
	s_cbranch_execz .LBB496_236
.LBB496_235:
	v_sub_nc_u32_e32 v54, v38, v65
	v_mov_b32_e32 v55, 0
	s_delay_alu instid0(VALU_DEP_1) | instskip(NEXT) | instid1(VALU_DEP_1)
	v_lshlrev_b64 v[54:55], 3, v[54:55]
	v_add_co_u32 v54, vcc_lo, v51, v54
	s_delay_alu instid0(VALU_DEP_2)
	v_add_co_ci_u32_e32 v55, vcc_lo, v52, v55, vcc_lo
	global_store_b64 v[54:55], v[3:4], off
.LBB496_236:
	s_or_b32 exec_lo, exec_lo, s17
	s_delay_alu instid0(SALU_CYCLE_1)
	s_and_b32 s17, s0, exec_lo
	s_and_not1_saveexec_b32 s15, s15
	s_cbranch_execz .LBB496_186
.LBB496_237:
	v_sub_nc_u32_e32 v54, v114, v65
	v_mov_b32_e32 v55, 0
	s_or_b32 s17, s17, exec_lo
	s_delay_alu instid0(VALU_DEP_1) | instskip(SKIP_1) | instid1(VALU_DEP_1)
	v_lshlrev_b64 v[59:60], 3, v[54:55]
	v_sub_nc_u32_e32 v54, v48, v65
	v_lshlrev_b64 v[95:96], 3, v[54:55]
	v_sub_nc_u32_e32 v54, v50, v65
	s_delay_alu instid0(VALU_DEP_4) | instskip(SKIP_1) | instid1(VALU_DEP_3)
	v_add_co_u32 v59, vcc_lo, v51, v59
	v_add_co_ci_u32_e32 v60, vcc_lo, v52, v60, vcc_lo
	v_lshlrev_b64 v[115:116], 3, v[54:55]
	v_sub_nc_u32_e32 v54, v49, v65
	v_add_co_u32 v95, vcc_lo, v51, v95
	v_add_co_ci_u32_e32 v96, vcc_lo, v52, v96, vcc_lo
	global_store_b64 v[59:60], v[25:26], off
	v_lshlrev_b64 v[59:60], 3, v[54:55]
	v_sub_nc_u32_e32 v54, v47, v65
	global_store_b64 v[95:96], v[27:28], off
	v_add_co_u32 v95, vcc_lo, v51, v115
	v_add_co_ci_u32_e32 v96, vcc_lo, v52, v116, vcc_lo
	v_lshlrev_b64 v[115:116], 3, v[54:55]
	v_sub_nc_u32_e32 v54, v46, v65
	v_add_co_u32 v59, vcc_lo, v51, v59
	v_add_co_ci_u32_e32 v60, vcc_lo, v52, v60, vcc_lo
	s_delay_alu instid0(VALU_DEP_3) | instskip(SKIP_3) | instid1(VALU_DEP_3)
	v_lshlrev_b64 v[117:118], 3, v[54:55]
	v_sub_nc_u32_e32 v54, v45, v65
	v_add_co_u32 v115, vcc_lo, v51, v115
	v_add_co_ci_u32_e32 v116, vcc_lo, v52, v116, vcc_lo
	v_lshlrev_b64 v[119:120], 3, v[54:55]
	v_sub_nc_u32_e32 v54, v44, v65
	v_add_co_u32 v117, vcc_lo, v51, v117
	v_add_co_ci_u32_e32 v118, vcc_lo, v52, v118, vcc_lo
	s_clause 0x3
	global_store_b64 v[95:96], v[21:22], off
	global_store_b64 v[59:60], v[23:24], off
	;; [unrolled: 1-line block ×4, first 2 shown]
	v_lshlrev_b64 v[59:60], 3, v[54:55]
	v_sub_nc_u32_e32 v54, v43, v65
	v_add_co_u32 v95, vcc_lo, v51, v119
	v_add_co_ci_u32_e32 v96, vcc_lo, v52, v120, vcc_lo
	s_delay_alu instid0(VALU_DEP_3) | instskip(SKIP_3) | instid1(VALU_DEP_3)
	v_lshlrev_b64 v[115:116], 3, v[54:55]
	v_sub_nc_u32_e32 v54, v42, v65
	v_add_co_u32 v59, vcc_lo, v51, v59
	v_add_co_ci_u32_e32 v60, vcc_lo, v52, v60, vcc_lo
	v_lshlrev_b64 v[117:118], 3, v[54:55]
	v_sub_nc_u32_e32 v54, v41, v65
	v_add_co_u32 v115, vcc_lo, v51, v115
	v_add_co_ci_u32_e32 v116, vcc_lo, v52, v116, vcc_lo
	s_delay_alu instid0(VALU_DEP_3)
	v_lshlrev_b64 v[119:120], 3, v[54:55]
	v_sub_nc_u32_e32 v54, v40, v65
	v_add_co_u32 v117, vcc_lo, v51, v117
	v_add_co_ci_u32_e32 v118, vcc_lo, v52, v118, vcc_lo
	s_clause 0x3
	global_store_b64 v[95:96], v[13:14], off
	global_store_b64 v[59:60], v[15:16], off
	;; [unrolled: 1-line block ×4, first 2 shown]
	v_lshlrev_b64 v[59:60], 3, v[54:55]
	v_sub_nc_u32_e32 v54, v39, v65
	v_add_co_u32 v95, vcc_lo, v51, v119
	v_add_co_ci_u32_e32 v96, vcc_lo, v52, v120, vcc_lo
	s_delay_alu instid0(VALU_DEP_3) | instskip(SKIP_3) | instid1(VALU_DEP_3)
	v_lshlrev_b64 v[115:116], 3, v[54:55]
	v_sub_nc_u32_e32 v54, v38, v65
	v_add_co_u32 v59, vcc_lo, v51, v59
	v_add_co_ci_u32_e32 v60, vcc_lo, v52, v60, vcc_lo
	v_lshlrev_b64 v[54:55], 3, v[54:55]
	v_add_co_u32 v115, vcc_lo, v51, v115
	v_add_co_ci_u32_e32 v116, vcc_lo, v52, v116, vcc_lo
	s_clause 0x2
	global_store_b64 v[95:96], v[5:6], off
	global_store_b64 v[59:60], v[7:8], off
	;; [unrolled: 1-line block ×3, first 2 shown]
	v_add_co_u32 v54, vcc_lo, v51, v54
	v_add_co_ci_u32_e32 v55, vcc_lo, v52, v55, vcc_lo
	global_store_b64 v[54:55], v[3:4], off
	s_or_b32 exec_lo, exec_lo, s15
	s_delay_alu instid0(SALU_CYCLE_1)
	s_and_b32 exec_lo, exec_lo, s17
	s_cbranch_execnz .LBB496_187
	s_branch .LBB496_188
.LBB496_238:
	s_and_saveexec_b32 s17, s12
	s_cbranch_execnz .LBB496_302
; %bb.239:
	s_or_b32 exec_lo, exec_lo, s17
	s_and_saveexec_b32 s12, s11
	s_cbranch_execnz .LBB496_303
.LBB496_240:
	s_or_b32 exec_lo, exec_lo, s12
	s_and_saveexec_b32 s11, s9
	s_cbranch_execnz .LBB496_304
.LBB496_241:
	s_or_b32 exec_lo, exec_lo, s11
	s_and_saveexec_b32 s9, s8
	s_cbranch_execnz .LBB496_305
.LBB496_242:
	s_or_b32 exec_lo, exec_lo, s9
	s_and_saveexec_b32 s8, s14
	s_cbranch_execnz .LBB496_306
.LBB496_243:
	s_or_b32 exec_lo, exec_lo, s8
	s_and_saveexec_b32 s8, s13
	s_cbranch_execnz .LBB496_307
.LBB496_244:
	s_or_b32 exec_lo, exec_lo, s8
	s_and_saveexec_b32 s8, s10
	s_cbranch_execnz .LBB496_308
.LBB496_245:
	s_or_b32 exec_lo, exec_lo, s8
	s_and_saveexec_b32 s8, s7
	s_cbranch_execnz .LBB496_309
.LBB496_246:
	s_or_b32 exec_lo, exec_lo, s8
	s_and_saveexec_b32 s7, s6
	s_cbranch_execnz .LBB496_310
.LBB496_247:
	s_or_b32 exec_lo, exec_lo, s7
	s_and_saveexec_b32 s6, s5
	s_cbranch_execnz .LBB496_311
.LBB496_248:
	s_or_b32 exec_lo, exec_lo, s6
	s_and_saveexec_b32 s5, s4
	s_cbranch_execnz .LBB496_312
.LBB496_249:
	s_or_b32 exec_lo, exec_lo, s5
	s_and_saveexec_b32 s4, s3
	s_cbranch_execnz .LBB496_313
.LBB496_250:
	s_or_b32 exec_lo, exec_lo, s4
	s_and_saveexec_b32 s3, s2
	s_cbranch_execnz .LBB496_314
.LBB496_251:
	s_or_b32 exec_lo, exec_lo, s3
	s_and_saveexec_b32 s2, s1
	s_cbranch_execz .LBB496_253
.LBB496_252:
	v_sub_nc_u32_e32 v1, v38, v65
	s_delay_alu instid0(VALU_DEP_1)
	v_lshlrev_b32_e32 v1, 3, v1
	ds_store_b64 v1, v[3:4]
.LBB496_253:
	s_or_b32 exec_lo, exec_lo, s2
	s_delay_alu instid0(SALU_CYCLE_1)
	s_and_b32 s17, s0, exec_lo
                                        ; implicit-def: $vgpr25_vgpr26
                                        ; implicit-def: $vgpr21_vgpr22
                                        ; implicit-def: $vgpr17_vgpr18
                                        ; implicit-def: $vgpr13_vgpr14
                                        ; implicit-def: $vgpr9_vgpr10
                                        ; implicit-def: $vgpr5_vgpr6
                                        ; implicit-def: $vgpr1_vgpr2
	s_and_not1_saveexec_b32 s0, s16
	s_cbranch_execz .LBB496_193
.LBB496_254:
	v_sub_nc_u32_e32 v53, v114, v65
	v_sub_nc_u32_e32 v54, v48, v65
	;; [unrolled: 1-line block ×4, first 2 shown]
	s_or_b32 s17, s17, exec_lo
	v_lshlrev_b32_e32 v53, 3, v53
	v_lshlrev_b32_e32 v54, 3, v54
	;; [unrolled: 1-line block ×4, first 2 shown]
	ds_store_b64 v53, v[25:26]
	ds_store_b64 v54, v[27:28]
	;; [unrolled: 1-line block ×3, first 2 shown]
	v_sub_nc_u32_e32 v21, v47, v65
	v_sub_nc_u32_e32 v22, v46, v65
	ds_store_b64 v56, v[23:24]
	v_sub_nc_u32_e32 v23, v45, v65
	v_sub_nc_u32_e32 v24, v44, v65
	v_lshlrev_b32_e32 v21, 3, v21
	v_sub_nc_u32_e32 v25, v43, v65
	v_lshlrev_b32_e32 v22, 3, v22
	v_lshlrev_b32_e32 v23, 3, v23
	;; [unrolled: 1-line block ×3, first 2 shown]
	ds_store_b64 v21, v[17:18]
	v_lshlrev_b32_e32 v17, 3, v25
	ds_store_b64 v22, v[19:20]
	ds_store_b64 v23, v[13:14]
	;; [unrolled: 1-line block ×3, first 2 shown]
	v_sub_nc_u32_e32 v13, v42, v65
	v_sub_nc_u32_e32 v15, v38, v65
	;; [unrolled: 1-line block ×3, first 2 shown]
	ds_store_b64 v17, v[9:10]
	v_sub_nc_u32_e32 v9, v41, v65
	v_lshlrev_b32_e32 v13, 3, v13
	v_sub_nc_u32_e32 v10, v40, v65
	v_lshlrev_b32_e32 v14, 3, v14
	s_delay_alu instid0(VALU_DEP_4)
	v_lshlrev_b32_e32 v9, 3, v9
	ds_store_b64 v13, v[11:12]
	v_lshlrev_b32_e32 v11, 3, v15
	v_lshlrev_b32_e32 v10, 3, v10
	ds_store_b64 v9, v[5:6]
	ds_store_b64 v10, v[7:8]
	;; [unrolled: 1-line block ×4, first 2 shown]
	s_or_b32 exec_lo, exec_lo, s0
	s_delay_alu instid0(SALU_CYCLE_1)
	s_and_b32 exec_lo, exec_lo, s17
	s_cbranch_execnz .LBB496_194
	s_branch .LBB496_195
.LBB496_255:
	s_and_saveexec_b32 s17, s14
	s_cbranch_execnz .LBB496_315
; %bb.256:
	s_or_b32 exec_lo, exec_lo, s17
	s_and_saveexec_b32 s17, s13
	s_cbranch_execnz .LBB496_316
.LBB496_257:
	s_or_b32 exec_lo, exec_lo, s17
	s_and_saveexec_b32 s17, s12
	s_cbranch_execnz .LBB496_317
.LBB496_258:
	s_or_b32 exec_lo, exec_lo, s17
	s_and_saveexec_b32 s17, s11
	s_cbranch_execnz .LBB496_318
.LBB496_259:
	s_or_b32 exec_lo, exec_lo, s17
	s_and_saveexec_b32 s17, s10
	s_cbranch_execnz .LBB496_319
.LBB496_260:
	s_or_b32 exec_lo, exec_lo, s17
	s_and_saveexec_b32 s17, s9
	s_cbranch_execnz .LBB496_320
.LBB496_261:
	s_or_b32 exec_lo, exec_lo, s17
	s_and_saveexec_b32 s17, s8
	s_cbranch_execnz .LBB496_321
.LBB496_262:
	s_or_b32 exec_lo, exec_lo, s17
	s_and_saveexec_b32 s17, s7
	s_cbranch_execnz .LBB496_322
.LBB496_263:
	s_or_b32 exec_lo, exec_lo, s17
	s_and_saveexec_b32 s17, s6
	s_cbranch_execnz .LBB496_323
.LBB496_264:
	s_or_b32 exec_lo, exec_lo, s17
	s_and_saveexec_b32 s17, s5
	s_cbranch_execnz .LBB496_324
.LBB496_265:
	s_or_b32 exec_lo, exec_lo, s17
	s_and_saveexec_b32 s17, s4
	s_cbranch_execnz .LBB496_325
.LBB496_266:
	s_or_b32 exec_lo, exec_lo, s17
	s_and_saveexec_b32 s17, s3
	s_cbranch_execnz .LBB496_326
.LBB496_267:
	s_or_b32 exec_lo, exec_lo, s17
	s_and_saveexec_b32 s17, s2
	s_cbranch_execnz .LBB496_327
.LBB496_268:
	s_or_b32 exec_lo, exec_lo, s17
	s_and_saveexec_b32 s17, s1
	s_cbranch_execz .LBB496_270
.LBB496_269:
	v_sub_nc_u32_e32 v10, v38, v8
	v_mov_b32_e32 v11, 0
	s_delay_alu instid0(VALU_DEP_1) | instskip(NEXT) | instid1(VALU_DEP_1)
	v_lshlrev_b64 v[10:11], 3, v[10:11]
	v_add_co_u32 v10, vcc_lo, v6, v10
	s_delay_alu instid0(VALU_DEP_2)
	v_add_co_ci_u32_e32 v11, vcc_lo, v7, v11, vcc_lo
	global_store_b64 v[10:11], v[91:92], off
.LBB496_270:
	s_or_b32 exec_lo, exec_lo, s17
	s_delay_alu instid0(SALU_CYCLE_1)
	s_and_b32 s17, s0, exec_lo
	s_and_not1_saveexec_b32 s15, s15
	s_cbranch_execz .LBB496_206
.LBB496_271:
	v_sub_nc_u32_e32 v10, v114, v8
	v_mov_b32_e32 v11, 0
	s_or_b32 s17, s17, exec_lo
	s_delay_alu instid0(VALU_DEP_1) | instskip(SKIP_1) | instid1(VALU_DEP_1)
	v_lshlrev_b64 v[12:13], 3, v[10:11]
	v_sub_nc_u32_e32 v10, v48, v8
	v_lshlrev_b64 v[14:15], 3, v[10:11]
	v_sub_nc_u32_e32 v10, v50, v8
	s_delay_alu instid0(VALU_DEP_4) | instskip(SKIP_1) | instid1(VALU_DEP_3)
	v_add_co_u32 v12, vcc_lo, v6, v12
	v_add_co_ci_u32_e32 v13, vcc_lo, v7, v13, vcc_lo
	v_lshlrev_b64 v[16:17], 3, v[10:11]
	v_sub_nc_u32_e32 v10, v49, v8
	v_add_co_u32 v14, vcc_lo, v6, v14
	v_add_co_ci_u32_e32 v15, vcc_lo, v7, v15, vcc_lo
	global_store_b64 v[12:13], v[77:78], off
	v_lshlrev_b64 v[12:13], 3, v[10:11]
	v_sub_nc_u32_e32 v10, v47, v8
	global_store_b64 v[14:15], v[75:76], off
	v_add_co_u32 v14, vcc_lo, v6, v16
	v_add_co_ci_u32_e32 v15, vcc_lo, v7, v17, vcc_lo
	v_lshlrev_b64 v[16:17], 3, v[10:11]
	v_sub_nc_u32_e32 v10, v46, v8
	v_add_co_u32 v12, vcc_lo, v6, v12
	v_add_co_ci_u32_e32 v13, vcc_lo, v7, v13, vcc_lo
	s_delay_alu instid0(VALU_DEP_3) | instskip(SKIP_3) | instid1(VALU_DEP_3)
	v_lshlrev_b64 v[18:19], 3, v[10:11]
	v_sub_nc_u32_e32 v10, v45, v8
	v_add_co_u32 v16, vcc_lo, v6, v16
	v_add_co_ci_u32_e32 v17, vcc_lo, v7, v17, vcc_lo
	v_lshlrev_b64 v[20:21], 3, v[10:11]
	v_sub_nc_u32_e32 v10, v44, v8
	v_add_co_u32 v18, vcc_lo, v6, v18
	v_add_co_ci_u32_e32 v19, vcc_lo, v7, v19, vcc_lo
	s_clause 0x3
	global_store_b64 v[14:15], v[81:82], off
	global_store_b64 v[12:13], v[85:86], off
	global_store_b64 v[16:17], v[67:68], off
	global_store_b64 v[18:19], v[71:72], off
	v_lshlrev_b64 v[12:13], 3, v[10:11]
	v_sub_nc_u32_e32 v10, v43, v8
	v_add_co_u32 v14, vcc_lo, v6, v20
	v_add_co_ci_u32_e32 v15, vcc_lo, v7, v21, vcc_lo
	s_delay_alu instid0(VALU_DEP_3) | instskip(SKIP_3) | instid1(VALU_DEP_3)
	v_lshlrev_b64 v[16:17], 3, v[10:11]
	v_sub_nc_u32_e32 v10, v42, v8
	v_add_co_u32 v12, vcc_lo, v6, v12
	v_add_co_ci_u32_e32 v13, vcc_lo, v7, v13, vcc_lo
	v_lshlrev_b64 v[18:19], 3, v[10:11]
	v_sub_nc_u32_e32 v10, v41, v8
	v_add_co_u32 v16, vcc_lo, v6, v16
	v_add_co_ci_u32_e32 v17, vcc_lo, v7, v17, vcc_lo
	s_delay_alu instid0(VALU_DEP_3)
	v_lshlrev_b64 v[20:21], 3, v[10:11]
	v_sub_nc_u32_e32 v10, v40, v8
	v_add_co_u32 v18, vcc_lo, v6, v18
	v_add_co_ci_u32_e32 v19, vcc_lo, v7, v19, vcc_lo
	s_clause 0x3
	global_store_b64 v[14:15], v[79:80], off
	global_store_b64 v[12:13], v[83:84], off
	;; [unrolled: 1-line block ×4, first 2 shown]
	v_lshlrev_b64 v[12:13], 3, v[10:11]
	v_sub_nc_u32_e32 v10, v39, v8
	v_add_co_u32 v14, vcc_lo, v6, v20
	v_add_co_ci_u32_e32 v15, vcc_lo, v7, v21, vcc_lo
	s_delay_alu instid0(VALU_DEP_3) | instskip(SKIP_3) | instid1(VALU_DEP_3)
	v_lshlrev_b64 v[16:17], 3, v[10:11]
	v_sub_nc_u32_e32 v10, v38, v8
	v_add_co_u32 v12, vcc_lo, v6, v12
	v_add_co_ci_u32_e32 v13, vcc_lo, v7, v13, vcc_lo
	v_lshlrev_b64 v[10:11], 3, v[10:11]
	v_add_co_u32 v16, vcc_lo, v6, v16
	v_add_co_ci_u32_e32 v17, vcc_lo, v7, v17, vcc_lo
	s_clause 0x2
	global_store_b64 v[14:15], v[73:74], off
	global_store_b64 v[12:13], v[89:90], off
	;; [unrolled: 1-line block ×3, first 2 shown]
	v_add_co_u32 v10, vcc_lo, v6, v10
	v_add_co_ci_u32_e32 v11, vcc_lo, v7, v11, vcc_lo
	global_store_b64 v[10:11], v[91:92], off
	s_or_b32 exec_lo, exec_lo, s15
	s_delay_alu instid0(SALU_CYCLE_1)
	s_and_b32 exec_lo, exec_lo, s17
	s_cbranch_execnz .LBB496_207
	s_branch .LBB496_208
.LBB496_272:
	s_and_saveexec_b32 s17, s14
	s_cbranch_execnz .LBB496_328
; %bb.273:
	s_or_b32 exec_lo, exec_lo, s17
	s_and_saveexec_b32 s14, s13
	s_cbranch_execnz .LBB496_329
.LBB496_274:
	s_or_b32 exec_lo, exec_lo, s14
	s_and_saveexec_b32 s13, s12
	s_cbranch_execnz .LBB496_330
.LBB496_275:
	s_or_b32 exec_lo, exec_lo, s13
	s_and_saveexec_b32 s12, s11
	s_cbranch_execnz .LBB496_331
.LBB496_276:
	s_or_b32 exec_lo, exec_lo, s12
	s_and_saveexec_b32 s11, s10
	s_cbranch_execnz .LBB496_332
.LBB496_277:
	s_or_b32 exec_lo, exec_lo, s11
	s_and_saveexec_b32 s10, s9
	s_cbranch_execnz .LBB496_333
.LBB496_278:
	s_or_b32 exec_lo, exec_lo, s10
	s_and_saveexec_b32 s9, s8
	s_cbranch_execnz .LBB496_334
.LBB496_279:
	s_or_b32 exec_lo, exec_lo, s9
	s_and_saveexec_b32 s8, s7
	s_cbranch_execnz .LBB496_335
.LBB496_280:
	s_or_b32 exec_lo, exec_lo, s8
	s_and_saveexec_b32 s7, s6
	s_cbranch_execnz .LBB496_336
.LBB496_281:
	s_or_b32 exec_lo, exec_lo, s7
	s_and_saveexec_b32 s6, s5
	s_cbranch_execnz .LBB496_337
.LBB496_282:
	s_or_b32 exec_lo, exec_lo, s6
	s_and_saveexec_b32 s5, s4
	s_cbranch_execnz .LBB496_338
.LBB496_283:
	s_or_b32 exec_lo, exec_lo, s5
	s_and_saveexec_b32 s4, s3
	s_cbranch_execnz .LBB496_339
.LBB496_284:
	s_or_b32 exec_lo, exec_lo, s4
	s_and_saveexec_b32 s3, s2
	s_cbranch_execnz .LBB496_340
.LBB496_285:
	s_or_b32 exec_lo, exec_lo, s3
	s_and_saveexec_b32 s2, s1
	s_cbranch_execz .LBB496_287
.LBB496_286:
	v_sub_nc_u32_e32 v9, v38, v8
	s_delay_alu instid0(VALU_DEP_1)
	v_lshlrev_b32_e32 v9, 3, v9
	ds_store_b64 v9, v[91:92]
.LBB496_287:
	s_or_b32 exec_lo, exec_lo, s2
	s_delay_alu instid0(SALU_CYCLE_1)
	s_and_b32 s17, s0, exec_lo
                                        ; implicit-def: $vgpr77_vgpr78
                                        ; implicit-def: $vgpr75_vgpr76
                                        ; implicit-def: $vgpr81_vgpr82
                                        ; implicit-def: $vgpr85_vgpr86
                                        ; implicit-def: $vgpr67_vgpr68
                                        ; implicit-def: $vgpr71_vgpr72
                                        ; implicit-def: $vgpr79_vgpr80
                                        ; implicit-def: $vgpr83_vgpr84
                                        ; implicit-def: $vgpr87_vgpr88
                                        ; implicit-def: $vgpr69_vgpr70
                                        ; implicit-def: $vgpr73_vgpr74
                                        ; implicit-def: $vgpr89_vgpr90
                                        ; implicit-def: $vgpr93_vgpr94
                                        ; implicit-def: $vgpr91_vgpr92
                                        ; implicit-def: $vgpr114
                                        ; implicit-def: $vgpr48
                                        ; implicit-def: $vgpr50
                                        ; implicit-def: $vgpr49
                                        ; implicit-def: $vgpr47
                                        ; implicit-def: $vgpr46
                                        ; implicit-def: $vgpr45
                                        ; implicit-def: $vgpr44
                                        ; implicit-def: $vgpr43
                                        ; implicit-def: $vgpr42
                                        ; implicit-def: $vgpr41
                                        ; implicit-def: $vgpr40
                                        ; implicit-def: $vgpr39
                                        ; implicit-def: $vgpr38
	s_and_not1_saveexec_b32 s0, s16
	s_cbranch_execz .LBB496_212
.LBB496_288:
	v_sub_nc_u32_e32 v9, v114, v8
	v_sub_nc_u32_e32 v10, v48, v8
	;; [unrolled: 1-line block ×5, first 2 shown]
	v_lshlrev_b32_e32 v9, 3, v9
	v_lshlrev_b32_e32 v10, 3, v10
	;; [unrolled: 1-line block ×4, first 2 shown]
	s_or_b32 s17, s17, exec_lo
	ds_store_b64 v9, v[77:78]
	ds_store_b64 v10, v[75:76]
	;; [unrolled: 1-line block ×3, first 2 shown]
	v_sub_nc_u32_e32 v9, v47, v8
	v_sub_nc_u32_e32 v10, v46, v8
	;; [unrolled: 1-line block ×3, first 2 shown]
	ds_store_b64 v12, v[85:86]
	v_sub_nc_u32_e32 v12, v44, v8
	v_lshlrev_b32_e32 v9, 3, v9
	v_lshlrev_b32_e32 v10, 3, v10
	;; [unrolled: 1-line block ×3, first 2 shown]
	s_delay_alu instid0(VALU_DEP_4)
	v_lshlrev_b32_e32 v12, 3, v12
	ds_store_b64 v9, v[67:68]
	v_lshlrev_b32_e32 v9, 3, v13
	ds_store_b64 v10, v[71:72]
	ds_store_b64 v11, v[79:80]
	;; [unrolled: 1-line block ×3, first 2 shown]
	v_sub_nc_u32_e32 v10, v42, v8
	v_sub_nc_u32_e32 v13, v38, v8
	;; [unrolled: 1-line block ×3, first 2 shown]
	ds_store_b64 v9, v[87:88]
	v_sub_nc_u32_e32 v9, v41, v8
	v_lshlrev_b32_e32 v10, 3, v10
	v_sub_nc_u32_e32 v12, v39, v8
	v_lshlrev_b32_e32 v11, 3, v11
	s_delay_alu instid0(VALU_DEP_4)
	v_lshlrev_b32_e32 v9, 3, v9
	ds_store_b64 v10, v[69:70]
	v_lshlrev_b32_e32 v10, 3, v13
	v_lshlrev_b32_e32 v12, 3, v12
	ds_store_b64 v9, v[73:74]
	ds_store_b64 v11, v[89:90]
	;; [unrolled: 1-line block ×4, first 2 shown]
	s_or_b32 exec_lo, exec_lo, s0
	s_delay_alu instid0(SALU_CYCLE_1)
	s_and_b32 exec_lo, exec_lo, s17
	s_cbranch_execnz .LBB496_213
	s_branch .LBB496_214
.LBB496_289:
	v_sub_nc_u32_e32 v54, v114, v65
	v_mov_b32_e32 v55, 0
	s_delay_alu instid0(VALU_DEP_1) | instskip(NEXT) | instid1(VALU_DEP_1)
	v_lshlrev_b64 v[54:55], 3, v[54:55]
	v_add_co_u32 v54, vcc_lo, v51, v54
	s_delay_alu instid0(VALU_DEP_2)
	v_add_co_ci_u32_e32 v55, vcc_lo, v52, v55, vcc_lo
	global_store_b64 v[54:55], v[25:26], off
	s_or_b32 exec_lo, exec_lo, s17
	s_and_saveexec_b32 s17, s11
	s_cbranch_execz .LBB496_223
.LBB496_290:
	v_sub_nc_u32_e32 v54, v48, v65
	v_mov_b32_e32 v55, 0
	s_delay_alu instid0(VALU_DEP_1) | instskip(NEXT) | instid1(VALU_DEP_1)
	v_lshlrev_b64 v[54:55], 3, v[54:55]
	v_add_co_u32 v54, vcc_lo, v51, v54
	s_delay_alu instid0(VALU_DEP_2)
	v_add_co_ci_u32_e32 v55, vcc_lo, v52, v55, vcc_lo
	global_store_b64 v[54:55], v[27:28], off
	s_or_b32 exec_lo, exec_lo, s17
	s_and_saveexec_b32 s17, s9
	s_cbranch_execz .LBB496_224
.LBB496_291:
	v_sub_nc_u32_e32 v54, v50, v65
	v_mov_b32_e32 v55, 0
	s_delay_alu instid0(VALU_DEP_1) | instskip(NEXT) | instid1(VALU_DEP_1)
	v_lshlrev_b64 v[54:55], 3, v[54:55]
	v_add_co_u32 v54, vcc_lo, v51, v54
	s_delay_alu instid0(VALU_DEP_2)
	v_add_co_ci_u32_e32 v55, vcc_lo, v52, v55, vcc_lo
	global_store_b64 v[54:55], v[21:22], off
	s_or_b32 exec_lo, exec_lo, s17
	s_and_saveexec_b32 s17, s8
	s_cbranch_execz .LBB496_225
.LBB496_292:
	v_sub_nc_u32_e32 v54, v49, v65
	v_mov_b32_e32 v55, 0
	s_delay_alu instid0(VALU_DEP_1) | instskip(NEXT) | instid1(VALU_DEP_1)
	v_lshlrev_b64 v[54:55], 3, v[54:55]
	v_add_co_u32 v54, vcc_lo, v51, v54
	s_delay_alu instid0(VALU_DEP_2)
	v_add_co_ci_u32_e32 v55, vcc_lo, v52, v55, vcc_lo
	global_store_b64 v[54:55], v[23:24], off
	s_or_b32 exec_lo, exec_lo, s17
	s_and_saveexec_b32 s17, s14
	s_cbranch_execz .LBB496_226
.LBB496_293:
	v_sub_nc_u32_e32 v54, v47, v65
	v_mov_b32_e32 v55, 0
	s_delay_alu instid0(VALU_DEP_1) | instskip(NEXT) | instid1(VALU_DEP_1)
	v_lshlrev_b64 v[54:55], 3, v[54:55]
	v_add_co_u32 v54, vcc_lo, v51, v54
	s_delay_alu instid0(VALU_DEP_2)
	v_add_co_ci_u32_e32 v55, vcc_lo, v52, v55, vcc_lo
	global_store_b64 v[54:55], v[17:18], off
	s_or_b32 exec_lo, exec_lo, s17
	s_and_saveexec_b32 s17, s13
	s_cbranch_execz .LBB496_227
.LBB496_294:
	v_sub_nc_u32_e32 v54, v46, v65
	v_mov_b32_e32 v55, 0
	s_delay_alu instid0(VALU_DEP_1) | instskip(NEXT) | instid1(VALU_DEP_1)
	v_lshlrev_b64 v[54:55], 3, v[54:55]
	v_add_co_u32 v54, vcc_lo, v51, v54
	s_delay_alu instid0(VALU_DEP_2)
	v_add_co_ci_u32_e32 v55, vcc_lo, v52, v55, vcc_lo
	global_store_b64 v[54:55], v[19:20], off
	s_or_b32 exec_lo, exec_lo, s17
	s_and_saveexec_b32 s17, s10
	s_cbranch_execz .LBB496_228
.LBB496_295:
	v_sub_nc_u32_e32 v54, v45, v65
	v_mov_b32_e32 v55, 0
	s_delay_alu instid0(VALU_DEP_1) | instskip(NEXT) | instid1(VALU_DEP_1)
	v_lshlrev_b64 v[54:55], 3, v[54:55]
	v_add_co_u32 v54, vcc_lo, v51, v54
	s_delay_alu instid0(VALU_DEP_2)
	v_add_co_ci_u32_e32 v55, vcc_lo, v52, v55, vcc_lo
	global_store_b64 v[54:55], v[13:14], off
	s_or_b32 exec_lo, exec_lo, s17
	s_and_saveexec_b32 s17, s7
	s_cbranch_execz .LBB496_229
.LBB496_296:
	v_sub_nc_u32_e32 v54, v44, v65
	v_mov_b32_e32 v55, 0
	s_delay_alu instid0(VALU_DEP_1) | instskip(NEXT) | instid1(VALU_DEP_1)
	v_lshlrev_b64 v[54:55], 3, v[54:55]
	v_add_co_u32 v54, vcc_lo, v51, v54
	s_delay_alu instid0(VALU_DEP_2)
	v_add_co_ci_u32_e32 v55, vcc_lo, v52, v55, vcc_lo
	global_store_b64 v[54:55], v[15:16], off
	s_or_b32 exec_lo, exec_lo, s17
	s_and_saveexec_b32 s17, s6
	s_cbranch_execz .LBB496_230
.LBB496_297:
	v_sub_nc_u32_e32 v54, v43, v65
	v_mov_b32_e32 v55, 0
	s_delay_alu instid0(VALU_DEP_1) | instskip(NEXT) | instid1(VALU_DEP_1)
	v_lshlrev_b64 v[54:55], 3, v[54:55]
	v_add_co_u32 v54, vcc_lo, v51, v54
	s_delay_alu instid0(VALU_DEP_2)
	v_add_co_ci_u32_e32 v55, vcc_lo, v52, v55, vcc_lo
	global_store_b64 v[54:55], v[9:10], off
	s_or_b32 exec_lo, exec_lo, s17
	s_and_saveexec_b32 s17, s5
	s_cbranch_execz .LBB496_231
.LBB496_298:
	v_sub_nc_u32_e32 v54, v42, v65
	v_mov_b32_e32 v55, 0
	s_delay_alu instid0(VALU_DEP_1) | instskip(NEXT) | instid1(VALU_DEP_1)
	v_lshlrev_b64 v[54:55], 3, v[54:55]
	v_add_co_u32 v54, vcc_lo, v51, v54
	s_delay_alu instid0(VALU_DEP_2)
	v_add_co_ci_u32_e32 v55, vcc_lo, v52, v55, vcc_lo
	global_store_b64 v[54:55], v[11:12], off
	s_or_b32 exec_lo, exec_lo, s17
	s_and_saveexec_b32 s17, s4
	s_cbranch_execz .LBB496_232
.LBB496_299:
	v_sub_nc_u32_e32 v54, v41, v65
	v_mov_b32_e32 v55, 0
	s_delay_alu instid0(VALU_DEP_1) | instskip(NEXT) | instid1(VALU_DEP_1)
	v_lshlrev_b64 v[54:55], 3, v[54:55]
	v_add_co_u32 v54, vcc_lo, v51, v54
	s_delay_alu instid0(VALU_DEP_2)
	v_add_co_ci_u32_e32 v55, vcc_lo, v52, v55, vcc_lo
	global_store_b64 v[54:55], v[5:6], off
	s_or_b32 exec_lo, exec_lo, s17
	s_and_saveexec_b32 s17, s3
	s_cbranch_execz .LBB496_233
.LBB496_300:
	v_sub_nc_u32_e32 v54, v40, v65
	v_mov_b32_e32 v55, 0
	s_delay_alu instid0(VALU_DEP_1) | instskip(NEXT) | instid1(VALU_DEP_1)
	v_lshlrev_b64 v[54:55], 3, v[54:55]
	v_add_co_u32 v54, vcc_lo, v51, v54
	s_delay_alu instid0(VALU_DEP_2)
	v_add_co_ci_u32_e32 v55, vcc_lo, v52, v55, vcc_lo
	global_store_b64 v[54:55], v[7:8], off
	s_or_b32 exec_lo, exec_lo, s17
	s_and_saveexec_b32 s17, s2
	s_cbranch_execz .LBB496_234
.LBB496_301:
	v_sub_nc_u32_e32 v54, v39, v65
	v_mov_b32_e32 v55, 0
	s_delay_alu instid0(VALU_DEP_1) | instskip(NEXT) | instid1(VALU_DEP_1)
	v_lshlrev_b64 v[54:55], 3, v[54:55]
	v_add_co_u32 v54, vcc_lo, v51, v54
	s_delay_alu instid0(VALU_DEP_2)
	v_add_co_ci_u32_e32 v55, vcc_lo, v52, v55, vcc_lo
	global_store_b64 v[54:55], v[1:2], off
	s_or_b32 exec_lo, exec_lo, s17
	s_and_saveexec_b32 s17, s1
	s_cbranch_execnz .LBB496_235
	s_branch .LBB496_236
.LBB496_302:
	v_sub_nc_u32_e32 v53, v114, v65
	s_delay_alu instid0(VALU_DEP_1)
	v_lshlrev_b32_e32 v53, 3, v53
	ds_store_b64 v53, v[25:26]
	s_or_b32 exec_lo, exec_lo, s17
	s_and_saveexec_b32 s12, s11
	s_cbranch_execz .LBB496_240
.LBB496_303:
	v_sub_nc_u32_e32 v25, v48, v65
	s_delay_alu instid0(VALU_DEP_1)
	v_lshlrev_b32_e32 v25, 3, v25
	ds_store_b64 v25, v[27:28]
	s_or_b32 exec_lo, exec_lo, s12
	s_and_saveexec_b32 s11, s9
	s_cbranch_execz .LBB496_241
.LBB496_304:
	v_sub_nc_u32_e32 v25, v50, v65
	s_delay_alu instid0(VALU_DEP_1)
	v_lshlrev_b32_e32 v25, 3, v25
	ds_store_b64 v25, v[21:22]
	s_or_b32 exec_lo, exec_lo, s11
	s_and_saveexec_b32 s9, s8
	s_cbranch_execz .LBB496_242
.LBB496_305:
	v_sub_nc_u32_e32 v21, v49, v65
	s_delay_alu instid0(VALU_DEP_1)
	v_lshlrev_b32_e32 v21, 3, v21
	ds_store_b64 v21, v[23:24]
	s_or_b32 exec_lo, exec_lo, s9
	s_and_saveexec_b32 s8, s14
	s_cbranch_execz .LBB496_243
.LBB496_306:
	v_sub_nc_u32_e32 v21, v47, v65
	s_delay_alu instid0(VALU_DEP_1)
	v_lshlrev_b32_e32 v21, 3, v21
	ds_store_b64 v21, v[17:18]
	s_or_b32 exec_lo, exec_lo, s8
	s_and_saveexec_b32 s8, s13
	s_cbranch_execz .LBB496_244
.LBB496_307:
	v_sub_nc_u32_e32 v17, v46, v65
	s_delay_alu instid0(VALU_DEP_1)
	v_lshlrev_b32_e32 v17, 3, v17
	ds_store_b64 v17, v[19:20]
	s_or_b32 exec_lo, exec_lo, s8
	s_and_saveexec_b32 s8, s10
	s_cbranch_execz .LBB496_245
.LBB496_308:
	v_sub_nc_u32_e32 v17, v45, v65
	s_delay_alu instid0(VALU_DEP_1)
	v_lshlrev_b32_e32 v17, 3, v17
	ds_store_b64 v17, v[13:14]
	s_or_b32 exec_lo, exec_lo, s8
	s_and_saveexec_b32 s8, s7
	s_cbranch_execz .LBB496_246
.LBB496_309:
	v_sub_nc_u32_e32 v13, v44, v65
	s_delay_alu instid0(VALU_DEP_1)
	v_lshlrev_b32_e32 v13, 3, v13
	ds_store_b64 v13, v[15:16]
	s_or_b32 exec_lo, exec_lo, s8
	s_and_saveexec_b32 s7, s6
	s_cbranch_execz .LBB496_247
.LBB496_310:
	v_sub_nc_u32_e32 v13, v43, v65
	s_delay_alu instid0(VALU_DEP_1)
	v_lshlrev_b32_e32 v13, 3, v13
	ds_store_b64 v13, v[9:10]
	s_or_b32 exec_lo, exec_lo, s7
	s_and_saveexec_b32 s6, s5
	s_cbranch_execz .LBB496_248
.LBB496_311:
	v_sub_nc_u32_e32 v9, v42, v65
	s_delay_alu instid0(VALU_DEP_1)
	v_lshlrev_b32_e32 v9, 3, v9
	ds_store_b64 v9, v[11:12]
	s_or_b32 exec_lo, exec_lo, s6
	s_and_saveexec_b32 s5, s4
	s_cbranch_execz .LBB496_249
.LBB496_312:
	v_sub_nc_u32_e32 v9, v41, v65
	s_delay_alu instid0(VALU_DEP_1)
	v_lshlrev_b32_e32 v9, 3, v9
	ds_store_b64 v9, v[5:6]
	s_or_b32 exec_lo, exec_lo, s5
	s_and_saveexec_b32 s4, s3
	s_cbranch_execz .LBB496_250
.LBB496_313:
	v_sub_nc_u32_e32 v5, v40, v65
	s_delay_alu instid0(VALU_DEP_1)
	v_lshlrev_b32_e32 v5, 3, v5
	ds_store_b64 v5, v[7:8]
	s_or_b32 exec_lo, exec_lo, s4
	s_and_saveexec_b32 s3, s2
	s_cbranch_execz .LBB496_251
.LBB496_314:
	v_sub_nc_u32_e32 v5, v39, v65
	s_delay_alu instid0(VALU_DEP_1)
	v_lshlrev_b32_e32 v5, 3, v5
	ds_store_b64 v5, v[1:2]
	s_or_b32 exec_lo, exec_lo, s3
	s_and_saveexec_b32 s2, s1
	s_cbranch_execnz .LBB496_252
	s_branch .LBB496_253
.LBB496_315:
	v_sub_nc_u32_e32 v10, v114, v8
	v_mov_b32_e32 v11, 0
	s_delay_alu instid0(VALU_DEP_1) | instskip(NEXT) | instid1(VALU_DEP_1)
	v_lshlrev_b64 v[10:11], 3, v[10:11]
	v_add_co_u32 v10, vcc_lo, v6, v10
	s_delay_alu instid0(VALU_DEP_2)
	v_add_co_ci_u32_e32 v11, vcc_lo, v7, v11, vcc_lo
	global_store_b64 v[10:11], v[77:78], off
	s_or_b32 exec_lo, exec_lo, s17
	s_and_saveexec_b32 s17, s13
	s_cbranch_execz .LBB496_257
.LBB496_316:
	v_sub_nc_u32_e32 v10, v48, v8
	v_mov_b32_e32 v11, 0
	s_delay_alu instid0(VALU_DEP_1) | instskip(NEXT) | instid1(VALU_DEP_1)
	v_lshlrev_b64 v[10:11], 3, v[10:11]
	v_add_co_u32 v10, vcc_lo, v6, v10
	s_delay_alu instid0(VALU_DEP_2)
	v_add_co_ci_u32_e32 v11, vcc_lo, v7, v11, vcc_lo
	global_store_b64 v[10:11], v[75:76], off
	s_or_b32 exec_lo, exec_lo, s17
	s_and_saveexec_b32 s17, s12
	s_cbranch_execz .LBB496_258
.LBB496_317:
	v_sub_nc_u32_e32 v10, v50, v8
	v_mov_b32_e32 v11, 0
	s_delay_alu instid0(VALU_DEP_1) | instskip(NEXT) | instid1(VALU_DEP_1)
	v_lshlrev_b64 v[10:11], 3, v[10:11]
	v_add_co_u32 v10, vcc_lo, v6, v10
	s_delay_alu instid0(VALU_DEP_2)
	v_add_co_ci_u32_e32 v11, vcc_lo, v7, v11, vcc_lo
	global_store_b64 v[10:11], v[81:82], off
	s_or_b32 exec_lo, exec_lo, s17
	s_and_saveexec_b32 s17, s11
	s_cbranch_execz .LBB496_259
.LBB496_318:
	v_sub_nc_u32_e32 v10, v49, v8
	v_mov_b32_e32 v11, 0
	s_delay_alu instid0(VALU_DEP_1) | instskip(NEXT) | instid1(VALU_DEP_1)
	v_lshlrev_b64 v[10:11], 3, v[10:11]
	v_add_co_u32 v10, vcc_lo, v6, v10
	s_delay_alu instid0(VALU_DEP_2)
	v_add_co_ci_u32_e32 v11, vcc_lo, v7, v11, vcc_lo
	global_store_b64 v[10:11], v[85:86], off
	s_or_b32 exec_lo, exec_lo, s17
	s_and_saveexec_b32 s17, s10
	s_cbranch_execz .LBB496_260
.LBB496_319:
	v_sub_nc_u32_e32 v10, v47, v8
	v_mov_b32_e32 v11, 0
	s_delay_alu instid0(VALU_DEP_1) | instskip(NEXT) | instid1(VALU_DEP_1)
	v_lshlrev_b64 v[10:11], 3, v[10:11]
	v_add_co_u32 v10, vcc_lo, v6, v10
	s_delay_alu instid0(VALU_DEP_2)
	v_add_co_ci_u32_e32 v11, vcc_lo, v7, v11, vcc_lo
	global_store_b64 v[10:11], v[67:68], off
	s_or_b32 exec_lo, exec_lo, s17
	s_and_saveexec_b32 s17, s9
	s_cbranch_execz .LBB496_261
.LBB496_320:
	v_sub_nc_u32_e32 v10, v46, v8
	v_mov_b32_e32 v11, 0
	s_delay_alu instid0(VALU_DEP_1) | instskip(NEXT) | instid1(VALU_DEP_1)
	v_lshlrev_b64 v[10:11], 3, v[10:11]
	v_add_co_u32 v10, vcc_lo, v6, v10
	s_delay_alu instid0(VALU_DEP_2)
	v_add_co_ci_u32_e32 v11, vcc_lo, v7, v11, vcc_lo
	global_store_b64 v[10:11], v[71:72], off
	s_or_b32 exec_lo, exec_lo, s17
	s_and_saveexec_b32 s17, s8
	s_cbranch_execz .LBB496_262
.LBB496_321:
	v_sub_nc_u32_e32 v10, v45, v8
	v_mov_b32_e32 v11, 0
	s_delay_alu instid0(VALU_DEP_1) | instskip(NEXT) | instid1(VALU_DEP_1)
	v_lshlrev_b64 v[10:11], 3, v[10:11]
	v_add_co_u32 v10, vcc_lo, v6, v10
	s_delay_alu instid0(VALU_DEP_2)
	v_add_co_ci_u32_e32 v11, vcc_lo, v7, v11, vcc_lo
	global_store_b64 v[10:11], v[79:80], off
	s_or_b32 exec_lo, exec_lo, s17
	s_and_saveexec_b32 s17, s7
	s_cbranch_execz .LBB496_263
.LBB496_322:
	v_sub_nc_u32_e32 v10, v44, v8
	v_mov_b32_e32 v11, 0
	s_delay_alu instid0(VALU_DEP_1) | instskip(NEXT) | instid1(VALU_DEP_1)
	v_lshlrev_b64 v[10:11], 3, v[10:11]
	v_add_co_u32 v10, vcc_lo, v6, v10
	s_delay_alu instid0(VALU_DEP_2)
	v_add_co_ci_u32_e32 v11, vcc_lo, v7, v11, vcc_lo
	global_store_b64 v[10:11], v[83:84], off
	s_or_b32 exec_lo, exec_lo, s17
	s_and_saveexec_b32 s17, s6
	s_cbranch_execz .LBB496_264
.LBB496_323:
	v_sub_nc_u32_e32 v10, v43, v8
	v_mov_b32_e32 v11, 0
	s_delay_alu instid0(VALU_DEP_1) | instskip(NEXT) | instid1(VALU_DEP_1)
	v_lshlrev_b64 v[10:11], 3, v[10:11]
	v_add_co_u32 v10, vcc_lo, v6, v10
	s_delay_alu instid0(VALU_DEP_2)
	v_add_co_ci_u32_e32 v11, vcc_lo, v7, v11, vcc_lo
	global_store_b64 v[10:11], v[87:88], off
	s_or_b32 exec_lo, exec_lo, s17
	s_and_saveexec_b32 s17, s5
	s_cbranch_execz .LBB496_265
.LBB496_324:
	v_sub_nc_u32_e32 v10, v42, v8
	v_mov_b32_e32 v11, 0
	s_delay_alu instid0(VALU_DEP_1) | instskip(NEXT) | instid1(VALU_DEP_1)
	v_lshlrev_b64 v[10:11], 3, v[10:11]
	v_add_co_u32 v10, vcc_lo, v6, v10
	s_delay_alu instid0(VALU_DEP_2)
	v_add_co_ci_u32_e32 v11, vcc_lo, v7, v11, vcc_lo
	global_store_b64 v[10:11], v[69:70], off
	s_or_b32 exec_lo, exec_lo, s17
	s_and_saveexec_b32 s17, s4
	s_cbranch_execz .LBB496_266
.LBB496_325:
	v_sub_nc_u32_e32 v10, v41, v8
	v_mov_b32_e32 v11, 0
	s_delay_alu instid0(VALU_DEP_1) | instskip(NEXT) | instid1(VALU_DEP_1)
	v_lshlrev_b64 v[10:11], 3, v[10:11]
	v_add_co_u32 v10, vcc_lo, v6, v10
	s_delay_alu instid0(VALU_DEP_2)
	v_add_co_ci_u32_e32 v11, vcc_lo, v7, v11, vcc_lo
	global_store_b64 v[10:11], v[73:74], off
	s_or_b32 exec_lo, exec_lo, s17
	s_and_saveexec_b32 s17, s3
	s_cbranch_execz .LBB496_267
.LBB496_326:
	v_sub_nc_u32_e32 v10, v40, v8
	v_mov_b32_e32 v11, 0
	s_delay_alu instid0(VALU_DEP_1) | instskip(NEXT) | instid1(VALU_DEP_1)
	v_lshlrev_b64 v[10:11], 3, v[10:11]
	v_add_co_u32 v10, vcc_lo, v6, v10
	s_delay_alu instid0(VALU_DEP_2)
	v_add_co_ci_u32_e32 v11, vcc_lo, v7, v11, vcc_lo
	global_store_b64 v[10:11], v[89:90], off
	s_or_b32 exec_lo, exec_lo, s17
	s_and_saveexec_b32 s17, s2
	s_cbranch_execz .LBB496_268
.LBB496_327:
	v_sub_nc_u32_e32 v10, v39, v8
	v_mov_b32_e32 v11, 0
	s_delay_alu instid0(VALU_DEP_1) | instskip(NEXT) | instid1(VALU_DEP_1)
	v_lshlrev_b64 v[10:11], 3, v[10:11]
	v_add_co_u32 v10, vcc_lo, v6, v10
	s_delay_alu instid0(VALU_DEP_2)
	v_add_co_ci_u32_e32 v11, vcc_lo, v7, v11, vcc_lo
	global_store_b64 v[10:11], v[93:94], off
	s_or_b32 exec_lo, exec_lo, s17
	s_and_saveexec_b32 s17, s1
	s_cbranch_execnz .LBB496_269
	s_branch .LBB496_270
.LBB496_328:
	v_sub_nc_u32_e32 v9, v114, v8
	s_delay_alu instid0(VALU_DEP_1)
	v_lshlrev_b32_e32 v9, 3, v9
	ds_store_b64 v9, v[77:78]
	s_or_b32 exec_lo, exec_lo, s17
	s_and_saveexec_b32 s14, s13
	s_cbranch_execz .LBB496_274
.LBB496_329:
	v_sub_nc_u32_e32 v9, v48, v8
	s_delay_alu instid0(VALU_DEP_1)
	v_lshlrev_b32_e32 v9, 3, v9
	ds_store_b64 v9, v[75:76]
	s_or_b32 exec_lo, exec_lo, s14
	s_and_saveexec_b32 s13, s12
	s_cbranch_execz .LBB496_275
.LBB496_330:
	v_sub_nc_u32_e32 v9, v50, v8
	s_delay_alu instid0(VALU_DEP_1)
	v_lshlrev_b32_e32 v9, 3, v9
	ds_store_b64 v9, v[81:82]
	s_or_b32 exec_lo, exec_lo, s13
	s_and_saveexec_b32 s12, s11
	s_cbranch_execz .LBB496_276
.LBB496_331:
	v_sub_nc_u32_e32 v9, v49, v8
	s_delay_alu instid0(VALU_DEP_1)
	v_lshlrev_b32_e32 v9, 3, v9
	ds_store_b64 v9, v[85:86]
	s_or_b32 exec_lo, exec_lo, s12
	s_and_saveexec_b32 s11, s10
	s_cbranch_execz .LBB496_277
.LBB496_332:
	v_sub_nc_u32_e32 v9, v47, v8
	s_delay_alu instid0(VALU_DEP_1)
	v_lshlrev_b32_e32 v9, 3, v9
	ds_store_b64 v9, v[67:68]
	s_or_b32 exec_lo, exec_lo, s11
	s_and_saveexec_b32 s10, s9
	s_cbranch_execz .LBB496_278
.LBB496_333:
	v_sub_nc_u32_e32 v9, v46, v8
	s_delay_alu instid0(VALU_DEP_1)
	v_lshlrev_b32_e32 v9, 3, v9
	ds_store_b64 v9, v[71:72]
	s_or_b32 exec_lo, exec_lo, s10
	s_and_saveexec_b32 s9, s8
	s_cbranch_execz .LBB496_279
.LBB496_334:
	v_sub_nc_u32_e32 v9, v45, v8
	s_delay_alu instid0(VALU_DEP_1)
	v_lshlrev_b32_e32 v9, 3, v9
	ds_store_b64 v9, v[79:80]
	s_or_b32 exec_lo, exec_lo, s9
	s_and_saveexec_b32 s8, s7
	s_cbranch_execz .LBB496_280
.LBB496_335:
	v_sub_nc_u32_e32 v9, v44, v8
	s_delay_alu instid0(VALU_DEP_1)
	v_lshlrev_b32_e32 v9, 3, v9
	ds_store_b64 v9, v[83:84]
	s_or_b32 exec_lo, exec_lo, s8
	s_and_saveexec_b32 s7, s6
	s_cbranch_execz .LBB496_281
.LBB496_336:
	v_sub_nc_u32_e32 v9, v43, v8
	s_delay_alu instid0(VALU_DEP_1)
	v_lshlrev_b32_e32 v9, 3, v9
	ds_store_b64 v9, v[87:88]
	s_or_b32 exec_lo, exec_lo, s7
	s_and_saveexec_b32 s6, s5
	s_cbranch_execz .LBB496_282
.LBB496_337:
	v_sub_nc_u32_e32 v9, v42, v8
	s_delay_alu instid0(VALU_DEP_1)
	v_lshlrev_b32_e32 v9, 3, v9
	ds_store_b64 v9, v[69:70]
	s_or_b32 exec_lo, exec_lo, s6
	s_and_saveexec_b32 s5, s4
	s_cbranch_execz .LBB496_283
.LBB496_338:
	v_sub_nc_u32_e32 v9, v41, v8
	s_delay_alu instid0(VALU_DEP_1)
	v_lshlrev_b32_e32 v9, 3, v9
	ds_store_b64 v9, v[73:74]
	s_or_b32 exec_lo, exec_lo, s5
	s_and_saveexec_b32 s4, s3
	s_cbranch_execz .LBB496_284
.LBB496_339:
	v_sub_nc_u32_e32 v9, v40, v8
	s_delay_alu instid0(VALU_DEP_1)
	v_lshlrev_b32_e32 v9, 3, v9
	ds_store_b64 v9, v[89:90]
	s_or_b32 exec_lo, exec_lo, s4
	s_and_saveexec_b32 s3, s2
	s_cbranch_execz .LBB496_285
.LBB496_340:
	v_sub_nc_u32_e32 v9, v39, v8
	s_delay_alu instid0(VALU_DEP_1)
	v_lshlrev_b32_e32 v9, 3, v9
	ds_store_b64 v9, v[93:94]
	s_or_b32 exec_lo, exec_lo, s3
	s_and_saveexec_b32 s2, s1
	s_cbranch_execnz .LBB496_286
	s_branch .LBB496_287
	.section	.rodata,"a",@progbits
	.p2align	6, 0x0
	.amdhsa_kernel _ZN7rocprim17ROCPRIM_400000_NS6detail17trampoline_kernelINS0_14default_configENS1_29reduce_by_key_config_selectorIxxN6thrust23THRUST_200600_302600_NS4plusIxEEEEZZNS1_33reduce_by_key_impl_wrapped_configILNS1_25lookback_scan_determinismE0ES3_S9_NS6_6detail15normal_iteratorINS6_10device_ptrIxEEEESG_SG_SG_PmS8_NS6_8equal_toIxEEEE10hipError_tPvRmT2_T3_mT4_T5_T6_T7_T8_P12ihipStream_tbENKUlT_T0_E_clISt17integral_constantIbLb1EES10_IbLb0EEEEDaSW_SX_EUlSW_E_NS1_11comp_targetILNS1_3genE9ELNS1_11target_archE1100ELNS1_3gpuE3ELNS1_3repE0EEENS1_30default_config_static_selectorELNS0_4arch9wavefront6targetE0EEEvT1_
		.amdhsa_group_segment_fixed_size 30720
		.amdhsa_private_segment_fixed_size 0
		.amdhsa_kernarg_size 136
		.amdhsa_user_sgpr_count 15
		.amdhsa_user_sgpr_dispatch_ptr 0
		.amdhsa_user_sgpr_queue_ptr 0
		.amdhsa_user_sgpr_kernarg_segment_ptr 1
		.amdhsa_user_sgpr_dispatch_id 0
		.amdhsa_user_sgpr_private_segment_size 0
		.amdhsa_wavefront_size32 1
		.amdhsa_uses_dynamic_stack 0
		.amdhsa_enable_private_segment 0
		.amdhsa_system_sgpr_workgroup_id_x 1
		.amdhsa_system_sgpr_workgroup_id_y 0
		.amdhsa_system_sgpr_workgroup_id_z 0
		.amdhsa_system_sgpr_workgroup_info 0
		.amdhsa_system_vgpr_workitem_id 0
		.amdhsa_next_free_vgpr 121
		.amdhsa_next_free_sgpr 52
		.amdhsa_reserve_vcc 1
		.amdhsa_float_round_mode_32 0
		.amdhsa_float_round_mode_16_64 0
		.amdhsa_float_denorm_mode_32 3
		.amdhsa_float_denorm_mode_16_64 3
		.amdhsa_dx10_clamp 1
		.amdhsa_ieee_mode 1
		.amdhsa_fp16_overflow 0
		.amdhsa_workgroup_processor_mode 1
		.amdhsa_memory_ordered 1
		.amdhsa_forward_progress 0
		.amdhsa_shared_vgpr_count 0
		.amdhsa_exception_fp_ieee_invalid_op 0
		.amdhsa_exception_fp_denorm_src 0
		.amdhsa_exception_fp_ieee_div_zero 0
		.amdhsa_exception_fp_ieee_overflow 0
		.amdhsa_exception_fp_ieee_underflow 0
		.amdhsa_exception_fp_ieee_inexact 0
		.amdhsa_exception_int_div_zero 0
	.end_amdhsa_kernel
	.section	.text._ZN7rocprim17ROCPRIM_400000_NS6detail17trampoline_kernelINS0_14default_configENS1_29reduce_by_key_config_selectorIxxN6thrust23THRUST_200600_302600_NS4plusIxEEEEZZNS1_33reduce_by_key_impl_wrapped_configILNS1_25lookback_scan_determinismE0ES3_S9_NS6_6detail15normal_iteratorINS6_10device_ptrIxEEEESG_SG_SG_PmS8_NS6_8equal_toIxEEEE10hipError_tPvRmT2_T3_mT4_T5_T6_T7_T8_P12ihipStream_tbENKUlT_T0_E_clISt17integral_constantIbLb1EES10_IbLb0EEEEDaSW_SX_EUlSW_E_NS1_11comp_targetILNS1_3genE9ELNS1_11target_archE1100ELNS1_3gpuE3ELNS1_3repE0EEENS1_30default_config_static_selectorELNS0_4arch9wavefront6targetE0EEEvT1_,"axG",@progbits,_ZN7rocprim17ROCPRIM_400000_NS6detail17trampoline_kernelINS0_14default_configENS1_29reduce_by_key_config_selectorIxxN6thrust23THRUST_200600_302600_NS4plusIxEEEEZZNS1_33reduce_by_key_impl_wrapped_configILNS1_25lookback_scan_determinismE0ES3_S9_NS6_6detail15normal_iteratorINS6_10device_ptrIxEEEESG_SG_SG_PmS8_NS6_8equal_toIxEEEE10hipError_tPvRmT2_T3_mT4_T5_T6_T7_T8_P12ihipStream_tbENKUlT_T0_E_clISt17integral_constantIbLb1EES10_IbLb0EEEEDaSW_SX_EUlSW_E_NS1_11comp_targetILNS1_3genE9ELNS1_11target_archE1100ELNS1_3gpuE3ELNS1_3repE0EEENS1_30default_config_static_selectorELNS0_4arch9wavefront6targetE0EEEvT1_,comdat
.Lfunc_end496:
	.size	_ZN7rocprim17ROCPRIM_400000_NS6detail17trampoline_kernelINS0_14default_configENS1_29reduce_by_key_config_selectorIxxN6thrust23THRUST_200600_302600_NS4plusIxEEEEZZNS1_33reduce_by_key_impl_wrapped_configILNS1_25lookback_scan_determinismE0ES3_S9_NS6_6detail15normal_iteratorINS6_10device_ptrIxEEEESG_SG_SG_PmS8_NS6_8equal_toIxEEEE10hipError_tPvRmT2_T3_mT4_T5_T6_T7_T8_P12ihipStream_tbENKUlT_T0_E_clISt17integral_constantIbLb1EES10_IbLb0EEEEDaSW_SX_EUlSW_E_NS1_11comp_targetILNS1_3genE9ELNS1_11target_archE1100ELNS1_3gpuE3ELNS1_3repE0EEENS1_30default_config_static_selectorELNS0_4arch9wavefront6targetE0EEEvT1_, .Lfunc_end496-_ZN7rocprim17ROCPRIM_400000_NS6detail17trampoline_kernelINS0_14default_configENS1_29reduce_by_key_config_selectorIxxN6thrust23THRUST_200600_302600_NS4plusIxEEEEZZNS1_33reduce_by_key_impl_wrapped_configILNS1_25lookback_scan_determinismE0ES3_S9_NS6_6detail15normal_iteratorINS6_10device_ptrIxEEEESG_SG_SG_PmS8_NS6_8equal_toIxEEEE10hipError_tPvRmT2_T3_mT4_T5_T6_T7_T8_P12ihipStream_tbENKUlT_T0_E_clISt17integral_constantIbLb1EES10_IbLb0EEEEDaSW_SX_EUlSW_E_NS1_11comp_targetILNS1_3genE9ELNS1_11target_archE1100ELNS1_3gpuE3ELNS1_3repE0EEENS1_30default_config_static_selectorELNS0_4arch9wavefront6targetE0EEEvT1_
                                        ; -- End function
	.section	.AMDGPU.csdata,"",@progbits
; Kernel info:
; codeLenInByte = 19220
; NumSgprs: 54
; NumVgprs: 121
; ScratchSize: 0
; MemoryBound: 0
; FloatMode: 240
; IeeeMode: 1
; LDSByteSize: 30720 bytes/workgroup (compile time only)
; SGPRBlocks: 6
; VGPRBlocks: 15
; NumSGPRsForWavesPerEU: 54
; NumVGPRsForWavesPerEU: 121
; Occupancy: 8
; WaveLimiterHint : 1
; COMPUTE_PGM_RSRC2:SCRATCH_EN: 0
; COMPUTE_PGM_RSRC2:USER_SGPR: 15
; COMPUTE_PGM_RSRC2:TRAP_HANDLER: 0
; COMPUTE_PGM_RSRC2:TGID_X_EN: 1
; COMPUTE_PGM_RSRC2:TGID_Y_EN: 0
; COMPUTE_PGM_RSRC2:TGID_Z_EN: 0
; COMPUTE_PGM_RSRC2:TIDIG_COMP_CNT: 0
	.section	.text._ZN7rocprim17ROCPRIM_400000_NS6detail17trampoline_kernelINS0_14default_configENS1_29reduce_by_key_config_selectorIxxN6thrust23THRUST_200600_302600_NS4plusIxEEEEZZNS1_33reduce_by_key_impl_wrapped_configILNS1_25lookback_scan_determinismE0ES3_S9_NS6_6detail15normal_iteratorINS6_10device_ptrIxEEEESG_SG_SG_PmS8_NS6_8equal_toIxEEEE10hipError_tPvRmT2_T3_mT4_T5_T6_T7_T8_P12ihipStream_tbENKUlT_T0_E_clISt17integral_constantIbLb1EES10_IbLb0EEEEDaSW_SX_EUlSW_E_NS1_11comp_targetILNS1_3genE8ELNS1_11target_archE1030ELNS1_3gpuE2ELNS1_3repE0EEENS1_30default_config_static_selectorELNS0_4arch9wavefront6targetE0EEEvT1_,"axG",@progbits,_ZN7rocprim17ROCPRIM_400000_NS6detail17trampoline_kernelINS0_14default_configENS1_29reduce_by_key_config_selectorIxxN6thrust23THRUST_200600_302600_NS4plusIxEEEEZZNS1_33reduce_by_key_impl_wrapped_configILNS1_25lookback_scan_determinismE0ES3_S9_NS6_6detail15normal_iteratorINS6_10device_ptrIxEEEESG_SG_SG_PmS8_NS6_8equal_toIxEEEE10hipError_tPvRmT2_T3_mT4_T5_T6_T7_T8_P12ihipStream_tbENKUlT_T0_E_clISt17integral_constantIbLb1EES10_IbLb0EEEEDaSW_SX_EUlSW_E_NS1_11comp_targetILNS1_3genE8ELNS1_11target_archE1030ELNS1_3gpuE2ELNS1_3repE0EEENS1_30default_config_static_selectorELNS0_4arch9wavefront6targetE0EEEvT1_,comdat
	.protected	_ZN7rocprim17ROCPRIM_400000_NS6detail17trampoline_kernelINS0_14default_configENS1_29reduce_by_key_config_selectorIxxN6thrust23THRUST_200600_302600_NS4plusIxEEEEZZNS1_33reduce_by_key_impl_wrapped_configILNS1_25lookback_scan_determinismE0ES3_S9_NS6_6detail15normal_iteratorINS6_10device_ptrIxEEEESG_SG_SG_PmS8_NS6_8equal_toIxEEEE10hipError_tPvRmT2_T3_mT4_T5_T6_T7_T8_P12ihipStream_tbENKUlT_T0_E_clISt17integral_constantIbLb1EES10_IbLb0EEEEDaSW_SX_EUlSW_E_NS1_11comp_targetILNS1_3genE8ELNS1_11target_archE1030ELNS1_3gpuE2ELNS1_3repE0EEENS1_30default_config_static_selectorELNS0_4arch9wavefront6targetE0EEEvT1_ ; -- Begin function _ZN7rocprim17ROCPRIM_400000_NS6detail17trampoline_kernelINS0_14default_configENS1_29reduce_by_key_config_selectorIxxN6thrust23THRUST_200600_302600_NS4plusIxEEEEZZNS1_33reduce_by_key_impl_wrapped_configILNS1_25lookback_scan_determinismE0ES3_S9_NS6_6detail15normal_iteratorINS6_10device_ptrIxEEEESG_SG_SG_PmS8_NS6_8equal_toIxEEEE10hipError_tPvRmT2_T3_mT4_T5_T6_T7_T8_P12ihipStream_tbENKUlT_T0_E_clISt17integral_constantIbLb1EES10_IbLb0EEEEDaSW_SX_EUlSW_E_NS1_11comp_targetILNS1_3genE8ELNS1_11target_archE1030ELNS1_3gpuE2ELNS1_3repE0EEENS1_30default_config_static_selectorELNS0_4arch9wavefront6targetE0EEEvT1_
	.globl	_ZN7rocprim17ROCPRIM_400000_NS6detail17trampoline_kernelINS0_14default_configENS1_29reduce_by_key_config_selectorIxxN6thrust23THRUST_200600_302600_NS4plusIxEEEEZZNS1_33reduce_by_key_impl_wrapped_configILNS1_25lookback_scan_determinismE0ES3_S9_NS6_6detail15normal_iteratorINS6_10device_ptrIxEEEESG_SG_SG_PmS8_NS6_8equal_toIxEEEE10hipError_tPvRmT2_T3_mT4_T5_T6_T7_T8_P12ihipStream_tbENKUlT_T0_E_clISt17integral_constantIbLb1EES10_IbLb0EEEEDaSW_SX_EUlSW_E_NS1_11comp_targetILNS1_3genE8ELNS1_11target_archE1030ELNS1_3gpuE2ELNS1_3repE0EEENS1_30default_config_static_selectorELNS0_4arch9wavefront6targetE0EEEvT1_
	.p2align	8
	.type	_ZN7rocprim17ROCPRIM_400000_NS6detail17trampoline_kernelINS0_14default_configENS1_29reduce_by_key_config_selectorIxxN6thrust23THRUST_200600_302600_NS4plusIxEEEEZZNS1_33reduce_by_key_impl_wrapped_configILNS1_25lookback_scan_determinismE0ES3_S9_NS6_6detail15normal_iteratorINS6_10device_ptrIxEEEESG_SG_SG_PmS8_NS6_8equal_toIxEEEE10hipError_tPvRmT2_T3_mT4_T5_T6_T7_T8_P12ihipStream_tbENKUlT_T0_E_clISt17integral_constantIbLb1EES10_IbLb0EEEEDaSW_SX_EUlSW_E_NS1_11comp_targetILNS1_3genE8ELNS1_11target_archE1030ELNS1_3gpuE2ELNS1_3repE0EEENS1_30default_config_static_selectorELNS0_4arch9wavefront6targetE0EEEvT1_,@function
_ZN7rocprim17ROCPRIM_400000_NS6detail17trampoline_kernelINS0_14default_configENS1_29reduce_by_key_config_selectorIxxN6thrust23THRUST_200600_302600_NS4plusIxEEEEZZNS1_33reduce_by_key_impl_wrapped_configILNS1_25lookback_scan_determinismE0ES3_S9_NS6_6detail15normal_iteratorINS6_10device_ptrIxEEEESG_SG_SG_PmS8_NS6_8equal_toIxEEEE10hipError_tPvRmT2_T3_mT4_T5_T6_T7_T8_P12ihipStream_tbENKUlT_T0_E_clISt17integral_constantIbLb1EES10_IbLb0EEEEDaSW_SX_EUlSW_E_NS1_11comp_targetILNS1_3genE8ELNS1_11target_archE1030ELNS1_3gpuE2ELNS1_3repE0EEENS1_30default_config_static_selectorELNS0_4arch9wavefront6targetE0EEEvT1_: ; @_ZN7rocprim17ROCPRIM_400000_NS6detail17trampoline_kernelINS0_14default_configENS1_29reduce_by_key_config_selectorIxxN6thrust23THRUST_200600_302600_NS4plusIxEEEEZZNS1_33reduce_by_key_impl_wrapped_configILNS1_25lookback_scan_determinismE0ES3_S9_NS6_6detail15normal_iteratorINS6_10device_ptrIxEEEESG_SG_SG_PmS8_NS6_8equal_toIxEEEE10hipError_tPvRmT2_T3_mT4_T5_T6_T7_T8_P12ihipStream_tbENKUlT_T0_E_clISt17integral_constantIbLb1EES10_IbLb0EEEEDaSW_SX_EUlSW_E_NS1_11comp_targetILNS1_3genE8ELNS1_11target_archE1030ELNS1_3gpuE2ELNS1_3repE0EEENS1_30default_config_static_selectorELNS0_4arch9wavefront6targetE0EEEvT1_
; %bb.0:
	.section	.rodata,"a",@progbits
	.p2align	6, 0x0
	.amdhsa_kernel _ZN7rocprim17ROCPRIM_400000_NS6detail17trampoline_kernelINS0_14default_configENS1_29reduce_by_key_config_selectorIxxN6thrust23THRUST_200600_302600_NS4plusIxEEEEZZNS1_33reduce_by_key_impl_wrapped_configILNS1_25lookback_scan_determinismE0ES3_S9_NS6_6detail15normal_iteratorINS6_10device_ptrIxEEEESG_SG_SG_PmS8_NS6_8equal_toIxEEEE10hipError_tPvRmT2_T3_mT4_T5_T6_T7_T8_P12ihipStream_tbENKUlT_T0_E_clISt17integral_constantIbLb1EES10_IbLb0EEEEDaSW_SX_EUlSW_E_NS1_11comp_targetILNS1_3genE8ELNS1_11target_archE1030ELNS1_3gpuE2ELNS1_3repE0EEENS1_30default_config_static_selectorELNS0_4arch9wavefront6targetE0EEEvT1_
		.amdhsa_group_segment_fixed_size 0
		.amdhsa_private_segment_fixed_size 0
		.amdhsa_kernarg_size 136
		.amdhsa_user_sgpr_count 15
		.amdhsa_user_sgpr_dispatch_ptr 0
		.amdhsa_user_sgpr_queue_ptr 0
		.amdhsa_user_sgpr_kernarg_segment_ptr 1
		.amdhsa_user_sgpr_dispatch_id 0
		.amdhsa_user_sgpr_private_segment_size 0
		.amdhsa_wavefront_size32 1
		.amdhsa_uses_dynamic_stack 0
		.amdhsa_enable_private_segment 0
		.amdhsa_system_sgpr_workgroup_id_x 1
		.amdhsa_system_sgpr_workgroup_id_y 0
		.amdhsa_system_sgpr_workgroup_id_z 0
		.amdhsa_system_sgpr_workgroup_info 0
		.amdhsa_system_vgpr_workitem_id 0
		.amdhsa_next_free_vgpr 1
		.amdhsa_next_free_sgpr 1
		.amdhsa_reserve_vcc 0
		.amdhsa_float_round_mode_32 0
		.amdhsa_float_round_mode_16_64 0
		.amdhsa_float_denorm_mode_32 3
		.amdhsa_float_denorm_mode_16_64 3
		.amdhsa_dx10_clamp 1
		.amdhsa_ieee_mode 1
		.amdhsa_fp16_overflow 0
		.amdhsa_workgroup_processor_mode 1
		.amdhsa_memory_ordered 1
		.amdhsa_forward_progress 0
		.amdhsa_shared_vgpr_count 0
		.amdhsa_exception_fp_ieee_invalid_op 0
		.amdhsa_exception_fp_denorm_src 0
		.amdhsa_exception_fp_ieee_div_zero 0
		.amdhsa_exception_fp_ieee_overflow 0
		.amdhsa_exception_fp_ieee_underflow 0
		.amdhsa_exception_fp_ieee_inexact 0
		.amdhsa_exception_int_div_zero 0
	.end_amdhsa_kernel
	.section	.text._ZN7rocprim17ROCPRIM_400000_NS6detail17trampoline_kernelINS0_14default_configENS1_29reduce_by_key_config_selectorIxxN6thrust23THRUST_200600_302600_NS4plusIxEEEEZZNS1_33reduce_by_key_impl_wrapped_configILNS1_25lookback_scan_determinismE0ES3_S9_NS6_6detail15normal_iteratorINS6_10device_ptrIxEEEESG_SG_SG_PmS8_NS6_8equal_toIxEEEE10hipError_tPvRmT2_T3_mT4_T5_T6_T7_T8_P12ihipStream_tbENKUlT_T0_E_clISt17integral_constantIbLb1EES10_IbLb0EEEEDaSW_SX_EUlSW_E_NS1_11comp_targetILNS1_3genE8ELNS1_11target_archE1030ELNS1_3gpuE2ELNS1_3repE0EEENS1_30default_config_static_selectorELNS0_4arch9wavefront6targetE0EEEvT1_,"axG",@progbits,_ZN7rocprim17ROCPRIM_400000_NS6detail17trampoline_kernelINS0_14default_configENS1_29reduce_by_key_config_selectorIxxN6thrust23THRUST_200600_302600_NS4plusIxEEEEZZNS1_33reduce_by_key_impl_wrapped_configILNS1_25lookback_scan_determinismE0ES3_S9_NS6_6detail15normal_iteratorINS6_10device_ptrIxEEEESG_SG_SG_PmS8_NS6_8equal_toIxEEEE10hipError_tPvRmT2_T3_mT4_T5_T6_T7_T8_P12ihipStream_tbENKUlT_T0_E_clISt17integral_constantIbLb1EES10_IbLb0EEEEDaSW_SX_EUlSW_E_NS1_11comp_targetILNS1_3genE8ELNS1_11target_archE1030ELNS1_3gpuE2ELNS1_3repE0EEENS1_30default_config_static_selectorELNS0_4arch9wavefront6targetE0EEEvT1_,comdat
.Lfunc_end497:
	.size	_ZN7rocprim17ROCPRIM_400000_NS6detail17trampoline_kernelINS0_14default_configENS1_29reduce_by_key_config_selectorIxxN6thrust23THRUST_200600_302600_NS4plusIxEEEEZZNS1_33reduce_by_key_impl_wrapped_configILNS1_25lookback_scan_determinismE0ES3_S9_NS6_6detail15normal_iteratorINS6_10device_ptrIxEEEESG_SG_SG_PmS8_NS6_8equal_toIxEEEE10hipError_tPvRmT2_T3_mT4_T5_T6_T7_T8_P12ihipStream_tbENKUlT_T0_E_clISt17integral_constantIbLb1EES10_IbLb0EEEEDaSW_SX_EUlSW_E_NS1_11comp_targetILNS1_3genE8ELNS1_11target_archE1030ELNS1_3gpuE2ELNS1_3repE0EEENS1_30default_config_static_selectorELNS0_4arch9wavefront6targetE0EEEvT1_, .Lfunc_end497-_ZN7rocprim17ROCPRIM_400000_NS6detail17trampoline_kernelINS0_14default_configENS1_29reduce_by_key_config_selectorIxxN6thrust23THRUST_200600_302600_NS4plusIxEEEEZZNS1_33reduce_by_key_impl_wrapped_configILNS1_25lookback_scan_determinismE0ES3_S9_NS6_6detail15normal_iteratorINS6_10device_ptrIxEEEESG_SG_SG_PmS8_NS6_8equal_toIxEEEE10hipError_tPvRmT2_T3_mT4_T5_T6_T7_T8_P12ihipStream_tbENKUlT_T0_E_clISt17integral_constantIbLb1EES10_IbLb0EEEEDaSW_SX_EUlSW_E_NS1_11comp_targetILNS1_3genE8ELNS1_11target_archE1030ELNS1_3gpuE2ELNS1_3repE0EEENS1_30default_config_static_selectorELNS0_4arch9wavefront6targetE0EEEvT1_
                                        ; -- End function
	.section	.AMDGPU.csdata,"",@progbits
; Kernel info:
; codeLenInByte = 0
; NumSgprs: 0
; NumVgprs: 0
; ScratchSize: 0
; MemoryBound: 0
; FloatMode: 240
; IeeeMode: 1
; LDSByteSize: 0 bytes/workgroup (compile time only)
; SGPRBlocks: 0
; VGPRBlocks: 0
; NumSGPRsForWavesPerEU: 1
; NumVGPRsForWavesPerEU: 1
; Occupancy: 16
; WaveLimiterHint : 0
; COMPUTE_PGM_RSRC2:SCRATCH_EN: 0
; COMPUTE_PGM_RSRC2:USER_SGPR: 15
; COMPUTE_PGM_RSRC2:TRAP_HANDLER: 0
; COMPUTE_PGM_RSRC2:TGID_X_EN: 1
; COMPUTE_PGM_RSRC2:TGID_Y_EN: 0
; COMPUTE_PGM_RSRC2:TGID_Z_EN: 0
; COMPUTE_PGM_RSRC2:TIDIG_COMP_CNT: 0
	.section	.text._ZN7rocprim17ROCPRIM_400000_NS6detail25reduce_by_key_init_kernelINS1_19lookback_scan_stateINS0_5tupleIJjxEEELb0ELb0EEExNS1_16block_id_wrapperIjLb1EEEEEvT_jbjPmPT0_T1_,"axG",@progbits,_ZN7rocprim17ROCPRIM_400000_NS6detail25reduce_by_key_init_kernelINS1_19lookback_scan_stateINS0_5tupleIJjxEEELb0ELb0EEExNS1_16block_id_wrapperIjLb1EEEEEvT_jbjPmPT0_T1_,comdat
	.protected	_ZN7rocprim17ROCPRIM_400000_NS6detail25reduce_by_key_init_kernelINS1_19lookback_scan_stateINS0_5tupleIJjxEEELb0ELb0EEExNS1_16block_id_wrapperIjLb1EEEEEvT_jbjPmPT0_T1_ ; -- Begin function _ZN7rocprim17ROCPRIM_400000_NS6detail25reduce_by_key_init_kernelINS1_19lookback_scan_stateINS0_5tupleIJjxEEELb0ELb0EEExNS1_16block_id_wrapperIjLb1EEEEEvT_jbjPmPT0_T1_
	.globl	_ZN7rocprim17ROCPRIM_400000_NS6detail25reduce_by_key_init_kernelINS1_19lookback_scan_stateINS0_5tupleIJjxEEELb0ELb0EEExNS1_16block_id_wrapperIjLb1EEEEEvT_jbjPmPT0_T1_
	.p2align	8
	.type	_ZN7rocprim17ROCPRIM_400000_NS6detail25reduce_by_key_init_kernelINS1_19lookback_scan_stateINS0_5tupleIJjxEEELb0ELb0EEExNS1_16block_id_wrapperIjLb1EEEEEvT_jbjPmPT0_T1_,@function
_ZN7rocprim17ROCPRIM_400000_NS6detail25reduce_by_key_init_kernelINS1_19lookback_scan_stateINS0_5tupleIJjxEEELb0ELb0EEExNS1_16block_id_wrapperIjLb1EEEEEvT_jbjPmPT0_T1_: ; @_ZN7rocprim17ROCPRIM_400000_NS6detail25reduce_by_key_init_kernelINS1_19lookback_scan_stateINS0_5tupleIJjxEEELb0ELb0EEExNS1_16block_id_wrapperIjLb1EEEEEvT_jbjPmPT0_T1_
; %bb.0:
	s_clause 0x3
	s_load_b32 s2, s[0:1], 0x4c
	s_load_b256 s[4:11], s[0:1], 0x18
	s_load_b64 s[16:17], s[0:1], 0x38
	s_load_b64 s[12:13], s[0:1], 0x10
	s_waitcnt lgkmcnt(0)
	s_and_b32 s2, s2, 0xffff
	s_delay_alu instid0(SALU_CYCLE_1) | instskip(SKIP_1) | instid1(SALU_CYCLE_1)
	v_mad_u64_u32 v[1:2], null, s15, s2, v[0:1]
	s_and_b32 s2, s5, 1
	s_cmp_eq_u32 s2, 0
	s_mov_b32 s2, -1
	s_cbranch_scc0 .LBB498_7
; %bb.1:
	s_cmp_lt_u32 s6, s4
	s_mov_b32 s5, exec_lo
	s_cselect_b32 s2, s6, 0
	s_delay_alu instid0(SALU_CYCLE_1)
	v_cmpx_eq_u32_e64 s2, v1
	s_cbranch_execz .LBB498_6
; %bb.2:
	s_add_i32 s6, s6, 32
	s_load_b128 s[0:3], s[0:1], 0x0
	v_mov_b32_e32 v0, s6
	s_add_u32 s14, s12, s6
	s_addc_u32 s15, s13, 0
	s_mov_b32 s7, 0
	global_load_u8 v0, v0, s[12:13] glc
	s_waitcnt vmcnt(0)
	v_cmp_ne_u16_e32 vcc_lo, 0, v0
	v_readfirstlane_b32 s18, v0
	s_cbranch_vccnz .LBB498_5
; %bb.3:
	v_mov_b32_e32 v0, 0
.LBB498_4:                              ; =>This Inner Loop Header: Depth=1
	global_load_u8 v2, v0, s[14:15] glc
	s_waitcnt vmcnt(0)
	v_cmp_eq_u16_e32 vcc_lo, 0, v2
	v_readfirstlane_b32 s18, v2
	s_cbranch_vccnz .LBB498_4
.LBB498_5:
	s_delay_alu instid0(VALU_DEP_1)
	s_and_b32 s14, 0xffff, s18
	v_mov_b32_e32 v0, 0
	s_cmp_eq_u32 s14, 1
	s_waitcnt lgkmcnt(0)
	buffer_gl1_inv
	buffer_gl0_inv
	s_cselect_b32 s3, s1, s3
	s_cselect_b32 s2, s0, s2
	s_lshl_b64 s[0:1], s[6:7], 4
	s_delay_alu instid0(SALU_CYCLE_1)
	s_add_u32 s0, s2, s0
	s_addc_u32 s1, s3, s1
	s_clause 0x2
	global_load_b64 v[2:3], v0, s[8:9]
	global_load_b32 v6, v0, s[0:1]
	global_load_b64 v[4:5], v0, s[0:1] offset:8
	s_waitcnt vmcnt(1)
	v_add_co_u32 v2, vcc_lo, v2, v6
	v_add_co_ci_u32_e32 v3, vcc_lo, 0, v3, vcc_lo
	global_store_b64 v0, v[2:3], s[8:9]
	s_waitcnt vmcnt(0)
	global_store_b64 v0, v[4:5], s[10:11]
.LBB498_6:
	s_or_b32 exec_lo, exec_lo, s5
	s_mov_b32 s2, 0
.LBB498_7:
	s_delay_alu instid0(VALU_DEP_1)
	v_cmp_eq_u32_e64 s0, 0, v1
	s_and_not1_b32 vcc_lo, exec_lo, s2
	s_cbranch_vccnz .LBB498_11
; %bb.8:
	s_cmp_lg_u64 s[8:9], 0
	s_cselect_b32 s1, -1, 0
	s_delay_alu instid0(SALU_CYCLE_1) | instskip(NEXT) | instid1(SALU_CYCLE_1)
	s_and_b32 s1, s1, s0
	s_and_saveexec_b32 s0, s1
	s_cbranch_execz .LBB498_10
; %bb.9:
	v_mov_b32_e32 v2, 0
	s_delay_alu instid0(VALU_DEP_1)
	v_mov_b32_e32 v3, v2
	global_store_b64 v2, v[2:3], s[8:9]
.LBB498_10:
	s_or_b32 exec_lo, exec_lo, s0
.LBB498_11:
	s_delay_alu instid0(SALU_CYCLE_1)
	s_mov_b32 s0, exec_lo
	v_cmpx_eq_u32_e32 0, v1
	s_cbranch_execz .LBB498_13
; %bb.12:
	v_mov_b32_e32 v0, 0
	global_store_b32 v0, v0, s[16:17]
.LBB498_13:
	s_or_b32 exec_lo, exec_lo, s0
	s_delay_alu instid0(SALU_CYCLE_1)
	s_mov_b32 s0, exec_lo
	v_cmpx_gt_u32_e64 s4, v1
	s_cbranch_execz .LBB498_15
; %bb.14:
	v_add_nc_u32_e32 v0, 32, v1
	v_mov_b32_e32 v2, 0
	global_store_b8 v0, v2, s[12:13]
.LBB498_15:
	s_or_b32 exec_lo, exec_lo, s0
	s_delay_alu instid0(SALU_CYCLE_1)
	s_mov_b32 s0, exec_lo
	v_cmpx_gt_u32_e32 32, v1
	s_cbranch_execz .LBB498_17
; %bb.16:
	v_mov_b32_e32 v0, 0xff
	global_store_b8 v1, v0, s[12:13]
.LBB498_17:
	s_nop 0
	s_sendmsg sendmsg(MSG_DEALLOC_VGPRS)
	s_endpgm
	.section	.rodata,"a",@progbits
	.p2align	6, 0x0
	.amdhsa_kernel _ZN7rocprim17ROCPRIM_400000_NS6detail25reduce_by_key_init_kernelINS1_19lookback_scan_stateINS0_5tupleIJjxEEELb0ELb0EEExNS1_16block_id_wrapperIjLb1EEEEEvT_jbjPmPT0_T1_
		.amdhsa_group_segment_fixed_size 0
		.amdhsa_private_segment_fixed_size 0
		.amdhsa_kernarg_size 320
		.amdhsa_user_sgpr_count 15
		.amdhsa_user_sgpr_dispatch_ptr 0
		.amdhsa_user_sgpr_queue_ptr 0
		.amdhsa_user_sgpr_kernarg_segment_ptr 1
		.amdhsa_user_sgpr_dispatch_id 0
		.amdhsa_user_sgpr_private_segment_size 0
		.amdhsa_wavefront_size32 1
		.amdhsa_uses_dynamic_stack 0
		.amdhsa_enable_private_segment 0
		.amdhsa_system_sgpr_workgroup_id_x 1
		.amdhsa_system_sgpr_workgroup_id_y 0
		.amdhsa_system_sgpr_workgroup_id_z 0
		.amdhsa_system_sgpr_workgroup_info 0
		.amdhsa_system_vgpr_workitem_id 0
		.amdhsa_next_free_vgpr 7
		.amdhsa_next_free_sgpr 19
		.amdhsa_reserve_vcc 1
		.amdhsa_float_round_mode_32 0
		.amdhsa_float_round_mode_16_64 0
		.amdhsa_float_denorm_mode_32 3
		.amdhsa_float_denorm_mode_16_64 3
		.amdhsa_dx10_clamp 1
		.amdhsa_ieee_mode 1
		.amdhsa_fp16_overflow 0
		.amdhsa_workgroup_processor_mode 1
		.amdhsa_memory_ordered 1
		.amdhsa_forward_progress 0
		.amdhsa_shared_vgpr_count 0
		.amdhsa_exception_fp_ieee_invalid_op 0
		.amdhsa_exception_fp_denorm_src 0
		.amdhsa_exception_fp_ieee_div_zero 0
		.amdhsa_exception_fp_ieee_overflow 0
		.amdhsa_exception_fp_ieee_underflow 0
		.amdhsa_exception_fp_ieee_inexact 0
		.amdhsa_exception_int_div_zero 0
	.end_amdhsa_kernel
	.section	.text._ZN7rocprim17ROCPRIM_400000_NS6detail25reduce_by_key_init_kernelINS1_19lookback_scan_stateINS0_5tupleIJjxEEELb0ELb0EEExNS1_16block_id_wrapperIjLb1EEEEEvT_jbjPmPT0_T1_,"axG",@progbits,_ZN7rocprim17ROCPRIM_400000_NS6detail25reduce_by_key_init_kernelINS1_19lookback_scan_stateINS0_5tupleIJjxEEELb0ELb0EEExNS1_16block_id_wrapperIjLb1EEEEEvT_jbjPmPT0_T1_,comdat
.Lfunc_end498:
	.size	_ZN7rocprim17ROCPRIM_400000_NS6detail25reduce_by_key_init_kernelINS1_19lookback_scan_stateINS0_5tupleIJjxEEELb0ELb0EEExNS1_16block_id_wrapperIjLb1EEEEEvT_jbjPmPT0_T1_, .Lfunc_end498-_ZN7rocprim17ROCPRIM_400000_NS6detail25reduce_by_key_init_kernelINS1_19lookback_scan_stateINS0_5tupleIJjxEEELb0ELb0EEExNS1_16block_id_wrapperIjLb1EEEEEvT_jbjPmPT0_T1_
                                        ; -- End function
	.section	.AMDGPU.csdata,"",@progbits
; Kernel info:
; codeLenInByte = 504
; NumSgprs: 21
; NumVgprs: 7
; ScratchSize: 0
; MemoryBound: 0
; FloatMode: 240
; IeeeMode: 1
; LDSByteSize: 0 bytes/workgroup (compile time only)
; SGPRBlocks: 2
; VGPRBlocks: 0
; NumSGPRsForWavesPerEU: 21
; NumVGPRsForWavesPerEU: 7
; Occupancy: 16
; WaveLimiterHint : 0
; COMPUTE_PGM_RSRC2:SCRATCH_EN: 0
; COMPUTE_PGM_RSRC2:USER_SGPR: 15
; COMPUTE_PGM_RSRC2:TRAP_HANDLER: 0
; COMPUTE_PGM_RSRC2:TGID_X_EN: 1
; COMPUTE_PGM_RSRC2:TGID_Y_EN: 0
; COMPUTE_PGM_RSRC2:TGID_Z_EN: 0
; COMPUTE_PGM_RSRC2:TIDIG_COMP_CNT: 0
	.section	.text._ZN7rocprim17ROCPRIM_400000_NS6detail17trampoline_kernelINS0_14default_configENS1_29reduce_by_key_config_selectorIxxN6thrust23THRUST_200600_302600_NS4plusIxEEEEZZNS1_33reduce_by_key_impl_wrapped_configILNS1_25lookback_scan_determinismE0ES3_S9_NS6_6detail15normal_iteratorINS6_10device_ptrIxEEEESG_SG_SG_PmS8_NS6_8equal_toIxEEEE10hipError_tPvRmT2_T3_mT4_T5_T6_T7_T8_P12ihipStream_tbENKUlT_T0_E_clISt17integral_constantIbLb0EES10_IbLb1EEEEDaSW_SX_EUlSW_E_NS1_11comp_targetILNS1_3genE0ELNS1_11target_archE4294967295ELNS1_3gpuE0ELNS1_3repE0EEENS1_30default_config_static_selectorELNS0_4arch9wavefront6targetE0EEEvT1_,"axG",@progbits,_ZN7rocprim17ROCPRIM_400000_NS6detail17trampoline_kernelINS0_14default_configENS1_29reduce_by_key_config_selectorIxxN6thrust23THRUST_200600_302600_NS4plusIxEEEEZZNS1_33reduce_by_key_impl_wrapped_configILNS1_25lookback_scan_determinismE0ES3_S9_NS6_6detail15normal_iteratorINS6_10device_ptrIxEEEESG_SG_SG_PmS8_NS6_8equal_toIxEEEE10hipError_tPvRmT2_T3_mT4_T5_T6_T7_T8_P12ihipStream_tbENKUlT_T0_E_clISt17integral_constantIbLb0EES10_IbLb1EEEEDaSW_SX_EUlSW_E_NS1_11comp_targetILNS1_3genE0ELNS1_11target_archE4294967295ELNS1_3gpuE0ELNS1_3repE0EEENS1_30default_config_static_selectorELNS0_4arch9wavefront6targetE0EEEvT1_,comdat
	.protected	_ZN7rocprim17ROCPRIM_400000_NS6detail17trampoline_kernelINS0_14default_configENS1_29reduce_by_key_config_selectorIxxN6thrust23THRUST_200600_302600_NS4plusIxEEEEZZNS1_33reduce_by_key_impl_wrapped_configILNS1_25lookback_scan_determinismE0ES3_S9_NS6_6detail15normal_iteratorINS6_10device_ptrIxEEEESG_SG_SG_PmS8_NS6_8equal_toIxEEEE10hipError_tPvRmT2_T3_mT4_T5_T6_T7_T8_P12ihipStream_tbENKUlT_T0_E_clISt17integral_constantIbLb0EES10_IbLb1EEEEDaSW_SX_EUlSW_E_NS1_11comp_targetILNS1_3genE0ELNS1_11target_archE4294967295ELNS1_3gpuE0ELNS1_3repE0EEENS1_30default_config_static_selectorELNS0_4arch9wavefront6targetE0EEEvT1_ ; -- Begin function _ZN7rocprim17ROCPRIM_400000_NS6detail17trampoline_kernelINS0_14default_configENS1_29reduce_by_key_config_selectorIxxN6thrust23THRUST_200600_302600_NS4plusIxEEEEZZNS1_33reduce_by_key_impl_wrapped_configILNS1_25lookback_scan_determinismE0ES3_S9_NS6_6detail15normal_iteratorINS6_10device_ptrIxEEEESG_SG_SG_PmS8_NS6_8equal_toIxEEEE10hipError_tPvRmT2_T3_mT4_T5_T6_T7_T8_P12ihipStream_tbENKUlT_T0_E_clISt17integral_constantIbLb0EES10_IbLb1EEEEDaSW_SX_EUlSW_E_NS1_11comp_targetILNS1_3genE0ELNS1_11target_archE4294967295ELNS1_3gpuE0ELNS1_3repE0EEENS1_30default_config_static_selectorELNS0_4arch9wavefront6targetE0EEEvT1_
	.globl	_ZN7rocprim17ROCPRIM_400000_NS6detail17trampoline_kernelINS0_14default_configENS1_29reduce_by_key_config_selectorIxxN6thrust23THRUST_200600_302600_NS4plusIxEEEEZZNS1_33reduce_by_key_impl_wrapped_configILNS1_25lookback_scan_determinismE0ES3_S9_NS6_6detail15normal_iteratorINS6_10device_ptrIxEEEESG_SG_SG_PmS8_NS6_8equal_toIxEEEE10hipError_tPvRmT2_T3_mT4_T5_T6_T7_T8_P12ihipStream_tbENKUlT_T0_E_clISt17integral_constantIbLb0EES10_IbLb1EEEEDaSW_SX_EUlSW_E_NS1_11comp_targetILNS1_3genE0ELNS1_11target_archE4294967295ELNS1_3gpuE0ELNS1_3repE0EEENS1_30default_config_static_selectorELNS0_4arch9wavefront6targetE0EEEvT1_
	.p2align	8
	.type	_ZN7rocprim17ROCPRIM_400000_NS6detail17trampoline_kernelINS0_14default_configENS1_29reduce_by_key_config_selectorIxxN6thrust23THRUST_200600_302600_NS4plusIxEEEEZZNS1_33reduce_by_key_impl_wrapped_configILNS1_25lookback_scan_determinismE0ES3_S9_NS6_6detail15normal_iteratorINS6_10device_ptrIxEEEESG_SG_SG_PmS8_NS6_8equal_toIxEEEE10hipError_tPvRmT2_T3_mT4_T5_T6_T7_T8_P12ihipStream_tbENKUlT_T0_E_clISt17integral_constantIbLb0EES10_IbLb1EEEEDaSW_SX_EUlSW_E_NS1_11comp_targetILNS1_3genE0ELNS1_11target_archE4294967295ELNS1_3gpuE0ELNS1_3repE0EEENS1_30default_config_static_selectorELNS0_4arch9wavefront6targetE0EEEvT1_,@function
_ZN7rocprim17ROCPRIM_400000_NS6detail17trampoline_kernelINS0_14default_configENS1_29reduce_by_key_config_selectorIxxN6thrust23THRUST_200600_302600_NS4plusIxEEEEZZNS1_33reduce_by_key_impl_wrapped_configILNS1_25lookback_scan_determinismE0ES3_S9_NS6_6detail15normal_iteratorINS6_10device_ptrIxEEEESG_SG_SG_PmS8_NS6_8equal_toIxEEEE10hipError_tPvRmT2_T3_mT4_T5_T6_T7_T8_P12ihipStream_tbENKUlT_T0_E_clISt17integral_constantIbLb0EES10_IbLb1EEEEDaSW_SX_EUlSW_E_NS1_11comp_targetILNS1_3genE0ELNS1_11target_archE4294967295ELNS1_3gpuE0ELNS1_3repE0EEENS1_30default_config_static_selectorELNS0_4arch9wavefront6targetE0EEEvT1_: ; @_ZN7rocprim17ROCPRIM_400000_NS6detail17trampoline_kernelINS0_14default_configENS1_29reduce_by_key_config_selectorIxxN6thrust23THRUST_200600_302600_NS4plusIxEEEEZZNS1_33reduce_by_key_impl_wrapped_configILNS1_25lookback_scan_determinismE0ES3_S9_NS6_6detail15normal_iteratorINS6_10device_ptrIxEEEESG_SG_SG_PmS8_NS6_8equal_toIxEEEE10hipError_tPvRmT2_T3_mT4_T5_T6_T7_T8_P12ihipStream_tbENKUlT_T0_E_clISt17integral_constantIbLb0EES10_IbLb1EEEEDaSW_SX_EUlSW_E_NS1_11comp_targetILNS1_3genE0ELNS1_11target_archE4294967295ELNS1_3gpuE0ELNS1_3repE0EEENS1_30default_config_static_selectorELNS0_4arch9wavefront6targetE0EEEvT1_
; %bb.0:
	.section	.rodata,"a",@progbits
	.p2align	6, 0x0
	.amdhsa_kernel _ZN7rocprim17ROCPRIM_400000_NS6detail17trampoline_kernelINS0_14default_configENS1_29reduce_by_key_config_selectorIxxN6thrust23THRUST_200600_302600_NS4plusIxEEEEZZNS1_33reduce_by_key_impl_wrapped_configILNS1_25lookback_scan_determinismE0ES3_S9_NS6_6detail15normal_iteratorINS6_10device_ptrIxEEEESG_SG_SG_PmS8_NS6_8equal_toIxEEEE10hipError_tPvRmT2_T3_mT4_T5_T6_T7_T8_P12ihipStream_tbENKUlT_T0_E_clISt17integral_constantIbLb0EES10_IbLb1EEEEDaSW_SX_EUlSW_E_NS1_11comp_targetILNS1_3genE0ELNS1_11target_archE4294967295ELNS1_3gpuE0ELNS1_3repE0EEENS1_30default_config_static_selectorELNS0_4arch9wavefront6targetE0EEEvT1_
		.amdhsa_group_segment_fixed_size 0
		.amdhsa_private_segment_fixed_size 0
		.amdhsa_kernarg_size 136
		.amdhsa_user_sgpr_count 15
		.amdhsa_user_sgpr_dispatch_ptr 0
		.amdhsa_user_sgpr_queue_ptr 0
		.amdhsa_user_sgpr_kernarg_segment_ptr 1
		.amdhsa_user_sgpr_dispatch_id 0
		.amdhsa_user_sgpr_private_segment_size 0
		.amdhsa_wavefront_size32 1
		.amdhsa_uses_dynamic_stack 0
		.amdhsa_enable_private_segment 0
		.amdhsa_system_sgpr_workgroup_id_x 1
		.amdhsa_system_sgpr_workgroup_id_y 0
		.amdhsa_system_sgpr_workgroup_id_z 0
		.amdhsa_system_sgpr_workgroup_info 0
		.amdhsa_system_vgpr_workitem_id 0
		.amdhsa_next_free_vgpr 1
		.amdhsa_next_free_sgpr 1
		.amdhsa_reserve_vcc 0
		.amdhsa_float_round_mode_32 0
		.amdhsa_float_round_mode_16_64 0
		.amdhsa_float_denorm_mode_32 3
		.amdhsa_float_denorm_mode_16_64 3
		.amdhsa_dx10_clamp 1
		.amdhsa_ieee_mode 1
		.amdhsa_fp16_overflow 0
		.amdhsa_workgroup_processor_mode 1
		.amdhsa_memory_ordered 1
		.amdhsa_forward_progress 0
		.amdhsa_shared_vgpr_count 0
		.amdhsa_exception_fp_ieee_invalid_op 0
		.amdhsa_exception_fp_denorm_src 0
		.amdhsa_exception_fp_ieee_div_zero 0
		.amdhsa_exception_fp_ieee_overflow 0
		.amdhsa_exception_fp_ieee_underflow 0
		.amdhsa_exception_fp_ieee_inexact 0
		.amdhsa_exception_int_div_zero 0
	.end_amdhsa_kernel
	.section	.text._ZN7rocprim17ROCPRIM_400000_NS6detail17trampoline_kernelINS0_14default_configENS1_29reduce_by_key_config_selectorIxxN6thrust23THRUST_200600_302600_NS4plusIxEEEEZZNS1_33reduce_by_key_impl_wrapped_configILNS1_25lookback_scan_determinismE0ES3_S9_NS6_6detail15normal_iteratorINS6_10device_ptrIxEEEESG_SG_SG_PmS8_NS6_8equal_toIxEEEE10hipError_tPvRmT2_T3_mT4_T5_T6_T7_T8_P12ihipStream_tbENKUlT_T0_E_clISt17integral_constantIbLb0EES10_IbLb1EEEEDaSW_SX_EUlSW_E_NS1_11comp_targetILNS1_3genE0ELNS1_11target_archE4294967295ELNS1_3gpuE0ELNS1_3repE0EEENS1_30default_config_static_selectorELNS0_4arch9wavefront6targetE0EEEvT1_,"axG",@progbits,_ZN7rocprim17ROCPRIM_400000_NS6detail17trampoline_kernelINS0_14default_configENS1_29reduce_by_key_config_selectorIxxN6thrust23THRUST_200600_302600_NS4plusIxEEEEZZNS1_33reduce_by_key_impl_wrapped_configILNS1_25lookback_scan_determinismE0ES3_S9_NS6_6detail15normal_iteratorINS6_10device_ptrIxEEEESG_SG_SG_PmS8_NS6_8equal_toIxEEEE10hipError_tPvRmT2_T3_mT4_T5_T6_T7_T8_P12ihipStream_tbENKUlT_T0_E_clISt17integral_constantIbLb0EES10_IbLb1EEEEDaSW_SX_EUlSW_E_NS1_11comp_targetILNS1_3genE0ELNS1_11target_archE4294967295ELNS1_3gpuE0ELNS1_3repE0EEENS1_30default_config_static_selectorELNS0_4arch9wavefront6targetE0EEEvT1_,comdat
.Lfunc_end499:
	.size	_ZN7rocprim17ROCPRIM_400000_NS6detail17trampoline_kernelINS0_14default_configENS1_29reduce_by_key_config_selectorIxxN6thrust23THRUST_200600_302600_NS4plusIxEEEEZZNS1_33reduce_by_key_impl_wrapped_configILNS1_25lookback_scan_determinismE0ES3_S9_NS6_6detail15normal_iteratorINS6_10device_ptrIxEEEESG_SG_SG_PmS8_NS6_8equal_toIxEEEE10hipError_tPvRmT2_T3_mT4_T5_T6_T7_T8_P12ihipStream_tbENKUlT_T0_E_clISt17integral_constantIbLb0EES10_IbLb1EEEEDaSW_SX_EUlSW_E_NS1_11comp_targetILNS1_3genE0ELNS1_11target_archE4294967295ELNS1_3gpuE0ELNS1_3repE0EEENS1_30default_config_static_selectorELNS0_4arch9wavefront6targetE0EEEvT1_, .Lfunc_end499-_ZN7rocprim17ROCPRIM_400000_NS6detail17trampoline_kernelINS0_14default_configENS1_29reduce_by_key_config_selectorIxxN6thrust23THRUST_200600_302600_NS4plusIxEEEEZZNS1_33reduce_by_key_impl_wrapped_configILNS1_25lookback_scan_determinismE0ES3_S9_NS6_6detail15normal_iteratorINS6_10device_ptrIxEEEESG_SG_SG_PmS8_NS6_8equal_toIxEEEE10hipError_tPvRmT2_T3_mT4_T5_T6_T7_T8_P12ihipStream_tbENKUlT_T0_E_clISt17integral_constantIbLb0EES10_IbLb1EEEEDaSW_SX_EUlSW_E_NS1_11comp_targetILNS1_3genE0ELNS1_11target_archE4294967295ELNS1_3gpuE0ELNS1_3repE0EEENS1_30default_config_static_selectorELNS0_4arch9wavefront6targetE0EEEvT1_
                                        ; -- End function
	.section	.AMDGPU.csdata,"",@progbits
; Kernel info:
; codeLenInByte = 0
; NumSgprs: 0
; NumVgprs: 0
; ScratchSize: 0
; MemoryBound: 0
; FloatMode: 240
; IeeeMode: 1
; LDSByteSize: 0 bytes/workgroup (compile time only)
; SGPRBlocks: 0
; VGPRBlocks: 0
; NumSGPRsForWavesPerEU: 1
; NumVGPRsForWavesPerEU: 1
; Occupancy: 16
; WaveLimiterHint : 0
; COMPUTE_PGM_RSRC2:SCRATCH_EN: 0
; COMPUTE_PGM_RSRC2:USER_SGPR: 15
; COMPUTE_PGM_RSRC2:TRAP_HANDLER: 0
; COMPUTE_PGM_RSRC2:TGID_X_EN: 1
; COMPUTE_PGM_RSRC2:TGID_Y_EN: 0
; COMPUTE_PGM_RSRC2:TGID_Z_EN: 0
; COMPUTE_PGM_RSRC2:TIDIG_COMP_CNT: 0
	.section	.text._ZN7rocprim17ROCPRIM_400000_NS6detail17trampoline_kernelINS0_14default_configENS1_29reduce_by_key_config_selectorIxxN6thrust23THRUST_200600_302600_NS4plusIxEEEEZZNS1_33reduce_by_key_impl_wrapped_configILNS1_25lookback_scan_determinismE0ES3_S9_NS6_6detail15normal_iteratorINS6_10device_ptrIxEEEESG_SG_SG_PmS8_NS6_8equal_toIxEEEE10hipError_tPvRmT2_T3_mT4_T5_T6_T7_T8_P12ihipStream_tbENKUlT_T0_E_clISt17integral_constantIbLb0EES10_IbLb1EEEEDaSW_SX_EUlSW_E_NS1_11comp_targetILNS1_3genE5ELNS1_11target_archE942ELNS1_3gpuE9ELNS1_3repE0EEENS1_30default_config_static_selectorELNS0_4arch9wavefront6targetE0EEEvT1_,"axG",@progbits,_ZN7rocprim17ROCPRIM_400000_NS6detail17trampoline_kernelINS0_14default_configENS1_29reduce_by_key_config_selectorIxxN6thrust23THRUST_200600_302600_NS4plusIxEEEEZZNS1_33reduce_by_key_impl_wrapped_configILNS1_25lookback_scan_determinismE0ES3_S9_NS6_6detail15normal_iteratorINS6_10device_ptrIxEEEESG_SG_SG_PmS8_NS6_8equal_toIxEEEE10hipError_tPvRmT2_T3_mT4_T5_T6_T7_T8_P12ihipStream_tbENKUlT_T0_E_clISt17integral_constantIbLb0EES10_IbLb1EEEEDaSW_SX_EUlSW_E_NS1_11comp_targetILNS1_3genE5ELNS1_11target_archE942ELNS1_3gpuE9ELNS1_3repE0EEENS1_30default_config_static_selectorELNS0_4arch9wavefront6targetE0EEEvT1_,comdat
	.protected	_ZN7rocprim17ROCPRIM_400000_NS6detail17trampoline_kernelINS0_14default_configENS1_29reduce_by_key_config_selectorIxxN6thrust23THRUST_200600_302600_NS4plusIxEEEEZZNS1_33reduce_by_key_impl_wrapped_configILNS1_25lookback_scan_determinismE0ES3_S9_NS6_6detail15normal_iteratorINS6_10device_ptrIxEEEESG_SG_SG_PmS8_NS6_8equal_toIxEEEE10hipError_tPvRmT2_T3_mT4_T5_T6_T7_T8_P12ihipStream_tbENKUlT_T0_E_clISt17integral_constantIbLb0EES10_IbLb1EEEEDaSW_SX_EUlSW_E_NS1_11comp_targetILNS1_3genE5ELNS1_11target_archE942ELNS1_3gpuE9ELNS1_3repE0EEENS1_30default_config_static_selectorELNS0_4arch9wavefront6targetE0EEEvT1_ ; -- Begin function _ZN7rocprim17ROCPRIM_400000_NS6detail17trampoline_kernelINS0_14default_configENS1_29reduce_by_key_config_selectorIxxN6thrust23THRUST_200600_302600_NS4plusIxEEEEZZNS1_33reduce_by_key_impl_wrapped_configILNS1_25lookback_scan_determinismE0ES3_S9_NS6_6detail15normal_iteratorINS6_10device_ptrIxEEEESG_SG_SG_PmS8_NS6_8equal_toIxEEEE10hipError_tPvRmT2_T3_mT4_T5_T6_T7_T8_P12ihipStream_tbENKUlT_T0_E_clISt17integral_constantIbLb0EES10_IbLb1EEEEDaSW_SX_EUlSW_E_NS1_11comp_targetILNS1_3genE5ELNS1_11target_archE942ELNS1_3gpuE9ELNS1_3repE0EEENS1_30default_config_static_selectorELNS0_4arch9wavefront6targetE0EEEvT1_
	.globl	_ZN7rocprim17ROCPRIM_400000_NS6detail17trampoline_kernelINS0_14default_configENS1_29reduce_by_key_config_selectorIxxN6thrust23THRUST_200600_302600_NS4plusIxEEEEZZNS1_33reduce_by_key_impl_wrapped_configILNS1_25lookback_scan_determinismE0ES3_S9_NS6_6detail15normal_iteratorINS6_10device_ptrIxEEEESG_SG_SG_PmS8_NS6_8equal_toIxEEEE10hipError_tPvRmT2_T3_mT4_T5_T6_T7_T8_P12ihipStream_tbENKUlT_T0_E_clISt17integral_constantIbLb0EES10_IbLb1EEEEDaSW_SX_EUlSW_E_NS1_11comp_targetILNS1_3genE5ELNS1_11target_archE942ELNS1_3gpuE9ELNS1_3repE0EEENS1_30default_config_static_selectorELNS0_4arch9wavefront6targetE0EEEvT1_
	.p2align	8
	.type	_ZN7rocprim17ROCPRIM_400000_NS6detail17trampoline_kernelINS0_14default_configENS1_29reduce_by_key_config_selectorIxxN6thrust23THRUST_200600_302600_NS4plusIxEEEEZZNS1_33reduce_by_key_impl_wrapped_configILNS1_25lookback_scan_determinismE0ES3_S9_NS6_6detail15normal_iteratorINS6_10device_ptrIxEEEESG_SG_SG_PmS8_NS6_8equal_toIxEEEE10hipError_tPvRmT2_T3_mT4_T5_T6_T7_T8_P12ihipStream_tbENKUlT_T0_E_clISt17integral_constantIbLb0EES10_IbLb1EEEEDaSW_SX_EUlSW_E_NS1_11comp_targetILNS1_3genE5ELNS1_11target_archE942ELNS1_3gpuE9ELNS1_3repE0EEENS1_30default_config_static_selectorELNS0_4arch9wavefront6targetE0EEEvT1_,@function
_ZN7rocprim17ROCPRIM_400000_NS6detail17trampoline_kernelINS0_14default_configENS1_29reduce_by_key_config_selectorIxxN6thrust23THRUST_200600_302600_NS4plusIxEEEEZZNS1_33reduce_by_key_impl_wrapped_configILNS1_25lookback_scan_determinismE0ES3_S9_NS6_6detail15normal_iteratorINS6_10device_ptrIxEEEESG_SG_SG_PmS8_NS6_8equal_toIxEEEE10hipError_tPvRmT2_T3_mT4_T5_T6_T7_T8_P12ihipStream_tbENKUlT_T0_E_clISt17integral_constantIbLb0EES10_IbLb1EEEEDaSW_SX_EUlSW_E_NS1_11comp_targetILNS1_3genE5ELNS1_11target_archE942ELNS1_3gpuE9ELNS1_3repE0EEENS1_30default_config_static_selectorELNS0_4arch9wavefront6targetE0EEEvT1_: ; @_ZN7rocprim17ROCPRIM_400000_NS6detail17trampoline_kernelINS0_14default_configENS1_29reduce_by_key_config_selectorIxxN6thrust23THRUST_200600_302600_NS4plusIxEEEEZZNS1_33reduce_by_key_impl_wrapped_configILNS1_25lookback_scan_determinismE0ES3_S9_NS6_6detail15normal_iteratorINS6_10device_ptrIxEEEESG_SG_SG_PmS8_NS6_8equal_toIxEEEE10hipError_tPvRmT2_T3_mT4_T5_T6_T7_T8_P12ihipStream_tbENKUlT_T0_E_clISt17integral_constantIbLb0EES10_IbLb1EEEEDaSW_SX_EUlSW_E_NS1_11comp_targetILNS1_3genE5ELNS1_11target_archE942ELNS1_3gpuE9ELNS1_3repE0EEENS1_30default_config_static_selectorELNS0_4arch9wavefront6targetE0EEEvT1_
; %bb.0:
	.section	.rodata,"a",@progbits
	.p2align	6, 0x0
	.amdhsa_kernel _ZN7rocprim17ROCPRIM_400000_NS6detail17trampoline_kernelINS0_14default_configENS1_29reduce_by_key_config_selectorIxxN6thrust23THRUST_200600_302600_NS4plusIxEEEEZZNS1_33reduce_by_key_impl_wrapped_configILNS1_25lookback_scan_determinismE0ES3_S9_NS6_6detail15normal_iteratorINS6_10device_ptrIxEEEESG_SG_SG_PmS8_NS6_8equal_toIxEEEE10hipError_tPvRmT2_T3_mT4_T5_T6_T7_T8_P12ihipStream_tbENKUlT_T0_E_clISt17integral_constantIbLb0EES10_IbLb1EEEEDaSW_SX_EUlSW_E_NS1_11comp_targetILNS1_3genE5ELNS1_11target_archE942ELNS1_3gpuE9ELNS1_3repE0EEENS1_30default_config_static_selectorELNS0_4arch9wavefront6targetE0EEEvT1_
		.amdhsa_group_segment_fixed_size 0
		.amdhsa_private_segment_fixed_size 0
		.amdhsa_kernarg_size 136
		.amdhsa_user_sgpr_count 15
		.amdhsa_user_sgpr_dispatch_ptr 0
		.amdhsa_user_sgpr_queue_ptr 0
		.amdhsa_user_sgpr_kernarg_segment_ptr 1
		.amdhsa_user_sgpr_dispatch_id 0
		.amdhsa_user_sgpr_private_segment_size 0
		.amdhsa_wavefront_size32 1
		.amdhsa_uses_dynamic_stack 0
		.amdhsa_enable_private_segment 0
		.amdhsa_system_sgpr_workgroup_id_x 1
		.amdhsa_system_sgpr_workgroup_id_y 0
		.amdhsa_system_sgpr_workgroup_id_z 0
		.amdhsa_system_sgpr_workgroup_info 0
		.amdhsa_system_vgpr_workitem_id 0
		.amdhsa_next_free_vgpr 1
		.amdhsa_next_free_sgpr 1
		.amdhsa_reserve_vcc 0
		.amdhsa_float_round_mode_32 0
		.amdhsa_float_round_mode_16_64 0
		.amdhsa_float_denorm_mode_32 3
		.amdhsa_float_denorm_mode_16_64 3
		.amdhsa_dx10_clamp 1
		.amdhsa_ieee_mode 1
		.amdhsa_fp16_overflow 0
		.amdhsa_workgroup_processor_mode 1
		.amdhsa_memory_ordered 1
		.amdhsa_forward_progress 0
		.amdhsa_shared_vgpr_count 0
		.amdhsa_exception_fp_ieee_invalid_op 0
		.amdhsa_exception_fp_denorm_src 0
		.amdhsa_exception_fp_ieee_div_zero 0
		.amdhsa_exception_fp_ieee_overflow 0
		.amdhsa_exception_fp_ieee_underflow 0
		.amdhsa_exception_fp_ieee_inexact 0
		.amdhsa_exception_int_div_zero 0
	.end_amdhsa_kernel
	.section	.text._ZN7rocprim17ROCPRIM_400000_NS6detail17trampoline_kernelINS0_14default_configENS1_29reduce_by_key_config_selectorIxxN6thrust23THRUST_200600_302600_NS4plusIxEEEEZZNS1_33reduce_by_key_impl_wrapped_configILNS1_25lookback_scan_determinismE0ES3_S9_NS6_6detail15normal_iteratorINS6_10device_ptrIxEEEESG_SG_SG_PmS8_NS6_8equal_toIxEEEE10hipError_tPvRmT2_T3_mT4_T5_T6_T7_T8_P12ihipStream_tbENKUlT_T0_E_clISt17integral_constantIbLb0EES10_IbLb1EEEEDaSW_SX_EUlSW_E_NS1_11comp_targetILNS1_3genE5ELNS1_11target_archE942ELNS1_3gpuE9ELNS1_3repE0EEENS1_30default_config_static_selectorELNS0_4arch9wavefront6targetE0EEEvT1_,"axG",@progbits,_ZN7rocprim17ROCPRIM_400000_NS6detail17trampoline_kernelINS0_14default_configENS1_29reduce_by_key_config_selectorIxxN6thrust23THRUST_200600_302600_NS4plusIxEEEEZZNS1_33reduce_by_key_impl_wrapped_configILNS1_25lookback_scan_determinismE0ES3_S9_NS6_6detail15normal_iteratorINS6_10device_ptrIxEEEESG_SG_SG_PmS8_NS6_8equal_toIxEEEE10hipError_tPvRmT2_T3_mT4_T5_T6_T7_T8_P12ihipStream_tbENKUlT_T0_E_clISt17integral_constantIbLb0EES10_IbLb1EEEEDaSW_SX_EUlSW_E_NS1_11comp_targetILNS1_3genE5ELNS1_11target_archE942ELNS1_3gpuE9ELNS1_3repE0EEENS1_30default_config_static_selectorELNS0_4arch9wavefront6targetE0EEEvT1_,comdat
.Lfunc_end500:
	.size	_ZN7rocprim17ROCPRIM_400000_NS6detail17trampoline_kernelINS0_14default_configENS1_29reduce_by_key_config_selectorIxxN6thrust23THRUST_200600_302600_NS4plusIxEEEEZZNS1_33reduce_by_key_impl_wrapped_configILNS1_25lookback_scan_determinismE0ES3_S9_NS6_6detail15normal_iteratorINS6_10device_ptrIxEEEESG_SG_SG_PmS8_NS6_8equal_toIxEEEE10hipError_tPvRmT2_T3_mT4_T5_T6_T7_T8_P12ihipStream_tbENKUlT_T0_E_clISt17integral_constantIbLb0EES10_IbLb1EEEEDaSW_SX_EUlSW_E_NS1_11comp_targetILNS1_3genE5ELNS1_11target_archE942ELNS1_3gpuE9ELNS1_3repE0EEENS1_30default_config_static_selectorELNS0_4arch9wavefront6targetE0EEEvT1_, .Lfunc_end500-_ZN7rocprim17ROCPRIM_400000_NS6detail17trampoline_kernelINS0_14default_configENS1_29reduce_by_key_config_selectorIxxN6thrust23THRUST_200600_302600_NS4plusIxEEEEZZNS1_33reduce_by_key_impl_wrapped_configILNS1_25lookback_scan_determinismE0ES3_S9_NS6_6detail15normal_iteratorINS6_10device_ptrIxEEEESG_SG_SG_PmS8_NS6_8equal_toIxEEEE10hipError_tPvRmT2_T3_mT4_T5_T6_T7_T8_P12ihipStream_tbENKUlT_T0_E_clISt17integral_constantIbLb0EES10_IbLb1EEEEDaSW_SX_EUlSW_E_NS1_11comp_targetILNS1_3genE5ELNS1_11target_archE942ELNS1_3gpuE9ELNS1_3repE0EEENS1_30default_config_static_selectorELNS0_4arch9wavefront6targetE0EEEvT1_
                                        ; -- End function
	.section	.AMDGPU.csdata,"",@progbits
; Kernel info:
; codeLenInByte = 0
; NumSgprs: 0
; NumVgprs: 0
; ScratchSize: 0
; MemoryBound: 0
; FloatMode: 240
; IeeeMode: 1
; LDSByteSize: 0 bytes/workgroup (compile time only)
; SGPRBlocks: 0
; VGPRBlocks: 0
; NumSGPRsForWavesPerEU: 1
; NumVGPRsForWavesPerEU: 1
; Occupancy: 16
; WaveLimiterHint : 0
; COMPUTE_PGM_RSRC2:SCRATCH_EN: 0
; COMPUTE_PGM_RSRC2:USER_SGPR: 15
; COMPUTE_PGM_RSRC2:TRAP_HANDLER: 0
; COMPUTE_PGM_RSRC2:TGID_X_EN: 1
; COMPUTE_PGM_RSRC2:TGID_Y_EN: 0
; COMPUTE_PGM_RSRC2:TGID_Z_EN: 0
; COMPUTE_PGM_RSRC2:TIDIG_COMP_CNT: 0
	.section	.text._ZN7rocprim17ROCPRIM_400000_NS6detail17trampoline_kernelINS0_14default_configENS1_29reduce_by_key_config_selectorIxxN6thrust23THRUST_200600_302600_NS4plusIxEEEEZZNS1_33reduce_by_key_impl_wrapped_configILNS1_25lookback_scan_determinismE0ES3_S9_NS6_6detail15normal_iteratorINS6_10device_ptrIxEEEESG_SG_SG_PmS8_NS6_8equal_toIxEEEE10hipError_tPvRmT2_T3_mT4_T5_T6_T7_T8_P12ihipStream_tbENKUlT_T0_E_clISt17integral_constantIbLb0EES10_IbLb1EEEEDaSW_SX_EUlSW_E_NS1_11comp_targetILNS1_3genE4ELNS1_11target_archE910ELNS1_3gpuE8ELNS1_3repE0EEENS1_30default_config_static_selectorELNS0_4arch9wavefront6targetE0EEEvT1_,"axG",@progbits,_ZN7rocprim17ROCPRIM_400000_NS6detail17trampoline_kernelINS0_14default_configENS1_29reduce_by_key_config_selectorIxxN6thrust23THRUST_200600_302600_NS4plusIxEEEEZZNS1_33reduce_by_key_impl_wrapped_configILNS1_25lookback_scan_determinismE0ES3_S9_NS6_6detail15normal_iteratorINS6_10device_ptrIxEEEESG_SG_SG_PmS8_NS6_8equal_toIxEEEE10hipError_tPvRmT2_T3_mT4_T5_T6_T7_T8_P12ihipStream_tbENKUlT_T0_E_clISt17integral_constantIbLb0EES10_IbLb1EEEEDaSW_SX_EUlSW_E_NS1_11comp_targetILNS1_3genE4ELNS1_11target_archE910ELNS1_3gpuE8ELNS1_3repE0EEENS1_30default_config_static_selectorELNS0_4arch9wavefront6targetE0EEEvT1_,comdat
	.protected	_ZN7rocprim17ROCPRIM_400000_NS6detail17trampoline_kernelINS0_14default_configENS1_29reduce_by_key_config_selectorIxxN6thrust23THRUST_200600_302600_NS4plusIxEEEEZZNS1_33reduce_by_key_impl_wrapped_configILNS1_25lookback_scan_determinismE0ES3_S9_NS6_6detail15normal_iteratorINS6_10device_ptrIxEEEESG_SG_SG_PmS8_NS6_8equal_toIxEEEE10hipError_tPvRmT2_T3_mT4_T5_T6_T7_T8_P12ihipStream_tbENKUlT_T0_E_clISt17integral_constantIbLb0EES10_IbLb1EEEEDaSW_SX_EUlSW_E_NS1_11comp_targetILNS1_3genE4ELNS1_11target_archE910ELNS1_3gpuE8ELNS1_3repE0EEENS1_30default_config_static_selectorELNS0_4arch9wavefront6targetE0EEEvT1_ ; -- Begin function _ZN7rocprim17ROCPRIM_400000_NS6detail17trampoline_kernelINS0_14default_configENS1_29reduce_by_key_config_selectorIxxN6thrust23THRUST_200600_302600_NS4plusIxEEEEZZNS1_33reduce_by_key_impl_wrapped_configILNS1_25lookback_scan_determinismE0ES3_S9_NS6_6detail15normal_iteratorINS6_10device_ptrIxEEEESG_SG_SG_PmS8_NS6_8equal_toIxEEEE10hipError_tPvRmT2_T3_mT4_T5_T6_T7_T8_P12ihipStream_tbENKUlT_T0_E_clISt17integral_constantIbLb0EES10_IbLb1EEEEDaSW_SX_EUlSW_E_NS1_11comp_targetILNS1_3genE4ELNS1_11target_archE910ELNS1_3gpuE8ELNS1_3repE0EEENS1_30default_config_static_selectorELNS0_4arch9wavefront6targetE0EEEvT1_
	.globl	_ZN7rocprim17ROCPRIM_400000_NS6detail17trampoline_kernelINS0_14default_configENS1_29reduce_by_key_config_selectorIxxN6thrust23THRUST_200600_302600_NS4plusIxEEEEZZNS1_33reduce_by_key_impl_wrapped_configILNS1_25lookback_scan_determinismE0ES3_S9_NS6_6detail15normal_iteratorINS6_10device_ptrIxEEEESG_SG_SG_PmS8_NS6_8equal_toIxEEEE10hipError_tPvRmT2_T3_mT4_T5_T6_T7_T8_P12ihipStream_tbENKUlT_T0_E_clISt17integral_constantIbLb0EES10_IbLb1EEEEDaSW_SX_EUlSW_E_NS1_11comp_targetILNS1_3genE4ELNS1_11target_archE910ELNS1_3gpuE8ELNS1_3repE0EEENS1_30default_config_static_selectorELNS0_4arch9wavefront6targetE0EEEvT1_
	.p2align	8
	.type	_ZN7rocprim17ROCPRIM_400000_NS6detail17trampoline_kernelINS0_14default_configENS1_29reduce_by_key_config_selectorIxxN6thrust23THRUST_200600_302600_NS4plusIxEEEEZZNS1_33reduce_by_key_impl_wrapped_configILNS1_25lookback_scan_determinismE0ES3_S9_NS6_6detail15normal_iteratorINS6_10device_ptrIxEEEESG_SG_SG_PmS8_NS6_8equal_toIxEEEE10hipError_tPvRmT2_T3_mT4_T5_T6_T7_T8_P12ihipStream_tbENKUlT_T0_E_clISt17integral_constantIbLb0EES10_IbLb1EEEEDaSW_SX_EUlSW_E_NS1_11comp_targetILNS1_3genE4ELNS1_11target_archE910ELNS1_3gpuE8ELNS1_3repE0EEENS1_30default_config_static_selectorELNS0_4arch9wavefront6targetE0EEEvT1_,@function
_ZN7rocprim17ROCPRIM_400000_NS6detail17trampoline_kernelINS0_14default_configENS1_29reduce_by_key_config_selectorIxxN6thrust23THRUST_200600_302600_NS4plusIxEEEEZZNS1_33reduce_by_key_impl_wrapped_configILNS1_25lookback_scan_determinismE0ES3_S9_NS6_6detail15normal_iteratorINS6_10device_ptrIxEEEESG_SG_SG_PmS8_NS6_8equal_toIxEEEE10hipError_tPvRmT2_T3_mT4_T5_T6_T7_T8_P12ihipStream_tbENKUlT_T0_E_clISt17integral_constantIbLb0EES10_IbLb1EEEEDaSW_SX_EUlSW_E_NS1_11comp_targetILNS1_3genE4ELNS1_11target_archE910ELNS1_3gpuE8ELNS1_3repE0EEENS1_30default_config_static_selectorELNS0_4arch9wavefront6targetE0EEEvT1_: ; @_ZN7rocprim17ROCPRIM_400000_NS6detail17trampoline_kernelINS0_14default_configENS1_29reduce_by_key_config_selectorIxxN6thrust23THRUST_200600_302600_NS4plusIxEEEEZZNS1_33reduce_by_key_impl_wrapped_configILNS1_25lookback_scan_determinismE0ES3_S9_NS6_6detail15normal_iteratorINS6_10device_ptrIxEEEESG_SG_SG_PmS8_NS6_8equal_toIxEEEE10hipError_tPvRmT2_T3_mT4_T5_T6_T7_T8_P12ihipStream_tbENKUlT_T0_E_clISt17integral_constantIbLb0EES10_IbLb1EEEEDaSW_SX_EUlSW_E_NS1_11comp_targetILNS1_3genE4ELNS1_11target_archE910ELNS1_3gpuE8ELNS1_3repE0EEENS1_30default_config_static_selectorELNS0_4arch9wavefront6targetE0EEEvT1_
; %bb.0:
	.section	.rodata,"a",@progbits
	.p2align	6, 0x0
	.amdhsa_kernel _ZN7rocprim17ROCPRIM_400000_NS6detail17trampoline_kernelINS0_14default_configENS1_29reduce_by_key_config_selectorIxxN6thrust23THRUST_200600_302600_NS4plusIxEEEEZZNS1_33reduce_by_key_impl_wrapped_configILNS1_25lookback_scan_determinismE0ES3_S9_NS6_6detail15normal_iteratorINS6_10device_ptrIxEEEESG_SG_SG_PmS8_NS6_8equal_toIxEEEE10hipError_tPvRmT2_T3_mT4_T5_T6_T7_T8_P12ihipStream_tbENKUlT_T0_E_clISt17integral_constantIbLb0EES10_IbLb1EEEEDaSW_SX_EUlSW_E_NS1_11comp_targetILNS1_3genE4ELNS1_11target_archE910ELNS1_3gpuE8ELNS1_3repE0EEENS1_30default_config_static_selectorELNS0_4arch9wavefront6targetE0EEEvT1_
		.amdhsa_group_segment_fixed_size 0
		.amdhsa_private_segment_fixed_size 0
		.amdhsa_kernarg_size 136
		.amdhsa_user_sgpr_count 15
		.amdhsa_user_sgpr_dispatch_ptr 0
		.amdhsa_user_sgpr_queue_ptr 0
		.amdhsa_user_sgpr_kernarg_segment_ptr 1
		.amdhsa_user_sgpr_dispatch_id 0
		.amdhsa_user_sgpr_private_segment_size 0
		.amdhsa_wavefront_size32 1
		.amdhsa_uses_dynamic_stack 0
		.amdhsa_enable_private_segment 0
		.amdhsa_system_sgpr_workgroup_id_x 1
		.amdhsa_system_sgpr_workgroup_id_y 0
		.amdhsa_system_sgpr_workgroup_id_z 0
		.amdhsa_system_sgpr_workgroup_info 0
		.amdhsa_system_vgpr_workitem_id 0
		.amdhsa_next_free_vgpr 1
		.amdhsa_next_free_sgpr 1
		.amdhsa_reserve_vcc 0
		.amdhsa_float_round_mode_32 0
		.amdhsa_float_round_mode_16_64 0
		.amdhsa_float_denorm_mode_32 3
		.amdhsa_float_denorm_mode_16_64 3
		.amdhsa_dx10_clamp 1
		.amdhsa_ieee_mode 1
		.amdhsa_fp16_overflow 0
		.amdhsa_workgroup_processor_mode 1
		.amdhsa_memory_ordered 1
		.amdhsa_forward_progress 0
		.amdhsa_shared_vgpr_count 0
		.amdhsa_exception_fp_ieee_invalid_op 0
		.amdhsa_exception_fp_denorm_src 0
		.amdhsa_exception_fp_ieee_div_zero 0
		.amdhsa_exception_fp_ieee_overflow 0
		.amdhsa_exception_fp_ieee_underflow 0
		.amdhsa_exception_fp_ieee_inexact 0
		.amdhsa_exception_int_div_zero 0
	.end_amdhsa_kernel
	.section	.text._ZN7rocprim17ROCPRIM_400000_NS6detail17trampoline_kernelINS0_14default_configENS1_29reduce_by_key_config_selectorIxxN6thrust23THRUST_200600_302600_NS4plusIxEEEEZZNS1_33reduce_by_key_impl_wrapped_configILNS1_25lookback_scan_determinismE0ES3_S9_NS6_6detail15normal_iteratorINS6_10device_ptrIxEEEESG_SG_SG_PmS8_NS6_8equal_toIxEEEE10hipError_tPvRmT2_T3_mT4_T5_T6_T7_T8_P12ihipStream_tbENKUlT_T0_E_clISt17integral_constantIbLb0EES10_IbLb1EEEEDaSW_SX_EUlSW_E_NS1_11comp_targetILNS1_3genE4ELNS1_11target_archE910ELNS1_3gpuE8ELNS1_3repE0EEENS1_30default_config_static_selectorELNS0_4arch9wavefront6targetE0EEEvT1_,"axG",@progbits,_ZN7rocprim17ROCPRIM_400000_NS6detail17trampoline_kernelINS0_14default_configENS1_29reduce_by_key_config_selectorIxxN6thrust23THRUST_200600_302600_NS4plusIxEEEEZZNS1_33reduce_by_key_impl_wrapped_configILNS1_25lookback_scan_determinismE0ES3_S9_NS6_6detail15normal_iteratorINS6_10device_ptrIxEEEESG_SG_SG_PmS8_NS6_8equal_toIxEEEE10hipError_tPvRmT2_T3_mT4_T5_T6_T7_T8_P12ihipStream_tbENKUlT_T0_E_clISt17integral_constantIbLb0EES10_IbLb1EEEEDaSW_SX_EUlSW_E_NS1_11comp_targetILNS1_3genE4ELNS1_11target_archE910ELNS1_3gpuE8ELNS1_3repE0EEENS1_30default_config_static_selectorELNS0_4arch9wavefront6targetE0EEEvT1_,comdat
.Lfunc_end501:
	.size	_ZN7rocprim17ROCPRIM_400000_NS6detail17trampoline_kernelINS0_14default_configENS1_29reduce_by_key_config_selectorIxxN6thrust23THRUST_200600_302600_NS4plusIxEEEEZZNS1_33reduce_by_key_impl_wrapped_configILNS1_25lookback_scan_determinismE0ES3_S9_NS6_6detail15normal_iteratorINS6_10device_ptrIxEEEESG_SG_SG_PmS8_NS6_8equal_toIxEEEE10hipError_tPvRmT2_T3_mT4_T5_T6_T7_T8_P12ihipStream_tbENKUlT_T0_E_clISt17integral_constantIbLb0EES10_IbLb1EEEEDaSW_SX_EUlSW_E_NS1_11comp_targetILNS1_3genE4ELNS1_11target_archE910ELNS1_3gpuE8ELNS1_3repE0EEENS1_30default_config_static_selectorELNS0_4arch9wavefront6targetE0EEEvT1_, .Lfunc_end501-_ZN7rocprim17ROCPRIM_400000_NS6detail17trampoline_kernelINS0_14default_configENS1_29reduce_by_key_config_selectorIxxN6thrust23THRUST_200600_302600_NS4plusIxEEEEZZNS1_33reduce_by_key_impl_wrapped_configILNS1_25lookback_scan_determinismE0ES3_S9_NS6_6detail15normal_iteratorINS6_10device_ptrIxEEEESG_SG_SG_PmS8_NS6_8equal_toIxEEEE10hipError_tPvRmT2_T3_mT4_T5_T6_T7_T8_P12ihipStream_tbENKUlT_T0_E_clISt17integral_constantIbLb0EES10_IbLb1EEEEDaSW_SX_EUlSW_E_NS1_11comp_targetILNS1_3genE4ELNS1_11target_archE910ELNS1_3gpuE8ELNS1_3repE0EEENS1_30default_config_static_selectorELNS0_4arch9wavefront6targetE0EEEvT1_
                                        ; -- End function
	.section	.AMDGPU.csdata,"",@progbits
; Kernel info:
; codeLenInByte = 0
; NumSgprs: 0
; NumVgprs: 0
; ScratchSize: 0
; MemoryBound: 0
; FloatMode: 240
; IeeeMode: 1
; LDSByteSize: 0 bytes/workgroup (compile time only)
; SGPRBlocks: 0
; VGPRBlocks: 0
; NumSGPRsForWavesPerEU: 1
; NumVGPRsForWavesPerEU: 1
; Occupancy: 16
; WaveLimiterHint : 0
; COMPUTE_PGM_RSRC2:SCRATCH_EN: 0
; COMPUTE_PGM_RSRC2:USER_SGPR: 15
; COMPUTE_PGM_RSRC2:TRAP_HANDLER: 0
; COMPUTE_PGM_RSRC2:TGID_X_EN: 1
; COMPUTE_PGM_RSRC2:TGID_Y_EN: 0
; COMPUTE_PGM_RSRC2:TGID_Z_EN: 0
; COMPUTE_PGM_RSRC2:TIDIG_COMP_CNT: 0
	.section	.text._ZN7rocprim17ROCPRIM_400000_NS6detail17trampoline_kernelINS0_14default_configENS1_29reduce_by_key_config_selectorIxxN6thrust23THRUST_200600_302600_NS4plusIxEEEEZZNS1_33reduce_by_key_impl_wrapped_configILNS1_25lookback_scan_determinismE0ES3_S9_NS6_6detail15normal_iteratorINS6_10device_ptrIxEEEESG_SG_SG_PmS8_NS6_8equal_toIxEEEE10hipError_tPvRmT2_T3_mT4_T5_T6_T7_T8_P12ihipStream_tbENKUlT_T0_E_clISt17integral_constantIbLb0EES10_IbLb1EEEEDaSW_SX_EUlSW_E_NS1_11comp_targetILNS1_3genE3ELNS1_11target_archE908ELNS1_3gpuE7ELNS1_3repE0EEENS1_30default_config_static_selectorELNS0_4arch9wavefront6targetE0EEEvT1_,"axG",@progbits,_ZN7rocprim17ROCPRIM_400000_NS6detail17trampoline_kernelINS0_14default_configENS1_29reduce_by_key_config_selectorIxxN6thrust23THRUST_200600_302600_NS4plusIxEEEEZZNS1_33reduce_by_key_impl_wrapped_configILNS1_25lookback_scan_determinismE0ES3_S9_NS6_6detail15normal_iteratorINS6_10device_ptrIxEEEESG_SG_SG_PmS8_NS6_8equal_toIxEEEE10hipError_tPvRmT2_T3_mT4_T5_T6_T7_T8_P12ihipStream_tbENKUlT_T0_E_clISt17integral_constantIbLb0EES10_IbLb1EEEEDaSW_SX_EUlSW_E_NS1_11comp_targetILNS1_3genE3ELNS1_11target_archE908ELNS1_3gpuE7ELNS1_3repE0EEENS1_30default_config_static_selectorELNS0_4arch9wavefront6targetE0EEEvT1_,comdat
	.protected	_ZN7rocprim17ROCPRIM_400000_NS6detail17trampoline_kernelINS0_14default_configENS1_29reduce_by_key_config_selectorIxxN6thrust23THRUST_200600_302600_NS4plusIxEEEEZZNS1_33reduce_by_key_impl_wrapped_configILNS1_25lookback_scan_determinismE0ES3_S9_NS6_6detail15normal_iteratorINS6_10device_ptrIxEEEESG_SG_SG_PmS8_NS6_8equal_toIxEEEE10hipError_tPvRmT2_T3_mT4_T5_T6_T7_T8_P12ihipStream_tbENKUlT_T0_E_clISt17integral_constantIbLb0EES10_IbLb1EEEEDaSW_SX_EUlSW_E_NS1_11comp_targetILNS1_3genE3ELNS1_11target_archE908ELNS1_3gpuE7ELNS1_3repE0EEENS1_30default_config_static_selectorELNS0_4arch9wavefront6targetE0EEEvT1_ ; -- Begin function _ZN7rocprim17ROCPRIM_400000_NS6detail17trampoline_kernelINS0_14default_configENS1_29reduce_by_key_config_selectorIxxN6thrust23THRUST_200600_302600_NS4plusIxEEEEZZNS1_33reduce_by_key_impl_wrapped_configILNS1_25lookback_scan_determinismE0ES3_S9_NS6_6detail15normal_iteratorINS6_10device_ptrIxEEEESG_SG_SG_PmS8_NS6_8equal_toIxEEEE10hipError_tPvRmT2_T3_mT4_T5_T6_T7_T8_P12ihipStream_tbENKUlT_T0_E_clISt17integral_constantIbLb0EES10_IbLb1EEEEDaSW_SX_EUlSW_E_NS1_11comp_targetILNS1_3genE3ELNS1_11target_archE908ELNS1_3gpuE7ELNS1_3repE0EEENS1_30default_config_static_selectorELNS0_4arch9wavefront6targetE0EEEvT1_
	.globl	_ZN7rocprim17ROCPRIM_400000_NS6detail17trampoline_kernelINS0_14default_configENS1_29reduce_by_key_config_selectorIxxN6thrust23THRUST_200600_302600_NS4plusIxEEEEZZNS1_33reduce_by_key_impl_wrapped_configILNS1_25lookback_scan_determinismE0ES3_S9_NS6_6detail15normal_iteratorINS6_10device_ptrIxEEEESG_SG_SG_PmS8_NS6_8equal_toIxEEEE10hipError_tPvRmT2_T3_mT4_T5_T6_T7_T8_P12ihipStream_tbENKUlT_T0_E_clISt17integral_constantIbLb0EES10_IbLb1EEEEDaSW_SX_EUlSW_E_NS1_11comp_targetILNS1_3genE3ELNS1_11target_archE908ELNS1_3gpuE7ELNS1_3repE0EEENS1_30default_config_static_selectorELNS0_4arch9wavefront6targetE0EEEvT1_
	.p2align	8
	.type	_ZN7rocprim17ROCPRIM_400000_NS6detail17trampoline_kernelINS0_14default_configENS1_29reduce_by_key_config_selectorIxxN6thrust23THRUST_200600_302600_NS4plusIxEEEEZZNS1_33reduce_by_key_impl_wrapped_configILNS1_25lookback_scan_determinismE0ES3_S9_NS6_6detail15normal_iteratorINS6_10device_ptrIxEEEESG_SG_SG_PmS8_NS6_8equal_toIxEEEE10hipError_tPvRmT2_T3_mT4_T5_T6_T7_T8_P12ihipStream_tbENKUlT_T0_E_clISt17integral_constantIbLb0EES10_IbLb1EEEEDaSW_SX_EUlSW_E_NS1_11comp_targetILNS1_3genE3ELNS1_11target_archE908ELNS1_3gpuE7ELNS1_3repE0EEENS1_30default_config_static_selectorELNS0_4arch9wavefront6targetE0EEEvT1_,@function
_ZN7rocprim17ROCPRIM_400000_NS6detail17trampoline_kernelINS0_14default_configENS1_29reduce_by_key_config_selectorIxxN6thrust23THRUST_200600_302600_NS4plusIxEEEEZZNS1_33reduce_by_key_impl_wrapped_configILNS1_25lookback_scan_determinismE0ES3_S9_NS6_6detail15normal_iteratorINS6_10device_ptrIxEEEESG_SG_SG_PmS8_NS6_8equal_toIxEEEE10hipError_tPvRmT2_T3_mT4_T5_T6_T7_T8_P12ihipStream_tbENKUlT_T0_E_clISt17integral_constantIbLb0EES10_IbLb1EEEEDaSW_SX_EUlSW_E_NS1_11comp_targetILNS1_3genE3ELNS1_11target_archE908ELNS1_3gpuE7ELNS1_3repE0EEENS1_30default_config_static_selectorELNS0_4arch9wavefront6targetE0EEEvT1_: ; @_ZN7rocprim17ROCPRIM_400000_NS6detail17trampoline_kernelINS0_14default_configENS1_29reduce_by_key_config_selectorIxxN6thrust23THRUST_200600_302600_NS4plusIxEEEEZZNS1_33reduce_by_key_impl_wrapped_configILNS1_25lookback_scan_determinismE0ES3_S9_NS6_6detail15normal_iteratorINS6_10device_ptrIxEEEESG_SG_SG_PmS8_NS6_8equal_toIxEEEE10hipError_tPvRmT2_T3_mT4_T5_T6_T7_T8_P12ihipStream_tbENKUlT_T0_E_clISt17integral_constantIbLb0EES10_IbLb1EEEEDaSW_SX_EUlSW_E_NS1_11comp_targetILNS1_3genE3ELNS1_11target_archE908ELNS1_3gpuE7ELNS1_3repE0EEENS1_30default_config_static_selectorELNS0_4arch9wavefront6targetE0EEEvT1_
; %bb.0:
	.section	.rodata,"a",@progbits
	.p2align	6, 0x0
	.amdhsa_kernel _ZN7rocprim17ROCPRIM_400000_NS6detail17trampoline_kernelINS0_14default_configENS1_29reduce_by_key_config_selectorIxxN6thrust23THRUST_200600_302600_NS4plusIxEEEEZZNS1_33reduce_by_key_impl_wrapped_configILNS1_25lookback_scan_determinismE0ES3_S9_NS6_6detail15normal_iteratorINS6_10device_ptrIxEEEESG_SG_SG_PmS8_NS6_8equal_toIxEEEE10hipError_tPvRmT2_T3_mT4_T5_T6_T7_T8_P12ihipStream_tbENKUlT_T0_E_clISt17integral_constantIbLb0EES10_IbLb1EEEEDaSW_SX_EUlSW_E_NS1_11comp_targetILNS1_3genE3ELNS1_11target_archE908ELNS1_3gpuE7ELNS1_3repE0EEENS1_30default_config_static_selectorELNS0_4arch9wavefront6targetE0EEEvT1_
		.amdhsa_group_segment_fixed_size 0
		.amdhsa_private_segment_fixed_size 0
		.amdhsa_kernarg_size 136
		.amdhsa_user_sgpr_count 15
		.amdhsa_user_sgpr_dispatch_ptr 0
		.amdhsa_user_sgpr_queue_ptr 0
		.amdhsa_user_sgpr_kernarg_segment_ptr 1
		.amdhsa_user_sgpr_dispatch_id 0
		.amdhsa_user_sgpr_private_segment_size 0
		.amdhsa_wavefront_size32 1
		.amdhsa_uses_dynamic_stack 0
		.amdhsa_enable_private_segment 0
		.amdhsa_system_sgpr_workgroup_id_x 1
		.amdhsa_system_sgpr_workgroup_id_y 0
		.amdhsa_system_sgpr_workgroup_id_z 0
		.amdhsa_system_sgpr_workgroup_info 0
		.amdhsa_system_vgpr_workitem_id 0
		.amdhsa_next_free_vgpr 1
		.amdhsa_next_free_sgpr 1
		.amdhsa_reserve_vcc 0
		.amdhsa_float_round_mode_32 0
		.amdhsa_float_round_mode_16_64 0
		.amdhsa_float_denorm_mode_32 3
		.amdhsa_float_denorm_mode_16_64 3
		.amdhsa_dx10_clamp 1
		.amdhsa_ieee_mode 1
		.amdhsa_fp16_overflow 0
		.amdhsa_workgroup_processor_mode 1
		.amdhsa_memory_ordered 1
		.amdhsa_forward_progress 0
		.amdhsa_shared_vgpr_count 0
		.amdhsa_exception_fp_ieee_invalid_op 0
		.amdhsa_exception_fp_denorm_src 0
		.amdhsa_exception_fp_ieee_div_zero 0
		.amdhsa_exception_fp_ieee_overflow 0
		.amdhsa_exception_fp_ieee_underflow 0
		.amdhsa_exception_fp_ieee_inexact 0
		.amdhsa_exception_int_div_zero 0
	.end_amdhsa_kernel
	.section	.text._ZN7rocprim17ROCPRIM_400000_NS6detail17trampoline_kernelINS0_14default_configENS1_29reduce_by_key_config_selectorIxxN6thrust23THRUST_200600_302600_NS4plusIxEEEEZZNS1_33reduce_by_key_impl_wrapped_configILNS1_25lookback_scan_determinismE0ES3_S9_NS6_6detail15normal_iteratorINS6_10device_ptrIxEEEESG_SG_SG_PmS8_NS6_8equal_toIxEEEE10hipError_tPvRmT2_T3_mT4_T5_T6_T7_T8_P12ihipStream_tbENKUlT_T0_E_clISt17integral_constantIbLb0EES10_IbLb1EEEEDaSW_SX_EUlSW_E_NS1_11comp_targetILNS1_3genE3ELNS1_11target_archE908ELNS1_3gpuE7ELNS1_3repE0EEENS1_30default_config_static_selectorELNS0_4arch9wavefront6targetE0EEEvT1_,"axG",@progbits,_ZN7rocprim17ROCPRIM_400000_NS6detail17trampoline_kernelINS0_14default_configENS1_29reduce_by_key_config_selectorIxxN6thrust23THRUST_200600_302600_NS4plusIxEEEEZZNS1_33reduce_by_key_impl_wrapped_configILNS1_25lookback_scan_determinismE0ES3_S9_NS6_6detail15normal_iteratorINS6_10device_ptrIxEEEESG_SG_SG_PmS8_NS6_8equal_toIxEEEE10hipError_tPvRmT2_T3_mT4_T5_T6_T7_T8_P12ihipStream_tbENKUlT_T0_E_clISt17integral_constantIbLb0EES10_IbLb1EEEEDaSW_SX_EUlSW_E_NS1_11comp_targetILNS1_3genE3ELNS1_11target_archE908ELNS1_3gpuE7ELNS1_3repE0EEENS1_30default_config_static_selectorELNS0_4arch9wavefront6targetE0EEEvT1_,comdat
.Lfunc_end502:
	.size	_ZN7rocprim17ROCPRIM_400000_NS6detail17trampoline_kernelINS0_14default_configENS1_29reduce_by_key_config_selectorIxxN6thrust23THRUST_200600_302600_NS4plusIxEEEEZZNS1_33reduce_by_key_impl_wrapped_configILNS1_25lookback_scan_determinismE0ES3_S9_NS6_6detail15normal_iteratorINS6_10device_ptrIxEEEESG_SG_SG_PmS8_NS6_8equal_toIxEEEE10hipError_tPvRmT2_T3_mT4_T5_T6_T7_T8_P12ihipStream_tbENKUlT_T0_E_clISt17integral_constantIbLb0EES10_IbLb1EEEEDaSW_SX_EUlSW_E_NS1_11comp_targetILNS1_3genE3ELNS1_11target_archE908ELNS1_3gpuE7ELNS1_3repE0EEENS1_30default_config_static_selectorELNS0_4arch9wavefront6targetE0EEEvT1_, .Lfunc_end502-_ZN7rocprim17ROCPRIM_400000_NS6detail17trampoline_kernelINS0_14default_configENS1_29reduce_by_key_config_selectorIxxN6thrust23THRUST_200600_302600_NS4plusIxEEEEZZNS1_33reduce_by_key_impl_wrapped_configILNS1_25lookback_scan_determinismE0ES3_S9_NS6_6detail15normal_iteratorINS6_10device_ptrIxEEEESG_SG_SG_PmS8_NS6_8equal_toIxEEEE10hipError_tPvRmT2_T3_mT4_T5_T6_T7_T8_P12ihipStream_tbENKUlT_T0_E_clISt17integral_constantIbLb0EES10_IbLb1EEEEDaSW_SX_EUlSW_E_NS1_11comp_targetILNS1_3genE3ELNS1_11target_archE908ELNS1_3gpuE7ELNS1_3repE0EEENS1_30default_config_static_selectorELNS0_4arch9wavefront6targetE0EEEvT1_
                                        ; -- End function
	.section	.AMDGPU.csdata,"",@progbits
; Kernel info:
; codeLenInByte = 0
; NumSgprs: 0
; NumVgprs: 0
; ScratchSize: 0
; MemoryBound: 0
; FloatMode: 240
; IeeeMode: 1
; LDSByteSize: 0 bytes/workgroup (compile time only)
; SGPRBlocks: 0
; VGPRBlocks: 0
; NumSGPRsForWavesPerEU: 1
; NumVGPRsForWavesPerEU: 1
; Occupancy: 16
; WaveLimiterHint : 0
; COMPUTE_PGM_RSRC2:SCRATCH_EN: 0
; COMPUTE_PGM_RSRC2:USER_SGPR: 15
; COMPUTE_PGM_RSRC2:TRAP_HANDLER: 0
; COMPUTE_PGM_RSRC2:TGID_X_EN: 1
; COMPUTE_PGM_RSRC2:TGID_Y_EN: 0
; COMPUTE_PGM_RSRC2:TGID_Z_EN: 0
; COMPUTE_PGM_RSRC2:TIDIG_COMP_CNT: 0
	.section	.text._ZN7rocprim17ROCPRIM_400000_NS6detail17trampoline_kernelINS0_14default_configENS1_29reduce_by_key_config_selectorIxxN6thrust23THRUST_200600_302600_NS4plusIxEEEEZZNS1_33reduce_by_key_impl_wrapped_configILNS1_25lookback_scan_determinismE0ES3_S9_NS6_6detail15normal_iteratorINS6_10device_ptrIxEEEESG_SG_SG_PmS8_NS6_8equal_toIxEEEE10hipError_tPvRmT2_T3_mT4_T5_T6_T7_T8_P12ihipStream_tbENKUlT_T0_E_clISt17integral_constantIbLb0EES10_IbLb1EEEEDaSW_SX_EUlSW_E_NS1_11comp_targetILNS1_3genE2ELNS1_11target_archE906ELNS1_3gpuE6ELNS1_3repE0EEENS1_30default_config_static_selectorELNS0_4arch9wavefront6targetE0EEEvT1_,"axG",@progbits,_ZN7rocprim17ROCPRIM_400000_NS6detail17trampoline_kernelINS0_14default_configENS1_29reduce_by_key_config_selectorIxxN6thrust23THRUST_200600_302600_NS4plusIxEEEEZZNS1_33reduce_by_key_impl_wrapped_configILNS1_25lookback_scan_determinismE0ES3_S9_NS6_6detail15normal_iteratorINS6_10device_ptrIxEEEESG_SG_SG_PmS8_NS6_8equal_toIxEEEE10hipError_tPvRmT2_T3_mT4_T5_T6_T7_T8_P12ihipStream_tbENKUlT_T0_E_clISt17integral_constantIbLb0EES10_IbLb1EEEEDaSW_SX_EUlSW_E_NS1_11comp_targetILNS1_3genE2ELNS1_11target_archE906ELNS1_3gpuE6ELNS1_3repE0EEENS1_30default_config_static_selectorELNS0_4arch9wavefront6targetE0EEEvT1_,comdat
	.protected	_ZN7rocprim17ROCPRIM_400000_NS6detail17trampoline_kernelINS0_14default_configENS1_29reduce_by_key_config_selectorIxxN6thrust23THRUST_200600_302600_NS4plusIxEEEEZZNS1_33reduce_by_key_impl_wrapped_configILNS1_25lookback_scan_determinismE0ES3_S9_NS6_6detail15normal_iteratorINS6_10device_ptrIxEEEESG_SG_SG_PmS8_NS6_8equal_toIxEEEE10hipError_tPvRmT2_T3_mT4_T5_T6_T7_T8_P12ihipStream_tbENKUlT_T0_E_clISt17integral_constantIbLb0EES10_IbLb1EEEEDaSW_SX_EUlSW_E_NS1_11comp_targetILNS1_3genE2ELNS1_11target_archE906ELNS1_3gpuE6ELNS1_3repE0EEENS1_30default_config_static_selectorELNS0_4arch9wavefront6targetE0EEEvT1_ ; -- Begin function _ZN7rocprim17ROCPRIM_400000_NS6detail17trampoline_kernelINS0_14default_configENS1_29reduce_by_key_config_selectorIxxN6thrust23THRUST_200600_302600_NS4plusIxEEEEZZNS1_33reduce_by_key_impl_wrapped_configILNS1_25lookback_scan_determinismE0ES3_S9_NS6_6detail15normal_iteratorINS6_10device_ptrIxEEEESG_SG_SG_PmS8_NS6_8equal_toIxEEEE10hipError_tPvRmT2_T3_mT4_T5_T6_T7_T8_P12ihipStream_tbENKUlT_T0_E_clISt17integral_constantIbLb0EES10_IbLb1EEEEDaSW_SX_EUlSW_E_NS1_11comp_targetILNS1_3genE2ELNS1_11target_archE906ELNS1_3gpuE6ELNS1_3repE0EEENS1_30default_config_static_selectorELNS0_4arch9wavefront6targetE0EEEvT1_
	.globl	_ZN7rocprim17ROCPRIM_400000_NS6detail17trampoline_kernelINS0_14default_configENS1_29reduce_by_key_config_selectorIxxN6thrust23THRUST_200600_302600_NS4plusIxEEEEZZNS1_33reduce_by_key_impl_wrapped_configILNS1_25lookback_scan_determinismE0ES3_S9_NS6_6detail15normal_iteratorINS6_10device_ptrIxEEEESG_SG_SG_PmS8_NS6_8equal_toIxEEEE10hipError_tPvRmT2_T3_mT4_T5_T6_T7_T8_P12ihipStream_tbENKUlT_T0_E_clISt17integral_constantIbLb0EES10_IbLb1EEEEDaSW_SX_EUlSW_E_NS1_11comp_targetILNS1_3genE2ELNS1_11target_archE906ELNS1_3gpuE6ELNS1_3repE0EEENS1_30default_config_static_selectorELNS0_4arch9wavefront6targetE0EEEvT1_
	.p2align	8
	.type	_ZN7rocprim17ROCPRIM_400000_NS6detail17trampoline_kernelINS0_14default_configENS1_29reduce_by_key_config_selectorIxxN6thrust23THRUST_200600_302600_NS4plusIxEEEEZZNS1_33reduce_by_key_impl_wrapped_configILNS1_25lookback_scan_determinismE0ES3_S9_NS6_6detail15normal_iteratorINS6_10device_ptrIxEEEESG_SG_SG_PmS8_NS6_8equal_toIxEEEE10hipError_tPvRmT2_T3_mT4_T5_T6_T7_T8_P12ihipStream_tbENKUlT_T0_E_clISt17integral_constantIbLb0EES10_IbLb1EEEEDaSW_SX_EUlSW_E_NS1_11comp_targetILNS1_3genE2ELNS1_11target_archE906ELNS1_3gpuE6ELNS1_3repE0EEENS1_30default_config_static_selectorELNS0_4arch9wavefront6targetE0EEEvT1_,@function
_ZN7rocprim17ROCPRIM_400000_NS6detail17trampoline_kernelINS0_14default_configENS1_29reduce_by_key_config_selectorIxxN6thrust23THRUST_200600_302600_NS4plusIxEEEEZZNS1_33reduce_by_key_impl_wrapped_configILNS1_25lookback_scan_determinismE0ES3_S9_NS6_6detail15normal_iteratorINS6_10device_ptrIxEEEESG_SG_SG_PmS8_NS6_8equal_toIxEEEE10hipError_tPvRmT2_T3_mT4_T5_T6_T7_T8_P12ihipStream_tbENKUlT_T0_E_clISt17integral_constantIbLb0EES10_IbLb1EEEEDaSW_SX_EUlSW_E_NS1_11comp_targetILNS1_3genE2ELNS1_11target_archE906ELNS1_3gpuE6ELNS1_3repE0EEENS1_30default_config_static_selectorELNS0_4arch9wavefront6targetE0EEEvT1_: ; @_ZN7rocprim17ROCPRIM_400000_NS6detail17trampoline_kernelINS0_14default_configENS1_29reduce_by_key_config_selectorIxxN6thrust23THRUST_200600_302600_NS4plusIxEEEEZZNS1_33reduce_by_key_impl_wrapped_configILNS1_25lookback_scan_determinismE0ES3_S9_NS6_6detail15normal_iteratorINS6_10device_ptrIxEEEESG_SG_SG_PmS8_NS6_8equal_toIxEEEE10hipError_tPvRmT2_T3_mT4_T5_T6_T7_T8_P12ihipStream_tbENKUlT_T0_E_clISt17integral_constantIbLb0EES10_IbLb1EEEEDaSW_SX_EUlSW_E_NS1_11comp_targetILNS1_3genE2ELNS1_11target_archE906ELNS1_3gpuE6ELNS1_3repE0EEENS1_30default_config_static_selectorELNS0_4arch9wavefront6targetE0EEEvT1_
; %bb.0:
	.section	.rodata,"a",@progbits
	.p2align	6, 0x0
	.amdhsa_kernel _ZN7rocprim17ROCPRIM_400000_NS6detail17trampoline_kernelINS0_14default_configENS1_29reduce_by_key_config_selectorIxxN6thrust23THRUST_200600_302600_NS4plusIxEEEEZZNS1_33reduce_by_key_impl_wrapped_configILNS1_25lookback_scan_determinismE0ES3_S9_NS6_6detail15normal_iteratorINS6_10device_ptrIxEEEESG_SG_SG_PmS8_NS6_8equal_toIxEEEE10hipError_tPvRmT2_T3_mT4_T5_T6_T7_T8_P12ihipStream_tbENKUlT_T0_E_clISt17integral_constantIbLb0EES10_IbLb1EEEEDaSW_SX_EUlSW_E_NS1_11comp_targetILNS1_3genE2ELNS1_11target_archE906ELNS1_3gpuE6ELNS1_3repE0EEENS1_30default_config_static_selectorELNS0_4arch9wavefront6targetE0EEEvT1_
		.amdhsa_group_segment_fixed_size 0
		.amdhsa_private_segment_fixed_size 0
		.amdhsa_kernarg_size 136
		.amdhsa_user_sgpr_count 15
		.amdhsa_user_sgpr_dispatch_ptr 0
		.amdhsa_user_sgpr_queue_ptr 0
		.amdhsa_user_sgpr_kernarg_segment_ptr 1
		.amdhsa_user_sgpr_dispatch_id 0
		.amdhsa_user_sgpr_private_segment_size 0
		.amdhsa_wavefront_size32 1
		.amdhsa_uses_dynamic_stack 0
		.amdhsa_enable_private_segment 0
		.amdhsa_system_sgpr_workgroup_id_x 1
		.amdhsa_system_sgpr_workgroup_id_y 0
		.amdhsa_system_sgpr_workgroup_id_z 0
		.amdhsa_system_sgpr_workgroup_info 0
		.amdhsa_system_vgpr_workitem_id 0
		.amdhsa_next_free_vgpr 1
		.amdhsa_next_free_sgpr 1
		.amdhsa_reserve_vcc 0
		.amdhsa_float_round_mode_32 0
		.amdhsa_float_round_mode_16_64 0
		.amdhsa_float_denorm_mode_32 3
		.amdhsa_float_denorm_mode_16_64 3
		.amdhsa_dx10_clamp 1
		.amdhsa_ieee_mode 1
		.amdhsa_fp16_overflow 0
		.amdhsa_workgroup_processor_mode 1
		.amdhsa_memory_ordered 1
		.amdhsa_forward_progress 0
		.amdhsa_shared_vgpr_count 0
		.amdhsa_exception_fp_ieee_invalid_op 0
		.amdhsa_exception_fp_denorm_src 0
		.amdhsa_exception_fp_ieee_div_zero 0
		.amdhsa_exception_fp_ieee_overflow 0
		.amdhsa_exception_fp_ieee_underflow 0
		.amdhsa_exception_fp_ieee_inexact 0
		.amdhsa_exception_int_div_zero 0
	.end_amdhsa_kernel
	.section	.text._ZN7rocprim17ROCPRIM_400000_NS6detail17trampoline_kernelINS0_14default_configENS1_29reduce_by_key_config_selectorIxxN6thrust23THRUST_200600_302600_NS4plusIxEEEEZZNS1_33reduce_by_key_impl_wrapped_configILNS1_25lookback_scan_determinismE0ES3_S9_NS6_6detail15normal_iteratorINS6_10device_ptrIxEEEESG_SG_SG_PmS8_NS6_8equal_toIxEEEE10hipError_tPvRmT2_T3_mT4_T5_T6_T7_T8_P12ihipStream_tbENKUlT_T0_E_clISt17integral_constantIbLb0EES10_IbLb1EEEEDaSW_SX_EUlSW_E_NS1_11comp_targetILNS1_3genE2ELNS1_11target_archE906ELNS1_3gpuE6ELNS1_3repE0EEENS1_30default_config_static_selectorELNS0_4arch9wavefront6targetE0EEEvT1_,"axG",@progbits,_ZN7rocprim17ROCPRIM_400000_NS6detail17trampoline_kernelINS0_14default_configENS1_29reduce_by_key_config_selectorIxxN6thrust23THRUST_200600_302600_NS4plusIxEEEEZZNS1_33reduce_by_key_impl_wrapped_configILNS1_25lookback_scan_determinismE0ES3_S9_NS6_6detail15normal_iteratorINS6_10device_ptrIxEEEESG_SG_SG_PmS8_NS6_8equal_toIxEEEE10hipError_tPvRmT2_T3_mT4_T5_T6_T7_T8_P12ihipStream_tbENKUlT_T0_E_clISt17integral_constantIbLb0EES10_IbLb1EEEEDaSW_SX_EUlSW_E_NS1_11comp_targetILNS1_3genE2ELNS1_11target_archE906ELNS1_3gpuE6ELNS1_3repE0EEENS1_30default_config_static_selectorELNS0_4arch9wavefront6targetE0EEEvT1_,comdat
.Lfunc_end503:
	.size	_ZN7rocprim17ROCPRIM_400000_NS6detail17trampoline_kernelINS0_14default_configENS1_29reduce_by_key_config_selectorIxxN6thrust23THRUST_200600_302600_NS4plusIxEEEEZZNS1_33reduce_by_key_impl_wrapped_configILNS1_25lookback_scan_determinismE0ES3_S9_NS6_6detail15normal_iteratorINS6_10device_ptrIxEEEESG_SG_SG_PmS8_NS6_8equal_toIxEEEE10hipError_tPvRmT2_T3_mT4_T5_T6_T7_T8_P12ihipStream_tbENKUlT_T0_E_clISt17integral_constantIbLb0EES10_IbLb1EEEEDaSW_SX_EUlSW_E_NS1_11comp_targetILNS1_3genE2ELNS1_11target_archE906ELNS1_3gpuE6ELNS1_3repE0EEENS1_30default_config_static_selectorELNS0_4arch9wavefront6targetE0EEEvT1_, .Lfunc_end503-_ZN7rocprim17ROCPRIM_400000_NS6detail17trampoline_kernelINS0_14default_configENS1_29reduce_by_key_config_selectorIxxN6thrust23THRUST_200600_302600_NS4plusIxEEEEZZNS1_33reduce_by_key_impl_wrapped_configILNS1_25lookback_scan_determinismE0ES3_S9_NS6_6detail15normal_iteratorINS6_10device_ptrIxEEEESG_SG_SG_PmS8_NS6_8equal_toIxEEEE10hipError_tPvRmT2_T3_mT4_T5_T6_T7_T8_P12ihipStream_tbENKUlT_T0_E_clISt17integral_constantIbLb0EES10_IbLb1EEEEDaSW_SX_EUlSW_E_NS1_11comp_targetILNS1_3genE2ELNS1_11target_archE906ELNS1_3gpuE6ELNS1_3repE0EEENS1_30default_config_static_selectorELNS0_4arch9wavefront6targetE0EEEvT1_
                                        ; -- End function
	.section	.AMDGPU.csdata,"",@progbits
; Kernel info:
; codeLenInByte = 0
; NumSgprs: 0
; NumVgprs: 0
; ScratchSize: 0
; MemoryBound: 0
; FloatMode: 240
; IeeeMode: 1
; LDSByteSize: 0 bytes/workgroup (compile time only)
; SGPRBlocks: 0
; VGPRBlocks: 0
; NumSGPRsForWavesPerEU: 1
; NumVGPRsForWavesPerEU: 1
; Occupancy: 16
; WaveLimiterHint : 0
; COMPUTE_PGM_RSRC2:SCRATCH_EN: 0
; COMPUTE_PGM_RSRC2:USER_SGPR: 15
; COMPUTE_PGM_RSRC2:TRAP_HANDLER: 0
; COMPUTE_PGM_RSRC2:TGID_X_EN: 1
; COMPUTE_PGM_RSRC2:TGID_Y_EN: 0
; COMPUTE_PGM_RSRC2:TGID_Z_EN: 0
; COMPUTE_PGM_RSRC2:TIDIG_COMP_CNT: 0
	.section	.text._ZN7rocprim17ROCPRIM_400000_NS6detail17trampoline_kernelINS0_14default_configENS1_29reduce_by_key_config_selectorIxxN6thrust23THRUST_200600_302600_NS4plusIxEEEEZZNS1_33reduce_by_key_impl_wrapped_configILNS1_25lookback_scan_determinismE0ES3_S9_NS6_6detail15normal_iteratorINS6_10device_ptrIxEEEESG_SG_SG_PmS8_NS6_8equal_toIxEEEE10hipError_tPvRmT2_T3_mT4_T5_T6_T7_T8_P12ihipStream_tbENKUlT_T0_E_clISt17integral_constantIbLb0EES10_IbLb1EEEEDaSW_SX_EUlSW_E_NS1_11comp_targetILNS1_3genE10ELNS1_11target_archE1201ELNS1_3gpuE5ELNS1_3repE0EEENS1_30default_config_static_selectorELNS0_4arch9wavefront6targetE0EEEvT1_,"axG",@progbits,_ZN7rocprim17ROCPRIM_400000_NS6detail17trampoline_kernelINS0_14default_configENS1_29reduce_by_key_config_selectorIxxN6thrust23THRUST_200600_302600_NS4plusIxEEEEZZNS1_33reduce_by_key_impl_wrapped_configILNS1_25lookback_scan_determinismE0ES3_S9_NS6_6detail15normal_iteratorINS6_10device_ptrIxEEEESG_SG_SG_PmS8_NS6_8equal_toIxEEEE10hipError_tPvRmT2_T3_mT4_T5_T6_T7_T8_P12ihipStream_tbENKUlT_T0_E_clISt17integral_constantIbLb0EES10_IbLb1EEEEDaSW_SX_EUlSW_E_NS1_11comp_targetILNS1_3genE10ELNS1_11target_archE1201ELNS1_3gpuE5ELNS1_3repE0EEENS1_30default_config_static_selectorELNS0_4arch9wavefront6targetE0EEEvT1_,comdat
	.protected	_ZN7rocprim17ROCPRIM_400000_NS6detail17trampoline_kernelINS0_14default_configENS1_29reduce_by_key_config_selectorIxxN6thrust23THRUST_200600_302600_NS4plusIxEEEEZZNS1_33reduce_by_key_impl_wrapped_configILNS1_25lookback_scan_determinismE0ES3_S9_NS6_6detail15normal_iteratorINS6_10device_ptrIxEEEESG_SG_SG_PmS8_NS6_8equal_toIxEEEE10hipError_tPvRmT2_T3_mT4_T5_T6_T7_T8_P12ihipStream_tbENKUlT_T0_E_clISt17integral_constantIbLb0EES10_IbLb1EEEEDaSW_SX_EUlSW_E_NS1_11comp_targetILNS1_3genE10ELNS1_11target_archE1201ELNS1_3gpuE5ELNS1_3repE0EEENS1_30default_config_static_selectorELNS0_4arch9wavefront6targetE0EEEvT1_ ; -- Begin function _ZN7rocprim17ROCPRIM_400000_NS6detail17trampoline_kernelINS0_14default_configENS1_29reduce_by_key_config_selectorIxxN6thrust23THRUST_200600_302600_NS4plusIxEEEEZZNS1_33reduce_by_key_impl_wrapped_configILNS1_25lookback_scan_determinismE0ES3_S9_NS6_6detail15normal_iteratorINS6_10device_ptrIxEEEESG_SG_SG_PmS8_NS6_8equal_toIxEEEE10hipError_tPvRmT2_T3_mT4_T5_T6_T7_T8_P12ihipStream_tbENKUlT_T0_E_clISt17integral_constantIbLb0EES10_IbLb1EEEEDaSW_SX_EUlSW_E_NS1_11comp_targetILNS1_3genE10ELNS1_11target_archE1201ELNS1_3gpuE5ELNS1_3repE0EEENS1_30default_config_static_selectorELNS0_4arch9wavefront6targetE0EEEvT1_
	.globl	_ZN7rocprim17ROCPRIM_400000_NS6detail17trampoline_kernelINS0_14default_configENS1_29reduce_by_key_config_selectorIxxN6thrust23THRUST_200600_302600_NS4plusIxEEEEZZNS1_33reduce_by_key_impl_wrapped_configILNS1_25lookback_scan_determinismE0ES3_S9_NS6_6detail15normal_iteratorINS6_10device_ptrIxEEEESG_SG_SG_PmS8_NS6_8equal_toIxEEEE10hipError_tPvRmT2_T3_mT4_T5_T6_T7_T8_P12ihipStream_tbENKUlT_T0_E_clISt17integral_constantIbLb0EES10_IbLb1EEEEDaSW_SX_EUlSW_E_NS1_11comp_targetILNS1_3genE10ELNS1_11target_archE1201ELNS1_3gpuE5ELNS1_3repE0EEENS1_30default_config_static_selectorELNS0_4arch9wavefront6targetE0EEEvT1_
	.p2align	8
	.type	_ZN7rocprim17ROCPRIM_400000_NS6detail17trampoline_kernelINS0_14default_configENS1_29reduce_by_key_config_selectorIxxN6thrust23THRUST_200600_302600_NS4plusIxEEEEZZNS1_33reduce_by_key_impl_wrapped_configILNS1_25lookback_scan_determinismE0ES3_S9_NS6_6detail15normal_iteratorINS6_10device_ptrIxEEEESG_SG_SG_PmS8_NS6_8equal_toIxEEEE10hipError_tPvRmT2_T3_mT4_T5_T6_T7_T8_P12ihipStream_tbENKUlT_T0_E_clISt17integral_constantIbLb0EES10_IbLb1EEEEDaSW_SX_EUlSW_E_NS1_11comp_targetILNS1_3genE10ELNS1_11target_archE1201ELNS1_3gpuE5ELNS1_3repE0EEENS1_30default_config_static_selectorELNS0_4arch9wavefront6targetE0EEEvT1_,@function
_ZN7rocprim17ROCPRIM_400000_NS6detail17trampoline_kernelINS0_14default_configENS1_29reduce_by_key_config_selectorIxxN6thrust23THRUST_200600_302600_NS4plusIxEEEEZZNS1_33reduce_by_key_impl_wrapped_configILNS1_25lookback_scan_determinismE0ES3_S9_NS6_6detail15normal_iteratorINS6_10device_ptrIxEEEESG_SG_SG_PmS8_NS6_8equal_toIxEEEE10hipError_tPvRmT2_T3_mT4_T5_T6_T7_T8_P12ihipStream_tbENKUlT_T0_E_clISt17integral_constantIbLb0EES10_IbLb1EEEEDaSW_SX_EUlSW_E_NS1_11comp_targetILNS1_3genE10ELNS1_11target_archE1201ELNS1_3gpuE5ELNS1_3repE0EEENS1_30default_config_static_selectorELNS0_4arch9wavefront6targetE0EEEvT1_: ; @_ZN7rocprim17ROCPRIM_400000_NS6detail17trampoline_kernelINS0_14default_configENS1_29reduce_by_key_config_selectorIxxN6thrust23THRUST_200600_302600_NS4plusIxEEEEZZNS1_33reduce_by_key_impl_wrapped_configILNS1_25lookback_scan_determinismE0ES3_S9_NS6_6detail15normal_iteratorINS6_10device_ptrIxEEEESG_SG_SG_PmS8_NS6_8equal_toIxEEEE10hipError_tPvRmT2_T3_mT4_T5_T6_T7_T8_P12ihipStream_tbENKUlT_T0_E_clISt17integral_constantIbLb0EES10_IbLb1EEEEDaSW_SX_EUlSW_E_NS1_11comp_targetILNS1_3genE10ELNS1_11target_archE1201ELNS1_3gpuE5ELNS1_3repE0EEENS1_30default_config_static_selectorELNS0_4arch9wavefront6targetE0EEEvT1_
; %bb.0:
	.section	.rodata,"a",@progbits
	.p2align	6, 0x0
	.amdhsa_kernel _ZN7rocprim17ROCPRIM_400000_NS6detail17trampoline_kernelINS0_14default_configENS1_29reduce_by_key_config_selectorIxxN6thrust23THRUST_200600_302600_NS4plusIxEEEEZZNS1_33reduce_by_key_impl_wrapped_configILNS1_25lookback_scan_determinismE0ES3_S9_NS6_6detail15normal_iteratorINS6_10device_ptrIxEEEESG_SG_SG_PmS8_NS6_8equal_toIxEEEE10hipError_tPvRmT2_T3_mT4_T5_T6_T7_T8_P12ihipStream_tbENKUlT_T0_E_clISt17integral_constantIbLb0EES10_IbLb1EEEEDaSW_SX_EUlSW_E_NS1_11comp_targetILNS1_3genE10ELNS1_11target_archE1201ELNS1_3gpuE5ELNS1_3repE0EEENS1_30default_config_static_selectorELNS0_4arch9wavefront6targetE0EEEvT1_
		.amdhsa_group_segment_fixed_size 0
		.amdhsa_private_segment_fixed_size 0
		.amdhsa_kernarg_size 136
		.amdhsa_user_sgpr_count 15
		.amdhsa_user_sgpr_dispatch_ptr 0
		.amdhsa_user_sgpr_queue_ptr 0
		.amdhsa_user_sgpr_kernarg_segment_ptr 1
		.amdhsa_user_sgpr_dispatch_id 0
		.amdhsa_user_sgpr_private_segment_size 0
		.amdhsa_wavefront_size32 1
		.amdhsa_uses_dynamic_stack 0
		.amdhsa_enable_private_segment 0
		.amdhsa_system_sgpr_workgroup_id_x 1
		.amdhsa_system_sgpr_workgroup_id_y 0
		.amdhsa_system_sgpr_workgroup_id_z 0
		.amdhsa_system_sgpr_workgroup_info 0
		.amdhsa_system_vgpr_workitem_id 0
		.amdhsa_next_free_vgpr 1
		.amdhsa_next_free_sgpr 1
		.amdhsa_reserve_vcc 0
		.amdhsa_float_round_mode_32 0
		.amdhsa_float_round_mode_16_64 0
		.amdhsa_float_denorm_mode_32 3
		.amdhsa_float_denorm_mode_16_64 3
		.amdhsa_dx10_clamp 1
		.amdhsa_ieee_mode 1
		.amdhsa_fp16_overflow 0
		.amdhsa_workgroup_processor_mode 1
		.amdhsa_memory_ordered 1
		.amdhsa_forward_progress 0
		.amdhsa_shared_vgpr_count 0
		.amdhsa_exception_fp_ieee_invalid_op 0
		.amdhsa_exception_fp_denorm_src 0
		.amdhsa_exception_fp_ieee_div_zero 0
		.amdhsa_exception_fp_ieee_overflow 0
		.amdhsa_exception_fp_ieee_underflow 0
		.amdhsa_exception_fp_ieee_inexact 0
		.amdhsa_exception_int_div_zero 0
	.end_amdhsa_kernel
	.section	.text._ZN7rocprim17ROCPRIM_400000_NS6detail17trampoline_kernelINS0_14default_configENS1_29reduce_by_key_config_selectorIxxN6thrust23THRUST_200600_302600_NS4plusIxEEEEZZNS1_33reduce_by_key_impl_wrapped_configILNS1_25lookback_scan_determinismE0ES3_S9_NS6_6detail15normal_iteratorINS6_10device_ptrIxEEEESG_SG_SG_PmS8_NS6_8equal_toIxEEEE10hipError_tPvRmT2_T3_mT4_T5_T6_T7_T8_P12ihipStream_tbENKUlT_T0_E_clISt17integral_constantIbLb0EES10_IbLb1EEEEDaSW_SX_EUlSW_E_NS1_11comp_targetILNS1_3genE10ELNS1_11target_archE1201ELNS1_3gpuE5ELNS1_3repE0EEENS1_30default_config_static_selectorELNS0_4arch9wavefront6targetE0EEEvT1_,"axG",@progbits,_ZN7rocprim17ROCPRIM_400000_NS6detail17trampoline_kernelINS0_14default_configENS1_29reduce_by_key_config_selectorIxxN6thrust23THRUST_200600_302600_NS4plusIxEEEEZZNS1_33reduce_by_key_impl_wrapped_configILNS1_25lookback_scan_determinismE0ES3_S9_NS6_6detail15normal_iteratorINS6_10device_ptrIxEEEESG_SG_SG_PmS8_NS6_8equal_toIxEEEE10hipError_tPvRmT2_T3_mT4_T5_T6_T7_T8_P12ihipStream_tbENKUlT_T0_E_clISt17integral_constantIbLb0EES10_IbLb1EEEEDaSW_SX_EUlSW_E_NS1_11comp_targetILNS1_3genE10ELNS1_11target_archE1201ELNS1_3gpuE5ELNS1_3repE0EEENS1_30default_config_static_selectorELNS0_4arch9wavefront6targetE0EEEvT1_,comdat
.Lfunc_end504:
	.size	_ZN7rocprim17ROCPRIM_400000_NS6detail17trampoline_kernelINS0_14default_configENS1_29reduce_by_key_config_selectorIxxN6thrust23THRUST_200600_302600_NS4plusIxEEEEZZNS1_33reduce_by_key_impl_wrapped_configILNS1_25lookback_scan_determinismE0ES3_S9_NS6_6detail15normal_iteratorINS6_10device_ptrIxEEEESG_SG_SG_PmS8_NS6_8equal_toIxEEEE10hipError_tPvRmT2_T3_mT4_T5_T6_T7_T8_P12ihipStream_tbENKUlT_T0_E_clISt17integral_constantIbLb0EES10_IbLb1EEEEDaSW_SX_EUlSW_E_NS1_11comp_targetILNS1_3genE10ELNS1_11target_archE1201ELNS1_3gpuE5ELNS1_3repE0EEENS1_30default_config_static_selectorELNS0_4arch9wavefront6targetE0EEEvT1_, .Lfunc_end504-_ZN7rocprim17ROCPRIM_400000_NS6detail17trampoline_kernelINS0_14default_configENS1_29reduce_by_key_config_selectorIxxN6thrust23THRUST_200600_302600_NS4plusIxEEEEZZNS1_33reduce_by_key_impl_wrapped_configILNS1_25lookback_scan_determinismE0ES3_S9_NS6_6detail15normal_iteratorINS6_10device_ptrIxEEEESG_SG_SG_PmS8_NS6_8equal_toIxEEEE10hipError_tPvRmT2_T3_mT4_T5_T6_T7_T8_P12ihipStream_tbENKUlT_T0_E_clISt17integral_constantIbLb0EES10_IbLb1EEEEDaSW_SX_EUlSW_E_NS1_11comp_targetILNS1_3genE10ELNS1_11target_archE1201ELNS1_3gpuE5ELNS1_3repE0EEENS1_30default_config_static_selectorELNS0_4arch9wavefront6targetE0EEEvT1_
                                        ; -- End function
	.section	.AMDGPU.csdata,"",@progbits
; Kernel info:
; codeLenInByte = 0
; NumSgprs: 0
; NumVgprs: 0
; ScratchSize: 0
; MemoryBound: 0
; FloatMode: 240
; IeeeMode: 1
; LDSByteSize: 0 bytes/workgroup (compile time only)
; SGPRBlocks: 0
; VGPRBlocks: 0
; NumSGPRsForWavesPerEU: 1
; NumVGPRsForWavesPerEU: 1
; Occupancy: 16
; WaveLimiterHint : 0
; COMPUTE_PGM_RSRC2:SCRATCH_EN: 0
; COMPUTE_PGM_RSRC2:USER_SGPR: 15
; COMPUTE_PGM_RSRC2:TRAP_HANDLER: 0
; COMPUTE_PGM_RSRC2:TGID_X_EN: 1
; COMPUTE_PGM_RSRC2:TGID_Y_EN: 0
; COMPUTE_PGM_RSRC2:TGID_Z_EN: 0
; COMPUTE_PGM_RSRC2:TIDIG_COMP_CNT: 0
	.section	.text._ZN7rocprim17ROCPRIM_400000_NS6detail17trampoline_kernelINS0_14default_configENS1_29reduce_by_key_config_selectorIxxN6thrust23THRUST_200600_302600_NS4plusIxEEEEZZNS1_33reduce_by_key_impl_wrapped_configILNS1_25lookback_scan_determinismE0ES3_S9_NS6_6detail15normal_iteratorINS6_10device_ptrIxEEEESG_SG_SG_PmS8_NS6_8equal_toIxEEEE10hipError_tPvRmT2_T3_mT4_T5_T6_T7_T8_P12ihipStream_tbENKUlT_T0_E_clISt17integral_constantIbLb0EES10_IbLb1EEEEDaSW_SX_EUlSW_E_NS1_11comp_targetILNS1_3genE10ELNS1_11target_archE1200ELNS1_3gpuE4ELNS1_3repE0EEENS1_30default_config_static_selectorELNS0_4arch9wavefront6targetE0EEEvT1_,"axG",@progbits,_ZN7rocprim17ROCPRIM_400000_NS6detail17trampoline_kernelINS0_14default_configENS1_29reduce_by_key_config_selectorIxxN6thrust23THRUST_200600_302600_NS4plusIxEEEEZZNS1_33reduce_by_key_impl_wrapped_configILNS1_25lookback_scan_determinismE0ES3_S9_NS6_6detail15normal_iteratorINS6_10device_ptrIxEEEESG_SG_SG_PmS8_NS6_8equal_toIxEEEE10hipError_tPvRmT2_T3_mT4_T5_T6_T7_T8_P12ihipStream_tbENKUlT_T0_E_clISt17integral_constantIbLb0EES10_IbLb1EEEEDaSW_SX_EUlSW_E_NS1_11comp_targetILNS1_3genE10ELNS1_11target_archE1200ELNS1_3gpuE4ELNS1_3repE0EEENS1_30default_config_static_selectorELNS0_4arch9wavefront6targetE0EEEvT1_,comdat
	.protected	_ZN7rocprim17ROCPRIM_400000_NS6detail17trampoline_kernelINS0_14default_configENS1_29reduce_by_key_config_selectorIxxN6thrust23THRUST_200600_302600_NS4plusIxEEEEZZNS1_33reduce_by_key_impl_wrapped_configILNS1_25lookback_scan_determinismE0ES3_S9_NS6_6detail15normal_iteratorINS6_10device_ptrIxEEEESG_SG_SG_PmS8_NS6_8equal_toIxEEEE10hipError_tPvRmT2_T3_mT4_T5_T6_T7_T8_P12ihipStream_tbENKUlT_T0_E_clISt17integral_constantIbLb0EES10_IbLb1EEEEDaSW_SX_EUlSW_E_NS1_11comp_targetILNS1_3genE10ELNS1_11target_archE1200ELNS1_3gpuE4ELNS1_3repE0EEENS1_30default_config_static_selectorELNS0_4arch9wavefront6targetE0EEEvT1_ ; -- Begin function _ZN7rocprim17ROCPRIM_400000_NS6detail17trampoline_kernelINS0_14default_configENS1_29reduce_by_key_config_selectorIxxN6thrust23THRUST_200600_302600_NS4plusIxEEEEZZNS1_33reduce_by_key_impl_wrapped_configILNS1_25lookback_scan_determinismE0ES3_S9_NS6_6detail15normal_iteratorINS6_10device_ptrIxEEEESG_SG_SG_PmS8_NS6_8equal_toIxEEEE10hipError_tPvRmT2_T3_mT4_T5_T6_T7_T8_P12ihipStream_tbENKUlT_T0_E_clISt17integral_constantIbLb0EES10_IbLb1EEEEDaSW_SX_EUlSW_E_NS1_11comp_targetILNS1_3genE10ELNS1_11target_archE1200ELNS1_3gpuE4ELNS1_3repE0EEENS1_30default_config_static_selectorELNS0_4arch9wavefront6targetE0EEEvT1_
	.globl	_ZN7rocprim17ROCPRIM_400000_NS6detail17trampoline_kernelINS0_14default_configENS1_29reduce_by_key_config_selectorIxxN6thrust23THRUST_200600_302600_NS4plusIxEEEEZZNS1_33reduce_by_key_impl_wrapped_configILNS1_25lookback_scan_determinismE0ES3_S9_NS6_6detail15normal_iteratorINS6_10device_ptrIxEEEESG_SG_SG_PmS8_NS6_8equal_toIxEEEE10hipError_tPvRmT2_T3_mT4_T5_T6_T7_T8_P12ihipStream_tbENKUlT_T0_E_clISt17integral_constantIbLb0EES10_IbLb1EEEEDaSW_SX_EUlSW_E_NS1_11comp_targetILNS1_3genE10ELNS1_11target_archE1200ELNS1_3gpuE4ELNS1_3repE0EEENS1_30default_config_static_selectorELNS0_4arch9wavefront6targetE0EEEvT1_
	.p2align	8
	.type	_ZN7rocprim17ROCPRIM_400000_NS6detail17trampoline_kernelINS0_14default_configENS1_29reduce_by_key_config_selectorIxxN6thrust23THRUST_200600_302600_NS4plusIxEEEEZZNS1_33reduce_by_key_impl_wrapped_configILNS1_25lookback_scan_determinismE0ES3_S9_NS6_6detail15normal_iteratorINS6_10device_ptrIxEEEESG_SG_SG_PmS8_NS6_8equal_toIxEEEE10hipError_tPvRmT2_T3_mT4_T5_T6_T7_T8_P12ihipStream_tbENKUlT_T0_E_clISt17integral_constantIbLb0EES10_IbLb1EEEEDaSW_SX_EUlSW_E_NS1_11comp_targetILNS1_3genE10ELNS1_11target_archE1200ELNS1_3gpuE4ELNS1_3repE0EEENS1_30default_config_static_selectorELNS0_4arch9wavefront6targetE0EEEvT1_,@function
_ZN7rocprim17ROCPRIM_400000_NS6detail17trampoline_kernelINS0_14default_configENS1_29reduce_by_key_config_selectorIxxN6thrust23THRUST_200600_302600_NS4plusIxEEEEZZNS1_33reduce_by_key_impl_wrapped_configILNS1_25lookback_scan_determinismE0ES3_S9_NS6_6detail15normal_iteratorINS6_10device_ptrIxEEEESG_SG_SG_PmS8_NS6_8equal_toIxEEEE10hipError_tPvRmT2_T3_mT4_T5_T6_T7_T8_P12ihipStream_tbENKUlT_T0_E_clISt17integral_constantIbLb0EES10_IbLb1EEEEDaSW_SX_EUlSW_E_NS1_11comp_targetILNS1_3genE10ELNS1_11target_archE1200ELNS1_3gpuE4ELNS1_3repE0EEENS1_30default_config_static_selectorELNS0_4arch9wavefront6targetE0EEEvT1_: ; @_ZN7rocprim17ROCPRIM_400000_NS6detail17trampoline_kernelINS0_14default_configENS1_29reduce_by_key_config_selectorIxxN6thrust23THRUST_200600_302600_NS4plusIxEEEEZZNS1_33reduce_by_key_impl_wrapped_configILNS1_25lookback_scan_determinismE0ES3_S9_NS6_6detail15normal_iteratorINS6_10device_ptrIxEEEESG_SG_SG_PmS8_NS6_8equal_toIxEEEE10hipError_tPvRmT2_T3_mT4_T5_T6_T7_T8_P12ihipStream_tbENKUlT_T0_E_clISt17integral_constantIbLb0EES10_IbLb1EEEEDaSW_SX_EUlSW_E_NS1_11comp_targetILNS1_3genE10ELNS1_11target_archE1200ELNS1_3gpuE4ELNS1_3repE0EEENS1_30default_config_static_selectorELNS0_4arch9wavefront6targetE0EEEvT1_
; %bb.0:
	.section	.rodata,"a",@progbits
	.p2align	6, 0x0
	.amdhsa_kernel _ZN7rocprim17ROCPRIM_400000_NS6detail17trampoline_kernelINS0_14default_configENS1_29reduce_by_key_config_selectorIxxN6thrust23THRUST_200600_302600_NS4plusIxEEEEZZNS1_33reduce_by_key_impl_wrapped_configILNS1_25lookback_scan_determinismE0ES3_S9_NS6_6detail15normal_iteratorINS6_10device_ptrIxEEEESG_SG_SG_PmS8_NS6_8equal_toIxEEEE10hipError_tPvRmT2_T3_mT4_T5_T6_T7_T8_P12ihipStream_tbENKUlT_T0_E_clISt17integral_constantIbLb0EES10_IbLb1EEEEDaSW_SX_EUlSW_E_NS1_11comp_targetILNS1_3genE10ELNS1_11target_archE1200ELNS1_3gpuE4ELNS1_3repE0EEENS1_30default_config_static_selectorELNS0_4arch9wavefront6targetE0EEEvT1_
		.amdhsa_group_segment_fixed_size 0
		.amdhsa_private_segment_fixed_size 0
		.amdhsa_kernarg_size 136
		.amdhsa_user_sgpr_count 15
		.amdhsa_user_sgpr_dispatch_ptr 0
		.amdhsa_user_sgpr_queue_ptr 0
		.amdhsa_user_sgpr_kernarg_segment_ptr 1
		.amdhsa_user_sgpr_dispatch_id 0
		.amdhsa_user_sgpr_private_segment_size 0
		.amdhsa_wavefront_size32 1
		.amdhsa_uses_dynamic_stack 0
		.amdhsa_enable_private_segment 0
		.amdhsa_system_sgpr_workgroup_id_x 1
		.amdhsa_system_sgpr_workgroup_id_y 0
		.amdhsa_system_sgpr_workgroup_id_z 0
		.amdhsa_system_sgpr_workgroup_info 0
		.amdhsa_system_vgpr_workitem_id 0
		.amdhsa_next_free_vgpr 1
		.amdhsa_next_free_sgpr 1
		.amdhsa_reserve_vcc 0
		.amdhsa_float_round_mode_32 0
		.amdhsa_float_round_mode_16_64 0
		.amdhsa_float_denorm_mode_32 3
		.amdhsa_float_denorm_mode_16_64 3
		.amdhsa_dx10_clamp 1
		.amdhsa_ieee_mode 1
		.amdhsa_fp16_overflow 0
		.amdhsa_workgroup_processor_mode 1
		.amdhsa_memory_ordered 1
		.amdhsa_forward_progress 0
		.amdhsa_shared_vgpr_count 0
		.amdhsa_exception_fp_ieee_invalid_op 0
		.amdhsa_exception_fp_denorm_src 0
		.amdhsa_exception_fp_ieee_div_zero 0
		.amdhsa_exception_fp_ieee_overflow 0
		.amdhsa_exception_fp_ieee_underflow 0
		.amdhsa_exception_fp_ieee_inexact 0
		.amdhsa_exception_int_div_zero 0
	.end_amdhsa_kernel
	.section	.text._ZN7rocprim17ROCPRIM_400000_NS6detail17trampoline_kernelINS0_14default_configENS1_29reduce_by_key_config_selectorIxxN6thrust23THRUST_200600_302600_NS4plusIxEEEEZZNS1_33reduce_by_key_impl_wrapped_configILNS1_25lookback_scan_determinismE0ES3_S9_NS6_6detail15normal_iteratorINS6_10device_ptrIxEEEESG_SG_SG_PmS8_NS6_8equal_toIxEEEE10hipError_tPvRmT2_T3_mT4_T5_T6_T7_T8_P12ihipStream_tbENKUlT_T0_E_clISt17integral_constantIbLb0EES10_IbLb1EEEEDaSW_SX_EUlSW_E_NS1_11comp_targetILNS1_3genE10ELNS1_11target_archE1200ELNS1_3gpuE4ELNS1_3repE0EEENS1_30default_config_static_selectorELNS0_4arch9wavefront6targetE0EEEvT1_,"axG",@progbits,_ZN7rocprim17ROCPRIM_400000_NS6detail17trampoline_kernelINS0_14default_configENS1_29reduce_by_key_config_selectorIxxN6thrust23THRUST_200600_302600_NS4plusIxEEEEZZNS1_33reduce_by_key_impl_wrapped_configILNS1_25lookback_scan_determinismE0ES3_S9_NS6_6detail15normal_iteratorINS6_10device_ptrIxEEEESG_SG_SG_PmS8_NS6_8equal_toIxEEEE10hipError_tPvRmT2_T3_mT4_T5_T6_T7_T8_P12ihipStream_tbENKUlT_T0_E_clISt17integral_constantIbLb0EES10_IbLb1EEEEDaSW_SX_EUlSW_E_NS1_11comp_targetILNS1_3genE10ELNS1_11target_archE1200ELNS1_3gpuE4ELNS1_3repE0EEENS1_30default_config_static_selectorELNS0_4arch9wavefront6targetE0EEEvT1_,comdat
.Lfunc_end505:
	.size	_ZN7rocprim17ROCPRIM_400000_NS6detail17trampoline_kernelINS0_14default_configENS1_29reduce_by_key_config_selectorIxxN6thrust23THRUST_200600_302600_NS4plusIxEEEEZZNS1_33reduce_by_key_impl_wrapped_configILNS1_25lookback_scan_determinismE0ES3_S9_NS6_6detail15normal_iteratorINS6_10device_ptrIxEEEESG_SG_SG_PmS8_NS6_8equal_toIxEEEE10hipError_tPvRmT2_T3_mT4_T5_T6_T7_T8_P12ihipStream_tbENKUlT_T0_E_clISt17integral_constantIbLb0EES10_IbLb1EEEEDaSW_SX_EUlSW_E_NS1_11comp_targetILNS1_3genE10ELNS1_11target_archE1200ELNS1_3gpuE4ELNS1_3repE0EEENS1_30default_config_static_selectorELNS0_4arch9wavefront6targetE0EEEvT1_, .Lfunc_end505-_ZN7rocprim17ROCPRIM_400000_NS6detail17trampoline_kernelINS0_14default_configENS1_29reduce_by_key_config_selectorIxxN6thrust23THRUST_200600_302600_NS4plusIxEEEEZZNS1_33reduce_by_key_impl_wrapped_configILNS1_25lookback_scan_determinismE0ES3_S9_NS6_6detail15normal_iteratorINS6_10device_ptrIxEEEESG_SG_SG_PmS8_NS6_8equal_toIxEEEE10hipError_tPvRmT2_T3_mT4_T5_T6_T7_T8_P12ihipStream_tbENKUlT_T0_E_clISt17integral_constantIbLb0EES10_IbLb1EEEEDaSW_SX_EUlSW_E_NS1_11comp_targetILNS1_3genE10ELNS1_11target_archE1200ELNS1_3gpuE4ELNS1_3repE0EEENS1_30default_config_static_selectorELNS0_4arch9wavefront6targetE0EEEvT1_
                                        ; -- End function
	.section	.AMDGPU.csdata,"",@progbits
; Kernel info:
; codeLenInByte = 0
; NumSgprs: 0
; NumVgprs: 0
; ScratchSize: 0
; MemoryBound: 0
; FloatMode: 240
; IeeeMode: 1
; LDSByteSize: 0 bytes/workgroup (compile time only)
; SGPRBlocks: 0
; VGPRBlocks: 0
; NumSGPRsForWavesPerEU: 1
; NumVGPRsForWavesPerEU: 1
; Occupancy: 16
; WaveLimiterHint : 0
; COMPUTE_PGM_RSRC2:SCRATCH_EN: 0
; COMPUTE_PGM_RSRC2:USER_SGPR: 15
; COMPUTE_PGM_RSRC2:TRAP_HANDLER: 0
; COMPUTE_PGM_RSRC2:TGID_X_EN: 1
; COMPUTE_PGM_RSRC2:TGID_Y_EN: 0
; COMPUTE_PGM_RSRC2:TGID_Z_EN: 0
; COMPUTE_PGM_RSRC2:TIDIG_COMP_CNT: 0
	.section	.text._ZN7rocprim17ROCPRIM_400000_NS6detail17trampoline_kernelINS0_14default_configENS1_29reduce_by_key_config_selectorIxxN6thrust23THRUST_200600_302600_NS4plusIxEEEEZZNS1_33reduce_by_key_impl_wrapped_configILNS1_25lookback_scan_determinismE0ES3_S9_NS6_6detail15normal_iteratorINS6_10device_ptrIxEEEESG_SG_SG_PmS8_NS6_8equal_toIxEEEE10hipError_tPvRmT2_T3_mT4_T5_T6_T7_T8_P12ihipStream_tbENKUlT_T0_E_clISt17integral_constantIbLb0EES10_IbLb1EEEEDaSW_SX_EUlSW_E_NS1_11comp_targetILNS1_3genE9ELNS1_11target_archE1100ELNS1_3gpuE3ELNS1_3repE0EEENS1_30default_config_static_selectorELNS0_4arch9wavefront6targetE0EEEvT1_,"axG",@progbits,_ZN7rocprim17ROCPRIM_400000_NS6detail17trampoline_kernelINS0_14default_configENS1_29reduce_by_key_config_selectorIxxN6thrust23THRUST_200600_302600_NS4plusIxEEEEZZNS1_33reduce_by_key_impl_wrapped_configILNS1_25lookback_scan_determinismE0ES3_S9_NS6_6detail15normal_iteratorINS6_10device_ptrIxEEEESG_SG_SG_PmS8_NS6_8equal_toIxEEEE10hipError_tPvRmT2_T3_mT4_T5_T6_T7_T8_P12ihipStream_tbENKUlT_T0_E_clISt17integral_constantIbLb0EES10_IbLb1EEEEDaSW_SX_EUlSW_E_NS1_11comp_targetILNS1_3genE9ELNS1_11target_archE1100ELNS1_3gpuE3ELNS1_3repE0EEENS1_30default_config_static_selectorELNS0_4arch9wavefront6targetE0EEEvT1_,comdat
	.protected	_ZN7rocprim17ROCPRIM_400000_NS6detail17trampoline_kernelINS0_14default_configENS1_29reduce_by_key_config_selectorIxxN6thrust23THRUST_200600_302600_NS4plusIxEEEEZZNS1_33reduce_by_key_impl_wrapped_configILNS1_25lookback_scan_determinismE0ES3_S9_NS6_6detail15normal_iteratorINS6_10device_ptrIxEEEESG_SG_SG_PmS8_NS6_8equal_toIxEEEE10hipError_tPvRmT2_T3_mT4_T5_T6_T7_T8_P12ihipStream_tbENKUlT_T0_E_clISt17integral_constantIbLb0EES10_IbLb1EEEEDaSW_SX_EUlSW_E_NS1_11comp_targetILNS1_3genE9ELNS1_11target_archE1100ELNS1_3gpuE3ELNS1_3repE0EEENS1_30default_config_static_selectorELNS0_4arch9wavefront6targetE0EEEvT1_ ; -- Begin function _ZN7rocprim17ROCPRIM_400000_NS6detail17trampoline_kernelINS0_14default_configENS1_29reduce_by_key_config_selectorIxxN6thrust23THRUST_200600_302600_NS4plusIxEEEEZZNS1_33reduce_by_key_impl_wrapped_configILNS1_25lookback_scan_determinismE0ES3_S9_NS6_6detail15normal_iteratorINS6_10device_ptrIxEEEESG_SG_SG_PmS8_NS6_8equal_toIxEEEE10hipError_tPvRmT2_T3_mT4_T5_T6_T7_T8_P12ihipStream_tbENKUlT_T0_E_clISt17integral_constantIbLb0EES10_IbLb1EEEEDaSW_SX_EUlSW_E_NS1_11comp_targetILNS1_3genE9ELNS1_11target_archE1100ELNS1_3gpuE3ELNS1_3repE0EEENS1_30default_config_static_selectorELNS0_4arch9wavefront6targetE0EEEvT1_
	.globl	_ZN7rocprim17ROCPRIM_400000_NS6detail17trampoline_kernelINS0_14default_configENS1_29reduce_by_key_config_selectorIxxN6thrust23THRUST_200600_302600_NS4plusIxEEEEZZNS1_33reduce_by_key_impl_wrapped_configILNS1_25lookback_scan_determinismE0ES3_S9_NS6_6detail15normal_iteratorINS6_10device_ptrIxEEEESG_SG_SG_PmS8_NS6_8equal_toIxEEEE10hipError_tPvRmT2_T3_mT4_T5_T6_T7_T8_P12ihipStream_tbENKUlT_T0_E_clISt17integral_constantIbLb0EES10_IbLb1EEEEDaSW_SX_EUlSW_E_NS1_11comp_targetILNS1_3genE9ELNS1_11target_archE1100ELNS1_3gpuE3ELNS1_3repE0EEENS1_30default_config_static_selectorELNS0_4arch9wavefront6targetE0EEEvT1_
	.p2align	8
	.type	_ZN7rocprim17ROCPRIM_400000_NS6detail17trampoline_kernelINS0_14default_configENS1_29reduce_by_key_config_selectorIxxN6thrust23THRUST_200600_302600_NS4plusIxEEEEZZNS1_33reduce_by_key_impl_wrapped_configILNS1_25lookback_scan_determinismE0ES3_S9_NS6_6detail15normal_iteratorINS6_10device_ptrIxEEEESG_SG_SG_PmS8_NS6_8equal_toIxEEEE10hipError_tPvRmT2_T3_mT4_T5_T6_T7_T8_P12ihipStream_tbENKUlT_T0_E_clISt17integral_constantIbLb0EES10_IbLb1EEEEDaSW_SX_EUlSW_E_NS1_11comp_targetILNS1_3genE9ELNS1_11target_archE1100ELNS1_3gpuE3ELNS1_3repE0EEENS1_30default_config_static_selectorELNS0_4arch9wavefront6targetE0EEEvT1_,@function
_ZN7rocprim17ROCPRIM_400000_NS6detail17trampoline_kernelINS0_14default_configENS1_29reduce_by_key_config_selectorIxxN6thrust23THRUST_200600_302600_NS4plusIxEEEEZZNS1_33reduce_by_key_impl_wrapped_configILNS1_25lookback_scan_determinismE0ES3_S9_NS6_6detail15normal_iteratorINS6_10device_ptrIxEEEESG_SG_SG_PmS8_NS6_8equal_toIxEEEE10hipError_tPvRmT2_T3_mT4_T5_T6_T7_T8_P12ihipStream_tbENKUlT_T0_E_clISt17integral_constantIbLb0EES10_IbLb1EEEEDaSW_SX_EUlSW_E_NS1_11comp_targetILNS1_3genE9ELNS1_11target_archE1100ELNS1_3gpuE3ELNS1_3repE0EEENS1_30default_config_static_selectorELNS0_4arch9wavefront6targetE0EEEvT1_: ; @_ZN7rocprim17ROCPRIM_400000_NS6detail17trampoline_kernelINS0_14default_configENS1_29reduce_by_key_config_selectorIxxN6thrust23THRUST_200600_302600_NS4plusIxEEEEZZNS1_33reduce_by_key_impl_wrapped_configILNS1_25lookback_scan_determinismE0ES3_S9_NS6_6detail15normal_iteratorINS6_10device_ptrIxEEEESG_SG_SG_PmS8_NS6_8equal_toIxEEEE10hipError_tPvRmT2_T3_mT4_T5_T6_T7_T8_P12ihipStream_tbENKUlT_T0_E_clISt17integral_constantIbLb0EES10_IbLb1EEEEDaSW_SX_EUlSW_E_NS1_11comp_targetILNS1_3genE9ELNS1_11target_archE1100ELNS1_3gpuE3ELNS1_3repE0EEENS1_30default_config_static_selectorELNS0_4arch9wavefront6targetE0EEEvT1_
; %bb.0:
	s_clause 0x2
	s_load_b256 s[12:19], s[0:1], 0x0
	s_load_b128 s[20:23], s[0:1], 0x20
	s_load_b64 s[24:25], s[0:1], 0x78
	v_cmp_ne_u32_e64 s3, 0, v0
	v_cmp_eq_u32_e64 s2, 0, v0
	s_delay_alu instid0(VALU_DEP_1)
	s_and_saveexec_b32 s4, s2
	s_cbranch_execz .LBB506_4
; %bb.1:
	s_mov_b32 s6, exec_lo
	s_mov_b32 s5, exec_lo
	v_mbcnt_lo_u32_b32 v1, s6, 0
                                        ; implicit-def: $vgpr2
	s_delay_alu instid0(VALU_DEP_1)
	v_cmpx_eq_u32_e32 0, v1
	s_cbranch_execz .LBB506_3
; %bb.2:
	s_load_b64 s[8:9], s[0:1], 0x80
	s_bcnt1_i32_b32 s6, s6
	s_delay_alu instid0(SALU_CYCLE_1)
	v_dual_mov_b32 v2, 0 :: v_dual_mov_b32 v3, s6
	s_waitcnt lgkmcnt(0)
	global_atomic_add_u32 v2, v2, v3, s[8:9] glc
.LBB506_3:
	s_or_b32 exec_lo, exec_lo, s5
	s_waitcnt vmcnt(0)
	v_readfirstlane_b32 s5, v2
	s_delay_alu instid0(VALU_DEP_1)
	v_dual_mov_b32 v2, 0 :: v_dual_add_nc_u32 v1, s5, v1
	ds_store_b32 v2, v1
.LBB506_4:
	s_or_b32 exec_lo, exec_lo, s4
	v_mov_b32_e32 v2, 0
	s_waitcnt lgkmcnt(0)
	s_barrier
	buffer_gl0_inv
	s_load_b512 s[36:51], s[0:1], 0x38
	ds_load_b32 v1, v2
	s_lshl_b64 s[4:5], s[14:15], 3
	s_mov_b32 s0, 0
	s_add_u32 s9, s12, s4
	s_addc_u32 s10, s13, s5
	s_add_u32 s11, s16, s4
	s_addc_u32 s12, s17, s5
	s_waitcnt lgkmcnt(0)
	s_barrier
	buffer_gl0_inv
	s_mul_i32 s1, s44, s43
	v_readfirstlane_b32 s30, v1
	v_mul_lo_u32 v1, 0xf00, v1
	s_mul_hi_u32 s6, s44, s42
	s_mul_i32 s7, s45, s42
	s_add_i32 s1, s6, s1
	s_mul_i32 s8, s44, s42
	s_add_i32 s1, s1, s7
	s_add_u32 s26, s8, s30
	s_addc_u32 s27, s1, 0
	v_lshlrev_b64 v[1:2], 3, v[1:2]
	s_add_u32 s4, s46, -1
	s_addc_u32 s5, s47, -1
	s_mul_i32 s28, s4, 0xfffff100
	s_cmp_eq_u64 s[26:27], s[4:5]
	s_delay_alu instid0(VALU_DEP_1)
	v_add_co_u32 v66, vcc_lo, s9, v1
	v_add_co_ci_u32_e32 v64, vcc_lo, s10, v2, vcc_lo
	v_add_co_u32 v61, vcc_lo, s11, v1
	v_add_co_ci_u32_e32 v62, vcc_lo, s12, v2, vcc_lo
	s_cselect_b32 s17, -1, 0
	s_cmp_lg_u64 s[26:27], s[4:5]
	s_cselect_b32 s31, -1, 0
	s_and_b32 vcc_lo, exec_lo, s17
	s_cbranch_vccnz .LBB506_6
; %bb.5:
	v_lshlrev_b32_e32 v65, 3, v0
	s_delay_alu instid0(VALU_DEP_1) | instskip(SKIP_2) | instid1(VALU_DEP_3)
	v_add_co_u32 v1, vcc_lo, v66, v65
	v_add_co_ci_u32_e32 v2, vcc_lo, 0, v64, vcc_lo
	v_mad_u32_u24 v63, 0x70, v0, v65
	v_add_co_u32 v3, vcc_lo, 0x1000, v1
	s_delay_alu instid0(VALU_DEP_3)
	v_add_co_ci_u32_e32 v4, vcc_lo, 0, v2, vcc_lo
	v_add_co_u32 v5, vcc_lo, 0x2000, v1
	v_add_co_ci_u32_e32 v6, vcc_lo, 0, v2, vcc_lo
	v_add_co_u32 v7, vcc_lo, 0x3000, v1
	;; [unrolled: 2-line block ×5, first 2 shown]
	v_add_co_ci_u32_e32 v24, vcc_lo, 0, v2, vcc_lo
	s_clause 0x7
	flat_load_b64 v[9:10], v[1:2]
	flat_load_b64 v[11:12], v[1:2] offset:2048
	flat_load_b64 v[13:14], v[3:4]
	flat_load_b64 v[3:4], v[3:4] offset:2048
	;; [unrolled: 2-line block ×4, first 2 shown]
	v_add_co_u32 v1, vcc_lo, 0x7000, v1
	v_add_co_ci_u32_e32 v2, vcc_lo, 0, v2, vcc_lo
	s_clause 0x6
	flat_load_b64 v[25:26], v[19:20]
	flat_load_b64 v[19:20], v[19:20] offset:2048
	flat_load_b64 v[27:28], v[21:22]
	flat_load_b64 v[21:22], v[21:22] offset:2048
	flat_load_b64 v[29:30], v[23:24]
	flat_load_b64 v[23:24], v[23:24] offset:2048
	flat_load_b64 v[1:2], v[1:2]
	v_add_co_u32 v31, vcc_lo, v61, v65
	v_add_co_ci_u32_e32 v32, vcc_lo, 0, v62, vcc_lo
	s_waitcnt vmcnt(13) lgkmcnt(13)
	ds_store_2addr_stride64_b64 v65, v[9:10], v[11:12] offset1:4
	s_waitcnt vmcnt(11) lgkmcnt(12)
	ds_store_2addr_stride64_b64 v65, v[13:14], v[3:4] offset0:8 offset1:12
	s_waitcnt vmcnt(9) lgkmcnt(11)
	ds_store_2addr_stride64_b64 v65, v[15:16], v[5:6] offset0:16 offset1:20
	;; [unrolled: 2-line block ×6, first 2 shown]
	s_waitcnt vmcnt(0) lgkmcnt(7)
	ds_store_b64 v65, v[1:2] offset:28672
	v_add_co_u32 v33, vcc_lo, 0x1000, v31
	v_add_co_ci_u32_e32 v34, vcc_lo, 0, v32, vcc_lo
	v_add_co_u32 v35, vcc_lo, 0x2000, v31
	v_add_co_ci_u32_e32 v36, vcc_lo, 0, v32, vcc_lo
	v_add_co_u32 v37, vcc_lo, 0x3000, v31
	v_add_co_ci_u32_e32 v38, vcc_lo, 0, v32, vcc_lo
	v_add_co_u32 v39, vcc_lo, 0x4000, v31
	v_add_co_ci_u32_e32 v40, vcc_lo, 0, v32, vcc_lo
	v_add_co_u32 v41, vcc_lo, 0x5000, v31
	v_add_co_ci_u32_e32 v42, vcc_lo, 0, v32, vcc_lo
	v_add_co_u32 v43, vcc_lo, 0x6000, v31
	v_add_co_ci_u32_e32 v44, vcc_lo, 0, v32, vcc_lo
	v_add_co_u32 v45, vcc_lo, 0x7000, v31
	v_add_co_ci_u32_e32 v46, vcc_lo, 0, v32, vcc_lo
	s_waitcnt lgkmcnt(0)
	s_barrier
	buffer_gl0_inv
	ds_load_2addr_b64 v[25:28], v63 offset1:1
	ds_load_2addr_b64 v[21:24], v63 offset0:2 offset1:3
	ds_load_2addr_b64 v[17:20], v63 offset0:4 offset1:5
	;; [unrolled: 1-line block ×6, first 2 shown]
	ds_load_b64 v[57:58], v63 offset:112
	s_waitcnt lgkmcnt(0)
	s_barrier
	buffer_gl0_inv
	s_clause 0xe
	flat_load_b64 v[29:30], v[31:32]
	flat_load_b64 v[31:32], v[31:32] offset:2048
	flat_load_b64 v[47:48], v[33:34]
	flat_load_b64 v[33:34], v[33:34] offset:2048
	;; [unrolled: 2-line block ×7, first 2 shown]
	flat_load_b64 v[45:46], v[45:46]
	s_waitcnt vmcnt(13) lgkmcnt(13)
	ds_store_2addr_stride64_b64 v65, v[29:30], v[31:32] offset1:4
	s_waitcnt vmcnt(11) lgkmcnt(12)
	ds_store_2addr_stride64_b64 v65, v[47:48], v[33:34] offset0:8 offset1:12
	s_waitcnt vmcnt(9) lgkmcnt(11)
	ds_store_2addr_stride64_b64 v65, v[49:50], v[35:36] offset0:16 offset1:20
	;; [unrolled: 2-line block ×6, first 2 shown]
	s_waitcnt vmcnt(0) lgkmcnt(7)
	ds_store_b64 v65, v[45:46] offset:28672
	s_waitcnt lgkmcnt(0)
	s_barrier
	s_and_not1_b32 vcc_lo, exec_lo, s0
	s_add_i32 s28, s28, s48
	s_cbranch_vccz .LBB506_7
	s_branch .LBB506_54
.LBB506_6:
                                        ; implicit-def: $vgpr63
                                        ; implicit-def: $vgpr25_vgpr26
                                        ; implicit-def: $vgpr21_vgpr22
                                        ; implicit-def: $vgpr17_vgpr18
                                        ; implicit-def: $vgpr13_vgpr14
                                        ; implicit-def: $vgpr9_vgpr10
                                        ; implicit-def: $vgpr5_vgpr6
                                        ; implicit-def: $vgpr1_vgpr2
                                        ; implicit-def: $vgpr57_vgpr58
	s_add_i32 s28, s28, s48
.LBB506_7:
	s_delay_alu instid0(SALU_CYCLE_1)
	v_cmp_gt_u32_e32 vcc_lo, s28, v0
                                        ; implicit-def: $vgpr1_vgpr2
	s_and_saveexec_b32 s1, vcc_lo
	s_cbranch_execz .LBB506_9
; %bb.8:
	v_lshlrev_b32_e32 v1, 3, v0
	s_delay_alu instid0(VALU_DEP_1) | instskip(NEXT) | instid1(VALU_DEP_1)
	v_add_co_u32 v1, s0, v66, v1
	v_add_co_ci_u32_e64 v2, s0, 0, v64, s0
	flat_load_b64 v[1:2], v[1:2]
.LBB506_9:
	s_or_b32 exec_lo, exec_lo, s1
	v_or_b32_e32 v3, 0x100, v0
	s_delay_alu instid0(VALU_DEP_1) | instskip(NEXT) | instid1(VALU_DEP_1)
	v_cmp_gt_u32_e64 s0, s28, v3
                                        ; implicit-def: $vgpr3_vgpr4
	s_and_saveexec_b32 s4, s0
	s_cbranch_execz .LBB506_11
; %bb.10:
	v_lshlrev_b32_e32 v3, 3, v0
	s_delay_alu instid0(VALU_DEP_1) | instskip(NEXT) | instid1(VALU_DEP_1)
	v_add_co_u32 v3, s1, v66, v3
	v_add_co_ci_u32_e64 v4, s1, 0, v64, s1
	flat_load_b64 v[3:4], v[3:4] offset:2048
.LBB506_11:
	s_or_b32 exec_lo, exec_lo, s4
	v_or_b32_e32 v5, 0x200, v0
	s_delay_alu instid0(VALU_DEP_1) | instskip(SKIP_1) | instid1(VALU_DEP_2)
	v_cmp_gt_u32_e64 s1, s28, v5
	v_lshlrev_b32_e32 v35, 3, v5
                                        ; implicit-def: $vgpr5_vgpr6
	s_and_saveexec_b32 s5, s1
	s_cbranch_execz .LBB506_13
; %bb.12:
	s_delay_alu instid0(VALU_DEP_1) | instskip(NEXT) | instid1(VALU_DEP_1)
	v_add_co_u32 v5, s4, v66, v35
	v_add_co_ci_u32_e64 v6, s4, 0, v64, s4
	flat_load_b64 v[5:6], v[5:6]
.LBB506_13:
	s_or_b32 exec_lo, exec_lo, s5
	v_or_b32_e32 v7, 0x300, v0
	s_delay_alu instid0(VALU_DEP_1) | instskip(SKIP_1) | instid1(VALU_DEP_2)
	v_cmp_gt_u32_e64 s4, s28, v7
	v_lshlrev_b32_e32 v37, 3, v7
                                        ; implicit-def: $vgpr7_vgpr8
	s_and_saveexec_b32 s6, s4
	s_cbranch_execz .LBB506_15
; %bb.14:
	s_delay_alu instid0(VALU_DEP_1) | instskip(NEXT) | instid1(VALU_DEP_1)
	v_add_co_u32 v7, s5, v66, v37
	v_add_co_ci_u32_e64 v8, s5, 0, v64, s5
	flat_load_b64 v[7:8], v[7:8]
.LBB506_15:
	s_or_b32 exec_lo, exec_lo, s6
	v_or_b32_e32 v9, 0x400, v0
	s_delay_alu instid0(VALU_DEP_1) | instskip(SKIP_1) | instid1(VALU_DEP_2)
	v_cmp_gt_u32_e64 s5, s28, v9
	v_lshlrev_b32_e32 v39, 3, v9
                                        ; implicit-def: $vgpr9_vgpr10
	s_and_saveexec_b32 s7, s5
	s_cbranch_execz .LBB506_17
; %bb.16:
	s_delay_alu instid0(VALU_DEP_1) | instskip(NEXT) | instid1(VALU_DEP_1)
	v_add_co_u32 v9, s6, v66, v39
	v_add_co_ci_u32_e64 v10, s6, 0, v64, s6
	flat_load_b64 v[9:10], v[9:10]
.LBB506_17:
	s_or_b32 exec_lo, exec_lo, s7
	v_or_b32_e32 v11, 0x500, v0
	s_delay_alu instid0(VALU_DEP_1) | instskip(SKIP_1) | instid1(VALU_DEP_2)
	v_cmp_gt_u32_e64 s6, s28, v11
	v_lshlrev_b32_e32 v41, 3, v11
                                        ; implicit-def: $vgpr11_vgpr12
	s_and_saveexec_b32 s8, s6
	s_cbranch_execz .LBB506_19
; %bb.18:
	s_delay_alu instid0(VALU_DEP_1) | instskip(NEXT) | instid1(VALU_DEP_1)
	v_add_co_u32 v11, s7, v66, v41
	v_add_co_ci_u32_e64 v12, s7, 0, v64, s7
	flat_load_b64 v[11:12], v[11:12]
.LBB506_19:
	s_or_b32 exec_lo, exec_lo, s8
	v_or_b32_e32 v13, 0x600, v0
	s_delay_alu instid0(VALU_DEP_1) | instskip(SKIP_1) | instid1(VALU_DEP_2)
	v_cmp_gt_u32_e64 s7, s28, v13
	v_lshlrev_b32_e32 v43, 3, v13
                                        ; implicit-def: $vgpr13_vgpr14
	s_and_saveexec_b32 s9, s7
	s_cbranch_execz .LBB506_21
; %bb.20:
	s_delay_alu instid0(VALU_DEP_1) | instskip(NEXT) | instid1(VALU_DEP_1)
	v_add_co_u32 v13, s8, v66, v43
	v_add_co_ci_u32_e64 v14, s8, 0, v64, s8
	flat_load_b64 v[13:14], v[13:14]
.LBB506_21:
	s_or_b32 exec_lo, exec_lo, s9
	v_or_b32_e32 v15, 0x700, v0
	s_delay_alu instid0(VALU_DEP_1) | instskip(SKIP_1) | instid1(VALU_DEP_2)
	v_cmp_gt_u32_e64 s8, s28, v15
	v_lshlrev_b32_e32 v45, 3, v15
                                        ; implicit-def: $vgpr15_vgpr16
	s_and_saveexec_b32 s10, s8
	s_cbranch_execz .LBB506_23
; %bb.22:
	s_delay_alu instid0(VALU_DEP_1) | instskip(NEXT) | instid1(VALU_DEP_1)
	v_add_co_u32 v15, s9, v66, v45
	v_add_co_ci_u32_e64 v16, s9, 0, v64, s9
	flat_load_b64 v[15:16], v[15:16]
.LBB506_23:
	s_or_b32 exec_lo, exec_lo, s10
	v_or_b32_e32 v17, 0x800, v0
	s_delay_alu instid0(VALU_DEP_1) | instskip(SKIP_1) | instid1(VALU_DEP_2)
	v_cmp_gt_u32_e64 s9, s28, v17
	v_lshlrev_b32_e32 v47, 3, v17
                                        ; implicit-def: $vgpr17_vgpr18
	s_and_saveexec_b32 s11, s9
	s_cbranch_execz .LBB506_25
; %bb.24:
	s_delay_alu instid0(VALU_DEP_1) | instskip(NEXT) | instid1(VALU_DEP_1)
	v_add_co_u32 v17, s10, v66, v47
	v_add_co_ci_u32_e64 v18, s10, 0, v64, s10
	flat_load_b64 v[17:18], v[17:18]
.LBB506_25:
	s_or_b32 exec_lo, exec_lo, s11
	v_or_b32_e32 v19, 0x900, v0
	s_delay_alu instid0(VALU_DEP_1) | instskip(SKIP_1) | instid1(VALU_DEP_2)
	v_cmp_gt_u32_e64 s10, s28, v19
	v_lshlrev_b32_e32 v49, 3, v19
                                        ; implicit-def: $vgpr19_vgpr20
	s_and_saveexec_b32 s12, s10
	s_cbranch_execz .LBB506_27
; %bb.26:
	s_delay_alu instid0(VALU_DEP_1) | instskip(NEXT) | instid1(VALU_DEP_1)
	v_add_co_u32 v19, s11, v66, v49
	v_add_co_ci_u32_e64 v20, s11, 0, v64, s11
	flat_load_b64 v[19:20], v[19:20]
.LBB506_27:
	s_or_b32 exec_lo, exec_lo, s12
	v_or_b32_e32 v21, 0xa00, v0
	s_delay_alu instid0(VALU_DEP_1) | instskip(SKIP_1) | instid1(VALU_DEP_2)
	v_cmp_gt_u32_e64 s11, s28, v21
	v_lshlrev_b32_e32 v51, 3, v21
                                        ; implicit-def: $vgpr21_vgpr22
	s_and_saveexec_b32 s13, s11
	s_cbranch_execz .LBB506_29
; %bb.28:
	s_delay_alu instid0(VALU_DEP_1) | instskip(NEXT) | instid1(VALU_DEP_1)
	v_add_co_u32 v21, s12, v66, v51
	v_add_co_ci_u32_e64 v22, s12, 0, v64, s12
	flat_load_b64 v[21:22], v[21:22]
.LBB506_29:
	s_or_b32 exec_lo, exec_lo, s13
	v_or_b32_e32 v23, 0xb00, v0
	s_delay_alu instid0(VALU_DEP_1) | instskip(SKIP_1) | instid1(VALU_DEP_2)
	v_cmp_gt_u32_e64 s12, s28, v23
	v_lshlrev_b32_e32 v53, 3, v23
                                        ; implicit-def: $vgpr23_vgpr24
	s_and_saveexec_b32 s14, s12
	s_cbranch_execz .LBB506_31
; %bb.30:
	s_delay_alu instid0(VALU_DEP_1) | instskip(NEXT) | instid1(VALU_DEP_1)
	v_add_co_u32 v23, s13, v66, v53
	v_add_co_ci_u32_e64 v24, s13, 0, v64, s13
	flat_load_b64 v[23:24], v[23:24]
.LBB506_31:
	s_or_b32 exec_lo, exec_lo, s14
	v_or_b32_e32 v25, 0xc00, v0
	s_delay_alu instid0(VALU_DEP_1) | instskip(SKIP_1) | instid1(VALU_DEP_2)
	v_cmp_gt_u32_e64 s13, s28, v25
	v_lshlrev_b32_e32 v55, 3, v25
                                        ; implicit-def: $vgpr25_vgpr26
	s_and_saveexec_b32 s15, s13
	s_cbranch_execz .LBB506_33
; %bb.32:
	s_delay_alu instid0(VALU_DEP_1) | instskip(NEXT) | instid1(VALU_DEP_1)
	v_add_co_u32 v25, s14, v66, v55
	v_add_co_ci_u32_e64 v26, s14, 0, v64, s14
	flat_load_b64 v[25:26], v[25:26]
.LBB506_33:
	s_or_b32 exec_lo, exec_lo, s15
	v_or_b32_e32 v27, 0xd00, v0
	s_delay_alu instid0(VALU_DEP_1) | instskip(SKIP_1) | instid1(VALU_DEP_2)
	v_cmp_gt_u32_e64 s14, s28, v27
	v_lshlrev_b32_e32 v59, 3, v27
                                        ; implicit-def: $vgpr27_vgpr28
	s_and_saveexec_b32 s16, s14
	s_cbranch_execz .LBB506_35
; %bb.34:
	s_delay_alu instid0(VALU_DEP_1) | instskip(NEXT) | instid1(VALU_DEP_1)
	v_add_co_u32 v27, s15, v66, v59
	v_add_co_ci_u32_e64 v28, s15, 0, v64, s15
	flat_load_b64 v[27:28], v[27:28]
.LBB506_35:
	s_or_b32 exec_lo, exec_lo, s16
	v_or_b32_e32 v29, 0xe00, v0
	s_delay_alu instid0(VALU_DEP_1) | instskip(SKIP_1) | instid1(VALU_DEP_2)
	v_cmp_gt_u32_e64 s15, s28, v29
	v_lshlrev_b32_e32 v67, 3, v29
                                        ; implicit-def: $vgpr29_vgpr30
	s_and_saveexec_b32 s29, s15
	s_cbranch_execz .LBB506_37
; %bb.36:
	s_delay_alu instid0(VALU_DEP_1) | instskip(NEXT) | instid1(VALU_DEP_1)
	v_add_co_u32 v29, s16, v66, v67
	v_add_co_ci_u32_e64 v30, s16, 0, v64, s16
	flat_load_b64 v[29:30], v[29:30]
.LBB506_37:
	s_or_b32 exec_lo, exec_lo, s29
	v_lshlrev_b32_e32 v65, 3, v0
	s_waitcnt vmcnt(0) lgkmcnt(0)
	ds_store_2addr_stride64_b64 v65, v[1:2], v[3:4] offset1:4
	ds_store_2addr_stride64_b64 v65, v[5:6], v[7:8] offset0:8 offset1:12
	ds_store_2addr_stride64_b64 v65, v[9:10], v[11:12] offset0:16 offset1:20
	;; [unrolled: 1-line block ×6, first 2 shown]
	v_mad_u32_u24 v63, 0x70, v0, v65
	ds_store_b64 v65, v[29:30] offset:28672
	s_waitcnt lgkmcnt(0)
	s_barrier
	buffer_gl0_inv
	ds_load_2addr_b64 v[25:28], v63 offset1:1
	ds_load_2addr_b64 v[21:24], v63 offset0:2 offset1:3
	ds_load_2addr_b64 v[17:20], v63 offset0:4 offset1:5
	;; [unrolled: 1-line block ×6, first 2 shown]
	ds_load_b64 v[57:58], v63 offset:112
	s_waitcnt lgkmcnt(0)
	s_barrier
	buffer_gl0_inv
                                        ; implicit-def: $vgpr29_vgpr30
	s_and_saveexec_b32 s16, vcc_lo
	s_cbranch_execnz .LBB506_61
; %bb.38:
	s_or_b32 exec_lo, exec_lo, s16
                                        ; implicit-def: $vgpr31_vgpr32
	s_and_saveexec_b32 s16, s0
	s_cbranch_execnz .LBB506_62
.LBB506_39:
	s_or_b32 exec_lo, exec_lo, s16
                                        ; implicit-def: $vgpr33_vgpr34
	s_and_saveexec_b32 s0, s1
	s_cbranch_execnz .LBB506_63
.LBB506_40:
	s_or_b32 exec_lo, exec_lo, s0
                                        ; implicit-def: $vgpr35_vgpr36
	s_and_saveexec_b32 s0, s4
	s_cbranch_execnz .LBB506_64
.LBB506_41:
	s_or_b32 exec_lo, exec_lo, s0
                                        ; implicit-def: $vgpr37_vgpr38
	s_and_saveexec_b32 s0, s5
	s_cbranch_execnz .LBB506_65
.LBB506_42:
	s_or_b32 exec_lo, exec_lo, s0
                                        ; implicit-def: $vgpr39_vgpr40
	s_and_saveexec_b32 s0, s6
	s_cbranch_execnz .LBB506_66
.LBB506_43:
	s_or_b32 exec_lo, exec_lo, s0
                                        ; implicit-def: $vgpr41_vgpr42
	s_and_saveexec_b32 s0, s7
	s_cbranch_execnz .LBB506_67
.LBB506_44:
	s_or_b32 exec_lo, exec_lo, s0
                                        ; implicit-def: $vgpr43_vgpr44
	s_and_saveexec_b32 s0, s8
	s_cbranch_execnz .LBB506_68
.LBB506_45:
	s_or_b32 exec_lo, exec_lo, s0
                                        ; implicit-def: $vgpr45_vgpr46
	s_and_saveexec_b32 s0, s9
	s_cbranch_execnz .LBB506_69
.LBB506_46:
	s_or_b32 exec_lo, exec_lo, s0
                                        ; implicit-def: $vgpr47_vgpr48
	s_and_saveexec_b32 s0, s10
	s_cbranch_execnz .LBB506_70
.LBB506_47:
	s_or_b32 exec_lo, exec_lo, s0
                                        ; implicit-def: $vgpr49_vgpr50
	s_and_saveexec_b32 s0, s11
	s_cbranch_execnz .LBB506_71
.LBB506_48:
	s_or_b32 exec_lo, exec_lo, s0
                                        ; implicit-def: $vgpr51_vgpr52
	s_and_saveexec_b32 s0, s12
	s_cbranch_execnz .LBB506_72
.LBB506_49:
	s_or_b32 exec_lo, exec_lo, s0
                                        ; implicit-def: $vgpr53_vgpr54
	s_and_saveexec_b32 s0, s13
	s_cbranch_execnz .LBB506_73
.LBB506_50:
	s_or_b32 exec_lo, exec_lo, s0
                                        ; implicit-def: $vgpr55_vgpr56
	s_and_saveexec_b32 s0, s14
	s_cbranch_execnz .LBB506_74
.LBB506_51:
	s_or_b32 exec_lo, exec_lo, s0
                                        ; implicit-def: $vgpr59_vgpr60
	s_and_saveexec_b32 s0, s15
	s_cbranch_execz .LBB506_53
.LBB506_52:
	v_add_co_u32 v59, vcc_lo, v61, v67
	v_add_co_ci_u32_e32 v60, vcc_lo, 0, v62, vcc_lo
	flat_load_b64 v[59:60], v[59:60]
.LBB506_53:
	s_or_b32 exec_lo, exec_lo, s0
	s_waitcnt vmcnt(0) lgkmcnt(0)
	ds_store_2addr_stride64_b64 v65, v[29:30], v[31:32] offset1:4
	ds_store_2addr_stride64_b64 v65, v[33:34], v[35:36] offset0:8 offset1:12
	ds_store_2addr_stride64_b64 v65, v[37:38], v[39:40] offset0:16 offset1:20
	;; [unrolled: 1-line block ×6, first 2 shown]
	ds_store_b64 v65, v[59:60] offset:28672
	s_waitcnt lgkmcnt(0)
	s_barrier
.LBB506_54:
	buffer_gl0_inv
	ds_load_2addr_b64 v[53:56], v63 offset1:1
	ds_load_2addr_b64 v[49:52], v63 offset0:2 offset1:3
	ds_load_2addr_b64 v[45:48], v63 offset0:4 offset1:5
	;; [unrolled: 1-line block ×6, first 2 shown]
	ds_load_b64 v[59:60], v63 offset:112
	s_cmp_eq_u64 s[26:27], 0
	s_waitcnt lgkmcnt(0)
	s_cselect_b32 s29, -1, 0
	s_cmp_lg_u64 s[26:27], 0
	s_barrier
	s_cselect_b32 s15, -1, 0
	s_and_b32 vcc_lo, exec_lo, s31
	buffer_gl0_inv
	s_cbranch_vccz .LBB506_60
; %bb.55:
	s_and_b32 vcc_lo, exec_lo, s15
	s_cbranch_vccz .LBB506_75
; %bb.56:
	v_add_co_u32 v61, vcc_lo, -8, v66
	v_add_co_ci_u32_e32 v62, vcc_lo, -1, v64, vcc_lo
	v_cmp_ne_u64_e64 s0, v[3:4], v[57:58]
	v_cmp_ne_u64_e64 s1, v[1:2], v[3:4]
	;; [unrolled: 1-line block ×3, first 2 shown]
	flat_load_b64 v[61:62], v[61:62]
	v_cmp_ne_u64_e64 s5, v[5:6], v[7:8]
	v_cmp_ne_u64_e64 s6, v[11:12], v[5:6]
	;; [unrolled: 1-line block ×10, first 2 shown]
	v_cmp_ne_u64_e32 vcc_lo, v[25:26], v[27:28]
	v_lshlrev_b32_e32 v63, 3, v0
	s_mov_b32 s31, -1
	ds_store_b64 v63, v[57:58]
	s_waitcnt vmcnt(0) lgkmcnt(0)
	s_barrier
	buffer_gl0_inv
	s_and_saveexec_b32 s16, s3
	s_cbranch_execz .LBB506_58
; %bb.57:
	v_add_nc_u32_e32 v61, -8, v63
	ds_load_b64 v[61:62], v61
.LBB506_58:
	s_or_b32 exec_lo, exec_lo, s16
	v_cndmask_b32_e64 v104, 0, 1, s0
	v_cndmask_b32_e64 v99, 0, 1, s1
	;; [unrolled: 1-line block ×13, first 2 shown]
	s_waitcnt lgkmcnt(0)
	v_cmp_ne_u64_e64 s0, v[61:62], v[25:26]
	v_cndmask_b32_e64 v112, 0, 1, vcc_lo
.LBB506_59:
                                        ; implicit-def: $sgpr1
	s_branch .LBB506_87
.LBB506_60:
	s_mov_b32 s31, 0
                                        ; implicit-def: $sgpr0
                                        ; implicit-def: $vgpr104
                                        ; implicit-def: $vgpr99
                                        ; implicit-def: $vgpr100
                                        ; implicit-def: $vgpr101
                                        ; implicit-def: $vgpr102
                                        ; implicit-def: $vgpr103
                                        ; implicit-def: $vgpr105
                                        ; implicit-def: $vgpr106
                                        ; implicit-def: $vgpr107
                                        ; implicit-def: $vgpr108
                                        ; implicit-def: $vgpr109
                                        ; implicit-def: $vgpr110
                                        ; implicit-def: $vgpr111
                                        ; implicit-def: $vgpr112
                                        ; implicit-def: $sgpr1
	s_cbranch_execnz .LBB506_79
	s_branch .LBB506_87
.LBB506_61:
	v_add_co_u32 v29, vcc_lo, v61, v65
	v_add_co_ci_u32_e32 v30, vcc_lo, 0, v62, vcc_lo
	flat_load_b64 v[29:30], v[29:30]
	s_or_b32 exec_lo, exec_lo, s16
                                        ; implicit-def: $vgpr31_vgpr32
	s_and_saveexec_b32 s16, s0
	s_cbranch_execz .LBB506_39
.LBB506_62:
	v_add_co_u32 v31, vcc_lo, v61, v65
	v_add_co_ci_u32_e32 v32, vcc_lo, 0, v62, vcc_lo
	flat_load_b64 v[31:32], v[31:32] offset:2048
	s_or_b32 exec_lo, exec_lo, s16
                                        ; implicit-def: $vgpr33_vgpr34
	s_and_saveexec_b32 s0, s1
	s_cbranch_execz .LBB506_40
.LBB506_63:
	v_add_co_u32 v33, vcc_lo, v61, v35
	v_add_co_ci_u32_e32 v34, vcc_lo, 0, v62, vcc_lo
	flat_load_b64 v[33:34], v[33:34]
	s_or_b32 exec_lo, exec_lo, s0
                                        ; implicit-def: $vgpr35_vgpr36
	s_and_saveexec_b32 s0, s4
	s_cbranch_execz .LBB506_41
.LBB506_64:
	v_add_co_u32 v35, vcc_lo, v61, v37
	v_add_co_ci_u32_e32 v36, vcc_lo, 0, v62, vcc_lo
	flat_load_b64 v[35:36], v[35:36]
	s_or_b32 exec_lo, exec_lo, s0
                                        ; implicit-def: $vgpr37_vgpr38
	s_and_saveexec_b32 s0, s5
	s_cbranch_execz .LBB506_42
.LBB506_65:
	v_add_co_u32 v37, vcc_lo, v61, v39
	v_add_co_ci_u32_e32 v38, vcc_lo, 0, v62, vcc_lo
	flat_load_b64 v[37:38], v[37:38]
	s_or_b32 exec_lo, exec_lo, s0
                                        ; implicit-def: $vgpr39_vgpr40
	s_and_saveexec_b32 s0, s6
	s_cbranch_execz .LBB506_43
.LBB506_66:
	v_add_co_u32 v39, vcc_lo, v61, v41
	v_add_co_ci_u32_e32 v40, vcc_lo, 0, v62, vcc_lo
	flat_load_b64 v[39:40], v[39:40]
	s_or_b32 exec_lo, exec_lo, s0
                                        ; implicit-def: $vgpr41_vgpr42
	s_and_saveexec_b32 s0, s7
	s_cbranch_execz .LBB506_44
.LBB506_67:
	v_add_co_u32 v41, vcc_lo, v61, v43
	v_add_co_ci_u32_e32 v42, vcc_lo, 0, v62, vcc_lo
	flat_load_b64 v[41:42], v[41:42]
	s_or_b32 exec_lo, exec_lo, s0
                                        ; implicit-def: $vgpr43_vgpr44
	s_and_saveexec_b32 s0, s8
	s_cbranch_execz .LBB506_45
.LBB506_68:
	v_add_co_u32 v43, vcc_lo, v61, v45
	v_add_co_ci_u32_e32 v44, vcc_lo, 0, v62, vcc_lo
	flat_load_b64 v[43:44], v[43:44]
	s_or_b32 exec_lo, exec_lo, s0
                                        ; implicit-def: $vgpr45_vgpr46
	s_and_saveexec_b32 s0, s9
	s_cbranch_execz .LBB506_46
.LBB506_69:
	v_add_co_u32 v45, vcc_lo, v61, v47
	v_add_co_ci_u32_e32 v46, vcc_lo, 0, v62, vcc_lo
	flat_load_b64 v[45:46], v[45:46]
	s_or_b32 exec_lo, exec_lo, s0
                                        ; implicit-def: $vgpr47_vgpr48
	s_and_saveexec_b32 s0, s10
	s_cbranch_execz .LBB506_47
.LBB506_70:
	v_add_co_u32 v47, vcc_lo, v61, v49
	v_add_co_ci_u32_e32 v48, vcc_lo, 0, v62, vcc_lo
	flat_load_b64 v[47:48], v[47:48]
	s_or_b32 exec_lo, exec_lo, s0
                                        ; implicit-def: $vgpr49_vgpr50
	s_and_saveexec_b32 s0, s11
	s_cbranch_execz .LBB506_48
.LBB506_71:
	v_add_co_u32 v49, vcc_lo, v61, v51
	v_add_co_ci_u32_e32 v50, vcc_lo, 0, v62, vcc_lo
	flat_load_b64 v[49:50], v[49:50]
	s_or_b32 exec_lo, exec_lo, s0
                                        ; implicit-def: $vgpr51_vgpr52
	s_and_saveexec_b32 s0, s12
	s_cbranch_execz .LBB506_49
.LBB506_72:
	v_add_co_u32 v51, vcc_lo, v61, v53
	v_add_co_ci_u32_e32 v52, vcc_lo, 0, v62, vcc_lo
	flat_load_b64 v[51:52], v[51:52]
	s_or_b32 exec_lo, exec_lo, s0
                                        ; implicit-def: $vgpr53_vgpr54
	s_and_saveexec_b32 s0, s13
	s_cbranch_execz .LBB506_50
.LBB506_73:
	v_add_co_u32 v53, vcc_lo, v61, v55
	v_add_co_ci_u32_e32 v54, vcc_lo, 0, v62, vcc_lo
	flat_load_b64 v[53:54], v[53:54]
	s_or_b32 exec_lo, exec_lo, s0
                                        ; implicit-def: $vgpr55_vgpr56
	s_and_saveexec_b32 s0, s14
	s_cbranch_execz .LBB506_51
.LBB506_74:
	v_add_co_u32 v55, vcc_lo, v61, v59
	v_add_co_ci_u32_e32 v56, vcc_lo, 0, v62, vcc_lo
	flat_load_b64 v[55:56], v[55:56]
	s_or_b32 exec_lo, exec_lo, s0
                                        ; implicit-def: $vgpr59_vgpr60
	s_and_saveexec_b32 s0, s15
	s_cbranch_execnz .LBB506_52
	s_branch .LBB506_53
.LBB506_75:
	s_mov_b32 s31, 0
                                        ; implicit-def: $sgpr0
                                        ; implicit-def: $vgpr104
                                        ; implicit-def: $vgpr99
                                        ; implicit-def: $vgpr100
                                        ; implicit-def: $vgpr101
                                        ; implicit-def: $vgpr102
                                        ; implicit-def: $vgpr103
                                        ; implicit-def: $vgpr105
                                        ; implicit-def: $vgpr106
                                        ; implicit-def: $vgpr107
                                        ; implicit-def: $vgpr108
                                        ; implicit-def: $vgpr109
                                        ; implicit-def: $vgpr110
                                        ; implicit-def: $vgpr111
                                        ; implicit-def: $vgpr112
	s_cbranch_execz .LBB506_59
; %bb.76:
	v_cmp_ne_u64_e32 vcc_lo, v[3:4], v[57:58]
	v_lshlrev_b32_e32 v61, 3, v0
                                        ; implicit-def: $sgpr0
	ds_store_b64 v61, v[57:58]
	v_cndmask_b32_e64 v104, 0, 1, vcc_lo
	v_cmp_ne_u64_e32 vcc_lo, v[1:2], v[3:4]
	s_waitcnt lgkmcnt(0)
	s_barrier
	buffer_gl0_inv
	v_cndmask_b32_e64 v99, 0, 1, vcc_lo
	v_cmp_ne_u64_e32 vcc_lo, v[7:8], v[1:2]
	v_cndmask_b32_e64 v100, 0, 1, vcc_lo
	v_cmp_ne_u64_e32 vcc_lo, v[5:6], v[7:8]
	;; [unrolled: 2-line block ×12, first 2 shown]
	v_cndmask_b32_e64 v112, 0, 1, vcc_lo
	s_and_saveexec_b32 s1, s3
	s_delay_alu instid0(SALU_CYCLE_1)
	s_xor_b32 s1, exec_lo, s1
	s_cbranch_execz .LBB506_78
; %bb.77:
	v_add_nc_u32_e32 v61, -8, v61
	s_or_b32 s31, s31, exec_lo
	ds_load_b64 v[61:62], v61
	s_waitcnt lgkmcnt(0)
	v_cmp_ne_u64_e32 vcc_lo, v[61:62], v[25:26]
	s_and_b32 s0, vcc_lo, exec_lo
.LBB506_78:
	s_or_b32 exec_lo, exec_lo, s1
	s_mov_b32 s1, 1
	s_branch .LBB506_87
.LBB506_79:
	s_mul_hi_u32 s0, s26, 0xfffff100
	s_mul_i32 s1, s27, 0xfffff100
	s_sub_i32 s0, s0, s26
	s_mul_i32 s4, s26, 0xfffff100
	s_add_i32 s0, s0, s1
	s_add_u32 s26, s4, s48
	s_addc_u32 s27, s0, s49
	s_and_b32 vcc_lo, exec_lo, s15
	v_cmp_ne_u64_e64 s14, v[3:4], v[57:58]
	v_cmp_ne_u64_e64 s15, v[1:2], v[3:4]
	;; [unrolled: 1-line block ×14, first 2 shown]
	v_mad_u32_u24 v61, v0, 15, 14
	v_mad_u32_u24 v87, v0, 15, 13
	;; [unrolled: 1-line block ×14, first 2 shown]
	s_cbranch_vccz .LBB506_84
; %bb.80:
	v_add_co_u32 v88, vcc_lo, -8, v66
	v_add_co_ci_u32_e32 v89, vcc_lo, -1, v64, vcc_lo
	v_mov_b32_e32 v62, 0
	v_lshlrev_b32_e32 v92, 3, v0
	v_mul_u32_u24_e32 v91, 15, v0
	flat_load_b64 v[89:90], v[88:89]
	s_mov_b32 s31, -1
	v_cmp_gt_u64_e32 vcc_lo, s[26:27], v[61:62]
	v_mov_b32_e32 v88, v62
	v_mov_b32_e32 v86, v62
	;; [unrolled: 1-line block ×5, first 2 shown]
	v_cmp_gt_u64_e64 s16, s[26:27], v[87:88]
	s_and_b32 s34, vcc_lo, s14
	v_cmp_gt_u64_e32 vcc_lo, s[26:27], v[85:86]
	v_mov_b32_e32 v78, v62
	v_mov_b32_e32 v76, v62
	v_cmp_gt_u64_e64 s14, s[26:27], v[83:84]
	s_and_b32 s35, s16, s15
	v_mov_b32_e32 v74, v62
	s_and_b32 s44, vcc_lo, s13
	v_cmp_gt_u64_e32 vcc_lo, s[26:27], v[81:82]
	v_cmp_gt_u64_e64 s13, s[26:27], v[79:80]
	v_cmp_gt_u64_e64 s15, s[26:27], v[77:78]
	;; [unrolled: 1-line block ×3, first 2 shown]
	v_mov_b32_e32 v72, v62
	v_mov_b32_e32 v70, v62
	v_mov_b32_e32 v68, v62
	v_mov_b32_e32 v66, v62
	v_mov_b32_e32 v64, v62
	s_and_b32 s14, s14, s12
	s_and_b32 s45, vcc_lo, s8
	s_and_b32 s46, s13, s9
	s_and_b32 s15, s15, s10
	;; [unrolled: 1-line block ×3, first 2 shown]
	v_cmp_gt_u64_e32 vcc_lo, s[26:27], v[73:74]
	v_cmp_gt_u64_e64 s8, s[26:27], v[71:72]
	v_cmp_gt_u64_e64 s9, s[26:27], v[69:70]
	;; [unrolled: 1-line block ×5, first 2 shown]
	s_mov_b32 s33, 0
	s_and_b32 s0, vcc_lo, s0
	s_and_b32 s8, s8, s1
	s_and_b32 s9, s9, s4
	;; [unrolled: 1-line block ×5, first 2 shown]
	ds_store_b64 v92, v[57:58]
	s_waitcnt vmcnt(0) lgkmcnt(0)
	s_barrier
	buffer_gl0_inv
	s_and_saveexec_b32 s6, s3
	s_cbranch_execz .LBB506_82
; %bb.81:
	v_add_nc_u32_e32 v64, -8, v92
	ds_load_b64 v[89:90], v64
.LBB506_82:
	s_or_b32 exec_lo, exec_lo, s6
	v_mov_b32_e32 v92, v62
	v_cndmask_b32_e64 v107, 0, 1, s0
	s_waitcnt lgkmcnt(0)
	v_cmp_ne_u64_e64 s0, v[89:90], v[25:26]
	v_cndmask_b32_e64 v104, 0, 1, s34
	v_cndmask_b32_e64 v99, 0, 1, s35
	v_cmp_gt_u64_e32 vcc_lo, s[26:27], v[91:92]
	v_cndmask_b32_e64 v100, 0, 1, s44
	v_cndmask_b32_e64 v101, 0, 1, s14
	;; [unrolled: 1-line block ×11, first 2 shown]
	s_and_b32 s0, vcc_lo, s0
	s_and_b32 vcc_lo, exec_lo, s33
	s_cbranch_vccnz .LBB506_85
.LBB506_83:
                                        ; implicit-def: $sgpr1
	v_mov_b32_e32 v113, s1
	s_and_saveexec_b32 s1, s31
	s_cbranch_execnz .LBB506_88
	s_branch .LBB506_89
.LBB506_84:
                                        ; implicit-def: $sgpr0
                                        ; implicit-def: $vgpr104
                                        ; implicit-def: $vgpr99
                                        ; implicit-def: $vgpr100
                                        ; implicit-def: $vgpr101
                                        ; implicit-def: $vgpr102
                                        ; implicit-def: $vgpr103
                                        ; implicit-def: $vgpr105
                                        ; implicit-def: $vgpr106
                                        ; implicit-def: $vgpr107
                                        ; implicit-def: $vgpr108
                                        ; implicit-def: $vgpr109
                                        ; implicit-def: $vgpr110
                                        ; implicit-def: $vgpr111
                                        ; implicit-def: $vgpr112
	s_cbranch_execz .LBB506_83
.LBB506_85:
	v_dual_mov_b32 v62, 0 :: v_dual_lshlrev_b32 v89, 3, v0
	v_cmp_ne_u64_e64 s0, v[1:2], v[3:4]
	v_cmp_ne_u64_e32 vcc_lo, v[3:4], v[57:58]
	v_cmp_ne_u64_e64 s4, v[7:8], v[1:2]
	s_delay_alu instid0(VALU_DEP_4)
	v_mov_b32_e32 v88, v62
	v_mov_b32_e32 v86, v62
	v_cmp_gt_u64_e64 s1, s[26:27], v[61:62]
	v_mov_b32_e32 v82, v62
	v_mov_b32_e32 v84, v62
	v_cmp_gt_u64_e64 s5, s[26:27], v[87:88]
	v_cmp_gt_u64_e64 s6, s[26:27], v[85:86]
	v_mov_b32_e32 v78, v62
	s_and_b32 s1, s1, vcc_lo
	v_cmp_gt_u64_e64 s7, s[26:27], v[83:84]
	v_cndmask_b32_e64 v104, 0, 1, s1
	s_and_b32 s0, s5, s0
	v_cmp_ne_u64_e64 s1, v[11:12], v[5:6]
	v_cndmask_b32_e64 v99, 0, 1, s0
	s_and_b32 s0, s6, s4
	v_cmp_ne_u64_e32 vcc_lo, v[5:6], v[7:8]
	v_cndmask_b32_e64 v100, 0, 1, s0
	v_cmp_gt_u64_e64 s0, s[26:27], v[81:82]
	v_mov_b32_e32 v80, v62
	v_mov_b32_e32 v74, v62
	;; [unrolled: 1-line block ×3, first 2 shown]
	s_and_b32 s4, s7, vcc_lo
	v_mov_b32_e32 v76, v62
	s_and_b32 s0, s0, s1
	v_cmp_ne_u64_e64 s1, v[15:16], v[9:10]
	v_cndmask_b32_e64 v102, 0, 1, s0
	v_cmp_gt_u64_e64 s0, s[26:27], v[77:78]
	v_cndmask_b32_e64 v101, 0, 1, s4
	v_cmp_gt_u64_e32 vcc_lo, s[26:27], v[79:80]
	v_cmp_ne_u64_e64 s4, v[9:10], v[11:12]
	v_cmp_gt_u64_e64 s5, s[26:27], v[71:72]
	v_cmp_ne_u64_e64 s6, v[17:18], v[19:20]
	s_and_b32 s0, s0, s1
	v_cmp_ne_u64_e64 s1, v[19:20], v[13:14]
	v_cndmask_b32_e64 v105, 0, 1, s0
	v_cmp_gt_u64_e64 s0, s[26:27], v[73:74]
	s_and_b32 s4, vcc_lo, s4
	v_cmp_gt_u64_e32 vcc_lo, s[26:27], v[75:76]
	v_cndmask_b32_e64 v103, 0, 1, s4
	v_cmp_ne_u64_e64 s4, v[13:14], v[15:16]
	v_mov_b32_e32 v70, v62
	s_and_b32 s0, s0, s1
	v_mov_b32_e32 v68, v62
	v_cndmask_b32_e64 v107, 0, 1, s0
	s_and_b32 s0, s5, s6
	v_mov_b32_e32 v66, v62
	s_and_b32 s4, vcc_lo, s4
	v_cndmask_b32_e64 v108, 0, 1, s0
	v_cmp_gt_u64_e32 vcc_lo, s[26:27], v[69:70]
	v_cmp_ne_u64_e64 s0, v[23:24], v[17:18]
	v_mov_b32_e32 v64, v62
	v_cndmask_b32_e64 v106, 0, 1, s4
	v_cmp_gt_u64_e64 s1, s[26:27], v[67:68]
	v_cmp_ne_u64_e64 s4, v[21:22], v[23:24]
	v_cmp_gt_u64_e64 s5, s[26:27], v[65:66]
	v_cmp_ne_u64_e64 s6, v[27:28], v[21:22]
	;; [unrolled: 2-line block ×3, first 2 shown]
	s_and_b32 s0, vcc_lo, s0
	ds_store_b64 v89, v[57:58]
	v_cndmask_b32_e64 v109, 0, 1, s0
	s_and_b32 s0, s1, s4
	s_mov_b32 s1, 1
	v_cndmask_b32_e64 v110, 0, 1, s0
	s_and_b32 s0, s5, s6
	s_waitcnt lgkmcnt(0)
	v_cndmask_b32_e64 v111, 0, 1, s0
	s_and_b32 s0, s7, s8
	s_barrier
	v_cndmask_b32_e64 v112, 0, 1, s0
	buffer_gl0_inv
                                        ; implicit-def: $sgpr0
	s_and_saveexec_b32 s4, s3
	s_cbranch_execz .LBB506_220
; %bb.86:
	v_add_nc_u32_e32 v61, -8, v89
	s_or_b32 s31, s31, exec_lo
	ds_load_b64 v[63:64], v61
	v_mul_u32_u24_e32 v61, 15, v0
	s_delay_alu instid0(VALU_DEP_1) | instskip(SKIP_2) | instid1(VALU_DEP_1)
	v_cmp_gt_u64_e32 vcc_lo, s[26:27], v[61:62]
	s_waitcnt lgkmcnt(0)
	v_cmp_ne_u64_e64 s0, v[63:64], v[25:26]
	s_and_b32 s0, vcc_lo, s0
	s_delay_alu instid0(SALU_CYCLE_1)
	s_and_b32 s0, s0, exec_lo
	s_or_b32 exec_lo, exec_lo, s4
.LBB506_87:
	v_mov_b32_e32 v113, s1
	s_and_saveexec_b32 s1, s31
.LBB506_88:
	s_delay_alu instid0(VALU_DEP_3)
	v_cndmask_b32_e64 v113, 0, 1, s0
.LBB506_89:
	s_or_b32 exec_lo, exec_lo, s1
	s_delay_alu instid0(VALU_DEP_1)
	v_add3_u32 v61, v112, v113, v111
	v_dual_mov_b32 v95, v53 :: v_dual_mov_b32 v96, v54
	v_cmp_eq_u32_e64 s13, 0, v112
	v_cmp_eq_u32_e64 s12, 0, v111
	;; [unrolled: 1-line block ×3, first 2 shown]
	v_add3_u32 v116, v61, v110, v109
	v_cmp_eq_u32_e64 s10, 0, v109
	v_cmp_eq_u32_e64 s9, 0, v108
	;; [unrolled: 1-line block ×10, first 2 shown]
	v_cmp_eq_u32_e32 vcc_lo, 0, v104
	v_mbcnt_lo_u32_b32 v115, -1, 0
	s_cmp_eq_u64 s[42:43], 0
	s_cselect_b32 s15, -1, 0
	s_cmp_lg_u32 s30, 0
	s_cbranch_scc0 .LBB506_152
; %bb.90:
	v_cndmask_b32_e64 v61, 0, v53, s13
	v_cndmask_b32_e64 v62, 0, v54, s13
	v_add3_u32 v63, v116, v108, v107
	s_delay_alu instid0(VALU_DEP_3) | instskip(NEXT) | instid1(VALU_DEP_1)
	v_add_co_u32 v61, s14, v61, v55
	v_add_co_ci_u32_e64 v62, s14, v62, v56, s14
	s_delay_alu instid0(VALU_DEP_3) | instskip(NEXT) | instid1(VALU_DEP_3)
	v_add3_u32 v63, v63, v106, v105
	v_cndmask_b32_e64 v61, 0, v61, s12
	s_delay_alu instid0(VALU_DEP_3) | instskip(NEXT) | instid1(VALU_DEP_3)
	v_cndmask_b32_e64 v62, 0, v62, s12
	v_add3_u32 v63, v63, v103, v102
	s_delay_alu instid0(VALU_DEP_3) | instskip(NEXT) | instid1(VALU_DEP_1)
	v_add_co_u32 v61, s14, v61, v49
	v_add_co_ci_u32_e64 v62, s14, v62, v50, s14
	s_delay_alu instid0(VALU_DEP_3) | instskip(NEXT) | instid1(VALU_DEP_3)
	v_add3_u32 v63, v63, v101, v100
	v_cndmask_b32_e64 v61, 0, v61, s11
	s_delay_alu instid0(VALU_DEP_3) | instskip(NEXT) | instid1(VALU_DEP_3)
	v_cndmask_b32_e64 v62, 0, v62, s11
	v_add3_u32 v65, v63, v99, v104
	s_delay_alu instid0(VALU_DEP_3) | instskip(NEXT) | instid1(VALU_DEP_1)
	v_add_co_u32 v61, s14, v61, v51
	v_add_co_ci_u32_e64 v62, s14, v62, v52, s14
	s_delay_alu instid0(VALU_DEP_2) | instskip(NEXT) | instid1(VALU_DEP_2)
	v_cndmask_b32_e64 v61, 0, v61, s10
	v_cndmask_b32_e64 v62, 0, v62, s10
	s_delay_alu instid0(VALU_DEP_2) | instskip(NEXT) | instid1(VALU_DEP_1)
	v_add_co_u32 v61, s14, v61, v45
	v_add_co_ci_u32_e64 v62, s14, v62, v46, s14
	s_delay_alu instid0(VALU_DEP_2) | instskip(NEXT) | instid1(VALU_DEP_2)
	v_cndmask_b32_e64 v61, 0, v61, s9
	v_cndmask_b32_e64 v62, 0, v62, s9
	s_delay_alu instid0(VALU_DEP_2) | instskip(NEXT) | instid1(VALU_DEP_1)
	;; [unrolled: 6-line block ×10, first 2 shown]
	v_add_co_u32 v61, s14, v61, v31
	v_add_co_ci_u32_e64 v62, s14, v62, v32, s14
	s_mov_b32 s14, exec_lo
	s_delay_alu instid0(VALU_DEP_1) | instskip(NEXT) | instid1(VALU_DEP_1)
	v_dual_cndmask_b32 v61, 0, v61 :: v_dual_cndmask_b32 v62, 0, v62
	v_add_co_u32 v63, vcc_lo, v61, v59
	s_delay_alu instid0(VALU_DEP_2) | instskip(SKIP_2) | instid1(VALU_DEP_4)
	v_add_co_ci_u32_e32 v64, vcc_lo, v62, v60, vcc_lo
	v_and_b32_e32 v61, 15, v115
	v_mov_b32_dpp v62, v65 row_shr:1 row_mask:0xf bank_mask:0xf
	v_mov_b32_dpp v66, v63 row_shr:1 row_mask:0xf bank_mask:0xf
	s_delay_alu instid0(VALU_DEP_4) | instskip(NEXT) | instid1(VALU_DEP_4)
	v_mov_b32_dpp v67, v64 row_shr:1 row_mask:0xf bank_mask:0xf
	v_cmpx_ne_u32_e32 0, v61
; %bb.91:
	v_cmp_eq_u32_e32 vcc_lo, 0, v65
	v_add_nc_u32_e32 v65, v62, v65
	s_delay_alu instid0(VALU_DEP_4) | instskip(NEXT) | instid1(VALU_DEP_1)
	v_dual_cndmask_b32 v67, 0, v67 :: v_dual_cndmask_b32 v66, 0, v66
	v_add_co_u32 v63, vcc_lo, v66, v63
	s_delay_alu instid0(VALU_DEP_2)
	v_add_co_ci_u32_e32 v64, vcc_lo, v67, v64, vcc_lo
; %bb.92:
	s_or_b32 exec_lo, exec_lo, s14
	v_mov_b32_dpp v62, v65 row_shr:2 row_mask:0xf bank_mask:0xf
	s_delay_alu instid0(VALU_DEP_3) | instskip(NEXT) | instid1(VALU_DEP_3)
	v_mov_b32_dpp v66, v63 row_shr:2 row_mask:0xf bank_mask:0xf
	v_mov_b32_dpp v67, v64 row_shr:2 row_mask:0xf bank_mask:0xf
	s_mov_b32 s14, exec_lo
	v_cmpx_lt_u32_e32 1, v61
; %bb.93:
	v_cmp_eq_u32_e32 vcc_lo, 0, v65
	v_add_nc_u32_e32 v65, v62, v65
	v_dual_cndmask_b32 v67, 0, v67 :: v_dual_cndmask_b32 v66, 0, v66
	s_delay_alu instid0(VALU_DEP_1) | instskip(NEXT) | instid1(VALU_DEP_2)
	v_add_co_u32 v63, vcc_lo, v66, v63
	v_add_co_ci_u32_e32 v64, vcc_lo, v67, v64, vcc_lo
; %bb.94:
	s_or_b32 exec_lo, exec_lo, s14
	v_mov_b32_dpp v62, v65 row_shr:4 row_mask:0xf bank_mask:0xf
	s_delay_alu instid0(VALU_DEP_3) | instskip(NEXT) | instid1(VALU_DEP_3)
	v_mov_b32_dpp v66, v63 row_shr:4 row_mask:0xf bank_mask:0xf
	v_mov_b32_dpp v67, v64 row_shr:4 row_mask:0xf bank_mask:0xf
	s_mov_b32 s14, exec_lo
	v_cmpx_lt_u32_e32 3, v61
; %bb.95:
	v_cmp_eq_u32_e32 vcc_lo, 0, v65
	v_add_nc_u32_e32 v65, v62, v65
	v_dual_cndmask_b32 v67, 0, v67 :: v_dual_cndmask_b32 v66, 0, v66
	s_delay_alu instid0(VALU_DEP_1) | instskip(NEXT) | instid1(VALU_DEP_2)
	v_add_co_u32 v63, vcc_lo, v66, v63
	;; [unrolled: 15-line block ×3, first 2 shown]
	v_add_co_ci_u32_e32 v64, vcc_lo, v61, v64, vcc_lo
; %bb.98:
	s_or_b32 exec_lo, exec_lo, s14
	ds_swizzle_b32 v61, v65 offset:swizzle(BROADCAST,32,15)
	ds_swizzle_b32 v62, v63 offset:swizzle(BROADCAST,32,15)
	;; [unrolled: 1-line block ×3, first 2 shown]
	v_and_b32_e32 v67, 16, v115
	s_mov_b32 s14, exec_lo
	s_delay_alu instid0(VALU_DEP_1)
	v_cmpx_ne_u32_e32 0, v67
	s_cbranch_execz .LBB506_100
; %bb.99:
	v_cmp_eq_u32_e32 vcc_lo, 0, v65
	s_waitcnt lgkmcnt(1)
	v_dual_cndmask_b32 v62, 0, v62 :: v_dual_add_nc_u32 v65, v61, v65
	s_waitcnt lgkmcnt(0)
	v_cndmask_b32_e32 v66, 0, v66, vcc_lo
	s_delay_alu instid0(VALU_DEP_2) | instskip(NEXT) | instid1(VALU_DEP_2)
	v_add_co_u32 v63, vcc_lo, v62, v63
	v_add_co_ci_u32_e32 v64, vcc_lo, v66, v64, vcc_lo
.LBB506_100:
	s_or_b32 exec_lo, exec_lo, s14
	s_waitcnt lgkmcnt(1)
	v_lshrrev_b32_e32 v62, 5, v0
	v_or_b32_e32 v61, 31, v0
	s_mov_b32 s14, exec_lo
	s_waitcnt lgkmcnt(0)
	s_delay_alu instid0(VALU_DEP_2) | instskip(NEXT) | instid1(VALU_DEP_2)
	v_lshlrev_b32_e32 v66, 4, v62
	v_cmpx_eq_u32_e64 v61, v0
	s_cbranch_execz .LBB506_102
; %bb.101:
	ds_store_b32 v66, v65 offset:4128
	ds_store_b64 v66, v[63:64] offset:4136
.LBB506_102:
	s_or_b32 exec_lo, exec_lo, s14
	s_delay_alu instid0(SALU_CYCLE_1)
	s_mov_b32 s14, exec_lo
	s_waitcnt lgkmcnt(0)
	s_barrier
	buffer_gl0_inv
	v_cmpx_gt_u32_e32 8, v0
	s_cbranch_execz .LBB506_110
; %bb.103:
	v_lshlrev_b32_e32 v67, 4, v0
	v_and_b32_e32 v69, 7, v115
	s_mov_b32 s16, exec_lo
	ds_load_b32 v68, v67 offset:4128
	ds_load_b64 v[61:62], v67 offset:4136
	s_waitcnt lgkmcnt(1)
	v_mov_b32_dpp v70, v68 row_shr:1 row_mask:0xf bank_mask:0xf
	s_waitcnt lgkmcnt(0)
	v_mov_b32_dpp v71, v61 row_shr:1 row_mask:0xf bank_mask:0xf
	v_mov_b32_dpp v72, v62 row_shr:1 row_mask:0xf bank_mask:0xf
	v_cmpx_ne_u32_e32 0, v69
; %bb.104:
	v_cmp_eq_u32_e32 vcc_lo, 0, v68
	v_add_nc_u32_e32 v68, v70, v68
	s_delay_alu instid0(VALU_DEP_4) | instskip(NEXT) | instid1(VALU_DEP_1)
	v_dual_cndmask_b32 v72, 0, v72 :: v_dual_cndmask_b32 v71, 0, v71
	v_add_co_u32 v61, vcc_lo, v71, v61
	s_delay_alu instid0(VALU_DEP_2)
	v_add_co_ci_u32_e32 v62, vcc_lo, v72, v62, vcc_lo
; %bb.105:
	s_or_b32 exec_lo, exec_lo, s16
	v_mov_b32_dpp v70, v68 row_shr:2 row_mask:0xf bank_mask:0xf
	s_delay_alu instid0(VALU_DEP_3) | instskip(NEXT) | instid1(VALU_DEP_3)
	v_mov_b32_dpp v71, v61 row_shr:2 row_mask:0xf bank_mask:0xf
	v_mov_b32_dpp v72, v62 row_shr:2 row_mask:0xf bank_mask:0xf
	s_mov_b32 s16, exec_lo
	v_cmpx_lt_u32_e32 1, v69
; %bb.106:
	v_cmp_eq_u32_e32 vcc_lo, 0, v68
	v_add_nc_u32_e32 v68, v70, v68
	v_dual_cndmask_b32 v72, 0, v72 :: v_dual_cndmask_b32 v71, 0, v71
	s_delay_alu instid0(VALU_DEP_1) | instskip(NEXT) | instid1(VALU_DEP_2)
	v_add_co_u32 v61, vcc_lo, v71, v61
	v_add_co_ci_u32_e32 v62, vcc_lo, v72, v62, vcc_lo
; %bb.107:
	s_or_b32 exec_lo, exec_lo, s16
	v_mov_b32_dpp v70, v68 row_shr:4 row_mask:0xf bank_mask:0xf
	s_delay_alu instid0(VALU_DEP_3) | instskip(NEXT) | instid1(VALU_DEP_3)
	v_mov_b32_dpp v71, v61 row_shr:4 row_mask:0xf bank_mask:0xf
	v_mov_b32_dpp v72, v62 row_shr:4 row_mask:0xf bank_mask:0xf
	s_mov_b32 s16, exec_lo
	v_cmpx_lt_u32_e32 3, v69
; %bb.108:
	v_cmp_eq_u32_e32 vcc_lo, 0, v68
	v_dual_cndmask_b32 v71, 0, v71 :: v_dual_add_nc_u32 v68, v70, v68
	v_cndmask_b32_e32 v69, 0, v72, vcc_lo
	s_delay_alu instid0(VALU_DEP_2) | instskip(NEXT) | instid1(VALU_DEP_2)
	v_add_co_u32 v61, vcc_lo, v71, v61
	v_add_co_ci_u32_e32 v62, vcc_lo, v69, v62, vcc_lo
; %bb.109:
	s_or_b32 exec_lo, exec_lo, s16
	ds_store_b32 v67, v68 offset:4128
	ds_store_b64 v67, v[61:62] offset:4136
.LBB506_110:
	s_or_b32 exec_lo, exec_lo, s14
	v_mov_b32_e32 v61, 0
	v_cmp_gt_u32_e32 vcc_lo, 32, v0
	v_dual_mov_b32 v62, 0 :: v_dual_mov_b32 v71, 0
	s_mov_b32 s16, exec_lo
	s_waitcnt lgkmcnt(0)
	s_barrier
	buffer_gl0_inv
	v_cmpx_lt_u32_e32 31, v0
	s_cbranch_execz .LBB506_112
; %bb.111:
	ds_load_b64 v[61:62], v66 offset:4120
	ds_load_b32 v71, v66 offset:4112
	v_cmp_eq_u32_e64 s14, 0, v65
	s_waitcnt lgkmcnt(1)
	s_delay_alu instid0(VALU_DEP_1) | instskip(SKIP_3) | instid1(VALU_DEP_3)
	v_cndmask_b32_e64 v67, 0, v61, s14
	v_cndmask_b32_e64 v66, 0, v62, s14
	s_waitcnt lgkmcnt(0)
	v_add_nc_u32_e32 v65, v71, v65
	v_add_co_u32 v63, s14, v67, v63
	s_delay_alu instid0(VALU_DEP_1)
	v_add_co_ci_u32_e64 v64, s14, v66, v64, s14
.LBB506_112:
	s_or_b32 exec_lo, exec_lo, s16
	v_add_nc_u32_e32 v66, -1, v115
	s_delay_alu instid0(VALU_DEP_1) | instskip(NEXT) | instid1(VALU_DEP_1)
	v_cmp_gt_i32_e64 s14, 0, v66
	v_cndmask_b32_e64 v66, v66, v115, s14
	v_cmp_eq_u32_e64 s14, 0, v115
	s_delay_alu instid0(VALU_DEP_2)
	v_lshlrev_b32_e32 v66, 2, v66
	ds_bpermute_b32 v74, v66, v65
	ds_bpermute_b32 v73, v66, v63
	ds_bpermute_b32 v72, v66, v64
	s_and_saveexec_b32 s16, vcc_lo
	s_cbranch_execz .LBB506_151
; %bb.113:
	v_mov_b32_e32 v67, 0
	ds_load_b32 v75, v67 offset:4240
	ds_load_b64 v[63:64], v67 offset:4248
	s_and_saveexec_b32 s26, s14
	s_cbranch_execz .LBB506_115
; %bb.114:
	s_add_i32 s34, s30, 32
	s_mov_b32 s35, 0
	v_dual_mov_b32 v65, s34 :: v_dual_mov_b32 v66, 1
	s_lshl_b64 s[42:43], s[34:35], 4
	s_delay_alu instid0(SALU_CYCLE_1)
	s_add_u32 s34, s36, s42
	s_addc_u32 s35, s37, s43
	s_waitcnt lgkmcnt(1)
	global_store_b32 v67, v75, s[34:35]
	s_waitcnt lgkmcnt(0)
	global_store_b64 v67, v[63:64], s[34:35] offset:8
	s_waitcnt_vscnt null, 0x0
	buffer_gl1_inv
	buffer_gl0_inv
	global_store_b8 v65, v66, s[40:41]
.LBB506_115:
	s_or_b32 exec_lo, exec_lo, s26
	v_xad_u32 v65, v115, -1, s30
	s_mov_b32 s27, 0
	s_mov_b32 s26, exec_lo
	s_delay_alu instid0(VALU_DEP_1)
	v_add_nc_u32_e32 v66, 32, v65
	global_load_u8 v76, v66, s[40:41] glc
	s_waitcnt vmcnt(0)
	v_cmpx_eq_u16_e32 0, v76
	s_cbranch_execz .LBB506_119
; %bb.116:
	v_add_co_u32 v68, s31, s40, v66
	s_delay_alu instid0(VALU_DEP_1)
	v_add_co_ci_u32_e64 v69, null, s41, 0, s31
.LBB506_117:                            ; =>This Inner Loop Header: Depth=1
	global_load_u8 v76, v[68:69], off glc
	s_waitcnt vmcnt(0)
	v_cmp_ne_u16_e32 vcc_lo, 0, v76
	s_or_b32 s27, vcc_lo, s27
	s_delay_alu instid0(SALU_CYCLE_1)
	s_and_not1_b32 exec_lo, exec_lo, s27
	s_cbranch_execnz .LBB506_117
; %bb.118:
	s_or_b32 exec_lo, exec_lo, s27
.LBB506_119:
	s_delay_alu instid0(SALU_CYCLE_1)
	s_or_b32 exec_lo, exec_lo, s26
	v_dual_mov_b32 v68, s37 :: v_dual_mov_b32 v69, s36
	v_cmp_eq_u16_e32 vcc_lo, 1, v76
	v_lshlrev_b64 v[66:67], 4, v[66:67]
	s_waitcnt lgkmcnt(0)
	s_waitcnt_vscnt null, 0x0
	buffer_gl1_inv
	buffer_gl0_inv
	v_lshlrev_b32_e64 v78, v115, -1
	s_mov_b32 s26, exec_lo
	v_cndmask_b32_e32 v69, s38, v69, vcc_lo
	v_cndmask_b32_e32 v68, s39, v68, vcc_lo
	s_delay_alu instid0(VALU_DEP_2) | instskip(NEXT) | instid1(VALU_DEP_2)
	v_add_co_u32 v66, vcc_lo, v69, v66
	v_add_co_ci_u32_e32 v67, vcc_lo, v68, v67, vcc_lo
	v_cmp_ne_u32_e32 vcc_lo, 31, v115
	s_clause 0x1
	global_load_b32 v88, v[66:67], off
	global_load_b64 v[69:70], v[66:67], off offset:8
	v_add_co_ci_u32_e32 v66, vcc_lo, 0, v115, vcc_lo
	v_cmp_eq_u16_e32 vcc_lo, 2, v76
	s_delay_alu instid0(VALU_DEP_2) | instskip(SKIP_1) | instid1(VALU_DEP_1)
	v_lshlrev_b32_e32 v77, 2, v66
	v_and_or_b32 v66, vcc_lo, v78, 0x80000000
	v_ctz_i32_b32_e32 v66, v66
	s_waitcnt vmcnt(1)
	ds_bpermute_b32 v67, v77, v88
	s_waitcnt vmcnt(0)
	ds_bpermute_b32 v68, v77, v69
	ds_bpermute_b32 v79, v77, v70
	v_cmpx_lt_u32_e64 v115, v66
	s_cbranch_execz .LBB506_121
; %bb.120:
	v_cmp_eq_u32_e32 vcc_lo, 0, v88
	s_waitcnt lgkmcnt(0)
	v_dual_cndmask_b32 v79, 0, v79 :: v_dual_add_nc_u32 v88, v67, v88
	v_cndmask_b32_e32 v68, 0, v68, vcc_lo
	s_delay_alu instid0(VALU_DEP_1) | instskip(NEXT) | instid1(VALU_DEP_3)
	v_add_co_u32 v69, vcc_lo, v68, v69
	v_add_co_ci_u32_e32 v70, vcc_lo, v79, v70, vcc_lo
.LBB506_121:
	s_or_b32 exec_lo, exec_lo, s26
	v_cmp_gt_u32_e32 vcc_lo, 30, v115
	v_add_nc_u32_e32 v80, 2, v115
	s_mov_b32 s26, exec_lo
	s_waitcnt lgkmcnt(2)
	v_cndmask_b32_e64 v67, 0, 1, vcc_lo
	s_delay_alu instid0(VALU_DEP_1) | instskip(SKIP_1) | instid1(VALU_DEP_1)
	v_lshlrev_b32_e32 v67, 1, v67
	s_waitcnt lgkmcnt(0)
	v_add_lshl_u32 v79, v67, v115, 2
	ds_bpermute_b32 v67, v79, v88
	ds_bpermute_b32 v68, v79, v69
	ds_bpermute_b32 v81, v79, v70
	v_cmpx_le_u32_e64 v80, v66
	s_cbranch_execz .LBB506_123
; %bb.122:
	v_cmp_eq_u32_e32 vcc_lo, 0, v88
	s_waitcnt lgkmcnt(0)
	v_dual_cndmask_b32 v81, 0, v81 :: v_dual_add_nc_u32 v88, v67, v88
	v_cndmask_b32_e32 v68, 0, v68, vcc_lo
	s_delay_alu instid0(VALU_DEP_1) | instskip(NEXT) | instid1(VALU_DEP_3)
	v_add_co_u32 v69, vcc_lo, v68, v69
	v_add_co_ci_u32_e32 v70, vcc_lo, v81, v70, vcc_lo
.LBB506_123:
	s_or_b32 exec_lo, exec_lo, s26
	v_cmp_gt_u32_e32 vcc_lo, 28, v115
	v_add_nc_u32_e32 v82, 4, v115
	s_mov_b32 s26, exec_lo
	s_waitcnt lgkmcnt(2)
	v_cndmask_b32_e64 v67, 0, 1, vcc_lo
	s_delay_alu instid0(VALU_DEP_1) | instskip(SKIP_1) | instid1(VALU_DEP_1)
	v_lshlrev_b32_e32 v67, 2, v67
	s_waitcnt lgkmcnt(0)
	v_add_lshl_u32 v81, v67, v115, 2
	ds_bpermute_b32 v67, v81, v88
	ds_bpermute_b32 v68, v81, v69
	ds_bpermute_b32 v83, v81, v70
	v_cmpx_le_u32_e64 v82, v66
	s_cbranch_execz .LBB506_125
; %bb.124:
	v_cmp_eq_u32_e32 vcc_lo, 0, v88
	s_waitcnt lgkmcnt(0)
	v_dual_cndmask_b32 v83, 0, v83 :: v_dual_add_nc_u32 v88, v67, v88
	v_cndmask_b32_e32 v68, 0, v68, vcc_lo
	s_delay_alu instid0(VALU_DEP_1) | instskip(NEXT) | instid1(VALU_DEP_3)
	v_add_co_u32 v69, vcc_lo, v68, v69
	v_add_co_ci_u32_e32 v70, vcc_lo, v83, v70, vcc_lo
.LBB506_125:
	s_or_b32 exec_lo, exec_lo, s26
	v_cmp_gt_u32_e32 vcc_lo, 24, v115
	v_add_nc_u32_e32 v84, 8, v115
	s_mov_b32 s26, exec_lo
	s_waitcnt lgkmcnt(2)
	v_cndmask_b32_e64 v67, 0, 1, vcc_lo
	s_delay_alu instid0(VALU_DEP_1) | instskip(SKIP_1) | instid1(VALU_DEP_1)
	v_lshlrev_b32_e32 v67, 3, v67
	s_waitcnt lgkmcnt(0)
	v_add_lshl_u32 v83, v67, v115, 2
	ds_bpermute_b32 v67, v83, v88
	ds_bpermute_b32 v68, v83, v69
	ds_bpermute_b32 v85, v83, v70
	v_cmpx_le_u32_e64 v84, v66
	s_cbranch_execz .LBB506_127
; %bb.126:
	v_cmp_eq_u32_e32 vcc_lo, 0, v88
	s_waitcnt lgkmcnt(0)
	v_dual_cndmask_b32 v85, 0, v85 :: v_dual_add_nc_u32 v88, v67, v88
	v_cndmask_b32_e32 v68, 0, v68, vcc_lo
	s_delay_alu instid0(VALU_DEP_1) | instskip(NEXT) | instid1(VALU_DEP_3)
	v_add_co_u32 v69, vcc_lo, v68, v69
	v_add_co_ci_u32_e32 v70, vcc_lo, v85, v70, vcc_lo
.LBB506_127:
	s_or_b32 exec_lo, exec_lo, s26
	v_cmp_gt_u32_e32 vcc_lo, 16, v115
	v_add_nc_u32_e32 v87, 16, v115
	s_mov_b32 s26, exec_lo
	s_waitcnt lgkmcnt(2)
	v_cndmask_b32_e64 v67, 0, 1, vcc_lo
	s_delay_alu instid0(VALU_DEP_1) | instskip(NEXT) | instid1(VALU_DEP_1)
	v_lshlrev_b32_e32 v67, 4, v67
	v_add_lshl_u32 v86, v67, v115, 2
	ds_bpermute_b32 v67, v86, v88
	s_waitcnt lgkmcnt(2)
	ds_bpermute_b32 v68, v86, v69
	s_waitcnt lgkmcnt(2)
	ds_bpermute_b32 v85, v86, v70
	v_cmpx_le_u32_e64 v87, v66
	s_cbranch_execz .LBB506_129
; %bb.128:
	v_cmp_eq_u32_e32 vcc_lo, 0, v88
	s_waitcnt lgkmcnt(2)
	v_add_nc_u32_e32 v88, v67, v88
	s_waitcnt lgkmcnt(1)
	v_cndmask_b32_e32 v68, 0, v68, vcc_lo
	s_waitcnt lgkmcnt(0)
	v_cndmask_b32_e32 v66, 0, v85, vcc_lo
	s_delay_alu instid0(VALU_DEP_2) | instskip(NEXT) | instid1(VALU_DEP_2)
	v_add_co_u32 v69, vcc_lo, v68, v69
	v_add_co_ci_u32_e32 v70, vcc_lo, v66, v70, vcc_lo
.LBB506_129:
	s_or_b32 exec_lo, exec_lo, s26
	v_mov_b32_e32 v66, 0
	s_branch .LBB506_131
.LBB506_130:                            ;   in Loop: Header=BB506_131 Depth=1
	s_or_b32 exec_lo, exec_lo, s26
	v_cmp_eq_u32_e32 vcc_lo, 0, v85
	v_subrev_nc_u32_e32 v65, 32, v65
	v_add_nc_u32_e32 v88, v88, v85
	v_dual_cndmask_b32 v70, 0, v70 :: v_dual_cndmask_b32 v69, 0, v69
	s_delay_alu instid0(VALU_DEP_1) | instskip(NEXT) | instid1(VALU_DEP_2)
	v_add_co_u32 v69, vcc_lo, v69, v67
	v_add_co_ci_u32_e32 v70, vcc_lo, v70, v68, vcc_lo
.LBB506_131:                            ; =>This Loop Header: Depth=1
                                        ;     Child Loop BB506_134 Depth 2
	s_waitcnt lgkmcnt(2)
	v_and_b32_e32 v67, 0xff, v76
	s_waitcnt lgkmcnt(0)
	v_mov_b32_e32 v85, v88
	s_delay_alu instid0(VALU_DEP_2) | instskip(SKIP_2) | instid1(VALU_DEP_1)
	v_cmp_ne_u16_e32 vcc_lo, 2, v67
	v_cndmask_b32_e64 v67, 0, 1, vcc_lo
	;;#ASMSTART
	;;#ASMEND
	v_cmp_ne_u32_e32 vcc_lo, 0, v67
	v_dual_mov_b32 v67, v69 :: v_dual_mov_b32 v68, v70
	s_cmp_lg_u32 vcc_lo, exec_lo
	s_cbranch_scc1 .LBB506_146
; %bb.132:                              ;   in Loop: Header=BB506_131 Depth=1
	global_load_u8 v76, v65, s[40:41] glc
	s_mov_b32 s26, exec_lo
	s_waitcnt vmcnt(0)
	v_cmpx_eq_u16_e32 0, v76
	s_cbranch_execz .LBB506_136
; %bb.133:                              ;   in Loop: Header=BB506_131 Depth=1
	v_add_co_u32 v69, s27, s40, v65
	s_delay_alu instid0(VALU_DEP_1)
	v_add_co_ci_u32_e64 v70, null, s41, 0, s27
	s_mov_b32 s27, 0
.LBB506_134:                            ;   Parent Loop BB506_131 Depth=1
                                        ; =>  This Inner Loop Header: Depth=2
	global_load_u8 v76, v[69:70], off glc
	s_waitcnt vmcnt(0)
	v_cmp_ne_u16_e32 vcc_lo, 0, v76
	s_or_b32 s27, vcc_lo, s27
	s_delay_alu instid0(SALU_CYCLE_1)
	s_and_not1_b32 exec_lo, exec_lo, s27
	s_cbranch_execnz .LBB506_134
; %bb.135:                              ;   in Loop: Header=BB506_131 Depth=1
	s_or_b32 exec_lo, exec_lo, s27
.LBB506_136:                            ;   in Loop: Header=BB506_131 Depth=1
	s_delay_alu instid0(SALU_CYCLE_1)
	s_or_b32 exec_lo, exec_lo, s26
	v_dual_mov_b32 v88, s37 :: v_dual_mov_b32 v89, s36
	v_cmp_eq_u16_e32 vcc_lo, 1, v76
	v_lshlrev_b64 v[69:70], 4, v[65:66]
	buffer_gl1_inv
	buffer_gl0_inv
	s_mov_b32 s26, exec_lo
	v_cndmask_b32_e32 v89, s38, v89, vcc_lo
	v_cndmask_b32_e32 v88, s39, v88, vcc_lo
	s_delay_alu instid0(VALU_DEP_2) | instskip(NEXT) | instid1(VALU_DEP_2)
	v_add_co_u32 v69, vcc_lo, v89, v69
	v_add_co_ci_u32_e32 v70, vcc_lo, v88, v70, vcc_lo
	v_cmp_eq_u16_e32 vcc_lo, 2, v76
	s_clause 0x1
	global_load_b32 v88, v[69:70], off
	global_load_b64 v[69:70], v[69:70], off offset:8
	v_and_or_b32 v89, vcc_lo, v78, 0x80000000
	s_delay_alu instid0(VALU_DEP_1)
	v_ctz_i32_b32_e32 v89, v89
	s_waitcnt vmcnt(1)
	ds_bpermute_b32 v90, v77, v88
	s_waitcnt vmcnt(0)
	ds_bpermute_b32 v91, v77, v69
	ds_bpermute_b32 v92, v77, v70
	v_cmpx_lt_u32_e64 v115, v89
	s_cbranch_execz .LBB506_138
; %bb.137:                              ;   in Loop: Header=BB506_131 Depth=1
	v_cmp_eq_u32_e32 vcc_lo, 0, v88
	s_waitcnt lgkmcnt(2)
	v_add_nc_u32_e32 v88, v90, v88
	s_waitcnt lgkmcnt(0)
	v_dual_cndmask_b32 v92, 0, v92 :: v_dual_cndmask_b32 v91, 0, v91
	s_delay_alu instid0(VALU_DEP_1) | instskip(NEXT) | instid1(VALU_DEP_2)
	v_add_co_u32 v69, vcc_lo, v91, v69
	v_add_co_ci_u32_e32 v70, vcc_lo, v92, v70, vcc_lo
.LBB506_138:                            ;   in Loop: Header=BB506_131 Depth=1
	s_or_b32 exec_lo, exec_lo, s26
	s_waitcnt lgkmcnt(2)
	ds_bpermute_b32 v90, v79, v88
	s_waitcnt lgkmcnt(2)
	ds_bpermute_b32 v91, v79, v69
	s_waitcnt lgkmcnt(2)
	ds_bpermute_b32 v92, v79, v70
	s_mov_b32 s26, exec_lo
	v_cmpx_le_u32_e64 v80, v89
	s_cbranch_execz .LBB506_140
; %bb.139:                              ;   in Loop: Header=BB506_131 Depth=1
	v_cmp_eq_u32_e32 vcc_lo, 0, v88
	s_waitcnt lgkmcnt(2)
	v_add_nc_u32_e32 v88, v90, v88
	s_waitcnt lgkmcnt(0)
	v_dual_cndmask_b32 v92, 0, v92 :: v_dual_cndmask_b32 v91, 0, v91
	s_delay_alu instid0(VALU_DEP_1) | instskip(NEXT) | instid1(VALU_DEP_2)
	v_add_co_u32 v69, vcc_lo, v91, v69
	v_add_co_ci_u32_e32 v70, vcc_lo, v92, v70, vcc_lo
.LBB506_140:                            ;   in Loop: Header=BB506_131 Depth=1
	s_or_b32 exec_lo, exec_lo, s26
	s_waitcnt lgkmcnt(2)
	ds_bpermute_b32 v90, v81, v88
	s_waitcnt lgkmcnt(2)
	ds_bpermute_b32 v91, v81, v69
	s_waitcnt lgkmcnt(2)
	ds_bpermute_b32 v92, v81, v70
	s_mov_b32 s26, exec_lo
	v_cmpx_le_u32_e64 v82, v89
	;; [unrolled: 20-line block ×4, first 2 shown]
	s_cbranch_execz .LBB506_130
; %bb.145:                              ;   in Loop: Header=BB506_131 Depth=1
	v_cmp_eq_u32_e32 vcc_lo, 0, v88
	s_waitcnt lgkmcnt(1)
	v_dual_cndmask_b32 v91, 0, v91 :: v_dual_add_nc_u32 v88, v90, v88
	s_waitcnt lgkmcnt(0)
	v_cndmask_b32_e32 v89, 0, v92, vcc_lo
	s_delay_alu instid0(VALU_DEP_2) | instskip(NEXT) | instid1(VALU_DEP_2)
	v_add_co_u32 v69, vcc_lo, v91, v69
	v_add_co_ci_u32_e32 v70, vcc_lo, v89, v70, vcc_lo
	s_branch .LBB506_130
.LBB506_146:                            ;   in Loop: Header=BB506_131 Depth=1
                                        ; implicit-def: $vgpr69_vgpr70
                                        ; implicit-def: $vgpr88
                                        ; implicit-def: $vgpr76
	s_cbranch_execz .LBB506_131
; %bb.147:
	s_and_saveexec_b32 s26, s14
	s_cbranch_execz .LBB506_149
; %bb.148:
	v_cmp_eq_u32_e32 vcc_lo, 0, v75
	s_mov_b32 s31, 0
	s_add_i32 s30, s30, 32
	v_dual_mov_b32 v70, 0 :: v_dual_add_nc_u32 v69, v85, v75
	v_dual_cndmask_b32 v66, 0, v68 :: v_dual_cndmask_b32 v65, 0, v67
	s_lshl_b64 s[34:35], s[30:31], 4
	v_dual_mov_b32 v76, s30 :: v_dual_mov_b32 v77, 2
	s_add_u32 s34, s38, s34
	s_delay_alu instid0(VALU_DEP_2)
	v_add_co_u32 v65, vcc_lo, v65, v63
	v_add_co_ci_u32_e32 v66, vcc_lo, v66, v64, vcc_lo
	s_addc_u32 s35, s39, s35
	s_clause 0x1
	global_store_b32 v70, v69, s[34:35]
	global_store_b64 v70, v[65:66], s[34:35] offset:8
	s_waitcnt lgkmcnt(0)
	s_waitcnt_vscnt null, 0x0
	buffer_gl1_inv
	buffer_gl0_inv
	global_store_b8 v76, v77, s[40:41]
	ds_store_b32 v70, v75 offset:4096
	ds_store_b64 v70, v[63:64] offset:4104
	ds_store_b32 v70, v85 offset:4112
	ds_store_b64 v70, v[67:68] offset:4120
.LBB506_149:
	s_or_b32 exec_lo, exec_lo, s26
	s_delay_alu instid0(SALU_CYCLE_1)
	s_and_b32 exec_lo, exec_lo, s2
	s_cbranch_execz .LBB506_151
; %bb.150:
	v_mov_b32_e32 v63, 0
	ds_store_b32 v63, v85 offset:4240
	ds_store_b64 v63, v[67:68] offset:4248
.LBB506_151:
	s_or_b32 exec_lo, exec_lo, s16
	s_waitcnt lgkmcnt(2)
	v_cndmask_b32_e64 v66, v74, v71, s14
	s_waitcnt lgkmcnt(0)
	s_waitcnt_vscnt null, 0x0
	s_barrier
	buffer_gl0_inv
	v_cndmask_b32_e64 v61, v73, v61, s14
	v_cmp_eq_u32_e32 vcc_lo, 0, v66
	v_mov_b32_e32 v65, 0
	v_cndmask_b32_e64 v62, v72, v62, s14
	v_cndmask_b32_e64 v66, v66, 0, s2
	ds_load_b64 v[63:64], v65 offset:4248
	s_waitcnt lgkmcnt(0)
	v_dual_cndmask_b32 v68, 0, v63 :: v_dual_cndmask_b32 v67, 0, v64
	s_delay_alu instid0(VALU_DEP_1) | instskip(NEXT) | instid1(VALU_DEP_2)
	v_add_co_u32 v61, vcc_lo, v68, v61
	v_add_co_ci_u32_e32 v62, vcc_lo, v67, v62, vcc_lo
	v_cmp_eq_u32_e32 vcc_lo, 0, v113
	s_delay_alu instid0(VALU_DEP_3) | instskip(NEXT) | instid1(VALU_DEP_3)
	v_cndmask_b32_e64 v79, v61, v63, s2
	v_cndmask_b32_e64 v80, v62, v64, s2
	ds_load_b32 v64, v65 offset:4240
	s_waitcnt lgkmcnt(0)
	v_cndmask_b32_e32 v62, 0, v79, vcc_lo
	s_barrier
	v_cndmask_b32_e32 v61, 0, v80, vcc_lo
	buffer_gl0_inv
	ds_load_b64 v[117:118], v65 offset:4104
	v_add_co_u32 v75, vcc_lo, v62, v53
	v_add_co_ci_u32_e32 v76, vcc_lo, v61, v54, vcc_lo
	s_delay_alu instid0(VALU_DEP_2) | instskip(NEXT) | instid1(VALU_DEP_2)
	v_cndmask_b32_e64 v61, 0, v75, s13
	v_cndmask_b32_e64 v62, 0, v76, s13
	s_delay_alu instid0(VALU_DEP_2) | instskip(NEXT) | instid1(VALU_DEP_2)
	v_add_co_u32 v81, vcc_lo, v61, v55
	v_add_co_ci_u32_e32 v82, vcc_lo, v62, v56, vcc_lo
	v_add_nc_u32_e32 v114, v64, v66
	s_delay_alu instid0(VALU_DEP_3) | instskip(NEXT) | instid1(VALU_DEP_3)
	v_cndmask_b32_e64 v61, 0, v81, s12
	v_cndmask_b32_e64 v62, 0, v82, s12
	s_delay_alu instid0(VALU_DEP_2) | instskip(NEXT) | instid1(VALU_DEP_2)
	v_add_co_u32 v85, vcc_lo, v61, v49
	v_add_co_ci_u32_e32 v86, vcc_lo, v62, v50, vcc_lo
	s_delay_alu instid0(VALU_DEP_2) | instskip(NEXT) | instid1(VALU_DEP_2)
	v_cndmask_b32_e64 v61, 0, v85, s11
	v_cndmask_b32_e64 v62, 0, v86, s11
	s_delay_alu instid0(VALU_DEP_2) | instskip(NEXT) | instid1(VALU_DEP_2)
	v_add_co_u32 v67, vcc_lo, v61, v51
	v_add_co_ci_u32_e32 v68, vcc_lo, v62, v52, vcc_lo
	s_delay_alu instid0(VALU_DEP_2) | instskip(NEXT) | instid1(VALU_DEP_2)
	;; [unrolled: 6-line block ×7, first 2 shown]
	v_cndmask_b32_e64 v61, 0, v69, s5
	v_cndmask_b32_e64 v62, 0, v70, s5
	s_delay_alu instid0(VALU_DEP_2) | instskip(NEXT) | instid1(VALU_DEP_2)
	v_add_co_u32 v73, vcc_lo, v61, v39
	v_add_co_ci_u32_e32 v74, vcc_lo, v62, v40, vcc_lo
	ds_load_b32 v61, v65 offset:4096
	v_cndmask_b32_e64 v62, 0, v73, s4
	v_cndmask_b32_e64 v63, 0, v74, s4
	s_delay_alu instid0(VALU_DEP_2) | instskip(NEXT) | instid1(VALU_DEP_2)
	v_add_co_u32 v89, vcc_lo, v62, v33
	v_add_co_ci_u32_e32 v90, vcc_lo, v63, v34, vcc_lo
	ds_load_b64 v[62:63], v65 offset:4120
	v_cndmask_b32_e64 v91, 0, v89, s3
	ds_load_b32 v65, v65 offset:4112
	v_cndmask_b32_e64 v92, 0, v90, s3
	v_add_co_u32 v91, vcc_lo, v91, v35
	s_delay_alu instid0(VALU_DEP_2) | instskip(SKIP_2) | instid1(VALU_DEP_3)
	v_add_co_ci_u32_e32 v92, vcc_lo, v92, v36, vcc_lo
	s_waitcnt lgkmcnt(2)
	v_cmp_eq_u32_e32 vcc_lo, 0, v61
	v_cndmask_b32_e64 v93, 0, v91, s1
	s_delay_alu instid0(VALU_DEP_3) | instskip(NEXT) | instid1(VALU_DEP_2)
	v_cndmask_b32_e64 v94, 0, v92, s1
	v_add_co_u32 v93, s1, v93, v29
	s_delay_alu instid0(VALU_DEP_1) | instskip(SKIP_2) | instid1(VALU_DEP_3)
	v_add_co_ci_u32_e64 v94, s1, v94, v30, s1
	s_waitcnt lgkmcnt(1)
	v_dual_cndmask_b32 v62, 0, v62 :: v_dual_cndmask_b32 v119, 0, v63
	v_cndmask_b32_e64 v97, 0, v93, s0
	s_delay_alu instid0(VALU_DEP_3) | instskip(NEXT) | instid1(VALU_DEP_3)
	v_cndmask_b32_e64 v98, 0, v94, s0
	v_add_co_u32 v63, vcc_lo, v62, v117
	s_delay_alu instid0(VALU_DEP_4)
	v_add_co_ci_u32_e32 v64, vcc_lo, v119, v118, vcc_lo
	s_branch .LBB506_180
.LBB506_152:
                                        ; implicit-def: $vgpr61
                                        ; implicit-def: $vgpr63_vgpr64
                                        ; implicit-def: $vgpr65
                                        ; implicit-def: $vgpr79_vgpr80
                                        ; implicit-def: $vgpr75_vgpr76
                                        ; implicit-def: $vgpr81_vgpr82
                                        ; implicit-def: $vgpr85_vgpr86
                                        ; implicit-def: $vgpr67_vgpr68
                                        ; implicit-def: $vgpr71_vgpr72
                                        ; implicit-def: $vgpr77_vgpr78
                                        ; implicit-def: $vgpr83_vgpr84
                                        ; implicit-def: $vgpr87_vgpr88
                                        ; implicit-def: $vgpr69_vgpr70
                                        ; implicit-def: $vgpr73_vgpr74
                                        ; implicit-def: $vgpr89_vgpr90
                                        ; implicit-def: $vgpr91_vgpr92
                                        ; implicit-def: $vgpr93_vgpr94
                                        ; implicit-def: $vgpr97_vgpr98
                                        ; implicit-def: $vgpr114
	s_cbranch_execz .LBB506_180
; %bb.153:
	s_and_b32 s0, s15, exec_lo
	s_cselect_b32 s1, 0, s25
	s_cselect_b32 s0, 0, s24
	s_delay_alu instid0(SALU_CYCLE_1)
	s_cmp_eq_u64 s[0:1], 0
	s_cbranch_scc1 .LBB506_155
; %bb.154:
	v_mov_b32_e32 v61, 0
	global_load_b64 v[95:96], v61, s[0:1]
.LBB506_155:
	v_cmp_eq_u32_e64 s12, 0, v112
	v_cmp_eq_u32_e64 s11, 0, v111
	;; [unrolled: 1-line block ×5, first 2 shown]
	v_cndmask_b32_e64 v62, 0, v53, s12
	v_cndmask_b32_e64 v61, 0, v54, s12
	v_cmp_eq_u32_e64 s7, 0, v107
	v_cmp_eq_u32_e64 s6, 0, v106
	;; [unrolled: 1-line block ×3, first 2 shown]
	v_add_co_u32 v62, vcc_lo, v62, v55
	v_add_co_ci_u32_e32 v61, vcc_lo, v61, v56, vcc_lo
	v_cmp_eq_u32_e64 s4, 0, v103
	s_delay_alu instid0(VALU_DEP_3) | instskip(SKIP_1) | instid1(VALU_DEP_4)
	v_cndmask_b32_e64 v62, 0, v62, s11
	v_cmp_eq_u32_e64 s3, 0, v102
	v_cndmask_b32_e64 v61, 0, v61, s11
	v_cmp_eq_u32_e64 s1, 0, v100
	v_add3_u32 v63, v116, v108, v107
	v_add_co_u32 v62, vcc_lo, v62, v49
	s_delay_alu instid0(VALU_DEP_4) | instskip(NEXT) | instid1(VALU_DEP_3)
	v_add_co_ci_u32_e32 v61, vcc_lo, v61, v50, vcc_lo
	v_add3_u32 v63, v63, v106, v105
	s_delay_alu instid0(VALU_DEP_3) | instskip(SKIP_1) | instid1(VALU_DEP_3)
	v_cndmask_b32_e64 v62, 0, v62, s10
	s_mov_b32 s14, exec_lo
	v_cndmask_b32_e64 v61, 0, v61, s10
	s_delay_alu instid0(VALU_DEP_3) | instskip(NEXT) | instid1(VALU_DEP_3)
	v_add3_u32 v63, v63, v103, v102
	v_add_co_u32 v62, vcc_lo, v62, v51
	s_delay_alu instid0(VALU_DEP_3) | instskip(NEXT) | instid1(VALU_DEP_3)
	v_add_co_ci_u32_e32 v61, vcc_lo, v61, v52, vcc_lo
	v_add3_u32 v63, v63, v101, v100
	s_delay_alu instid0(VALU_DEP_3) | instskip(NEXT) | instid1(VALU_DEP_3)
	v_cndmask_b32_e64 v62, 0, v62, s9
	v_cndmask_b32_e64 v61, 0, v61, s9
	s_delay_alu instid0(VALU_DEP_3) | instskip(NEXT) | instid1(VALU_DEP_3)
	v_add3_u32 v63, v63, v99, v104
	v_add_co_u32 v62, vcc_lo, v62, v45
	s_delay_alu instid0(VALU_DEP_3) | instskip(NEXT) | instid1(VALU_DEP_2)
	v_add_co_ci_u32_e32 v61, vcc_lo, v61, v46, vcc_lo
	v_cndmask_b32_e64 v62, 0, v62, s8
	s_delay_alu instid0(VALU_DEP_2) | instskip(NEXT) | instid1(VALU_DEP_2)
	v_cndmask_b32_e64 v61, 0, v61, s8
	v_add_co_u32 v62, vcc_lo, v62, v47
	s_delay_alu instid0(VALU_DEP_2) | instskip(NEXT) | instid1(VALU_DEP_2)
	v_add_co_ci_u32_e32 v61, vcc_lo, v61, v48, vcc_lo
	v_cndmask_b32_e64 v62, 0, v62, s7
	s_delay_alu instid0(VALU_DEP_2) | instskip(NEXT) | instid1(VALU_DEP_2)
	v_cndmask_b32_e64 v61, 0, v61, s7
	v_add_co_u32 v62, vcc_lo, v62, v41
	s_delay_alu instid0(VALU_DEP_2) | instskip(NEXT) | instid1(VALU_DEP_2)
	;; [unrolled: 6-line block ×5, first 2 shown]
	v_add_co_ci_u32_e32 v61, vcc_lo, v61, v40, vcc_lo
	v_cndmask_b32_e64 v62, 0, v62, s3
	s_delay_alu instid0(VALU_DEP_2) | instskip(NEXT) | instid1(VALU_DEP_2)
	v_cndmask_b32_e64 v61, 0, v61, s3
	v_add_co_u32 v62, vcc_lo, v62, v33
	s_delay_alu instid0(VALU_DEP_2) | instskip(SKIP_1) | instid1(VALU_DEP_2)
	v_add_co_ci_u32_e32 v61, vcc_lo, v61, v34, vcc_lo
	v_cmp_eq_u32_e32 vcc_lo, 0, v101
	v_dual_cndmask_b32 v61, 0, v61 :: v_dual_cndmask_b32 v62, 0, v62
	s_delay_alu instid0(VALU_DEP_1) | instskip(NEXT) | instid1(VALU_DEP_1)
	v_add_co_u32 v62, s0, v62, v35
	v_add_co_ci_u32_e64 v61, s0, v61, v36, s0
	s_delay_alu instid0(VALU_DEP_2) | instskip(NEXT) | instid1(VALU_DEP_2)
	v_cndmask_b32_e64 v62, 0, v62, s1
	v_cndmask_b32_e64 v61, 0, v61, s1
	s_delay_alu instid0(VALU_DEP_2) | instskip(NEXT) | instid1(VALU_DEP_1)
	v_add_co_u32 v62, s0, v62, v29
	v_add_co_ci_u32_e64 v61, s0, v61, v30, s0
	v_cmp_eq_u32_e64 s0, 0, v99
	s_delay_alu instid0(VALU_DEP_1) | instskip(NEXT) | instid1(VALU_DEP_3)
	v_cndmask_b32_e64 v62, 0, v62, s0
	v_cndmask_b32_e64 v61, 0, v61, s0
	s_delay_alu instid0(VALU_DEP_2) | instskip(NEXT) | instid1(VALU_DEP_1)
	v_add_co_u32 v62, s13, v62, v31
	v_add_co_ci_u32_e64 v61, s13, v61, v32, s13
	v_cmp_eq_u32_e64 s13, 0, v104
	s_delay_alu instid0(VALU_DEP_1) | instskip(NEXT) | instid1(VALU_DEP_3)
	v_cndmask_b32_e64 v62, 0, v62, s13
	v_cndmask_b32_e64 v61, 0, v61, s13
	s_delay_alu instid0(VALU_DEP_2) | instskip(NEXT) | instid1(VALU_DEP_1)
	v_add_co_u32 v59, s13, v62, v59
	v_add_co_ci_u32_e64 v60, s13, v61, v60, s13
	v_and_b32_e32 v61, 15, v115
	v_mov_b32_dpp v62, v63 row_shr:1 row_mask:0xf bank_mask:0xf
	s_delay_alu instid0(VALU_DEP_4)
	v_mov_b32_dpp v64, v59 row_shr:1 row_mask:0xf bank_mask:0xf
	s_waitcnt lgkmcnt(0)
	v_mov_b32_dpp v65, v60 row_shr:1 row_mask:0xf bank_mask:0xf
	v_cmpx_ne_u32_e32 0, v61
; %bb.156:
	v_cmp_eq_u32_e64 s13, 0, v63
	v_add_nc_u32_e32 v63, v62, v63
	s_delay_alu instid0(VALU_DEP_2) | instskip(SKIP_1) | instid1(VALU_DEP_2)
	v_cndmask_b32_e64 v64, 0, v64, s13
	v_cndmask_b32_e64 v65, 0, v65, s13
	v_add_co_u32 v59, s13, v64, v59
	s_delay_alu instid0(VALU_DEP_1)
	v_add_co_ci_u32_e64 v60, s13, v65, v60, s13
; %bb.157:
	s_or_b32 exec_lo, exec_lo, s14
	v_mov_b32_dpp v62, v63 row_shr:2 row_mask:0xf bank_mask:0xf
	s_delay_alu instid0(VALU_DEP_3) | instskip(NEXT) | instid1(VALU_DEP_3)
	v_mov_b32_dpp v64, v59 row_shr:2 row_mask:0xf bank_mask:0xf
	v_mov_b32_dpp v65, v60 row_shr:2 row_mask:0xf bank_mask:0xf
	s_mov_b32 s14, exec_lo
	v_cmpx_lt_u32_e32 1, v61
; %bb.158:
	v_cmp_eq_u32_e64 s13, 0, v63
	v_add_nc_u32_e32 v63, v62, v63
	s_delay_alu instid0(VALU_DEP_2) | instskip(SKIP_1) | instid1(VALU_DEP_2)
	v_cndmask_b32_e64 v64, 0, v64, s13
	v_cndmask_b32_e64 v65, 0, v65, s13
	v_add_co_u32 v59, s13, v64, v59
	s_delay_alu instid0(VALU_DEP_1)
	v_add_co_ci_u32_e64 v60, s13, v65, v60, s13
; %bb.159:
	s_or_b32 exec_lo, exec_lo, s14
	v_mov_b32_dpp v62, v63 row_shr:4 row_mask:0xf bank_mask:0xf
	s_delay_alu instid0(VALU_DEP_3) | instskip(NEXT) | instid1(VALU_DEP_3)
	v_mov_b32_dpp v64, v59 row_shr:4 row_mask:0xf bank_mask:0xf
	v_mov_b32_dpp v65, v60 row_shr:4 row_mask:0xf bank_mask:0xf
	s_mov_b32 s14, exec_lo
	v_cmpx_lt_u32_e32 3, v61
	;; [unrolled: 17-line block ×3, first 2 shown]
; %bb.162:
	v_cmp_eq_u32_e64 s13, 0, v63
	v_add_nc_u32_e32 v63, v62, v63
	s_delay_alu instid0(VALU_DEP_2) | instskip(SKIP_1) | instid1(VALU_DEP_2)
	v_cndmask_b32_e64 v64, 0, v64, s13
	v_cndmask_b32_e64 v61, 0, v65, s13
	v_add_co_u32 v59, s13, v64, v59
	s_delay_alu instid0(VALU_DEP_1)
	v_add_co_ci_u32_e64 v60, s13, v61, v60, s13
; %bb.163:
	s_or_b32 exec_lo, exec_lo, s14
	ds_swizzle_b32 v61, v63 offset:swizzle(BROADCAST,32,15)
	ds_swizzle_b32 v62, v59 offset:swizzle(BROADCAST,32,15)
	;; [unrolled: 1-line block ×3, first 2 shown]
	v_and_b32_e32 v65, 16, v115
	s_mov_b32 s14, exec_lo
	s_delay_alu instid0(VALU_DEP_1)
	v_cmpx_ne_u32_e32 0, v65
	s_cbranch_execz .LBB506_165
; %bb.164:
	v_cmp_eq_u32_e64 s13, 0, v63
	s_waitcnt lgkmcnt(2)
	v_add_nc_u32_e32 v63, v61, v63
	s_waitcnt lgkmcnt(1)
	s_delay_alu instid0(VALU_DEP_2) | instskip(SKIP_2) | instid1(VALU_DEP_2)
	v_cndmask_b32_e64 v62, 0, v62, s13
	s_waitcnt lgkmcnt(0)
	v_cndmask_b32_e64 v64, 0, v64, s13
	v_add_co_u32 v59, s13, v62, v59
	s_delay_alu instid0(VALU_DEP_1)
	v_add_co_ci_u32_e64 v60, s13, v64, v60, s13
.LBB506_165:
	s_or_b32 exec_lo, exec_lo, s14
	s_waitcnt lgkmcnt(1)
	v_lshrrev_b32_e32 v62, 5, v0
	v_or_b32_e32 v61, 31, v0
	s_mov_b32 s14, exec_lo
	s_waitcnt lgkmcnt(0)
	s_delay_alu instid0(VALU_DEP_2) | instskip(NEXT) | instid1(VALU_DEP_2)
	v_lshlrev_b32_e32 v64, 4, v62
	v_cmpx_eq_u32_e64 v61, v0
	s_cbranch_execz .LBB506_167
; %bb.166:
	ds_store_b32 v64, v63 offset:4128
	ds_store_b64 v64, v[59:60] offset:4136
.LBB506_167:
	s_or_b32 exec_lo, exec_lo, s14
	s_delay_alu instid0(SALU_CYCLE_1)
	s_mov_b32 s14, exec_lo
	s_waitcnt vmcnt(0) lgkmcnt(0)
	s_barrier
	buffer_gl0_inv
	v_cmpx_gt_u32_e32 8, v0
	s_cbranch_execz .LBB506_175
; %bb.168:
	v_lshlrev_b32_e32 v65, 4, v0
	v_and_b32_e32 v67, 7, v115
	s_mov_b32 s16, exec_lo
	ds_load_b32 v66, v65 offset:4128
	ds_load_b64 v[61:62], v65 offset:4136
	s_waitcnt lgkmcnt(1)
	v_mov_b32_dpp v68, v66 row_shr:1 row_mask:0xf bank_mask:0xf
	s_waitcnt lgkmcnt(0)
	v_mov_b32_dpp v69, v61 row_shr:1 row_mask:0xf bank_mask:0xf
	v_mov_b32_dpp v70, v62 row_shr:1 row_mask:0xf bank_mask:0xf
	v_cmpx_ne_u32_e32 0, v67
; %bb.169:
	v_cmp_eq_u32_e64 s13, 0, v66
	v_add_nc_u32_e32 v66, v68, v66
	s_delay_alu instid0(VALU_DEP_2) | instskip(SKIP_1) | instid1(VALU_DEP_2)
	v_cndmask_b32_e64 v69, 0, v69, s13
	v_cndmask_b32_e64 v70, 0, v70, s13
	v_add_co_u32 v61, s13, v69, v61
	s_delay_alu instid0(VALU_DEP_1)
	v_add_co_ci_u32_e64 v62, s13, v70, v62, s13
; %bb.170:
	s_or_b32 exec_lo, exec_lo, s16
	v_mov_b32_dpp v68, v66 row_shr:2 row_mask:0xf bank_mask:0xf
	s_delay_alu instid0(VALU_DEP_3) | instskip(NEXT) | instid1(VALU_DEP_3)
	v_mov_b32_dpp v69, v61 row_shr:2 row_mask:0xf bank_mask:0xf
	v_mov_b32_dpp v70, v62 row_shr:2 row_mask:0xf bank_mask:0xf
	s_mov_b32 s16, exec_lo
	v_cmpx_lt_u32_e32 1, v67
; %bb.171:
	v_cmp_eq_u32_e64 s13, 0, v66
	v_add_nc_u32_e32 v66, v68, v66
	s_delay_alu instid0(VALU_DEP_2) | instskip(SKIP_1) | instid1(VALU_DEP_2)
	v_cndmask_b32_e64 v69, 0, v69, s13
	v_cndmask_b32_e64 v70, 0, v70, s13
	v_add_co_u32 v61, s13, v69, v61
	s_delay_alu instid0(VALU_DEP_1)
	v_add_co_ci_u32_e64 v62, s13, v70, v62, s13
; %bb.172:
	s_or_b32 exec_lo, exec_lo, s16
	v_mov_b32_dpp v68, v66 row_shr:4 row_mask:0xf bank_mask:0xf
	s_delay_alu instid0(VALU_DEP_3) | instskip(NEXT) | instid1(VALU_DEP_3)
	v_mov_b32_dpp v69, v61 row_shr:4 row_mask:0xf bank_mask:0xf
	v_mov_b32_dpp v70, v62 row_shr:4 row_mask:0xf bank_mask:0xf
	s_mov_b32 s16, exec_lo
	v_cmpx_lt_u32_e32 3, v67
; %bb.173:
	v_cmp_eq_u32_e64 s13, 0, v66
	v_add_nc_u32_e32 v66, v68, v66
	s_delay_alu instid0(VALU_DEP_2) | instskip(SKIP_1) | instid1(VALU_DEP_2)
	v_cndmask_b32_e64 v69, 0, v69, s13
	v_cndmask_b32_e64 v67, 0, v70, s13
	v_add_co_u32 v61, s13, v69, v61
	s_delay_alu instid0(VALU_DEP_1)
	v_add_co_ci_u32_e64 v62, s13, v67, v62, s13
; %bb.174:
	s_or_b32 exec_lo, exec_lo, s16
	ds_store_b32 v65, v66 offset:4128
	ds_store_b64 v65, v[61:62] offset:4136
.LBB506_175:
	s_or_b32 exec_lo, exec_lo, s14
	v_dual_mov_b32 v65, 0 :: v_dual_mov_b32 v66, 0
	v_dual_mov_b32 v61, v95 :: v_dual_mov_b32 v62, v96
	s_mov_b32 s14, exec_lo
	s_waitcnt lgkmcnt(0)
	s_barrier
	buffer_gl0_inv
	v_cmpx_lt_u32_e32 31, v0
	s_cbranch_execz .LBB506_177
; %bb.176:
	ds_load_b32 v66, v64 offset:4112
	ds_load_b64 v[61:62], v64 offset:4120
	s_waitcnt lgkmcnt(1)
	v_cmp_eq_u32_e64 s13, 0, v66
	s_delay_alu instid0(VALU_DEP_1) | instskip(SKIP_2) | instid1(VALU_DEP_2)
	v_cndmask_b32_e64 v67, 0, v95, s13
	v_cndmask_b32_e64 v64, 0, v96, s13
	s_waitcnt lgkmcnt(0)
	v_add_co_u32 v61, s13, v67, v61
	s_delay_alu instid0(VALU_DEP_1)
	v_add_co_ci_u32_e64 v62, s13, v64, v62, s13
.LBB506_177:
	s_or_b32 exec_lo, exec_lo, s14
	v_add_nc_u32_e32 v64, -1, v115
	v_cmp_eq_u32_e64 s13, 0, v63
	v_add_nc_u32_e32 v63, v66, v63
	s_delay_alu instid0(VALU_DEP_3) | instskip(NEXT) | instid1(VALU_DEP_3)
	v_cmp_gt_i32_e64 s14, 0, v64
	v_cndmask_b32_e64 v68, 0, v61, s13
	v_cndmask_b32_e64 v67, 0, v62, s13
	s_delay_alu instid0(VALU_DEP_3) | instskip(NEXT) | instid1(VALU_DEP_3)
	v_cndmask_b32_e64 v64, v64, v115, s14
	v_add_co_u32 v59, s13, v68, v59
	s_delay_alu instid0(VALU_DEP_1) | instskip(NEXT) | instid1(VALU_DEP_3)
	v_add_co_ci_u32_e64 v60, s13, v67, v60, s13
	v_lshlrev_b32_e32 v64, 2, v64
	v_cmp_eq_u32_e64 s13, 0, v115
	ds_bpermute_b32 v59, v64, v59
	ds_bpermute_b32 v60, v64, v60
	;; [unrolled: 1-line block ×3, first 2 shown]
	s_waitcnt lgkmcnt(2)
	v_cndmask_b32_e64 v79, v59, v61, s13
	s_waitcnt lgkmcnt(1)
	v_cndmask_b32_e64 v80, v60, v62, s13
	;; [unrolled: 2-line block ×3, first 2 shown]
	v_cmp_eq_u32_e64 s13, 0, v113
	ds_load_b32 v61, v65 offset:4240
	v_cndmask_b32_e64 v59, v79, v95, s2
	v_cndmask_b32_e64 v60, v80, v96, s2
	s_delay_alu instid0(VALU_DEP_2) | instskip(NEXT) | instid1(VALU_DEP_2)
	v_cndmask_b32_e64 v59, 0, v59, s13
	v_cndmask_b32_e64 v60, 0, v60, s13
	s_delay_alu instid0(VALU_DEP_2) | instskip(NEXT) | instid1(VALU_DEP_1)
	v_add_co_u32 v75, s13, v59, v53
	v_add_co_ci_u32_e64 v76, s13, v60, v54, s13
	s_delay_alu instid0(VALU_DEP_2) | instskip(NEXT) | instid1(VALU_DEP_2)
	v_cndmask_b32_e64 v53, 0, v75, s12
	v_cndmask_b32_e64 v54, 0, v76, s12
	s_delay_alu instid0(VALU_DEP_2) | instskip(NEXT) | instid1(VALU_DEP_1)
	v_add_co_u32 v81, s12, v53, v55
	v_add_co_ci_u32_e64 v82, s12, v54, v56, s12
	;; [unrolled: 6-line block ×11, first 2 shown]
	ds_load_b64 v[33:34], v65 offset:4248
	v_dual_cndmask_b32 v37, 0, v89 :: v_dual_cndmask_b32 v38, 0, v90
	s_delay_alu instid0(VALU_DEP_1) | instskip(NEXT) | instid1(VALU_DEP_2)
	v_add_co_u32 v91, vcc_lo, v37, v35
	v_add_co_ci_u32_e32 v92, vcc_lo, v38, v36, vcc_lo
	s_waitcnt lgkmcnt(1)
	v_cmp_eq_u32_e32 vcc_lo, 0, v61
	s_delay_alu instid0(VALU_DEP_3) | instskip(NEXT) | instid1(VALU_DEP_3)
	v_cndmask_b32_e64 v35, 0, v91, s1
	v_cndmask_b32_e64 v36, 0, v92, s1
	s_delay_alu instid0(VALU_DEP_2) | instskip(NEXT) | instid1(VALU_DEP_1)
	v_add_co_u32 v93, s1, v35, v29
	v_add_co_ci_u32_e64 v94, s1, v36, v30, s1
	v_dual_cndmask_b32 v29, 0, v96 :: v_dual_cndmask_b32 v30, 0, v95
	s_delay_alu instid0(VALU_DEP_3) | instskip(NEXT) | instid1(VALU_DEP_3)
	v_cndmask_b32_e64 v97, 0, v93, s0
	v_cndmask_b32_e64 v98, 0, v94, s0
	s_waitcnt lgkmcnt(0)
	s_delay_alu instid0(VALU_DEP_3)
	v_add_co_u32 v63, vcc_lo, v30, v33
	v_add_co_ci_u32_e32 v64, vcc_lo, v29, v34, vcc_lo
	s_and_saveexec_b32 s0, s2
	s_cbranch_execz .LBB506_179
; %bb.178:
	v_dual_mov_b32 v114, 0 :: v_dual_mov_b32 v29, 2
	v_dual_mov_b32 v79, v95 :: v_dual_mov_b32 v80, v96
	s_clause 0x1
	global_store_b32 v114, v61, s[38:39] offset:512
	global_store_b64 v114, v[63:64], s[38:39] offset:520
	s_waitcnt_vscnt null, 0x0
	buffer_gl1_inv
	buffer_gl0_inv
	global_store_b8 v114, v29, s[40:41] offset:32
.LBB506_179:
	s_or_b32 exec_lo, exec_lo, s0
	v_mov_b32_e32 v65, 0
.LBB506_180:
	v_mov_b32_e32 v29, 0
	s_and_b32 s0, s15, exec_lo
	v_mov_b32_e32 v30, 0
	s_cselect_b32 s1, 0, s51
	s_cselect_b32 s0, 0, s50
	s_waitcnt lgkmcnt(0)
	s_waitcnt_vscnt null, 0x0
	s_cmp_eq_u64 s[0:1], 0
	s_barrier
	buffer_gl0_inv
	s_cbranch_scc1 .LBB506_182
; %bb.181:
	v_mov_b32_e32 v29, 0
	global_load_b64 v[29:30], v29, s[0:1]
.LBB506_182:
	v_cmp_eq_u32_e32 vcc_lo, 0, v113
	v_add_nc_u32_e32 v48, v114, v113
	v_cmp_ne_u32_e64 s13, 0, v113
	v_cmp_ne_u32_e64 s12, 0, v112
	;; [unrolled: 1-line block ×3, first 2 shown]
	v_cndmask_b32_e64 v33, 1, 2, vcc_lo
	v_cmp_eq_u32_e32 vcc_lo, 0, v112
	v_add_nc_u32_e32 v50, v48, v112
	v_cmp_ne_u32_e64 s9, 0, v110
	v_cmp_ne_u32_e64 s15, 0, v109
	;; [unrolled: 1-line block ×3, first 2 shown]
	v_cndmask_b32_e64 v34, 1, 2, vcc_lo
	v_cmp_eq_u32_e32 vcc_lo, 0, v111
	v_add_nc_u32_e32 v49, v50, v111
	v_cmp_ne_u32_e64 s11, 0, v107
	s_delay_alu instid0(VALU_DEP_4)
	v_dual_mov_b32 v66, 0 :: v_dual_and_b32 v33, v34, v33
	v_cndmask_b32_e64 v35, 1, 2, vcc_lo
	v_cmp_eq_u32_e32 vcc_lo, 0, v110
	v_add_nc_u32_e32 v47, v49, v110
	v_cmp_ne_u32_e64 s8, 0, v106
	v_cmp_ne_u32_e64 s7, 0, v105
	v_and_b32_e32 v35, v33, v35
	v_cndmask_b32_e64 v36, 1, 2, vcc_lo
	v_cmp_eq_u32_e32 vcc_lo, 0, v109
	v_add_nc_u32_e32 v46, v47, v109
	s_waitcnt vmcnt(0)
	v_lshlrev_b64 v[33:34], 3, v[29:30]
	v_cmp_ne_u32_e64 s6, 0, v103
	v_and_b32_e32 v35, v35, v36
	v_cndmask_b32_e64 v37, 1, 2, vcc_lo
	v_cmp_eq_u32_e32 vcc_lo, 0, v108
	v_add_nc_u32_e32 v45, v46, v108
	v_cmp_ne_u32_e64 s5, 0, v102
	v_cmp_ne_u32_e64 s4, 0, v101
	v_and_b32_e32 v35, v35, v37
	v_cndmask_b32_e64 v36, 1, 2, vcc_lo
	v_cmp_eq_u32_e32 vcc_lo, 0, v107
	v_add_nc_u32_e32 v44, v45, v107
	v_cmp_ne_u32_e64 s3, 0, v100
	;; [unrolled: 6-line block ×3, first 2 shown]
	s_delay_alu instid0(VALU_DEP_4) | instskip(SKIP_3) | instid1(VALU_DEP_3)
	v_and_b32_e32 v35, v35, v37
	v_cndmask_b32_e64 v36, 1, 2, vcc_lo
	v_cmp_eq_u32_e32 vcc_lo, 0, v105
	v_add_nc_u32_e32 v42, v43, v105
	v_and_b32_e32 v35, v35, v36
	v_cndmask_b32_e64 v37, 1, 2, vcc_lo
	v_cmp_eq_u32_e32 vcc_lo, 0, v103
	s_delay_alu instid0(VALU_DEP_4) | instskip(NEXT) | instid1(VALU_DEP_3)
	v_add_nc_u32_e32 v41, v42, v103
	v_and_b32_e32 v35, v35, v37
	v_cndmask_b32_e64 v36, 1, 2, vcc_lo
	v_cmp_eq_u32_e32 vcc_lo, 0, v102
	s_delay_alu instid0(VALU_DEP_4) | instskip(NEXT) | instid1(VALU_DEP_3)
	v_add_nc_u32_e32 v40, v41, v102
	v_and_b32_e32 v39, v35, v36
	v_cndmask_b32_e64 v37, 1, 2, vcc_lo
	v_cmp_eq_u32_e32 vcc_lo, 0, v101
	v_lshlrev_b64 v[35:36], 3, v[65:66]
	s_delay_alu instid0(VALU_DEP_3) | instskip(SKIP_3) | instid1(VALU_DEP_3)
	v_and_b32_e32 v37, v39, v37
	v_cndmask_b32_e64 v38, 1, 2, vcc_lo
	v_cmp_eq_u32_e32 vcc_lo, 0, v100
	v_add_nc_u32_e32 v39, v40, v101
	v_and_b32_e32 v54, v37, v38
	v_cndmask_b32_e64 v53, 1, 2, vcc_lo
	v_add_co_u32 v51, vcc_lo, s18, v33
	v_add_co_ci_u32_e32 v52, vcc_lo, s19, v34, vcc_lo
	s_delay_alu instid0(VALU_DEP_3) | instskip(NEXT) | instid1(VALU_DEP_3)
	v_and_b32_e32 v53, v54, v53
	v_add_co_u32 v51, vcc_lo, v51, v35
	s_delay_alu instid0(VALU_DEP_3)
	v_add_co_ci_u32_e32 v52, vcc_lo, v52, v36, vcc_lo
	v_cmp_eq_u32_e32 vcc_lo, 0, v99
	v_add_nc_u32_e32 v38, v39, v100
	s_mov_b32 s18, -1
	v_cndmask_b32_e64 v54, 1, 2, vcc_lo
	v_cmp_eq_u32_e32 vcc_lo, 0, v104
	s_delay_alu instid0(VALU_DEP_3) | instskip(NEXT) | instid1(VALU_DEP_3)
	v_add_nc_u32_e32 v37, v38, v99
	v_and_b32_e32 v53, v53, v54
	v_cndmask_b32_e64 v54, 1, 2, vcc_lo
	v_cmp_gt_u32_e32 vcc_lo, 0x100, v61
	s_delay_alu instid0(VALU_DEP_2) | instskip(NEXT) | instid1(VALU_DEP_1)
	v_and_b32_e32 v53, v53, v54
	v_cmp_gt_i16_e64 s16, 2, v53
	s_cbranch_vccz .LBB506_189
; %bb.183:
	s_delay_alu instid0(VALU_DEP_1)
	s_and_saveexec_b32 s18, s16
	s_cbranch_execz .LBB506_188
; %bb.184:
	s_mov_b32 s19, 0
	s_mov_b32 s16, exec_lo
	v_cmpx_ne_u16_e32 1, v53
	s_xor_b32 s16, exec_lo, s16
	s_cbranch_execnz .LBB506_221
; %bb.185:
	s_and_not1_saveexec_b32 s16, s16
	s_cbranch_execnz .LBB506_237
.LBB506_186:
	s_or_b32 exec_lo, exec_lo, s16
	s_delay_alu instid0(SALU_CYCLE_1)
	s_and_b32 exec_lo, exec_lo, s19
	s_cbranch_execz .LBB506_188
.LBB506_187:
	v_sub_nc_u32_e32 v54, v37, v65
	v_mov_b32_e32 v55, 0
	s_delay_alu instid0(VALU_DEP_1) | instskip(NEXT) | instid1(VALU_DEP_1)
	v_lshlrev_b64 v[54:55], 3, v[54:55]
	v_add_co_u32 v54, vcc_lo, v51, v54
	s_delay_alu instid0(VALU_DEP_2)
	v_add_co_ci_u32_e32 v55, vcc_lo, v52, v55, vcc_lo
	global_store_b64 v[54:55], v[57:58], off
.LBB506_188:
	s_or_b32 exec_lo, exec_lo, s18
	s_mov_b32 s18, 0
.LBB506_189:
	s_delay_alu instid0(SALU_CYCLE_1)
	s_and_b32 vcc_lo, exec_lo, s18
	s_cbranch_vccz .LBB506_199
; %bb.190:
	s_mov_b32 s16, exec_lo
	v_cmpx_gt_i16_e32 2, v53
	s_cbranch_execz .LBB506_195
; %bb.191:
	s_mov_b32 s19, 0
	s_mov_b32 s18, exec_lo
	v_cmpx_ne_u16_e32 1, v53
	s_xor_b32 s18, exec_lo, s18
	s_cbranch_execnz .LBB506_238
; %bb.192:
	s_and_not1_saveexec_b32 s0, s18
	s_cbranch_execnz .LBB506_254
.LBB506_193:
	s_or_b32 exec_lo, exec_lo, s0
	s_delay_alu instid0(SALU_CYCLE_1)
	s_and_b32 exec_lo, exec_lo, s19
	s_cbranch_execz .LBB506_195
.LBB506_194:
	v_sub_nc_u32_e32 v1, v37, v65
	s_delay_alu instid0(VALU_DEP_1)
	v_lshlrev_b32_e32 v1, 3, v1
	ds_store_b64 v1, v[57:58]
.LBB506_195:
	s_or_b32 exec_lo, exec_lo, s16
	s_delay_alu instid0(SALU_CYCLE_1)
	s_mov_b32 s1, exec_lo
	s_waitcnt lgkmcnt(0)
	s_waitcnt_vscnt null, 0x0
	s_barrier
	buffer_gl0_inv
	v_cmpx_lt_u32_e64 v0, v61
	s_cbranch_execz .LBB506_198
; %bb.196:
	v_dual_mov_b32 v2, 0 :: v_dual_lshlrev_b32 v3, 3, v0
	v_mov_b32_e32 v1, v0
	s_mov_b32 s3, 0
	.p2align	6
.LBB506_197:                            ; =>This Inner Loop Header: Depth=1
	ds_load_b64 v[4:5], v3
	v_lshlrev_b64 v[6:7], 3, v[1:2]
	v_add_nc_u32_e32 v1, 0x100, v1
	v_add_nc_u32_e32 v3, 0x800, v3
	s_delay_alu instid0(VALU_DEP_2) | instskip(NEXT) | instid1(VALU_DEP_4)
	v_cmp_ge_u32_e32 vcc_lo, v1, v61
	v_add_co_u32 v6, s0, v51, v6
	s_delay_alu instid0(VALU_DEP_1)
	v_add_co_ci_u32_e64 v7, s0, v52, v7, s0
	s_or_b32 s3, vcc_lo, s3
	s_waitcnt lgkmcnt(0)
	global_store_b64 v[6:7], v[4:5], off
	s_and_not1_b32 exec_lo, exec_lo, s3
	s_cbranch_execnz .LBB506_197
.LBB506_198:
	s_or_b32 exec_lo, exec_lo, s1
.LBB506_199:
	s_cmpk_lg_i32 s28, 0xf00
	v_cndmask_b32_e64 v8, 0, 1, s29
	s_cselect_b32 s0, -1, 0
	v_mad_i32_i24 v5, v0, -15, s28
	s_and_b32 s0, s0, s17
	v_add_co_u32 v1, vcc_lo, v97, v31
	v_cndmask_b32_e64 v4, 0, 1, s0
	s_mul_hi_u32 s0, s28, 0x88888889
	s_and_b32 s1, s2, s29
	s_lshr_b32 s0, s0, 3
	v_add_co_ci_u32_e32 v2, vcc_lo, v98, v32, vcc_lo
	v_sub_nc_u32_e32 v3, v61, v8
	v_cndmask_b32_e64 v6, v113, 0, s1
	v_cmp_eq_u32_e32 vcc_lo, s0, v0
	v_cmp_ne_u32_e64 s0, 0, v5
	s_mov_b32 s16, -1
	s_waitcnt_vscnt null, 0x0
	s_barrier
	s_and_b32 vcc_lo, vcc_lo, s17
	v_add_nc_u32_e32 v3, v3, v4
	v_cndmask_b32_e64 v4, 1, v6, s0
	v_cmp_ne_u32_e64 s0, 1, v5
	buffer_gl0_inv
	v_cndmask_b32_e64 v7, 1, v112, s0
	v_cmp_ne_u32_e64 s0, 14, v5
	s_delay_alu instid0(VALU_DEP_1) | instskip(SKIP_1) | instid1(VALU_DEP_2)
	v_cndmask_b32_e64 v9, 1, v104, s0
	v_cmp_ne_u32_e64 s0, 2, v5
	v_cndmask_b32_e32 v12, v104, v9, vcc_lo
	s_delay_alu instid0(VALU_DEP_2) | instskip(SKIP_1) | instid1(VALU_DEP_2)
	v_cndmask_b32_e64 v10, 1, v111, s0
	v_cmp_ne_u32_e64 s0, 3, v5
	v_dual_cndmask_b32 v9, v6, v4 :: v_dual_cndmask_b32 v10, v111, v10
	s_delay_alu instid0(VALU_DEP_2) | instskip(SKIP_1) | instid1(VALU_DEP_3)
	v_cndmask_b32_e64 v11, 1, v110, s0
	v_cmp_ne_u32_e64 s0, 4, v5
	v_cmp_ne_u32_e64 s14, 0, v9
	s_delay_alu instid0(VALU_DEP_4) | instskip(NEXT) | instid1(VALU_DEP_3)
	v_cmp_ne_u32_e64 s12, 0, v10
	v_cndmask_b32_e64 v4, 1, v109, s0
	v_cmp_ne_u32_e64 s0, 5, v5
	s_delay_alu instid0(VALU_DEP_2) | instskip(NEXT) | instid1(VALU_DEP_2)
	v_dual_cndmask_b32 v13, v112, v7 :: v_dual_cndmask_b32 v18, v109, v4
	v_cndmask_b32_e64 v6, 1, v108, s0
	v_cmp_eq_u32_e64 s0, 0, v9
	s_delay_alu instid0(VALU_DEP_3) | instskip(NEXT) | instid1(VALU_DEP_4)
	v_cmp_ne_u32_e64 s13, 0, v13
	v_cmp_ne_u32_e64 s10, 0, v18
	s_delay_alu instid0(VALU_DEP_4) | instskip(NEXT) | instid1(VALU_DEP_4)
	v_cndmask_b32_e32 v19, v108, v6, vcc_lo
	v_cndmask_b32_e64 v7, 1, 2, s0
	v_cmp_eq_u32_e64 s0, 0, v13
	s_delay_alu instid0(VALU_DEP_1) | instskip(SKIP_1) | instid1(VALU_DEP_2)
	v_cndmask_b32_e64 v14, 1, 2, s0
	v_cmp_ne_u32_e64 s0, 6, v5
	v_and_b32_e32 v7, v14, v7
	s_delay_alu instid0(VALU_DEP_2) | instskip(SKIP_1) | instid1(VALU_DEP_2)
	v_cndmask_b32_e64 v15, 1, v107, s0
	v_cmp_eq_u32_e64 s0, 0, v10
	v_cndmask_b32_e32 v15, v107, v15, vcc_lo
	s_delay_alu instid0(VALU_DEP_2) | instskip(SKIP_1) | instid1(VALU_DEP_1)
	v_cndmask_b32_e64 v14, 1, 2, s0
	v_cmp_ne_u32_e64 s0, 7, v5
	v_cndmask_b32_e64 v16, 1, v106, s0
	v_cmp_ne_u32_e64 s0, 8, v5
	s_delay_alu instid0(VALU_DEP_2) | instskip(SKIP_1) | instid1(VALU_DEP_3)
	v_dual_cndmask_b32 v16, v106, v16 :: v_dual_and_b32 v7, v7, v14
	v_cndmask_b32_e32 v11, v110, v11, vcc_lo
	v_cndmask_b32_e64 v17, 1, v105, s0
	s_delay_alu instid0(VALU_DEP_3) | instskip(NEXT) | instid1(VALU_DEP_3)
	v_cmp_ne_u32_e64 s7, 0, v16
	v_cmp_eq_u32_e64 s0, 0, v11
	s_delay_alu instid0(VALU_DEP_3) | instskip(NEXT) | instid1(VALU_DEP_2)
	v_cndmask_b32_e32 v17, v105, v17, vcc_lo
	v_cndmask_b32_e64 v14, 1, 2, s0
	v_cmp_ne_u32_e64 s0, 9, v5
	s_delay_alu instid0(VALU_DEP_3) | instskip(NEXT) | instid1(VALU_DEP_3)
	v_cmp_ne_u32_e64 s6, 0, v17
	v_and_b32_e32 v6, v7, v14
	s_delay_alu instid0(VALU_DEP_3) | instskip(SKIP_2) | instid1(VALU_DEP_3)
	v_cndmask_b32_e64 v4, 1, v103, s0
	v_cmp_eq_u32_e64 s0, 0, v18
	v_cmp_ne_u32_e64 s11, 0, v11
	v_cndmask_b32_e32 v23, v103, v4, vcc_lo
	s_delay_alu instid0(VALU_DEP_3) | instskip(SKIP_1) | instid1(VALU_DEP_3)
	v_cndmask_b32_e64 v7, 1, 2, s0
	v_cmp_ne_u32_e64 s0, 10, v5
	v_cmp_ne_u32_e64 s5, 0, v23
	s_delay_alu instid0(VALU_DEP_3) | instskip(NEXT) | instid1(VALU_DEP_3)
	v_and_b32_e32 v6, v6, v7
	v_cndmask_b32_e64 v14, 1, v102, s0
	v_cmp_ne_u32_e64 s0, 12, v5
	v_cmp_ne_u32_e64 s9, 0, v19
	s_delay_alu instid0(VALU_DEP_3) | instskip(NEXT) | instid1(VALU_DEP_3)
	v_cndmask_b32_e32 v14, v102, v14, vcc_lo
	v_cndmask_b32_e64 v20, 1, v100, s0
	v_cmp_eq_u32_e64 s0, 0, v19
	s_delay_alu instid0(VALU_DEP_3) | instskip(NEXT) | instid1(VALU_DEP_3)
	v_cmp_ne_u32_e64 s4, 0, v14
	v_cndmask_b32_e32 v20, v100, v20, vcc_lo
	s_delay_alu instid0(VALU_DEP_3) | instskip(SKIP_1) | instid1(VALU_DEP_3)
	v_cndmask_b32_e64 v7, 1, 2, s0
	v_cmp_ne_u32_e64 s0, 13, v5
	v_cmp_ne_u32_e64 s2, 0, v20
	s_delay_alu instid0(VALU_DEP_2) | instskip(SKIP_1) | instid1(VALU_DEP_2)
	v_cndmask_b32_e64 v21, 1, v99, s0
	v_cmp_eq_u32_e64 s0, 0, v15
	v_dual_cndmask_b32 v21, v99, v21 :: v_dual_and_b32 v6, v6, v7
	s_delay_alu instid0(VALU_DEP_2) | instskip(SKIP_1) | instid1(VALU_DEP_3)
	v_cndmask_b32_e64 v7, 1, 2, s0
	v_cmp_ne_u32_e64 s0, 11, v5
	v_cmp_ne_u32_e64 s1, 0, v21
	s_delay_alu instid0(VALU_DEP_3) | instskip(NEXT) | instid1(VALU_DEP_3)
	v_and_b32_e32 v6, v6, v7
	v_cndmask_b32_e64 v5, 1, v101, s0
	v_cmp_eq_u32_e64 s0, 0, v16
	s_delay_alu instid0(VALU_DEP_2) | instskip(NEXT) | instid1(VALU_DEP_2)
	v_cndmask_b32_e32 v22, v101, v5, vcc_lo
	v_cndmask_b32_e64 v7, 1, 2, s0
	v_cmp_eq_u32_e32 vcc_lo, 0, v17
	v_cmp_ne_u32_e64 s8, 0, v15
	v_cmp_ne_u32_e64 s0, 0, v12
	;; [unrolled: 1-line block ×3, first 2 shown]
	v_and_b32_e32 v4, v6, v7
	v_cndmask_b32_e64 v5, 1, 2, vcc_lo
	v_add_co_u32 v6, vcc_lo, s20, v33
	v_add_co_ci_u32_e32 v7, vcc_lo, s21, v34, vcc_lo
	v_cmp_eq_u32_e32 vcc_lo, 0, v23
	s_delay_alu instid0(VALU_DEP_4)
	v_and_b32_e32 v24, v4, v5
	v_cndmask_b32_e64 v25, 1, 2, vcc_lo
	v_add_co_u32 v4, vcc_lo, v6, v35
	v_add_co_ci_u32_e32 v5, vcc_lo, v7, v36, vcc_lo
	v_lshlrev_b32_e32 v6, 3, v8
	v_cmp_eq_u32_e32 vcc_lo, 0, v14
	v_and_b32_e32 v7, v24, v25
	v_add_nc_u32_e32 v8, v65, v8
	v_cndmask_b32_e64 v24, 1, 2, vcc_lo
	v_add_co_u32 v6, vcc_lo, v6, v4
	v_add_co_ci_u32_e32 v25, vcc_lo, 0, v5, vcc_lo
	v_cmp_eq_u32_e32 vcc_lo, 0, v22
	s_delay_alu instid0(VALU_DEP_4) | instskip(SKIP_4) | instid1(VALU_DEP_4)
	v_and_b32_e32 v24, v7, v24
	v_cndmask_b32_e64 v26, 1, 2, vcc_lo
	v_add_co_u32 v6, vcc_lo, v6, -8
	v_add_co_ci_u32_e32 v7, vcc_lo, -1, v25, vcc_lo
	v_cmp_eq_u32_e32 vcc_lo, 0, v20
	v_and_b32_e32 v24, v24, v26
	v_cndmask_b32_e64 v25, 1, 2, vcc_lo
	v_cmp_eq_u32_e32 vcc_lo, 0, v21
	s_delay_alu instid0(VALU_DEP_2) | instskip(SKIP_2) | instid1(VALU_DEP_2)
	v_and_b32_e32 v9, v24, v25
	v_cndmask_b32_e64 v10, 1, 2, vcc_lo
	v_cmp_eq_u32_e32 vcc_lo, 0, v12
	v_and_b32_e32 v9, v9, v10
	v_cndmask_b32_e64 v10, 1, 2, vcc_lo
	v_cmp_gt_u32_e32 vcc_lo, 0x100, v3
	s_delay_alu instid0(VALU_DEP_2) | instskip(NEXT) | instid1(VALU_DEP_1)
	v_and_b32_e32 v9, v9, v10
	v_cmp_gt_i16_e64 s15, 2, v9
	s_cbranch_vccnz .LBB506_203
; %bb.200:
	s_and_b32 vcc_lo, exec_lo, s16
	s_cbranch_vccnz .LBB506_209
.LBB506_201:
	v_cmp_eq_u32_e32 vcc_lo, 0xff, v0
	s_and_b32 s0, vcc_lo, s17
	s_delay_alu instid0(SALU_CYCLE_1)
	s_and_saveexec_b32 s1, s0
	s_cbranch_execnz .LBB506_218
.LBB506_202:
	s_nop 0
	s_sendmsg sendmsg(MSG_DEALLOC_VGPRS)
	s_endpgm
.LBB506_203:
	s_delay_alu instid0(VALU_DEP_1)
	s_and_saveexec_b32 s16, s15
	s_cbranch_execz .LBB506_208
; %bb.204:
	s_mov_b32 s18, 0
	s_mov_b32 s15, exec_lo
	v_cmpx_ne_u16_e32 1, v9
	s_xor_b32 s15, exec_lo, s15
	s_cbranch_execnz .LBB506_255
; %bb.205:
	s_and_not1_saveexec_b32 s15, s15
	s_cbranch_execnz .LBB506_271
.LBB506_206:
	s_or_b32 exec_lo, exec_lo, s15
	s_delay_alu instid0(SALU_CYCLE_1)
	s_and_b32 exec_lo, exec_lo, s18
	s_cbranch_execz .LBB506_208
.LBB506_207:
	v_sub_nc_u32_e32 v10, v37, v8
	v_mov_b32_e32 v11, 0
	s_delay_alu instid0(VALU_DEP_1) | instskip(NEXT) | instid1(VALU_DEP_1)
	v_lshlrev_b64 v[10:11], 3, v[10:11]
	v_add_co_u32 v10, vcc_lo, v6, v10
	s_delay_alu instid0(VALU_DEP_2)
	v_add_co_ci_u32_e32 v11, vcc_lo, v7, v11, vcc_lo
	global_store_b64 v[10:11], v[1:2], off
.LBB506_208:
	s_or_b32 exec_lo, exec_lo, s16
	s_branch .LBB506_201
.LBB506_209:
	s_mov_b32 s15, exec_lo
	v_cmpx_gt_i16_e32 2, v9
	s_cbranch_execz .LBB506_214
; %bb.210:
	s_mov_b32 s18, 0
	s_mov_b32 s16, exec_lo
	v_cmpx_ne_u16_e32 1, v9
	s_xor_b32 s16, exec_lo, s16
	s_cbranch_execnz .LBB506_272
; %bb.211:
	s_and_not1_saveexec_b32 s0, s16
	s_cbranch_execnz .LBB506_288
.LBB506_212:
	s_or_b32 exec_lo, exec_lo, s0
	s_delay_alu instid0(SALU_CYCLE_1)
	s_and_b32 exec_lo, exec_lo, s18
	s_cbranch_execz .LBB506_214
.LBB506_213:
	v_sub_nc_u32_e32 v8, v37, v8
	s_delay_alu instid0(VALU_DEP_1)
	v_lshlrev_b32_e32 v8, 3, v8
	ds_store_b64 v8, v[1:2]
.LBB506_214:
	s_or_b32 exec_lo, exec_lo, s15
	s_delay_alu instid0(SALU_CYCLE_1)
	s_mov_b32 s1, exec_lo
	s_waitcnt lgkmcnt(0)
	s_waitcnt_vscnt null, 0x0
	s_barrier
	buffer_gl0_inv
	v_cmpx_lt_u32_e64 v0, v3
	s_cbranch_execz .LBB506_217
; %bb.215:
	v_dual_mov_b32 v1, v0 :: v_dual_lshlrev_b32 v8, 3, v0
	v_mov_b32_e32 v2, 0
	s_mov_b32 s2, 0
	.p2align	6
.LBB506_216:                            ; =>This Inner Loop Header: Depth=1
	ds_load_b64 v[9:10], v8
	v_lshlrev_b64 v[11:12], 3, v[1:2]
	v_add_nc_u32_e32 v1, 0x100, v1
	v_add_nc_u32_e32 v8, 0x800, v8
	s_delay_alu instid0(VALU_DEP_2) | instskip(NEXT) | instid1(VALU_DEP_4)
	v_cmp_ge_u32_e32 vcc_lo, v1, v3
	v_add_co_u32 v11, s0, v6, v11
	s_delay_alu instid0(VALU_DEP_1)
	v_add_co_ci_u32_e64 v12, s0, v7, v12, s0
	s_or_b32 s2, vcc_lo, s2
	s_waitcnt lgkmcnt(0)
	global_store_b64 v[11:12], v[9:10], off
	s_and_not1_b32 exec_lo, exec_lo, s2
	s_cbranch_execnz .LBB506_216
.LBB506_217:
	s_or_b32 exec_lo, exec_lo, s1
	v_cmp_eq_u32_e32 vcc_lo, 0xff, v0
	s_and_b32 s0, vcc_lo, s17
	s_delay_alu instid0(SALU_CYCLE_1)
	s_and_saveexec_b32 s1, s0
	s_cbranch_execz .LBB506_202
.LBB506_218:
	v_add_co_u32 v0, s0, v61, v65
	s_delay_alu instid0(VALU_DEP_1) | instskip(SKIP_1) | instid1(VALU_DEP_3)
	v_add_co_ci_u32_e64 v1, null, 0, 0, s0
	v_mov_b32_e32 v62, 0
	v_add_co_u32 v0, vcc_lo, v0, v29
	s_delay_alu instid0(VALU_DEP_3)
	v_add_co_ci_u32_e32 v1, vcc_lo, v1, v30, vcc_lo
	s_cmpk_lg_i32 s28, 0xf00
	global_store_b64 v62, v[0:1], s[22:23]
	s_cbranch_scc1 .LBB506_202
; %bb.219:
	v_lshlrev_b64 v[0:1], 3, v[61:62]
	s_delay_alu instid0(VALU_DEP_1) | instskip(NEXT) | instid1(VALU_DEP_2)
	v_add_co_u32 v0, vcc_lo, v4, v0
	v_add_co_ci_u32_e32 v1, vcc_lo, v5, v1, vcc_lo
	global_store_b64 v[0:1], v[63:64], off offset:-8
	s_nop 0
	s_sendmsg sendmsg(MSG_DEALLOC_VGPRS)
	s_endpgm
.LBB506_220:
	s_or_b32 exec_lo, exec_lo, s4
	v_mov_b32_e32 v113, s1
	s_and_saveexec_b32 s1, s31
	s_cbranch_execnz .LBB506_88
	s_branch .LBB506_89
.LBB506_221:
	s_and_saveexec_b32 s19, s13
	s_cbranch_execnz .LBB506_289
; %bb.222:
	s_or_b32 exec_lo, exec_lo, s19
	s_and_saveexec_b32 s19, s12
	s_cbranch_execnz .LBB506_290
.LBB506_223:
	s_or_b32 exec_lo, exec_lo, s19
	s_and_saveexec_b32 s19, s10
	s_cbranch_execnz .LBB506_291
.LBB506_224:
	s_or_b32 exec_lo, exec_lo, s19
	s_and_saveexec_b32 s19, s9
	s_cbranch_execnz .LBB506_292
.LBB506_225:
	s_or_b32 exec_lo, exec_lo, s19
	s_and_saveexec_b32 s19, s15
	s_cbranch_execnz .LBB506_293
.LBB506_226:
	s_or_b32 exec_lo, exec_lo, s19
	s_and_saveexec_b32 s19, s14
	s_cbranch_execnz .LBB506_294
.LBB506_227:
	s_or_b32 exec_lo, exec_lo, s19
	s_and_saveexec_b32 s19, s11
	s_cbranch_execnz .LBB506_295
.LBB506_228:
	s_or_b32 exec_lo, exec_lo, s19
	s_and_saveexec_b32 s19, s8
	s_cbranch_execnz .LBB506_296
.LBB506_229:
	s_or_b32 exec_lo, exec_lo, s19
	s_and_saveexec_b32 s19, s7
	s_cbranch_execnz .LBB506_297
.LBB506_230:
	s_or_b32 exec_lo, exec_lo, s19
	s_and_saveexec_b32 s19, s6
	s_cbranch_execnz .LBB506_298
.LBB506_231:
	s_or_b32 exec_lo, exec_lo, s19
	s_and_saveexec_b32 s19, s5
	s_cbranch_execnz .LBB506_299
.LBB506_232:
	s_or_b32 exec_lo, exec_lo, s19
	s_and_saveexec_b32 s19, s4
	s_cbranch_execnz .LBB506_300
.LBB506_233:
	s_or_b32 exec_lo, exec_lo, s19
	s_and_saveexec_b32 s19, s3
	s_cbranch_execnz .LBB506_301
.LBB506_234:
	s_or_b32 exec_lo, exec_lo, s19
	s_and_saveexec_b32 s19, s1
	s_cbranch_execz .LBB506_236
.LBB506_235:
	v_sub_nc_u32_e32 v54, v38, v65
	v_mov_b32_e32 v55, 0
	s_delay_alu instid0(VALU_DEP_1) | instskip(NEXT) | instid1(VALU_DEP_1)
	v_lshlrev_b64 v[54:55], 3, v[54:55]
	v_add_co_u32 v54, vcc_lo, v51, v54
	s_delay_alu instid0(VALU_DEP_2)
	v_add_co_ci_u32_e32 v55, vcc_lo, v52, v55, vcc_lo
	global_store_b64 v[54:55], v[3:4], off
.LBB506_236:
	s_or_b32 exec_lo, exec_lo, s19
	s_delay_alu instid0(SALU_CYCLE_1)
	s_and_b32 s19, s0, exec_lo
	s_and_not1_saveexec_b32 s16, s16
	s_cbranch_execz .LBB506_186
.LBB506_237:
	v_sub_nc_u32_e32 v54, v114, v65
	v_mov_b32_e32 v55, 0
	s_or_b32 s19, s19, exec_lo
	s_delay_alu instid0(VALU_DEP_1) | instskip(SKIP_1) | instid1(VALU_DEP_1)
	v_lshlrev_b64 v[59:60], 3, v[54:55]
	v_sub_nc_u32_e32 v54, v48, v65
	v_lshlrev_b64 v[95:96], 3, v[54:55]
	v_sub_nc_u32_e32 v54, v50, v65
	s_delay_alu instid0(VALU_DEP_4) | instskip(SKIP_1) | instid1(VALU_DEP_3)
	v_add_co_u32 v59, vcc_lo, v51, v59
	v_add_co_ci_u32_e32 v60, vcc_lo, v52, v60, vcc_lo
	v_lshlrev_b64 v[115:116], 3, v[54:55]
	v_sub_nc_u32_e32 v54, v49, v65
	v_add_co_u32 v95, vcc_lo, v51, v95
	v_add_co_ci_u32_e32 v96, vcc_lo, v52, v96, vcc_lo
	global_store_b64 v[59:60], v[25:26], off
	v_lshlrev_b64 v[59:60], 3, v[54:55]
	v_sub_nc_u32_e32 v54, v47, v65
	global_store_b64 v[95:96], v[27:28], off
	v_add_co_u32 v95, vcc_lo, v51, v115
	v_add_co_ci_u32_e32 v96, vcc_lo, v52, v116, vcc_lo
	v_lshlrev_b64 v[115:116], 3, v[54:55]
	v_sub_nc_u32_e32 v54, v46, v65
	v_add_co_u32 v59, vcc_lo, v51, v59
	v_add_co_ci_u32_e32 v60, vcc_lo, v52, v60, vcc_lo
	s_delay_alu instid0(VALU_DEP_3) | instskip(SKIP_3) | instid1(VALU_DEP_3)
	v_lshlrev_b64 v[117:118], 3, v[54:55]
	v_sub_nc_u32_e32 v54, v45, v65
	v_add_co_u32 v115, vcc_lo, v51, v115
	v_add_co_ci_u32_e32 v116, vcc_lo, v52, v116, vcc_lo
	v_lshlrev_b64 v[119:120], 3, v[54:55]
	v_sub_nc_u32_e32 v54, v44, v65
	v_add_co_u32 v117, vcc_lo, v51, v117
	v_add_co_ci_u32_e32 v118, vcc_lo, v52, v118, vcc_lo
	s_clause 0x3
	global_store_b64 v[95:96], v[21:22], off
	global_store_b64 v[59:60], v[23:24], off
	;; [unrolled: 1-line block ×4, first 2 shown]
	v_lshlrev_b64 v[59:60], 3, v[54:55]
	v_sub_nc_u32_e32 v54, v43, v65
	v_add_co_u32 v95, vcc_lo, v51, v119
	v_add_co_ci_u32_e32 v96, vcc_lo, v52, v120, vcc_lo
	s_delay_alu instid0(VALU_DEP_3) | instskip(SKIP_3) | instid1(VALU_DEP_3)
	v_lshlrev_b64 v[115:116], 3, v[54:55]
	v_sub_nc_u32_e32 v54, v42, v65
	v_add_co_u32 v59, vcc_lo, v51, v59
	v_add_co_ci_u32_e32 v60, vcc_lo, v52, v60, vcc_lo
	v_lshlrev_b64 v[117:118], 3, v[54:55]
	v_sub_nc_u32_e32 v54, v41, v65
	v_add_co_u32 v115, vcc_lo, v51, v115
	v_add_co_ci_u32_e32 v116, vcc_lo, v52, v116, vcc_lo
	s_delay_alu instid0(VALU_DEP_3)
	v_lshlrev_b64 v[119:120], 3, v[54:55]
	v_sub_nc_u32_e32 v54, v40, v65
	v_add_co_u32 v117, vcc_lo, v51, v117
	v_add_co_ci_u32_e32 v118, vcc_lo, v52, v118, vcc_lo
	s_clause 0x3
	global_store_b64 v[95:96], v[13:14], off
	global_store_b64 v[59:60], v[15:16], off
	;; [unrolled: 1-line block ×4, first 2 shown]
	v_lshlrev_b64 v[59:60], 3, v[54:55]
	v_sub_nc_u32_e32 v54, v39, v65
	v_add_co_u32 v95, vcc_lo, v51, v119
	v_add_co_ci_u32_e32 v96, vcc_lo, v52, v120, vcc_lo
	s_delay_alu instid0(VALU_DEP_3) | instskip(SKIP_3) | instid1(VALU_DEP_3)
	v_lshlrev_b64 v[115:116], 3, v[54:55]
	v_sub_nc_u32_e32 v54, v38, v65
	v_add_co_u32 v59, vcc_lo, v51, v59
	v_add_co_ci_u32_e32 v60, vcc_lo, v52, v60, vcc_lo
	v_lshlrev_b64 v[54:55], 3, v[54:55]
	v_add_co_u32 v115, vcc_lo, v51, v115
	v_add_co_ci_u32_e32 v116, vcc_lo, v52, v116, vcc_lo
	s_clause 0x2
	global_store_b64 v[95:96], v[5:6], off
	global_store_b64 v[59:60], v[7:8], off
	;; [unrolled: 1-line block ×3, first 2 shown]
	v_add_co_u32 v54, vcc_lo, v51, v54
	v_add_co_ci_u32_e32 v55, vcc_lo, v52, v55, vcc_lo
	global_store_b64 v[54:55], v[3:4], off
	s_or_b32 exec_lo, exec_lo, s16
	s_delay_alu instid0(SALU_CYCLE_1)
	s_and_b32 exec_lo, exec_lo, s19
	s_cbranch_execnz .LBB506_187
	s_branch .LBB506_188
.LBB506_238:
	s_and_saveexec_b32 s19, s13
	s_cbranch_execnz .LBB506_302
; %bb.239:
	s_or_b32 exec_lo, exec_lo, s19
	s_and_saveexec_b32 s13, s12
	s_cbranch_execnz .LBB506_303
.LBB506_240:
	s_or_b32 exec_lo, exec_lo, s13
	s_and_saveexec_b32 s12, s10
	s_cbranch_execnz .LBB506_304
.LBB506_241:
	s_or_b32 exec_lo, exec_lo, s12
	s_and_saveexec_b32 s10, s9
	s_cbranch_execnz .LBB506_305
.LBB506_242:
	s_or_b32 exec_lo, exec_lo, s10
	s_and_saveexec_b32 s9, s15
	s_cbranch_execnz .LBB506_306
.LBB506_243:
	s_or_b32 exec_lo, exec_lo, s9
	s_and_saveexec_b32 s9, s14
	s_cbranch_execnz .LBB506_307
.LBB506_244:
	s_or_b32 exec_lo, exec_lo, s9
	s_and_saveexec_b32 s9, s11
	s_cbranch_execnz .LBB506_308
.LBB506_245:
	s_or_b32 exec_lo, exec_lo, s9
	s_and_saveexec_b32 s9, s8
	s_cbranch_execnz .LBB506_309
.LBB506_246:
	s_or_b32 exec_lo, exec_lo, s9
	s_and_saveexec_b32 s8, s7
	s_cbranch_execnz .LBB506_310
.LBB506_247:
	s_or_b32 exec_lo, exec_lo, s8
	s_and_saveexec_b32 s7, s6
	s_cbranch_execnz .LBB506_311
.LBB506_248:
	s_or_b32 exec_lo, exec_lo, s7
	s_and_saveexec_b32 s6, s5
	s_cbranch_execnz .LBB506_312
.LBB506_249:
	s_or_b32 exec_lo, exec_lo, s6
	s_and_saveexec_b32 s5, s4
	s_cbranch_execnz .LBB506_313
.LBB506_250:
	s_or_b32 exec_lo, exec_lo, s5
	s_and_saveexec_b32 s4, s3
	s_cbranch_execnz .LBB506_314
.LBB506_251:
	s_or_b32 exec_lo, exec_lo, s4
	s_and_saveexec_b32 s3, s1
	s_cbranch_execz .LBB506_253
.LBB506_252:
	v_sub_nc_u32_e32 v1, v38, v65
	s_delay_alu instid0(VALU_DEP_1)
	v_lshlrev_b32_e32 v1, 3, v1
	ds_store_b64 v1, v[3:4]
.LBB506_253:
	s_or_b32 exec_lo, exec_lo, s3
	s_delay_alu instid0(SALU_CYCLE_1)
	s_and_b32 s19, s0, exec_lo
                                        ; implicit-def: $vgpr25_vgpr26
                                        ; implicit-def: $vgpr21_vgpr22
                                        ; implicit-def: $vgpr17_vgpr18
                                        ; implicit-def: $vgpr13_vgpr14
                                        ; implicit-def: $vgpr9_vgpr10
                                        ; implicit-def: $vgpr5_vgpr6
                                        ; implicit-def: $vgpr1_vgpr2
	s_and_not1_saveexec_b32 s0, s18
	s_cbranch_execz .LBB506_193
.LBB506_254:
	v_sub_nc_u32_e32 v53, v114, v65
	v_sub_nc_u32_e32 v54, v48, v65
	;; [unrolled: 1-line block ×4, first 2 shown]
	s_or_b32 s19, s19, exec_lo
	v_lshlrev_b32_e32 v53, 3, v53
	v_lshlrev_b32_e32 v54, 3, v54
	;; [unrolled: 1-line block ×4, first 2 shown]
	ds_store_b64 v53, v[25:26]
	ds_store_b64 v54, v[27:28]
	;; [unrolled: 1-line block ×3, first 2 shown]
	v_sub_nc_u32_e32 v21, v47, v65
	v_sub_nc_u32_e32 v22, v46, v65
	ds_store_b64 v56, v[23:24]
	v_sub_nc_u32_e32 v23, v45, v65
	v_sub_nc_u32_e32 v24, v44, v65
	v_lshlrev_b32_e32 v21, 3, v21
	v_sub_nc_u32_e32 v25, v43, v65
	v_lshlrev_b32_e32 v22, 3, v22
	v_lshlrev_b32_e32 v23, 3, v23
	v_lshlrev_b32_e32 v24, 3, v24
	ds_store_b64 v21, v[17:18]
	v_lshlrev_b32_e32 v17, 3, v25
	ds_store_b64 v22, v[19:20]
	ds_store_b64 v23, v[13:14]
	;; [unrolled: 1-line block ×3, first 2 shown]
	v_sub_nc_u32_e32 v13, v42, v65
	v_sub_nc_u32_e32 v15, v38, v65
	;; [unrolled: 1-line block ×3, first 2 shown]
	ds_store_b64 v17, v[9:10]
	v_sub_nc_u32_e32 v9, v41, v65
	v_lshlrev_b32_e32 v13, 3, v13
	v_sub_nc_u32_e32 v10, v40, v65
	v_lshlrev_b32_e32 v14, 3, v14
	s_delay_alu instid0(VALU_DEP_4)
	v_lshlrev_b32_e32 v9, 3, v9
	ds_store_b64 v13, v[11:12]
	v_lshlrev_b32_e32 v11, 3, v15
	v_lshlrev_b32_e32 v10, 3, v10
	ds_store_b64 v9, v[5:6]
	ds_store_b64 v10, v[7:8]
	;; [unrolled: 1-line block ×4, first 2 shown]
	s_or_b32 exec_lo, exec_lo, s0
	s_delay_alu instid0(SALU_CYCLE_1)
	s_and_b32 exec_lo, exec_lo, s19
	s_cbranch_execnz .LBB506_194
	s_branch .LBB506_195
.LBB506_255:
	s_and_saveexec_b32 s18, s14
	s_cbranch_execnz .LBB506_315
; %bb.256:
	s_or_b32 exec_lo, exec_lo, s18
	s_and_saveexec_b32 s18, s13
	s_cbranch_execnz .LBB506_316
.LBB506_257:
	s_or_b32 exec_lo, exec_lo, s18
	s_and_saveexec_b32 s18, s12
	s_cbranch_execnz .LBB506_317
.LBB506_258:
	s_or_b32 exec_lo, exec_lo, s18
	s_and_saveexec_b32 s18, s11
	s_cbranch_execnz .LBB506_318
.LBB506_259:
	s_or_b32 exec_lo, exec_lo, s18
	s_and_saveexec_b32 s18, s10
	s_cbranch_execnz .LBB506_319
.LBB506_260:
	s_or_b32 exec_lo, exec_lo, s18
	s_and_saveexec_b32 s18, s9
	s_cbranch_execnz .LBB506_320
.LBB506_261:
	s_or_b32 exec_lo, exec_lo, s18
	s_and_saveexec_b32 s18, s8
	s_cbranch_execnz .LBB506_321
.LBB506_262:
	s_or_b32 exec_lo, exec_lo, s18
	s_and_saveexec_b32 s18, s7
	s_cbranch_execnz .LBB506_322
.LBB506_263:
	s_or_b32 exec_lo, exec_lo, s18
	s_and_saveexec_b32 s18, s6
	s_cbranch_execnz .LBB506_323
.LBB506_264:
	s_or_b32 exec_lo, exec_lo, s18
	s_and_saveexec_b32 s18, s5
	s_cbranch_execnz .LBB506_324
.LBB506_265:
	s_or_b32 exec_lo, exec_lo, s18
	s_and_saveexec_b32 s18, s4
	s_cbranch_execnz .LBB506_325
.LBB506_266:
	s_or_b32 exec_lo, exec_lo, s18
	s_and_saveexec_b32 s18, s3
	s_cbranch_execnz .LBB506_326
.LBB506_267:
	s_or_b32 exec_lo, exec_lo, s18
	s_and_saveexec_b32 s18, s2
	s_cbranch_execnz .LBB506_327
.LBB506_268:
	s_or_b32 exec_lo, exec_lo, s18
	s_and_saveexec_b32 s18, s1
	s_cbranch_execz .LBB506_270
.LBB506_269:
	v_sub_nc_u32_e32 v10, v38, v8
	v_mov_b32_e32 v11, 0
	s_delay_alu instid0(VALU_DEP_1) | instskip(NEXT) | instid1(VALU_DEP_1)
	v_lshlrev_b64 v[10:11], 3, v[10:11]
	v_add_co_u32 v10, vcc_lo, v6, v10
	s_delay_alu instid0(VALU_DEP_2)
	v_add_co_ci_u32_e32 v11, vcc_lo, v7, v11, vcc_lo
	global_store_b64 v[10:11], v[93:94], off
.LBB506_270:
	s_or_b32 exec_lo, exec_lo, s18
	s_delay_alu instid0(SALU_CYCLE_1)
	s_and_b32 s18, s0, exec_lo
	s_and_not1_saveexec_b32 s15, s15
	s_cbranch_execz .LBB506_206
.LBB506_271:
	v_sub_nc_u32_e32 v10, v114, v8
	v_mov_b32_e32 v11, 0
	s_or_b32 s18, s18, exec_lo
	s_delay_alu instid0(VALU_DEP_1) | instskip(SKIP_1) | instid1(VALU_DEP_1)
	v_lshlrev_b64 v[12:13], 3, v[10:11]
	v_sub_nc_u32_e32 v10, v48, v8
	v_lshlrev_b64 v[14:15], 3, v[10:11]
	v_sub_nc_u32_e32 v10, v50, v8
	s_delay_alu instid0(VALU_DEP_4) | instskip(SKIP_1) | instid1(VALU_DEP_3)
	v_add_co_u32 v12, vcc_lo, v6, v12
	v_add_co_ci_u32_e32 v13, vcc_lo, v7, v13, vcc_lo
	v_lshlrev_b64 v[16:17], 3, v[10:11]
	v_sub_nc_u32_e32 v10, v49, v8
	v_add_co_u32 v14, vcc_lo, v6, v14
	v_add_co_ci_u32_e32 v15, vcc_lo, v7, v15, vcc_lo
	global_store_b64 v[12:13], v[79:80], off
	v_lshlrev_b64 v[12:13], 3, v[10:11]
	v_sub_nc_u32_e32 v10, v47, v8
	global_store_b64 v[14:15], v[75:76], off
	v_add_co_u32 v14, vcc_lo, v6, v16
	v_add_co_ci_u32_e32 v15, vcc_lo, v7, v17, vcc_lo
	v_lshlrev_b64 v[16:17], 3, v[10:11]
	v_sub_nc_u32_e32 v10, v46, v8
	v_add_co_u32 v12, vcc_lo, v6, v12
	v_add_co_ci_u32_e32 v13, vcc_lo, v7, v13, vcc_lo
	s_delay_alu instid0(VALU_DEP_3) | instskip(SKIP_3) | instid1(VALU_DEP_3)
	v_lshlrev_b64 v[18:19], 3, v[10:11]
	v_sub_nc_u32_e32 v10, v45, v8
	v_add_co_u32 v16, vcc_lo, v6, v16
	v_add_co_ci_u32_e32 v17, vcc_lo, v7, v17, vcc_lo
	v_lshlrev_b64 v[20:21], 3, v[10:11]
	v_sub_nc_u32_e32 v10, v44, v8
	v_add_co_u32 v18, vcc_lo, v6, v18
	v_add_co_ci_u32_e32 v19, vcc_lo, v7, v19, vcc_lo
	s_clause 0x3
	global_store_b64 v[14:15], v[81:82], off
	global_store_b64 v[12:13], v[85:86], off
	;; [unrolled: 1-line block ×4, first 2 shown]
	v_lshlrev_b64 v[12:13], 3, v[10:11]
	v_sub_nc_u32_e32 v10, v43, v8
	v_add_co_u32 v14, vcc_lo, v6, v20
	v_add_co_ci_u32_e32 v15, vcc_lo, v7, v21, vcc_lo
	s_delay_alu instid0(VALU_DEP_3) | instskip(SKIP_3) | instid1(VALU_DEP_3)
	v_lshlrev_b64 v[16:17], 3, v[10:11]
	v_sub_nc_u32_e32 v10, v42, v8
	v_add_co_u32 v12, vcc_lo, v6, v12
	v_add_co_ci_u32_e32 v13, vcc_lo, v7, v13, vcc_lo
	v_lshlrev_b64 v[18:19], 3, v[10:11]
	v_sub_nc_u32_e32 v10, v41, v8
	v_add_co_u32 v16, vcc_lo, v6, v16
	v_add_co_ci_u32_e32 v17, vcc_lo, v7, v17, vcc_lo
	s_delay_alu instid0(VALU_DEP_3)
	v_lshlrev_b64 v[20:21], 3, v[10:11]
	v_sub_nc_u32_e32 v10, v40, v8
	v_add_co_u32 v18, vcc_lo, v6, v18
	v_add_co_ci_u32_e32 v19, vcc_lo, v7, v19, vcc_lo
	s_clause 0x3
	global_store_b64 v[14:15], v[77:78], off
	global_store_b64 v[12:13], v[83:84], off
	;; [unrolled: 1-line block ×4, first 2 shown]
	v_lshlrev_b64 v[12:13], 3, v[10:11]
	v_sub_nc_u32_e32 v10, v39, v8
	v_add_co_u32 v14, vcc_lo, v6, v20
	v_add_co_ci_u32_e32 v15, vcc_lo, v7, v21, vcc_lo
	s_delay_alu instid0(VALU_DEP_3) | instskip(SKIP_3) | instid1(VALU_DEP_3)
	v_lshlrev_b64 v[16:17], 3, v[10:11]
	v_sub_nc_u32_e32 v10, v38, v8
	v_add_co_u32 v12, vcc_lo, v6, v12
	v_add_co_ci_u32_e32 v13, vcc_lo, v7, v13, vcc_lo
	v_lshlrev_b64 v[10:11], 3, v[10:11]
	v_add_co_u32 v16, vcc_lo, v6, v16
	v_add_co_ci_u32_e32 v17, vcc_lo, v7, v17, vcc_lo
	s_clause 0x2
	global_store_b64 v[14:15], v[73:74], off
	global_store_b64 v[12:13], v[89:90], off
	;; [unrolled: 1-line block ×3, first 2 shown]
	v_add_co_u32 v10, vcc_lo, v6, v10
	v_add_co_ci_u32_e32 v11, vcc_lo, v7, v11, vcc_lo
	global_store_b64 v[10:11], v[93:94], off
	s_or_b32 exec_lo, exec_lo, s15
	s_delay_alu instid0(SALU_CYCLE_1)
	s_and_b32 exec_lo, exec_lo, s18
	s_cbranch_execnz .LBB506_207
	s_branch .LBB506_208
.LBB506_272:
	s_and_saveexec_b32 s18, s14
	s_cbranch_execnz .LBB506_328
; %bb.273:
	s_or_b32 exec_lo, exec_lo, s18
	s_and_saveexec_b32 s14, s13
	s_cbranch_execnz .LBB506_329
.LBB506_274:
	s_or_b32 exec_lo, exec_lo, s14
	s_and_saveexec_b32 s13, s12
	s_cbranch_execnz .LBB506_330
.LBB506_275:
	s_or_b32 exec_lo, exec_lo, s13
	s_and_saveexec_b32 s12, s11
	s_cbranch_execnz .LBB506_331
.LBB506_276:
	s_or_b32 exec_lo, exec_lo, s12
	s_and_saveexec_b32 s11, s10
	s_cbranch_execnz .LBB506_332
.LBB506_277:
	s_or_b32 exec_lo, exec_lo, s11
	s_and_saveexec_b32 s10, s9
	s_cbranch_execnz .LBB506_333
.LBB506_278:
	s_or_b32 exec_lo, exec_lo, s10
	s_and_saveexec_b32 s9, s8
	s_cbranch_execnz .LBB506_334
.LBB506_279:
	s_or_b32 exec_lo, exec_lo, s9
	s_and_saveexec_b32 s8, s7
	s_cbranch_execnz .LBB506_335
.LBB506_280:
	s_or_b32 exec_lo, exec_lo, s8
	s_and_saveexec_b32 s7, s6
	s_cbranch_execnz .LBB506_336
.LBB506_281:
	s_or_b32 exec_lo, exec_lo, s7
	s_and_saveexec_b32 s6, s5
	s_cbranch_execnz .LBB506_337
.LBB506_282:
	s_or_b32 exec_lo, exec_lo, s6
	s_and_saveexec_b32 s5, s4
	s_cbranch_execnz .LBB506_338
.LBB506_283:
	s_or_b32 exec_lo, exec_lo, s5
	s_and_saveexec_b32 s4, s3
	s_cbranch_execnz .LBB506_339
.LBB506_284:
	s_or_b32 exec_lo, exec_lo, s4
	s_and_saveexec_b32 s3, s2
	s_cbranch_execnz .LBB506_340
.LBB506_285:
	s_or_b32 exec_lo, exec_lo, s3
	s_and_saveexec_b32 s2, s1
	s_cbranch_execz .LBB506_287
.LBB506_286:
	v_sub_nc_u32_e32 v9, v38, v8
	s_delay_alu instid0(VALU_DEP_1)
	v_lshlrev_b32_e32 v9, 3, v9
	ds_store_b64 v9, v[93:94]
.LBB506_287:
	s_or_b32 exec_lo, exec_lo, s2
	s_delay_alu instid0(SALU_CYCLE_1)
	s_and_b32 s18, s0, exec_lo
                                        ; implicit-def: $vgpr79_vgpr80
                                        ; implicit-def: $vgpr75_vgpr76
                                        ; implicit-def: $vgpr81_vgpr82
                                        ; implicit-def: $vgpr85_vgpr86
                                        ; implicit-def: $vgpr67_vgpr68
                                        ; implicit-def: $vgpr71_vgpr72
                                        ; implicit-def: $vgpr77_vgpr78
                                        ; implicit-def: $vgpr83_vgpr84
                                        ; implicit-def: $vgpr87_vgpr88
                                        ; implicit-def: $vgpr69_vgpr70
                                        ; implicit-def: $vgpr73_vgpr74
                                        ; implicit-def: $vgpr89_vgpr90
                                        ; implicit-def: $vgpr91_vgpr92
                                        ; implicit-def: $vgpr93_vgpr94
                                        ; implicit-def: $vgpr114
                                        ; implicit-def: $vgpr48
                                        ; implicit-def: $vgpr50
                                        ; implicit-def: $vgpr49
                                        ; implicit-def: $vgpr47
                                        ; implicit-def: $vgpr46
                                        ; implicit-def: $vgpr45
                                        ; implicit-def: $vgpr44
                                        ; implicit-def: $vgpr43
                                        ; implicit-def: $vgpr42
                                        ; implicit-def: $vgpr41
                                        ; implicit-def: $vgpr40
                                        ; implicit-def: $vgpr39
                                        ; implicit-def: $vgpr38
	s_and_not1_saveexec_b32 s0, s16
	s_cbranch_execz .LBB506_212
.LBB506_288:
	v_sub_nc_u32_e32 v9, v114, v8
	v_sub_nc_u32_e32 v10, v48, v8
	v_sub_nc_u32_e32 v11, v50, v8
	v_sub_nc_u32_e32 v12, v49, v8
	v_sub_nc_u32_e32 v13, v43, v8
	v_lshlrev_b32_e32 v9, 3, v9
	v_lshlrev_b32_e32 v10, 3, v10
	;; [unrolled: 1-line block ×4, first 2 shown]
	s_or_b32 s18, s18, exec_lo
	ds_store_b64 v9, v[79:80]
	ds_store_b64 v10, v[75:76]
	;; [unrolled: 1-line block ×3, first 2 shown]
	v_sub_nc_u32_e32 v9, v47, v8
	v_sub_nc_u32_e32 v10, v46, v8
	;; [unrolled: 1-line block ×3, first 2 shown]
	ds_store_b64 v12, v[85:86]
	v_sub_nc_u32_e32 v12, v44, v8
	v_lshlrev_b32_e32 v9, 3, v9
	v_lshlrev_b32_e32 v10, 3, v10
	;; [unrolled: 1-line block ×3, first 2 shown]
	s_delay_alu instid0(VALU_DEP_4)
	v_lshlrev_b32_e32 v12, 3, v12
	ds_store_b64 v9, v[67:68]
	v_lshlrev_b32_e32 v9, 3, v13
	ds_store_b64 v10, v[71:72]
	ds_store_b64 v11, v[77:78]
	;; [unrolled: 1-line block ×3, first 2 shown]
	v_sub_nc_u32_e32 v10, v42, v8
	v_sub_nc_u32_e32 v13, v38, v8
	;; [unrolled: 1-line block ×3, first 2 shown]
	ds_store_b64 v9, v[87:88]
	v_sub_nc_u32_e32 v9, v41, v8
	v_lshlrev_b32_e32 v10, 3, v10
	v_sub_nc_u32_e32 v12, v39, v8
	v_lshlrev_b32_e32 v11, 3, v11
	s_delay_alu instid0(VALU_DEP_4)
	v_lshlrev_b32_e32 v9, 3, v9
	ds_store_b64 v10, v[69:70]
	v_lshlrev_b32_e32 v10, 3, v13
	v_lshlrev_b32_e32 v12, 3, v12
	ds_store_b64 v9, v[73:74]
	ds_store_b64 v11, v[89:90]
	;; [unrolled: 1-line block ×4, first 2 shown]
	s_or_b32 exec_lo, exec_lo, s0
	s_delay_alu instid0(SALU_CYCLE_1)
	s_and_b32 exec_lo, exec_lo, s18
	s_cbranch_execnz .LBB506_213
	s_branch .LBB506_214
.LBB506_289:
	v_sub_nc_u32_e32 v54, v114, v65
	v_mov_b32_e32 v55, 0
	s_delay_alu instid0(VALU_DEP_1) | instskip(NEXT) | instid1(VALU_DEP_1)
	v_lshlrev_b64 v[54:55], 3, v[54:55]
	v_add_co_u32 v54, vcc_lo, v51, v54
	s_delay_alu instid0(VALU_DEP_2)
	v_add_co_ci_u32_e32 v55, vcc_lo, v52, v55, vcc_lo
	global_store_b64 v[54:55], v[25:26], off
	s_or_b32 exec_lo, exec_lo, s19
	s_and_saveexec_b32 s19, s12
	s_cbranch_execz .LBB506_223
.LBB506_290:
	v_sub_nc_u32_e32 v54, v48, v65
	v_mov_b32_e32 v55, 0
	s_delay_alu instid0(VALU_DEP_1) | instskip(NEXT) | instid1(VALU_DEP_1)
	v_lshlrev_b64 v[54:55], 3, v[54:55]
	v_add_co_u32 v54, vcc_lo, v51, v54
	s_delay_alu instid0(VALU_DEP_2)
	v_add_co_ci_u32_e32 v55, vcc_lo, v52, v55, vcc_lo
	global_store_b64 v[54:55], v[27:28], off
	s_or_b32 exec_lo, exec_lo, s19
	s_and_saveexec_b32 s19, s10
	s_cbranch_execz .LBB506_224
.LBB506_291:
	v_sub_nc_u32_e32 v54, v50, v65
	v_mov_b32_e32 v55, 0
	s_delay_alu instid0(VALU_DEP_1) | instskip(NEXT) | instid1(VALU_DEP_1)
	v_lshlrev_b64 v[54:55], 3, v[54:55]
	v_add_co_u32 v54, vcc_lo, v51, v54
	s_delay_alu instid0(VALU_DEP_2)
	v_add_co_ci_u32_e32 v55, vcc_lo, v52, v55, vcc_lo
	global_store_b64 v[54:55], v[21:22], off
	s_or_b32 exec_lo, exec_lo, s19
	s_and_saveexec_b32 s19, s9
	s_cbranch_execz .LBB506_225
.LBB506_292:
	v_sub_nc_u32_e32 v54, v49, v65
	v_mov_b32_e32 v55, 0
	s_delay_alu instid0(VALU_DEP_1) | instskip(NEXT) | instid1(VALU_DEP_1)
	v_lshlrev_b64 v[54:55], 3, v[54:55]
	v_add_co_u32 v54, vcc_lo, v51, v54
	s_delay_alu instid0(VALU_DEP_2)
	v_add_co_ci_u32_e32 v55, vcc_lo, v52, v55, vcc_lo
	global_store_b64 v[54:55], v[23:24], off
	s_or_b32 exec_lo, exec_lo, s19
	s_and_saveexec_b32 s19, s15
	s_cbranch_execz .LBB506_226
.LBB506_293:
	v_sub_nc_u32_e32 v54, v47, v65
	v_mov_b32_e32 v55, 0
	s_delay_alu instid0(VALU_DEP_1) | instskip(NEXT) | instid1(VALU_DEP_1)
	v_lshlrev_b64 v[54:55], 3, v[54:55]
	v_add_co_u32 v54, vcc_lo, v51, v54
	s_delay_alu instid0(VALU_DEP_2)
	v_add_co_ci_u32_e32 v55, vcc_lo, v52, v55, vcc_lo
	global_store_b64 v[54:55], v[17:18], off
	s_or_b32 exec_lo, exec_lo, s19
	s_and_saveexec_b32 s19, s14
	s_cbranch_execz .LBB506_227
.LBB506_294:
	v_sub_nc_u32_e32 v54, v46, v65
	v_mov_b32_e32 v55, 0
	s_delay_alu instid0(VALU_DEP_1) | instskip(NEXT) | instid1(VALU_DEP_1)
	v_lshlrev_b64 v[54:55], 3, v[54:55]
	v_add_co_u32 v54, vcc_lo, v51, v54
	s_delay_alu instid0(VALU_DEP_2)
	v_add_co_ci_u32_e32 v55, vcc_lo, v52, v55, vcc_lo
	global_store_b64 v[54:55], v[19:20], off
	s_or_b32 exec_lo, exec_lo, s19
	s_and_saveexec_b32 s19, s11
	s_cbranch_execz .LBB506_228
.LBB506_295:
	v_sub_nc_u32_e32 v54, v45, v65
	v_mov_b32_e32 v55, 0
	s_delay_alu instid0(VALU_DEP_1) | instskip(NEXT) | instid1(VALU_DEP_1)
	v_lshlrev_b64 v[54:55], 3, v[54:55]
	v_add_co_u32 v54, vcc_lo, v51, v54
	s_delay_alu instid0(VALU_DEP_2)
	v_add_co_ci_u32_e32 v55, vcc_lo, v52, v55, vcc_lo
	global_store_b64 v[54:55], v[13:14], off
	s_or_b32 exec_lo, exec_lo, s19
	s_and_saveexec_b32 s19, s8
	s_cbranch_execz .LBB506_229
.LBB506_296:
	v_sub_nc_u32_e32 v54, v44, v65
	v_mov_b32_e32 v55, 0
	s_delay_alu instid0(VALU_DEP_1) | instskip(NEXT) | instid1(VALU_DEP_1)
	v_lshlrev_b64 v[54:55], 3, v[54:55]
	v_add_co_u32 v54, vcc_lo, v51, v54
	s_delay_alu instid0(VALU_DEP_2)
	v_add_co_ci_u32_e32 v55, vcc_lo, v52, v55, vcc_lo
	global_store_b64 v[54:55], v[15:16], off
	s_or_b32 exec_lo, exec_lo, s19
	s_and_saveexec_b32 s19, s7
	s_cbranch_execz .LBB506_230
.LBB506_297:
	v_sub_nc_u32_e32 v54, v43, v65
	v_mov_b32_e32 v55, 0
	s_delay_alu instid0(VALU_DEP_1) | instskip(NEXT) | instid1(VALU_DEP_1)
	v_lshlrev_b64 v[54:55], 3, v[54:55]
	v_add_co_u32 v54, vcc_lo, v51, v54
	s_delay_alu instid0(VALU_DEP_2)
	v_add_co_ci_u32_e32 v55, vcc_lo, v52, v55, vcc_lo
	global_store_b64 v[54:55], v[9:10], off
	s_or_b32 exec_lo, exec_lo, s19
	s_and_saveexec_b32 s19, s6
	s_cbranch_execz .LBB506_231
.LBB506_298:
	v_sub_nc_u32_e32 v54, v42, v65
	v_mov_b32_e32 v55, 0
	s_delay_alu instid0(VALU_DEP_1) | instskip(NEXT) | instid1(VALU_DEP_1)
	v_lshlrev_b64 v[54:55], 3, v[54:55]
	v_add_co_u32 v54, vcc_lo, v51, v54
	s_delay_alu instid0(VALU_DEP_2)
	v_add_co_ci_u32_e32 v55, vcc_lo, v52, v55, vcc_lo
	global_store_b64 v[54:55], v[11:12], off
	s_or_b32 exec_lo, exec_lo, s19
	s_and_saveexec_b32 s19, s5
	s_cbranch_execz .LBB506_232
.LBB506_299:
	v_sub_nc_u32_e32 v54, v41, v65
	v_mov_b32_e32 v55, 0
	s_delay_alu instid0(VALU_DEP_1) | instskip(NEXT) | instid1(VALU_DEP_1)
	v_lshlrev_b64 v[54:55], 3, v[54:55]
	v_add_co_u32 v54, vcc_lo, v51, v54
	s_delay_alu instid0(VALU_DEP_2)
	v_add_co_ci_u32_e32 v55, vcc_lo, v52, v55, vcc_lo
	global_store_b64 v[54:55], v[5:6], off
	s_or_b32 exec_lo, exec_lo, s19
	s_and_saveexec_b32 s19, s4
	s_cbranch_execz .LBB506_233
.LBB506_300:
	v_sub_nc_u32_e32 v54, v40, v65
	v_mov_b32_e32 v55, 0
	s_delay_alu instid0(VALU_DEP_1) | instskip(NEXT) | instid1(VALU_DEP_1)
	v_lshlrev_b64 v[54:55], 3, v[54:55]
	v_add_co_u32 v54, vcc_lo, v51, v54
	s_delay_alu instid0(VALU_DEP_2)
	v_add_co_ci_u32_e32 v55, vcc_lo, v52, v55, vcc_lo
	global_store_b64 v[54:55], v[7:8], off
	s_or_b32 exec_lo, exec_lo, s19
	s_and_saveexec_b32 s19, s3
	s_cbranch_execz .LBB506_234
.LBB506_301:
	v_sub_nc_u32_e32 v54, v39, v65
	v_mov_b32_e32 v55, 0
	s_delay_alu instid0(VALU_DEP_1) | instskip(NEXT) | instid1(VALU_DEP_1)
	v_lshlrev_b64 v[54:55], 3, v[54:55]
	v_add_co_u32 v54, vcc_lo, v51, v54
	s_delay_alu instid0(VALU_DEP_2)
	v_add_co_ci_u32_e32 v55, vcc_lo, v52, v55, vcc_lo
	global_store_b64 v[54:55], v[1:2], off
	s_or_b32 exec_lo, exec_lo, s19
	s_and_saveexec_b32 s19, s1
	s_cbranch_execnz .LBB506_235
	s_branch .LBB506_236
.LBB506_302:
	v_sub_nc_u32_e32 v53, v114, v65
	s_delay_alu instid0(VALU_DEP_1)
	v_lshlrev_b32_e32 v53, 3, v53
	ds_store_b64 v53, v[25:26]
	s_or_b32 exec_lo, exec_lo, s19
	s_and_saveexec_b32 s13, s12
	s_cbranch_execz .LBB506_240
.LBB506_303:
	v_sub_nc_u32_e32 v25, v48, v65
	s_delay_alu instid0(VALU_DEP_1)
	v_lshlrev_b32_e32 v25, 3, v25
	ds_store_b64 v25, v[27:28]
	s_or_b32 exec_lo, exec_lo, s13
	s_and_saveexec_b32 s12, s10
	s_cbranch_execz .LBB506_241
.LBB506_304:
	v_sub_nc_u32_e32 v25, v50, v65
	s_delay_alu instid0(VALU_DEP_1)
	v_lshlrev_b32_e32 v25, 3, v25
	ds_store_b64 v25, v[21:22]
	s_or_b32 exec_lo, exec_lo, s12
	s_and_saveexec_b32 s10, s9
	s_cbranch_execz .LBB506_242
.LBB506_305:
	v_sub_nc_u32_e32 v21, v49, v65
	s_delay_alu instid0(VALU_DEP_1)
	v_lshlrev_b32_e32 v21, 3, v21
	ds_store_b64 v21, v[23:24]
	s_or_b32 exec_lo, exec_lo, s10
	s_and_saveexec_b32 s9, s15
	s_cbranch_execz .LBB506_243
.LBB506_306:
	v_sub_nc_u32_e32 v21, v47, v65
	s_delay_alu instid0(VALU_DEP_1)
	v_lshlrev_b32_e32 v21, 3, v21
	ds_store_b64 v21, v[17:18]
	s_or_b32 exec_lo, exec_lo, s9
	s_and_saveexec_b32 s9, s14
	s_cbranch_execz .LBB506_244
.LBB506_307:
	v_sub_nc_u32_e32 v17, v46, v65
	s_delay_alu instid0(VALU_DEP_1)
	v_lshlrev_b32_e32 v17, 3, v17
	ds_store_b64 v17, v[19:20]
	s_or_b32 exec_lo, exec_lo, s9
	s_and_saveexec_b32 s9, s11
	s_cbranch_execz .LBB506_245
.LBB506_308:
	v_sub_nc_u32_e32 v17, v45, v65
	s_delay_alu instid0(VALU_DEP_1)
	v_lshlrev_b32_e32 v17, 3, v17
	ds_store_b64 v17, v[13:14]
	s_or_b32 exec_lo, exec_lo, s9
	s_and_saveexec_b32 s9, s8
	s_cbranch_execz .LBB506_246
.LBB506_309:
	v_sub_nc_u32_e32 v13, v44, v65
	s_delay_alu instid0(VALU_DEP_1)
	v_lshlrev_b32_e32 v13, 3, v13
	ds_store_b64 v13, v[15:16]
	s_or_b32 exec_lo, exec_lo, s9
	s_and_saveexec_b32 s8, s7
	s_cbranch_execz .LBB506_247
.LBB506_310:
	v_sub_nc_u32_e32 v13, v43, v65
	s_delay_alu instid0(VALU_DEP_1)
	v_lshlrev_b32_e32 v13, 3, v13
	ds_store_b64 v13, v[9:10]
	s_or_b32 exec_lo, exec_lo, s8
	s_and_saveexec_b32 s7, s6
	s_cbranch_execz .LBB506_248
.LBB506_311:
	v_sub_nc_u32_e32 v9, v42, v65
	s_delay_alu instid0(VALU_DEP_1)
	v_lshlrev_b32_e32 v9, 3, v9
	ds_store_b64 v9, v[11:12]
	s_or_b32 exec_lo, exec_lo, s7
	s_and_saveexec_b32 s6, s5
	s_cbranch_execz .LBB506_249
.LBB506_312:
	v_sub_nc_u32_e32 v9, v41, v65
	s_delay_alu instid0(VALU_DEP_1)
	v_lshlrev_b32_e32 v9, 3, v9
	ds_store_b64 v9, v[5:6]
	s_or_b32 exec_lo, exec_lo, s6
	s_and_saveexec_b32 s5, s4
	s_cbranch_execz .LBB506_250
.LBB506_313:
	v_sub_nc_u32_e32 v5, v40, v65
	s_delay_alu instid0(VALU_DEP_1)
	v_lshlrev_b32_e32 v5, 3, v5
	ds_store_b64 v5, v[7:8]
	s_or_b32 exec_lo, exec_lo, s5
	s_and_saveexec_b32 s4, s3
	s_cbranch_execz .LBB506_251
.LBB506_314:
	v_sub_nc_u32_e32 v5, v39, v65
	s_delay_alu instid0(VALU_DEP_1)
	v_lshlrev_b32_e32 v5, 3, v5
	ds_store_b64 v5, v[1:2]
	s_or_b32 exec_lo, exec_lo, s4
	s_and_saveexec_b32 s3, s1
	s_cbranch_execnz .LBB506_252
	s_branch .LBB506_253
.LBB506_315:
	v_sub_nc_u32_e32 v10, v114, v8
	v_mov_b32_e32 v11, 0
	s_delay_alu instid0(VALU_DEP_1) | instskip(NEXT) | instid1(VALU_DEP_1)
	v_lshlrev_b64 v[10:11], 3, v[10:11]
	v_add_co_u32 v10, vcc_lo, v6, v10
	s_delay_alu instid0(VALU_DEP_2)
	v_add_co_ci_u32_e32 v11, vcc_lo, v7, v11, vcc_lo
	global_store_b64 v[10:11], v[79:80], off
	s_or_b32 exec_lo, exec_lo, s18
	s_and_saveexec_b32 s18, s13
	s_cbranch_execz .LBB506_257
.LBB506_316:
	v_sub_nc_u32_e32 v10, v48, v8
	v_mov_b32_e32 v11, 0
	s_delay_alu instid0(VALU_DEP_1) | instskip(NEXT) | instid1(VALU_DEP_1)
	v_lshlrev_b64 v[10:11], 3, v[10:11]
	v_add_co_u32 v10, vcc_lo, v6, v10
	s_delay_alu instid0(VALU_DEP_2)
	v_add_co_ci_u32_e32 v11, vcc_lo, v7, v11, vcc_lo
	global_store_b64 v[10:11], v[75:76], off
	s_or_b32 exec_lo, exec_lo, s18
	s_and_saveexec_b32 s18, s12
	s_cbranch_execz .LBB506_258
.LBB506_317:
	v_sub_nc_u32_e32 v10, v50, v8
	v_mov_b32_e32 v11, 0
	s_delay_alu instid0(VALU_DEP_1) | instskip(NEXT) | instid1(VALU_DEP_1)
	v_lshlrev_b64 v[10:11], 3, v[10:11]
	v_add_co_u32 v10, vcc_lo, v6, v10
	s_delay_alu instid0(VALU_DEP_2)
	v_add_co_ci_u32_e32 v11, vcc_lo, v7, v11, vcc_lo
	global_store_b64 v[10:11], v[81:82], off
	s_or_b32 exec_lo, exec_lo, s18
	s_and_saveexec_b32 s18, s11
	s_cbranch_execz .LBB506_259
.LBB506_318:
	v_sub_nc_u32_e32 v10, v49, v8
	v_mov_b32_e32 v11, 0
	s_delay_alu instid0(VALU_DEP_1) | instskip(NEXT) | instid1(VALU_DEP_1)
	v_lshlrev_b64 v[10:11], 3, v[10:11]
	v_add_co_u32 v10, vcc_lo, v6, v10
	s_delay_alu instid0(VALU_DEP_2)
	v_add_co_ci_u32_e32 v11, vcc_lo, v7, v11, vcc_lo
	global_store_b64 v[10:11], v[85:86], off
	s_or_b32 exec_lo, exec_lo, s18
	s_and_saveexec_b32 s18, s10
	s_cbranch_execz .LBB506_260
.LBB506_319:
	v_sub_nc_u32_e32 v10, v47, v8
	v_mov_b32_e32 v11, 0
	s_delay_alu instid0(VALU_DEP_1) | instskip(NEXT) | instid1(VALU_DEP_1)
	v_lshlrev_b64 v[10:11], 3, v[10:11]
	v_add_co_u32 v10, vcc_lo, v6, v10
	s_delay_alu instid0(VALU_DEP_2)
	v_add_co_ci_u32_e32 v11, vcc_lo, v7, v11, vcc_lo
	global_store_b64 v[10:11], v[67:68], off
	s_or_b32 exec_lo, exec_lo, s18
	s_and_saveexec_b32 s18, s9
	s_cbranch_execz .LBB506_261
.LBB506_320:
	v_sub_nc_u32_e32 v10, v46, v8
	v_mov_b32_e32 v11, 0
	s_delay_alu instid0(VALU_DEP_1) | instskip(NEXT) | instid1(VALU_DEP_1)
	v_lshlrev_b64 v[10:11], 3, v[10:11]
	v_add_co_u32 v10, vcc_lo, v6, v10
	s_delay_alu instid0(VALU_DEP_2)
	v_add_co_ci_u32_e32 v11, vcc_lo, v7, v11, vcc_lo
	global_store_b64 v[10:11], v[71:72], off
	s_or_b32 exec_lo, exec_lo, s18
	s_and_saveexec_b32 s18, s8
	s_cbranch_execz .LBB506_262
.LBB506_321:
	v_sub_nc_u32_e32 v10, v45, v8
	v_mov_b32_e32 v11, 0
	s_delay_alu instid0(VALU_DEP_1) | instskip(NEXT) | instid1(VALU_DEP_1)
	v_lshlrev_b64 v[10:11], 3, v[10:11]
	v_add_co_u32 v10, vcc_lo, v6, v10
	s_delay_alu instid0(VALU_DEP_2)
	v_add_co_ci_u32_e32 v11, vcc_lo, v7, v11, vcc_lo
	global_store_b64 v[10:11], v[77:78], off
	s_or_b32 exec_lo, exec_lo, s18
	s_and_saveexec_b32 s18, s7
	s_cbranch_execz .LBB506_263
.LBB506_322:
	v_sub_nc_u32_e32 v10, v44, v8
	v_mov_b32_e32 v11, 0
	s_delay_alu instid0(VALU_DEP_1) | instskip(NEXT) | instid1(VALU_DEP_1)
	v_lshlrev_b64 v[10:11], 3, v[10:11]
	v_add_co_u32 v10, vcc_lo, v6, v10
	s_delay_alu instid0(VALU_DEP_2)
	v_add_co_ci_u32_e32 v11, vcc_lo, v7, v11, vcc_lo
	global_store_b64 v[10:11], v[83:84], off
	s_or_b32 exec_lo, exec_lo, s18
	s_and_saveexec_b32 s18, s6
	s_cbranch_execz .LBB506_264
.LBB506_323:
	v_sub_nc_u32_e32 v10, v43, v8
	v_mov_b32_e32 v11, 0
	s_delay_alu instid0(VALU_DEP_1) | instskip(NEXT) | instid1(VALU_DEP_1)
	v_lshlrev_b64 v[10:11], 3, v[10:11]
	v_add_co_u32 v10, vcc_lo, v6, v10
	s_delay_alu instid0(VALU_DEP_2)
	v_add_co_ci_u32_e32 v11, vcc_lo, v7, v11, vcc_lo
	global_store_b64 v[10:11], v[87:88], off
	s_or_b32 exec_lo, exec_lo, s18
	s_and_saveexec_b32 s18, s5
	s_cbranch_execz .LBB506_265
.LBB506_324:
	v_sub_nc_u32_e32 v10, v42, v8
	v_mov_b32_e32 v11, 0
	s_delay_alu instid0(VALU_DEP_1) | instskip(NEXT) | instid1(VALU_DEP_1)
	v_lshlrev_b64 v[10:11], 3, v[10:11]
	v_add_co_u32 v10, vcc_lo, v6, v10
	s_delay_alu instid0(VALU_DEP_2)
	v_add_co_ci_u32_e32 v11, vcc_lo, v7, v11, vcc_lo
	global_store_b64 v[10:11], v[69:70], off
	s_or_b32 exec_lo, exec_lo, s18
	s_and_saveexec_b32 s18, s4
	s_cbranch_execz .LBB506_266
.LBB506_325:
	v_sub_nc_u32_e32 v10, v41, v8
	v_mov_b32_e32 v11, 0
	s_delay_alu instid0(VALU_DEP_1) | instskip(NEXT) | instid1(VALU_DEP_1)
	v_lshlrev_b64 v[10:11], 3, v[10:11]
	v_add_co_u32 v10, vcc_lo, v6, v10
	s_delay_alu instid0(VALU_DEP_2)
	v_add_co_ci_u32_e32 v11, vcc_lo, v7, v11, vcc_lo
	global_store_b64 v[10:11], v[73:74], off
	s_or_b32 exec_lo, exec_lo, s18
	s_and_saveexec_b32 s18, s3
	s_cbranch_execz .LBB506_267
.LBB506_326:
	v_sub_nc_u32_e32 v10, v40, v8
	v_mov_b32_e32 v11, 0
	s_delay_alu instid0(VALU_DEP_1) | instskip(NEXT) | instid1(VALU_DEP_1)
	v_lshlrev_b64 v[10:11], 3, v[10:11]
	v_add_co_u32 v10, vcc_lo, v6, v10
	s_delay_alu instid0(VALU_DEP_2)
	v_add_co_ci_u32_e32 v11, vcc_lo, v7, v11, vcc_lo
	global_store_b64 v[10:11], v[89:90], off
	s_or_b32 exec_lo, exec_lo, s18
	s_and_saveexec_b32 s18, s2
	s_cbranch_execz .LBB506_268
.LBB506_327:
	v_sub_nc_u32_e32 v10, v39, v8
	v_mov_b32_e32 v11, 0
	s_delay_alu instid0(VALU_DEP_1) | instskip(NEXT) | instid1(VALU_DEP_1)
	v_lshlrev_b64 v[10:11], 3, v[10:11]
	v_add_co_u32 v10, vcc_lo, v6, v10
	s_delay_alu instid0(VALU_DEP_2)
	v_add_co_ci_u32_e32 v11, vcc_lo, v7, v11, vcc_lo
	global_store_b64 v[10:11], v[91:92], off
	s_or_b32 exec_lo, exec_lo, s18
	s_and_saveexec_b32 s18, s1
	s_cbranch_execnz .LBB506_269
	s_branch .LBB506_270
.LBB506_328:
	v_sub_nc_u32_e32 v9, v114, v8
	s_delay_alu instid0(VALU_DEP_1)
	v_lshlrev_b32_e32 v9, 3, v9
	ds_store_b64 v9, v[79:80]
	s_or_b32 exec_lo, exec_lo, s18
	s_and_saveexec_b32 s14, s13
	s_cbranch_execz .LBB506_274
.LBB506_329:
	v_sub_nc_u32_e32 v9, v48, v8
	s_delay_alu instid0(VALU_DEP_1)
	v_lshlrev_b32_e32 v9, 3, v9
	ds_store_b64 v9, v[75:76]
	s_or_b32 exec_lo, exec_lo, s14
	s_and_saveexec_b32 s13, s12
	s_cbranch_execz .LBB506_275
.LBB506_330:
	v_sub_nc_u32_e32 v9, v50, v8
	s_delay_alu instid0(VALU_DEP_1)
	v_lshlrev_b32_e32 v9, 3, v9
	ds_store_b64 v9, v[81:82]
	s_or_b32 exec_lo, exec_lo, s13
	s_and_saveexec_b32 s12, s11
	s_cbranch_execz .LBB506_276
.LBB506_331:
	v_sub_nc_u32_e32 v9, v49, v8
	s_delay_alu instid0(VALU_DEP_1)
	v_lshlrev_b32_e32 v9, 3, v9
	ds_store_b64 v9, v[85:86]
	s_or_b32 exec_lo, exec_lo, s12
	s_and_saveexec_b32 s11, s10
	s_cbranch_execz .LBB506_277
.LBB506_332:
	v_sub_nc_u32_e32 v9, v47, v8
	s_delay_alu instid0(VALU_DEP_1)
	v_lshlrev_b32_e32 v9, 3, v9
	ds_store_b64 v9, v[67:68]
	s_or_b32 exec_lo, exec_lo, s11
	s_and_saveexec_b32 s10, s9
	s_cbranch_execz .LBB506_278
.LBB506_333:
	v_sub_nc_u32_e32 v9, v46, v8
	s_delay_alu instid0(VALU_DEP_1)
	v_lshlrev_b32_e32 v9, 3, v9
	ds_store_b64 v9, v[71:72]
	s_or_b32 exec_lo, exec_lo, s10
	s_and_saveexec_b32 s9, s8
	s_cbranch_execz .LBB506_279
.LBB506_334:
	v_sub_nc_u32_e32 v9, v45, v8
	s_delay_alu instid0(VALU_DEP_1)
	v_lshlrev_b32_e32 v9, 3, v9
	ds_store_b64 v9, v[77:78]
	s_or_b32 exec_lo, exec_lo, s9
	s_and_saveexec_b32 s8, s7
	s_cbranch_execz .LBB506_280
.LBB506_335:
	v_sub_nc_u32_e32 v9, v44, v8
	s_delay_alu instid0(VALU_DEP_1)
	v_lshlrev_b32_e32 v9, 3, v9
	ds_store_b64 v9, v[83:84]
	s_or_b32 exec_lo, exec_lo, s8
	s_and_saveexec_b32 s7, s6
	s_cbranch_execz .LBB506_281
.LBB506_336:
	v_sub_nc_u32_e32 v9, v43, v8
	s_delay_alu instid0(VALU_DEP_1)
	v_lshlrev_b32_e32 v9, 3, v9
	ds_store_b64 v9, v[87:88]
	s_or_b32 exec_lo, exec_lo, s7
	s_and_saveexec_b32 s6, s5
	s_cbranch_execz .LBB506_282
.LBB506_337:
	v_sub_nc_u32_e32 v9, v42, v8
	s_delay_alu instid0(VALU_DEP_1)
	v_lshlrev_b32_e32 v9, 3, v9
	ds_store_b64 v9, v[69:70]
	s_or_b32 exec_lo, exec_lo, s6
	s_and_saveexec_b32 s5, s4
	s_cbranch_execz .LBB506_283
.LBB506_338:
	v_sub_nc_u32_e32 v9, v41, v8
	s_delay_alu instid0(VALU_DEP_1)
	v_lshlrev_b32_e32 v9, 3, v9
	ds_store_b64 v9, v[73:74]
	s_or_b32 exec_lo, exec_lo, s5
	s_and_saveexec_b32 s4, s3
	s_cbranch_execz .LBB506_284
.LBB506_339:
	v_sub_nc_u32_e32 v9, v40, v8
	s_delay_alu instid0(VALU_DEP_1)
	v_lshlrev_b32_e32 v9, 3, v9
	ds_store_b64 v9, v[89:90]
	s_or_b32 exec_lo, exec_lo, s4
	s_and_saveexec_b32 s3, s2
	s_cbranch_execz .LBB506_285
.LBB506_340:
	v_sub_nc_u32_e32 v9, v39, v8
	s_delay_alu instid0(VALU_DEP_1)
	v_lshlrev_b32_e32 v9, 3, v9
	ds_store_b64 v9, v[91:92]
	s_or_b32 exec_lo, exec_lo, s3
	s_and_saveexec_b32 s2, s1
	s_cbranch_execnz .LBB506_286
	s_branch .LBB506_287
	.section	.rodata,"a",@progbits
	.p2align	6, 0x0
	.amdhsa_kernel _ZN7rocprim17ROCPRIM_400000_NS6detail17trampoline_kernelINS0_14default_configENS1_29reduce_by_key_config_selectorIxxN6thrust23THRUST_200600_302600_NS4plusIxEEEEZZNS1_33reduce_by_key_impl_wrapped_configILNS1_25lookback_scan_determinismE0ES3_S9_NS6_6detail15normal_iteratorINS6_10device_ptrIxEEEESG_SG_SG_PmS8_NS6_8equal_toIxEEEE10hipError_tPvRmT2_T3_mT4_T5_T6_T7_T8_P12ihipStream_tbENKUlT_T0_E_clISt17integral_constantIbLb0EES10_IbLb1EEEEDaSW_SX_EUlSW_E_NS1_11comp_targetILNS1_3genE9ELNS1_11target_archE1100ELNS1_3gpuE3ELNS1_3repE0EEENS1_30default_config_static_selectorELNS0_4arch9wavefront6targetE0EEEvT1_
		.amdhsa_group_segment_fixed_size 30720
		.amdhsa_private_segment_fixed_size 0
		.amdhsa_kernarg_size 136
		.amdhsa_user_sgpr_count 15
		.amdhsa_user_sgpr_dispatch_ptr 0
		.amdhsa_user_sgpr_queue_ptr 0
		.amdhsa_user_sgpr_kernarg_segment_ptr 1
		.amdhsa_user_sgpr_dispatch_id 0
		.amdhsa_user_sgpr_private_segment_size 0
		.amdhsa_wavefront_size32 1
		.amdhsa_uses_dynamic_stack 0
		.amdhsa_enable_private_segment 0
		.amdhsa_system_sgpr_workgroup_id_x 1
		.amdhsa_system_sgpr_workgroup_id_y 0
		.amdhsa_system_sgpr_workgroup_id_z 0
		.amdhsa_system_sgpr_workgroup_info 0
		.amdhsa_system_vgpr_workitem_id 0
		.amdhsa_next_free_vgpr 121
		.amdhsa_next_free_sgpr 52
		.amdhsa_reserve_vcc 1
		.amdhsa_float_round_mode_32 0
		.amdhsa_float_round_mode_16_64 0
		.amdhsa_float_denorm_mode_32 3
		.amdhsa_float_denorm_mode_16_64 3
		.amdhsa_dx10_clamp 1
		.amdhsa_ieee_mode 1
		.amdhsa_fp16_overflow 0
		.amdhsa_workgroup_processor_mode 1
		.amdhsa_memory_ordered 1
		.amdhsa_forward_progress 0
		.amdhsa_shared_vgpr_count 0
		.amdhsa_exception_fp_ieee_invalid_op 0
		.amdhsa_exception_fp_denorm_src 0
		.amdhsa_exception_fp_ieee_div_zero 0
		.amdhsa_exception_fp_ieee_overflow 0
		.amdhsa_exception_fp_ieee_underflow 0
		.amdhsa_exception_fp_ieee_inexact 0
		.amdhsa_exception_int_div_zero 0
	.end_amdhsa_kernel
	.section	.text._ZN7rocprim17ROCPRIM_400000_NS6detail17trampoline_kernelINS0_14default_configENS1_29reduce_by_key_config_selectorIxxN6thrust23THRUST_200600_302600_NS4plusIxEEEEZZNS1_33reduce_by_key_impl_wrapped_configILNS1_25lookback_scan_determinismE0ES3_S9_NS6_6detail15normal_iteratorINS6_10device_ptrIxEEEESG_SG_SG_PmS8_NS6_8equal_toIxEEEE10hipError_tPvRmT2_T3_mT4_T5_T6_T7_T8_P12ihipStream_tbENKUlT_T0_E_clISt17integral_constantIbLb0EES10_IbLb1EEEEDaSW_SX_EUlSW_E_NS1_11comp_targetILNS1_3genE9ELNS1_11target_archE1100ELNS1_3gpuE3ELNS1_3repE0EEENS1_30default_config_static_selectorELNS0_4arch9wavefront6targetE0EEEvT1_,"axG",@progbits,_ZN7rocprim17ROCPRIM_400000_NS6detail17trampoline_kernelINS0_14default_configENS1_29reduce_by_key_config_selectorIxxN6thrust23THRUST_200600_302600_NS4plusIxEEEEZZNS1_33reduce_by_key_impl_wrapped_configILNS1_25lookback_scan_determinismE0ES3_S9_NS6_6detail15normal_iteratorINS6_10device_ptrIxEEEESG_SG_SG_PmS8_NS6_8equal_toIxEEEE10hipError_tPvRmT2_T3_mT4_T5_T6_T7_T8_P12ihipStream_tbENKUlT_T0_E_clISt17integral_constantIbLb0EES10_IbLb1EEEEDaSW_SX_EUlSW_E_NS1_11comp_targetILNS1_3genE9ELNS1_11target_archE1100ELNS1_3gpuE3ELNS1_3repE0EEENS1_30default_config_static_selectorELNS0_4arch9wavefront6targetE0EEEvT1_,comdat
.Lfunc_end506:
	.size	_ZN7rocprim17ROCPRIM_400000_NS6detail17trampoline_kernelINS0_14default_configENS1_29reduce_by_key_config_selectorIxxN6thrust23THRUST_200600_302600_NS4plusIxEEEEZZNS1_33reduce_by_key_impl_wrapped_configILNS1_25lookback_scan_determinismE0ES3_S9_NS6_6detail15normal_iteratorINS6_10device_ptrIxEEEESG_SG_SG_PmS8_NS6_8equal_toIxEEEE10hipError_tPvRmT2_T3_mT4_T5_T6_T7_T8_P12ihipStream_tbENKUlT_T0_E_clISt17integral_constantIbLb0EES10_IbLb1EEEEDaSW_SX_EUlSW_E_NS1_11comp_targetILNS1_3genE9ELNS1_11target_archE1100ELNS1_3gpuE3ELNS1_3repE0EEENS1_30default_config_static_selectorELNS0_4arch9wavefront6targetE0EEEvT1_, .Lfunc_end506-_ZN7rocprim17ROCPRIM_400000_NS6detail17trampoline_kernelINS0_14default_configENS1_29reduce_by_key_config_selectorIxxN6thrust23THRUST_200600_302600_NS4plusIxEEEEZZNS1_33reduce_by_key_impl_wrapped_configILNS1_25lookback_scan_determinismE0ES3_S9_NS6_6detail15normal_iteratorINS6_10device_ptrIxEEEESG_SG_SG_PmS8_NS6_8equal_toIxEEEE10hipError_tPvRmT2_T3_mT4_T5_T6_T7_T8_P12ihipStream_tbENKUlT_T0_E_clISt17integral_constantIbLb0EES10_IbLb1EEEEDaSW_SX_EUlSW_E_NS1_11comp_targetILNS1_3genE9ELNS1_11target_archE1100ELNS1_3gpuE3ELNS1_3repE0EEENS1_30default_config_static_selectorELNS0_4arch9wavefront6targetE0EEEvT1_
                                        ; -- End function
	.section	.AMDGPU.csdata,"",@progbits
; Kernel info:
; codeLenInByte = 19008
; NumSgprs: 54
; NumVgprs: 121
; ScratchSize: 0
; MemoryBound: 0
; FloatMode: 240
; IeeeMode: 1
; LDSByteSize: 30720 bytes/workgroup (compile time only)
; SGPRBlocks: 6
; VGPRBlocks: 15
; NumSGPRsForWavesPerEU: 54
; NumVGPRsForWavesPerEU: 121
; Occupancy: 8
; WaveLimiterHint : 1
; COMPUTE_PGM_RSRC2:SCRATCH_EN: 0
; COMPUTE_PGM_RSRC2:USER_SGPR: 15
; COMPUTE_PGM_RSRC2:TRAP_HANDLER: 0
; COMPUTE_PGM_RSRC2:TGID_X_EN: 1
; COMPUTE_PGM_RSRC2:TGID_Y_EN: 0
; COMPUTE_PGM_RSRC2:TGID_Z_EN: 0
; COMPUTE_PGM_RSRC2:TIDIG_COMP_CNT: 0
	.section	.text._ZN7rocprim17ROCPRIM_400000_NS6detail17trampoline_kernelINS0_14default_configENS1_29reduce_by_key_config_selectorIxxN6thrust23THRUST_200600_302600_NS4plusIxEEEEZZNS1_33reduce_by_key_impl_wrapped_configILNS1_25lookback_scan_determinismE0ES3_S9_NS6_6detail15normal_iteratorINS6_10device_ptrIxEEEESG_SG_SG_PmS8_NS6_8equal_toIxEEEE10hipError_tPvRmT2_T3_mT4_T5_T6_T7_T8_P12ihipStream_tbENKUlT_T0_E_clISt17integral_constantIbLb0EES10_IbLb1EEEEDaSW_SX_EUlSW_E_NS1_11comp_targetILNS1_3genE8ELNS1_11target_archE1030ELNS1_3gpuE2ELNS1_3repE0EEENS1_30default_config_static_selectorELNS0_4arch9wavefront6targetE0EEEvT1_,"axG",@progbits,_ZN7rocprim17ROCPRIM_400000_NS6detail17trampoline_kernelINS0_14default_configENS1_29reduce_by_key_config_selectorIxxN6thrust23THRUST_200600_302600_NS4plusIxEEEEZZNS1_33reduce_by_key_impl_wrapped_configILNS1_25lookback_scan_determinismE0ES3_S9_NS6_6detail15normal_iteratorINS6_10device_ptrIxEEEESG_SG_SG_PmS8_NS6_8equal_toIxEEEE10hipError_tPvRmT2_T3_mT4_T5_T6_T7_T8_P12ihipStream_tbENKUlT_T0_E_clISt17integral_constantIbLb0EES10_IbLb1EEEEDaSW_SX_EUlSW_E_NS1_11comp_targetILNS1_3genE8ELNS1_11target_archE1030ELNS1_3gpuE2ELNS1_3repE0EEENS1_30default_config_static_selectorELNS0_4arch9wavefront6targetE0EEEvT1_,comdat
	.protected	_ZN7rocprim17ROCPRIM_400000_NS6detail17trampoline_kernelINS0_14default_configENS1_29reduce_by_key_config_selectorIxxN6thrust23THRUST_200600_302600_NS4plusIxEEEEZZNS1_33reduce_by_key_impl_wrapped_configILNS1_25lookback_scan_determinismE0ES3_S9_NS6_6detail15normal_iteratorINS6_10device_ptrIxEEEESG_SG_SG_PmS8_NS6_8equal_toIxEEEE10hipError_tPvRmT2_T3_mT4_T5_T6_T7_T8_P12ihipStream_tbENKUlT_T0_E_clISt17integral_constantIbLb0EES10_IbLb1EEEEDaSW_SX_EUlSW_E_NS1_11comp_targetILNS1_3genE8ELNS1_11target_archE1030ELNS1_3gpuE2ELNS1_3repE0EEENS1_30default_config_static_selectorELNS0_4arch9wavefront6targetE0EEEvT1_ ; -- Begin function _ZN7rocprim17ROCPRIM_400000_NS6detail17trampoline_kernelINS0_14default_configENS1_29reduce_by_key_config_selectorIxxN6thrust23THRUST_200600_302600_NS4plusIxEEEEZZNS1_33reduce_by_key_impl_wrapped_configILNS1_25lookback_scan_determinismE0ES3_S9_NS6_6detail15normal_iteratorINS6_10device_ptrIxEEEESG_SG_SG_PmS8_NS6_8equal_toIxEEEE10hipError_tPvRmT2_T3_mT4_T5_T6_T7_T8_P12ihipStream_tbENKUlT_T0_E_clISt17integral_constantIbLb0EES10_IbLb1EEEEDaSW_SX_EUlSW_E_NS1_11comp_targetILNS1_3genE8ELNS1_11target_archE1030ELNS1_3gpuE2ELNS1_3repE0EEENS1_30default_config_static_selectorELNS0_4arch9wavefront6targetE0EEEvT1_
	.globl	_ZN7rocprim17ROCPRIM_400000_NS6detail17trampoline_kernelINS0_14default_configENS1_29reduce_by_key_config_selectorIxxN6thrust23THRUST_200600_302600_NS4plusIxEEEEZZNS1_33reduce_by_key_impl_wrapped_configILNS1_25lookback_scan_determinismE0ES3_S9_NS6_6detail15normal_iteratorINS6_10device_ptrIxEEEESG_SG_SG_PmS8_NS6_8equal_toIxEEEE10hipError_tPvRmT2_T3_mT4_T5_T6_T7_T8_P12ihipStream_tbENKUlT_T0_E_clISt17integral_constantIbLb0EES10_IbLb1EEEEDaSW_SX_EUlSW_E_NS1_11comp_targetILNS1_3genE8ELNS1_11target_archE1030ELNS1_3gpuE2ELNS1_3repE0EEENS1_30default_config_static_selectorELNS0_4arch9wavefront6targetE0EEEvT1_
	.p2align	8
	.type	_ZN7rocprim17ROCPRIM_400000_NS6detail17trampoline_kernelINS0_14default_configENS1_29reduce_by_key_config_selectorIxxN6thrust23THRUST_200600_302600_NS4plusIxEEEEZZNS1_33reduce_by_key_impl_wrapped_configILNS1_25lookback_scan_determinismE0ES3_S9_NS6_6detail15normal_iteratorINS6_10device_ptrIxEEEESG_SG_SG_PmS8_NS6_8equal_toIxEEEE10hipError_tPvRmT2_T3_mT4_T5_T6_T7_T8_P12ihipStream_tbENKUlT_T0_E_clISt17integral_constantIbLb0EES10_IbLb1EEEEDaSW_SX_EUlSW_E_NS1_11comp_targetILNS1_3genE8ELNS1_11target_archE1030ELNS1_3gpuE2ELNS1_3repE0EEENS1_30default_config_static_selectorELNS0_4arch9wavefront6targetE0EEEvT1_,@function
_ZN7rocprim17ROCPRIM_400000_NS6detail17trampoline_kernelINS0_14default_configENS1_29reduce_by_key_config_selectorIxxN6thrust23THRUST_200600_302600_NS4plusIxEEEEZZNS1_33reduce_by_key_impl_wrapped_configILNS1_25lookback_scan_determinismE0ES3_S9_NS6_6detail15normal_iteratorINS6_10device_ptrIxEEEESG_SG_SG_PmS8_NS6_8equal_toIxEEEE10hipError_tPvRmT2_T3_mT4_T5_T6_T7_T8_P12ihipStream_tbENKUlT_T0_E_clISt17integral_constantIbLb0EES10_IbLb1EEEEDaSW_SX_EUlSW_E_NS1_11comp_targetILNS1_3genE8ELNS1_11target_archE1030ELNS1_3gpuE2ELNS1_3repE0EEENS1_30default_config_static_selectorELNS0_4arch9wavefront6targetE0EEEvT1_: ; @_ZN7rocprim17ROCPRIM_400000_NS6detail17trampoline_kernelINS0_14default_configENS1_29reduce_by_key_config_selectorIxxN6thrust23THRUST_200600_302600_NS4plusIxEEEEZZNS1_33reduce_by_key_impl_wrapped_configILNS1_25lookback_scan_determinismE0ES3_S9_NS6_6detail15normal_iteratorINS6_10device_ptrIxEEEESG_SG_SG_PmS8_NS6_8equal_toIxEEEE10hipError_tPvRmT2_T3_mT4_T5_T6_T7_T8_P12ihipStream_tbENKUlT_T0_E_clISt17integral_constantIbLb0EES10_IbLb1EEEEDaSW_SX_EUlSW_E_NS1_11comp_targetILNS1_3genE8ELNS1_11target_archE1030ELNS1_3gpuE2ELNS1_3repE0EEENS1_30default_config_static_selectorELNS0_4arch9wavefront6targetE0EEEvT1_
; %bb.0:
	.section	.rodata,"a",@progbits
	.p2align	6, 0x0
	.amdhsa_kernel _ZN7rocprim17ROCPRIM_400000_NS6detail17trampoline_kernelINS0_14default_configENS1_29reduce_by_key_config_selectorIxxN6thrust23THRUST_200600_302600_NS4plusIxEEEEZZNS1_33reduce_by_key_impl_wrapped_configILNS1_25lookback_scan_determinismE0ES3_S9_NS6_6detail15normal_iteratorINS6_10device_ptrIxEEEESG_SG_SG_PmS8_NS6_8equal_toIxEEEE10hipError_tPvRmT2_T3_mT4_T5_T6_T7_T8_P12ihipStream_tbENKUlT_T0_E_clISt17integral_constantIbLb0EES10_IbLb1EEEEDaSW_SX_EUlSW_E_NS1_11comp_targetILNS1_3genE8ELNS1_11target_archE1030ELNS1_3gpuE2ELNS1_3repE0EEENS1_30default_config_static_selectorELNS0_4arch9wavefront6targetE0EEEvT1_
		.amdhsa_group_segment_fixed_size 0
		.amdhsa_private_segment_fixed_size 0
		.amdhsa_kernarg_size 136
		.amdhsa_user_sgpr_count 15
		.amdhsa_user_sgpr_dispatch_ptr 0
		.amdhsa_user_sgpr_queue_ptr 0
		.amdhsa_user_sgpr_kernarg_segment_ptr 1
		.amdhsa_user_sgpr_dispatch_id 0
		.amdhsa_user_sgpr_private_segment_size 0
		.amdhsa_wavefront_size32 1
		.amdhsa_uses_dynamic_stack 0
		.amdhsa_enable_private_segment 0
		.amdhsa_system_sgpr_workgroup_id_x 1
		.amdhsa_system_sgpr_workgroup_id_y 0
		.amdhsa_system_sgpr_workgroup_id_z 0
		.amdhsa_system_sgpr_workgroup_info 0
		.amdhsa_system_vgpr_workitem_id 0
		.amdhsa_next_free_vgpr 1
		.amdhsa_next_free_sgpr 1
		.amdhsa_reserve_vcc 0
		.amdhsa_float_round_mode_32 0
		.amdhsa_float_round_mode_16_64 0
		.amdhsa_float_denorm_mode_32 3
		.amdhsa_float_denorm_mode_16_64 3
		.amdhsa_dx10_clamp 1
		.amdhsa_ieee_mode 1
		.amdhsa_fp16_overflow 0
		.amdhsa_workgroup_processor_mode 1
		.amdhsa_memory_ordered 1
		.amdhsa_forward_progress 0
		.amdhsa_shared_vgpr_count 0
		.amdhsa_exception_fp_ieee_invalid_op 0
		.amdhsa_exception_fp_denorm_src 0
		.amdhsa_exception_fp_ieee_div_zero 0
		.amdhsa_exception_fp_ieee_overflow 0
		.amdhsa_exception_fp_ieee_underflow 0
		.amdhsa_exception_fp_ieee_inexact 0
		.amdhsa_exception_int_div_zero 0
	.end_amdhsa_kernel
	.section	.text._ZN7rocprim17ROCPRIM_400000_NS6detail17trampoline_kernelINS0_14default_configENS1_29reduce_by_key_config_selectorIxxN6thrust23THRUST_200600_302600_NS4plusIxEEEEZZNS1_33reduce_by_key_impl_wrapped_configILNS1_25lookback_scan_determinismE0ES3_S9_NS6_6detail15normal_iteratorINS6_10device_ptrIxEEEESG_SG_SG_PmS8_NS6_8equal_toIxEEEE10hipError_tPvRmT2_T3_mT4_T5_T6_T7_T8_P12ihipStream_tbENKUlT_T0_E_clISt17integral_constantIbLb0EES10_IbLb1EEEEDaSW_SX_EUlSW_E_NS1_11comp_targetILNS1_3genE8ELNS1_11target_archE1030ELNS1_3gpuE2ELNS1_3repE0EEENS1_30default_config_static_selectorELNS0_4arch9wavefront6targetE0EEEvT1_,"axG",@progbits,_ZN7rocprim17ROCPRIM_400000_NS6detail17trampoline_kernelINS0_14default_configENS1_29reduce_by_key_config_selectorIxxN6thrust23THRUST_200600_302600_NS4plusIxEEEEZZNS1_33reduce_by_key_impl_wrapped_configILNS1_25lookback_scan_determinismE0ES3_S9_NS6_6detail15normal_iteratorINS6_10device_ptrIxEEEESG_SG_SG_PmS8_NS6_8equal_toIxEEEE10hipError_tPvRmT2_T3_mT4_T5_T6_T7_T8_P12ihipStream_tbENKUlT_T0_E_clISt17integral_constantIbLb0EES10_IbLb1EEEEDaSW_SX_EUlSW_E_NS1_11comp_targetILNS1_3genE8ELNS1_11target_archE1030ELNS1_3gpuE2ELNS1_3repE0EEENS1_30default_config_static_selectorELNS0_4arch9wavefront6targetE0EEEvT1_,comdat
.Lfunc_end507:
	.size	_ZN7rocprim17ROCPRIM_400000_NS6detail17trampoline_kernelINS0_14default_configENS1_29reduce_by_key_config_selectorIxxN6thrust23THRUST_200600_302600_NS4plusIxEEEEZZNS1_33reduce_by_key_impl_wrapped_configILNS1_25lookback_scan_determinismE0ES3_S9_NS6_6detail15normal_iteratorINS6_10device_ptrIxEEEESG_SG_SG_PmS8_NS6_8equal_toIxEEEE10hipError_tPvRmT2_T3_mT4_T5_T6_T7_T8_P12ihipStream_tbENKUlT_T0_E_clISt17integral_constantIbLb0EES10_IbLb1EEEEDaSW_SX_EUlSW_E_NS1_11comp_targetILNS1_3genE8ELNS1_11target_archE1030ELNS1_3gpuE2ELNS1_3repE0EEENS1_30default_config_static_selectorELNS0_4arch9wavefront6targetE0EEEvT1_, .Lfunc_end507-_ZN7rocprim17ROCPRIM_400000_NS6detail17trampoline_kernelINS0_14default_configENS1_29reduce_by_key_config_selectorIxxN6thrust23THRUST_200600_302600_NS4plusIxEEEEZZNS1_33reduce_by_key_impl_wrapped_configILNS1_25lookback_scan_determinismE0ES3_S9_NS6_6detail15normal_iteratorINS6_10device_ptrIxEEEESG_SG_SG_PmS8_NS6_8equal_toIxEEEE10hipError_tPvRmT2_T3_mT4_T5_T6_T7_T8_P12ihipStream_tbENKUlT_T0_E_clISt17integral_constantIbLb0EES10_IbLb1EEEEDaSW_SX_EUlSW_E_NS1_11comp_targetILNS1_3genE8ELNS1_11target_archE1030ELNS1_3gpuE2ELNS1_3repE0EEENS1_30default_config_static_selectorELNS0_4arch9wavefront6targetE0EEEvT1_
                                        ; -- End function
	.section	.AMDGPU.csdata,"",@progbits
; Kernel info:
; codeLenInByte = 0
; NumSgprs: 0
; NumVgprs: 0
; ScratchSize: 0
; MemoryBound: 0
; FloatMode: 240
; IeeeMode: 1
; LDSByteSize: 0 bytes/workgroup (compile time only)
; SGPRBlocks: 0
; VGPRBlocks: 0
; NumSGPRsForWavesPerEU: 1
; NumVGPRsForWavesPerEU: 1
; Occupancy: 16
; WaveLimiterHint : 0
; COMPUTE_PGM_RSRC2:SCRATCH_EN: 0
; COMPUTE_PGM_RSRC2:USER_SGPR: 15
; COMPUTE_PGM_RSRC2:TRAP_HANDLER: 0
; COMPUTE_PGM_RSRC2:TGID_X_EN: 1
; COMPUTE_PGM_RSRC2:TGID_Y_EN: 0
; COMPUTE_PGM_RSRC2:TGID_Z_EN: 0
; COMPUTE_PGM_RSRC2:TIDIG_COMP_CNT: 0
	.section	.text._ZN7rocprim17ROCPRIM_400000_NS6detail17trampoline_kernelINS0_14default_configENS1_29reduce_by_key_config_selectorIxxN6thrust23THRUST_200600_302600_NS4plusIxEEEEZZNS1_33reduce_by_key_impl_wrapped_configILNS1_25lookback_scan_determinismE0ES3_S9_NS6_6detail15normal_iteratorINS6_10device_ptrIxEEEESG_SG_SG_PmS8_22is_equal_div_10_reduceIxEEE10hipError_tPvRmT2_T3_mT4_T5_T6_T7_T8_P12ihipStream_tbENKUlT_T0_E_clISt17integral_constantIbLb0EES11_EEDaSW_SX_EUlSW_E_NS1_11comp_targetILNS1_3genE0ELNS1_11target_archE4294967295ELNS1_3gpuE0ELNS1_3repE0EEENS1_30default_config_static_selectorELNS0_4arch9wavefront6targetE0EEEvT1_,"axG",@progbits,_ZN7rocprim17ROCPRIM_400000_NS6detail17trampoline_kernelINS0_14default_configENS1_29reduce_by_key_config_selectorIxxN6thrust23THRUST_200600_302600_NS4plusIxEEEEZZNS1_33reduce_by_key_impl_wrapped_configILNS1_25lookback_scan_determinismE0ES3_S9_NS6_6detail15normal_iteratorINS6_10device_ptrIxEEEESG_SG_SG_PmS8_22is_equal_div_10_reduceIxEEE10hipError_tPvRmT2_T3_mT4_T5_T6_T7_T8_P12ihipStream_tbENKUlT_T0_E_clISt17integral_constantIbLb0EES11_EEDaSW_SX_EUlSW_E_NS1_11comp_targetILNS1_3genE0ELNS1_11target_archE4294967295ELNS1_3gpuE0ELNS1_3repE0EEENS1_30default_config_static_selectorELNS0_4arch9wavefront6targetE0EEEvT1_,comdat
	.protected	_ZN7rocprim17ROCPRIM_400000_NS6detail17trampoline_kernelINS0_14default_configENS1_29reduce_by_key_config_selectorIxxN6thrust23THRUST_200600_302600_NS4plusIxEEEEZZNS1_33reduce_by_key_impl_wrapped_configILNS1_25lookback_scan_determinismE0ES3_S9_NS6_6detail15normal_iteratorINS6_10device_ptrIxEEEESG_SG_SG_PmS8_22is_equal_div_10_reduceIxEEE10hipError_tPvRmT2_T3_mT4_T5_T6_T7_T8_P12ihipStream_tbENKUlT_T0_E_clISt17integral_constantIbLb0EES11_EEDaSW_SX_EUlSW_E_NS1_11comp_targetILNS1_3genE0ELNS1_11target_archE4294967295ELNS1_3gpuE0ELNS1_3repE0EEENS1_30default_config_static_selectorELNS0_4arch9wavefront6targetE0EEEvT1_ ; -- Begin function _ZN7rocprim17ROCPRIM_400000_NS6detail17trampoline_kernelINS0_14default_configENS1_29reduce_by_key_config_selectorIxxN6thrust23THRUST_200600_302600_NS4plusIxEEEEZZNS1_33reduce_by_key_impl_wrapped_configILNS1_25lookback_scan_determinismE0ES3_S9_NS6_6detail15normal_iteratorINS6_10device_ptrIxEEEESG_SG_SG_PmS8_22is_equal_div_10_reduceIxEEE10hipError_tPvRmT2_T3_mT4_T5_T6_T7_T8_P12ihipStream_tbENKUlT_T0_E_clISt17integral_constantIbLb0EES11_EEDaSW_SX_EUlSW_E_NS1_11comp_targetILNS1_3genE0ELNS1_11target_archE4294967295ELNS1_3gpuE0ELNS1_3repE0EEENS1_30default_config_static_selectorELNS0_4arch9wavefront6targetE0EEEvT1_
	.globl	_ZN7rocprim17ROCPRIM_400000_NS6detail17trampoline_kernelINS0_14default_configENS1_29reduce_by_key_config_selectorIxxN6thrust23THRUST_200600_302600_NS4plusIxEEEEZZNS1_33reduce_by_key_impl_wrapped_configILNS1_25lookback_scan_determinismE0ES3_S9_NS6_6detail15normal_iteratorINS6_10device_ptrIxEEEESG_SG_SG_PmS8_22is_equal_div_10_reduceIxEEE10hipError_tPvRmT2_T3_mT4_T5_T6_T7_T8_P12ihipStream_tbENKUlT_T0_E_clISt17integral_constantIbLb0EES11_EEDaSW_SX_EUlSW_E_NS1_11comp_targetILNS1_3genE0ELNS1_11target_archE4294967295ELNS1_3gpuE0ELNS1_3repE0EEENS1_30default_config_static_selectorELNS0_4arch9wavefront6targetE0EEEvT1_
	.p2align	8
	.type	_ZN7rocprim17ROCPRIM_400000_NS6detail17trampoline_kernelINS0_14default_configENS1_29reduce_by_key_config_selectorIxxN6thrust23THRUST_200600_302600_NS4plusIxEEEEZZNS1_33reduce_by_key_impl_wrapped_configILNS1_25lookback_scan_determinismE0ES3_S9_NS6_6detail15normal_iteratorINS6_10device_ptrIxEEEESG_SG_SG_PmS8_22is_equal_div_10_reduceIxEEE10hipError_tPvRmT2_T3_mT4_T5_T6_T7_T8_P12ihipStream_tbENKUlT_T0_E_clISt17integral_constantIbLb0EES11_EEDaSW_SX_EUlSW_E_NS1_11comp_targetILNS1_3genE0ELNS1_11target_archE4294967295ELNS1_3gpuE0ELNS1_3repE0EEENS1_30default_config_static_selectorELNS0_4arch9wavefront6targetE0EEEvT1_,@function
_ZN7rocprim17ROCPRIM_400000_NS6detail17trampoline_kernelINS0_14default_configENS1_29reduce_by_key_config_selectorIxxN6thrust23THRUST_200600_302600_NS4plusIxEEEEZZNS1_33reduce_by_key_impl_wrapped_configILNS1_25lookback_scan_determinismE0ES3_S9_NS6_6detail15normal_iteratorINS6_10device_ptrIxEEEESG_SG_SG_PmS8_22is_equal_div_10_reduceIxEEE10hipError_tPvRmT2_T3_mT4_T5_T6_T7_T8_P12ihipStream_tbENKUlT_T0_E_clISt17integral_constantIbLb0EES11_EEDaSW_SX_EUlSW_E_NS1_11comp_targetILNS1_3genE0ELNS1_11target_archE4294967295ELNS1_3gpuE0ELNS1_3repE0EEENS1_30default_config_static_selectorELNS0_4arch9wavefront6targetE0EEEvT1_: ; @_ZN7rocprim17ROCPRIM_400000_NS6detail17trampoline_kernelINS0_14default_configENS1_29reduce_by_key_config_selectorIxxN6thrust23THRUST_200600_302600_NS4plusIxEEEEZZNS1_33reduce_by_key_impl_wrapped_configILNS1_25lookback_scan_determinismE0ES3_S9_NS6_6detail15normal_iteratorINS6_10device_ptrIxEEEESG_SG_SG_PmS8_22is_equal_div_10_reduceIxEEE10hipError_tPvRmT2_T3_mT4_T5_T6_T7_T8_P12ihipStream_tbENKUlT_T0_E_clISt17integral_constantIbLb0EES11_EEDaSW_SX_EUlSW_E_NS1_11comp_targetILNS1_3genE0ELNS1_11target_archE4294967295ELNS1_3gpuE0ELNS1_3repE0EEENS1_30default_config_static_selectorELNS0_4arch9wavefront6targetE0EEEvT1_
; %bb.0:
	.section	.rodata,"a",@progbits
	.p2align	6, 0x0
	.amdhsa_kernel _ZN7rocprim17ROCPRIM_400000_NS6detail17trampoline_kernelINS0_14default_configENS1_29reduce_by_key_config_selectorIxxN6thrust23THRUST_200600_302600_NS4plusIxEEEEZZNS1_33reduce_by_key_impl_wrapped_configILNS1_25lookback_scan_determinismE0ES3_S9_NS6_6detail15normal_iteratorINS6_10device_ptrIxEEEESG_SG_SG_PmS8_22is_equal_div_10_reduceIxEEE10hipError_tPvRmT2_T3_mT4_T5_T6_T7_T8_P12ihipStream_tbENKUlT_T0_E_clISt17integral_constantIbLb0EES11_EEDaSW_SX_EUlSW_E_NS1_11comp_targetILNS1_3genE0ELNS1_11target_archE4294967295ELNS1_3gpuE0ELNS1_3repE0EEENS1_30default_config_static_selectorELNS0_4arch9wavefront6targetE0EEEvT1_
		.amdhsa_group_segment_fixed_size 0
		.amdhsa_private_segment_fixed_size 0
		.amdhsa_kernarg_size 136
		.amdhsa_user_sgpr_count 15
		.amdhsa_user_sgpr_dispatch_ptr 0
		.amdhsa_user_sgpr_queue_ptr 0
		.amdhsa_user_sgpr_kernarg_segment_ptr 1
		.amdhsa_user_sgpr_dispatch_id 0
		.amdhsa_user_sgpr_private_segment_size 0
		.amdhsa_wavefront_size32 1
		.amdhsa_uses_dynamic_stack 0
		.amdhsa_enable_private_segment 0
		.amdhsa_system_sgpr_workgroup_id_x 1
		.amdhsa_system_sgpr_workgroup_id_y 0
		.amdhsa_system_sgpr_workgroup_id_z 0
		.amdhsa_system_sgpr_workgroup_info 0
		.amdhsa_system_vgpr_workitem_id 0
		.amdhsa_next_free_vgpr 1
		.amdhsa_next_free_sgpr 1
		.amdhsa_reserve_vcc 0
		.amdhsa_float_round_mode_32 0
		.amdhsa_float_round_mode_16_64 0
		.amdhsa_float_denorm_mode_32 3
		.amdhsa_float_denorm_mode_16_64 3
		.amdhsa_dx10_clamp 1
		.amdhsa_ieee_mode 1
		.amdhsa_fp16_overflow 0
		.amdhsa_workgroup_processor_mode 1
		.amdhsa_memory_ordered 1
		.amdhsa_forward_progress 0
		.amdhsa_shared_vgpr_count 0
		.amdhsa_exception_fp_ieee_invalid_op 0
		.amdhsa_exception_fp_denorm_src 0
		.amdhsa_exception_fp_ieee_div_zero 0
		.amdhsa_exception_fp_ieee_overflow 0
		.amdhsa_exception_fp_ieee_underflow 0
		.amdhsa_exception_fp_ieee_inexact 0
		.amdhsa_exception_int_div_zero 0
	.end_amdhsa_kernel
	.section	.text._ZN7rocprim17ROCPRIM_400000_NS6detail17trampoline_kernelINS0_14default_configENS1_29reduce_by_key_config_selectorIxxN6thrust23THRUST_200600_302600_NS4plusIxEEEEZZNS1_33reduce_by_key_impl_wrapped_configILNS1_25lookback_scan_determinismE0ES3_S9_NS6_6detail15normal_iteratorINS6_10device_ptrIxEEEESG_SG_SG_PmS8_22is_equal_div_10_reduceIxEEE10hipError_tPvRmT2_T3_mT4_T5_T6_T7_T8_P12ihipStream_tbENKUlT_T0_E_clISt17integral_constantIbLb0EES11_EEDaSW_SX_EUlSW_E_NS1_11comp_targetILNS1_3genE0ELNS1_11target_archE4294967295ELNS1_3gpuE0ELNS1_3repE0EEENS1_30default_config_static_selectorELNS0_4arch9wavefront6targetE0EEEvT1_,"axG",@progbits,_ZN7rocprim17ROCPRIM_400000_NS6detail17trampoline_kernelINS0_14default_configENS1_29reduce_by_key_config_selectorIxxN6thrust23THRUST_200600_302600_NS4plusIxEEEEZZNS1_33reduce_by_key_impl_wrapped_configILNS1_25lookback_scan_determinismE0ES3_S9_NS6_6detail15normal_iteratorINS6_10device_ptrIxEEEESG_SG_SG_PmS8_22is_equal_div_10_reduceIxEEE10hipError_tPvRmT2_T3_mT4_T5_T6_T7_T8_P12ihipStream_tbENKUlT_T0_E_clISt17integral_constantIbLb0EES11_EEDaSW_SX_EUlSW_E_NS1_11comp_targetILNS1_3genE0ELNS1_11target_archE4294967295ELNS1_3gpuE0ELNS1_3repE0EEENS1_30default_config_static_selectorELNS0_4arch9wavefront6targetE0EEEvT1_,comdat
.Lfunc_end508:
	.size	_ZN7rocprim17ROCPRIM_400000_NS6detail17trampoline_kernelINS0_14default_configENS1_29reduce_by_key_config_selectorIxxN6thrust23THRUST_200600_302600_NS4plusIxEEEEZZNS1_33reduce_by_key_impl_wrapped_configILNS1_25lookback_scan_determinismE0ES3_S9_NS6_6detail15normal_iteratorINS6_10device_ptrIxEEEESG_SG_SG_PmS8_22is_equal_div_10_reduceIxEEE10hipError_tPvRmT2_T3_mT4_T5_T6_T7_T8_P12ihipStream_tbENKUlT_T0_E_clISt17integral_constantIbLb0EES11_EEDaSW_SX_EUlSW_E_NS1_11comp_targetILNS1_3genE0ELNS1_11target_archE4294967295ELNS1_3gpuE0ELNS1_3repE0EEENS1_30default_config_static_selectorELNS0_4arch9wavefront6targetE0EEEvT1_, .Lfunc_end508-_ZN7rocprim17ROCPRIM_400000_NS6detail17trampoline_kernelINS0_14default_configENS1_29reduce_by_key_config_selectorIxxN6thrust23THRUST_200600_302600_NS4plusIxEEEEZZNS1_33reduce_by_key_impl_wrapped_configILNS1_25lookback_scan_determinismE0ES3_S9_NS6_6detail15normal_iteratorINS6_10device_ptrIxEEEESG_SG_SG_PmS8_22is_equal_div_10_reduceIxEEE10hipError_tPvRmT2_T3_mT4_T5_T6_T7_T8_P12ihipStream_tbENKUlT_T0_E_clISt17integral_constantIbLb0EES11_EEDaSW_SX_EUlSW_E_NS1_11comp_targetILNS1_3genE0ELNS1_11target_archE4294967295ELNS1_3gpuE0ELNS1_3repE0EEENS1_30default_config_static_selectorELNS0_4arch9wavefront6targetE0EEEvT1_
                                        ; -- End function
	.section	.AMDGPU.csdata,"",@progbits
; Kernel info:
; codeLenInByte = 0
; NumSgprs: 0
; NumVgprs: 0
; ScratchSize: 0
; MemoryBound: 0
; FloatMode: 240
; IeeeMode: 1
; LDSByteSize: 0 bytes/workgroup (compile time only)
; SGPRBlocks: 0
; VGPRBlocks: 0
; NumSGPRsForWavesPerEU: 1
; NumVGPRsForWavesPerEU: 1
; Occupancy: 16
; WaveLimiterHint : 0
; COMPUTE_PGM_RSRC2:SCRATCH_EN: 0
; COMPUTE_PGM_RSRC2:USER_SGPR: 15
; COMPUTE_PGM_RSRC2:TRAP_HANDLER: 0
; COMPUTE_PGM_RSRC2:TGID_X_EN: 1
; COMPUTE_PGM_RSRC2:TGID_Y_EN: 0
; COMPUTE_PGM_RSRC2:TGID_Z_EN: 0
; COMPUTE_PGM_RSRC2:TIDIG_COMP_CNT: 0
	.section	.text._ZN7rocprim17ROCPRIM_400000_NS6detail17trampoline_kernelINS0_14default_configENS1_29reduce_by_key_config_selectorIxxN6thrust23THRUST_200600_302600_NS4plusIxEEEEZZNS1_33reduce_by_key_impl_wrapped_configILNS1_25lookback_scan_determinismE0ES3_S9_NS6_6detail15normal_iteratorINS6_10device_ptrIxEEEESG_SG_SG_PmS8_22is_equal_div_10_reduceIxEEE10hipError_tPvRmT2_T3_mT4_T5_T6_T7_T8_P12ihipStream_tbENKUlT_T0_E_clISt17integral_constantIbLb0EES11_EEDaSW_SX_EUlSW_E_NS1_11comp_targetILNS1_3genE5ELNS1_11target_archE942ELNS1_3gpuE9ELNS1_3repE0EEENS1_30default_config_static_selectorELNS0_4arch9wavefront6targetE0EEEvT1_,"axG",@progbits,_ZN7rocprim17ROCPRIM_400000_NS6detail17trampoline_kernelINS0_14default_configENS1_29reduce_by_key_config_selectorIxxN6thrust23THRUST_200600_302600_NS4plusIxEEEEZZNS1_33reduce_by_key_impl_wrapped_configILNS1_25lookback_scan_determinismE0ES3_S9_NS6_6detail15normal_iteratorINS6_10device_ptrIxEEEESG_SG_SG_PmS8_22is_equal_div_10_reduceIxEEE10hipError_tPvRmT2_T3_mT4_T5_T6_T7_T8_P12ihipStream_tbENKUlT_T0_E_clISt17integral_constantIbLb0EES11_EEDaSW_SX_EUlSW_E_NS1_11comp_targetILNS1_3genE5ELNS1_11target_archE942ELNS1_3gpuE9ELNS1_3repE0EEENS1_30default_config_static_selectorELNS0_4arch9wavefront6targetE0EEEvT1_,comdat
	.protected	_ZN7rocprim17ROCPRIM_400000_NS6detail17trampoline_kernelINS0_14default_configENS1_29reduce_by_key_config_selectorIxxN6thrust23THRUST_200600_302600_NS4plusIxEEEEZZNS1_33reduce_by_key_impl_wrapped_configILNS1_25lookback_scan_determinismE0ES3_S9_NS6_6detail15normal_iteratorINS6_10device_ptrIxEEEESG_SG_SG_PmS8_22is_equal_div_10_reduceIxEEE10hipError_tPvRmT2_T3_mT4_T5_T6_T7_T8_P12ihipStream_tbENKUlT_T0_E_clISt17integral_constantIbLb0EES11_EEDaSW_SX_EUlSW_E_NS1_11comp_targetILNS1_3genE5ELNS1_11target_archE942ELNS1_3gpuE9ELNS1_3repE0EEENS1_30default_config_static_selectorELNS0_4arch9wavefront6targetE0EEEvT1_ ; -- Begin function _ZN7rocprim17ROCPRIM_400000_NS6detail17trampoline_kernelINS0_14default_configENS1_29reduce_by_key_config_selectorIxxN6thrust23THRUST_200600_302600_NS4plusIxEEEEZZNS1_33reduce_by_key_impl_wrapped_configILNS1_25lookback_scan_determinismE0ES3_S9_NS6_6detail15normal_iteratorINS6_10device_ptrIxEEEESG_SG_SG_PmS8_22is_equal_div_10_reduceIxEEE10hipError_tPvRmT2_T3_mT4_T5_T6_T7_T8_P12ihipStream_tbENKUlT_T0_E_clISt17integral_constantIbLb0EES11_EEDaSW_SX_EUlSW_E_NS1_11comp_targetILNS1_3genE5ELNS1_11target_archE942ELNS1_3gpuE9ELNS1_3repE0EEENS1_30default_config_static_selectorELNS0_4arch9wavefront6targetE0EEEvT1_
	.globl	_ZN7rocprim17ROCPRIM_400000_NS6detail17trampoline_kernelINS0_14default_configENS1_29reduce_by_key_config_selectorIxxN6thrust23THRUST_200600_302600_NS4plusIxEEEEZZNS1_33reduce_by_key_impl_wrapped_configILNS1_25lookback_scan_determinismE0ES3_S9_NS6_6detail15normal_iteratorINS6_10device_ptrIxEEEESG_SG_SG_PmS8_22is_equal_div_10_reduceIxEEE10hipError_tPvRmT2_T3_mT4_T5_T6_T7_T8_P12ihipStream_tbENKUlT_T0_E_clISt17integral_constantIbLb0EES11_EEDaSW_SX_EUlSW_E_NS1_11comp_targetILNS1_3genE5ELNS1_11target_archE942ELNS1_3gpuE9ELNS1_3repE0EEENS1_30default_config_static_selectorELNS0_4arch9wavefront6targetE0EEEvT1_
	.p2align	8
	.type	_ZN7rocprim17ROCPRIM_400000_NS6detail17trampoline_kernelINS0_14default_configENS1_29reduce_by_key_config_selectorIxxN6thrust23THRUST_200600_302600_NS4plusIxEEEEZZNS1_33reduce_by_key_impl_wrapped_configILNS1_25lookback_scan_determinismE0ES3_S9_NS6_6detail15normal_iteratorINS6_10device_ptrIxEEEESG_SG_SG_PmS8_22is_equal_div_10_reduceIxEEE10hipError_tPvRmT2_T3_mT4_T5_T6_T7_T8_P12ihipStream_tbENKUlT_T0_E_clISt17integral_constantIbLb0EES11_EEDaSW_SX_EUlSW_E_NS1_11comp_targetILNS1_3genE5ELNS1_11target_archE942ELNS1_3gpuE9ELNS1_3repE0EEENS1_30default_config_static_selectorELNS0_4arch9wavefront6targetE0EEEvT1_,@function
_ZN7rocprim17ROCPRIM_400000_NS6detail17trampoline_kernelINS0_14default_configENS1_29reduce_by_key_config_selectorIxxN6thrust23THRUST_200600_302600_NS4plusIxEEEEZZNS1_33reduce_by_key_impl_wrapped_configILNS1_25lookback_scan_determinismE0ES3_S9_NS6_6detail15normal_iteratorINS6_10device_ptrIxEEEESG_SG_SG_PmS8_22is_equal_div_10_reduceIxEEE10hipError_tPvRmT2_T3_mT4_T5_T6_T7_T8_P12ihipStream_tbENKUlT_T0_E_clISt17integral_constantIbLb0EES11_EEDaSW_SX_EUlSW_E_NS1_11comp_targetILNS1_3genE5ELNS1_11target_archE942ELNS1_3gpuE9ELNS1_3repE0EEENS1_30default_config_static_selectorELNS0_4arch9wavefront6targetE0EEEvT1_: ; @_ZN7rocprim17ROCPRIM_400000_NS6detail17trampoline_kernelINS0_14default_configENS1_29reduce_by_key_config_selectorIxxN6thrust23THRUST_200600_302600_NS4plusIxEEEEZZNS1_33reduce_by_key_impl_wrapped_configILNS1_25lookback_scan_determinismE0ES3_S9_NS6_6detail15normal_iteratorINS6_10device_ptrIxEEEESG_SG_SG_PmS8_22is_equal_div_10_reduceIxEEE10hipError_tPvRmT2_T3_mT4_T5_T6_T7_T8_P12ihipStream_tbENKUlT_T0_E_clISt17integral_constantIbLb0EES11_EEDaSW_SX_EUlSW_E_NS1_11comp_targetILNS1_3genE5ELNS1_11target_archE942ELNS1_3gpuE9ELNS1_3repE0EEENS1_30default_config_static_selectorELNS0_4arch9wavefront6targetE0EEEvT1_
; %bb.0:
	.section	.rodata,"a",@progbits
	.p2align	6, 0x0
	.amdhsa_kernel _ZN7rocprim17ROCPRIM_400000_NS6detail17trampoline_kernelINS0_14default_configENS1_29reduce_by_key_config_selectorIxxN6thrust23THRUST_200600_302600_NS4plusIxEEEEZZNS1_33reduce_by_key_impl_wrapped_configILNS1_25lookback_scan_determinismE0ES3_S9_NS6_6detail15normal_iteratorINS6_10device_ptrIxEEEESG_SG_SG_PmS8_22is_equal_div_10_reduceIxEEE10hipError_tPvRmT2_T3_mT4_T5_T6_T7_T8_P12ihipStream_tbENKUlT_T0_E_clISt17integral_constantIbLb0EES11_EEDaSW_SX_EUlSW_E_NS1_11comp_targetILNS1_3genE5ELNS1_11target_archE942ELNS1_3gpuE9ELNS1_3repE0EEENS1_30default_config_static_selectorELNS0_4arch9wavefront6targetE0EEEvT1_
		.amdhsa_group_segment_fixed_size 0
		.amdhsa_private_segment_fixed_size 0
		.amdhsa_kernarg_size 136
		.amdhsa_user_sgpr_count 15
		.amdhsa_user_sgpr_dispatch_ptr 0
		.amdhsa_user_sgpr_queue_ptr 0
		.amdhsa_user_sgpr_kernarg_segment_ptr 1
		.amdhsa_user_sgpr_dispatch_id 0
		.amdhsa_user_sgpr_private_segment_size 0
		.amdhsa_wavefront_size32 1
		.amdhsa_uses_dynamic_stack 0
		.amdhsa_enable_private_segment 0
		.amdhsa_system_sgpr_workgroup_id_x 1
		.amdhsa_system_sgpr_workgroup_id_y 0
		.amdhsa_system_sgpr_workgroup_id_z 0
		.amdhsa_system_sgpr_workgroup_info 0
		.amdhsa_system_vgpr_workitem_id 0
		.amdhsa_next_free_vgpr 1
		.amdhsa_next_free_sgpr 1
		.amdhsa_reserve_vcc 0
		.amdhsa_float_round_mode_32 0
		.amdhsa_float_round_mode_16_64 0
		.amdhsa_float_denorm_mode_32 3
		.amdhsa_float_denorm_mode_16_64 3
		.amdhsa_dx10_clamp 1
		.amdhsa_ieee_mode 1
		.amdhsa_fp16_overflow 0
		.amdhsa_workgroup_processor_mode 1
		.amdhsa_memory_ordered 1
		.amdhsa_forward_progress 0
		.amdhsa_shared_vgpr_count 0
		.amdhsa_exception_fp_ieee_invalid_op 0
		.amdhsa_exception_fp_denorm_src 0
		.amdhsa_exception_fp_ieee_div_zero 0
		.amdhsa_exception_fp_ieee_overflow 0
		.amdhsa_exception_fp_ieee_underflow 0
		.amdhsa_exception_fp_ieee_inexact 0
		.amdhsa_exception_int_div_zero 0
	.end_amdhsa_kernel
	.section	.text._ZN7rocprim17ROCPRIM_400000_NS6detail17trampoline_kernelINS0_14default_configENS1_29reduce_by_key_config_selectorIxxN6thrust23THRUST_200600_302600_NS4plusIxEEEEZZNS1_33reduce_by_key_impl_wrapped_configILNS1_25lookback_scan_determinismE0ES3_S9_NS6_6detail15normal_iteratorINS6_10device_ptrIxEEEESG_SG_SG_PmS8_22is_equal_div_10_reduceIxEEE10hipError_tPvRmT2_T3_mT4_T5_T6_T7_T8_P12ihipStream_tbENKUlT_T0_E_clISt17integral_constantIbLb0EES11_EEDaSW_SX_EUlSW_E_NS1_11comp_targetILNS1_3genE5ELNS1_11target_archE942ELNS1_3gpuE9ELNS1_3repE0EEENS1_30default_config_static_selectorELNS0_4arch9wavefront6targetE0EEEvT1_,"axG",@progbits,_ZN7rocprim17ROCPRIM_400000_NS6detail17trampoline_kernelINS0_14default_configENS1_29reduce_by_key_config_selectorIxxN6thrust23THRUST_200600_302600_NS4plusIxEEEEZZNS1_33reduce_by_key_impl_wrapped_configILNS1_25lookback_scan_determinismE0ES3_S9_NS6_6detail15normal_iteratorINS6_10device_ptrIxEEEESG_SG_SG_PmS8_22is_equal_div_10_reduceIxEEE10hipError_tPvRmT2_T3_mT4_T5_T6_T7_T8_P12ihipStream_tbENKUlT_T0_E_clISt17integral_constantIbLb0EES11_EEDaSW_SX_EUlSW_E_NS1_11comp_targetILNS1_3genE5ELNS1_11target_archE942ELNS1_3gpuE9ELNS1_3repE0EEENS1_30default_config_static_selectorELNS0_4arch9wavefront6targetE0EEEvT1_,comdat
.Lfunc_end509:
	.size	_ZN7rocprim17ROCPRIM_400000_NS6detail17trampoline_kernelINS0_14default_configENS1_29reduce_by_key_config_selectorIxxN6thrust23THRUST_200600_302600_NS4plusIxEEEEZZNS1_33reduce_by_key_impl_wrapped_configILNS1_25lookback_scan_determinismE0ES3_S9_NS6_6detail15normal_iteratorINS6_10device_ptrIxEEEESG_SG_SG_PmS8_22is_equal_div_10_reduceIxEEE10hipError_tPvRmT2_T3_mT4_T5_T6_T7_T8_P12ihipStream_tbENKUlT_T0_E_clISt17integral_constantIbLb0EES11_EEDaSW_SX_EUlSW_E_NS1_11comp_targetILNS1_3genE5ELNS1_11target_archE942ELNS1_3gpuE9ELNS1_3repE0EEENS1_30default_config_static_selectorELNS0_4arch9wavefront6targetE0EEEvT1_, .Lfunc_end509-_ZN7rocprim17ROCPRIM_400000_NS6detail17trampoline_kernelINS0_14default_configENS1_29reduce_by_key_config_selectorIxxN6thrust23THRUST_200600_302600_NS4plusIxEEEEZZNS1_33reduce_by_key_impl_wrapped_configILNS1_25lookback_scan_determinismE0ES3_S9_NS6_6detail15normal_iteratorINS6_10device_ptrIxEEEESG_SG_SG_PmS8_22is_equal_div_10_reduceIxEEE10hipError_tPvRmT2_T3_mT4_T5_T6_T7_T8_P12ihipStream_tbENKUlT_T0_E_clISt17integral_constantIbLb0EES11_EEDaSW_SX_EUlSW_E_NS1_11comp_targetILNS1_3genE5ELNS1_11target_archE942ELNS1_3gpuE9ELNS1_3repE0EEENS1_30default_config_static_selectorELNS0_4arch9wavefront6targetE0EEEvT1_
                                        ; -- End function
	.section	.AMDGPU.csdata,"",@progbits
; Kernel info:
; codeLenInByte = 0
; NumSgprs: 0
; NumVgprs: 0
; ScratchSize: 0
; MemoryBound: 0
; FloatMode: 240
; IeeeMode: 1
; LDSByteSize: 0 bytes/workgroup (compile time only)
; SGPRBlocks: 0
; VGPRBlocks: 0
; NumSGPRsForWavesPerEU: 1
; NumVGPRsForWavesPerEU: 1
; Occupancy: 16
; WaveLimiterHint : 0
; COMPUTE_PGM_RSRC2:SCRATCH_EN: 0
; COMPUTE_PGM_RSRC2:USER_SGPR: 15
; COMPUTE_PGM_RSRC2:TRAP_HANDLER: 0
; COMPUTE_PGM_RSRC2:TGID_X_EN: 1
; COMPUTE_PGM_RSRC2:TGID_Y_EN: 0
; COMPUTE_PGM_RSRC2:TGID_Z_EN: 0
; COMPUTE_PGM_RSRC2:TIDIG_COMP_CNT: 0
	.section	.text._ZN7rocprim17ROCPRIM_400000_NS6detail17trampoline_kernelINS0_14default_configENS1_29reduce_by_key_config_selectorIxxN6thrust23THRUST_200600_302600_NS4plusIxEEEEZZNS1_33reduce_by_key_impl_wrapped_configILNS1_25lookback_scan_determinismE0ES3_S9_NS6_6detail15normal_iteratorINS6_10device_ptrIxEEEESG_SG_SG_PmS8_22is_equal_div_10_reduceIxEEE10hipError_tPvRmT2_T3_mT4_T5_T6_T7_T8_P12ihipStream_tbENKUlT_T0_E_clISt17integral_constantIbLb0EES11_EEDaSW_SX_EUlSW_E_NS1_11comp_targetILNS1_3genE4ELNS1_11target_archE910ELNS1_3gpuE8ELNS1_3repE0EEENS1_30default_config_static_selectorELNS0_4arch9wavefront6targetE0EEEvT1_,"axG",@progbits,_ZN7rocprim17ROCPRIM_400000_NS6detail17trampoline_kernelINS0_14default_configENS1_29reduce_by_key_config_selectorIxxN6thrust23THRUST_200600_302600_NS4plusIxEEEEZZNS1_33reduce_by_key_impl_wrapped_configILNS1_25lookback_scan_determinismE0ES3_S9_NS6_6detail15normal_iteratorINS6_10device_ptrIxEEEESG_SG_SG_PmS8_22is_equal_div_10_reduceIxEEE10hipError_tPvRmT2_T3_mT4_T5_T6_T7_T8_P12ihipStream_tbENKUlT_T0_E_clISt17integral_constantIbLb0EES11_EEDaSW_SX_EUlSW_E_NS1_11comp_targetILNS1_3genE4ELNS1_11target_archE910ELNS1_3gpuE8ELNS1_3repE0EEENS1_30default_config_static_selectorELNS0_4arch9wavefront6targetE0EEEvT1_,comdat
	.protected	_ZN7rocprim17ROCPRIM_400000_NS6detail17trampoline_kernelINS0_14default_configENS1_29reduce_by_key_config_selectorIxxN6thrust23THRUST_200600_302600_NS4plusIxEEEEZZNS1_33reduce_by_key_impl_wrapped_configILNS1_25lookback_scan_determinismE0ES3_S9_NS6_6detail15normal_iteratorINS6_10device_ptrIxEEEESG_SG_SG_PmS8_22is_equal_div_10_reduceIxEEE10hipError_tPvRmT2_T3_mT4_T5_T6_T7_T8_P12ihipStream_tbENKUlT_T0_E_clISt17integral_constantIbLb0EES11_EEDaSW_SX_EUlSW_E_NS1_11comp_targetILNS1_3genE4ELNS1_11target_archE910ELNS1_3gpuE8ELNS1_3repE0EEENS1_30default_config_static_selectorELNS0_4arch9wavefront6targetE0EEEvT1_ ; -- Begin function _ZN7rocprim17ROCPRIM_400000_NS6detail17trampoline_kernelINS0_14default_configENS1_29reduce_by_key_config_selectorIxxN6thrust23THRUST_200600_302600_NS4plusIxEEEEZZNS1_33reduce_by_key_impl_wrapped_configILNS1_25lookback_scan_determinismE0ES3_S9_NS6_6detail15normal_iteratorINS6_10device_ptrIxEEEESG_SG_SG_PmS8_22is_equal_div_10_reduceIxEEE10hipError_tPvRmT2_T3_mT4_T5_T6_T7_T8_P12ihipStream_tbENKUlT_T0_E_clISt17integral_constantIbLb0EES11_EEDaSW_SX_EUlSW_E_NS1_11comp_targetILNS1_3genE4ELNS1_11target_archE910ELNS1_3gpuE8ELNS1_3repE0EEENS1_30default_config_static_selectorELNS0_4arch9wavefront6targetE0EEEvT1_
	.globl	_ZN7rocprim17ROCPRIM_400000_NS6detail17trampoline_kernelINS0_14default_configENS1_29reduce_by_key_config_selectorIxxN6thrust23THRUST_200600_302600_NS4plusIxEEEEZZNS1_33reduce_by_key_impl_wrapped_configILNS1_25lookback_scan_determinismE0ES3_S9_NS6_6detail15normal_iteratorINS6_10device_ptrIxEEEESG_SG_SG_PmS8_22is_equal_div_10_reduceIxEEE10hipError_tPvRmT2_T3_mT4_T5_T6_T7_T8_P12ihipStream_tbENKUlT_T0_E_clISt17integral_constantIbLb0EES11_EEDaSW_SX_EUlSW_E_NS1_11comp_targetILNS1_3genE4ELNS1_11target_archE910ELNS1_3gpuE8ELNS1_3repE0EEENS1_30default_config_static_selectorELNS0_4arch9wavefront6targetE0EEEvT1_
	.p2align	8
	.type	_ZN7rocprim17ROCPRIM_400000_NS6detail17trampoline_kernelINS0_14default_configENS1_29reduce_by_key_config_selectorIxxN6thrust23THRUST_200600_302600_NS4plusIxEEEEZZNS1_33reduce_by_key_impl_wrapped_configILNS1_25lookback_scan_determinismE0ES3_S9_NS6_6detail15normal_iteratorINS6_10device_ptrIxEEEESG_SG_SG_PmS8_22is_equal_div_10_reduceIxEEE10hipError_tPvRmT2_T3_mT4_T5_T6_T7_T8_P12ihipStream_tbENKUlT_T0_E_clISt17integral_constantIbLb0EES11_EEDaSW_SX_EUlSW_E_NS1_11comp_targetILNS1_3genE4ELNS1_11target_archE910ELNS1_3gpuE8ELNS1_3repE0EEENS1_30default_config_static_selectorELNS0_4arch9wavefront6targetE0EEEvT1_,@function
_ZN7rocprim17ROCPRIM_400000_NS6detail17trampoline_kernelINS0_14default_configENS1_29reduce_by_key_config_selectorIxxN6thrust23THRUST_200600_302600_NS4plusIxEEEEZZNS1_33reduce_by_key_impl_wrapped_configILNS1_25lookback_scan_determinismE0ES3_S9_NS6_6detail15normal_iteratorINS6_10device_ptrIxEEEESG_SG_SG_PmS8_22is_equal_div_10_reduceIxEEE10hipError_tPvRmT2_T3_mT4_T5_T6_T7_T8_P12ihipStream_tbENKUlT_T0_E_clISt17integral_constantIbLb0EES11_EEDaSW_SX_EUlSW_E_NS1_11comp_targetILNS1_3genE4ELNS1_11target_archE910ELNS1_3gpuE8ELNS1_3repE0EEENS1_30default_config_static_selectorELNS0_4arch9wavefront6targetE0EEEvT1_: ; @_ZN7rocprim17ROCPRIM_400000_NS6detail17trampoline_kernelINS0_14default_configENS1_29reduce_by_key_config_selectorIxxN6thrust23THRUST_200600_302600_NS4plusIxEEEEZZNS1_33reduce_by_key_impl_wrapped_configILNS1_25lookback_scan_determinismE0ES3_S9_NS6_6detail15normal_iteratorINS6_10device_ptrIxEEEESG_SG_SG_PmS8_22is_equal_div_10_reduceIxEEE10hipError_tPvRmT2_T3_mT4_T5_T6_T7_T8_P12ihipStream_tbENKUlT_T0_E_clISt17integral_constantIbLb0EES11_EEDaSW_SX_EUlSW_E_NS1_11comp_targetILNS1_3genE4ELNS1_11target_archE910ELNS1_3gpuE8ELNS1_3repE0EEENS1_30default_config_static_selectorELNS0_4arch9wavefront6targetE0EEEvT1_
; %bb.0:
	.section	.rodata,"a",@progbits
	.p2align	6, 0x0
	.amdhsa_kernel _ZN7rocprim17ROCPRIM_400000_NS6detail17trampoline_kernelINS0_14default_configENS1_29reduce_by_key_config_selectorIxxN6thrust23THRUST_200600_302600_NS4plusIxEEEEZZNS1_33reduce_by_key_impl_wrapped_configILNS1_25lookback_scan_determinismE0ES3_S9_NS6_6detail15normal_iteratorINS6_10device_ptrIxEEEESG_SG_SG_PmS8_22is_equal_div_10_reduceIxEEE10hipError_tPvRmT2_T3_mT4_T5_T6_T7_T8_P12ihipStream_tbENKUlT_T0_E_clISt17integral_constantIbLb0EES11_EEDaSW_SX_EUlSW_E_NS1_11comp_targetILNS1_3genE4ELNS1_11target_archE910ELNS1_3gpuE8ELNS1_3repE0EEENS1_30default_config_static_selectorELNS0_4arch9wavefront6targetE0EEEvT1_
		.amdhsa_group_segment_fixed_size 0
		.amdhsa_private_segment_fixed_size 0
		.amdhsa_kernarg_size 136
		.amdhsa_user_sgpr_count 15
		.amdhsa_user_sgpr_dispatch_ptr 0
		.amdhsa_user_sgpr_queue_ptr 0
		.amdhsa_user_sgpr_kernarg_segment_ptr 1
		.amdhsa_user_sgpr_dispatch_id 0
		.amdhsa_user_sgpr_private_segment_size 0
		.amdhsa_wavefront_size32 1
		.amdhsa_uses_dynamic_stack 0
		.amdhsa_enable_private_segment 0
		.amdhsa_system_sgpr_workgroup_id_x 1
		.amdhsa_system_sgpr_workgroup_id_y 0
		.amdhsa_system_sgpr_workgroup_id_z 0
		.amdhsa_system_sgpr_workgroup_info 0
		.amdhsa_system_vgpr_workitem_id 0
		.amdhsa_next_free_vgpr 1
		.amdhsa_next_free_sgpr 1
		.amdhsa_reserve_vcc 0
		.amdhsa_float_round_mode_32 0
		.amdhsa_float_round_mode_16_64 0
		.amdhsa_float_denorm_mode_32 3
		.amdhsa_float_denorm_mode_16_64 3
		.amdhsa_dx10_clamp 1
		.amdhsa_ieee_mode 1
		.amdhsa_fp16_overflow 0
		.amdhsa_workgroup_processor_mode 1
		.amdhsa_memory_ordered 1
		.amdhsa_forward_progress 0
		.amdhsa_shared_vgpr_count 0
		.amdhsa_exception_fp_ieee_invalid_op 0
		.amdhsa_exception_fp_denorm_src 0
		.amdhsa_exception_fp_ieee_div_zero 0
		.amdhsa_exception_fp_ieee_overflow 0
		.amdhsa_exception_fp_ieee_underflow 0
		.amdhsa_exception_fp_ieee_inexact 0
		.amdhsa_exception_int_div_zero 0
	.end_amdhsa_kernel
	.section	.text._ZN7rocprim17ROCPRIM_400000_NS6detail17trampoline_kernelINS0_14default_configENS1_29reduce_by_key_config_selectorIxxN6thrust23THRUST_200600_302600_NS4plusIxEEEEZZNS1_33reduce_by_key_impl_wrapped_configILNS1_25lookback_scan_determinismE0ES3_S9_NS6_6detail15normal_iteratorINS6_10device_ptrIxEEEESG_SG_SG_PmS8_22is_equal_div_10_reduceIxEEE10hipError_tPvRmT2_T3_mT4_T5_T6_T7_T8_P12ihipStream_tbENKUlT_T0_E_clISt17integral_constantIbLb0EES11_EEDaSW_SX_EUlSW_E_NS1_11comp_targetILNS1_3genE4ELNS1_11target_archE910ELNS1_3gpuE8ELNS1_3repE0EEENS1_30default_config_static_selectorELNS0_4arch9wavefront6targetE0EEEvT1_,"axG",@progbits,_ZN7rocprim17ROCPRIM_400000_NS6detail17trampoline_kernelINS0_14default_configENS1_29reduce_by_key_config_selectorIxxN6thrust23THRUST_200600_302600_NS4plusIxEEEEZZNS1_33reduce_by_key_impl_wrapped_configILNS1_25lookback_scan_determinismE0ES3_S9_NS6_6detail15normal_iteratorINS6_10device_ptrIxEEEESG_SG_SG_PmS8_22is_equal_div_10_reduceIxEEE10hipError_tPvRmT2_T3_mT4_T5_T6_T7_T8_P12ihipStream_tbENKUlT_T0_E_clISt17integral_constantIbLb0EES11_EEDaSW_SX_EUlSW_E_NS1_11comp_targetILNS1_3genE4ELNS1_11target_archE910ELNS1_3gpuE8ELNS1_3repE0EEENS1_30default_config_static_selectorELNS0_4arch9wavefront6targetE0EEEvT1_,comdat
.Lfunc_end510:
	.size	_ZN7rocprim17ROCPRIM_400000_NS6detail17trampoline_kernelINS0_14default_configENS1_29reduce_by_key_config_selectorIxxN6thrust23THRUST_200600_302600_NS4plusIxEEEEZZNS1_33reduce_by_key_impl_wrapped_configILNS1_25lookback_scan_determinismE0ES3_S9_NS6_6detail15normal_iteratorINS6_10device_ptrIxEEEESG_SG_SG_PmS8_22is_equal_div_10_reduceIxEEE10hipError_tPvRmT2_T3_mT4_T5_T6_T7_T8_P12ihipStream_tbENKUlT_T0_E_clISt17integral_constantIbLb0EES11_EEDaSW_SX_EUlSW_E_NS1_11comp_targetILNS1_3genE4ELNS1_11target_archE910ELNS1_3gpuE8ELNS1_3repE0EEENS1_30default_config_static_selectorELNS0_4arch9wavefront6targetE0EEEvT1_, .Lfunc_end510-_ZN7rocprim17ROCPRIM_400000_NS6detail17trampoline_kernelINS0_14default_configENS1_29reduce_by_key_config_selectorIxxN6thrust23THRUST_200600_302600_NS4plusIxEEEEZZNS1_33reduce_by_key_impl_wrapped_configILNS1_25lookback_scan_determinismE0ES3_S9_NS6_6detail15normal_iteratorINS6_10device_ptrIxEEEESG_SG_SG_PmS8_22is_equal_div_10_reduceIxEEE10hipError_tPvRmT2_T3_mT4_T5_T6_T7_T8_P12ihipStream_tbENKUlT_T0_E_clISt17integral_constantIbLb0EES11_EEDaSW_SX_EUlSW_E_NS1_11comp_targetILNS1_3genE4ELNS1_11target_archE910ELNS1_3gpuE8ELNS1_3repE0EEENS1_30default_config_static_selectorELNS0_4arch9wavefront6targetE0EEEvT1_
                                        ; -- End function
	.section	.AMDGPU.csdata,"",@progbits
; Kernel info:
; codeLenInByte = 0
; NumSgprs: 0
; NumVgprs: 0
; ScratchSize: 0
; MemoryBound: 0
; FloatMode: 240
; IeeeMode: 1
; LDSByteSize: 0 bytes/workgroup (compile time only)
; SGPRBlocks: 0
; VGPRBlocks: 0
; NumSGPRsForWavesPerEU: 1
; NumVGPRsForWavesPerEU: 1
; Occupancy: 16
; WaveLimiterHint : 0
; COMPUTE_PGM_RSRC2:SCRATCH_EN: 0
; COMPUTE_PGM_RSRC2:USER_SGPR: 15
; COMPUTE_PGM_RSRC2:TRAP_HANDLER: 0
; COMPUTE_PGM_RSRC2:TGID_X_EN: 1
; COMPUTE_PGM_RSRC2:TGID_Y_EN: 0
; COMPUTE_PGM_RSRC2:TGID_Z_EN: 0
; COMPUTE_PGM_RSRC2:TIDIG_COMP_CNT: 0
	.section	.text._ZN7rocprim17ROCPRIM_400000_NS6detail17trampoline_kernelINS0_14default_configENS1_29reduce_by_key_config_selectorIxxN6thrust23THRUST_200600_302600_NS4plusIxEEEEZZNS1_33reduce_by_key_impl_wrapped_configILNS1_25lookback_scan_determinismE0ES3_S9_NS6_6detail15normal_iteratorINS6_10device_ptrIxEEEESG_SG_SG_PmS8_22is_equal_div_10_reduceIxEEE10hipError_tPvRmT2_T3_mT4_T5_T6_T7_T8_P12ihipStream_tbENKUlT_T0_E_clISt17integral_constantIbLb0EES11_EEDaSW_SX_EUlSW_E_NS1_11comp_targetILNS1_3genE3ELNS1_11target_archE908ELNS1_3gpuE7ELNS1_3repE0EEENS1_30default_config_static_selectorELNS0_4arch9wavefront6targetE0EEEvT1_,"axG",@progbits,_ZN7rocprim17ROCPRIM_400000_NS6detail17trampoline_kernelINS0_14default_configENS1_29reduce_by_key_config_selectorIxxN6thrust23THRUST_200600_302600_NS4plusIxEEEEZZNS1_33reduce_by_key_impl_wrapped_configILNS1_25lookback_scan_determinismE0ES3_S9_NS6_6detail15normal_iteratorINS6_10device_ptrIxEEEESG_SG_SG_PmS8_22is_equal_div_10_reduceIxEEE10hipError_tPvRmT2_T3_mT4_T5_T6_T7_T8_P12ihipStream_tbENKUlT_T0_E_clISt17integral_constantIbLb0EES11_EEDaSW_SX_EUlSW_E_NS1_11comp_targetILNS1_3genE3ELNS1_11target_archE908ELNS1_3gpuE7ELNS1_3repE0EEENS1_30default_config_static_selectorELNS0_4arch9wavefront6targetE0EEEvT1_,comdat
	.protected	_ZN7rocprim17ROCPRIM_400000_NS6detail17trampoline_kernelINS0_14default_configENS1_29reduce_by_key_config_selectorIxxN6thrust23THRUST_200600_302600_NS4plusIxEEEEZZNS1_33reduce_by_key_impl_wrapped_configILNS1_25lookback_scan_determinismE0ES3_S9_NS6_6detail15normal_iteratorINS6_10device_ptrIxEEEESG_SG_SG_PmS8_22is_equal_div_10_reduceIxEEE10hipError_tPvRmT2_T3_mT4_T5_T6_T7_T8_P12ihipStream_tbENKUlT_T0_E_clISt17integral_constantIbLb0EES11_EEDaSW_SX_EUlSW_E_NS1_11comp_targetILNS1_3genE3ELNS1_11target_archE908ELNS1_3gpuE7ELNS1_3repE0EEENS1_30default_config_static_selectorELNS0_4arch9wavefront6targetE0EEEvT1_ ; -- Begin function _ZN7rocprim17ROCPRIM_400000_NS6detail17trampoline_kernelINS0_14default_configENS1_29reduce_by_key_config_selectorIxxN6thrust23THRUST_200600_302600_NS4plusIxEEEEZZNS1_33reduce_by_key_impl_wrapped_configILNS1_25lookback_scan_determinismE0ES3_S9_NS6_6detail15normal_iteratorINS6_10device_ptrIxEEEESG_SG_SG_PmS8_22is_equal_div_10_reduceIxEEE10hipError_tPvRmT2_T3_mT4_T5_T6_T7_T8_P12ihipStream_tbENKUlT_T0_E_clISt17integral_constantIbLb0EES11_EEDaSW_SX_EUlSW_E_NS1_11comp_targetILNS1_3genE3ELNS1_11target_archE908ELNS1_3gpuE7ELNS1_3repE0EEENS1_30default_config_static_selectorELNS0_4arch9wavefront6targetE0EEEvT1_
	.globl	_ZN7rocprim17ROCPRIM_400000_NS6detail17trampoline_kernelINS0_14default_configENS1_29reduce_by_key_config_selectorIxxN6thrust23THRUST_200600_302600_NS4plusIxEEEEZZNS1_33reduce_by_key_impl_wrapped_configILNS1_25lookback_scan_determinismE0ES3_S9_NS6_6detail15normal_iteratorINS6_10device_ptrIxEEEESG_SG_SG_PmS8_22is_equal_div_10_reduceIxEEE10hipError_tPvRmT2_T3_mT4_T5_T6_T7_T8_P12ihipStream_tbENKUlT_T0_E_clISt17integral_constantIbLb0EES11_EEDaSW_SX_EUlSW_E_NS1_11comp_targetILNS1_3genE3ELNS1_11target_archE908ELNS1_3gpuE7ELNS1_3repE0EEENS1_30default_config_static_selectorELNS0_4arch9wavefront6targetE0EEEvT1_
	.p2align	8
	.type	_ZN7rocprim17ROCPRIM_400000_NS6detail17trampoline_kernelINS0_14default_configENS1_29reduce_by_key_config_selectorIxxN6thrust23THRUST_200600_302600_NS4plusIxEEEEZZNS1_33reduce_by_key_impl_wrapped_configILNS1_25lookback_scan_determinismE0ES3_S9_NS6_6detail15normal_iteratorINS6_10device_ptrIxEEEESG_SG_SG_PmS8_22is_equal_div_10_reduceIxEEE10hipError_tPvRmT2_T3_mT4_T5_T6_T7_T8_P12ihipStream_tbENKUlT_T0_E_clISt17integral_constantIbLb0EES11_EEDaSW_SX_EUlSW_E_NS1_11comp_targetILNS1_3genE3ELNS1_11target_archE908ELNS1_3gpuE7ELNS1_3repE0EEENS1_30default_config_static_selectorELNS0_4arch9wavefront6targetE0EEEvT1_,@function
_ZN7rocprim17ROCPRIM_400000_NS6detail17trampoline_kernelINS0_14default_configENS1_29reduce_by_key_config_selectorIxxN6thrust23THRUST_200600_302600_NS4plusIxEEEEZZNS1_33reduce_by_key_impl_wrapped_configILNS1_25lookback_scan_determinismE0ES3_S9_NS6_6detail15normal_iteratorINS6_10device_ptrIxEEEESG_SG_SG_PmS8_22is_equal_div_10_reduceIxEEE10hipError_tPvRmT2_T3_mT4_T5_T6_T7_T8_P12ihipStream_tbENKUlT_T0_E_clISt17integral_constantIbLb0EES11_EEDaSW_SX_EUlSW_E_NS1_11comp_targetILNS1_3genE3ELNS1_11target_archE908ELNS1_3gpuE7ELNS1_3repE0EEENS1_30default_config_static_selectorELNS0_4arch9wavefront6targetE0EEEvT1_: ; @_ZN7rocprim17ROCPRIM_400000_NS6detail17trampoline_kernelINS0_14default_configENS1_29reduce_by_key_config_selectorIxxN6thrust23THRUST_200600_302600_NS4plusIxEEEEZZNS1_33reduce_by_key_impl_wrapped_configILNS1_25lookback_scan_determinismE0ES3_S9_NS6_6detail15normal_iteratorINS6_10device_ptrIxEEEESG_SG_SG_PmS8_22is_equal_div_10_reduceIxEEE10hipError_tPvRmT2_T3_mT4_T5_T6_T7_T8_P12ihipStream_tbENKUlT_T0_E_clISt17integral_constantIbLb0EES11_EEDaSW_SX_EUlSW_E_NS1_11comp_targetILNS1_3genE3ELNS1_11target_archE908ELNS1_3gpuE7ELNS1_3repE0EEENS1_30default_config_static_selectorELNS0_4arch9wavefront6targetE0EEEvT1_
; %bb.0:
	.section	.rodata,"a",@progbits
	.p2align	6, 0x0
	.amdhsa_kernel _ZN7rocprim17ROCPRIM_400000_NS6detail17trampoline_kernelINS0_14default_configENS1_29reduce_by_key_config_selectorIxxN6thrust23THRUST_200600_302600_NS4plusIxEEEEZZNS1_33reduce_by_key_impl_wrapped_configILNS1_25lookback_scan_determinismE0ES3_S9_NS6_6detail15normal_iteratorINS6_10device_ptrIxEEEESG_SG_SG_PmS8_22is_equal_div_10_reduceIxEEE10hipError_tPvRmT2_T3_mT4_T5_T6_T7_T8_P12ihipStream_tbENKUlT_T0_E_clISt17integral_constantIbLb0EES11_EEDaSW_SX_EUlSW_E_NS1_11comp_targetILNS1_3genE3ELNS1_11target_archE908ELNS1_3gpuE7ELNS1_3repE0EEENS1_30default_config_static_selectorELNS0_4arch9wavefront6targetE0EEEvT1_
		.amdhsa_group_segment_fixed_size 0
		.amdhsa_private_segment_fixed_size 0
		.amdhsa_kernarg_size 136
		.amdhsa_user_sgpr_count 15
		.amdhsa_user_sgpr_dispatch_ptr 0
		.amdhsa_user_sgpr_queue_ptr 0
		.amdhsa_user_sgpr_kernarg_segment_ptr 1
		.amdhsa_user_sgpr_dispatch_id 0
		.amdhsa_user_sgpr_private_segment_size 0
		.amdhsa_wavefront_size32 1
		.amdhsa_uses_dynamic_stack 0
		.amdhsa_enable_private_segment 0
		.amdhsa_system_sgpr_workgroup_id_x 1
		.amdhsa_system_sgpr_workgroup_id_y 0
		.amdhsa_system_sgpr_workgroup_id_z 0
		.amdhsa_system_sgpr_workgroup_info 0
		.amdhsa_system_vgpr_workitem_id 0
		.amdhsa_next_free_vgpr 1
		.amdhsa_next_free_sgpr 1
		.amdhsa_reserve_vcc 0
		.amdhsa_float_round_mode_32 0
		.amdhsa_float_round_mode_16_64 0
		.amdhsa_float_denorm_mode_32 3
		.amdhsa_float_denorm_mode_16_64 3
		.amdhsa_dx10_clamp 1
		.amdhsa_ieee_mode 1
		.amdhsa_fp16_overflow 0
		.amdhsa_workgroup_processor_mode 1
		.amdhsa_memory_ordered 1
		.amdhsa_forward_progress 0
		.amdhsa_shared_vgpr_count 0
		.amdhsa_exception_fp_ieee_invalid_op 0
		.amdhsa_exception_fp_denorm_src 0
		.amdhsa_exception_fp_ieee_div_zero 0
		.amdhsa_exception_fp_ieee_overflow 0
		.amdhsa_exception_fp_ieee_underflow 0
		.amdhsa_exception_fp_ieee_inexact 0
		.amdhsa_exception_int_div_zero 0
	.end_amdhsa_kernel
	.section	.text._ZN7rocprim17ROCPRIM_400000_NS6detail17trampoline_kernelINS0_14default_configENS1_29reduce_by_key_config_selectorIxxN6thrust23THRUST_200600_302600_NS4plusIxEEEEZZNS1_33reduce_by_key_impl_wrapped_configILNS1_25lookback_scan_determinismE0ES3_S9_NS6_6detail15normal_iteratorINS6_10device_ptrIxEEEESG_SG_SG_PmS8_22is_equal_div_10_reduceIxEEE10hipError_tPvRmT2_T3_mT4_T5_T6_T7_T8_P12ihipStream_tbENKUlT_T0_E_clISt17integral_constantIbLb0EES11_EEDaSW_SX_EUlSW_E_NS1_11comp_targetILNS1_3genE3ELNS1_11target_archE908ELNS1_3gpuE7ELNS1_3repE0EEENS1_30default_config_static_selectorELNS0_4arch9wavefront6targetE0EEEvT1_,"axG",@progbits,_ZN7rocprim17ROCPRIM_400000_NS6detail17trampoline_kernelINS0_14default_configENS1_29reduce_by_key_config_selectorIxxN6thrust23THRUST_200600_302600_NS4plusIxEEEEZZNS1_33reduce_by_key_impl_wrapped_configILNS1_25lookback_scan_determinismE0ES3_S9_NS6_6detail15normal_iteratorINS6_10device_ptrIxEEEESG_SG_SG_PmS8_22is_equal_div_10_reduceIxEEE10hipError_tPvRmT2_T3_mT4_T5_T6_T7_T8_P12ihipStream_tbENKUlT_T0_E_clISt17integral_constantIbLb0EES11_EEDaSW_SX_EUlSW_E_NS1_11comp_targetILNS1_3genE3ELNS1_11target_archE908ELNS1_3gpuE7ELNS1_3repE0EEENS1_30default_config_static_selectorELNS0_4arch9wavefront6targetE0EEEvT1_,comdat
.Lfunc_end511:
	.size	_ZN7rocprim17ROCPRIM_400000_NS6detail17trampoline_kernelINS0_14default_configENS1_29reduce_by_key_config_selectorIxxN6thrust23THRUST_200600_302600_NS4plusIxEEEEZZNS1_33reduce_by_key_impl_wrapped_configILNS1_25lookback_scan_determinismE0ES3_S9_NS6_6detail15normal_iteratorINS6_10device_ptrIxEEEESG_SG_SG_PmS8_22is_equal_div_10_reduceIxEEE10hipError_tPvRmT2_T3_mT4_T5_T6_T7_T8_P12ihipStream_tbENKUlT_T0_E_clISt17integral_constantIbLb0EES11_EEDaSW_SX_EUlSW_E_NS1_11comp_targetILNS1_3genE3ELNS1_11target_archE908ELNS1_3gpuE7ELNS1_3repE0EEENS1_30default_config_static_selectorELNS0_4arch9wavefront6targetE0EEEvT1_, .Lfunc_end511-_ZN7rocprim17ROCPRIM_400000_NS6detail17trampoline_kernelINS0_14default_configENS1_29reduce_by_key_config_selectorIxxN6thrust23THRUST_200600_302600_NS4plusIxEEEEZZNS1_33reduce_by_key_impl_wrapped_configILNS1_25lookback_scan_determinismE0ES3_S9_NS6_6detail15normal_iteratorINS6_10device_ptrIxEEEESG_SG_SG_PmS8_22is_equal_div_10_reduceIxEEE10hipError_tPvRmT2_T3_mT4_T5_T6_T7_T8_P12ihipStream_tbENKUlT_T0_E_clISt17integral_constantIbLb0EES11_EEDaSW_SX_EUlSW_E_NS1_11comp_targetILNS1_3genE3ELNS1_11target_archE908ELNS1_3gpuE7ELNS1_3repE0EEENS1_30default_config_static_selectorELNS0_4arch9wavefront6targetE0EEEvT1_
                                        ; -- End function
	.section	.AMDGPU.csdata,"",@progbits
; Kernel info:
; codeLenInByte = 0
; NumSgprs: 0
; NumVgprs: 0
; ScratchSize: 0
; MemoryBound: 0
; FloatMode: 240
; IeeeMode: 1
; LDSByteSize: 0 bytes/workgroup (compile time only)
; SGPRBlocks: 0
; VGPRBlocks: 0
; NumSGPRsForWavesPerEU: 1
; NumVGPRsForWavesPerEU: 1
; Occupancy: 16
; WaveLimiterHint : 0
; COMPUTE_PGM_RSRC2:SCRATCH_EN: 0
; COMPUTE_PGM_RSRC2:USER_SGPR: 15
; COMPUTE_PGM_RSRC2:TRAP_HANDLER: 0
; COMPUTE_PGM_RSRC2:TGID_X_EN: 1
; COMPUTE_PGM_RSRC2:TGID_Y_EN: 0
; COMPUTE_PGM_RSRC2:TGID_Z_EN: 0
; COMPUTE_PGM_RSRC2:TIDIG_COMP_CNT: 0
	.section	.text._ZN7rocprim17ROCPRIM_400000_NS6detail17trampoline_kernelINS0_14default_configENS1_29reduce_by_key_config_selectorIxxN6thrust23THRUST_200600_302600_NS4plusIxEEEEZZNS1_33reduce_by_key_impl_wrapped_configILNS1_25lookback_scan_determinismE0ES3_S9_NS6_6detail15normal_iteratorINS6_10device_ptrIxEEEESG_SG_SG_PmS8_22is_equal_div_10_reduceIxEEE10hipError_tPvRmT2_T3_mT4_T5_T6_T7_T8_P12ihipStream_tbENKUlT_T0_E_clISt17integral_constantIbLb0EES11_EEDaSW_SX_EUlSW_E_NS1_11comp_targetILNS1_3genE2ELNS1_11target_archE906ELNS1_3gpuE6ELNS1_3repE0EEENS1_30default_config_static_selectorELNS0_4arch9wavefront6targetE0EEEvT1_,"axG",@progbits,_ZN7rocprim17ROCPRIM_400000_NS6detail17trampoline_kernelINS0_14default_configENS1_29reduce_by_key_config_selectorIxxN6thrust23THRUST_200600_302600_NS4plusIxEEEEZZNS1_33reduce_by_key_impl_wrapped_configILNS1_25lookback_scan_determinismE0ES3_S9_NS6_6detail15normal_iteratorINS6_10device_ptrIxEEEESG_SG_SG_PmS8_22is_equal_div_10_reduceIxEEE10hipError_tPvRmT2_T3_mT4_T5_T6_T7_T8_P12ihipStream_tbENKUlT_T0_E_clISt17integral_constantIbLb0EES11_EEDaSW_SX_EUlSW_E_NS1_11comp_targetILNS1_3genE2ELNS1_11target_archE906ELNS1_3gpuE6ELNS1_3repE0EEENS1_30default_config_static_selectorELNS0_4arch9wavefront6targetE0EEEvT1_,comdat
	.protected	_ZN7rocprim17ROCPRIM_400000_NS6detail17trampoline_kernelINS0_14default_configENS1_29reduce_by_key_config_selectorIxxN6thrust23THRUST_200600_302600_NS4plusIxEEEEZZNS1_33reduce_by_key_impl_wrapped_configILNS1_25lookback_scan_determinismE0ES3_S9_NS6_6detail15normal_iteratorINS6_10device_ptrIxEEEESG_SG_SG_PmS8_22is_equal_div_10_reduceIxEEE10hipError_tPvRmT2_T3_mT4_T5_T6_T7_T8_P12ihipStream_tbENKUlT_T0_E_clISt17integral_constantIbLb0EES11_EEDaSW_SX_EUlSW_E_NS1_11comp_targetILNS1_3genE2ELNS1_11target_archE906ELNS1_3gpuE6ELNS1_3repE0EEENS1_30default_config_static_selectorELNS0_4arch9wavefront6targetE0EEEvT1_ ; -- Begin function _ZN7rocprim17ROCPRIM_400000_NS6detail17trampoline_kernelINS0_14default_configENS1_29reduce_by_key_config_selectorIxxN6thrust23THRUST_200600_302600_NS4plusIxEEEEZZNS1_33reduce_by_key_impl_wrapped_configILNS1_25lookback_scan_determinismE0ES3_S9_NS6_6detail15normal_iteratorINS6_10device_ptrIxEEEESG_SG_SG_PmS8_22is_equal_div_10_reduceIxEEE10hipError_tPvRmT2_T3_mT4_T5_T6_T7_T8_P12ihipStream_tbENKUlT_T0_E_clISt17integral_constantIbLb0EES11_EEDaSW_SX_EUlSW_E_NS1_11comp_targetILNS1_3genE2ELNS1_11target_archE906ELNS1_3gpuE6ELNS1_3repE0EEENS1_30default_config_static_selectorELNS0_4arch9wavefront6targetE0EEEvT1_
	.globl	_ZN7rocprim17ROCPRIM_400000_NS6detail17trampoline_kernelINS0_14default_configENS1_29reduce_by_key_config_selectorIxxN6thrust23THRUST_200600_302600_NS4plusIxEEEEZZNS1_33reduce_by_key_impl_wrapped_configILNS1_25lookback_scan_determinismE0ES3_S9_NS6_6detail15normal_iteratorINS6_10device_ptrIxEEEESG_SG_SG_PmS8_22is_equal_div_10_reduceIxEEE10hipError_tPvRmT2_T3_mT4_T5_T6_T7_T8_P12ihipStream_tbENKUlT_T0_E_clISt17integral_constantIbLb0EES11_EEDaSW_SX_EUlSW_E_NS1_11comp_targetILNS1_3genE2ELNS1_11target_archE906ELNS1_3gpuE6ELNS1_3repE0EEENS1_30default_config_static_selectorELNS0_4arch9wavefront6targetE0EEEvT1_
	.p2align	8
	.type	_ZN7rocprim17ROCPRIM_400000_NS6detail17trampoline_kernelINS0_14default_configENS1_29reduce_by_key_config_selectorIxxN6thrust23THRUST_200600_302600_NS4plusIxEEEEZZNS1_33reduce_by_key_impl_wrapped_configILNS1_25lookback_scan_determinismE0ES3_S9_NS6_6detail15normal_iteratorINS6_10device_ptrIxEEEESG_SG_SG_PmS8_22is_equal_div_10_reduceIxEEE10hipError_tPvRmT2_T3_mT4_T5_T6_T7_T8_P12ihipStream_tbENKUlT_T0_E_clISt17integral_constantIbLb0EES11_EEDaSW_SX_EUlSW_E_NS1_11comp_targetILNS1_3genE2ELNS1_11target_archE906ELNS1_3gpuE6ELNS1_3repE0EEENS1_30default_config_static_selectorELNS0_4arch9wavefront6targetE0EEEvT1_,@function
_ZN7rocprim17ROCPRIM_400000_NS6detail17trampoline_kernelINS0_14default_configENS1_29reduce_by_key_config_selectorIxxN6thrust23THRUST_200600_302600_NS4plusIxEEEEZZNS1_33reduce_by_key_impl_wrapped_configILNS1_25lookback_scan_determinismE0ES3_S9_NS6_6detail15normal_iteratorINS6_10device_ptrIxEEEESG_SG_SG_PmS8_22is_equal_div_10_reduceIxEEE10hipError_tPvRmT2_T3_mT4_T5_T6_T7_T8_P12ihipStream_tbENKUlT_T0_E_clISt17integral_constantIbLb0EES11_EEDaSW_SX_EUlSW_E_NS1_11comp_targetILNS1_3genE2ELNS1_11target_archE906ELNS1_3gpuE6ELNS1_3repE0EEENS1_30default_config_static_selectorELNS0_4arch9wavefront6targetE0EEEvT1_: ; @_ZN7rocprim17ROCPRIM_400000_NS6detail17trampoline_kernelINS0_14default_configENS1_29reduce_by_key_config_selectorIxxN6thrust23THRUST_200600_302600_NS4plusIxEEEEZZNS1_33reduce_by_key_impl_wrapped_configILNS1_25lookback_scan_determinismE0ES3_S9_NS6_6detail15normal_iteratorINS6_10device_ptrIxEEEESG_SG_SG_PmS8_22is_equal_div_10_reduceIxEEE10hipError_tPvRmT2_T3_mT4_T5_T6_T7_T8_P12ihipStream_tbENKUlT_T0_E_clISt17integral_constantIbLb0EES11_EEDaSW_SX_EUlSW_E_NS1_11comp_targetILNS1_3genE2ELNS1_11target_archE906ELNS1_3gpuE6ELNS1_3repE0EEENS1_30default_config_static_selectorELNS0_4arch9wavefront6targetE0EEEvT1_
; %bb.0:
	.section	.rodata,"a",@progbits
	.p2align	6, 0x0
	.amdhsa_kernel _ZN7rocprim17ROCPRIM_400000_NS6detail17trampoline_kernelINS0_14default_configENS1_29reduce_by_key_config_selectorIxxN6thrust23THRUST_200600_302600_NS4plusIxEEEEZZNS1_33reduce_by_key_impl_wrapped_configILNS1_25lookback_scan_determinismE0ES3_S9_NS6_6detail15normal_iteratorINS6_10device_ptrIxEEEESG_SG_SG_PmS8_22is_equal_div_10_reduceIxEEE10hipError_tPvRmT2_T3_mT4_T5_T6_T7_T8_P12ihipStream_tbENKUlT_T0_E_clISt17integral_constantIbLb0EES11_EEDaSW_SX_EUlSW_E_NS1_11comp_targetILNS1_3genE2ELNS1_11target_archE906ELNS1_3gpuE6ELNS1_3repE0EEENS1_30default_config_static_selectorELNS0_4arch9wavefront6targetE0EEEvT1_
		.amdhsa_group_segment_fixed_size 0
		.amdhsa_private_segment_fixed_size 0
		.amdhsa_kernarg_size 136
		.amdhsa_user_sgpr_count 15
		.amdhsa_user_sgpr_dispatch_ptr 0
		.amdhsa_user_sgpr_queue_ptr 0
		.amdhsa_user_sgpr_kernarg_segment_ptr 1
		.amdhsa_user_sgpr_dispatch_id 0
		.amdhsa_user_sgpr_private_segment_size 0
		.amdhsa_wavefront_size32 1
		.amdhsa_uses_dynamic_stack 0
		.amdhsa_enable_private_segment 0
		.amdhsa_system_sgpr_workgroup_id_x 1
		.amdhsa_system_sgpr_workgroup_id_y 0
		.amdhsa_system_sgpr_workgroup_id_z 0
		.amdhsa_system_sgpr_workgroup_info 0
		.amdhsa_system_vgpr_workitem_id 0
		.amdhsa_next_free_vgpr 1
		.amdhsa_next_free_sgpr 1
		.amdhsa_reserve_vcc 0
		.amdhsa_float_round_mode_32 0
		.amdhsa_float_round_mode_16_64 0
		.amdhsa_float_denorm_mode_32 3
		.amdhsa_float_denorm_mode_16_64 3
		.amdhsa_dx10_clamp 1
		.amdhsa_ieee_mode 1
		.amdhsa_fp16_overflow 0
		.amdhsa_workgroup_processor_mode 1
		.amdhsa_memory_ordered 1
		.amdhsa_forward_progress 0
		.amdhsa_shared_vgpr_count 0
		.amdhsa_exception_fp_ieee_invalid_op 0
		.amdhsa_exception_fp_denorm_src 0
		.amdhsa_exception_fp_ieee_div_zero 0
		.amdhsa_exception_fp_ieee_overflow 0
		.amdhsa_exception_fp_ieee_underflow 0
		.amdhsa_exception_fp_ieee_inexact 0
		.amdhsa_exception_int_div_zero 0
	.end_amdhsa_kernel
	.section	.text._ZN7rocprim17ROCPRIM_400000_NS6detail17trampoline_kernelINS0_14default_configENS1_29reduce_by_key_config_selectorIxxN6thrust23THRUST_200600_302600_NS4plusIxEEEEZZNS1_33reduce_by_key_impl_wrapped_configILNS1_25lookback_scan_determinismE0ES3_S9_NS6_6detail15normal_iteratorINS6_10device_ptrIxEEEESG_SG_SG_PmS8_22is_equal_div_10_reduceIxEEE10hipError_tPvRmT2_T3_mT4_T5_T6_T7_T8_P12ihipStream_tbENKUlT_T0_E_clISt17integral_constantIbLb0EES11_EEDaSW_SX_EUlSW_E_NS1_11comp_targetILNS1_3genE2ELNS1_11target_archE906ELNS1_3gpuE6ELNS1_3repE0EEENS1_30default_config_static_selectorELNS0_4arch9wavefront6targetE0EEEvT1_,"axG",@progbits,_ZN7rocprim17ROCPRIM_400000_NS6detail17trampoline_kernelINS0_14default_configENS1_29reduce_by_key_config_selectorIxxN6thrust23THRUST_200600_302600_NS4plusIxEEEEZZNS1_33reduce_by_key_impl_wrapped_configILNS1_25lookback_scan_determinismE0ES3_S9_NS6_6detail15normal_iteratorINS6_10device_ptrIxEEEESG_SG_SG_PmS8_22is_equal_div_10_reduceIxEEE10hipError_tPvRmT2_T3_mT4_T5_T6_T7_T8_P12ihipStream_tbENKUlT_T0_E_clISt17integral_constantIbLb0EES11_EEDaSW_SX_EUlSW_E_NS1_11comp_targetILNS1_3genE2ELNS1_11target_archE906ELNS1_3gpuE6ELNS1_3repE0EEENS1_30default_config_static_selectorELNS0_4arch9wavefront6targetE0EEEvT1_,comdat
.Lfunc_end512:
	.size	_ZN7rocprim17ROCPRIM_400000_NS6detail17trampoline_kernelINS0_14default_configENS1_29reduce_by_key_config_selectorIxxN6thrust23THRUST_200600_302600_NS4plusIxEEEEZZNS1_33reduce_by_key_impl_wrapped_configILNS1_25lookback_scan_determinismE0ES3_S9_NS6_6detail15normal_iteratorINS6_10device_ptrIxEEEESG_SG_SG_PmS8_22is_equal_div_10_reduceIxEEE10hipError_tPvRmT2_T3_mT4_T5_T6_T7_T8_P12ihipStream_tbENKUlT_T0_E_clISt17integral_constantIbLb0EES11_EEDaSW_SX_EUlSW_E_NS1_11comp_targetILNS1_3genE2ELNS1_11target_archE906ELNS1_3gpuE6ELNS1_3repE0EEENS1_30default_config_static_selectorELNS0_4arch9wavefront6targetE0EEEvT1_, .Lfunc_end512-_ZN7rocprim17ROCPRIM_400000_NS6detail17trampoline_kernelINS0_14default_configENS1_29reduce_by_key_config_selectorIxxN6thrust23THRUST_200600_302600_NS4plusIxEEEEZZNS1_33reduce_by_key_impl_wrapped_configILNS1_25lookback_scan_determinismE0ES3_S9_NS6_6detail15normal_iteratorINS6_10device_ptrIxEEEESG_SG_SG_PmS8_22is_equal_div_10_reduceIxEEE10hipError_tPvRmT2_T3_mT4_T5_T6_T7_T8_P12ihipStream_tbENKUlT_T0_E_clISt17integral_constantIbLb0EES11_EEDaSW_SX_EUlSW_E_NS1_11comp_targetILNS1_3genE2ELNS1_11target_archE906ELNS1_3gpuE6ELNS1_3repE0EEENS1_30default_config_static_selectorELNS0_4arch9wavefront6targetE0EEEvT1_
                                        ; -- End function
	.section	.AMDGPU.csdata,"",@progbits
; Kernel info:
; codeLenInByte = 0
; NumSgprs: 0
; NumVgprs: 0
; ScratchSize: 0
; MemoryBound: 0
; FloatMode: 240
; IeeeMode: 1
; LDSByteSize: 0 bytes/workgroup (compile time only)
; SGPRBlocks: 0
; VGPRBlocks: 0
; NumSGPRsForWavesPerEU: 1
; NumVGPRsForWavesPerEU: 1
; Occupancy: 16
; WaveLimiterHint : 0
; COMPUTE_PGM_RSRC2:SCRATCH_EN: 0
; COMPUTE_PGM_RSRC2:USER_SGPR: 15
; COMPUTE_PGM_RSRC2:TRAP_HANDLER: 0
; COMPUTE_PGM_RSRC2:TGID_X_EN: 1
; COMPUTE_PGM_RSRC2:TGID_Y_EN: 0
; COMPUTE_PGM_RSRC2:TGID_Z_EN: 0
; COMPUTE_PGM_RSRC2:TIDIG_COMP_CNT: 0
	.section	.text._ZN7rocprim17ROCPRIM_400000_NS6detail17trampoline_kernelINS0_14default_configENS1_29reduce_by_key_config_selectorIxxN6thrust23THRUST_200600_302600_NS4plusIxEEEEZZNS1_33reduce_by_key_impl_wrapped_configILNS1_25lookback_scan_determinismE0ES3_S9_NS6_6detail15normal_iteratorINS6_10device_ptrIxEEEESG_SG_SG_PmS8_22is_equal_div_10_reduceIxEEE10hipError_tPvRmT2_T3_mT4_T5_T6_T7_T8_P12ihipStream_tbENKUlT_T0_E_clISt17integral_constantIbLb0EES11_EEDaSW_SX_EUlSW_E_NS1_11comp_targetILNS1_3genE10ELNS1_11target_archE1201ELNS1_3gpuE5ELNS1_3repE0EEENS1_30default_config_static_selectorELNS0_4arch9wavefront6targetE0EEEvT1_,"axG",@progbits,_ZN7rocprim17ROCPRIM_400000_NS6detail17trampoline_kernelINS0_14default_configENS1_29reduce_by_key_config_selectorIxxN6thrust23THRUST_200600_302600_NS4plusIxEEEEZZNS1_33reduce_by_key_impl_wrapped_configILNS1_25lookback_scan_determinismE0ES3_S9_NS6_6detail15normal_iteratorINS6_10device_ptrIxEEEESG_SG_SG_PmS8_22is_equal_div_10_reduceIxEEE10hipError_tPvRmT2_T3_mT4_T5_T6_T7_T8_P12ihipStream_tbENKUlT_T0_E_clISt17integral_constantIbLb0EES11_EEDaSW_SX_EUlSW_E_NS1_11comp_targetILNS1_3genE10ELNS1_11target_archE1201ELNS1_3gpuE5ELNS1_3repE0EEENS1_30default_config_static_selectorELNS0_4arch9wavefront6targetE0EEEvT1_,comdat
	.protected	_ZN7rocprim17ROCPRIM_400000_NS6detail17trampoline_kernelINS0_14default_configENS1_29reduce_by_key_config_selectorIxxN6thrust23THRUST_200600_302600_NS4plusIxEEEEZZNS1_33reduce_by_key_impl_wrapped_configILNS1_25lookback_scan_determinismE0ES3_S9_NS6_6detail15normal_iteratorINS6_10device_ptrIxEEEESG_SG_SG_PmS8_22is_equal_div_10_reduceIxEEE10hipError_tPvRmT2_T3_mT4_T5_T6_T7_T8_P12ihipStream_tbENKUlT_T0_E_clISt17integral_constantIbLb0EES11_EEDaSW_SX_EUlSW_E_NS1_11comp_targetILNS1_3genE10ELNS1_11target_archE1201ELNS1_3gpuE5ELNS1_3repE0EEENS1_30default_config_static_selectorELNS0_4arch9wavefront6targetE0EEEvT1_ ; -- Begin function _ZN7rocprim17ROCPRIM_400000_NS6detail17trampoline_kernelINS0_14default_configENS1_29reduce_by_key_config_selectorIxxN6thrust23THRUST_200600_302600_NS4plusIxEEEEZZNS1_33reduce_by_key_impl_wrapped_configILNS1_25lookback_scan_determinismE0ES3_S9_NS6_6detail15normal_iteratorINS6_10device_ptrIxEEEESG_SG_SG_PmS8_22is_equal_div_10_reduceIxEEE10hipError_tPvRmT2_T3_mT4_T5_T6_T7_T8_P12ihipStream_tbENKUlT_T0_E_clISt17integral_constantIbLb0EES11_EEDaSW_SX_EUlSW_E_NS1_11comp_targetILNS1_3genE10ELNS1_11target_archE1201ELNS1_3gpuE5ELNS1_3repE0EEENS1_30default_config_static_selectorELNS0_4arch9wavefront6targetE0EEEvT1_
	.globl	_ZN7rocprim17ROCPRIM_400000_NS6detail17trampoline_kernelINS0_14default_configENS1_29reduce_by_key_config_selectorIxxN6thrust23THRUST_200600_302600_NS4plusIxEEEEZZNS1_33reduce_by_key_impl_wrapped_configILNS1_25lookback_scan_determinismE0ES3_S9_NS6_6detail15normal_iteratorINS6_10device_ptrIxEEEESG_SG_SG_PmS8_22is_equal_div_10_reduceIxEEE10hipError_tPvRmT2_T3_mT4_T5_T6_T7_T8_P12ihipStream_tbENKUlT_T0_E_clISt17integral_constantIbLb0EES11_EEDaSW_SX_EUlSW_E_NS1_11comp_targetILNS1_3genE10ELNS1_11target_archE1201ELNS1_3gpuE5ELNS1_3repE0EEENS1_30default_config_static_selectorELNS0_4arch9wavefront6targetE0EEEvT1_
	.p2align	8
	.type	_ZN7rocprim17ROCPRIM_400000_NS6detail17trampoline_kernelINS0_14default_configENS1_29reduce_by_key_config_selectorIxxN6thrust23THRUST_200600_302600_NS4plusIxEEEEZZNS1_33reduce_by_key_impl_wrapped_configILNS1_25lookback_scan_determinismE0ES3_S9_NS6_6detail15normal_iteratorINS6_10device_ptrIxEEEESG_SG_SG_PmS8_22is_equal_div_10_reduceIxEEE10hipError_tPvRmT2_T3_mT4_T5_T6_T7_T8_P12ihipStream_tbENKUlT_T0_E_clISt17integral_constantIbLb0EES11_EEDaSW_SX_EUlSW_E_NS1_11comp_targetILNS1_3genE10ELNS1_11target_archE1201ELNS1_3gpuE5ELNS1_3repE0EEENS1_30default_config_static_selectorELNS0_4arch9wavefront6targetE0EEEvT1_,@function
_ZN7rocprim17ROCPRIM_400000_NS6detail17trampoline_kernelINS0_14default_configENS1_29reduce_by_key_config_selectorIxxN6thrust23THRUST_200600_302600_NS4plusIxEEEEZZNS1_33reduce_by_key_impl_wrapped_configILNS1_25lookback_scan_determinismE0ES3_S9_NS6_6detail15normal_iteratorINS6_10device_ptrIxEEEESG_SG_SG_PmS8_22is_equal_div_10_reduceIxEEE10hipError_tPvRmT2_T3_mT4_T5_T6_T7_T8_P12ihipStream_tbENKUlT_T0_E_clISt17integral_constantIbLb0EES11_EEDaSW_SX_EUlSW_E_NS1_11comp_targetILNS1_3genE10ELNS1_11target_archE1201ELNS1_3gpuE5ELNS1_3repE0EEENS1_30default_config_static_selectorELNS0_4arch9wavefront6targetE0EEEvT1_: ; @_ZN7rocprim17ROCPRIM_400000_NS6detail17trampoline_kernelINS0_14default_configENS1_29reduce_by_key_config_selectorIxxN6thrust23THRUST_200600_302600_NS4plusIxEEEEZZNS1_33reduce_by_key_impl_wrapped_configILNS1_25lookback_scan_determinismE0ES3_S9_NS6_6detail15normal_iteratorINS6_10device_ptrIxEEEESG_SG_SG_PmS8_22is_equal_div_10_reduceIxEEE10hipError_tPvRmT2_T3_mT4_T5_T6_T7_T8_P12ihipStream_tbENKUlT_T0_E_clISt17integral_constantIbLb0EES11_EEDaSW_SX_EUlSW_E_NS1_11comp_targetILNS1_3genE10ELNS1_11target_archE1201ELNS1_3gpuE5ELNS1_3repE0EEENS1_30default_config_static_selectorELNS0_4arch9wavefront6targetE0EEEvT1_
; %bb.0:
	.section	.rodata,"a",@progbits
	.p2align	6, 0x0
	.amdhsa_kernel _ZN7rocprim17ROCPRIM_400000_NS6detail17trampoline_kernelINS0_14default_configENS1_29reduce_by_key_config_selectorIxxN6thrust23THRUST_200600_302600_NS4plusIxEEEEZZNS1_33reduce_by_key_impl_wrapped_configILNS1_25lookback_scan_determinismE0ES3_S9_NS6_6detail15normal_iteratorINS6_10device_ptrIxEEEESG_SG_SG_PmS8_22is_equal_div_10_reduceIxEEE10hipError_tPvRmT2_T3_mT4_T5_T6_T7_T8_P12ihipStream_tbENKUlT_T0_E_clISt17integral_constantIbLb0EES11_EEDaSW_SX_EUlSW_E_NS1_11comp_targetILNS1_3genE10ELNS1_11target_archE1201ELNS1_3gpuE5ELNS1_3repE0EEENS1_30default_config_static_selectorELNS0_4arch9wavefront6targetE0EEEvT1_
		.amdhsa_group_segment_fixed_size 0
		.amdhsa_private_segment_fixed_size 0
		.amdhsa_kernarg_size 136
		.amdhsa_user_sgpr_count 15
		.amdhsa_user_sgpr_dispatch_ptr 0
		.amdhsa_user_sgpr_queue_ptr 0
		.amdhsa_user_sgpr_kernarg_segment_ptr 1
		.amdhsa_user_sgpr_dispatch_id 0
		.amdhsa_user_sgpr_private_segment_size 0
		.amdhsa_wavefront_size32 1
		.amdhsa_uses_dynamic_stack 0
		.amdhsa_enable_private_segment 0
		.amdhsa_system_sgpr_workgroup_id_x 1
		.amdhsa_system_sgpr_workgroup_id_y 0
		.amdhsa_system_sgpr_workgroup_id_z 0
		.amdhsa_system_sgpr_workgroup_info 0
		.amdhsa_system_vgpr_workitem_id 0
		.amdhsa_next_free_vgpr 1
		.amdhsa_next_free_sgpr 1
		.amdhsa_reserve_vcc 0
		.amdhsa_float_round_mode_32 0
		.amdhsa_float_round_mode_16_64 0
		.amdhsa_float_denorm_mode_32 3
		.amdhsa_float_denorm_mode_16_64 3
		.amdhsa_dx10_clamp 1
		.amdhsa_ieee_mode 1
		.amdhsa_fp16_overflow 0
		.amdhsa_workgroup_processor_mode 1
		.amdhsa_memory_ordered 1
		.amdhsa_forward_progress 0
		.amdhsa_shared_vgpr_count 0
		.amdhsa_exception_fp_ieee_invalid_op 0
		.amdhsa_exception_fp_denorm_src 0
		.amdhsa_exception_fp_ieee_div_zero 0
		.amdhsa_exception_fp_ieee_overflow 0
		.amdhsa_exception_fp_ieee_underflow 0
		.amdhsa_exception_fp_ieee_inexact 0
		.amdhsa_exception_int_div_zero 0
	.end_amdhsa_kernel
	.section	.text._ZN7rocprim17ROCPRIM_400000_NS6detail17trampoline_kernelINS0_14default_configENS1_29reduce_by_key_config_selectorIxxN6thrust23THRUST_200600_302600_NS4plusIxEEEEZZNS1_33reduce_by_key_impl_wrapped_configILNS1_25lookback_scan_determinismE0ES3_S9_NS6_6detail15normal_iteratorINS6_10device_ptrIxEEEESG_SG_SG_PmS8_22is_equal_div_10_reduceIxEEE10hipError_tPvRmT2_T3_mT4_T5_T6_T7_T8_P12ihipStream_tbENKUlT_T0_E_clISt17integral_constantIbLb0EES11_EEDaSW_SX_EUlSW_E_NS1_11comp_targetILNS1_3genE10ELNS1_11target_archE1201ELNS1_3gpuE5ELNS1_3repE0EEENS1_30default_config_static_selectorELNS0_4arch9wavefront6targetE0EEEvT1_,"axG",@progbits,_ZN7rocprim17ROCPRIM_400000_NS6detail17trampoline_kernelINS0_14default_configENS1_29reduce_by_key_config_selectorIxxN6thrust23THRUST_200600_302600_NS4plusIxEEEEZZNS1_33reduce_by_key_impl_wrapped_configILNS1_25lookback_scan_determinismE0ES3_S9_NS6_6detail15normal_iteratorINS6_10device_ptrIxEEEESG_SG_SG_PmS8_22is_equal_div_10_reduceIxEEE10hipError_tPvRmT2_T3_mT4_T5_T6_T7_T8_P12ihipStream_tbENKUlT_T0_E_clISt17integral_constantIbLb0EES11_EEDaSW_SX_EUlSW_E_NS1_11comp_targetILNS1_3genE10ELNS1_11target_archE1201ELNS1_3gpuE5ELNS1_3repE0EEENS1_30default_config_static_selectorELNS0_4arch9wavefront6targetE0EEEvT1_,comdat
.Lfunc_end513:
	.size	_ZN7rocprim17ROCPRIM_400000_NS6detail17trampoline_kernelINS0_14default_configENS1_29reduce_by_key_config_selectorIxxN6thrust23THRUST_200600_302600_NS4plusIxEEEEZZNS1_33reduce_by_key_impl_wrapped_configILNS1_25lookback_scan_determinismE0ES3_S9_NS6_6detail15normal_iteratorINS6_10device_ptrIxEEEESG_SG_SG_PmS8_22is_equal_div_10_reduceIxEEE10hipError_tPvRmT2_T3_mT4_T5_T6_T7_T8_P12ihipStream_tbENKUlT_T0_E_clISt17integral_constantIbLb0EES11_EEDaSW_SX_EUlSW_E_NS1_11comp_targetILNS1_3genE10ELNS1_11target_archE1201ELNS1_3gpuE5ELNS1_3repE0EEENS1_30default_config_static_selectorELNS0_4arch9wavefront6targetE0EEEvT1_, .Lfunc_end513-_ZN7rocprim17ROCPRIM_400000_NS6detail17trampoline_kernelINS0_14default_configENS1_29reduce_by_key_config_selectorIxxN6thrust23THRUST_200600_302600_NS4plusIxEEEEZZNS1_33reduce_by_key_impl_wrapped_configILNS1_25lookback_scan_determinismE0ES3_S9_NS6_6detail15normal_iteratorINS6_10device_ptrIxEEEESG_SG_SG_PmS8_22is_equal_div_10_reduceIxEEE10hipError_tPvRmT2_T3_mT4_T5_T6_T7_T8_P12ihipStream_tbENKUlT_T0_E_clISt17integral_constantIbLb0EES11_EEDaSW_SX_EUlSW_E_NS1_11comp_targetILNS1_3genE10ELNS1_11target_archE1201ELNS1_3gpuE5ELNS1_3repE0EEENS1_30default_config_static_selectorELNS0_4arch9wavefront6targetE0EEEvT1_
                                        ; -- End function
	.section	.AMDGPU.csdata,"",@progbits
; Kernel info:
; codeLenInByte = 0
; NumSgprs: 0
; NumVgprs: 0
; ScratchSize: 0
; MemoryBound: 0
; FloatMode: 240
; IeeeMode: 1
; LDSByteSize: 0 bytes/workgroup (compile time only)
; SGPRBlocks: 0
; VGPRBlocks: 0
; NumSGPRsForWavesPerEU: 1
; NumVGPRsForWavesPerEU: 1
; Occupancy: 16
; WaveLimiterHint : 0
; COMPUTE_PGM_RSRC2:SCRATCH_EN: 0
; COMPUTE_PGM_RSRC2:USER_SGPR: 15
; COMPUTE_PGM_RSRC2:TRAP_HANDLER: 0
; COMPUTE_PGM_RSRC2:TGID_X_EN: 1
; COMPUTE_PGM_RSRC2:TGID_Y_EN: 0
; COMPUTE_PGM_RSRC2:TGID_Z_EN: 0
; COMPUTE_PGM_RSRC2:TIDIG_COMP_CNT: 0
	.section	.text._ZN7rocprim17ROCPRIM_400000_NS6detail17trampoline_kernelINS0_14default_configENS1_29reduce_by_key_config_selectorIxxN6thrust23THRUST_200600_302600_NS4plusIxEEEEZZNS1_33reduce_by_key_impl_wrapped_configILNS1_25lookback_scan_determinismE0ES3_S9_NS6_6detail15normal_iteratorINS6_10device_ptrIxEEEESG_SG_SG_PmS8_22is_equal_div_10_reduceIxEEE10hipError_tPvRmT2_T3_mT4_T5_T6_T7_T8_P12ihipStream_tbENKUlT_T0_E_clISt17integral_constantIbLb0EES11_EEDaSW_SX_EUlSW_E_NS1_11comp_targetILNS1_3genE10ELNS1_11target_archE1200ELNS1_3gpuE4ELNS1_3repE0EEENS1_30default_config_static_selectorELNS0_4arch9wavefront6targetE0EEEvT1_,"axG",@progbits,_ZN7rocprim17ROCPRIM_400000_NS6detail17trampoline_kernelINS0_14default_configENS1_29reduce_by_key_config_selectorIxxN6thrust23THRUST_200600_302600_NS4plusIxEEEEZZNS1_33reduce_by_key_impl_wrapped_configILNS1_25lookback_scan_determinismE0ES3_S9_NS6_6detail15normal_iteratorINS6_10device_ptrIxEEEESG_SG_SG_PmS8_22is_equal_div_10_reduceIxEEE10hipError_tPvRmT2_T3_mT4_T5_T6_T7_T8_P12ihipStream_tbENKUlT_T0_E_clISt17integral_constantIbLb0EES11_EEDaSW_SX_EUlSW_E_NS1_11comp_targetILNS1_3genE10ELNS1_11target_archE1200ELNS1_3gpuE4ELNS1_3repE0EEENS1_30default_config_static_selectorELNS0_4arch9wavefront6targetE0EEEvT1_,comdat
	.protected	_ZN7rocprim17ROCPRIM_400000_NS6detail17trampoline_kernelINS0_14default_configENS1_29reduce_by_key_config_selectorIxxN6thrust23THRUST_200600_302600_NS4plusIxEEEEZZNS1_33reduce_by_key_impl_wrapped_configILNS1_25lookback_scan_determinismE0ES3_S9_NS6_6detail15normal_iteratorINS6_10device_ptrIxEEEESG_SG_SG_PmS8_22is_equal_div_10_reduceIxEEE10hipError_tPvRmT2_T3_mT4_T5_T6_T7_T8_P12ihipStream_tbENKUlT_T0_E_clISt17integral_constantIbLb0EES11_EEDaSW_SX_EUlSW_E_NS1_11comp_targetILNS1_3genE10ELNS1_11target_archE1200ELNS1_3gpuE4ELNS1_3repE0EEENS1_30default_config_static_selectorELNS0_4arch9wavefront6targetE0EEEvT1_ ; -- Begin function _ZN7rocprim17ROCPRIM_400000_NS6detail17trampoline_kernelINS0_14default_configENS1_29reduce_by_key_config_selectorIxxN6thrust23THRUST_200600_302600_NS4plusIxEEEEZZNS1_33reduce_by_key_impl_wrapped_configILNS1_25lookback_scan_determinismE0ES3_S9_NS6_6detail15normal_iteratorINS6_10device_ptrIxEEEESG_SG_SG_PmS8_22is_equal_div_10_reduceIxEEE10hipError_tPvRmT2_T3_mT4_T5_T6_T7_T8_P12ihipStream_tbENKUlT_T0_E_clISt17integral_constantIbLb0EES11_EEDaSW_SX_EUlSW_E_NS1_11comp_targetILNS1_3genE10ELNS1_11target_archE1200ELNS1_3gpuE4ELNS1_3repE0EEENS1_30default_config_static_selectorELNS0_4arch9wavefront6targetE0EEEvT1_
	.globl	_ZN7rocprim17ROCPRIM_400000_NS6detail17trampoline_kernelINS0_14default_configENS1_29reduce_by_key_config_selectorIxxN6thrust23THRUST_200600_302600_NS4plusIxEEEEZZNS1_33reduce_by_key_impl_wrapped_configILNS1_25lookback_scan_determinismE0ES3_S9_NS6_6detail15normal_iteratorINS6_10device_ptrIxEEEESG_SG_SG_PmS8_22is_equal_div_10_reduceIxEEE10hipError_tPvRmT2_T3_mT4_T5_T6_T7_T8_P12ihipStream_tbENKUlT_T0_E_clISt17integral_constantIbLb0EES11_EEDaSW_SX_EUlSW_E_NS1_11comp_targetILNS1_3genE10ELNS1_11target_archE1200ELNS1_3gpuE4ELNS1_3repE0EEENS1_30default_config_static_selectorELNS0_4arch9wavefront6targetE0EEEvT1_
	.p2align	8
	.type	_ZN7rocprim17ROCPRIM_400000_NS6detail17trampoline_kernelINS0_14default_configENS1_29reduce_by_key_config_selectorIxxN6thrust23THRUST_200600_302600_NS4plusIxEEEEZZNS1_33reduce_by_key_impl_wrapped_configILNS1_25lookback_scan_determinismE0ES3_S9_NS6_6detail15normal_iteratorINS6_10device_ptrIxEEEESG_SG_SG_PmS8_22is_equal_div_10_reduceIxEEE10hipError_tPvRmT2_T3_mT4_T5_T6_T7_T8_P12ihipStream_tbENKUlT_T0_E_clISt17integral_constantIbLb0EES11_EEDaSW_SX_EUlSW_E_NS1_11comp_targetILNS1_3genE10ELNS1_11target_archE1200ELNS1_3gpuE4ELNS1_3repE0EEENS1_30default_config_static_selectorELNS0_4arch9wavefront6targetE0EEEvT1_,@function
_ZN7rocprim17ROCPRIM_400000_NS6detail17trampoline_kernelINS0_14default_configENS1_29reduce_by_key_config_selectorIxxN6thrust23THRUST_200600_302600_NS4plusIxEEEEZZNS1_33reduce_by_key_impl_wrapped_configILNS1_25lookback_scan_determinismE0ES3_S9_NS6_6detail15normal_iteratorINS6_10device_ptrIxEEEESG_SG_SG_PmS8_22is_equal_div_10_reduceIxEEE10hipError_tPvRmT2_T3_mT4_T5_T6_T7_T8_P12ihipStream_tbENKUlT_T0_E_clISt17integral_constantIbLb0EES11_EEDaSW_SX_EUlSW_E_NS1_11comp_targetILNS1_3genE10ELNS1_11target_archE1200ELNS1_3gpuE4ELNS1_3repE0EEENS1_30default_config_static_selectorELNS0_4arch9wavefront6targetE0EEEvT1_: ; @_ZN7rocprim17ROCPRIM_400000_NS6detail17trampoline_kernelINS0_14default_configENS1_29reduce_by_key_config_selectorIxxN6thrust23THRUST_200600_302600_NS4plusIxEEEEZZNS1_33reduce_by_key_impl_wrapped_configILNS1_25lookback_scan_determinismE0ES3_S9_NS6_6detail15normal_iteratorINS6_10device_ptrIxEEEESG_SG_SG_PmS8_22is_equal_div_10_reduceIxEEE10hipError_tPvRmT2_T3_mT4_T5_T6_T7_T8_P12ihipStream_tbENKUlT_T0_E_clISt17integral_constantIbLb0EES11_EEDaSW_SX_EUlSW_E_NS1_11comp_targetILNS1_3genE10ELNS1_11target_archE1200ELNS1_3gpuE4ELNS1_3repE0EEENS1_30default_config_static_selectorELNS0_4arch9wavefront6targetE0EEEvT1_
; %bb.0:
	.section	.rodata,"a",@progbits
	.p2align	6, 0x0
	.amdhsa_kernel _ZN7rocprim17ROCPRIM_400000_NS6detail17trampoline_kernelINS0_14default_configENS1_29reduce_by_key_config_selectorIxxN6thrust23THRUST_200600_302600_NS4plusIxEEEEZZNS1_33reduce_by_key_impl_wrapped_configILNS1_25lookback_scan_determinismE0ES3_S9_NS6_6detail15normal_iteratorINS6_10device_ptrIxEEEESG_SG_SG_PmS8_22is_equal_div_10_reduceIxEEE10hipError_tPvRmT2_T3_mT4_T5_T6_T7_T8_P12ihipStream_tbENKUlT_T0_E_clISt17integral_constantIbLb0EES11_EEDaSW_SX_EUlSW_E_NS1_11comp_targetILNS1_3genE10ELNS1_11target_archE1200ELNS1_3gpuE4ELNS1_3repE0EEENS1_30default_config_static_selectorELNS0_4arch9wavefront6targetE0EEEvT1_
		.amdhsa_group_segment_fixed_size 0
		.amdhsa_private_segment_fixed_size 0
		.amdhsa_kernarg_size 136
		.amdhsa_user_sgpr_count 15
		.amdhsa_user_sgpr_dispatch_ptr 0
		.amdhsa_user_sgpr_queue_ptr 0
		.amdhsa_user_sgpr_kernarg_segment_ptr 1
		.amdhsa_user_sgpr_dispatch_id 0
		.amdhsa_user_sgpr_private_segment_size 0
		.amdhsa_wavefront_size32 1
		.amdhsa_uses_dynamic_stack 0
		.amdhsa_enable_private_segment 0
		.amdhsa_system_sgpr_workgroup_id_x 1
		.amdhsa_system_sgpr_workgroup_id_y 0
		.amdhsa_system_sgpr_workgroup_id_z 0
		.amdhsa_system_sgpr_workgroup_info 0
		.amdhsa_system_vgpr_workitem_id 0
		.amdhsa_next_free_vgpr 1
		.amdhsa_next_free_sgpr 1
		.amdhsa_reserve_vcc 0
		.amdhsa_float_round_mode_32 0
		.amdhsa_float_round_mode_16_64 0
		.amdhsa_float_denorm_mode_32 3
		.amdhsa_float_denorm_mode_16_64 3
		.amdhsa_dx10_clamp 1
		.amdhsa_ieee_mode 1
		.amdhsa_fp16_overflow 0
		.amdhsa_workgroup_processor_mode 1
		.amdhsa_memory_ordered 1
		.amdhsa_forward_progress 0
		.amdhsa_shared_vgpr_count 0
		.amdhsa_exception_fp_ieee_invalid_op 0
		.amdhsa_exception_fp_denorm_src 0
		.amdhsa_exception_fp_ieee_div_zero 0
		.amdhsa_exception_fp_ieee_overflow 0
		.amdhsa_exception_fp_ieee_underflow 0
		.amdhsa_exception_fp_ieee_inexact 0
		.amdhsa_exception_int_div_zero 0
	.end_amdhsa_kernel
	.section	.text._ZN7rocprim17ROCPRIM_400000_NS6detail17trampoline_kernelINS0_14default_configENS1_29reduce_by_key_config_selectorIxxN6thrust23THRUST_200600_302600_NS4plusIxEEEEZZNS1_33reduce_by_key_impl_wrapped_configILNS1_25lookback_scan_determinismE0ES3_S9_NS6_6detail15normal_iteratorINS6_10device_ptrIxEEEESG_SG_SG_PmS8_22is_equal_div_10_reduceIxEEE10hipError_tPvRmT2_T3_mT4_T5_T6_T7_T8_P12ihipStream_tbENKUlT_T0_E_clISt17integral_constantIbLb0EES11_EEDaSW_SX_EUlSW_E_NS1_11comp_targetILNS1_3genE10ELNS1_11target_archE1200ELNS1_3gpuE4ELNS1_3repE0EEENS1_30default_config_static_selectorELNS0_4arch9wavefront6targetE0EEEvT1_,"axG",@progbits,_ZN7rocprim17ROCPRIM_400000_NS6detail17trampoline_kernelINS0_14default_configENS1_29reduce_by_key_config_selectorIxxN6thrust23THRUST_200600_302600_NS4plusIxEEEEZZNS1_33reduce_by_key_impl_wrapped_configILNS1_25lookback_scan_determinismE0ES3_S9_NS6_6detail15normal_iteratorINS6_10device_ptrIxEEEESG_SG_SG_PmS8_22is_equal_div_10_reduceIxEEE10hipError_tPvRmT2_T3_mT4_T5_T6_T7_T8_P12ihipStream_tbENKUlT_T0_E_clISt17integral_constantIbLb0EES11_EEDaSW_SX_EUlSW_E_NS1_11comp_targetILNS1_3genE10ELNS1_11target_archE1200ELNS1_3gpuE4ELNS1_3repE0EEENS1_30default_config_static_selectorELNS0_4arch9wavefront6targetE0EEEvT1_,comdat
.Lfunc_end514:
	.size	_ZN7rocprim17ROCPRIM_400000_NS6detail17trampoline_kernelINS0_14default_configENS1_29reduce_by_key_config_selectorIxxN6thrust23THRUST_200600_302600_NS4plusIxEEEEZZNS1_33reduce_by_key_impl_wrapped_configILNS1_25lookback_scan_determinismE0ES3_S9_NS6_6detail15normal_iteratorINS6_10device_ptrIxEEEESG_SG_SG_PmS8_22is_equal_div_10_reduceIxEEE10hipError_tPvRmT2_T3_mT4_T5_T6_T7_T8_P12ihipStream_tbENKUlT_T0_E_clISt17integral_constantIbLb0EES11_EEDaSW_SX_EUlSW_E_NS1_11comp_targetILNS1_3genE10ELNS1_11target_archE1200ELNS1_3gpuE4ELNS1_3repE0EEENS1_30default_config_static_selectorELNS0_4arch9wavefront6targetE0EEEvT1_, .Lfunc_end514-_ZN7rocprim17ROCPRIM_400000_NS6detail17trampoline_kernelINS0_14default_configENS1_29reduce_by_key_config_selectorIxxN6thrust23THRUST_200600_302600_NS4plusIxEEEEZZNS1_33reduce_by_key_impl_wrapped_configILNS1_25lookback_scan_determinismE0ES3_S9_NS6_6detail15normal_iteratorINS6_10device_ptrIxEEEESG_SG_SG_PmS8_22is_equal_div_10_reduceIxEEE10hipError_tPvRmT2_T3_mT4_T5_T6_T7_T8_P12ihipStream_tbENKUlT_T0_E_clISt17integral_constantIbLb0EES11_EEDaSW_SX_EUlSW_E_NS1_11comp_targetILNS1_3genE10ELNS1_11target_archE1200ELNS1_3gpuE4ELNS1_3repE0EEENS1_30default_config_static_selectorELNS0_4arch9wavefront6targetE0EEEvT1_
                                        ; -- End function
	.section	.AMDGPU.csdata,"",@progbits
; Kernel info:
; codeLenInByte = 0
; NumSgprs: 0
; NumVgprs: 0
; ScratchSize: 0
; MemoryBound: 0
; FloatMode: 240
; IeeeMode: 1
; LDSByteSize: 0 bytes/workgroup (compile time only)
; SGPRBlocks: 0
; VGPRBlocks: 0
; NumSGPRsForWavesPerEU: 1
; NumVGPRsForWavesPerEU: 1
; Occupancy: 16
; WaveLimiterHint : 0
; COMPUTE_PGM_RSRC2:SCRATCH_EN: 0
; COMPUTE_PGM_RSRC2:USER_SGPR: 15
; COMPUTE_PGM_RSRC2:TRAP_HANDLER: 0
; COMPUTE_PGM_RSRC2:TGID_X_EN: 1
; COMPUTE_PGM_RSRC2:TGID_Y_EN: 0
; COMPUTE_PGM_RSRC2:TGID_Z_EN: 0
; COMPUTE_PGM_RSRC2:TIDIG_COMP_CNT: 0
	.section	.text._ZN7rocprim17ROCPRIM_400000_NS6detail17trampoline_kernelINS0_14default_configENS1_29reduce_by_key_config_selectorIxxN6thrust23THRUST_200600_302600_NS4plusIxEEEEZZNS1_33reduce_by_key_impl_wrapped_configILNS1_25lookback_scan_determinismE0ES3_S9_NS6_6detail15normal_iteratorINS6_10device_ptrIxEEEESG_SG_SG_PmS8_22is_equal_div_10_reduceIxEEE10hipError_tPvRmT2_T3_mT4_T5_T6_T7_T8_P12ihipStream_tbENKUlT_T0_E_clISt17integral_constantIbLb0EES11_EEDaSW_SX_EUlSW_E_NS1_11comp_targetILNS1_3genE9ELNS1_11target_archE1100ELNS1_3gpuE3ELNS1_3repE0EEENS1_30default_config_static_selectorELNS0_4arch9wavefront6targetE0EEEvT1_,"axG",@progbits,_ZN7rocprim17ROCPRIM_400000_NS6detail17trampoline_kernelINS0_14default_configENS1_29reduce_by_key_config_selectorIxxN6thrust23THRUST_200600_302600_NS4plusIxEEEEZZNS1_33reduce_by_key_impl_wrapped_configILNS1_25lookback_scan_determinismE0ES3_S9_NS6_6detail15normal_iteratorINS6_10device_ptrIxEEEESG_SG_SG_PmS8_22is_equal_div_10_reduceIxEEE10hipError_tPvRmT2_T3_mT4_T5_T6_T7_T8_P12ihipStream_tbENKUlT_T0_E_clISt17integral_constantIbLb0EES11_EEDaSW_SX_EUlSW_E_NS1_11comp_targetILNS1_3genE9ELNS1_11target_archE1100ELNS1_3gpuE3ELNS1_3repE0EEENS1_30default_config_static_selectorELNS0_4arch9wavefront6targetE0EEEvT1_,comdat
	.protected	_ZN7rocprim17ROCPRIM_400000_NS6detail17trampoline_kernelINS0_14default_configENS1_29reduce_by_key_config_selectorIxxN6thrust23THRUST_200600_302600_NS4plusIxEEEEZZNS1_33reduce_by_key_impl_wrapped_configILNS1_25lookback_scan_determinismE0ES3_S9_NS6_6detail15normal_iteratorINS6_10device_ptrIxEEEESG_SG_SG_PmS8_22is_equal_div_10_reduceIxEEE10hipError_tPvRmT2_T3_mT4_T5_T6_T7_T8_P12ihipStream_tbENKUlT_T0_E_clISt17integral_constantIbLb0EES11_EEDaSW_SX_EUlSW_E_NS1_11comp_targetILNS1_3genE9ELNS1_11target_archE1100ELNS1_3gpuE3ELNS1_3repE0EEENS1_30default_config_static_selectorELNS0_4arch9wavefront6targetE0EEEvT1_ ; -- Begin function _ZN7rocprim17ROCPRIM_400000_NS6detail17trampoline_kernelINS0_14default_configENS1_29reduce_by_key_config_selectorIxxN6thrust23THRUST_200600_302600_NS4plusIxEEEEZZNS1_33reduce_by_key_impl_wrapped_configILNS1_25lookback_scan_determinismE0ES3_S9_NS6_6detail15normal_iteratorINS6_10device_ptrIxEEEESG_SG_SG_PmS8_22is_equal_div_10_reduceIxEEE10hipError_tPvRmT2_T3_mT4_T5_T6_T7_T8_P12ihipStream_tbENKUlT_T0_E_clISt17integral_constantIbLb0EES11_EEDaSW_SX_EUlSW_E_NS1_11comp_targetILNS1_3genE9ELNS1_11target_archE1100ELNS1_3gpuE3ELNS1_3repE0EEENS1_30default_config_static_selectorELNS0_4arch9wavefront6targetE0EEEvT1_
	.globl	_ZN7rocprim17ROCPRIM_400000_NS6detail17trampoline_kernelINS0_14default_configENS1_29reduce_by_key_config_selectorIxxN6thrust23THRUST_200600_302600_NS4plusIxEEEEZZNS1_33reduce_by_key_impl_wrapped_configILNS1_25lookback_scan_determinismE0ES3_S9_NS6_6detail15normal_iteratorINS6_10device_ptrIxEEEESG_SG_SG_PmS8_22is_equal_div_10_reduceIxEEE10hipError_tPvRmT2_T3_mT4_T5_T6_T7_T8_P12ihipStream_tbENKUlT_T0_E_clISt17integral_constantIbLb0EES11_EEDaSW_SX_EUlSW_E_NS1_11comp_targetILNS1_3genE9ELNS1_11target_archE1100ELNS1_3gpuE3ELNS1_3repE0EEENS1_30default_config_static_selectorELNS0_4arch9wavefront6targetE0EEEvT1_
	.p2align	8
	.type	_ZN7rocprim17ROCPRIM_400000_NS6detail17trampoline_kernelINS0_14default_configENS1_29reduce_by_key_config_selectorIxxN6thrust23THRUST_200600_302600_NS4plusIxEEEEZZNS1_33reduce_by_key_impl_wrapped_configILNS1_25lookback_scan_determinismE0ES3_S9_NS6_6detail15normal_iteratorINS6_10device_ptrIxEEEESG_SG_SG_PmS8_22is_equal_div_10_reduceIxEEE10hipError_tPvRmT2_T3_mT4_T5_T6_T7_T8_P12ihipStream_tbENKUlT_T0_E_clISt17integral_constantIbLb0EES11_EEDaSW_SX_EUlSW_E_NS1_11comp_targetILNS1_3genE9ELNS1_11target_archE1100ELNS1_3gpuE3ELNS1_3repE0EEENS1_30default_config_static_selectorELNS0_4arch9wavefront6targetE0EEEvT1_,@function
_ZN7rocprim17ROCPRIM_400000_NS6detail17trampoline_kernelINS0_14default_configENS1_29reduce_by_key_config_selectorIxxN6thrust23THRUST_200600_302600_NS4plusIxEEEEZZNS1_33reduce_by_key_impl_wrapped_configILNS1_25lookback_scan_determinismE0ES3_S9_NS6_6detail15normal_iteratorINS6_10device_ptrIxEEEESG_SG_SG_PmS8_22is_equal_div_10_reduceIxEEE10hipError_tPvRmT2_T3_mT4_T5_T6_T7_T8_P12ihipStream_tbENKUlT_T0_E_clISt17integral_constantIbLb0EES11_EEDaSW_SX_EUlSW_E_NS1_11comp_targetILNS1_3genE9ELNS1_11target_archE1100ELNS1_3gpuE3ELNS1_3repE0EEENS1_30default_config_static_selectorELNS0_4arch9wavefront6targetE0EEEvT1_: ; @_ZN7rocprim17ROCPRIM_400000_NS6detail17trampoline_kernelINS0_14default_configENS1_29reduce_by_key_config_selectorIxxN6thrust23THRUST_200600_302600_NS4plusIxEEEEZZNS1_33reduce_by_key_impl_wrapped_configILNS1_25lookback_scan_determinismE0ES3_S9_NS6_6detail15normal_iteratorINS6_10device_ptrIxEEEESG_SG_SG_PmS8_22is_equal_div_10_reduceIxEEE10hipError_tPvRmT2_T3_mT4_T5_T6_T7_T8_P12ihipStream_tbENKUlT_T0_E_clISt17integral_constantIbLb0EES11_EEDaSW_SX_EUlSW_E_NS1_11comp_targetILNS1_3genE9ELNS1_11target_archE1100ELNS1_3gpuE3ELNS1_3repE0EEENS1_30default_config_static_selectorELNS0_4arch9wavefront6targetE0EEEvT1_
; %bb.0:
	s_clause 0x2
	s_load_b256 s[36:43], s[0:1], 0x0
	s_load_b512 s[16:31], s[0:1], 0x38
	s_load_b128 s[44:47], s[0:1], 0x20
	s_mov_b32 s3, 0
	s_mul_i32 s2, s15, 0xf00
	s_waitcnt lgkmcnt(0)
	s_lshl_b64 s[4:5], s[38:39], 3
	s_mul_i32 s6, s24, s23
	s_add_u32 s10, s36, s4
	s_mul_hi_u32 s7, s24, s22
	s_addc_u32 s11, s37, s5
	s_add_u32 s12, s40, s4
	s_mul_i32 s8, s25, s22
	s_addc_u32 s13, s41, s5
	s_add_i32 s6, s7, s6
	s_lshl_b64 s[4:5], s[2:3], 3
	s_add_i32 s6, s6, s8
	s_add_u32 s14, s10, s4
	s_addc_u32 s36, s11, s5
	s_mul_i32 s9, s24, s22
	s_add_u32 s33, s12, s4
	s_addc_u32 s38, s13, s5
	s_add_u32 s34, s9, s15
	s_addc_u32 s35, s6, 0
	s_add_u32 s4, s26, -1
	s_addc_u32 s5, s27, -1
	s_mul_i32 s27, s4, 0xfffff100
	s_cmp_eq_u64 s[34:35], s[4:5]
	s_cselect_b32 s26, -1, 0
	s_cmp_lg_u64 s[34:35], s[4:5]
	s_cselect_b32 s37, -1, 0
	s_and_b32 vcc_lo, exec_lo, s26
	s_cbranch_vccnz .LBB515_2
; %bb.1:
	v_lshlrev_b32_e32 v62, 3, v0
	s_delay_alu instid0(VALU_DEP_1) | instskip(NEXT) | instid1(VALU_DEP_1)
	v_add_co_u32 v1, s2, s14, v62
	v_add_co_ci_u32_e64 v2, null, s36, 0, s2
	v_add_co_u32 v31, s2, s33, v62
	s_delay_alu instid0(VALU_DEP_3) | instskip(NEXT) | instid1(VALU_DEP_3)
	v_add_co_u32 v3, vcc_lo, 0x1000, v1
	v_add_co_ci_u32_e32 v4, vcc_lo, 0, v2, vcc_lo
	v_add_co_u32 v5, vcc_lo, 0x2000, v1
	v_add_co_ci_u32_e32 v6, vcc_lo, 0, v2, vcc_lo
	;; [unrolled: 2-line block ×6, first 2 shown]
	s_clause 0x7
	flat_load_b64 v[9:10], v[1:2]
	flat_load_b64 v[11:12], v[1:2] offset:2048
	flat_load_b64 v[13:14], v[3:4]
	flat_load_b64 v[3:4], v[3:4] offset:2048
	;; [unrolled: 2-line block ×4, first 2 shown]
	v_add_co_u32 v1, vcc_lo, 0x7000, v1
	v_add_co_ci_u32_e32 v2, vcc_lo, 0, v2, vcc_lo
	s_clause 0x6
	flat_load_b64 v[25:26], v[19:20]
	flat_load_b64 v[19:20], v[19:20] offset:2048
	flat_load_b64 v[27:28], v[21:22]
	flat_load_b64 v[21:22], v[21:22] offset:2048
	flat_load_b64 v[29:30], v[23:24]
	flat_load_b64 v[23:24], v[23:24] offset:2048
	flat_load_b64 v[1:2], v[1:2]
	v_add_co_ci_u32_e64 v32, null, s38, 0, s2
	v_add_co_u32 v33, vcc_lo, 0x1000, v31
	v_mad_u32_u24 v61, 0x70, v0, v62
	s_delay_alu instid0(VALU_DEP_3)
	v_add_co_ci_u32_e32 v34, vcc_lo, 0, v32, vcc_lo
	v_add_co_u32 v35, vcc_lo, 0x2000, v31
	v_add_co_ci_u32_e32 v36, vcc_lo, 0, v32, vcc_lo
	v_add_co_u32 v37, vcc_lo, 0x3000, v31
	;; [unrolled: 2-line block ×6, first 2 shown]
	v_add_co_ci_u32_e32 v46, vcc_lo, 0, v32, vcc_lo
	s_waitcnt vmcnt(13) lgkmcnt(13)
	ds_store_2addr_stride64_b64 v62, v[9:10], v[11:12] offset1:4
	s_waitcnt vmcnt(11) lgkmcnt(12)
	ds_store_2addr_stride64_b64 v62, v[13:14], v[3:4] offset0:8 offset1:12
	s_waitcnt vmcnt(9) lgkmcnt(11)
	ds_store_2addr_stride64_b64 v62, v[15:16], v[5:6] offset0:16 offset1:20
	;; [unrolled: 2-line block ×6, first 2 shown]
	s_waitcnt vmcnt(0) lgkmcnt(7)
	ds_store_b64 v62, v[1:2] offset:28672
	s_waitcnt lgkmcnt(0)
	s_barrier
	buffer_gl0_inv
	ds_load_2addr_b64 v[25:28], v61 offset1:1
	ds_load_2addr_b64 v[21:24], v61 offset0:2 offset1:3
	ds_load_2addr_b64 v[17:20], v61 offset0:4 offset1:5
	;; [unrolled: 1-line block ×6, first 2 shown]
	ds_load_b64 v[57:58], v61 offset:112
	s_waitcnt lgkmcnt(0)
	s_barrier
	buffer_gl0_inv
	s_clause 0xe
	flat_load_b64 v[29:30], v[31:32]
	flat_load_b64 v[31:32], v[31:32] offset:2048
	flat_load_b64 v[47:48], v[33:34]
	flat_load_b64 v[33:34], v[33:34] offset:2048
	;; [unrolled: 2-line block ×7, first 2 shown]
	flat_load_b64 v[45:46], v[45:46]
	s_waitcnt vmcnt(13) lgkmcnt(13)
	ds_store_2addr_stride64_b64 v62, v[29:30], v[31:32] offset1:4
	s_waitcnt vmcnt(11) lgkmcnt(12)
	ds_store_2addr_stride64_b64 v62, v[47:48], v[33:34] offset0:8 offset1:12
	s_waitcnt vmcnt(9) lgkmcnt(11)
	ds_store_2addr_stride64_b64 v62, v[49:50], v[35:36] offset0:16 offset1:20
	;; [unrolled: 2-line block ×6, first 2 shown]
	s_waitcnt vmcnt(0) lgkmcnt(7)
	ds_store_b64 v62, v[45:46] offset:28672
	s_waitcnt lgkmcnt(0)
	s_barrier
	s_load_b64 s[24:25], s[0:1], 0x78
	s_and_not1_b32 vcc_lo, exec_lo, s3
	s_add_i32 s27, s27, s28
	s_cbranch_vccz .LBB515_3
	s_branch .LBB515_50
.LBB515_2:
                                        ; implicit-def: $vgpr61
                                        ; implicit-def: $vgpr25_vgpr26
                                        ; implicit-def: $vgpr21_vgpr22
                                        ; implicit-def: $vgpr17_vgpr18
                                        ; implicit-def: $vgpr13_vgpr14
                                        ; implicit-def: $vgpr9_vgpr10
                                        ; implicit-def: $vgpr5_vgpr6
                                        ; implicit-def: $vgpr1_vgpr2
                                        ; implicit-def: $vgpr57_vgpr58
	s_load_b64 s[24:25], s[0:1], 0x78
	s_add_i32 s27, s27, s28
.LBB515_3:
	s_delay_alu instid0(SALU_CYCLE_1)
	v_cmp_gt_u32_e32 vcc_lo, s27, v0
                                        ; implicit-def: $vgpr1_vgpr2
	s_and_saveexec_b32 s0, vcc_lo
	s_cbranch_execz .LBB515_5
; %bb.4:
	v_lshlrev_b32_e32 v1, 3, v0
	s_delay_alu instid0(VALU_DEP_1) | instskip(NEXT) | instid1(VALU_DEP_1)
	v_add_co_u32 v1, s1, s14, v1
	v_add_co_ci_u32_e64 v2, null, s36, 0, s1
	flat_load_b64 v[1:2], v[1:2]
.LBB515_5:
	s_or_b32 exec_lo, exec_lo, s0
	v_or_b32_e32 v3, 0x100, v0
	s_delay_alu instid0(VALU_DEP_1) | instskip(NEXT) | instid1(VALU_DEP_1)
	v_cmp_gt_u32_e64 s0, s27, v3
                                        ; implicit-def: $vgpr3_vgpr4
	s_and_saveexec_b32 s1, s0
	s_cbranch_execz .LBB515_7
; %bb.6:
	v_lshlrev_b32_e32 v3, 3, v0
	s_delay_alu instid0(VALU_DEP_1) | instskip(NEXT) | instid1(VALU_DEP_1)
	v_add_co_u32 v3, s2, s14, v3
	v_add_co_ci_u32_e64 v4, null, s36, 0, s2
	flat_load_b64 v[3:4], v[3:4] offset:2048
.LBB515_7:
	s_or_b32 exec_lo, exec_lo, s1
	v_or_b32_e32 v5, 0x200, v0
	s_delay_alu instid0(VALU_DEP_1) | instskip(SKIP_1) | instid1(VALU_DEP_2)
	v_cmp_gt_u32_e64 s1, s27, v5
	v_lshlrev_b32_e32 v35, 3, v5
                                        ; implicit-def: $vgpr5_vgpr6
	s_and_saveexec_b32 s2, s1
	s_cbranch_execz .LBB515_9
; %bb.8:
	s_delay_alu instid0(VALU_DEP_1) | instskip(NEXT) | instid1(VALU_DEP_1)
	v_add_co_u32 v5, s3, s14, v35
	v_add_co_ci_u32_e64 v6, null, s36, 0, s3
	flat_load_b64 v[5:6], v[5:6]
.LBB515_9:
	s_or_b32 exec_lo, exec_lo, s2
	v_or_b32_e32 v7, 0x300, v0
	s_delay_alu instid0(VALU_DEP_1) | instskip(SKIP_1) | instid1(VALU_DEP_2)
	v_cmp_gt_u32_e64 s2, s27, v7
	v_lshlrev_b32_e32 v37, 3, v7
                                        ; implicit-def: $vgpr7_vgpr8
	s_and_saveexec_b32 s3, s2
	s_cbranch_execz .LBB515_11
; %bb.10:
	s_delay_alu instid0(VALU_DEP_1) | instskip(NEXT) | instid1(VALU_DEP_1)
	v_add_co_u32 v7, s4, s14, v37
	v_add_co_ci_u32_e64 v8, null, s36, 0, s4
	flat_load_b64 v[7:8], v[7:8]
.LBB515_11:
	s_or_b32 exec_lo, exec_lo, s3
	v_or_b32_e32 v9, 0x400, v0
	s_delay_alu instid0(VALU_DEP_1) | instskip(SKIP_1) | instid1(VALU_DEP_2)
	v_cmp_gt_u32_e64 s3, s27, v9
	v_lshlrev_b32_e32 v39, 3, v9
                                        ; implicit-def: $vgpr9_vgpr10
	s_and_saveexec_b32 s4, s3
	s_cbranch_execz .LBB515_13
; %bb.12:
	s_delay_alu instid0(VALU_DEP_1) | instskip(NEXT) | instid1(VALU_DEP_1)
	v_add_co_u32 v9, s5, s14, v39
	v_add_co_ci_u32_e64 v10, null, s36, 0, s5
	flat_load_b64 v[9:10], v[9:10]
.LBB515_13:
	s_or_b32 exec_lo, exec_lo, s4
	v_or_b32_e32 v11, 0x500, v0
	s_delay_alu instid0(VALU_DEP_1) | instskip(SKIP_1) | instid1(VALU_DEP_2)
	v_cmp_gt_u32_e64 s4, s27, v11
	v_lshlrev_b32_e32 v41, 3, v11
                                        ; implicit-def: $vgpr11_vgpr12
	s_and_saveexec_b32 s5, s4
	s_cbranch_execz .LBB515_15
; %bb.14:
	s_delay_alu instid0(VALU_DEP_1) | instskip(NEXT) | instid1(VALU_DEP_1)
	v_add_co_u32 v11, s6, s14, v41
	v_add_co_ci_u32_e64 v12, null, s36, 0, s6
	flat_load_b64 v[11:12], v[11:12]
.LBB515_15:
	s_or_b32 exec_lo, exec_lo, s5
	v_or_b32_e32 v13, 0x600, v0
	s_delay_alu instid0(VALU_DEP_1) | instskip(SKIP_1) | instid1(VALU_DEP_2)
	v_cmp_gt_u32_e64 s5, s27, v13
	v_lshlrev_b32_e32 v43, 3, v13
                                        ; implicit-def: $vgpr13_vgpr14
	s_and_saveexec_b32 s6, s5
	s_cbranch_execz .LBB515_17
; %bb.16:
	s_delay_alu instid0(VALU_DEP_1) | instskip(NEXT) | instid1(VALU_DEP_1)
	v_add_co_u32 v13, s7, s14, v43
	v_add_co_ci_u32_e64 v14, null, s36, 0, s7
	flat_load_b64 v[13:14], v[13:14]
.LBB515_17:
	s_or_b32 exec_lo, exec_lo, s6
	v_or_b32_e32 v15, 0x700, v0
	s_delay_alu instid0(VALU_DEP_1) | instskip(SKIP_1) | instid1(VALU_DEP_2)
	v_cmp_gt_u32_e64 s6, s27, v15
	v_lshlrev_b32_e32 v45, 3, v15
                                        ; implicit-def: $vgpr15_vgpr16
	s_and_saveexec_b32 s7, s6
	s_cbranch_execz .LBB515_19
; %bb.18:
	s_delay_alu instid0(VALU_DEP_1) | instskip(NEXT) | instid1(VALU_DEP_1)
	v_add_co_u32 v15, s8, s14, v45
	v_add_co_ci_u32_e64 v16, null, s36, 0, s8
	flat_load_b64 v[15:16], v[15:16]
.LBB515_19:
	s_or_b32 exec_lo, exec_lo, s7
	v_or_b32_e32 v17, 0x800, v0
	s_delay_alu instid0(VALU_DEP_1) | instskip(SKIP_1) | instid1(VALU_DEP_2)
	v_cmp_gt_u32_e64 s7, s27, v17
	v_lshlrev_b32_e32 v47, 3, v17
                                        ; implicit-def: $vgpr17_vgpr18
	s_and_saveexec_b32 s8, s7
	s_cbranch_execz .LBB515_21
; %bb.20:
	s_delay_alu instid0(VALU_DEP_1) | instskip(NEXT) | instid1(VALU_DEP_1)
	v_add_co_u32 v17, s9, s14, v47
	v_add_co_ci_u32_e64 v18, null, s36, 0, s9
	flat_load_b64 v[17:18], v[17:18]
.LBB515_21:
	s_or_b32 exec_lo, exec_lo, s8
	v_or_b32_e32 v19, 0x900, v0
	s_delay_alu instid0(VALU_DEP_1) | instskip(SKIP_1) | instid1(VALU_DEP_2)
	v_cmp_gt_u32_e64 s8, s27, v19
	v_lshlrev_b32_e32 v49, 3, v19
                                        ; implicit-def: $vgpr19_vgpr20
	s_and_saveexec_b32 s9, s8
	s_cbranch_execz .LBB515_23
; %bb.22:
	s_delay_alu instid0(VALU_DEP_1) | instskip(NEXT) | instid1(VALU_DEP_1)
	v_add_co_u32 v19, s10, s14, v49
	v_add_co_ci_u32_e64 v20, null, s36, 0, s10
	flat_load_b64 v[19:20], v[19:20]
.LBB515_23:
	s_or_b32 exec_lo, exec_lo, s9
	v_or_b32_e32 v21, 0xa00, v0
	s_delay_alu instid0(VALU_DEP_1) | instskip(SKIP_1) | instid1(VALU_DEP_2)
	v_cmp_gt_u32_e64 s9, s27, v21
	v_lshlrev_b32_e32 v51, 3, v21
                                        ; implicit-def: $vgpr21_vgpr22
	s_and_saveexec_b32 s10, s9
	s_cbranch_execz .LBB515_25
; %bb.24:
	s_delay_alu instid0(VALU_DEP_1) | instskip(NEXT) | instid1(VALU_DEP_1)
	v_add_co_u32 v21, s11, s14, v51
	v_add_co_ci_u32_e64 v22, null, s36, 0, s11
	flat_load_b64 v[21:22], v[21:22]
.LBB515_25:
	s_or_b32 exec_lo, exec_lo, s10
	v_or_b32_e32 v23, 0xb00, v0
	s_delay_alu instid0(VALU_DEP_1) | instskip(SKIP_1) | instid1(VALU_DEP_2)
	v_cmp_gt_u32_e64 s10, s27, v23
	v_lshlrev_b32_e32 v53, 3, v23
                                        ; implicit-def: $vgpr23_vgpr24
	s_and_saveexec_b32 s11, s10
	s_cbranch_execz .LBB515_27
; %bb.26:
	s_delay_alu instid0(VALU_DEP_1) | instskip(NEXT) | instid1(VALU_DEP_1)
	v_add_co_u32 v23, s12, s14, v53
	v_add_co_ci_u32_e64 v24, null, s36, 0, s12
	flat_load_b64 v[23:24], v[23:24]
.LBB515_27:
	s_or_b32 exec_lo, exec_lo, s11
	v_or_b32_e32 v25, 0xc00, v0
	s_delay_alu instid0(VALU_DEP_1) | instskip(SKIP_1) | instid1(VALU_DEP_2)
	v_cmp_gt_u32_e64 s11, s27, v25
	v_lshlrev_b32_e32 v55, 3, v25
                                        ; implicit-def: $vgpr25_vgpr26
	s_and_saveexec_b32 s12, s11
	s_cbranch_execz .LBB515_29
; %bb.28:
	s_delay_alu instid0(VALU_DEP_1) | instskip(NEXT) | instid1(VALU_DEP_1)
	v_add_co_u32 v25, s13, s14, v55
	v_add_co_ci_u32_e64 v26, null, s36, 0, s13
	flat_load_b64 v[25:26], v[25:26]
.LBB515_29:
	s_or_b32 exec_lo, exec_lo, s12
	v_or_b32_e32 v27, 0xd00, v0
	s_delay_alu instid0(VALU_DEP_1) | instskip(SKIP_1) | instid1(VALU_DEP_2)
	v_cmp_gt_u32_e64 s12, s27, v27
	v_lshlrev_b32_e32 v59, 3, v27
                                        ; implicit-def: $vgpr27_vgpr28
	s_and_saveexec_b32 s13, s12
	s_cbranch_execz .LBB515_31
; %bb.30:
	s_delay_alu instid0(VALU_DEP_1) | instskip(NEXT) | instid1(VALU_DEP_1)
	v_add_co_u32 v27, s39, s14, v59
	v_add_co_ci_u32_e64 v28, null, s36, 0, s39
	flat_load_b64 v[27:28], v[27:28]
.LBB515_31:
	s_or_b32 exec_lo, exec_lo, s13
	v_or_b32_e32 v29, 0xe00, v0
	s_delay_alu instid0(VALU_DEP_1) | instskip(SKIP_1) | instid1(VALU_DEP_2)
	v_cmp_gt_u32_e64 s13, s27, v29
	v_lshlrev_b32_e32 v63, 3, v29
                                        ; implicit-def: $vgpr29_vgpr30
	s_and_saveexec_b32 s39, s13
	s_cbranch_execz .LBB515_33
; %bb.32:
	s_delay_alu instid0(VALU_DEP_1) | instskip(NEXT) | instid1(VALU_DEP_1)
	v_add_co_u32 v29, s40, s14, v63
	v_add_co_ci_u32_e64 v30, null, s36, 0, s40
	flat_load_b64 v[29:30], v[29:30]
.LBB515_33:
	s_or_b32 exec_lo, exec_lo, s39
	v_lshlrev_b32_e32 v62, 3, v0
	s_waitcnt vmcnt(0) lgkmcnt(0)
	ds_store_2addr_stride64_b64 v62, v[1:2], v[3:4] offset1:4
	ds_store_2addr_stride64_b64 v62, v[5:6], v[7:8] offset0:8 offset1:12
	ds_store_2addr_stride64_b64 v62, v[9:10], v[11:12] offset0:16 offset1:20
	;; [unrolled: 1-line block ×6, first 2 shown]
	v_mad_u32_u24 v61, 0x70, v0, v62
	ds_store_b64 v62, v[29:30] offset:28672
	s_waitcnt lgkmcnt(0)
	s_barrier
	buffer_gl0_inv
	ds_load_2addr_b64 v[25:28], v61 offset1:1
	ds_load_2addr_b64 v[21:24], v61 offset0:2 offset1:3
	ds_load_2addr_b64 v[17:20], v61 offset0:4 offset1:5
	;; [unrolled: 1-line block ×6, first 2 shown]
	ds_load_b64 v[57:58], v61 offset:112
	s_waitcnt lgkmcnt(0)
	s_barrier
	buffer_gl0_inv
                                        ; implicit-def: $vgpr29_vgpr30
	s_and_saveexec_b32 s39, vcc_lo
	s_cbranch_execnz .LBB515_57
; %bb.34:
	s_or_b32 exec_lo, exec_lo, s39
                                        ; implicit-def: $vgpr31_vgpr32
	s_and_saveexec_b32 s39, s0
	s_cbranch_execnz .LBB515_58
.LBB515_35:
	s_or_b32 exec_lo, exec_lo, s39
                                        ; implicit-def: $vgpr33_vgpr34
	s_and_saveexec_b32 s0, s1
	s_cbranch_execnz .LBB515_59
.LBB515_36:
	s_or_b32 exec_lo, exec_lo, s0
                                        ; implicit-def: $vgpr35_vgpr36
	s_and_saveexec_b32 s0, s2
	s_cbranch_execnz .LBB515_60
.LBB515_37:
	s_or_b32 exec_lo, exec_lo, s0
                                        ; implicit-def: $vgpr37_vgpr38
	s_and_saveexec_b32 s0, s3
	s_cbranch_execnz .LBB515_61
.LBB515_38:
	s_or_b32 exec_lo, exec_lo, s0
                                        ; implicit-def: $vgpr39_vgpr40
	s_and_saveexec_b32 s0, s4
	s_cbranch_execnz .LBB515_62
.LBB515_39:
	s_or_b32 exec_lo, exec_lo, s0
                                        ; implicit-def: $vgpr41_vgpr42
	s_and_saveexec_b32 s0, s5
	s_cbranch_execnz .LBB515_63
.LBB515_40:
	s_or_b32 exec_lo, exec_lo, s0
                                        ; implicit-def: $vgpr43_vgpr44
	s_and_saveexec_b32 s0, s6
	s_cbranch_execnz .LBB515_64
.LBB515_41:
	s_or_b32 exec_lo, exec_lo, s0
                                        ; implicit-def: $vgpr45_vgpr46
	s_and_saveexec_b32 s0, s7
	s_cbranch_execnz .LBB515_65
.LBB515_42:
	s_or_b32 exec_lo, exec_lo, s0
                                        ; implicit-def: $vgpr47_vgpr48
	s_and_saveexec_b32 s0, s8
	s_cbranch_execnz .LBB515_66
.LBB515_43:
	s_or_b32 exec_lo, exec_lo, s0
                                        ; implicit-def: $vgpr49_vgpr50
	s_and_saveexec_b32 s0, s9
	s_cbranch_execnz .LBB515_67
.LBB515_44:
	s_or_b32 exec_lo, exec_lo, s0
                                        ; implicit-def: $vgpr51_vgpr52
	s_and_saveexec_b32 s0, s10
	s_cbranch_execnz .LBB515_68
.LBB515_45:
	s_or_b32 exec_lo, exec_lo, s0
                                        ; implicit-def: $vgpr53_vgpr54
	s_and_saveexec_b32 s0, s11
	s_cbranch_execnz .LBB515_69
.LBB515_46:
	s_or_b32 exec_lo, exec_lo, s0
                                        ; implicit-def: $vgpr55_vgpr56
	s_and_saveexec_b32 s0, s12
	s_cbranch_execnz .LBB515_70
.LBB515_47:
	s_or_b32 exec_lo, exec_lo, s0
                                        ; implicit-def: $vgpr59_vgpr60
	s_and_saveexec_b32 s0, s13
	s_cbranch_execz .LBB515_49
.LBB515_48:
	v_add_co_u32 v59, s1, s33, v63
	s_delay_alu instid0(VALU_DEP_1)
	v_add_co_ci_u32_e64 v60, null, s38, 0, s1
	flat_load_b64 v[59:60], v[59:60]
.LBB515_49:
	s_or_b32 exec_lo, exec_lo, s0
	s_waitcnt vmcnt(0) lgkmcnt(0)
	ds_store_2addr_stride64_b64 v62, v[29:30], v[31:32] offset1:4
	ds_store_2addr_stride64_b64 v62, v[33:34], v[35:36] offset0:8 offset1:12
	ds_store_2addr_stride64_b64 v62, v[37:38], v[39:40] offset0:16 offset1:20
	;; [unrolled: 1-line block ×6, first 2 shown]
	ds_store_b64 v62, v[59:60] offset:28672
	s_waitcnt lgkmcnt(0)
	s_barrier
.LBB515_50:
	s_waitcnt lgkmcnt(0)
	buffer_gl0_inv
	ds_load_2addr_b64 v[53:56], v61 offset1:1
	ds_load_2addr_b64 v[49:52], v61 offset0:2 offset1:3
	ds_load_2addr_b64 v[45:48], v61 offset0:4 offset1:5
	;; [unrolled: 1-line block ×6, first 2 shown]
	ds_load_b64 v[73:74], v61 offset:112
	s_cmp_eq_u64 s[34:35], 0
	s_waitcnt lgkmcnt(0)
	s_cselect_b32 s33, -1, 0
	s_cmp_lg_u64 s[34:35], 0
	s_barrier
	s_cselect_b32 s38, -1, 0
	s_and_b32 vcc_lo, exec_lo, s37
	buffer_gl0_inv
	s_cbranch_vccz .LBB515_56
; %bb.51:
	s_and_b32 vcc_lo, exec_lo, s38
	s_cbranch_vccz .LBB515_71
; %bb.52:
	v_add_co_u32 v59, s0, -8, s14
	s_delay_alu instid0(VALU_DEP_1)
	v_add_co_ci_u32_e64 v60, null, -1, s36, s0
	v_mul_hi_i32 v61, 0x66666667, v3
	v_mul_hi_i32 v62, 0x66666667, v57
	;; [unrolled: 1-line block ×3, first 2 shown]
	flat_load_b64 v[59:60], v[59:60]
	v_mul_hi_i32 v67, 0x66666667, v7
	v_mul_hi_i32 v68, 0x66666667, v5
	;; [unrolled: 1-line block ×3, first 2 shown]
	s_waitcnt vmcnt(0) lgkmcnt(0)
	v_lshlrev_b32_e32 v60, 3, v0
	v_lshrrev_b32_e32 v64, 31, v61
	v_ashrrev_i32_e32 v61, 2, v61
	v_lshrrev_b32_e32 v65, 31, v62
	v_ashrrev_i32_e32 v62, 2, v62
	;; [unrolled: 2-line block ×3, first 2 shown]
	v_add_nc_u32_e32 v61, v61, v64
	v_mul_hi_i32 v64, 0x66666667, v11
	v_add_nc_u32_e32 v62, v62, v65
	v_lshrrev_b32_e32 v65, 31, v67
	v_add_nc_u32_e32 v63, v63, v66
	v_ashrrev_i32_e32 v66, 2, v67
	v_lshrrev_b32_e32 v67, 31, v68
	v_ashrrev_i32_e32 v68, 2, v68
	v_cmp_ne_u32_e32 vcc_lo, v61, v62
	v_lshrrev_b32_e32 v70, 31, v64
	v_ashrrev_i32_e32 v64, 2, v64
	v_cmp_ne_u32_e64 s0, v63, v61
	v_add_nc_u32_e32 v61, v66, v65
	v_add_nc_u32_e32 v62, v68, v67
	v_mul_hi_i32 v66, 0x66666667, v15
	v_mul_hi_i32 v68, 0x66666667, v13
	v_add_nc_u32_e32 v64, v64, v70
	v_lshrrev_b32_e32 v65, 31, v69
	v_ashrrev_i32_e32 v67, 2, v69
	v_cmp_ne_u32_e64 s1, v61, v63
	v_mul_hi_i32 v63, 0x66666667, v19
	v_cmp_ne_u32_e64 s2, v62, v61
	v_cmp_ne_u32_e64 s3, v64, v62
	v_add_nc_u32_e32 v61, v67, v65
	v_lshrrev_b32_e32 v62, 31, v66
	v_ashrrev_i32_e32 v65, 2, v66
	v_lshrrev_b32_e32 v66, 31, v68
	v_ashrrev_i32_e32 v67, 2, v68
	;; [unrolled: 2-line block ×3, first 2 shown]
	v_add_nc_u32_e32 v62, v65, v62
	v_cmp_ne_u32_e64 s4, v61, v64
	v_add_nc_u32_e32 v64, v67, v66
	v_mul_hi_i32 v65, 0x66666667, v17
	v_add_nc_u32_e32 v66, v63, v68
	v_cmp_ne_u32_e64 s5, v62, v61
	v_mul_hi_i32 v61, 0x66666667, v23
	v_cmp_ne_u32_e64 s6, v64, v62
	v_mul_hi_i32 v62, 0x66666667, v21
	v_mul_hi_i32 v63, 0x66666667, v27
	;; [unrolled: 1-line block ×3, first 2 shown]
	v_cmp_ne_u32_e64 s7, v66, v64
	v_lshrrev_b32_e32 v64, 31, v65
	v_ashrrev_i32_e32 v65, 2, v65
	v_lshrrev_b32_e32 v68, 31, v61
	v_ashrrev_i32_e32 v61, 2, v61
	;; [unrolled: 2-line block ×5, first 2 shown]
	v_add_nc_u32_e32 v64, v65, v64
	v_add_nc_u32_e32 v61, v61, v68
	;; [unrolled: 1-line block ×5, first 2 shown]
	v_cmp_ne_u32_e64 s12, v64, v66
	v_cmp_ne_u32_e64 s8, v61, v64
	;; [unrolled: 1-line block ×5, first 2 shown]
	s_mov_b32 s37, -1
	s_mov_b32 s39, 0
	s_mov_b32 s40, exec_lo
	ds_store_b64 v60, v[57:58]
	s_waitcnt lgkmcnt(0)
	s_barrier
	buffer_gl0_inv
	v_cmpx_ne_u32_e32 0, v0
	s_cbranch_execz .LBB515_54
; %bb.53:
	v_add_nc_u32_e32 v59, -8, v60
	ds_load_b64 v[59:60], v59
.LBB515_54:
	s_or_b32 exec_lo, exec_lo, s40
	s_waitcnt lgkmcnt(0)
	v_mul_hi_i32 v59, 0x66666667, v59
	v_cndmask_b32_e64 v111, 0, 1, vcc_lo
	v_cndmask_b32_e64 v76, 0, 1, s0
	v_cndmask_b32_e64 v112, 0, 1, s1
	;; [unrolled: 1-line block ×6, first 2 shown]
	v_lshrrev_b32_e32 v64, 31, v59
	v_ashrrev_i32_e32 v59, 2, v59
	v_cndmask_b32_e64 v66, 0, 1, s6
	v_cndmask_b32_e64 v65, 0, 1, s7
	;; [unrolled: 1-line block ×4, first 2 shown]
	v_add_nc_u32_e32 v59, v59, v64
	v_cndmask_b32_e64 v70, 0, 1, s9
	v_cndmask_b32_e64 v69, 0, 1, s10
	;; [unrolled: 1-line block ×3, first 2 shown]
	s_delay_alu instid0(VALU_DEP_4)
	v_cmp_ne_u32_e64 s2, v59, v63
	s_and_b32 vcc_lo, exec_lo, s39
	s_cbranch_vccnz .LBB515_72
.LBB515_55:
                                        ; implicit-def: $sgpr0
	s_branch .LBB515_75
.LBB515_56:
	s_mov_b32 s37, 0
                                        ; implicit-def: $sgpr2
                                        ; implicit-def: $vgpr111
                                        ; implicit-def: $vgpr76
                                        ; implicit-def: $vgpr112
                                        ; implicit-def: $vgpr60
                                        ; implicit-def: $vgpr113
                                        ; implicit-def: $vgpr62
                                        ; implicit-def: $vgpr61
                                        ; implicit-def: $vgpr66
                                        ; implicit-def: $vgpr65
                                        ; implicit-def: $vgpr68
                                        ; implicit-def: $vgpr67
                                        ; implicit-def: $vgpr70
                                        ; implicit-def: $vgpr69
                                        ; implicit-def: $vgpr72
                                        ; implicit-def: $vgpr64
                                        ; implicit-def: $sgpr0
	s_cbranch_execnz .LBB515_76
	s_branch .LBB515_111
.LBB515_57:
	v_add_co_u32 v29, s40, s33, v62
	s_delay_alu instid0(VALU_DEP_1)
	v_add_co_ci_u32_e64 v30, null, s38, 0, s40
	flat_load_b64 v[29:30], v[29:30]
	s_or_b32 exec_lo, exec_lo, s39
                                        ; implicit-def: $vgpr31_vgpr32
	s_and_saveexec_b32 s39, s0
	s_cbranch_execz .LBB515_35
.LBB515_58:
	v_add_co_u32 v31, s0, s33, v62
	s_delay_alu instid0(VALU_DEP_1)
	v_add_co_ci_u32_e64 v32, null, s38, 0, s0
	flat_load_b64 v[31:32], v[31:32] offset:2048
	s_or_b32 exec_lo, exec_lo, s39
                                        ; implicit-def: $vgpr33_vgpr34
	s_and_saveexec_b32 s0, s1
	s_cbranch_execz .LBB515_36
.LBB515_59:
	v_add_co_u32 v33, s1, s33, v35
	s_delay_alu instid0(VALU_DEP_1)
	v_add_co_ci_u32_e64 v34, null, s38, 0, s1
	flat_load_b64 v[33:34], v[33:34]
	s_or_b32 exec_lo, exec_lo, s0
                                        ; implicit-def: $vgpr35_vgpr36
	s_and_saveexec_b32 s0, s2
	s_cbranch_execz .LBB515_37
.LBB515_60:
	v_add_co_u32 v35, s1, s33, v37
	s_delay_alu instid0(VALU_DEP_1)
	v_add_co_ci_u32_e64 v36, null, s38, 0, s1
	flat_load_b64 v[35:36], v[35:36]
	s_or_b32 exec_lo, exec_lo, s0
                                        ; implicit-def: $vgpr37_vgpr38
	s_and_saveexec_b32 s0, s3
	s_cbranch_execz .LBB515_38
.LBB515_61:
	v_add_co_u32 v37, s1, s33, v39
	s_delay_alu instid0(VALU_DEP_1)
	v_add_co_ci_u32_e64 v38, null, s38, 0, s1
	flat_load_b64 v[37:38], v[37:38]
	s_or_b32 exec_lo, exec_lo, s0
                                        ; implicit-def: $vgpr39_vgpr40
	s_and_saveexec_b32 s0, s4
	s_cbranch_execz .LBB515_39
.LBB515_62:
	v_add_co_u32 v39, s1, s33, v41
	s_delay_alu instid0(VALU_DEP_1)
	v_add_co_ci_u32_e64 v40, null, s38, 0, s1
	flat_load_b64 v[39:40], v[39:40]
	s_or_b32 exec_lo, exec_lo, s0
                                        ; implicit-def: $vgpr41_vgpr42
	s_and_saveexec_b32 s0, s5
	s_cbranch_execz .LBB515_40
.LBB515_63:
	v_add_co_u32 v41, s1, s33, v43
	s_delay_alu instid0(VALU_DEP_1)
	v_add_co_ci_u32_e64 v42, null, s38, 0, s1
	flat_load_b64 v[41:42], v[41:42]
	s_or_b32 exec_lo, exec_lo, s0
                                        ; implicit-def: $vgpr43_vgpr44
	s_and_saveexec_b32 s0, s6
	s_cbranch_execz .LBB515_41
.LBB515_64:
	v_add_co_u32 v43, s1, s33, v45
	s_delay_alu instid0(VALU_DEP_1)
	v_add_co_ci_u32_e64 v44, null, s38, 0, s1
	flat_load_b64 v[43:44], v[43:44]
	s_or_b32 exec_lo, exec_lo, s0
                                        ; implicit-def: $vgpr45_vgpr46
	s_and_saveexec_b32 s0, s7
	s_cbranch_execz .LBB515_42
.LBB515_65:
	v_add_co_u32 v45, s1, s33, v47
	s_delay_alu instid0(VALU_DEP_1)
	v_add_co_ci_u32_e64 v46, null, s38, 0, s1
	flat_load_b64 v[45:46], v[45:46]
	s_or_b32 exec_lo, exec_lo, s0
                                        ; implicit-def: $vgpr47_vgpr48
	s_and_saveexec_b32 s0, s8
	s_cbranch_execz .LBB515_43
.LBB515_66:
	v_add_co_u32 v47, s1, s33, v49
	s_delay_alu instid0(VALU_DEP_1)
	v_add_co_ci_u32_e64 v48, null, s38, 0, s1
	flat_load_b64 v[47:48], v[47:48]
	s_or_b32 exec_lo, exec_lo, s0
                                        ; implicit-def: $vgpr49_vgpr50
	s_and_saveexec_b32 s0, s9
	s_cbranch_execz .LBB515_44
.LBB515_67:
	v_add_co_u32 v49, s1, s33, v51
	s_delay_alu instid0(VALU_DEP_1)
	v_add_co_ci_u32_e64 v50, null, s38, 0, s1
	flat_load_b64 v[49:50], v[49:50]
	s_or_b32 exec_lo, exec_lo, s0
                                        ; implicit-def: $vgpr51_vgpr52
	s_and_saveexec_b32 s0, s10
	s_cbranch_execz .LBB515_45
.LBB515_68:
	v_add_co_u32 v51, s1, s33, v53
	s_delay_alu instid0(VALU_DEP_1)
	v_add_co_ci_u32_e64 v52, null, s38, 0, s1
	flat_load_b64 v[51:52], v[51:52]
	s_or_b32 exec_lo, exec_lo, s0
                                        ; implicit-def: $vgpr53_vgpr54
	s_and_saveexec_b32 s0, s11
	s_cbranch_execz .LBB515_46
.LBB515_69:
	v_add_co_u32 v53, s1, s33, v55
	s_delay_alu instid0(VALU_DEP_1)
	v_add_co_ci_u32_e64 v54, null, s38, 0, s1
	flat_load_b64 v[53:54], v[53:54]
	s_or_b32 exec_lo, exec_lo, s0
                                        ; implicit-def: $vgpr55_vgpr56
	s_and_saveexec_b32 s0, s12
	s_cbranch_execz .LBB515_47
.LBB515_70:
	v_add_co_u32 v55, s1, s33, v59
	s_delay_alu instid0(VALU_DEP_1)
	v_add_co_ci_u32_e64 v56, null, s38, 0, s1
	flat_load_b64 v[55:56], v[55:56]
	s_or_b32 exec_lo, exec_lo, s0
                                        ; implicit-def: $vgpr59_vgpr60
	s_and_saveexec_b32 s0, s13
	s_cbranch_execnz .LBB515_48
	s_branch .LBB515_49
.LBB515_71:
	s_mov_b32 s37, 0
                                        ; implicit-def: $sgpr2
                                        ; implicit-def: $vgpr111
                                        ; implicit-def: $vgpr76
                                        ; implicit-def: $vgpr112
                                        ; implicit-def: $vgpr60
                                        ; implicit-def: $vgpr113
                                        ; implicit-def: $vgpr62
                                        ; implicit-def: $vgpr61
                                        ; implicit-def: $vgpr66
                                        ; implicit-def: $vgpr65
                                        ; implicit-def: $vgpr68
                                        ; implicit-def: $vgpr67
                                        ; implicit-def: $vgpr70
                                        ; implicit-def: $vgpr69
                                        ; implicit-def: $vgpr72
	s_cbranch_execz .LBB515_55
.LBB515_72:
	v_mul_hi_i32 v59, 0x66666667, v3
	v_mul_hi_i32 v60, 0x66666667, v57
	;; [unrolled: 1-line block ×8, first 2 shown]
	v_lshrrev_b32_e32 v64, 31, v59
	v_ashrrev_i32_e32 v65, 2, v59
	v_lshrrev_b32_e32 v66, 31, v60
	v_ashrrev_i32_e32 v60, 2, v60
	;; [unrolled: 2-line block ×3, first 2 shown]
	v_add_nc_u32_e32 v64, v65, v64
	v_lshrrev_b32_e32 v65, 31, v62
	v_add_nc_u32_e32 v60, v60, v66
	v_ashrrev_i32_e32 v62, 2, v62
	v_add_nc_u32_e32 v61, v61, v67
	v_mul_hi_i32 v67, 0x66666667, v11
	v_lshrrev_b32_e32 v66, 31, v63
	v_cmp_ne_u32_e32 vcc_lo, v64, v60
	v_ashrrev_i32_e32 v63, 2, v63
	v_add_nc_u32_e32 v60, v62, v65
	v_lshrrev_b32_e32 v65, 31, v68
	v_lshrrev_b32_e32 v75, 31, v70
	v_cndmask_b32_e64 v111, 0, 1, vcc_lo
	v_cmp_ne_u32_e32 vcc_lo, v61, v64
	v_add_nc_u32_e32 v62, v63, v66
	v_lshrrev_b32_e32 v63, 31, v67
	v_ashrrev_i32_e32 v64, 2, v67
	v_ashrrev_i32_e32 v66, 2, v68
	v_cndmask_b32_e64 v76, 0, 1, vcc_lo
	v_cmp_ne_u32_e32 vcc_lo, v60, v61
	v_mul_hi_i32 v67, 0x66666667, v15
	v_mul_hi_i32 v68, 0x66666667, v13
	v_add_nc_u32_e32 v61, v64, v63
	v_add_nc_u32_e32 v63, v66, v65
	v_cndmask_b32_e64 v112, 0, 1, vcc_lo
	v_cmp_ne_u32_e32 vcc_lo, v62, v60
	v_ashrrev_i32_e32 v70, 2, v70
	v_lshlrev_b32_e32 v59, 3, v0
	v_lshrrev_b32_e32 v64, 31, v67
	v_ashrrev_i32_e32 v65, 2, v67
	v_lshrrev_b32_e32 v66, 31, v68
	v_ashrrev_i32_e32 v67, 2, v68
	v_mul_hi_i32 v68, 0x66666667, v19
	v_cndmask_b32_e64 v60, 0, 1, vcc_lo
	v_cmp_ne_u32_e32 vcc_lo, v61, v62
	v_add_nc_u32_e32 v64, v65, v64
	v_add_nc_u32_e32 v65, v67, v66
	s_mov_b32 s0, exec_lo
	ds_store_b64 v59, v[57:58]
	v_cndmask_b32_e64 v113, 0, 1, vcc_lo
	v_cmp_ne_u32_e32 vcc_lo, v63, v61
	v_lshrrev_b32_e32 v66, 31, v68
	v_ashrrev_i32_e32 v67, 2, v68
	v_lshrrev_b32_e32 v68, 31, v69
	v_ashrrev_i32_e32 v69, 2, v69
	v_cndmask_b32_e64 v62, 0, 1, vcc_lo
	v_cmp_ne_u32_e32 vcc_lo, v64, v63
	v_add_nc_u32_e32 v63, v67, v66
	v_mul_hi_i32 v67, 0x66666667, v23
	s_waitcnt lgkmcnt(0)
	s_barrier
	v_cndmask_b32_e64 v61, 0, 1, vcc_lo
	v_cmp_ne_u32_e32 vcc_lo, v65, v64
	v_add_nc_u32_e32 v64, v69, v68
	v_mul_hi_i32 v69, 0x66666667, v21
	buffer_gl0_inv
	v_lshrrev_b32_e32 v71, 31, v67
	v_cndmask_b32_e64 v66, 0, 1, vcc_lo
	v_cmp_ne_u32_e32 vcc_lo, v63, v65
	v_ashrrev_i32_e32 v67, 2, v67
                                        ; implicit-def: $sgpr2
	v_lshrrev_b32_e32 v72, 31, v69
	v_cndmask_b32_e64 v65, 0, 1, vcc_lo
	v_cmp_ne_u32_e32 vcc_lo, v64, v63
	v_ashrrev_i32_e32 v69, 2, v69
	v_add_nc_u32_e32 v71, v67, v71
	v_mul_hi_i32 v63, 0x66666667, v25
	v_cndmask_b32_e64 v68, 0, 1, vcc_lo
	s_delay_alu instid0(VALU_DEP_4) | instskip(NEXT) | instid1(VALU_DEP_4)
	v_add_nc_u32_e32 v69, v69, v72
	v_cmp_ne_u32_e32 vcc_lo, v71, v64
	v_add_nc_u32_e32 v72, v70, v75
	v_lshrrev_b32_e32 v77, 31, v63
	v_ashrrev_i32_e32 v63, 2, v63
	v_cndmask_b32_e64 v67, 0, 1, vcc_lo
	v_cmp_ne_u32_e32 vcc_lo, v69, v71
	s_delay_alu instid0(VALU_DEP_3) | instskip(SKIP_3) | instid1(VALU_DEP_4)
	v_add_nc_u32_e32 v63, v63, v77
	v_cndmask_b32_e64 v70, 0, 1, vcc_lo
	v_cmp_ne_u32_e32 vcc_lo, v72, v69
	v_cndmask_b32_e64 v69, 0, 1, vcc_lo
	v_cmp_ne_u32_e32 vcc_lo, v63, v72
	v_cndmask_b32_e64 v72, 0, 1, vcc_lo
	v_cmpx_ne_u32_e32 0, v0
	s_xor_b32 s0, exec_lo, s0
	s_cbranch_execz .LBB515_74
; %bb.73:
	v_add_nc_u32_e32 v59, -8, v59
	s_or_b32 s37, s37, exec_lo
	ds_load_b32 v59, v59
	s_waitcnt lgkmcnt(0)
	v_mul_hi_i32 v59, 0x66666667, v59
	s_delay_alu instid0(VALU_DEP_1) | instskip(SKIP_1) | instid1(VALU_DEP_1)
	v_lshrrev_b32_e32 v64, 31, v59
	v_ashrrev_i32_e32 v59, 2, v59
	v_add_nc_u32_e32 v59, v59, v64
	s_delay_alu instid0(VALU_DEP_1)
	v_cmp_ne_u32_e32 vcc_lo, v59, v63
	s_and_b32 s2, vcc_lo, exec_lo
.LBB515_74:
	s_or_b32 exec_lo, exec_lo, s0
	s_mov_b32 s0, 1
.LBB515_75:
	v_mov_b32_e32 v64, v76
	s_branch .LBB515_111
.LBB515_76:
	s_mul_hi_u32 s0, s34, 0xfffff100
	s_mul_i32 s1, s35, 0xfffff100
	s_sub_i32 s0, s0, s34
	s_mul_i32 s2, s34, 0xfffff100
	v_mul_u32_u24_e32 v77, 15, v0
	v_mad_u32_u24 v63, v0, 15, 14
	s_add_i32 s1, s0, s1
	s_add_u32 s0, s2, s28
	s_addc_u32 s1, s1, s29
	s_and_b32 vcc_lo, exec_lo, s38
	s_cbranch_vccz .LBB515_244
; %bb.77:
	v_add_co_u32 v59, s2, -8, s14
	s_delay_alu instid0(VALU_DEP_1)
	v_add_co_ci_u32_e64 v60, null, -1, s36, s2
	v_dual_mov_b32 v76, 0 :: v_dual_mov_b32 v111, 0
	v_lshlrev_b32_e32 v78, 3, v0
	flat_load_b64 v[79:80], v[59:60]
	s_mov_b32 s2, exec_lo
	v_mov_b32_e32 v64, v76
	ds_store_b64 v78, v[57:58]
	v_cmpx_gt_u64_e64 s[0:1], v[63:64]
; %bb.78:
	v_mul_hi_i32 v59, 0x66666667, v3
	v_mul_hi_i32 v60, 0x66666667, v57
	s_delay_alu instid0(VALU_DEP_2) | instskip(SKIP_1) | instid1(VALU_DEP_3)
	v_lshrrev_b32_e32 v61, 31, v59
	v_ashrrev_i32_e32 v59, 2, v59
	v_lshrrev_b32_e32 v62, 31, v60
	v_ashrrev_i32_e32 v60, 2, v60
	s_delay_alu instid0(VALU_DEP_3) | instskip(NEXT) | instid1(VALU_DEP_2)
	v_add_nc_u32_e32 v59, v59, v61
	v_add_nc_u32_e32 v60, v60, v62
	s_delay_alu instid0(VALU_DEP_1)
	v_cmp_ne_u32_e32 vcc_lo, v59, v60
	v_cndmask_b32_e64 v111, 0, 1, vcc_lo
; %bb.79:
	s_or_b32 exec_lo, exec_lo, s2
	v_add_nc_u32_e32 v75, 13, v77
	s_mov_b32 s2, exec_lo
	s_delay_alu instid0(VALU_DEP_1)
	v_cmpx_gt_u64_e64 s[0:1], v[75:76]
; %bb.80:
	v_mul_hi_i32 v59, 0x66666667, v1
	v_mul_hi_i32 v60, 0x66666667, v3
	s_delay_alu instid0(VALU_DEP_2) | instskip(SKIP_1) | instid1(VALU_DEP_3)
	v_lshrrev_b32_e32 v61, 31, v59
	v_ashrrev_i32_e32 v59, 2, v59
	v_lshrrev_b32_e32 v62, 31, v60
	v_ashrrev_i32_e32 v60, 2, v60
	s_delay_alu instid0(VALU_DEP_3) | instskip(NEXT) | instid1(VALU_DEP_2)
	v_add_nc_u32_e32 v59, v59, v61
	v_add_nc_u32_e32 v60, v60, v62
	s_delay_alu instid0(VALU_DEP_1)
	v_cmp_ne_u32_e32 vcc_lo, v59, v60
	v_cndmask_b32_e64 v76, 0, 1, vcc_lo
; %bb.81:
	s_or_b32 exec_lo, exec_lo, s2
	v_dual_mov_b32 v60, 0 :: v_dual_add_nc_u32 v59, 12, v77
	v_mov_b32_e32 v112, 0
	s_mov_b32 s2, exec_lo
	s_delay_alu instid0(VALU_DEP_2)
	v_cmpx_gt_u64_e64 s[0:1], v[59:60]
; %bb.82:
	v_mul_hi_i32 v59, 0x66666667, v7
	v_mul_hi_i32 v61, 0x66666667, v1
	s_delay_alu instid0(VALU_DEP_2) | instskip(SKIP_1) | instid1(VALU_DEP_3)
	v_lshrrev_b32_e32 v62, 31, v59
	v_ashrrev_i32_e32 v59, 2, v59
	v_lshrrev_b32_e32 v64, 31, v61
	v_ashrrev_i32_e32 v61, 2, v61
	s_delay_alu instid0(VALU_DEP_3) | instskip(NEXT) | instid1(VALU_DEP_2)
	v_add_nc_u32_e32 v59, v59, v62
	v_add_nc_u32_e32 v61, v61, v64
	s_delay_alu instid0(VALU_DEP_1)
	v_cmp_ne_u32_e32 vcc_lo, v59, v61
	v_cndmask_b32_e64 v112, 0, 1, vcc_lo
; %bb.83:
	s_or_b32 exec_lo, exec_lo, s2
	v_add_nc_u32_e32 v59, 11, v77
	s_mov_b32 s2, exec_lo
	s_delay_alu instid0(VALU_DEP_1)
	v_cmpx_gt_u64_e64 s[0:1], v[59:60]
; %bb.84:
	v_mul_hi_i32 v59, 0x66666667, v5
	v_mul_hi_i32 v60, 0x66666667, v7
	s_delay_alu instid0(VALU_DEP_2) | instskip(SKIP_1) | instid1(VALU_DEP_3)
	v_lshrrev_b32_e32 v61, 31, v59
	v_ashrrev_i32_e32 v59, 2, v59
	v_lshrrev_b32_e32 v62, 31, v60
	v_ashrrev_i32_e32 v60, 2, v60
	s_delay_alu instid0(VALU_DEP_3) | instskip(NEXT) | instid1(VALU_DEP_2)
	v_add_nc_u32_e32 v59, v59, v61
	v_add_nc_u32_e32 v60, v60, v62
	s_delay_alu instid0(VALU_DEP_1)
	v_cmp_ne_u32_e32 vcc_lo, v59, v60
	v_cndmask_b32_e64 v60, 0, 1, vcc_lo
; %bb.85:
	s_or_b32 exec_lo, exec_lo, s2
	v_dual_mov_b32 v62, 0 :: v_dual_add_nc_u32 v61, 10, v77
	v_mov_b32_e32 v113, 0
	s_mov_b32 s2, exec_lo
	s_delay_alu instid0(VALU_DEP_2)
	v_cmpx_gt_u64_e64 s[0:1], v[61:62]
; %bb.86:
	v_mul_hi_i32 v59, 0x66666667, v11
	v_mul_hi_i32 v61, 0x66666667, v5
	s_delay_alu instid0(VALU_DEP_2) | instskip(SKIP_1) | instid1(VALU_DEP_3)
	v_lshrrev_b32_e32 v64, 31, v59
	v_ashrrev_i32_e32 v59, 2, v59
	v_lshrrev_b32_e32 v65, 31, v61
	v_ashrrev_i32_e32 v61, 2, v61
	s_delay_alu instid0(VALU_DEP_3) | instskip(NEXT) | instid1(VALU_DEP_2)
	v_add_nc_u32_e32 v59, v59, v64
	v_add_nc_u32_e32 v61, v61, v65
	s_delay_alu instid0(VALU_DEP_1)
	v_cmp_ne_u32_e32 vcc_lo, v59, v61
	v_cndmask_b32_e64 v113, 0, 1, vcc_lo
; %bb.87:
	s_or_b32 exec_lo, exec_lo, s2
	v_add_nc_u32_e32 v61, 9, v77
	s_mov_b32 s2, exec_lo
	s_delay_alu instid0(VALU_DEP_1)
	v_cmpx_gt_u64_e64 s[0:1], v[61:62]
; %bb.88:
	v_mul_hi_i32 v59, 0x66666667, v9
	v_mul_hi_i32 v61, 0x66666667, v11
	s_delay_alu instid0(VALU_DEP_2) | instskip(SKIP_1) | instid1(VALU_DEP_3)
	v_lshrrev_b32_e32 v62, 31, v59
	v_ashrrev_i32_e32 v59, 2, v59
	v_lshrrev_b32_e32 v64, 31, v61
	v_ashrrev_i32_e32 v61, 2, v61
	s_delay_alu instid0(VALU_DEP_3) | instskip(NEXT) | instid1(VALU_DEP_2)
	v_add_nc_u32_e32 v59, v59, v62
	v_add_nc_u32_e32 v61, v61, v64
	s_delay_alu instid0(VALU_DEP_1)
	v_cmp_ne_u32_e32 vcc_lo, v59, v61
	v_cndmask_b32_e64 v62, 0, 1, vcc_lo
; %bb.89:
	s_or_b32 exec_lo, exec_lo, s2
	v_dual_mov_b32 v66, 0 :: v_dual_add_nc_u32 v65, 8, v77
	v_mov_b32_e32 v61, 0
	s_mov_b32 s2, exec_lo
	s_delay_alu instid0(VALU_DEP_2)
	v_cmpx_gt_u64_e64 s[0:1], v[65:66]
; %bb.90:
	v_mul_hi_i32 v59, 0x66666667, v15
	v_mul_hi_i32 v61, 0x66666667, v9
	s_delay_alu instid0(VALU_DEP_2) | instskip(SKIP_1) | instid1(VALU_DEP_3)
	v_lshrrev_b32_e32 v64, 31, v59
	v_ashrrev_i32_e32 v59, 2, v59
	v_lshrrev_b32_e32 v65, 31, v61
	v_ashrrev_i32_e32 v61, 2, v61
	s_delay_alu instid0(VALU_DEP_3) | instskip(NEXT) | instid1(VALU_DEP_2)
	v_add_nc_u32_e32 v59, v59, v64
	v_add_nc_u32_e32 v61, v61, v65
	s_delay_alu instid0(VALU_DEP_1)
	v_cmp_ne_u32_e32 vcc_lo, v59, v61
	v_cndmask_b32_e64 v61, 0, 1, vcc_lo
; %bb.91:
	s_or_b32 exec_lo, exec_lo, s2
	v_add_nc_u32_e32 v65, 7, v77
	s_mov_b32 s2, exec_lo
	s_delay_alu instid0(VALU_DEP_1)
	v_cmpx_gt_u64_e64 s[0:1], v[65:66]
; %bb.92:
	v_mul_hi_i32 v59, 0x66666667, v13
	v_mul_hi_i32 v64, 0x66666667, v15
	s_delay_alu instid0(VALU_DEP_2) | instskip(SKIP_1) | instid1(VALU_DEP_3)
	v_lshrrev_b32_e32 v65, 31, v59
	v_ashrrev_i32_e32 v59, 2, v59
	v_lshrrev_b32_e32 v66, 31, v64
	v_ashrrev_i32_e32 v64, 2, v64
	s_delay_alu instid0(VALU_DEP_3) | instskip(NEXT) | instid1(VALU_DEP_2)
	v_add_nc_u32_e32 v59, v59, v65
	v_add_nc_u32_e32 v64, v64, v66
	s_delay_alu instid0(VALU_DEP_1)
	v_cmp_ne_u32_e32 vcc_lo, v59, v64
	v_cndmask_b32_e64 v66, 0, 1, vcc_lo
; %bb.93:
	s_or_b32 exec_lo, exec_lo, s2
	v_dual_mov_b32 v68, 0 :: v_dual_add_nc_u32 v67, 6, v77
	v_mov_b32_e32 v65, 0
	s_mov_b32 s2, exec_lo
	s_delay_alu instid0(VALU_DEP_2)
	v_cmpx_gt_u64_e64 s[0:1], v[67:68]
; %bb.94:
	v_mul_hi_i32 v59, 0x66666667, v19
	v_mul_hi_i32 v64, 0x66666667, v13
	s_delay_alu instid0(VALU_DEP_2) | instskip(SKIP_1) | instid1(VALU_DEP_3)
	v_lshrrev_b32_e32 v65, 31, v59
	v_ashrrev_i32_e32 v59, 2, v59
	v_lshrrev_b32_e32 v67, 31, v64
	v_ashrrev_i32_e32 v64, 2, v64
	s_delay_alu instid0(VALU_DEP_3) | instskip(NEXT) | instid1(VALU_DEP_2)
	v_add_nc_u32_e32 v59, v59, v65
	v_add_nc_u32_e32 v64, v64, v67
	s_delay_alu instid0(VALU_DEP_1)
	v_cmp_ne_u32_e32 vcc_lo, v59, v64
	v_cndmask_b32_e64 v65, 0, 1, vcc_lo
; %bb.95:
	s_or_b32 exec_lo, exec_lo, s2
	v_add_nc_u32_e32 v67, 5, v77
	s_mov_b32 s2, exec_lo
	s_delay_alu instid0(VALU_DEP_1)
	v_cmpx_gt_u64_e64 s[0:1], v[67:68]
; %bb.96:
	v_mul_hi_i32 v59, 0x66666667, v17
	v_mul_hi_i32 v64, 0x66666667, v19
	s_delay_alu instid0(VALU_DEP_2) | instskip(SKIP_1) | instid1(VALU_DEP_3)
	v_lshrrev_b32_e32 v67, 31, v59
	v_ashrrev_i32_e32 v59, 2, v59
	v_lshrrev_b32_e32 v68, 31, v64
	v_ashrrev_i32_e32 v64, 2, v64
	s_delay_alu instid0(VALU_DEP_3) | instskip(NEXT) | instid1(VALU_DEP_2)
	v_add_nc_u32_e32 v59, v59, v67
	v_add_nc_u32_e32 v64, v64, v68
	s_delay_alu instid0(VALU_DEP_1)
	v_cmp_ne_u32_e32 vcc_lo, v59, v64
	v_cndmask_b32_e64 v68, 0, 1, vcc_lo
; %bb.97:
	s_or_b32 exec_lo, exec_lo, s2
	v_dual_mov_b32 v70, 0 :: v_dual_add_nc_u32 v69, 4, v77
	v_mov_b32_e32 v67, 0
	s_mov_b32 s2, exec_lo
	s_delay_alu instid0(VALU_DEP_2)
	v_cmpx_gt_u64_e64 s[0:1], v[69:70]
; %bb.98:
	v_mul_hi_i32 v59, 0x66666667, v23
	v_mul_hi_i32 v64, 0x66666667, v17
	s_delay_alu instid0(VALU_DEP_2) | instskip(SKIP_1) | instid1(VALU_DEP_3)
	v_lshrrev_b32_e32 v67, 31, v59
	v_ashrrev_i32_e32 v59, 2, v59
	v_lshrrev_b32_e32 v69, 31, v64
	v_ashrrev_i32_e32 v64, 2, v64
	s_delay_alu instid0(VALU_DEP_3) | instskip(NEXT) | instid1(VALU_DEP_2)
	v_add_nc_u32_e32 v59, v59, v67
	v_add_nc_u32_e32 v64, v64, v69
	s_delay_alu instid0(VALU_DEP_1)
	v_cmp_ne_u32_e32 vcc_lo, v59, v64
	v_cndmask_b32_e64 v67, 0, 1, vcc_lo
; %bb.99:
	s_or_b32 exec_lo, exec_lo, s2
	v_add_nc_u32_e32 v69, 3, v77
	s_mov_b32 s2, exec_lo
	s_delay_alu instid0(VALU_DEP_1)
	v_cmpx_gt_u64_e64 s[0:1], v[69:70]
; %bb.100:
	v_mul_hi_i32 v59, 0x66666667, v21
	v_mul_hi_i32 v64, 0x66666667, v23
	s_delay_alu instid0(VALU_DEP_2) | instskip(SKIP_1) | instid1(VALU_DEP_3)
	v_lshrrev_b32_e32 v69, 31, v59
	v_ashrrev_i32_e32 v59, 2, v59
	v_lshrrev_b32_e32 v70, 31, v64
	v_ashrrev_i32_e32 v64, 2, v64
	s_delay_alu instid0(VALU_DEP_3) | instskip(NEXT) | instid1(VALU_DEP_2)
	v_add_nc_u32_e32 v59, v59, v69
	v_add_nc_u32_e32 v64, v64, v70
	s_delay_alu instid0(VALU_DEP_1)
	v_cmp_ne_u32_e32 vcc_lo, v59, v64
	v_cndmask_b32_e64 v70, 0, 1, vcc_lo
; %bb.101:
	s_or_b32 exec_lo, exec_lo, s2
	v_dual_mov_b32 v72, 0 :: v_dual_add_nc_u32 v71, 2, v77
	v_mov_b32_e32 v69, 0
	s_mov_b32 s2, exec_lo
	s_delay_alu instid0(VALU_DEP_2)
	v_cmpx_gt_u64_e64 s[0:1], v[71:72]
; %bb.102:
	v_mul_hi_i32 v59, 0x66666667, v27
	v_mul_hi_i32 v64, 0x66666667, v21
	s_delay_alu instid0(VALU_DEP_2) | instskip(SKIP_1) | instid1(VALU_DEP_3)
	v_lshrrev_b32_e32 v69, 31, v59
	v_ashrrev_i32_e32 v59, 2, v59
	v_lshrrev_b32_e32 v71, 31, v64
	v_ashrrev_i32_e32 v64, 2, v64
	s_delay_alu instid0(VALU_DEP_3) | instskip(NEXT) | instid1(VALU_DEP_2)
	v_add_nc_u32_e32 v59, v59, v69
	v_add_nc_u32_e32 v64, v64, v71
	s_delay_alu instid0(VALU_DEP_1)
	v_cmp_ne_u32_e32 vcc_lo, v59, v64
	v_cndmask_b32_e64 v69, 0, 1, vcc_lo
; %bb.103:
	s_or_b32 exec_lo, exec_lo, s2
	v_add_nc_u32_e32 v71, 1, v77
	s_mov_b32 s2, exec_lo
	s_delay_alu instid0(VALU_DEP_1)
	v_cmpx_gt_u64_e64 s[0:1], v[71:72]
; %bb.104:
	v_mul_hi_i32 v59, 0x66666667, v25
	v_mul_hi_i32 v64, 0x66666667, v27
	s_delay_alu instid0(VALU_DEP_2) | instskip(SKIP_1) | instid1(VALU_DEP_3)
	v_lshrrev_b32_e32 v71, 31, v59
	v_ashrrev_i32_e32 v59, 2, v59
	v_lshrrev_b32_e32 v72, 31, v64
	v_ashrrev_i32_e32 v64, 2, v64
	s_delay_alu instid0(VALU_DEP_3) | instskip(NEXT) | instid1(VALU_DEP_2)
	v_add_nc_u32_e32 v59, v59, v71
	v_add_nc_u32_e32 v64, v64, v72
	s_delay_alu instid0(VALU_DEP_1)
	v_cmp_ne_u32_e32 vcc_lo, v59, v64
	v_cndmask_b32_e64 v72, 0, 1, vcc_lo
; %bb.105:
	s_or_b32 exec_lo, exec_lo, s2
	s_mov_b32 s2, 0
	s_mov_b32 s3, exec_lo
	s_waitcnt vmcnt(0) lgkmcnt(0)
	s_barrier
	buffer_gl0_inv
	v_cmpx_ne_u32_e32 0, v0
	s_cbranch_execz .LBB515_107
; %bb.106:
	v_add_nc_u32_e32 v59, -8, v78
	ds_load_b64 v[79:80], v59
.LBB515_107:
	s_or_b32 exec_lo, exec_lo, s3
	v_mov_b32_e32 v78, 0
	s_mov_b32 s3, exec_lo
	s_delay_alu instid0(VALU_DEP_1)
	v_cmpx_gt_u64_e64 s[0:1], v[77:78]
	s_cbranch_execz .LBB515_109
; %bb.108:
	s_waitcnt lgkmcnt(0)
	v_mul_hi_i32 v59, 0x66666667, v79
	v_mul_hi_i32 v64, 0x66666667, v25
	s_delay_alu instid0(VALU_DEP_2) | instskip(SKIP_1) | instid1(VALU_DEP_3)
	v_lshrrev_b32_e32 v71, 31, v59
	v_ashrrev_i32_e32 v59, 2, v59
	v_lshrrev_b32_e32 v75, 31, v64
	v_ashrrev_i32_e32 v64, 2, v64
	s_delay_alu instid0(VALU_DEP_3) | instskip(NEXT) | instid1(VALU_DEP_2)
	v_add_nc_u32_e32 v59, v59, v71
	v_add_nc_u32_e32 v64, v64, v75
	s_delay_alu instid0(VALU_DEP_1)
	v_cmp_ne_u32_e32 vcc_lo, v59, v64
	s_and_b32 s2, vcc_lo, exec_lo
.LBB515_109:
	s_or_b32 exec_lo, exec_lo, s3
	s_mov_b32 s37, -1
.LBB515_110:
                                        ; implicit-def: $vgpr64
                                        ; implicit-def: $sgpr0
.LBB515_111:
	v_mov_b32_e32 v63, s0
	s_and_saveexec_b32 s0, s37
.LBB515_112:
	v_cndmask_b32_e64 v63, 0, 1, s2
	v_mov_b32_e32 v64, v76
.LBB515_113:
	s_or_b32 exec_lo, exec_lo, s0
	s_delay_alu instid0(VALU_DEP_1)
	v_add3_u32 v59, v72, v63, v69
	v_dual_mov_b32 v107, v53 :: v_dual_mov_b32 v108, v54
	v_cmp_eq_u32_e64 s12, 0, v72
	v_cmp_eq_u32_e64 s11, 0, v69
	;; [unrolled: 1-line block ×3, first 2 shown]
	v_add3_u32 v115, v59, v70, v67
	v_cmp_eq_u32_e64 s9, 0, v67
	v_cmp_eq_u32_e64 s8, 0, v68
	;; [unrolled: 1-line block ×10, first 2 shown]
	v_cmp_eq_u32_e32 vcc_lo, 0, v111
	v_mbcnt_lo_u32_b32 v114, -1, 0
	s_cmp_eq_u64 s[22:23], 0
	s_cselect_b32 s14, -1, 0
	s_cmp_lg_u32 s15, 0
	s_cbranch_scc0 .LBB515_176
; %bb.114:
	v_cndmask_b32_e64 v59, 0, v53, s12
	v_cndmask_b32_e64 v71, 0, v54, s12
	v_add3_u32 v75, v115, v68, v65
	s_delay_alu instid0(VALU_DEP_3) | instskip(NEXT) | instid1(VALU_DEP_1)
	v_add_co_u32 v59, s13, v59, v55
	v_add_co_ci_u32_e64 v71, s13, v71, v56, s13
	s_delay_alu instid0(VALU_DEP_3) | instskip(NEXT) | instid1(VALU_DEP_3)
	v_add3_u32 v75, v75, v66, v61
	v_cndmask_b32_e64 v59, 0, v59, s11
	s_delay_alu instid0(VALU_DEP_3) | instskip(NEXT) | instid1(VALU_DEP_3)
	v_cndmask_b32_e64 v71, 0, v71, s11
	v_add3_u32 v75, v75, v62, v113
	s_delay_alu instid0(VALU_DEP_3) | instskip(NEXT) | instid1(VALU_DEP_1)
	v_add_co_u32 v59, s13, v59, v49
	v_add_co_ci_u32_e64 v71, s13, v71, v50, s13
	s_delay_alu instid0(VALU_DEP_3) | instskip(NEXT) | instid1(VALU_DEP_3)
	v_add3_u32 v75, v75, v60, v112
	v_cndmask_b32_e64 v59, 0, v59, s10
	s_delay_alu instid0(VALU_DEP_3) | instskip(NEXT) | instid1(VALU_DEP_2)
	v_cndmask_b32_e64 v71, 0, v71, s10
	v_add_co_u32 v59, s13, v59, v51
	s_delay_alu instid0(VALU_DEP_1) | instskip(NEXT) | instid1(VALU_DEP_2)
	v_add_co_ci_u32_e64 v71, s13, v71, v52, s13
	v_cndmask_b32_e64 v59, 0, v59, s9
	s_delay_alu instid0(VALU_DEP_2) | instskip(NEXT) | instid1(VALU_DEP_2)
	v_cndmask_b32_e64 v71, 0, v71, s9
	v_add_co_u32 v59, s13, v59, v45
	s_delay_alu instid0(VALU_DEP_1) | instskip(NEXT) | instid1(VALU_DEP_2)
	v_add_co_ci_u32_e64 v71, s13, v71, v46, s13
	v_cndmask_b32_e64 v59, 0, v59, s8
	s_delay_alu instid0(VALU_DEP_2) | instskip(NEXT) | instid1(VALU_DEP_2)
	;; [unrolled: 6-line block ×10, first 2 shown]
	v_cndmask_b32_e64 v71, 0, v71, s0
	v_add_co_u32 v59, s13, v59, v31
	s_delay_alu instid0(VALU_DEP_1) | instskip(SKIP_1) | instid1(VALU_DEP_2)
	v_add_co_ci_u32_e64 v71, s13, v71, v32, s13
	s_mov_b32 s13, exec_lo
	v_cndmask_b32_e32 v59, 0, v59, vcc_lo
	s_delay_alu instid0(VALU_DEP_2) | instskip(SKIP_1) | instid1(VALU_DEP_3)
	v_cndmask_b32_e32 v76, 0, v71, vcc_lo
	v_add3_u32 v71, v75, v64, v111
	v_add_co_u32 v77, vcc_lo, v59, v73
	v_and_b32_e32 v59, 15, v114
	s_delay_alu instid0(VALU_DEP_4) | instskip(NEXT) | instid1(VALU_DEP_4)
	v_add_co_ci_u32_e32 v78, vcc_lo, v76, v74, vcc_lo
	v_mov_b32_dpp v75, v71 row_shr:1 row_mask:0xf bank_mask:0xf
	s_delay_alu instid0(VALU_DEP_4) | instskip(SKIP_1) | instid1(VALU_DEP_3)
	v_mov_b32_dpp v76, v77 row_shr:1 row_mask:0xf bank_mask:0xf
	s_waitcnt lgkmcnt(0)
	v_mov_b32_dpp v79, v78 row_shr:1 row_mask:0xf bank_mask:0xf
	v_cmpx_ne_u32_e32 0, v59
; %bb.115:
	v_cmp_eq_u32_e32 vcc_lo, 0, v71
	v_add_nc_u32_e32 v71, v75, v71
	s_delay_alu instid0(VALU_DEP_4) | instskip(NEXT) | instid1(VALU_DEP_1)
	v_dual_cndmask_b32 v79, 0, v79 :: v_dual_cndmask_b32 v76, 0, v76
	v_add_co_u32 v77, vcc_lo, v76, v77
	s_delay_alu instid0(VALU_DEP_2)
	v_add_co_ci_u32_e32 v78, vcc_lo, v79, v78, vcc_lo
; %bb.116:
	s_or_b32 exec_lo, exec_lo, s13
	v_mov_b32_dpp v75, v71 row_shr:2 row_mask:0xf bank_mask:0xf
	s_delay_alu instid0(VALU_DEP_3) | instskip(NEXT) | instid1(VALU_DEP_3)
	v_mov_b32_dpp v76, v77 row_shr:2 row_mask:0xf bank_mask:0xf
	v_mov_b32_dpp v79, v78 row_shr:2 row_mask:0xf bank_mask:0xf
	s_mov_b32 s13, exec_lo
	v_cmpx_lt_u32_e32 1, v59
; %bb.117:
	v_cmp_eq_u32_e32 vcc_lo, 0, v71
	v_add_nc_u32_e32 v71, v75, v71
	v_dual_cndmask_b32 v79, 0, v79 :: v_dual_cndmask_b32 v76, 0, v76
	s_delay_alu instid0(VALU_DEP_1) | instskip(NEXT) | instid1(VALU_DEP_2)
	v_add_co_u32 v77, vcc_lo, v76, v77
	v_add_co_ci_u32_e32 v78, vcc_lo, v79, v78, vcc_lo
; %bb.118:
	s_or_b32 exec_lo, exec_lo, s13
	v_mov_b32_dpp v75, v71 row_shr:4 row_mask:0xf bank_mask:0xf
	s_delay_alu instid0(VALU_DEP_3) | instskip(NEXT) | instid1(VALU_DEP_3)
	v_mov_b32_dpp v76, v77 row_shr:4 row_mask:0xf bank_mask:0xf
	v_mov_b32_dpp v79, v78 row_shr:4 row_mask:0xf bank_mask:0xf
	s_mov_b32 s13, exec_lo
	v_cmpx_lt_u32_e32 3, v59
; %bb.119:
	v_cmp_eq_u32_e32 vcc_lo, 0, v71
	v_add_nc_u32_e32 v71, v75, v71
	v_dual_cndmask_b32 v79, 0, v79 :: v_dual_cndmask_b32 v76, 0, v76
	s_delay_alu instid0(VALU_DEP_1) | instskip(NEXT) | instid1(VALU_DEP_2)
	v_add_co_u32 v77, vcc_lo, v76, v77
	;; [unrolled: 15-line block ×3, first 2 shown]
	v_add_co_ci_u32_e32 v78, vcc_lo, v59, v78, vcc_lo
; %bb.122:
	s_or_b32 exec_lo, exec_lo, s13
	ds_swizzle_b32 v59, v71 offset:swizzle(BROADCAST,32,15)
	ds_swizzle_b32 v75, v77 offset:swizzle(BROADCAST,32,15)
	;; [unrolled: 1-line block ×3, first 2 shown]
	v_and_b32_e32 v79, 16, v114
	s_mov_b32 s13, exec_lo
	s_delay_alu instid0(VALU_DEP_1)
	v_cmpx_ne_u32_e32 0, v79
	s_cbranch_execz .LBB515_124
; %bb.123:
	v_cmp_eq_u32_e32 vcc_lo, 0, v71
	s_waitcnt lgkmcnt(0)
	v_dual_cndmask_b32 v76, 0, v76 :: v_dual_add_nc_u32 v71, v59, v71
	v_cndmask_b32_e32 v75, 0, v75, vcc_lo
	s_delay_alu instid0(VALU_DEP_1) | instskip(NEXT) | instid1(VALU_DEP_3)
	v_add_co_u32 v77, vcc_lo, v75, v77
	v_add_co_ci_u32_e32 v78, vcc_lo, v76, v78, vcc_lo
.LBB515_124:
	s_or_b32 exec_lo, exec_lo, s13
	s_waitcnt lgkmcnt(1)
	v_lshrrev_b32_e32 v75, 5, v0
	v_or_b32_e32 v59, 31, v0
	s_mov_b32 s13, exec_lo
	s_delay_alu instid0(VALU_DEP_2) | instskip(NEXT) | instid1(VALU_DEP_2)
	v_lshlrev_b32_e32 v79, 4, v75
	v_cmpx_eq_u32_e64 v59, v0
	s_cbranch_execz .LBB515_126
; %bb.125:
	ds_store_b32 v79, v71 offset:4128
	ds_store_b64 v79, v[77:78] offset:4136
.LBB515_126:
	s_or_b32 exec_lo, exec_lo, s13
	s_delay_alu instid0(SALU_CYCLE_1)
	s_mov_b32 s13, exec_lo
	s_waitcnt lgkmcnt(0)
	s_barrier
	buffer_gl0_inv
	v_cmpx_gt_u32_e32 8, v0
	s_cbranch_execz .LBB515_134
; %bb.127:
	v_lshlrev_b32_e32 v59, 4, v0
	v_and_b32_e32 v81, 7, v114
	s_mov_b32 s22, exec_lo
	ds_load_b32 v80, v59 offset:4128
	ds_load_b64 v[75:76], v59 offset:4136
	s_waitcnt lgkmcnt(1)
	v_mov_b32_dpp v82, v80 row_shr:1 row_mask:0xf bank_mask:0xf
	s_waitcnt lgkmcnt(0)
	v_mov_b32_dpp v83, v75 row_shr:1 row_mask:0xf bank_mask:0xf
	v_mov_b32_dpp v84, v76 row_shr:1 row_mask:0xf bank_mask:0xf
	v_cmpx_ne_u32_e32 0, v81
; %bb.128:
	v_cmp_eq_u32_e32 vcc_lo, 0, v80
	v_add_nc_u32_e32 v80, v82, v80
	s_delay_alu instid0(VALU_DEP_4) | instskip(NEXT) | instid1(VALU_DEP_1)
	v_dual_cndmask_b32 v84, 0, v84 :: v_dual_cndmask_b32 v83, 0, v83
	v_add_co_u32 v75, vcc_lo, v83, v75
	s_delay_alu instid0(VALU_DEP_2)
	v_add_co_ci_u32_e32 v76, vcc_lo, v84, v76, vcc_lo
; %bb.129:
	s_or_b32 exec_lo, exec_lo, s22
	v_mov_b32_dpp v82, v80 row_shr:2 row_mask:0xf bank_mask:0xf
	s_delay_alu instid0(VALU_DEP_3) | instskip(NEXT) | instid1(VALU_DEP_3)
	v_mov_b32_dpp v83, v75 row_shr:2 row_mask:0xf bank_mask:0xf
	v_mov_b32_dpp v84, v76 row_shr:2 row_mask:0xf bank_mask:0xf
	s_mov_b32 s22, exec_lo
	v_cmpx_lt_u32_e32 1, v81
; %bb.130:
	v_cmp_eq_u32_e32 vcc_lo, 0, v80
	v_add_nc_u32_e32 v80, v82, v80
	v_dual_cndmask_b32 v84, 0, v84 :: v_dual_cndmask_b32 v83, 0, v83
	s_delay_alu instid0(VALU_DEP_1) | instskip(NEXT) | instid1(VALU_DEP_2)
	v_add_co_u32 v75, vcc_lo, v83, v75
	v_add_co_ci_u32_e32 v76, vcc_lo, v84, v76, vcc_lo
; %bb.131:
	s_or_b32 exec_lo, exec_lo, s22
	v_mov_b32_dpp v82, v80 row_shr:4 row_mask:0xf bank_mask:0xf
	s_delay_alu instid0(VALU_DEP_3) | instskip(NEXT) | instid1(VALU_DEP_3)
	v_mov_b32_dpp v83, v75 row_shr:4 row_mask:0xf bank_mask:0xf
	v_mov_b32_dpp v84, v76 row_shr:4 row_mask:0xf bank_mask:0xf
	s_mov_b32 s22, exec_lo
	v_cmpx_lt_u32_e32 3, v81
; %bb.132:
	v_cmp_eq_u32_e32 vcc_lo, 0, v80
	v_dual_cndmask_b32 v83, 0, v83 :: v_dual_add_nc_u32 v80, v82, v80
	v_cndmask_b32_e32 v81, 0, v84, vcc_lo
	s_delay_alu instid0(VALU_DEP_2) | instskip(NEXT) | instid1(VALU_DEP_2)
	v_add_co_u32 v75, vcc_lo, v83, v75
	v_add_co_ci_u32_e32 v76, vcc_lo, v81, v76, vcc_lo
; %bb.133:
	s_or_b32 exec_lo, exec_lo, s22
	ds_store_b32 v59, v80 offset:4128
	ds_store_b64 v59, v[75:76] offset:4136
.LBB515_134:
	s_or_b32 exec_lo, exec_lo, s13
	v_mov_b32_e32 v75, 0
	v_cmp_gt_u32_e32 vcc_lo, 32, v0
	v_dual_mov_b32 v76, 0 :: v_dual_mov_b32 v59, 0
	s_mov_b32 s22, exec_lo
	s_waitcnt lgkmcnt(0)
	s_barrier
	buffer_gl0_inv
	v_cmpx_lt_u32_e32 31, v0
	s_cbranch_execz .LBB515_136
; %bb.135:
	ds_load_b64 v[75:76], v79 offset:4120
	ds_load_b32 v59, v79 offset:4112
	v_cmp_eq_u32_e64 s13, 0, v71
	s_waitcnt lgkmcnt(1)
	s_delay_alu instid0(VALU_DEP_1) | instskip(SKIP_3) | instid1(VALU_DEP_3)
	v_cndmask_b32_e64 v80, 0, v75, s13
	v_cndmask_b32_e64 v79, 0, v76, s13
	s_waitcnt lgkmcnt(0)
	v_add_nc_u32_e32 v71, v59, v71
	v_add_co_u32 v77, s13, v80, v77
	s_delay_alu instid0(VALU_DEP_1)
	v_add_co_ci_u32_e64 v78, s13, v79, v78, s13
.LBB515_136:
	s_or_b32 exec_lo, exec_lo, s22
	v_add_nc_u32_e32 v79, -1, v114
	s_delay_alu instid0(VALU_DEP_1) | instskip(NEXT) | instid1(VALU_DEP_1)
	v_cmp_gt_i32_e64 s13, 0, v79
	v_cndmask_b32_e64 v79, v79, v114, s13
	v_cmp_eq_u32_e64 s13, 0, v114
	s_delay_alu instid0(VALU_DEP_2)
	v_lshlrev_b32_e32 v79, 2, v79
	ds_bpermute_b32 v86, v79, v71
	ds_bpermute_b32 v85, v79, v77
	;; [unrolled: 1-line block ×3, first 2 shown]
	s_and_saveexec_b32 s22, vcc_lo
	s_cbranch_execz .LBB515_175
; %bb.137:
	v_mov_b32_e32 v81, 0
	ds_load_b32 v87, v81 offset:4240
	ds_load_b64 v[77:78], v81 offset:4248
	s_and_saveexec_b32 s23, s13
	s_cbranch_execz .LBB515_139
; %bb.138:
	s_add_i32 s28, s15, 32
	s_mov_b32 s29, 0
	v_dual_mov_b32 v79, s28 :: v_dual_mov_b32 v80, 1
	s_lshl_b64 s[34:35], s[28:29], 4
	s_delay_alu instid0(SALU_CYCLE_1)
	s_add_u32 s28, s16, s34
	s_addc_u32 s29, s17, s35
	s_waitcnt lgkmcnt(1)
	global_store_b32 v81, v87, s[28:29]
	s_waitcnt lgkmcnt(0)
	global_store_b64 v81, v[77:78], s[28:29] offset:8
	s_waitcnt_vscnt null, 0x0
	buffer_gl1_inv
	buffer_gl0_inv
	global_store_b8 v79, v80, s[20:21]
.LBB515_139:
	s_or_b32 exec_lo, exec_lo, s23
	v_xad_u32 v79, v114, -1, s15
	s_mov_b32 s28, 0
	s_mov_b32 s23, exec_lo
	s_delay_alu instid0(VALU_DEP_1)
	v_add_nc_u32_e32 v80, 32, v79
	global_load_u8 v88, v80, s[20:21] glc
	s_waitcnt vmcnt(0)
	v_cmpx_eq_u16_e32 0, v88
	s_cbranch_execz .LBB515_143
; %bb.140:
	v_add_co_u32 v82, s29, s20, v80
	s_delay_alu instid0(VALU_DEP_1)
	v_add_co_ci_u32_e64 v83, null, s21, 0, s29
.LBB515_141:                            ; =>This Inner Loop Header: Depth=1
	global_load_u8 v88, v[82:83], off glc
	s_waitcnt vmcnt(0)
	v_cmp_ne_u16_e32 vcc_lo, 0, v88
	s_or_b32 s28, vcc_lo, s28
	s_delay_alu instid0(SALU_CYCLE_1)
	s_and_not1_b32 exec_lo, exec_lo, s28
	s_cbranch_execnz .LBB515_141
; %bb.142:
	s_or_b32 exec_lo, exec_lo, s28
.LBB515_143:
	s_delay_alu instid0(SALU_CYCLE_1)
	s_or_b32 exec_lo, exec_lo, s23
	v_dual_mov_b32 v82, s17 :: v_dual_mov_b32 v83, s16
	v_cmp_eq_u16_e32 vcc_lo, 1, v88
	v_lshlrev_b64 v[80:81], 4, v[80:81]
	s_waitcnt lgkmcnt(0)
	s_waitcnt_vscnt null, 0x0
	buffer_gl1_inv
	buffer_gl0_inv
	v_lshlrev_b32_e64 v90, v114, -1
	s_mov_b32 s23, exec_lo
	v_cndmask_b32_e32 v83, s18, v83, vcc_lo
	v_cndmask_b32_e32 v82, s19, v82, vcc_lo
	s_delay_alu instid0(VALU_DEP_2) | instskip(NEXT) | instid1(VALU_DEP_2)
	v_add_co_u32 v80, vcc_lo, v83, v80
	v_add_co_ci_u32_e32 v81, vcc_lo, v82, v81, vcc_lo
	v_cmp_ne_u32_e32 vcc_lo, 31, v114
	s_clause 0x1
	global_load_b32 v100, v[80:81], off
	global_load_b64 v[83:84], v[80:81], off offset:8
	v_add_co_ci_u32_e32 v80, vcc_lo, 0, v114, vcc_lo
	v_cmp_eq_u16_e32 vcc_lo, 2, v88
	s_delay_alu instid0(VALU_DEP_2) | instskip(SKIP_1) | instid1(VALU_DEP_1)
	v_lshlrev_b32_e32 v89, 2, v80
	v_and_or_b32 v80, vcc_lo, v90, 0x80000000
	v_ctz_i32_b32_e32 v80, v80
	s_waitcnt vmcnt(1)
	ds_bpermute_b32 v81, v89, v100
	s_waitcnt vmcnt(0)
	ds_bpermute_b32 v82, v89, v83
	ds_bpermute_b32 v91, v89, v84
	v_cmpx_lt_u32_e64 v114, v80
	s_cbranch_execz .LBB515_145
; %bb.144:
	v_cmp_eq_u32_e32 vcc_lo, 0, v100
	s_waitcnt lgkmcnt(0)
	v_dual_cndmask_b32 v91, 0, v91 :: v_dual_add_nc_u32 v100, v81, v100
	v_cndmask_b32_e32 v82, 0, v82, vcc_lo
	s_delay_alu instid0(VALU_DEP_1) | instskip(NEXT) | instid1(VALU_DEP_3)
	v_add_co_u32 v83, vcc_lo, v82, v83
	v_add_co_ci_u32_e32 v84, vcc_lo, v91, v84, vcc_lo
.LBB515_145:
	s_or_b32 exec_lo, exec_lo, s23
	v_cmp_gt_u32_e32 vcc_lo, 30, v114
	v_add_nc_u32_e32 v92, 2, v114
	s_mov_b32 s23, exec_lo
	s_waitcnt lgkmcnt(2)
	v_cndmask_b32_e64 v81, 0, 1, vcc_lo
	s_delay_alu instid0(VALU_DEP_1) | instskip(SKIP_1) | instid1(VALU_DEP_1)
	v_lshlrev_b32_e32 v81, 1, v81
	s_waitcnt lgkmcnt(0)
	v_add_lshl_u32 v91, v81, v114, 2
	ds_bpermute_b32 v81, v91, v100
	ds_bpermute_b32 v82, v91, v83
	ds_bpermute_b32 v93, v91, v84
	v_cmpx_le_u32_e64 v92, v80
	s_cbranch_execz .LBB515_147
; %bb.146:
	v_cmp_eq_u32_e32 vcc_lo, 0, v100
	s_waitcnt lgkmcnt(0)
	v_dual_cndmask_b32 v93, 0, v93 :: v_dual_add_nc_u32 v100, v81, v100
	v_cndmask_b32_e32 v82, 0, v82, vcc_lo
	s_delay_alu instid0(VALU_DEP_1) | instskip(NEXT) | instid1(VALU_DEP_3)
	v_add_co_u32 v83, vcc_lo, v82, v83
	v_add_co_ci_u32_e32 v84, vcc_lo, v93, v84, vcc_lo
.LBB515_147:
	s_or_b32 exec_lo, exec_lo, s23
	v_cmp_gt_u32_e32 vcc_lo, 28, v114
	v_add_nc_u32_e32 v94, 4, v114
	s_mov_b32 s23, exec_lo
	s_waitcnt lgkmcnt(2)
	v_cndmask_b32_e64 v81, 0, 1, vcc_lo
	s_delay_alu instid0(VALU_DEP_1) | instskip(SKIP_1) | instid1(VALU_DEP_1)
	v_lshlrev_b32_e32 v81, 2, v81
	s_waitcnt lgkmcnt(0)
	v_add_lshl_u32 v93, v81, v114, 2
	ds_bpermute_b32 v81, v93, v100
	ds_bpermute_b32 v82, v93, v83
	ds_bpermute_b32 v95, v93, v84
	v_cmpx_le_u32_e64 v94, v80
	;; [unrolled: 24-line block ×3, first 2 shown]
	s_cbranch_execz .LBB515_151
; %bb.150:
	v_cmp_eq_u32_e32 vcc_lo, 0, v100
	s_waitcnt lgkmcnt(0)
	v_dual_cndmask_b32 v97, 0, v97 :: v_dual_add_nc_u32 v100, v81, v100
	v_cndmask_b32_e32 v82, 0, v82, vcc_lo
	s_delay_alu instid0(VALU_DEP_1) | instskip(NEXT) | instid1(VALU_DEP_3)
	v_add_co_u32 v83, vcc_lo, v82, v83
	v_add_co_ci_u32_e32 v84, vcc_lo, v97, v84, vcc_lo
.LBB515_151:
	s_or_b32 exec_lo, exec_lo, s23
	v_cmp_gt_u32_e32 vcc_lo, 16, v114
	v_add_nc_u32_e32 v99, 16, v114
	s_mov_b32 s23, exec_lo
	s_waitcnt lgkmcnt(2)
	v_cndmask_b32_e64 v81, 0, 1, vcc_lo
	s_delay_alu instid0(VALU_DEP_1) | instskip(NEXT) | instid1(VALU_DEP_1)
	v_lshlrev_b32_e32 v81, 4, v81
	v_add_lshl_u32 v98, v81, v114, 2
	ds_bpermute_b32 v81, v98, v100
	s_waitcnt lgkmcnt(2)
	ds_bpermute_b32 v82, v98, v83
	s_waitcnt lgkmcnt(2)
	ds_bpermute_b32 v97, v98, v84
	v_cmpx_le_u32_e64 v99, v80
	s_cbranch_execz .LBB515_153
; %bb.152:
	v_cmp_eq_u32_e32 vcc_lo, 0, v100
	s_waitcnt lgkmcnt(2)
	v_add_nc_u32_e32 v100, v81, v100
	s_waitcnt lgkmcnt(1)
	v_cndmask_b32_e32 v82, 0, v82, vcc_lo
	s_waitcnt lgkmcnt(0)
	v_cndmask_b32_e32 v80, 0, v97, vcc_lo
	s_delay_alu instid0(VALU_DEP_2) | instskip(NEXT) | instid1(VALU_DEP_2)
	v_add_co_u32 v83, vcc_lo, v82, v83
	v_add_co_ci_u32_e32 v84, vcc_lo, v80, v84, vcc_lo
.LBB515_153:
	s_or_b32 exec_lo, exec_lo, s23
	v_mov_b32_e32 v80, 0
	s_branch .LBB515_155
.LBB515_154:                            ;   in Loop: Header=BB515_155 Depth=1
	s_or_b32 exec_lo, exec_lo, s23
	v_cmp_eq_u32_e32 vcc_lo, 0, v97
	v_subrev_nc_u32_e32 v79, 32, v79
	v_add_nc_u32_e32 v100, v100, v97
	v_dual_cndmask_b32 v84, 0, v84 :: v_dual_cndmask_b32 v83, 0, v83
	s_delay_alu instid0(VALU_DEP_1) | instskip(NEXT) | instid1(VALU_DEP_2)
	v_add_co_u32 v83, vcc_lo, v83, v81
	v_add_co_ci_u32_e32 v84, vcc_lo, v84, v82, vcc_lo
.LBB515_155:                            ; =>This Loop Header: Depth=1
                                        ;     Child Loop BB515_158 Depth 2
	s_waitcnt lgkmcnt(2)
	v_and_b32_e32 v81, 0xff, v88
	s_waitcnt lgkmcnt(0)
	v_mov_b32_e32 v97, v100
	s_delay_alu instid0(VALU_DEP_2) | instskip(SKIP_2) | instid1(VALU_DEP_1)
	v_cmp_ne_u16_e32 vcc_lo, 2, v81
	v_cndmask_b32_e64 v81, 0, 1, vcc_lo
	;;#ASMSTART
	;;#ASMEND
	v_cmp_ne_u32_e32 vcc_lo, 0, v81
	v_dual_mov_b32 v81, v83 :: v_dual_mov_b32 v82, v84
	s_cmp_lg_u32 vcc_lo, exec_lo
	s_cbranch_scc1 .LBB515_170
; %bb.156:                              ;   in Loop: Header=BB515_155 Depth=1
	global_load_u8 v88, v79, s[20:21] glc
	s_mov_b32 s23, exec_lo
	s_waitcnt vmcnt(0)
	v_cmpx_eq_u16_e32 0, v88
	s_cbranch_execz .LBB515_160
; %bb.157:                              ;   in Loop: Header=BB515_155 Depth=1
	v_add_co_u32 v83, s28, s20, v79
	s_delay_alu instid0(VALU_DEP_1)
	v_add_co_ci_u32_e64 v84, null, s21, 0, s28
	s_mov_b32 s28, 0
.LBB515_158:                            ;   Parent Loop BB515_155 Depth=1
                                        ; =>  This Inner Loop Header: Depth=2
	global_load_u8 v88, v[83:84], off glc
	s_waitcnt vmcnt(0)
	v_cmp_ne_u16_e32 vcc_lo, 0, v88
	s_or_b32 s28, vcc_lo, s28
	s_delay_alu instid0(SALU_CYCLE_1)
	s_and_not1_b32 exec_lo, exec_lo, s28
	s_cbranch_execnz .LBB515_158
; %bb.159:                              ;   in Loop: Header=BB515_155 Depth=1
	s_or_b32 exec_lo, exec_lo, s28
.LBB515_160:                            ;   in Loop: Header=BB515_155 Depth=1
	s_delay_alu instid0(SALU_CYCLE_1)
	s_or_b32 exec_lo, exec_lo, s23
	v_dual_mov_b32 v100, s17 :: v_dual_mov_b32 v101, s16
	v_cmp_eq_u16_e32 vcc_lo, 1, v88
	v_lshlrev_b64 v[83:84], 4, v[79:80]
	buffer_gl1_inv
	buffer_gl0_inv
	s_mov_b32 s23, exec_lo
	v_cndmask_b32_e32 v101, s18, v101, vcc_lo
	v_cndmask_b32_e32 v100, s19, v100, vcc_lo
	s_delay_alu instid0(VALU_DEP_2) | instskip(NEXT) | instid1(VALU_DEP_2)
	v_add_co_u32 v83, vcc_lo, v101, v83
	v_add_co_ci_u32_e32 v84, vcc_lo, v100, v84, vcc_lo
	v_cmp_eq_u16_e32 vcc_lo, 2, v88
	s_clause 0x1
	global_load_b32 v100, v[83:84], off
	global_load_b64 v[83:84], v[83:84], off offset:8
	v_and_or_b32 v101, vcc_lo, v90, 0x80000000
	s_delay_alu instid0(VALU_DEP_1)
	v_ctz_i32_b32_e32 v101, v101
	s_waitcnt vmcnt(1)
	ds_bpermute_b32 v102, v89, v100
	s_waitcnt vmcnt(0)
	ds_bpermute_b32 v103, v89, v83
	ds_bpermute_b32 v104, v89, v84
	v_cmpx_lt_u32_e64 v114, v101
	s_cbranch_execz .LBB515_162
; %bb.161:                              ;   in Loop: Header=BB515_155 Depth=1
	v_cmp_eq_u32_e32 vcc_lo, 0, v100
	s_waitcnt lgkmcnt(2)
	v_add_nc_u32_e32 v100, v102, v100
	s_waitcnt lgkmcnt(0)
	v_dual_cndmask_b32 v104, 0, v104 :: v_dual_cndmask_b32 v103, 0, v103
	s_delay_alu instid0(VALU_DEP_1) | instskip(NEXT) | instid1(VALU_DEP_2)
	v_add_co_u32 v83, vcc_lo, v103, v83
	v_add_co_ci_u32_e32 v84, vcc_lo, v104, v84, vcc_lo
.LBB515_162:                            ;   in Loop: Header=BB515_155 Depth=1
	s_or_b32 exec_lo, exec_lo, s23
	s_waitcnt lgkmcnt(2)
	ds_bpermute_b32 v102, v91, v100
	s_waitcnt lgkmcnt(2)
	ds_bpermute_b32 v103, v91, v83
	s_waitcnt lgkmcnt(2)
	ds_bpermute_b32 v104, v91, v84
	s_mov_b32 s23, exec_lo
	v_cmpx_le_u32_e64 v92, v101
	s_cbranch_execz .LBB515_164
; %bb.163:                              ;   in Loop: Header=BB515_155 Depth=1
	v_cmp_eq_u32_e32 vcc_lo, 0, v100
	s_waitcnt lgkmcnt(2)
	v_add_nc_u32_e32 v100, v102, v100
	s_waitcnt lgkmcnt(0)
	v_dual_cndmask_b32 v104, 0, v104 :: v_dual_cndmask_b32 v103, 0, v103
	s_delay_alu instid0(VALU_DEP_1) | instskip(NEXT) | instid1(VALU_DEP_2)
	v_add_co_u32 v83, vcc_lo, v103, v83
	v_add_co_ci_u32_e32 v84, vcc_lo, v104, v84, vcc_lo
.LBB515_164:                            ;   in Loop: Header=BB515_155 Depth=1
	s_or_b32 exec_lo, exec_lo, s23
	s_waitcnt lgkmcnt(2)
	ds_bpermute_b32 v102, v93, v100
	s_waitcnt lgkmcnt(2)
	ds_bpermute_b32 v103, v93, v83
	s_waitcnt lgkmcnt(2)
	ds_bpermute_b32 v104, v93, v84
	s_mov_b32 s23, exec_lo
	v_cmpx_le_u32_e64 v94, v101
	s_cbranch_execz .LBB515_166
; %bb.165:                              ;   in Loop: Header=BB515_155 Depth=1
	v_cmp_eq_u32_e32 vcc_lo, 0, v100
	s_waitcnt lgkmcnt(2)
	v_add_nc_u32_e32 v100, v102, v100
	s_waitcnt lgkmcnt(0)
	v_dual_cndmask_b32 v104, 0, v104 :: v_dual_cndmask_b32 v103, 0, v103
	s_delay_alu instid0(VALU_DEP_1) | instskip(NEXT) | instid1(VALU_DEP_2)
	v_add_co_u32 v83, vcc_lo, v103, v83
	v_add_co_ci_u32_e32 v84, vcc_lo, v104, v84, vcc_lo
.LBB515_166:                            ;   in Loop: Header=BB515_155 Depth=1
	s_or_b32 exec_lo, exec_lo, s23
	s_waitcnt lgkmcnt(2)
	ds_bpermute_b32 v102, v95, v100
	s_waitcnt lgkmcnt(2)
	ds_bpermute_b32 v103, v95, v83
	s_waitcnt lgkmcnt(2)
	ds_bpermute_b32 v104, v95, v84
	s_mov_b32 s23, exec_lo
	v_cmpx_le_u32_e64 v96, v101
	s_cbranch_execz .LBB515_168
; %bb.167:                              ;   in Loop: Header=BB515_155 Depth=1
	v_cmp_eq_u32_e32 vcc_lo, 0, v100
	s_waitcnt lgkmcnt(2)
	v_add_nc_u32_e32 v100, v102, v100
	s_waitcnt lgkmcnt(0)
	v_dual_cndmask_b32 v104, 0, v104 :: v_dual_cndmask_b32 v103, 0, v103
	s_delay_alu instid0(VALU_DEP_1) | instskip(NEXT) | instid1(VALU_DEP_2)
	v_add_co_u32 v83, vcc_lo, v103, v83
	v_add_co_ci_u32_e32 v84, vcc_lo, v104, v84, vcc_lo
.LBB515_168:                            ;   in Loop: Header=BB515_155 Depth=1
	s_or_b32 exec_lo, exec_lo, s23
	s_waitcnt lgkmcnt(2)
	ds_bpermute_b32 v102, v98, v100
	s_waitcnt lgkmcnt(2)
	ds_bpermute_b32 v103, v98, v83
	s_waitcnt lgkmcnt(2)
	ds_bpermute_b32 v104, v98, v84
	s_mov_b32 s23, exec_lo
	v_cmpx_le_u32_e64 v99, v101
	s_cbranch_execz .LBB515_154
; %bb.169:                              ;   in Loop: Header=BB515_155 Depth=1
	v_cmp_eq_u32_e32 vcc_lo, 0, v100
	s_waitcnt lgkmcnt(1)
	v_dual_cndmask_b32 v103, 0, v103 :: v_dual_add_nc_u32 v100, v102, v100
	s_waitcnt lgkmcnt(0)
	v_cndmask_b32_e32 v101, 0, v104, vcc_lo
	s_delay_alu instid0(VALU_DEP_2) | instskip(NEXT) | instid1(VALU_DEP_2)
	v_add_co_u32 v83, vcc_lo, v103, v83
	v_add_co_ci_u32_e32 v84, vcc_lo, v101, v84, vcc_lo
	s_branch .LBB515_154
.LBB515_170:                            ;   in Loop: Header=BB515_155 Depth=1
                                        ; implicit-def: $vgpr83_vgpr84
                                        ; implicit-def: $vgpr100
                                        ; implicit-def: $vgpr88
	s_cbranch_execz .LBB515_155
; %bb.171:
	s_and_saveexec_b32 s16, s13
	s_cbranch_execz .LBB515_173
; %bb.172:
	v_cmp_eq_u32_e32 vcc_lo, 0, v87
	s_mov_b32 s29, 0
	s_add_i32 s28, s15, 32
	v_dual_mov_b32 v84, 0 :: v_dual_add_nc_u32 v83, v97, v87
	v_dual_cndmask_b32 v80, 0, v82 :: v_dual_cndmask_b32 v79, 0, v81
	s_lshl_b64 s[34:35], s[28:29], 4
	v_dual_mov_b32 v88, s28 :: v_dual_mov_b32 v89, 2
	s_add_u32 s34, s18, s34
	s_delay_alu instid0(VALU_DEP_2)
	v_add_co_u32 v79, vcc_lo, v79, v77
	v_add_co_ci_u32_e32 v80, vcc_lo, v80, v78, vcc_lo
	s_addc_u32 s35, s19, s35
	s_clause 0x1
	global_store_b32 v84, v83, s[34:35]
	global_store_b64 v84, v[79:80], s[34:35] offset:8
	s_waitcnt lgkmcnt(0)
	s_waitcnt_vscnt null, 0x0
	buffer_gl1_inv
	buffer_gl0_inv
	global_store_b8 v88, v89, s[20:21]
	ds_store_b32 v84, v87 offset:4096
	ds_store_b64 v84, v[77:78] offset:4104
	ds_store_b32 v84, v97 offset:4112
	ds_store_b64 v84, v[81:82] offset:4120
.LBB515_173:
	s_or_b32 exec_lo, exec_lo, s16
	v_cmp_eq_u32_e32 vcc_lo, 0, v0
	s_and_b32 exec_lo, exec_lo, vcc_lo
	s_cbranch_execz .LBB515_175
; %bb.174:
	v_mov_b32_e32 v77, 0
	ds_store_b32 v77, v97 offset:4240
	ds_store_b64 v77, v[81:82] offset:4248
.LBB515_175:
	s_or_b32 exec_lo, exec_lo, s22
	s_waitcnt lgkmcnt(2)
	v_cndmask_b32_e64 v59, v86, v59, s13
	s_waitcnt lgkmcnt(0)
	s_waitcnt_vscnt null, 0x0
	s_barrier
	buffer_gl0_inv
	v_cndmask_b32_e64 v75, v85, v75, s13
	v_cmp_eq_u32_e32 vcc_lo, 0, v59
	v_mov_b32_e32 v103, 0
	v_cndmask_b32_e64 v71, v71, v76, s13
	ds_load_b64 v[77:78], v103 offset:4248
	s_waitcnt lgkmcnt(0)
	v_dual_cndmask_b32 v80, 0, v77 :: v_dual_cndmask_b32 v79, 0, v78
	s_delay_alu instid0(VALU_DEP_1) | instskip(NEXT) | instid1(VALU_DEP_2)
	v_add_co_u32 v75, vcc_lo, v80, v75
	v_add_co_ci_u32_e32 v71, vcc_lo, v79, v71, vcc_lo
	v_cmp_eq_u32_e32 vcc_lo, 0, v0
	v_cndmask_b32_e64 v109, v59, 0, vcc_lo
	s_delay_alu instid0(VALU_DEP_4) | instskip(NEXT) | instid1(VALU_DEP_4)
	v_cndmask_b32_e32 v89, v75, v77, vcc_lo
	v_cndmask_b32_e32 v90, v71, v78, vcc_lo
	v_cmp_eq_u32_e32 vcc_lo, 0, v63
	ds_load_b32 v78, v103 offset:4240
	s_waitcnt lgkmcnt(0)
	s_barrier
	buffer_gl0_inv
	v_cndmask_b32_e32 v71, 0, v89, vcc_lo
	v_cndmask_b32_e32 v59, 0, v90, vcc_lo
	ds_load_b64 v[116:117], v103 offset:4104
	v_add_co_u32 v87, vcc_lo, v71, v53
	v_add_co_ci_u32_e32 v88, vcc_lo, v59, v54, vcc_lo
	s_delay_alu instid0(VALU_DEP_2) | instskip(NEXT) | instid1(VALU_DEP_2)
	v_cndmask_b32_e64 v59, 0, v87, s12
	v_cndmask_b32_e64 v71, 0, v88, s12
	s_delay_alu instid0(VALU_DEP_2) | instskip(NEXT) | instid1(VALU_DEP_2)
	v_add_co_u32 v93, vcc_lo, v59, v55
	v_add_co_ci_u32_e32 v94, vcc_lo, v71, v56, vcc_lo
	s_delay_alu instid0(VALU_DEP_2) | instskip(NEXT) | instid1(VALU_DEP_2)
	v_cndmask_b32_e64 v59, 0, v93, s11
	v_cndmask_b32_e64 v71, 0, v94, s11
	s_delay_alu instid0(VALU_DEP_2) | instskip(NEXT) | instid1(VALU_DEP_2)
	;; [unrolled: 6-line block ×9, first 2 shown]
	v_add_co_u32 v85, vcc_lo, v59, v39
	v_add_co_ci_u32_e32 v86, vcc_lo, v71, v40, vcc_lo
	ds_load_b32 v59, v103 offset:4096
	v_cndmask_b32_e64 v71, 0, v85, s3
	v_cndmask_b32_e64 v75, 0, v86, s3
	s_delay_alu instid0(VALU_DEP_2) | instskip(NEXT) | instid1(VALU_DEP_2)
	v_add_co_u32 v101, vcc_lo, v71, v33
	v_add_co_ci_u32_e32 v102, vcc_lo, v75, v34, vcc_lo
	ds_load_b64 v[75:76], v103 offset:4120
	v_cndmask_b32_e64 v71, 0, v101, s2
	v_cndmask_b32_e64 v77, 0, v102, s2
	s_delay_alu instid0(VALU_DEP_2) | instskip(NEXT) | instid1(VALU_DEP_2)
	v_add_co_u32 v105, vcc_lo, v71, v35
	v_add_co_ci_u32_e32 v106, vcc_lo, v77, v36, vcc_lo
	ds_load_b32 v77, v103 offset:4112
	v_cndmask_b32_e64 v71, 0, v105, s1
	s_waitcnt lgkmcnt(2)
	v_cmp_eq_u32_e32 vcc_lo, 0, v59
	v_cndmask_b32_e64 v104, 0, v106, s1
	s_delay_alu instid0(VALU_DEP_3) | instskip(NEXT) | instid1(VALU_DEP_1)
	v_add_co_u32 v103, s1, v71, v29
	v_add_co_ci_u32_e64 v104, s1, v104, v30, s1
	s_waitcnt lgkmcnt(1)
	v_dual_cndmask_b32 v75, 0, v75 :: v_dual_cndmask_b32 v76, 0, v76
	v_add_nc_u32_e32 v71, v78, v109
	s_delay_alu instid0(VALU_DEP_3) | instskip(SKIP_1) | instid1(VALU_DEP_4)
	v_cndmask_b32_e64 v110, 0, v104, s0
	v_cndmask_b32_e64 v109, 0, v103, s0
	v_add_co_u32 v75, vcc_lo, v75, v116
	v_add_co_ci_u32_e32 v76, vcc_lo, v76, v117, vcc_lo
	s_branch .LBB515_204
.LBB515_176:
                                        ; implicit-def: $vgpr59
                                        ; implicit-def: $vgpr75_vgpr76
                                        ; implicit-def: $vgpr77
                                        ; implicit-def: $vgpr89_vgpr90
                                        ; implicit-def: $vgpr87_vgpr88
                                        ; implicit-def: $vgpr93_vgpr94
                                        ; implicit-def: $vgpr97_vgpr98
                                        ; implicit-def: $vgpr79_vgpr80
                                        ; implicit-def: $vgpr83_vgpr84
                                        ; implicit-def: $vgpr91_vgpr92
                                        ; implicit-def: $vgpr95_vgpr96
                                        ; implicit-def: $vgpr99_vgpr100
                                        ; implicit-def: $vgpr81_vgpr82
                                        ; implicit-def: $vgpr85_vgpr86
                                        ; implicit-def: $vgpr101_vgpr102
                                        ; implicit-def: $vgpr105_vgpr106
                                        ; implicit-def: $vgpr103_vgpr104
                                        ; implicit-def: $vgpr109_vgpr110
                                        ; implicit-def: $vgpr71
	s_cbranch_execz .LBB515_204
; %bb.177:
	s_and_b32 s0, s14, exec_lo
	s_cselect_b32 s1, 0, s25
	s_cselect_b32 s0, 0, s24
	s_delay_alu instid0(SALU_CYCLE_1)
	s_cmp_eq_u64 s[0:1], 0
	s_cbranch_scc1 .LBB515_179
; %bb.178:
	v_mov_b32_e32 v59, 0
	global_load_b64 v[107:108], v59, s[0:1]
.LBB515_179:
	v_cmp_eq_u32_e64 s11, 0, v72
	v_cmp_eq_u32_e64 s10, 0, v69
	;; [unrolled: 1-line block ×5, first 2 shown]
	v_cndmask_b32_e64 v71, 0, v53, s11
	v_cndmask_b32_e64 v59, 0, v54, s11
	v_cmp_eq_u32_e64 s6, 0, v65
	v_cmp_eq_u32_e64 s5, 0, v66
	;; [unrolled: 1-line block ×3, first 2 shown]
	v_add_co_u32 v71, vcc_lo, v71, v55
	v_add_co_ci_u32_e32 v59, vcc_lo, v59, v56, vcc_lo
	v_cmp_eq_u32_e64 s3, 0, v62
	s_delay_alu instid0(VALU_DEP_3) | instskip(SKIP_1) | instid1(VALU_DEP_4)
	v_cndmask_b32_e64 v71, 0, v71, s10
	v_cmp_eq_u32_e64 s2, 0, v113
	v_cndmask_b32_e64 v59, 0, v59, s10
	v_cmp_eq_u32_e64 s1, 0, v112
	v_add3_u32 v75, v115, v68, v65
	v_add_co_u32 v71, vcc_lo, v71, v49
	s_delay_alu instid0(VALU_DEP_4) | instskip(NEXT) | instid1(VALU_DEP_3)
	v_add_co_ci_u32_e32 v59, vcc_lo, v59, v50, vcc_lo
	v_add3_u32 v75, v75, v66, v61
	s_delay_alu instid0(VALU_DEP_3) | instskip(SKIP_1) | instid1(VALU_DEP_3)
	v_cndmask_b32_e64 v71, 0, v71, s9
	s_mov_b32 s13, exec_lo
	v_cndmask_b32_e64 v59, 0, v59, s9
	s_delay_alu instid0(VALU_DEP_3) | instskip(NEXT) | instid1(VALU_DEP_3)
	v_add3_u32 v75, v75, v62, v113
	v_add_co_u32 v71, vcc_lo, v71, v51
	s_delay_alu instid0(VALU_DEP_3) | instskip(NEXT) | instid1(VALU_DEP_3)
	v_add_co_ci_u32_e32 v59, vcc_lo, v59, v52, vcc_lo
	v_add3_u32 v75, v75, v60, v112
	s_delay_alu instid0(VALU_DEP_3) | instskip(NEXT) | instid1(VALU_DEP_3)
	v_cndmask_b32_e64 v71, 0, v71, s8
	v_cndmask_b32_e64 v59, 0, v59, s8
	s_delay_alu instid0(VALU_DEP_2) | instskip(NEXT) | instid1(VALU_DEP_2)
	v_add_co_u32 v71, vcc_lo, v71, v45
	v_add_co_ci_u32_e32 v59, vcc_lo, v59, v46, vcc_lo
	s_delay_alu instid0(VALU_DEP_2) | instskip(NEXT) | instid1(VALU_DEP_2)
	v_cndmask_b32_e64 v71, 0, v71, s7
	v_cndmask_b32_e64 v59, 0, v59, s7
	s_delay_alu instid0(VALU_DEP_2) | instskip(NEXT) | instid1(VALU_DEP_2)
	v_add_co_u32 v71, vcc_lo, v71, v47
	v_add_co_ci_u32_e32 v59, vcc_lo, v59, v48, vcc_lo
	s_delay_alu instid0(VALU_DEP_2) | instskip(NEXT) | instid1(VALU_DEP_2)
	v_cndmask_b32_e64 v71, 0, v71, s6
	v_cndmask_b32_e64 v59, 0, v59, s6
	s_delay_alu instid0(VALU_DEP_2) | instskip(NEXT) | instid1(VALU_DEP_2)
	v_add_co_u32 v71, vcc_lo, v71, v41
	v_add_co_ci_u32_e32 v59, vcc_lo, v59, v42, vcc_lo
	s_delay_alu instid0(VALU_DEP_2) | instskip(NEXT) | instid1(VALU_DEP_2)
	v_cndmask_b32_e64 v71, 0, v71, s5
	v_cndmask_b32_e64 v59, 0, v59, s5
	s_delay_alu instid0(VALU_DEP_2) | instskip(NEXT) | instid1(VALU_DEP_2)
	v_add_co_u32 v71, vcc_lo, v71, v43
	v_add_co_ci_u32_e32 v59, vcc_lo, v59, v44, vcc_lo
	s_delay_alu instid0(VALU_DEP_2) | instskip(NEXT) | instid1(VALU_DEP_2)
	v_cndmask_b32_e64 v71, 0, v71, s4
	v_cndmask_b32_e64 v59, 0, v59, s4
	s_delay_alu instid0(VALU_DEP_2) | instskip(NEXT) | instid1(VALU_DEP_2)
	v_add_co_u32 v71, vcc_lo, v71, v37
	v_add_co_ci_u32_e32 v59, vcc_lo, v59, v38, vcc_lo
	s_delay_alu instid0(VALU_DEP_2) | instskip(NEXT) | instid1(VALU_DEP_2)
	v_cndmask_b32_e64 v71, 0, v71, s3
	v_cndmask_b32_e64 v59, 0, v59, s3
	s_delay_alu instid0(VALU_DEP_2) | instskip(NEXT) | instid1(VALU_DEP_2)
	v_add_co_u32 v71, vcc_lo, v71, v39
	v_add_co_ci_u32_e32 v59, vcc_lo, v59, v40, vcc_lo
	s_delay_alu instid0(VALU_DEP_2) | instskip(NEXT) | instid1(VALU_DEP_2)
	v_cndmask_b32_e64 v71, 0, v71, s2
	v_cndmask_b32_e64 v59, 0, v59, s2
	s_delay_alu instid0(VALU_DEP_2) | instskip(NEXT) | instid1(VALU_DEP_2)
	v_add_co_u32 v71, vcc_lo, v71, v33
	v_add_co_ci_u32_e32 v59, vcc_lo, v59, v34, vcc_lo
	v_cmp_eq_u32_e32 vcc_lo, 0, v60
	s_delay_alu instid0(VALU_DEP_3) | instskip(NEXT) | instid1(VALU_DEP_3)
	v_cndmask_b32_e32 v71, 0, v71, vcc_lo
	v_cndmask_b32_e32 v59, 0, v59, vcc_lo
	s_delay_alu instid0(VALU_DEP_2) | instskip(NEXT) | instid1(VALU_DEP_1)
	v_add_co_u32 v71, s0, v71, v35
	v_add_co_ci_u32_e64 v59, s0, v59, v36, s0
	s_delay_alu instid0(VALU_DEP_2) | instskip(NEXT) | instid1(VALU_DEP_2)
	v_cndmask_b32_e64 v71, 0, v71, s1
	v_cndmask_b32_e64 v59, 0, v59, s1
	s_delay_alu instid0(VALU_DEP_2) | instskip(NEXT) | instid1(VALU_DEP_1)
	v_add_co_u32 v71, s0, v71, v29
	v_add_co_ci_u32_e64 v59, s0, v59, v30, s0
	v_cmp_eq_u32_e64 s0, 0, v64
	s_delay_alu instid0(VALU_DEP_1) | instskip(NEXT) | instid1(VALU_DEP_3)
	v_cndmask_b32_e64 v71, 0, v71, s0
	v_cndmask_b32_e64 v59, 0, v59, s0
	s_delay_alu instid0(VALU_DEP_2) | instskip(NEXT) | instid1(VALU_DEP_1)
	v_add_co_u32 v71, s12, v71, v31
	v_add_co_ci_u32_e64 v59, s12, v59, v32, s12
	v_cmp_eq_u32_e64 s12, 0, v111
	s_delay_alu instid0(VALU_DEP_1) | instskip(NEXT) | instid1(VALU_DEP_3)
	v_cndmask_b32_e64 v71, 0, v71, s12
	v_cndmask_b32_e64 v76, 0, v59, s12
	v_add3_u32 v59, v75, v64, v111
	s_delay_alu instid0(VALU_DEP_3) | instskip(NEXT) | instid1(VALU_DEP_1)
	v_add_co_u32 v73, s12, v71, v73
	v_add_co_ci_u32_e64 v74, s12, v76, v74, s12
	v_and_b32_e32 v71, 15, v114
	s_delay_alu instid0(VALU_DEP_4) | instskip(NEXT) | instid1(VALU_DEP_4)
	v_mov_b32_dpp v75, v59 row_shr:1 row_mask:0xf bank_mask:0xf
	v_mov_b32_dpp v76, v73 row_shr:1 row_mask:0xf bank_mask:0xf
	s_waitcnt lgkmcnt(0)
	v_mov_b32_dpp v77, v74 row_shr:1 row_mask:0xf bank_mask:0xf
	v_cmpx_ne_u32_e32 0, v71
; %bb.180:
	v_cmp_eq_u32_e64 s12, 0, v59
	v_add_nc_u32_e32 v59, v75, v59
	s_delay_alu instid0(VALU_DEP_2) | instskip(SKIP_1) | instid1(VALU_DEP_2)
	v_cndmask_b32_e64 v76, 0, v76, s12
	v_cndmask_b32_e64 v77, 0, v77, s12
	v_add_co_u32 v73, s12, v76, v73
	s_delay_alu instid0(VALU_DEP_1)
	v_add_co_ci_u32_e64 v74, s12, v77, v74, s12
; %bb.181:
	s_or_b32 exec_lo, exec_lo, s13
	v_mov_b32_dpp v75, v59 row_shr:2 row_mask:0xf bank_mask:0xf
	s_delay_alu instid0(VALU_DEP_3) | instskip(NEXT) | instid1(VALU_DEP_3)
	v_mov_b32_dpp v76, v73 row_shr:2 row_mask:0xf bank_mask:0xf
	v_mov_b32_dpp v77, v74 row_shr:2 row_mask:0xf bank_mask:0xf
	s_mov_b32 s13, exec_lo
	v_cmpx_lt_u32_e32 1, v71
; %bb.182:
	v_cmp_eq_u32_e64 s12, 0, v59
	v_add_nc_u32_e32 v59, v75, v59
	s_delay_alu instid0(VALU_DEP_2) | instskip(SKIP_1) | instid1(VALU_DEP_2)
	v_cndmask_b32_e64 v76, 0, v76, s12
	v_cndmask_b32_e64 v77, 0, v77, s12
	v_add_co_u32 v73, s12, v76, v73
	s_delay_alu instid0(VALU_DEP_1)
	v_add_co_ci_u32_e64 v74, s12, v77, v74, s12
; %bb.183:
	s_or_b32 exec_lo, exec_lo, s13
	v_mov_b32_dpp v75, v59 row_shr:4 row_mask:0xf bank_mask:0xf
	s_delay_alu instid0(VALU_DEP_3) | instskip(NEXT) | instid1(VALU_DEP_3)
	v_mov_b32_dpp v76, v73 row_shr:4 row_mask:0xf bank_mask:0xf
	v_mov_b32_dpp v77, v74 row_shr:4 row_mask:0xf bank_mask:0xf
	s_mov_b32 s13, exec_lo
	v_cmpx_lt_u32_e32 3, v71
	;; [unrolled: 17-line block ×3, first 2 shown]
; %bb.186:
	v_cmp_eq_u32_e64 s12, 0, v59
	v_add_nc_u32_e32 v59, v75, v59
	s_delay_alu instid0(VALU_DEP_2) | instskip(SKIP_1) | instid1(VALU_DEP_2)
	v_cndmask_b32_e64 v76, 0, v76, s12
	v_cndmask_b32_e64 v71, 0, v77, s12
	v_add_co_u32 v73, s12, v76, v73
	s_delay_alu instid0(VALU_DEP_1)
	v_add_co_ci_u32_e64 v74, s12, v71, v74, s12
; %bb.187:
	s_or_b32 exec_lo, exec_lo, s13
	ds_swizzle_b32 v71, v59 offset:swizzle(BROADCAST,32,15)
	ds_swizzle_b32 v75, v73 offset:swizzle(BROADCAST,32,15)
	;; [unrolled: 1-line block ×3, first 2 shown]
	v_and_b32_e32 v77, 16, v114
	s_mov_b32 s13, exec_lo
	s_delay_alu instid0(VALU_DEP_1)
	v_cmpx_ne_u32_e32 0, v77
	s_cbranch_execz .LBB515_189
; %bb.188:
	v_cmp_eq_u32_e64 s12, 0, v59
	s_waitcnt lgkmcnt(2)
	v_add_nc_u32_e32 v59, v71, v59
	s_waitcnt lgkmcnt(1)
	s_delay_alu instid0(VALU_DEP_2) | instskip(SKIP_2) | instid1(VALU_DEP_2)
	v_cndmask_b32_e64 v75, 0, v75, s12
	s_waitcnt lgkmcnt(0)
	v_cndmask_b32_e64 v76, 0, v76, s12
	v_add_co_u32 v73, s12, v75, v73
	s_delay_alu instid0(VALU_DEP_1)
	v_add_co_ci_u32_e64 v74, s12, v76, v74, s12
.LBB515_189:
	s_or_b32 exec_lo, exec_lo, s13
	s_waitcnt lgkmcnt(2)
	v_or_b32_e32 v71, 31, v0
	s_waitcnt lgkmcnt(1)
	v_lshrrev_b32_e32 v75, 5, v0
	s_delay_alu instid0(VALU_DEP_2) | instskip(NEXT) | instid1(VALU_DEP_2)
	v_cmp_eq_u32_e64 s12, v71, v0
	v_lshlrev_b32_e32 v71, 4, v75
	s_delay_alu instid0(VALU_DEP_2)
	s_and_saveexec_b32 s13, s12
	s_cbranch_execz .LBB515_191
; %bb.190:
	ds_store_b32 v71, v59 offset:4128
	ds_store_b64 v71, v[73:74] offset:4136
.LBB515_191:
	s_or_b32 exec_lo, exec_lo, s13
	s_delay_alu instid0(SALU_CYCLE_1)
	s_mov_b32 s13, exec_lo
	s_waitcnt vmcnt(0) lgkmcnt(0)
	s_barrier
	buffer_gl0_inv
	v_cmpx_gt_u32_e32 8, v0
	s_cbranch_execz .LBB515_199
; %bb.192:
	v_lshlrev_b32_e32 v77, 4, v0
	v_and_b32_e32 v79, 7, v114
	s_mov_b32 s15, exec_lo
	ds_load_b32 v78, v77 offset:4128
	ds_load_b64 v[75:76], v77 offset:4136
	s_waitcnt lgkmcnt(1)
	v_mov_b32_dpp v80, v78 row_shr:1 row_mask:0xf bank_mask:0xf
	s_waitcnt lgkmcnt(0)
	v_mov_b32_dpp v81, v75 row_shr:1 row_mask:0xf bank_mask:0xf
	v_mov_b32_dpp v82, v76 row_shr:1 row_mask:0xf bank_mask:0xf
	v_cmpx_ne_u32_e32 0, v79
; %bb.193:
	v_cmp_eq_u32_e64 s12, 0, v78
	v_add_nc_u32_e32 v78, v80, v78
	s_delay_alu instid0(VALU_DEP_2) | instskip(SKIP_1) | instid1(VALU_DEP_2)
	v_cndmask_b32_e64 v81, 0, v81, s12
	v_cndmask_b32_e64 v82, 0, v82, s12
	v_add_co_u32 v75, s12, v81, v75
	s_delay_alu instid0(VALU_DEP_1)
	v_add_co_ci_u32_e64 v76, s12, v82, v76, s12
; %bb.194:
	s_or_b32 exec_lo, exec_lo, s15
	v_mov_b32_dpp v80, v78 row_shr:2 row_mask:0xf bank_mask:0xf
	s_delay_alu instid0(VALU_DEP_3) | instskip(NEXT) | instid1(VALU_DEP_3)
	v_mov_b32_dpp v81, v75 row_shr:2 row_mask:0xf bank_mask:0xf
	v_mov_b32_dpp v82, v76 row_shr:2 row_mask:0xf bank_mask:0xf
	s_mov_b32 s15, exec_lo
	v_cmpx_lt_u32_e32 1, v79
; %bb.195:
	v_cmp_eq_u32_e64 s12, 0, v78
	v_add_nc_u32_e32 v78, v80, v78
	s_delay_alu instid0(VALU_DEP_2) | instskip(SKIP_1) | instid1(VALU_DEP_2)
	v_cndmask_b32_e64 v81, 0, v81, s12
	v_cndmask_b32_e64 v82, 0, v82, s12
	v_add_co_u32 v75, s12, v81, v75
	s_delay_alu instid0(VALU_DEP_1)
	v_add_co_ci_u32_e64 v76, s12, v82, v76, s12
; %bb.196:
	s_or_b32 exec_lo, exec_lo, s15
	v_mov_b32_dpp v80, v78 row_shr:4 row_mask:0xf bank_mask:0xf
	s_delay_alu instid0(VALU_DEP_3) | instskip(NEXT) | instid1(VALU_DEP_3)
	v_mov_b32_dpp v81, v75 row_shr:4 row_mask:0xf bank_mask:0xf
	v_mov_b32_dpp v82, v76 row_shr:4 row_mask:0xf bank_mask:0xf
	s_mov_b32 s15, exec_lo
	v_cmpx_lt_u32_e32 3, v79
; %bb.197:
	v_cmp_eq_u32_e64 s12, 0, v78
	v_add_nc_u32_e32 v78, v80, v78
	s_delay_alu instid0(VALU_DEP_2) | instskip(SKIP_1) | instid1(VALU_DEP_2)
	v_cndmask_b32_e64 v81, 0, v81, s12
	v_cndmask_b32_e64 v79, 0, v82, s12
	v_add_co_u32 v75, s12, v81, v75
	s_delay_alu instid0(VALU_DEP_1)
	v_add_co_ci_u32_e64 v76, s12, v79, v76, s12
; %bb.198:
	s_or_b32 exec_lo, exec_lo, s15
	ds_store_b32 v77, v78 offset:4128
	ds_store_b64 v77, v[75:76] offset:4136
.LBB515_199:
	s_or_b32 exec_lo, exec_lo, s13
	v_dual_mov_b32 v77, 0 :: v_dual_mov_b32 v78, 0
	v_dual_mov_b32 v75, v107 :: v_dual_mov_b32 v76, v108
	s_mov_b32 s13, exec_lo
	s_waitcnt lgkmcnt(0)
	s_barrier
	buffer_gl0_inv
	v_cmpx_lt_u32_e32 31, v0
	s_cbranch_execz .LBB515_201
; %bb.200:
	ds_load_b32 v78, v71 offset:4112
	ds_load_b64 v[75:76], v71 offset:4120
	s_waitcnt lgkmcnt(1)
	v_cmp_eq_u32_e64 s12, 0, v78
	s_delay_alu instid0(VALU_DEP_1) | instskip(SKIP_2) | instid1(VALU_DEP_2)
	v_cndmask_b32_e64 v79, 0, v107, s12
	v_cndmask_b32_e64 v71, 0, v108, s12
	s_waitcnt lgkmcnt(0)
	v_add_co_u32 v75, s12, v79, v75
	s_delay_alu instid0(VALU_DEP_1)
	v_add_co_ci_u32_e64 v76, s12, v71, v76, s12
.LBB515_201:
	s_or_b32 exec_lo, exec_lo, s13
	v_add_nc_u32_e32 v71, -1, v114
	v_cmp_eq_u32_e64 s12, 0, v59
	v_add_nc_u32_e32 v59, v78, v59
	s_delay_alu instid0(VALU_DEP_3) | instskip(NEXT) | instid1(VALU_DEP_3)
	v_cmp_gt_i32_e64 s13, 0, v71
	v_cndmask_b32_e64 v80, 0, v75, s12
	v_cndmask_b32_e64 v79, 0, v76, s12
	s_delay_alu instid0(VALU_DEP_3) | instskip(NEXT) | instid1(VALU_DEP_3)
	v_cndmask_b32_e64 v71, v71, v114, s13
	v_add_co_u32 v73, s12, v80, v73
	s_delay_alu instid0(VALU_DEP_1) | instskip(NEXT) | instid1(VALU_DEP_3)
	v_add_co_ci_u32_e64 v74, s12, v79, v74, s12
	v_lshlrev_b32_e32 v71, 2, v71
	v_cmp_eq_u32_e64 s12, 0, v114
	v_cmp_eq_u32_e64 s13, 0, v63
	ds_bpermute_b32 v59, v71, v59
	ds_bpermute_b32 v74, v71, v74
	;; [unrolled: 1-line block ×3, first 2 shown]
	s_waitcnt lgkmcnt(2)
	v_cndmask_b32_e64 v71, v59, v78, s12
	s_waitcnt lgkmcnt(1)
	v_cndmask_b32_e64 v90, v74, v76, s12
	;; [unrolled: 2-line block ×3, first 2 shown]
	v_cmp_eq_u32_e64 s12, 0, v0
	s_delay_alu instid0(VALU_DEP_1) | instskip(SKIP_1) | instid1(VALU_DEP_2)
	v_cndmask_b32_e64 v59, v89, v107, s12
	v_cndmask_b32_e64 v73, v90, v108, s12
	;; [unrolled: 1-line block ×3, first 2 shown]
	s_delay_alu instid0(VALU_DEP_2) | instskip(NEXT) | instid1(VALU_DEP_2)
	v_cndmask_b32_e64 v73, 0, v73, s13
	v_add_co_u32 v87, s13, v59, v53
	s_delay_alu instid0(VALU_DEP_1) | instskip(SKIP_3) | instid1(VALU_DEP_2)
	v_add_co_ci_u32_e64 v88, s13, v73, v54, s13
	ds_load_b32 v59, v77 offset:4240
	v_cndmask_b32_e64 v53, 0, v87, s11
	v_cndmask_b32_e64 v54, 0, v88, s11
	v_add_co_u32 v93, s11, v53, v55
	s_delay_alu instid0(VALU_DEP_1) | instskip(NEXT) | instid1(VALU_DEP_2)
	v_add_co_ci_u32_e64 v94, s11, v54, v56, s11
	v_cndmask_b32_e64 v53, 0, v93, s10
	s_delay_alu instid0(VALU_DEP_2) | instskip(NEXT) | instid1(VALU_DEP_2)
	v_cndmask_b32_e64 v54, 0, v94, s10
	v_add_co_u32 v97, s10, v53, v49
	s_delay_alu instid0(VALU_DEP_1) | instskip(NEXT) | instid1(VALU_DEP_2)
	v_add_co_ci_u32_e64 v98, s10, v54, v50, s10
	v_cndmask_b32_e64 v49, 0, v97, s9
	s_delay_alu instid0(VALU_DEP_2) | instskip(NEXT) | instid1(VALU_DEP_2)
	;; [unrolled: 6-line block ×9, first 2 shown]
	v_cndmask_b32_e64 v38, 0, v86, s2
	v_add_co_u32 v101, s2, v37, v33
	s_delay_alu instid0(VALU_DEP_1) | instskip(SKIP_2) | instid1(VALU_DEP_1)
	v_add_co_ci_u32_e64 v102, s2, v38, v34, s2
	ds_load_b64 v[33:34], v77 offset:4248
	v_dual_cndmask_b32 v37, 0, v101 :: v_dual_cndmask_b32 v38, 0, v102
	v_add_co_u32 v105, vcc_lo, v37, v35
	s_delay_alu instid0(VALU_DEP_2) | instskip(SKIP_2) | instid1(VALU_DEP_3)
	v_add_co_ci_u32_e32 v106, vcc_lo, v38, v36, vcc_lo
	s_waitcnt lgkmcnt(1)
	v_cmp_eq_u32_e32 vcc_lo, 0, v59
	v_cndmask_b32_e64 v35, 0, v105, s1
	s_delay_alu instid0(VALU_DEP_3) | instskip(NEXT) | instid1(VALU_DEP_2)
	v_cndmask_b32_e64 v36, 0, v106, s1
	v_add_co_u32 v103, s1, v35, v29
	s_delay_alu instid0(VALU_DEP_1) | instskip(SKIP_1) | instid1(VALU_DEP_3)
	v_add_co_ci_u32_e64 v104, s1, v36, v30, s1
	v_dual_cndmask_b32 v30, 0, v107 :: v_dual_cndmask_b32 v29, 0, v108
	v_cndmask_b32_e64 v109, 0, v103, s0
	s_delay_alu instid0(VALU_DEP_3) | instskip(SKIP_1) | instid1(VALU_DEP_3)
	v_cndmask_b32_e64 v110, 0, v104, s0
	s_waitcnt lgkmcnt(0)
	v_add_co_u32 v75, vcc_lo, v30, v33
	v_add_co_ci_u32_e32 v76, vcc_lo, v29, v34, vcc_lo
	s_and_saveexec_b32 s0, s12
	s_cbranch_execz .LBB515_203
; %bb.202:
	v_mov_b32_e32 v89, v107
	v_dual_mov_b32 v71, 0 :: v_dual_mov_b32 v90, v108
	v_mov_b32_e32 v29, 2
	s_clause 0x1
	global_store_b32 v71, v59, s[18:19] offset:512
	global_store_b64 v71, v[75:76], s[18:19] offset:520
	s_waitcnt_vscnt null, 0x0
	buffer_gl1_inv
	buffer_gl0_inv
	global_store_b8 v71, v29, s[20:21] offset:32
.LBB515_203:
	s_or_b32 exec_lo, exec_lo, s0
	v_mov_b32_e32 v77, 0
.LBB515_204:
	v_mov_b32_e32 v29, 0
	s_and_b32 s0, s14, exec_lo
	v_mov_b32_e32 v30, 0
	s_cselect_b32 s1, 0, s31
	s_cselect_b32 s0, 0, s30
	s_waitcnt lgkmcnt(0)
	s_waitcnt_vscnt null, 0x0
	s_cmp_eq_u64 s[0:1], 0
	s_barrier
	buffer_gl0_inv
	s_cbranch_scc1 .LBB515_206
; %bb.205:
	v_mov_b32_e32 v29, 0
	global_load_b64 v[29:30], v29, s[0:1]
.LBB515_206:
	v_cmp_eq_u32_e32 vcc_lo, 0, v63
	v_add_nc_u32_e32 v48, v71, v63
	v_cmp_ne_u32_e64 s12, 0, v63
	v_cmp_ne_u32_e64 s11, 0, v72
	;; [unrolled: 1-line block ×3, first 2 shown]
	v_cndmask_b32_e64 v33, 1, 2, vcc_lo
	v_cmp_eq_u32_e32 vcc_lo, 0, v72
	v_add_nc_u32_e32 v50, v48, v72
	v_cmp_ne_u32_e64 s8, 0, v70
	v_cmp_ne_u32_e64 s14, 0, v67
	;; [unrolled: 1-line block ×3, first 2 shown]
	v_cndmask_b32_e64 v34, 1, 2, vcc_lo
	v_cmp_eq_u32_e32 vcc_lo, 0, v69
	v_add_nc_u32_e32 v49, v50, v69
	v_cmp_ne_u32_e64 s10, 0, v65
	s_delay_alu instid0(VALU_DEP_4)
	v_dual_mov_b32 v78, 0 :: v_dual_and_b32 v33, v34, v33
	v_cndmask_b32_e64 v35, 1, 2, vcc_lo
	v_cmp_eq_u32_e32 vcc_lo, 0, v70
	v_add_nc_u32_e32 v47, v49, v70
	v_cmp_ne_u32_e64 s7, 0, v66
	v_cmp_ne_u32_e64 s6, 0, v61
	v_and_b32_e32 v35, v33, v35
	v_cndmask_b32_e64 v36, 1, 2, vcc_lo
	v_cmp_eq_u32_e32 vcc_lo, 0, v67
	v_add_nc_u32_e32 v46, v47, v67
	s_waitcnt vmcnt(0)
	v_lshlrev_b64 v[33:34], 3, v[29:30]
	v_cmp_ne_u32_e64 s5, 0, v62
	v_and_b32_e32 v35, v35, v36
	v_cndmask_b32_e64 v37, 1, 2, vcc_lo
	v_cmp_eq_u32_e32 vcc_lo, 0, v68
	v_add_nc_u32_e32 v45, v46, v68
	v_cmp_ne_u32_e64 s4, 0, v113
	v_cmp_ne_u32_e64 s3, 0, v60
	v_and_b32_e32 v35, v35, v37
	v_cndmask_b32_e64 v36, 1, 2, vcc_lo
	v_cmp_eq_u32_e32 vcc_lo, 0, v65
	v_add_nc_u32_e32 v44, v45, v65
	v_cmp_ne_u32_e64 s2, 0, v112
	;; [unrolled: 6-line block ×3, first 2 shown]
	s_mov_b32 s16, -1
	v_and_b32_e32 v35, v35, v37
	v_cndmask_b32_e64 v36, 1, 2, vcc_lo
	v_cmp_eq_u32_e32 vcc_lo, 0, v61
	v_add_nc_u32_e32 v42, v43, v61
	s_delay_alu instid0(VALU_DEP_3) | instskip(SKIP_2) | instid1(VALU_DEP_4)
	v_and_b32_e32 v35, v35, v36
	v_cndmask_b32_e64 v37, 1, 2, vcc_lo
	v_cmp_eq_u32_e32 vcc_lo, 0, v62
	v_add_nc_u32_e32 v41, v42, v62
	s_delay_alu instid0(VALU_DEP_3) | instskip(SKIP_2) | instid1(VALU_DEP_4)
	v_and_b32_e32 v35, v35, v37
	v_cndmask_b32_e64 v36, 1, 2, vcc_lo
	v_cmp_eq_u32_e32 vcc_lo, 0, v113
	v_add_nc_u32_e32 v40, v41, v113
	s_delay_alu instid0(VALU_DEP_3) | instskip(SKIP_3) | instid1(VALU_DEP_3)
	v_and_b32_e32 v39, v35, v36
	v_cndmask_b32_e64 v37, 1, 2, vcc_lo
	v_cmp_eq_u32_e32 vcc_lo, 0, v60
	v_lshlrev_b64 v[35:36], 3, v[77:78]
	v_and_b32_e32 v37, v39, v37
	v_cndmask_b32_e64 v38, 1, 2, vcc_lo
	v_cmp_eq_u32_e32 vcc_lo, 0, v112
	v_add_nc_u32_e32 v39, v40, v60
	s_delay_alu instid0(VALU_DEP_3) | instskip(SKIP_3) | instid1(VALU_DEP_3)
	v_and_b32_e32 v54, v37, v38
	v_cndmask_b32_e64 v53, 1, 2, vcc_lo
	v_add_co_u32 v51, vcc_lo, s42, v33
	v_add_co_ci_u32_e32 v52, vcc_lo, s43, v34, vcc_lo
	v_and_b32_e32 v53, v54, v53
	s_delay_alu instid0(VALU_DEP_3) | instskip(NEXT) | instid1(VALU_DEP_3)
	v_add_co_u32 v51, vcc_lo, v51, v35
	v_add_co_ci_u32_e32 v52, vcc_lo, v52, v36, vcc_lo
	v_cmp_eq_u32_e32 vcc_lo, 0, v64
	v_add_nc_u32_e32 v38, v39, v112
	v_cndmask_b32_e64 v54, 1, 2, vcc_lo
	v_cmp_eq_u32_e32 vcc_lo, 0, v111
	s_delay_alu instid0(VALU_DEP_3) | instskip(NEXT) | instid1(VALU_DEP_3)
	v_add_nc_u32_e32 v37, v38, v64
	v_and_b32_e32 v53, v53, v54
	v_cndmask_b32_e64 v54, 1, 2, vcc_lo
	v_cmp_gt_u32_e32 vcc_lo, 0x100, v59
	s_delay_alu instid0(VALU_DEP_2) | instskip(NEXT) | instid1(VALU_DEP_1)
	v_and_b32_e32 v53, v53, v54
	v_cmp_gt_i16_e64 s15, 2, v53
	s_cbranch_vccz .LBB515_213
; %bb.207:
	s_delay_alu instid0(VALU_DEP_1)
	s_and_saveexec_b32 s16, s15
	s_cbranch_execz .LBB515_212
; %bb.208:
	s_mov_b32 s17, 0
	s_mov_b32 s15, exec_lo
	v_cmpx_ne_u16_e32 1, v53
	s_xor_b32 s15, exec_lo, s15
	s_cbranch_execnz .LBB515_278
; %bb.209:
	s_and_not1_saveexec_b32 s15, s15
	s_cbranch_execnz .LBB515_294
.LBB515_210:
	s_or_b32 exec_lo, exec_lo, s15
	s_delay_alu instid0(SALU_CYCLE_1)
	s_and_b32 exec_lo, exec_lo, s17
	s_cbranch_execz .LBB515_212
.LBB515_211:
	v_sub_nc_u32_e32 v54, v37, v77
	v_mov_b32_e32 v55, 0
	s_delay_alu instid0(VALU_DEP_1) | instskip(NEXT) | instid1(VALU_DEP_1)
	v_lshlrev_b64 v[54:55], 3, v[54:55]
	v_add_co_u32 v54, vcc_lo, v51, v54
	s_delay_alu instid0(VALU_DEP_2)
	v_add_co_ci_u32_e32 v55, vcc_lo, v52, v55, vcc_lo
	global_store_b64 v[54:55], v[57:58], off
.LBB515_212:
	s_or_b32 exec_lo, exec_lo, s16
	s_mov_b32 s16, 0
.LBB515_213:
	s_delay_alu instid0(SALU_CYCLE_1)
	s_and_b32 vcc_lo, exec_lo, s16
	s_cbranch_vccz .LBB515_223
; %bb.214:
	s_mov_b32 s15, exec_lo
	v_cmpx_gt_i16_e32 2, v53
	s_cbranch_execz .LBB515_219
; %bb.215:
	s_mov_b32 s17, 0
	s_mov_b32 s16, exec_lo
	v_cmpx_ne_u16_e32 1, v53
	s_xor_b32 s16, exec_lo, s16
	s_cbranch_execnz .LBB515_295
; %bb.216:
	s_and_not1_saveexec_b32 s0, s16
	s_cbranch_execnz .LBB515_311
.LBB515_217:
	s_or_b32 exec_lo, exec_lo, s0
	s_delay_alu instid0(SALU_CYCLE_1)
	s_and_b32 exec_lo, exec_lo, s17
	s_cbranch_execz .LBB515_219
.LBB515_218:
	v_sub_nc_u32_e32 v1, v37, v77
	s_delay_alu instid0(VALU_DEP_1)
	v_lshlrev_b32_e32 v1, 3, v1
	ds_store_b64 v1, v[57:58]
.LBB515_219:
	s_or_b32 exec_lo, exec_lo, s15
	s_delay_alu instid0(SALU_CYCLE_1)
	s_mov_b32 s1, exec_lo
	s_waitcnt lgkmcnt(0)
	s_waitcnt_vscnt null, 0x0
	s_barrier
	buffer_gl0_inv
	v_cmpx_lt_u32_e64 v0, v59
	s_cbranch_execz .LBB515_222
; %bb.220:
	v_dual_mov_b32 v2, 0 :: v_dual_lshlrev_b32 v3, 3, v0
	v_mov_b32_e32 v1, v0
	s_mov_b32 s2, 0
	.p2align	6
.LBB515_221:                            ; =>This Inner Loop Header: Depth=1
	ds_load_b64 v[4:5], v3
	v_lshlrev_b64 v[6:7], 3, v[1:2]
	v_add_nc_u32_e32 v1, 0x100, v1
	v_add_nc_u32_e32 v3, 0x800, v3
	s_delay_alu instid0(VALU_DEP_2) | instskip(NEXT) | instid1(VALU_DEP_4)
	v_cmp_ge_u32_e32 vcc_lo, v1, v59
	v_add_co_u32 v6, s0, v51, v6
	s_delay_alu instid0(VALU_DEP_1)
	v_add_co_ci_u32_e64 v7, s0, v52, v7, s0
	s_or_b32 s2, vcc_lo, s2
	s_waitcnt lgkmcnt(0)
	global_store_b64 v[6:7], v[4:5], off
	s_and_not1_b32 exec_lo, exec_lo, s2
	s_cbranch_execnz .LBB515_221
.LBB515_222:
	s_or_b32 exec_lo, exec_lo, s1
.LBB515_223:
	v_add_co_u32 v1, vcc_lo, v109, v31
	s_cmpk_lg_i32 s27, 0xf00
	v_add_co_ci_u32_e32 v2, vcc_lo, v110, v32, vcc_lo
	s_cselect_b32 s0, -1, 0
	v_cmp_eq_u32_e32 vcc_lo, 0, v0
	s_and_b32 s0, s26, s0
	v_cndmask_b32_e64 v8, 0, 1, s33
	v_mad_i32_i24 v5, v0, -15, s27
	v_cndmask_b32_e64 v4, 0, 1, s0
	s_mul_hi_u32 s0, s27, 0x88888889
	s_and_b32 s1, vcc_lo, s33
	s_lshr_b32 s0, s0, 3
	v_sub_nc_u32_e32 v3, v59, v8
	v_cndmask_b32_e64 v6, v63, 0, s1
	v_cmp_eq_u32_e32 vcc_lo, s0, v0
	v_cmp_ne_u32_e64 s0, 0, v5
	s_mov_b32 s16, -1
	s_waitcnt_vscnt null, 0x0
	s_barrier
	s_and_b32 vcc_lo, s26, vcc_lo
	v_add_nc_u32_e32 v3, v3, v4
	v_cndmask_b32_e64 v4, 1, v6, s0
	v_cmp_ne_u32_e64 s0, 1, v5
	buffer_gl0_inv
	v_cndmask_b32_e64 v7, 1, v72, s0
	v_cmp_ne_u32_e64 s0, 14, v5
	s_delay_alu instid0(VALU_DEP_1) | instskip(SKIP_1) | instid1(VALU_DEP_2)
	v_cndmask_b32_e64 v9, 1, v111, s0
	v_cmp_ne_u32_e64 s0, 2, v5
	v_dual_cndmask_b32 v12, v111, v9 :: v_dual_cndmask_b32 v9, v6, v4
	s_delay_alu instid0(VALU_DEP_2) | instskip(SKIP_1) | instid1(VALU_DEP_3)
	v_cndmask_b32_e64 v10, 1, v69, s0
	v_cmp_ne_u32_e64 s0, 3, v5
	v_cmp_ne_u32_e64 s14, 0, v9
	s_delay_alu instid0(VALU_DEP_3) | instskip(NEXT) | instid1(VALU_DEP_3)
	v_cndmask_b32_e32 v10, v69, v10, vcc_lo
	v_cndmask_b32_e64 v11, 1, v70, s0
	v_cmp_ne_u32_e64 s0, 4, v5
	s_delay_alu instid0(VALU_DEP_3) | instskip(NEXT) | instid1(VALU_DEP_2)
	v_cmp_ne_u32_e64 s12, 0, v10
	v_cndmask_b32_e64 v4, 1, v67, s0
	v_cmp_ne_u32_e64 s0, 5, v5
	s_delay_alu instid0(VALU_DEP_2) | instskip(NEXT) | instid1(VALU_DEP_2)
	v_dual_cndmask_b32 v13, v72, v7 :: v_dual_cndmask_b32 v18, v67, v4
	v_cndmask_b32_e64 v6, 1, v68, s0
	v_cmp_eq_u32_e64 s0, 0, v9
	s_delay_alu instid0(VALU_DEP_3) | instskip(NEXT) | instid1(VALU_DEP_4)
	v_cmp_ne_u32_e64 s13, 0, v13
	v_cmp_ne_u32_e64 s10, 0, v18
	s_delay_alu instid0(VALU_DEP_4) | instskip(NEXT) | instid1(VALU_DEP_4)
	v_cndmask_b32_e32 v19, v68, v6, vcc_lo
	v_cndmask_b32_e64 v7, 1, 2, s0
	v_cmp_eq_u32_e64 s0, 0, v13
	s_delay_alu instid0(VALU_DEP_1) | instskip(SKIP_1) | instid1(VALU_DEP_2)
	v_cndmask_b32_e64 v14, 1, 2, s0
	v_cmp_ne_u32_e64 s0, 6, v5
	v_and_b32_e32 v7, v14, v7
	s_delay_alu instid0(VALU_DEP_2) | instskip(SKIP_1) | instid1(VALU_DEP_2)
	v_cndmask_b32_e64 v15, 1, v65, s0
	v_cmp_eq_u32_e64 s0, 0, v10
	v_cndmask_b32_e32 v15, v65, v15, vcc_lo
	s_delay_alu instid0(VALU_DEP_2) | instskip(SKIP_1) | instid1(VALU_DEP_1)
	v_cndmask_b32_e64 v14, 1, 2, s0
	v_cmp_ne_u32_e64 s0, 7, v5
	v_cndmask_b32_e64 v16, 1, v66, s0
	v_cmp_ne_u32_e64 s0, 8, v5
	s_delay_alu instid0(VALU_DEP_2) | instskip(SKIP_1) | instid1(VALU_DEP_3)
	v_dual_cndmask_b32 v16, v66, v16 :: v_dual_and_b32 v7, v7, v14
	v_cndmask_b32_e32 v11, v70, v11, vcc_lo
	v_cndmask_b32_e64 v17, 1, v61, s0
	s_delay_alu instid0(VALU_DEP_3) | instskip(NEXT) | instid1(VALU_DEP_3)
	v_cmp_ne_u32_e64 s7, 0, v16
	v_cmp_eq_u32_e64 s0, 0, v11
	s_delay_alu instid0(VALU_DEP_3) | instskip(NEXT) | instid1(VALU_DEP_2)
	v_cndmask_b32_e32 v17, v61, v17, vcc_lo
	v_cndmask_b32_e64 v14, 1, 2, s0
	v_cmp_ne_u32_e64 s0, 9, v5
	s_delay_alu instid0(VALU_DEP_3) | instskip(NEXT) | instid1(VALU_DEP_3)
	v_cmp_ne_u32_e64 s6, 0, v17
	v_and_b32_e32 v6, v7, v14
	s_delay_alu instid0(VALU_DEP_3) | instskip(SKIP_2) | instid1(VALU_DEP_3)
	v_cndmask_b32_e64 v4, 1, v62, s0
	v_cmp_eq_u32_e64 s0, 0, v18
	v_cmp_ne_u32_e64 s11, 0, v11
	v_cndmask_b32_e32 v23, v62, v4, vcc_lo
	s_delay_alu instid0(VALU_DEP_3) | instskip(SKIP_1) | instid1(VALU_DEP_3)
	v_cndmask_b32_e64 v7, 1, 2, s0
	v_cmp_ne_u32_e64 s0, 10, v5
	v_cmp_ne_u32_e64 s5, 0, v23
	s_delay_alu instid0(VALU_DEP_3) | instskip(NEXT) | instid1(VALU_DEP_3)
	v_and_b32_e32 v6, v6, v7
	v_cndmask_b32_e64 v14, 1, v113, s0
	v_cmp_ne_u32_e64 s0, 12, v5
	v_cmp_ne_u32_e64 s9, 0, v19
	s_delay_alu instid0(VALU_DEP_3) | instskip(NEXT) | instid1(VALU_DEP_3)
	v_cndmask_b32_e32 v14, v113, v14, vcc_lo
	v_cndmask_b32_e64 v20, 1, v112, s0
	v_cmp_eq_u32_e64 s0, 0, v19
	s_delay_alu instid0(VALU_DEP_3) | instskip(NEXT) | instid1(VALU_DEP_3)
	v_cmp_ne_u32_e64 s4, 0, v14
	v_cndmask_b32_e32 v20, v112, v20, vcc_lo
	s_delay_alu instid0(VALU_DEP_3) | instskip(SKIP_1) | instid1(VALU_DEP_3)
	v_cndmask_b32_e64 v7, 1, 2, s0
	v_cmp_ne_u32_e64 s0, 13, v5
	v_cmp_ne_u32_e64 s2, 0, v20
	s_delay_alu instid0(VALU_DEP_2) | instskip(SKIP_1) | instid1(VALU_DEP_2)
	v_cndmask_b32_e64 v21, 1, v64, s0
	v_cmp_eq_u32_e64 s0, 0, v15
	v_dual_cndmask_b32 v21, v64, v21 :: v_dual_and_b32 v6, v6, v7
	s_delay_alu instid0(VALU_DEP_2) | instskip(SKIP_1) | instid1(VALU_DEP_3)
	v_cndmask_b32_e64 v7, 1, 2, s0
	v_cmp_ne_u32_e64 s0, 11, v5
	v_cmp_ne_u32_e64 s1, 0, v21
	s_delay_alu instid0(VALU_DEP_3) | instskip(NEXT) | instid1(VALU_DEP_3)
	v_and_b32_e32 v6, v6, v7
	v_cndmask_b32_e64 v5, 1, v60, s0
	v_cmp_eq_u32_e64 s0, 0, v16
	s_delay_alu instid0(VALU_DEP_2) | instskip(NEXT) | instid1(VALU_DEP_2)
	v_cndmask_b32_e32 v22, v60, v5, vcc_lo
	v_cndmask_b32_e64 v7, 1, 2, s0
	v_cmp_eq_u32_e32 vcc_lo, 0, v17
	v_cmp_ne_u32_e64 s8, 0, v15
	v_cmp_ne_u32_e64 s0, 0, v12
	;; [unrolled: 1-line block ×3, first 2 shown]
	v_and_b32_e32 v4, v6, v7
	v_cndmask_b32_e64 v5, 1, 2, vcc_lo
	v_add_co_u32 v6, vcc_lo, s44, v33
	v_add_co_ci_u32_e32 v7, vcc_lo, s45, v34, vcc_lo
	v_cmp_eq_u32_e32 vcc_lo, 0, v23
	s_delay_alu instid0(VALU_DEP_4)
	v_and_b32_e32 v24, v4, v5
	v_cndmask_b32_e64 v25, 1, 2, vcc_lo
	v_add_co_u32 v4, vcc_lo, v6, v35
	v_add_co_ci_u32_e32 v5, vcc_lo, v7, v36, vcc_lo
	v_lshlrev_b32_e32 v6, 3, v8
	v_cmp_eq_u32_e32 vcc_lo, 0, v14
	v_and_b32_e32 v7, v24, v25
	v_add_nc_u32_e32 v8, v77, v8
	v_cndmask_b32_e64 v24, 1, 2, vcc_lo
	v_add_co_u32 v6, vcc_lo, v6, v4
	v_add_co_ci_u32_e32 v25, vcc_lo, 0, v5, vcc_lo
	v_cmp_eq_u32_e32 vcc_lo, 0, v22
	s_delay_alu instid0(VALU_DEP_4) | instskip(SKIP_4) | instid1(VALU_DEP_4)
	v_and_b32_e32 v24, v7, v24
	v_cndmask_b32_e64 v26, 1, 2, vcc_lo
	v_add_co_u32 v6, vcc_lo, v6, -8
	v_add_co_ci_u32_e32 v7, vcc_lo, -1, v25, vcc_lo
	v_cmp_eq_u32_e32 vcc_lo, 0, v20
	v_and_b32_e32 v24, v24, v26
	v_cndmask_b32_e64 v25, 1, 2, vcc_lo
	v_cmp_eq_u32_e32 vcc_lo, 0, v21
	s_delay_alu instid0(VALU_DEP_2) | instskip(SKIP_2) | instid1(VALU_DEP_2)
	v_and_b32_e32 v9, v24, v25
	v_cndmask_b32_e64 v10, 1, 2, vcc_lo
	v_cmp_eq_u32_e32 vcc_lo, 0, v12
	v_and_b32_e32 v9, v9, v10
	v_cndmask_b32_e64 v10, 1, 2, vcc_lo
	v_cmp_gt_u32_e32 vcc_lo, 0x100, v3
	s_delay_alu instid0(VALU_DEP_2) | instskip(NEXT) | instid1(VALU_DEP_1)
	v_and_b32_e32 v9, v9, v10
	v_cmp_gt_i16_e64 s15, 2, v9
	s_cbranch_vccnz .LBB515_227
; %bb.224:
	s_and_b32 vcc_lo, exec_lo, s16
	s_cbranch_vccnz .LBB515_233
.LBB515_225:
	v_cmp_eq_u32_e32 vcc_lo, 0xff, v0
	s_and_b32 s0, vcc_lo, s26
	s_delay_alu instid0(SALU_CYCLE_1)
	s_and_saveexec_b32 s1, s0
	s_cbranch_execnz .LBB515_242
.LBB515_226:
	s_nop 0
	s_sendmsg sendmsg(MSG_DEALLOC_VGPRS)
	s_endpgm
.LBB515_227:
	s_delay_alu instid0(VALU_DEP_1)
	s_and_saveexec_b32 s16, s15
	s_cbranch_execz .LBB515_232
; %bb.228:
	s_mov_b32 s17, 0
	s_mov_b32 s15, exec_lo
	v_cmpx_ne_u16_e32 1, v9
	s_xor_b32 s15, exec_lo, s15
	s_cbranch_execnz .LBB515_312
; %bb.229:
	s_and_not1_saveexec_b32 s15, s15
	s_cbranch_execnz .LBB515_328
.LBB515_230:
	s_or_b32 exec_lo, exec_lo, s15
	s_delay_alu instid0(SALU_CYCLE_1)
	s_and_b32 exec_lo, exec_lo, s17
	s_cbranch_execz .LBB515_232
.LBB515_231:
	v_sub_nc_u32_e32 v10, v37, v8
	v_mov_b32_e32 v11, 0
	s_delay_alu instid0(VALU_DEP_1) | instskip(NEXT) | instid1(VALU_DEP_1)
	v_lshlrev_b64 v[10:11], 3, v[10:11]
	v_add_co_u32 v10, vcc_lo, v6, v10
	s_delay_alu instid0(VALU_DEP_2)
	v_add_co_ci_u32_e32 v11, vcc_lo, v7, v11, vcc_lo
	global_store_b64 v[10:11], v[1:2], off
.LBB515_232:
	s_or_b32 exec_lo, exec_lo, s16
	s_branch .LBB515_225
.LBB515_233:
	s_mov_b32 s15, exec_lo
	v_cmpx_gt_i16_e32 2, v9
	s_cbranch_execz .LBB515_238
; %bb.234:
	s_mov_b32 s17, 0
	s_mov_b32 s16, exec_lo
	v_cmpx_ne_u16_e32 1, v9
	s_xor_b32 s16, exec_lo, s16
	s_cbranch_execnz .LBB515_329
; %bb.235:
	s_and_not1_saveexec_b32 s0, s16
	s_cbranch_execnz .LBB515_345
.LBB515_236:
	s_or_b32 exec_lo, exec_lo, s0
	s_delay_alu instid0(SALU_CYCLE_1)
	s_and_b32 exec_lo, exec_lo, s17
	s_cbranch_execz .LBB515_238
.LBB515_237:
	v_sub_nc_u32_e32 v8, v37, v8
	s_delay_alu instid0(VALU_DEP_1)
	v_lshlrev_b32_e32 v8, 3, v8
	ds_store_b64 v8, v[1:2]
.LBB515_238:
	s_or_b32 exec_lo, exec_lo, s15
	s_delay_alu instid0(SALU_CYCLE_1)
	s_mov_b32 s1, exec_lo
	s_waitcnt lgkmcnt(0)
	s_waitcnt_vscnt null, 0x0
	s_barrier
	buffer_gl0_inv
	v_cmpx_lt_u32_e64 v0, v3
	s_cbranch_execz .LBB515_241
; %bb.239:
	v_dual_mov_b32 v1, v0 :: v_dual_lshlrev_b32 v8, 3, v0
	v_mov_b32_e32 v2, 0
	s_mov_b32 s2, 0
	.p2align	6
.LBB515_240:                            ; =>This Inner Loop Header: Depth=1
	ds_load_b64 v[9:10], v8
	v_lshlrev_b64 v[11:12], 3, v[1:2]
	v_add_nc_u32_e32 v1, 0x100, v1
	v_add_nc_u32_e32 v8, 0x800, v8
	s_delay_alu instid0(VALU_DEP_2) | instskip(NEXT) | instid1(VALU_DEP_4)
	v_cmp_ge_u32_e32 vcc_lo, v1, v3
	v_add_co_u32 v11, s0, v6, v11
	s_delay_alu instid0(VALU_DEP_1)
	v_add_co_ci_u32_e64 v12, s0, v7, v12, s0
	s_or_b32 s2, vcc_lo, s2
	s_waitcnt lgkmcnt(0)
	global_store_b64 v[11:12], v[9:10], off
	s_and_not1_b32 exec_lo, exec_lo, s2
	s_cbranch_execnz .LBB515_240
.LBB515_241:
	s_or_b32 exec_lo, exec_lo, s1
	v_cmp_eq_u32_e32 vcc_lo, 0xff, v0
	s_and_b32 s0, vcc_lo, s26
	s_delay_alu instid0(SALU_CYCLE_1)
	s_and_saveexec_b32 s1, s0
	s_cbranch_execz .LBB515_226
.LBB515_242:
	v_add_co_u32 v0, s0, v59, v77
	s_delay_alu instid0(VALU_DEP_1) | instskip(SKIP_1) | instid1(VALU_DEP_3)
	v_add_co_ci_u32_e64 v1, null, 0, 0, s0
	v_mov_b32_e32 v60, 0
	v_add_co_u32 v0, vcc_lo, v0, v29
	s_delay_alu instid0(VALU_DEP_3)
	v_add_co_ci_u32_e32 v1, vcc_lo, v1, v30, vcc_lo
	s_cmpk_lg_i32 s27, 0xf00
	global_store_b64 v60, v[0:1], s[46:47]
	s_cbranch_scc1 .LBB515_226
; %bb.243:
	v_lshlrev_b64 v[0:1], 3, v[59:60]
	s_delay_alu instid0(VALU_DEP_1) | instskip(NEXT) | instid1(VALU_DEP_2)
	v_add_co_u32 v0, vcc_lo, v4, v0
	v_add_co_ci_u32_e32 v1, vcc_lo, v5, v1, vcc_lo
	global_store_b64 v[0:1], v[75:76], off offset:-8
	s_nop 0
	s_sendmsg sendmsg(MSG_DEALLOC_VGPRS)
	s_endpgm
.LBB515_244:
                                        ; implicit-def: $sgpr2
                                        ; implicit-def: $vgpr111
                                        ; implicit-def: $vgpr76
                                        ; implicit-def: $vgpr112
                                        ; implicit-def: $vgpr60
                                        ; implicit-def: $vgpr113
                                        ; implicit-def: $vgpr62
                                        ; implicit-def: $vgpr61
                                        ; implicit-def: $vgpr66
                                        ; implicit-def: $vgpr65
                                        ; implicit-def: $vgpr68
                                        ; implicit-def: $vgpr67
                                        ; implicit-def: $vgpr70
                                        ; implicit-def: $vgpr69
                                        ; implicit-def: $vgpr72
	s_cbranch_execz .LBB515_110
; %bb.245:
	v_dual_mov_b32 v64, 0 :: v_dual_lshlrev_b32 v75, 3, v0
	v_mov_b32_e32 v111, 0
	s_mov_b32 s2, exec_lo
	ds_store_b64 v75, v[57:58]
	v_cmpx_gt_u64_e64 s[0:1], v[63:64]
; %bb.246:
	v_mul_hi_i32 v59, 0x66666667, v3
	v_mul_hi_i32 v60, 0x66666667, v57
	s_delay_alu instid0(VALU_DEP_2) | instskip(SKIP_1) | instid1(VALU_DEP_3)
	v_lshrrev_b32_e32 v61, 31, v59
	v_ashrrev_i32_e32 v59, 2, v59
	v_lshrrev_b32_e32 v62, 31, v60
	v_ashrrev_i32_e32 v60, 2, v60
	s_delay_alu instid0(VALU_DEP_3) | instskip(NEXT) | instid1(VALU_DEP_2)
	v_add_nc_u32_e32 v59, v59, v61
	v_add_nc_u32_e32 v60, v60, v62
	s_delay_alu instid0(VALU_DEP_1)
	v_cmp_ne_u32_e32 vcc_lo, v59, v60
	v_cndmask_b32_e64 v111, 0, 1, vcc_lo
; %bb.247:
	s_or_b32 exec_lo, exec_lo, s2
	v_add_nc_u32_e32 v63, 13, v77
	s_mov_b32 s2, exec_lo
	s_delay_alu instid0(VALU_DEP_1)
	v_cmpx_gt_u64_e64 s[0:1], v[63:64]
; %bb.248:
	v_mul_hi_i32 v59, 0x66666667, v1
	v_mul_hi_i32 v60, 0x66666667, v3
	s_delay_alu instid0(VALU_DEP_2) | instskip(SKIP_1) | instid1(VALU_DEP_3)
	v_lshrrev_b32_e32 v61, 31, v59
	v_ashrrev_i32_e32 v59, 2, v59
	v_lshrrev_b32_e32 v62, 31, v60
	v_ashrrev_i32_e32 v60, 2, v60
	s_delay_alu instid0(VALU_DEP_3) | instskip(NEXT) | instid1(VALU_DEP_2)
	v_add_nc_u32_e32 v59, v59, v61
	v_add_nc_u32_e32 v60, v60, v62
	s_delay_alu instid0(VALU_DEP_1)
	v_cmp_ne_u32_e32 vcc_lo, v59, v60
	v_cndmask_b32_e64 v64, 0, 1, vcc_lo
; %bb.249:
	s_or_b32 exec_lo, exec_lo, s2
	v_dual_mov_b32 v60, 0 :: v_dual_add_nc_u32 v59, 12, v77
	v_mov_b32_e32 v112, 0
	s_mov_b32 s2, exec_lo
	s_delay_alu instid0(VALU_DEP_2)
	v_cmpx_gt_u64_e64 s[0:1], v[59:60]
; %bb.250:
	v_mul_hi_i32 v59, 0x66666667, v7
	v_mul_hi_i32 v61, 0x66666667, v1
	s_delay_alu instid0(VALU_DEP_2) | instskip(SKIP_1) | instid1(VALU_DEP_3)
	v_lshrrev_b32_e32 v62, 31, v59
	v_ashrrev_i32_e32 v59, 2, v59
	v_lshrrev_b32_e32 v63, 31, v61
	v_ashrrev_i32_e32 v61, 2, v61
	s_delay_alu instid0(VALU_DEP_3) | instskip(NEXT) | instid1(VALU_DEP_2)
	v_add_nc_u32_e32 v59, v59, v62
	v_add_nc_u32_e32 v61, v61, v63
	s_delay_alu instid0(VALU_DEP_1)
	v_cmp_ne_u32_e32 vcc_lo, v59, v61
	v_cndmask_b32_e64 v112, 0, 1, vcc_lo
; %bb.251:
	s_or_b32 exec_lo, exec_lo, s2
	v_add_nc_u32_e32 v59, 11, v77
	s_mov_b32 s2, exec_lo
	s_delay_alu instid0(VALU_DEP_1)
	v_cmpx_gt_u64_e64 s[0:1], v[59:60]
; %bb.252:
	v_mul_hi_i32 v59, 0x66666667, v5
	v_mul_hi_i32 v60, 0x66666667, v7
	s_delay_alu instid0(VALU_DEP_2) | instskip(SKIP_1) | instid1(VALU_DEP_3)
	v_lshrrev_b32_e32 v61, 31, v59
	v_ashrrev_i32_e32 v59, 2, v59
	v_lshrrev_b32_e32 v62, 31, v60
	v_ashrrev_i32_e32 v60, 2, v60
	s_delay_alu instid0(VALU_DEP_3) | instskip(NEXT) | instid1(VALU_DEP_2)
	v_add_nc_u32_e32 v59, v59, v61
	v_add_nc_u32_e32 v60, v60, v62
	s_delay_alu instid0(VALU_DEP_1)
	v_cmp_ne_u32_e32 vcc_lo, v59, v60
	v_cndmask_b32_e64 v60, 0, 1, vcc_lo
; %bb.253:
	s_or_b32 exec_lo, exec_lo, s2
	v_dual_mov_b32 v62, 0 :: v_dual_add_nc_u32 v61, 10, v77
	v_mov_b32_e32 v113, 0
	s_mov_b32 s2, exec_lo
	s_delay_alu instid0(VALU_DEP_2)
	;; [unrolled: 41-line block ×6, first 2 shown]
	v_cmpx_gt_u64_e64 s[0:1], v[71:72]
; %bb.270:
	v_mul_hi_i32 v59, 0x66666667, v27
	v_mul_hi_i32 v63, 0x66666667, v21
	s_delay_alu instid0(VALU_DEP_2) | instskip(SKIP_1) | instid1(VALU_DEP_3)
	v_lshrrev_b32_e32 v69, 31, v59
	v_ashrrev_i32_e32 v59, 2, v59
	v_lshrrev_b32_e32 v71, 31, v63
	v_ashrrev_i32_e32 v63, 2, v63
	s_delay_alu instid0(VALU_DEP_3) | instskip(NEXT) | instid1(VALU_DEP_2)
	v_add_nc_u32_e32 v59, v59, v69
	v_add_nc_u32_e32 v63, v63, v71
	s_delay_alu instid0(VALU_DEP_1)
	v_cmp_ne_u32_e32 vcc_lo, v59, v63
	v_cndmask_b32_e64 v69, 0, 1, vcc_lo
; %bb.271:
	s_or_b32 exec_lo, exec_lo, s2
	v_add_nc_u32_e32 v71, 1, v77
	s_mov_b32 s2, exec_lo
	s_delay_alu instid0(VALU_DEP_1)
	v_cmpx_gt_u64_e64 s[0:1], v[71:72]
; %bb.272:
	v_mul_hi_i32 v59, 0x66666667, v25
	v_mul_hi_i32 v63, 0x66666667, v27
	s_delay_alu instid0(VALU_DEP_2) | instskip(SKIP_1) | instid1(VALU_DEP_3)
	v_lshrrev_b32_e32 v71, 31, v59
	v_ashrrev_i32_e32 v59, 2, v59
	v_lshrrev_b32_e32 v72, 31, v63
	v_ashrrev_i32_e32 v63, 2, v63
	s_delay_alu instid0(VALU_DEP_3) | instskip(NEXT) | instid1(VALU_DEP_2)
	v_add_nc_u32_e32 v59, v59, v71
	v_add_nc_u32_e32 v63, v63, v72
	s_delay_alu instid0(VALU_DEP_1)
	v_cmp_ne_u32_e32 vcc_lo, v59, v63
	v_cndmask_b32_e64 v72, 0, 1, vcc_lo
; %bb.273:
	s_or_b32 exec_lo, exec_lo, s2
	s_mov_b32 s4, 0
	s_mov_b32 s3, exec_lo
	s_waitcnt lgkmcnt(0)
	s_barrier
	buffer_gl0_inv
                                        ; implicit-def: $sgpr2
	v_cmpx_ne_u32_e32 0, v0
	s_cbranch_execz .LBB515_277
; %bb.274:
	v_mov_b32_e32 v78, 0
	s_delay_alu instid0(VALU_DEP_1)
	v_cmp_gt_u64_e32 vcc_lo, s[0:1], v[77:78]
	s_and_saveexec_b32 s0, vcc_lo
	s_cbranch_execz .LBB515_276
; %bb.275:
	v_add_nc_u32_e32 v59, -8, v75
	v_mul_hi_i32 v63, 0x66666667, v25
	ds_load_b32 v59, v59
	v_lshrrev_b32_e32 v71, 31, v63
	v_ashrrev_i32_e32 v63, 2, v63
	s_delay_alu instid0(VALU_DEP_1) | instskip(SKIP_2) | instid1(VALU_DEP_1)
	v_add_nc_u32_e32 v63, v63, v71
	s_waitcnt lgkmcnt(0)
	v_mul_hi_i32 v59, 0x66666667, v59
	v_lshrrev_b32_e32 v75, 31, v59
	v_ashrrev_i32_e32 v59, 2, v59
	s_delay_alu instid0(VALU_DEP_1) | instskip(NEXT) | instid1(VALU_DEP_1)
	v_add_nc_u32_e32 v59, v59, v75
	v_cmp_ne_u32_e32 vcc_lo, v59, v63
	s_and_b32 s4, vcc_lo, exec_lo
.LBB515_276:
	s_or_b32 exec_lo, exec_lo, s0
	s_delay_alu instid0(SALU_CYCLE_1)
	s_and_b32 s2, s4, exec_lo
	s_or_b32 s37, s37, exec_lo
.LBB515_277:
	s_or_b32 exec_lo, exec_lo, s3
	v_mov_b32_e32 v76, v64
	s_mov_b32 s0, 1
	s_delay_alu instid0(SALU_CYCLE_1)
	v_mov_b32_e32 v63, s0
	s_and_saveexec_b32 s0, s37
	s_cbranch_execnz .LBB515_112
	s_branch .LBB515_113
.LBB515_278:
	s_and_saveexec_b32 s17, s12
	s_cbranch_execnz .LBB515_346
; %bb.279:
	s_or_b32 exec_lo, exec_lo, s17
	s_and_saveexec_b32 s17, s11
	s_cbranch_execnz .LBB515_347
.LBB515_280:
	s_or_b32 exec_lo, exec_lo, s17
	s_and_saveexec_b32 s17, s9
	s_cbranch_execnz .LBB515_348
.LBB515_281:
	s_or_b32 exec_lo, exec_lo, s17
	s_and_saveexec_b32 s17, s8
	s_cbranch_execnz .LBB515_349
.LBB515_282:
	s_or_b32 exec_lo, exec_lo, s17
	s_and_saveexec_b32 s17, s14
	s_cbranch_execnz .LBB515_350
.LBB515_283:
	s_or_b32 exec_lo, exec_lo, s17
	s_and_saveexec_b32 s17, s13
	s_cbranch_execnz .LBB515_351
.LBB515_284:
	s_or_b32 exec_lo, exec_lo, s17
	s_and_saveexec_b32 s17, s10
	s_cbranch_execnz .LBB515_352
.LBB515_285:
	s_or_b32 exec_lo, exec_lo, s17
	s_and_saveexec_b32 s17, s7
	s_cbranch_execnz .LBB515_353
.LBB515_286:
	s_or_b32 exec_lo, exec_lo, s17
	s_and_saveexec_b32 s17, s6
	s_cbranch_execnz .LBB515_354
.LBB515_287:
	s_or_b32 exec_lo, exec_lo, s17
	s_and_saveexec_b32 s17, s5
	s_cbranch_execnz .LBB515_355
.LBB515_288:
	s_or_b32 exec_lo, exec_lo, s17
	s_and_saveexec_b32 s17, s4
	s_cbranch_execnz .LBB515_356
.LBB515_289:
	s_or_b32 exec_lo, exec_lo, s17
	s_and_saveexec_b32 s17, s3
	s_cbranch_execnz .LBB515_357
.LBB515_290:
	s_or_b32 exec_lo, exec_lo, s17
	s_and_saveexec_b32 s17, s2
	s_cbranch_execnz .LBB515_358
.LBB515_291:
	s_or_b32 exec_lo, exec_lo, s17
	s_and_saveexec_b32 s17, s1
	s_cbranch_execz .LBB515_293
.LBB515_292:
	v_sub_nc_u32_e32 v54, v38, v77
	v_mov_b32_e32 v55, 0
	s_delay_alu instid0(VALU_DEP_1) | instskip(NEXT) | instid1(VALU_DEP_1)
	v_lshlrev_b64 v[54:55], 3, v[54:55]
	v_add_co_u32 v54, vcc_lo, v51, v54
	s_delay_alu instid0(VALU_DEP_2)
	v_add_co_ci_u32_e32 v55, vcc_lo, v52, v55, vcc_lo
	global_store_b64 v[54:55], v[3:4], off
.LBB515_293:
	s_or_b32 exec_lo, exec_lo, s17
	s_delay_alu instid0(SALU_CYCLE_1)
	s_and_b32 s17, s0, exec_lo
	s_and_not1_saveexec_b32 s15, s15
	s_cbranch_execz .LBB515_210
.LBB515_294:
	v_sub_nc_u32_e32 v54, v71, v77
	v_mov_b32_e32 v55, 0
	s_or_b32 s17, s17, exec_lo
	s_delay_alu instid0(VALU_DEP_1) | instskip(SKIP_1) | instid1(VALU_DEP_1)
	v_lshlrev_b64 v[73:74], 3, v[54:55]
	v_sub_nc_u32_e32 v54, v48, v77
	v_lshlrev_b64 v[107:108], 3, v[54:55]
	v_sub_nc_u32_e32 v54, v50, v77
	s_delay_alu instid0(VALU_DEP_4) | instskip(SKIP_1) | instid1(VALU_DEP_3)
	v_add_co_u32 v73, vcc_lo, v51, v73
	v_add_co_ci_u32_e32 v74, vcc_lo, v52, v74, vcc_lo
	v_lshlrev_b64 v[114:115], 3, v[54:55]
	v_sub_nc_u32_e32 v54, v49, v77
	v_add_co_u32 v107, vcc_lo, v51, v107
	v_add_co_ci_u32_e32 v108, vcc_lo, v52, v108, vcc_lo
	global_store_b64 v[73:74], v[25:26], off
	v_lshlrev_b64 v[73:74], 3, v[54:55]
	v_sub_nc_u32_e32 v54, v47, v77
	global_store_b64 v[107:108], v[27:28], off
	v_add_co_u32 v107, vcc_lo, v51, v114
	v_add_co_ci_u32_e32 v108, vcc_lo, v52, v115, vcc_lo
	v_lshlrev_b64 v[114:115], 3, v[54:55]
	v_sub_nc_u32_e32 v54, v46, v77
	v_add_co_u32 v73, vcc_lo, v51, v73
	v_add_co_ci_u32_e32 v74, vcc_lo, v52, v74, vcc_lo
	s_delay_alu instid0(VALU_DEP_3) | instskip(SKIP_3) | instid1(VALU_DEP_3)
	v_lshlrev_b64 v[116:117], 3, v[54:55]
	v_sub_nc_u32_e32 v54, v45, v77
	v_add_co_u32 v114, vcc_lo, v51, v114
	v_add_co_ci_u32_e32 v115, vcc_lo, v52, v115, vcc_lo
	v_lshlrev_b64 v[118:119], 3, v[54:55]
	v_sub_nc_u32_e32 v54, v44, v77
	v_add_co_u32 v116, vcc_lo, v51, v116
	v_add_co_ci_u32_e32 v117, vcc_lo, v52, v117, vcc_lo
	s_clause 0x3
	global_store_b64 v[107:108], v[21:22], off
	global_store_b64 v[73:74], v[23:24], off
	;; [unrolled: 1-line block ×4, first 2 shown]
	v_lshlrev_b64 v[73:74], 3, v[54:55]
	v_sub_nc_u32_e32 v54, v43, v77
	v_add_co_u32 v107, vcc_lo, v51, v118
	v_add_co_ci_u32_e32 v108, vcc_lo, v52, v119, vcc_lo
	s_delay_alu instid0(VALU_DEP_3) | instskip(SKIP_3) | instid1(VALU_DEP_3)
	v_lshlrev_b64 v[114:115], 3, v[54:55]
	v_sub_nc_u32_e32 v54, v42, v77
	v_add_co_u32 v73, vcc_lo, v51, v73
	v_add_co_ci_u32_e32 v74, vcc_lo, v52, v74, vcc_lo
	v_lshlrev_b64 v[116:117], 3, v[54:55]
	v_sub_nc_u32_e32 v54, v41, v77
	v_add_co_u32 v114, vcc_lo, v51, v114
	v_add_co_ci_u32_e32 v115, vcc_lo, v52, v115, vcc_lo
	s_delay_alu instid0(VALU_DEP_3)
	v_lshlrev_b64 v[118:119], 3, v[54:55]
	v_sub_nc_u32_e32 v54, v40, v77
	v_add_co_u32 v116, vcc_lo, v51, v116
	v_add_co_ci_u32_e32 v117, vcc_lo, v52, v117, vcc_lo
	s_clause 0x3
	global_store_b64 v[107:108], v[13:14], off
	global_store_b64 v[73:74], v[15:16], off
	global_store_b64 v[114:115], v[9:10], off
	global_store_b64 v[116:117], v[11:12], off
	v_lshlrev_b64 v[73:74], 3, v[54:55]
	v_sub_nc_u32_e32 v54, v39, v77
	v_add_co_u32 v107, vcc_lo, v51, v118
	v_add_co_ci_u32_e32 v108, vcc_lo, v52, v119, vcc_lo
	s_delay_alu instid0(VALU_DEP_3) | instskip(SKIP_3) | instid1(VALU_DEP_3)
	v_lshlrev_b64 v[114:115], 3, v[54:55]
	v_sub_nc_u32_e32 v54, v38, v77
	v_add_co_u32 v73, vcc_lo, v51, v73
	v_add_co_ci_u32_e32 v74, vcc_lo, v52, v74, vcc_lo
	v_lshlrev_b64 v[54:55], 3, v[54:55]
	v_add_co_u32 v114, vcc_lo, v51, v114
	v_add_co_ci_u32_e32 v115, vcc_lo, v52, v115, vcc_lo
	s_clause 0x2
	global_store_b64 v[107:108], v[5:6], off
	global_store_b64 v[73:74], v[7:8], off
	;; [unrolled: 1-line block ×3, first 2 shown]
	v_add_co_u32 v54, vcc_lo, v51, v54
	v_add_co_ci_u32_e32 v55, vcc_lo, v52, v55, vcc_lo
	global_store_b64 v[54:55], v[3:4], off
	s_or_b32 exec_lo, exec_lo, s15
	s_delay_alu instid0(SALU_CYCLE_1)
	s_and_b32 exec_lo, exec_lo, s17
	s_cbranch_execnz .LBB515_211
	s_branch .LBB515_212
.LBB515_295:
	s_and_saveexec_b32 s17, s12
	s_cbranch_execnz .LBB515_359
; %bb.296:
	s_or_b32 exec_lo, exec_lo, s17
	s_and_saveexec_b32 s12, s11
	s_cbranch_execnz .LBB515_360
.LBB515_297:
	s_or_b32 exec_lo, exec_lo, s12
	s_and_saveexec_b32 s11, s9
	s_cbranch_execnz .LBB515_361
.LBB515_298:
	s_or_b32 exec_lo, exec_lo, s11
	s_and_saveexec_b32 s9, s8
	s_cbranch_execnz .LBB515_362
.LBB515_299:
	s_or_b32 exec_lo, exec_lo, s9
	s_and_saveexec_b32 s8, s14
	s_cbranch_execnz .LBB515_363
.LBB515_300:
	s_or_b32 exec_lo, exec_lo, s8
	s_and_saveexec_b32 s8, s13
	s_cbranch_execnz .LBB515_364
.LBB515_301:
	s_or_b32 exec_lo, exec_lo, s8
	s_and_saveexec_b32 s8, s10
	s_cbranch_execnz .LBB515_365
.LBB515_302:
	s_or_b32 exec_lo, exec_lo, s8
	s_and_saveexec_b32 s8, s7
	s_cbranch_execnz .LBB515_366
.LBB515_303:
	s_or_b32 exec_lo, exec_lo, s8
	s_and_saveexec_b32 s7, s6
	s_cbranch_execnz .LBB515_367
.LBB515_304:
	s_or_b32 exec_lo, exec_lo, s7
	s_and_saveexec_b32 s6, s5
	s_cbranch_execnz .LBB515_368
.LBB515_305:
	s_or_b32 exec_lo, exec_lo, s6
	s_and_saveexec_b32 s5, s4
	s_cbranch_execnz .LBB515_369
.LBB515_306:
	s_or_b32 exec_lo, exec_lo, s5
	s_and_saveexec_b32 s4, s3
	s_cbranch_execnz .LBB515_370
.LBB515_307:
	s_or_b32 exec_lo, exec_lo, s4
	s_and_saveexec_b32 s3, s2
	s_cbranch_execnz .LBB515_371
.LBB515_308:
	s_or_b32 exec_lo, exec_lo, s3
	s_and_saveexec_b32 s2, s1
	s_cbranch_execz .LBB515_310
.LBB515_309:
	v_sub_nc_u32_e32 v1, v38, v77
	s_delay_alu instid0(VALU_DEP_1)
	v_lshlrev_b32_e32 v1, 3, v1
	ds_store_b64 v1, v[3:4]
.LBB515_310:
	s_or_b32 exec_lo, exec_lo, s2
	s_delay_alu instid0(SALU_CYCLE_1)
	s_and_b32 s17, s0, exec_lo
                                        ; implicit-def: $vgpr25_vgpr26
                                        ; implicit-def: $vgpr21_vgpr22
                                        ; implicit-def: $vgpr17_vgpr18
                                        ; implicit-def: $vgpr13_vgpr14
                                        ; implicit-def: $vgpr9_vgpr10
                                        ; implicit-def: $vgpr5_vgpr6
                                        ; implicit-def: $vgpr1_vgpr2
	s_and_not1_saveexec_b32 s0, s16
	s_cbranch_execz .LBB515_217
.LBB515_311:
	v_sub_nc_u32_e32 v53, v71, v77
	v_sub_nc_u32_e32 v54, v48, v77
	;; [unrolled: 1-line block ×4, first 2 shown]
	s_or_b32 s17, s17, exec_lo
	v_lshlrev_b32_e32 v53, 3, v53
	v_lshlrev_b32_e32 v54, 3, v54
	;; [unrolled: 1-line block ×4, first 2 shown]
	ds_store_b64 v53, v[25:26]
	ds_store_b64 v54, v[27:28]
	;; [unrolled: 1-line block ×3, first 2 shown]
	v_sub_nc_u32_e32 v21, v47, v77
	v_sub_nc_u32_e32 v22, v46, v77
	ds_store_b64 v56, v[23:24]
	v_sub_nc_u32_e32 v23, v45, v77
	v_sub_nc_u32_e32 v24, v44, v77
	v_lshlrev_b32_e32 v21, 3, v21
	v_sub_nc_u32_e32 v25, v43, v77
	v_lshlrev_b32_e32 v22, 3, v22
	v_lshlrev_b32_e32 v23, 3, v23
	;; [unrolled: 1-line block ×3, first 2 shown]
	ds_store_b64 v21, v[17:18]
	v_lshlrev_b32_e32 v17, 3, v25
	ds_store_b64 v22, v[19:20]
	ds_store_b64 v23, v[13:14]
	ds_store_b64 v24, v[15:16]
	v_sub_nc_u32_e32 v13, v42, v77
	v_sub_nc_u32_e32 v15, v38, v77
	;; [unrolled: 1-line block ×3, first 2 shown]
	ds_store_b64 v17, v[9:10]
	v_sub_nc_u32_e32 v9, v41, v77
	v_lshlrev_b32_e32 v13, 3, v13
	v_sub_nc_u32_e32 v10, v40, v77
	v_lshlrev_b32_e32 v14, 3, v14
	s_delay_alu instid0(VALU_DEP_4)
	v_lshlrev_b32_e32 v9, 3, v9
	ds_store_b64 v13, v[11:12]
	v_lshlrev_b32_e32 v11, 3, v15
	v_lshlrev_b32_e32 v10, 3, v10
	ds_store_b64 v9, v[5:6]
	ds_store_b64 v10, v[7:8]
	;; [unrolled: 1-line block ×4, first 2 shown]
	s_or_b32 exec_lo, exec_lo, s0
	s_delay_alu instid0(SALU_CYCLE_1)
	s_and_b32 exec_lo, exec_lo, s17
	s_cbranch_execnz .LBB515_218
	s_branch .LBB515_219
.LBB515_312:
	s_and_saveexec_b32 s17, s14
	s_cbranch_execnz .LBB515_372
; %bb.313:
	s_or_b32 exec_lo, exec_lo, s17
	s_and_saveexec_b32 s17, s13
	s_cbranch_execnz .LBB515_373
.LBB515_314:
	s_or_b32 exec_lo, exec_lo, s17
	s_and_saveexec_b32 s17, s12
	s_cbranch_execnz .LBB515_374
.LBB515_315:
	s_or_b32 exec_lo, exec_lo, s17
	s_and_saveexec_b32 s17, s11
	s_cbranch_execnz .LBB515_375
.LBB515_316:
	s_or_b32 exec_lo, exec_lo, s17
	s_and_saveexec_b32 s17, s10
	s_cbranch_execnz .LBB515_376
.LBB515_317:
	s_or_b32 exec_lo, exec_lo, s17
	s_and_saveexec_b32 s17, s9
	s_cbranch_execnz .LBB515_377
.LBB515_318:
	s_or_b32 exec_lo, exec_lo, s17
	s_and_saveexec_b32 s17, s8
	s_cbranch_execnz .LBB515_378
.LBB515_319:
	s_or_b32 exec_lo, exec_lo, s17
	s_and_saveexec_b32 s17, s7
	s_cbranch_execnz .LBB515_379
.LBB515_320:
	s_or_b32 exec_lo, exec_lo, s17
	s_and_saveexec_b32 s17, s6
	s_cbranch_execnz .LBB515_380
.LBB515_321:
	s_or_b32 exec_lo, exec_lo, s17
	s_and_saveexec_b32 s17, s5
	s_cbranch_execnz .LBB515_381
.LBB515_322:
	s_or_b32 exec_lo, exec_lo, s17
	s_and_saveexec_b32 s17, s4
	s_cbranch_execnz .LBB515_382
.LBB515_323:
	s_or_b32 exec_lo, exec_lo, s17
	s_and_saveexec_b32 s17, s3
	s_cbranch_execnz .LBB515_383
.LBB515_324:
	s_or_b32 exec_lo, exec_lo, s17
	s_and_saveexec_b32 s17, s2
	s_cbranch_execnz .LBB515_384
.LBB515_325:
	s_or_b32 exec_lo, exec_lo, s17
	s_and_saveexec_b32 s17, s1
	s_cbranch_execz .LBB515_327
.LBB515_326:
	v_sub_nc_u32_e32 v10, v38, v8
	v_mov_b32_e32 v11, 0
	s_delay_alu instid0(VALU_DEP_1) | instskip(NEXT) | instid1(VALU_DEP_1)
	v_lshlrev_b64 v[10:11], 3, v[10:11]
	v_add_co_u32 v10, vcc_lo, v6, v10
	s_delay_alu instid0(VALU_DEP_2)
	v_add_co_ci_u32_e32 v11, vcc_lo, v7, v11, vcc_lo
	global_store_b64 v[10:11], v[103:104], off
.LBB515_327:
	s_or_b32 exec_lo, exec_lo, s17
	s_delay_alu instid0(SALU_CYCLE_1)
	s_and_b32 s17, s0, exec_lo
	s_and_not1_saveexec_b32 s15, s15
	s_cbranch_execz .LBB515_230
.LBB515_328:
	v_sub_nc_u32_e32 v10, v71, v8
	v_mov_b32_e32 v11, 0
	s_or_b32 s17, s17, exec_lo
	s_delay_alu instid0(VALU_DEP_1) | instskip(SKIP_1) | instid1(VALU_DEP_1)
	v_lshlrev_b64 v[12:13], 3, v[10:11]
	v_sub_nc_u32_e32 v10, v48, v8
	v_lshlrev_b64 v[14:15], 3, v[10:11]
	v_sub_nc_u32_e32 v10, v50, v8
	s_delay_alu instid0(VALU_DEP_4) | instskip(SKIP_1) | instid1(VALU_DEP_3)
	v_add_co_u32 v12, vcc_lo, v6, v12
	v_add_co_ci_u32_e32 v13, vcc_lo, v7, v13, vcc_lo
	v_lshlrev_b64 v[16:17], 3, v[10:11]
	v_sub_nc_u32_e32 v10, v49, v8
	v_add_co_u32 v14, vcc_lo, v6, v14
	v_add_co_ci_u32_e32 v15, vcc_lo, v7, v15, vcc_lo
	global_store_b64 v[12:13], v[89:90], off
	v_lshlrev_b64 v[12:13], 3, v[10:11]
	v_sub_nc_u32_e32 v10, v47, v8
	global_store_b64 v[14:15], v[87:88], off
	v_add_co_u32 v14, vcc_lo, v6, v16
	v_add_co_ci_u32_e32 v15, vcc_lo, v7, v17, vcc_lo
	v_lshlrev_b64 v[16:17], 3, v[10:11]
	v_sub_nc_u32_e32 v10, v46, v8
	v_add_co_u32 v12, vcc_lo, v6, v12
	v_add_co_ci_u32_e32 v13, vcc_lo, v7, v13, vcc_lo
	s_delay_alu instid0(VALU_DEP_3) | instskip(SKIP_3) | instid1(VALU_DEP_3)
	v_lshlrev_b64 v[18:19], 3, v[10:11]
	v_sub_nc_u32_e32 v10, v45, v8
	v_add_co_u32 v16, vcc_lo, v6, v16
	v_add_co_ci_u32_e32 v17, vcc_lo, v7, v17, vcc_lo
	v_lshlrev_b64 v[20:21], 3, v[10:11]
	v_sub_nc_u32_e32 v10, v44, v8
	v_add_co_u32 v18, vcc_lo, v6, v18
	v_add_co_ci_u32_e32 v19, vcc_lo, v7, v19, vcc_lo
	s_clause 0x3
	global_store_b64 v[14:15], v[93:94], off
	global_store_b64 v[12:13], v[97:98], off
	;; [unrolled: 1-line block ×4, first 2 shown]
	v_lshlrev_b64 v[12:13], 3, v[10:11]
	v_sub_nc_u32_e32 v10, v43, v8
	v_add_co_u32 v14, vcc_lo, v6, v20
	v_add_co_ci_u32_e32 v15, vcc_lo, v7, v21, vcc_lo
	s_delay_alu instid0(VALU_DEP_3) | instskip(SKIP_3) | instid1(VALU_DEP_3)
	v_lshlrev_b64 v[16:17], 3, v[10:11]
	v_sub_nc_u32_e32 v10, v42, v8
	v_add_co_u32 v12, vcc_lo, v6, v12
	v_add_co_ci_u32_e32 v13, vcc_lo, v7, v13, vcc_lo
	v_lshlrev_b64 v[18:19], 3, v[10:11]
	v_sub_nc_u32_e32 v10, v41, v8
	v_add_co_u32 v16, vcc_lo, v6, v16
	v_add_co_ci_u32_e32 v17, vcc_lo, v7, v17, vcc_lo
	s_delay_alu instid0(VALU_DEP_3)
	v_lshlrev_b64 v[20:21], 3, v[10:11]
	v_sub_nc_u32_e32 v10, v40, v8
	v_add_co_u32 v18, vcc_lo, v6, v18
	v_add_co_ci_u32_e32 v19, vcc_lo, v7, v19, vcc_lo
	s_clause 0x3
	global_store_b64 v[14:15], v[91:92], off
	global_store_b64 v[12:13], v[95:96], off
	;; [unrolled: 1-line block ×4, first 2 shown]
	v_lshlrev_b64 v[12:13], 3, v[10:11]
	v_sub_nc_u32_e32 v10, v39, v8
	v_add_co_u32 v14, vcc_lo, v6, v20
	v_add_co_ci_u32_e32 v15, vcc_lo, v7, v21, vcc_lo
	s_delay_alu instid0(VALU_DEP_3) | instskip(SKIP_3) | instid1(VALU_DEP_3)
	v_lshlrev_b64 v[16:17], 3, v[10:11]
	v_sub_nc_u32_e32 v10, v38, v8
	v_add_co_u32 v12, vcc_lo, v6, v12
	v_add_co_ci_u32_e32 v13, vcc_lo, v7, v13, vcc_lo
	v_lshlrev_b64 v[10:11], 3, v[10:11]
	v_add_co_u32 v16, vcc_lo, v6, v16
	v_add_co_ci_u32_e32 v17, vcc_lo, v7, v17, vcc_lo
	s_clause 0x2
	global_store_b64 v[14:15], v[85:86], off
	global_store_b64 v[12:13], v[101:102], off
	;; [unrolled: 1-line block ×3, first 2 shown]
	v_add_co_u32 v10, vcc_lo, v6, v10
	v_add_co_ci_u32_e32 v11, vcc_lo, v7, v11, vcc_lo
	global_store_b64 v[10:11], v[103:104], off
	s_or_b32 exec_lo, exec_lo, s15
	s_delay_alu instid0(SALU_CYCLE_1)
	s_and_b32 exec_lo, exec_lo, s17
	s_cbranch_execnz .LBB515_231
	s_branch .LBB515_232
.LBB515_329:
	s_and_saveexec_b32 s17, s14
	s_cbranch_execnz .LBB515_385
; %bb.330:
	s_or_b32 exec_lo, exec_lo, s17
	s_and_saveexec_b32 s14, s13
	s_cbranch_execnz .LBB515_386
.LBB515_331:
	s_or_b32 exec_lo, exec_lo, s14
	s_and_saveexec_b32 s13, s12
	s_cbranch_execnz .LBB515_387
.LBB515_332:
	s_or_b32 exec_lo, exec_lo, s13
	s_and_saveexec_b32 s12, s11
	s_cbranch_execnz .LBB515_388
.LBB515_333:
	s_or_b32 exec_lo, exec_lo, s12
	s_and_saveexec_b32 s11, s10
	s_cbranch_execnz .LBB515_389
.LBB515_334:
	s_or_b32 exec_lo, exec_lo, s11
	s_and_saveexec_b32 s10, s9
	s_cbranch_execnz .LBB515_390
.LBB515_335:
	s_or_b32 exec_lo, exec_lo, s10
	s_and_saveexec_b32 s9, s8
	s_cbranch_execnz .LBB515_391
.LBB515_336:
	s_or_b32 exec_lo, exec_lo, s9
	s_and_saveexec_b32 s8, s7
	s_cbranch_execnz .LBB515_392
.LBB515_337:
	s_or_b32 exec_lo, exec_lo, s8
	s_and_saveexec_b32 s7, s6
	s_cbranch_execnz .LBB515_393
.LBB515_338:
	s_or_b32 exec_lo, exec_lo, s7
	s_and_saveexec_b32 s6, s5
	s_cbranch_execnz .LBB515_394
.LBB515_339:
	s_or_b32 exec_lo, exec_lo, s6
	s_and_saveexec_b32 s5, s4
	s_cbranch_execnz .LBB515_395
.LBB515_340:
	s_or_b32 exec_lo, exec_lo, s5
	s_and_saveexec_b32 s4, s3
	s_cbranch_execnz .LBB515_396
.LBB515_341:
	s_or_b32 exec_lo, exec_lo, s4
	s_and_saveexec_b32 s3, s2
	s_cbranch_execnz .LBB515_397
.LBB515_342:
	s_or_b32 exec_lo, exec_lo, s3
	s_and_saveexec_b32 s2, s1
	s_cbranch_execz .LBB515_344
.LBB515_343:
	v_sub_nc_u32_e32 v9, v38, v8
	s_delay_alu instid0(VALU_DEP_1)
	v_lshlrev_b32_e32 v9, 3, v9
	ds_store_b64 v9, v[103:104]
.LBB515_344:
	s_or_b32 exec_lo, exec_lo, s2
	s_delay_alu instid0(SALU_CYCLE_1)
	s_and_b32 s17, s0, exec_lo
                                        ; implicit-def: $vgpr89_vgpr90
                                        ; implicit-def: $vgpr87_vgpr88
                                        ; implicit-def: $vgpr93_vgpr94
                                        ; implicit-def: $vgpr97_vgpr98
                                        ; implicit-def: $vgpr79_vgpr80
                                        ; implicit-def: $vgpr83_vgpr84
                                        ; implicit-def: $vgpr91_vgpr92
                                        ; implicit-def: $vgpr95_vgpr96
                                        ; implicit-def: $vgpr99_vgpr100
                                        ; implicit-def: $vgpr81_vgpr82
                                        ; implicit-def: $vgpr85_vgpr86
                                        ; implicit-def: $vgpr101_vgpr102
                                        ; implicit-def: $vgpr105_vgpr106
                                        ; implicit-def: $vgpr103_vgpr104
                                        ; implicit-def: $vgpr71
                                        ; implicit-def: $vgpr48
                                        ; implicit-def: $vgpr50
                                        ; implicit-def: $vgpr49
                                        ; implicit-def: $vgpr47
                                        ; implicit-def: $vgpr46
                                        ; implicit-def: $vgpr45
                                        ; implicit-def: $vgpr44
                                        ; implicit-def: $vgpr43
                                        ; implicit-def: $vgpr42
                                        ; implicit-def: $vgpr41
                                        ; implicit-def: $vgpr40
                                        ; implicit-def: $vgpr39
                                        ; implicit-def: $vgpr38
	s_and_not1_saveexec_b32 s0, s16
	s_cbranch_execz .LBB515_236
.LBB515_345:
	v_sub_nc_u32_e32 v9, v71, v8
	v_sub_nc_u32_e32 v10, v48, v8
	;; [unrolled: 1-line block ×5, first 2 shown]
	v_lshlrev_b32_e32 v9, 3, v9
	v_lshlrev_b32_e32 v10, 3, v10
	;; [unrolled: 1-line block ×4, first 2 shown]
	s_or_b32 s17, s17, exec_lo
	ds_store_b64 v9, v[89:90]
	ds_store_b64 v10, v[87:88]
	;; [unrolled: 1-line block ×3, first 2 shown]
	v_sub_nc_u32_e32 v9, v47, v8
	v_sub_nc_u32_e32 v10, v46, v8
	;; [unrolled: 1-line block ×3, first 2 shown]
	ds_store_b64 v12, v[97:98]
	v_sub_nc_u32_e32 v12, v44, v8
	v_lshlrev_b32_e32 v9, 3, v9
	v_lshlrev_b32_e32 v10, 3, v10
	;; [unrolled: 1-line block ×3, first 2 shown]
	s_delay_alu instid0(VALU_DEP_4)
	v_lshlrev_b32_e32 v12, 3, v12
	ds_store_b64 v9, v[79:80]
	v_lshlrev_b32_e32 v9, 3, v13
	ds_store_b64 v10, v[83:84]
	ds_store_b64 v11, v[91:92]
	ds_store_b64 v12, v[95:96]
	v_sub_nc_u32_e32 v10, v42, v8
	v_sub_nc_u32_e32 v13, v38, v8
	v_sub_nc_u32_e32 v11, v40, v8
	ds_store_b64 v9, v[99:100]
	v_sub_nc_u32_e32 v9, v41, v8
	v_lshlrev_b32_e32 v10, 3, v10
	v_sub_nc_u32_e32 v12, v39, v8
	v_lshlrev_b32_e32 v11, 3, v11
	s_delay_alu instid0(VALU_DEP_4)
	v_lshlrev_b32_e32 v9, 3, v9
	ds_store_b64 v10, v[81:82]
	v_lshlrev_b32_e32 v10, 3, v13
	v_lshlrev_b32_e32 v12, 3, v12
	ds_store_b64 v9, v[85:86]
	ds_store_b64 v11, v[101:102]
	;; [unrolled: 1-line block ×4, first 2 shown]
	s_or_b32 exec_lo, exec_lo, s0
	s_delay_alu instid0(SALU_CYCLE_1)
	s_and_b32 exec_lo, exec_lo, s17
	s_cbranch_execnz .LBB515_237
	s_branch .LBB515_238
.LBB515_346:
	v_sub_nc_u32_e32 v54, v71, v77
	v_mov_b32_e32 v55, 0
	s_delay_alu instid0(VALU_DEP_1) | instskip(NEXT) | instid1(VALU_DEP_1)
	v_lshlrev_b64 v[54:55], 3, v[54:55]
	v_add_co_u32 v54, vcc_lo, v51, v54
	s_delay_alu instid0(VALU_DEP_2)
	v_add_co_ci_u32_e32 v55, vcc_lo, v52, v55, vcc_lo
	global_store_b64 v[54:55], v[25:26], off
	s_or_b32 exec_lo, exec_lo, s17
	s_and_saveexec_b32 s17, s11
	s_cbranch_execz .LBB515_280
.LBB515_347:
	v_sub_nc_u32_e32 v54, v48, v77
	v_mov_b32_e32 v55, 0
	s_delay_alu instid0(VALU_DEP_1) | instskip(NEXT) | instid1(VALU_DEP_1)
	v_lshlrev_b64 v[54:55], 3, v[54:55]
	v_add_co_u32 v54, vcc_lo, v51, v54
	s_delay_alu instid0(VALU_DEP_2)
	v_add_co_ci_u32_e32 v55, vcc_lo, v52, v55, vcc_lo
	global_store_b64 v[54:55], v[27:28], off
	s_or_b32 exec_lo, exec_lo, s17
	s_and_saveexec_b32 s17, s9
	s_cbranch_execz .LBB515_281
.LBB515_348:
	v_sub_nc_u32_e32 v54, v50, v77
	v_mov_b32_e32 v55, 0
	s_delay_alu instid0(VALU_DEP_1) | instskip(NEXT) | instid1(VALU_DEP_1)
	v_lshlrev_b64 v[54:55], 3, v[54:55]
	v_add_co_u32 v54, vcc_lo, v51, v54
	s_delay_alu instid0(VALU_DEP_2)
	v_add_co_ci_u32_e32 v55, vcc_lo, v52, v55, vcc_lo
	global_store_b64 v[54:55], v[21:22], off
	s_or_b32 exec_lo, exec_lo, s17
	s_and_saveexec_b32 s17, s8
	s_cbranch_execz .LBB515_282
.LBB515_349:
	v_sub_nc_u32_e32 v54, v49, v77
	v_mov_b32_e32 v55, 0
	s_delay_alu instid0(VALU_DEP_1) | instskip(NEXT) | instid1(VALU_DEP_1)
	v_lshlrev_b64 v[54:55], 3, v[54:55]
	v_add_co_u32 v54, vcc_lo, v51, v54
	s_delay_alu instid0(VALU_DEP_2)
	v_add_co_ci_u32_e32 v55, vcc_lo, v52, v55, vcc_lo
	global_store_b64 v[54:55], v[23:24], off
	s_or_b32 exec_lo, exec_lo, s17
	s_and_saveexec_b32 s17, s14
	s_cbranch_execz .LBB515_283
.LBB515_350:
	v_sub_nc_u32_e32 v54, v47, v77
	v_mov_b32_e32 v55, 0
	s_delay_alu instid0(VALU_DEP_1) | instskip(NEXT) | instid1(VALU_DEP_1)
	v_lshlrev_b64 v[54:55], 3, v[54:55]
	v_add_co_u32 v54, vcc_lo, v51, v54
	s_delay_alu instid0(VALU_DEP_2)
	v_add_co_ci_u32_e32 v55, vcc_lo, v52, v55, vcc_lo
	global_store_b64 v[54:55], v[17:18], off
	s_or_b32 exec_lo, exec_lo, s17
	s_and_saveexec_b32 s17, s13
	s_cbranch_execz .LBB515_284
.LBB515_351:
	v_sub_nc_u32_e32 v54, v46, v77
	v_mov_b32_e32 v55, 0
	s_delay_alu instid0(VALU_DEP_1) | instskip(NEXT) | instid1(VALU_DEP_1)
	v_lshlrev_b64 v[54:55], 3, v[54:55]
	v_add_co_u32 v54, vcc_lo, v51, v54
	s_delay_alu instid0(VALU_DEP_2)
	v_add_co_ci_u32_e32 v55, vcc_lo, v52, v55, vcc_lo
	global_store_b64 v[54:55], v[19:20], off
	s_or_b32 exec_lo, exec_lo, s17
	s_and_saveexec_b32 s17, s10
	s_cbranch_execz .LBB515_285
.LBB515_352:
	v_sub_nc_u32_e32 v54, v45, v77
	v_mov_b32_e32 v55, 0
	s_delay_alu instid0(VALU_DEP_1) | instskip(NEXT) | instid1(VALU_DEP_1)
	v_lshlrev_b64 v[54:55], 3, v[54:55]
	v_add_co_u32 v54, vcc_lo, v51, v54
	s_delay_alu instid0(VALU_DEP_2)
	v_add_co_ci_u32_e32 v55, vcc_lo, v52, v55, vcc_lo
	global_store_b64 v[54:55], v[13:14], off
	s_or_b32 exec_lo, exec_lo, s17
	s_and_saveexec_b32 s17, s7
	s_cbranch_execz .LBB515_286
.LBB515_353:
	v_sub_nc_u32_e32 v54, v44, v77
	v_mov_b32_e32 v55, 0
	s_delay_alu instid0(VALU_DEP_1) | instskip(NEXT) | instid1(VALU_DEP_1)
	v_lshlrev_b64 v[54:55], 3, v[54:55]
	v_add_co_u32 v54, vcc_lo, v51, v54
	s_delay_alu instid0(VALU_DEP_2)
	v_add_co_ci_u32_e32 v55, vcc_lo, v52, v55, vcc_lo
	global_store_b64 v[54:55], v[15:16], off
	s_or_b32 exec_lo, exec_lo, s17
	s_and_saveexec_b32 s17, s6
	s_cbranch_execz .LBB515_287
.LBB515_354:
	v_sub_nc_u32_e32 v54, v43, v77
	v_mov_b32_e32 v55, 0
	s_delay_alu instid0(VALU_DEP_1) | instskip(NEXT) | instid1(VALU_DEP_1)
	v_lshlrev_b64 v[54:55], 3, v[54:55]
	v_add_co_u32 v54, vcc_lo, v51, v54
	s_delay_alu instid0(VALU_DEP_2)
	v_add_co_ci_u32_e32 v55, vcc_lo, v52, v55, vcc_lo
	global_store_b64 v[54:55], v[9:10], off
	s_or_b32 exec_lo, exec_lo, s17
	s_and_saveexec_b32 s17, s5
	s_cbranch_execz .LBB515_288
.LBB515_355:
	v_sub_nc_u32_e32 v54, v42, v77
	v_mov_b32_e32 v55, 0
	s_delay_alu instid0(VALU_DEP_1) | instskip(NEXT) | instid1(VALU_DEP_1)
	v_lshlrev_b64 v[54:55], 3, v[54:55]
	v_add_co_u32 v54, vcc_lo, v51, v54
	s_delay_alu instid0(VALU_DEP_2)
	v_add_co_ci_u32_e32 v55, vcc_lo, v52, v55, vcc_lo
	global_store_b64 v[54:55], v[11:12], off
	s_or_b32 exec_lo, exec_lo, s17
	s_and_saveexec_b32 s17, s4
	s_cbranch_execz .LBB515_289
.LBB515_356:
	v_sub_nc_u32_e32 v54, v41, v77
	v_mov_b32_e32 v55, 0
	s_delay_alu instid0(VALU_DEP_1) | instskip(NEXT) | instid1(VALU_DEP_1)
	v_lshlrev_b64 v[54:55], 3, v[54:55]
	v_add_co_u32 v54, vcc_lo, v51, v54
	s_delay_alu instid0(VALU_DEP_2)
	v_add_co_ci_u32_e32 v55, vcc_lo, v52, v55, vcc_lo
	global_store_b64 v[54:55], v[5:6], off
	s_or_b32 exec_lo, exec_lo, s17
	s_and_saveexec_b32 s17, s3
	s_cbranch_execz .LBB515_290
.LBB515_357:
	v_sub_nc_u32_e32 v54, v40, v77
	v_mov_b32_e32 v55, 0
	s_delay_alu instid0(VALU_DEP_1) | instskip(NEXT) | instid1(VALU_DEP_1)
	v_lshlrev_b64 v[54:55], 3, v[54:55]
	v_add_co_u32 v54, vcc_lo, v51, v54
	s_delay_alu instid0(VALU_DEP_2)
	v_add_co_ci_u32_e32 v55, vcc_lo, v52, v55, vcc_lo
	global_store_b64 v[54:55], v[7:8], off
	s_or_b32 exec_lo, exec_lo, s17
	s_and_saveexec_b32 s17, s2
	s_cbranch_execz .LBB515_291
.LBB515_358:
	v_sub_nc_u32_e32 v54, v39, v77
	v_mov_b32_e32 v55, 0
	s_delay_alu instid0(VALU_DEP_1) | instskip(NEXT) | instid1(VALU_DEP_1)
	v_lshlrev_b64 v[54:55], 3, v[54:55]
	v_add_co_u32 v54, vcc_lo, v51, v54
	s_delay_alu instid0(VALU_DEP_2)
	v_add_co_ci_u32_e32 v55, vcc_lo, v52, v55, vcc_lo
	global_store_b64 v[54:55], v[1:2], off
	s_or_b32 exec_lo, exec_lo, s17
	s_and_saveexec_b32 s17, s1
	s_cbranch_execnz .LBB515_292
	s_branch .LBB515_293
.LBB515_359:
	v_sub_nc_u32_e32 v53, v71, v77
	s_delay_alu instid0(VALU_DEP_1)
	v_lshlrev_b32_e32 v53, 3, v53
	ds_store_b64 v53, v[25:26]
	s_or_b32 exec_lo, exec_lo, s17
	s_and_saveexec_b32 s12, s11
	s_cbranch_execz .LBB515_297
.LBB515_360:
	v_sub_nc_u32_e32 v25, v48, v77
	s_delay_alu instid0(VALU_DEP_1)
	v_lshlrev_b32_e32 v25, 3, v25
	ds_store_b64 v25, v[27:28]
	s_or_b32 exec_lo, exec_lo, s12
	s_and_saveexec_b32 s11, s9
	s_cbranch_execz .LBB515_298
.LBB515_361:
	v_sub_nc_u32_e32 v25, v50, v77
	s_delay_alu instid0(VALU_DEP_1)
	v_lshlrev_b32_e32 v25, 3, v25
	ds_store_b64 v25, v[21:22]
	s_or_b32 exec_lo, exec_lo, s11
	s_and_saveexec_b32 s9, s8
	s_cbranch_execz .LBB515_299
.LBB515_362:
	v_sub_nc_u32_e32 v21, v49, v77
	s_delay_alu instid0(VALU_DEP_1)
	v_lshlrev_b32_e32 v21, 3, v21
	ds_store_b64 v21, v[23:24]
	s_or_b32 exec_lo, exec_lo, s9
	s_and_saveexec_b32 s8, s14
	s_cbranch_execz .LBB515_300
.LBB515_363:
	v_sub_nc_u32_e32 v21, v47, v77
	s_delay_alu instid0(VALU_DEP_1)
	v_lshlrev_b32_e32 v21, 3, v21
	ds_store_b64 v21, v[17:18]
	s_or_b32 exec_lo, exec_lo, s8
	s_and_saveexec_b32 s8, s13
	s_cbranch_execz .LBB515_301
.LBB515_364:
	v_sub_nc_u32_e32 v17, v46, v77
	s_delay_alu instid0(VALU_DEP_1)
	v_lshlrev_b32_e32 v17, 3, v17
	ds_store_b64 v17, v[19:20]
	s_or_b32 exec_lo, exec_lo, s8
	s_and_saveexec_b32 s8, s10
	s_cbranch_execz .LBB515_302
.LBB515_365:
	v_sub_nc_u32_e32 v17, v45, v77
	s_delay_alu instid0(VALU_DEP_1)
	v_lshlrev_b32_e32 v17, 3, v17
	ds_store_b64 v17, v[13:14]
	s_or_b32 exec_lo, exec_lo, s8
	s_and_saveexec_b32 s8, s7
	s_cbranch_execz .LBB515_303
.LBB515_366:
	v_sub_nc_u32_e32 v13, v44, v77
	s_delay_alu instid0(VALU_DEP_1)
	v_lshlrev_b32_e32 v13, 3, v13
	ds_store_b64 v13, v[15:16]
	s_or_b32 exec_lo, exec_lo, s8
	s_and_saveexec_b32 s7, s6
	s_cbranch_execz .LBB515_304
.LBB515_367:
	v_sub_nc_u32_e32 v13, v43, v77
	s_delay_alu instid0(VALU_DEP_1)
	v_lshlrev_b32_e32 v13, 3, v13
	ds_store_b64 v13, v[9:10]
	s_or_b32 exec_lo, exec_lo, s7
	s_and_saveexec_b32 s6, s5
	s_cbranch_execz .LBB515_305
.LBB515_368:
	v_sub_nc_u32_e32 v9, v42, v77
	s_delay_alu instid0(VALU_DEP_1)
	v_lshlrev_b32_e32 v9, 3, v9
	ds_store_b64 v9, v[11:12]
	s_or_b32 exec_lo, exec_lo, s6
	s_and_saveexec_b32 s5, s4
	s_cbranch_execz .LBB515_306
.LBB515_369:
	v_sub_nc_u32_e32 v9, v41, v77
	s_delay_alu instid0(VALU_DEP_1)
	v_lshlrev_b32_e32 v9, 3, v9
	ds_store_b64 v9, v[5:6]
	s_or_b32 exec_lo, exec_lo, s5
	s_and_saveexec_b32 s4, s3
	s_cbranch_execz .LBB515_307
.LBB515_370:
	v_sub_nc_u32_e32 v5, v40, v77
	s_delay_alu instid0(VALU_DEP_1)
	v_lshlrev_b32_e32 v5, 3, v5
	ds_store_b64 v5, v[7:8]
	s_or_b32 exec_lo, exec_lo, s4
	s_and_saveexec_b32 s3, s2
	s_cbranch_execz .LBB515_308
.LBB515_371:
	v_sub_nc_u32_e32 v5, v39, v77
	s_delay_alu instid0(VALU_DEP_1)
	v_lshlrev_b32_e32 v5, 3, v5
	ds_store_b64 v5, v[1:2]
	s_or_b32 exec_lo, exec_lo, s3
	s_and_saveexec_b32 s2, s1
	s_cbranch_execnz .LBB515_309
	s_branch .LBB515_310
.LBB515_372:
	v_sub_nc_u32_e32 v10, v71, v8
	v_mov_b32_e32 v11, 0
	s_delay_alu instid0(VALU_DEP_1) | instskip(NEXT) | instid1(VALU_DEP_1)
	v_lshlrev_b64 v[10:11], 3, v[10:11]
	v_add_co_u32 v10, vcc_lo, v6, v10
	s_delay_alu instid0(VALU_DEP_2)
	v_add_co_ci_u32_e32 v11, vcc_lo, v7, v11, vcc_lo
	global_store_b64 v[10:11], v[89:90], off
	s_or_b32 exec_lo, exec_lo, s17
	s_and_saveexec_b32 s17, s13
	s_cbranch_execz .LBB515_314
.LBB515_373:
	v_sub_nc_u32_e32 v10, v48, v8
	v_mov_b32_e32 v11, 0
	s_delay_alu instid0(VALU_DEP_1) | instskip(NEXT) | instid1(VALU_DEP_1)
	v_lshlrev_b64 v[10:11], 3, v[10:11]
	v_add_co_u32 v10, vcc_lo, v6, v10
	s_delay_alu instid0(VALU_DEP_2)
	v_add_co_ci_u32_e32 v11, vcc_lo, v7, v11, vcc_lo
	global_store_b64 v[10:11], v[87:88], off
	s_or_b32 exec_lo, exec_lo, s17
	s_and_saveexec_b32 s17, s12
	s_cbranch_execz .LBB515_315
.LBB515_374:
	v_sub_nc_u32_e32 v10, v50, v8
	v_mov_b32_e32 v11, 0
	s_delay_alu instid0(VALU_DEP_1) | instskip(NEXT) | instid1(VALU_DEP_1)
	v_lshlrev_b64 v[10:11], 3, v[10:11]
	v_add_co_u32 v10, vcc_lo, v6, v10
	s_delay_alu instid0(VALU_DEP_2)
	v_add_co_ci_u32_e32 v11, vcc_lo, v7, v11, vcc_lo
	global_store_b64 v[10:11], v[93:94], off
	s_or_b32 exec_lo, exec_lo, s17
	s_and_saveexec_b32 s17, s11
	s_cbranch_execz .LBB515_316
.LBB515_375:
	v_sub_nc_u32_e32 v10, v49, v8
	v_mov_b32_e32 v11, 0
	s_delay_alu instid0(VALU_DEP_1) | instskip(NEXT) | instid1(VALU_DEP_1)
	v_lshlrev_b64 v[10:11], 3, v[10:11]
	v_add_co_u32 v10, vcc_lo, v6, v10
	s_delay_alu instid0(VALU_DEP_2)
	v_add_co_ci_u32_e32 v11, vcc_lo, v7, v11, vcc_lo
	global_store_b64 v[10:11], v[97:98], off
	s_or_b32 exec_lo, exec_lo, s17
	s_and_saveexec_b32 s17, s10
	s_cbranch_execz .LBB515_317
.LBB515_376:
	v_sub_nc_u32_e32 v10, v47, v8
	v_mov_b32_e32 v11, 0
	s_delay_alu instid0(VALU_DEP_1) | instskip(NEXT) | instid1(VALU_DEP_1)
	v_lshlrev_b64 v[10:11], 3, v[10:11]
	v_add_co_u32 v10, vcc_lo, v6, v10
	s_delay_alu instid0(VALU_DEP_2)
	v_add_co_ci_u32_e32 v11, vcc_lo, v7, v11, vcc_lo
	global_store_b64 v[10:11], v[79:80], off
	s_or_b32 exec_lo, exec_lo, s17
	s_and_saveexec_b32 s17, s9
	s_cbranch_execz .LBB515_318
.LBB515_377:
	v_sub_nc_u32_e32 v10, v46, v8
	v_mov_b32_e32 v11, 0
	s_delay_alu instid0(VALU_DEP_1) | instskip(NEXT) | instid1(VALU_DEP_1)
	v_lshlrev_b64 v[10:11], 3, v[10:11]
	v_add_co_u32 v10, vcc_lo, v6, v10
	s_delay_alu instid0(VALU_DEP_2)
	v_add_co_ci_u32_e32 v11, vcc_lo, v7, v11, vcc_lo
	global_store_b64 v[10:11], v[83:84], off
	s_or_b32 exec_lo, exec_lo, s17
	s_and_saveexec_b32 s17, s8
	s_cbranch_execz .LBB515_319
.LBB515_378:
	v_sub_nc_u32_e32 v10, v45, v8
	v_mov_b32_e32 v11, 0
	s_delay_alu instid0(VALU_DEP_1) | instskip(NEXT) | instid1(VALU_DEP_1)
	v_lshlrev_b64 v[10:11], 3, v[10:11]
	v_add_co_u32 v10, vcc_lo, v6, v10
	s_delay_alu instid0(VALU_DEP_2)
	v_add_co_ci_u32_e32 v11, vcc_lo, v7, v11, vcc_lo
	global_store_b64 v[10:11], v[91:92], off
	s_or_b32 exec_lo, exec_lo, s17
	s_and_saveexec_b32 s17, s7
	s_cbranch_execz .LBB515_320
.LBB515_379:
	v_sub_nc_u32_e32 v10, v44, v8
	v_mov_b32_e32 v11, 0
	s_delay_alu instid0(VALU_DEP_1) | instskip(NEXT) | instid1(VALU_DEP_1)
	v_lshlrev_b64 v[10:11], 3, v[10:11]
	v_add_co_u32 v10, vcc_lo, v6, v10
	s_delay_alu instid0(VALU_DEP_2)
	v_add_co_ci_u32_e32 v11, vcc_lo, v7, v11, vcc_lo
	global_store_b64 v[10:11], v[95:96], off
	s_or_b32 exec_lo, exec_lo, s17
	s_and_saveexec_b32 s17, s6
	s_cbranch_execz .LBB515_321
.LBB515_380:
	v_sub_nc_u32_e32 v10, v43, v8
	v_mov_b32_e32 v11, 0
	s_delay_alu instid0(VALU_DEP_1) | instskip(NEXT) | instid1(VALU_DEP_1)
	v_lshlrev_b64 v[10:11], 3, v[10:11]
	v_add_co_u32 v10, vcc_lo, v6, v10
	s_delay_alu instid0(VALU_DEP_2)
	v_add_co_ci_u32_e32 v11, vcc_lo, v7, v11, vcc_lo
	global_store_b64 v[10:11], v[99:100], off
	s_or_b32 exec_lo, exec_lo, s17
	s_and_saveexec_b32 s17, s5
	s_cbranch_execz .LBB515_322
.LBB515_381:
	v_sub_nc_u32_e32 v10, v42, v8
	v_mov_b32_e32 v11, 0
	s_delay_alu instid0(VALU_DEP_1) | instskip(NEXT) | instid1(VALU_DEP_1)
	v_lshlrev_b64 v[10:11], 3, v[10:11]
	v_add_co_u32 v10, vcc_lo, v6, v10
	s_delay_alu instid0(VALU_DEP_2)
	v_add_co_ci_u32_e32 v11, vcc_lo, v7, v11, vcc_lo
	global_store_b64 v[10:11], v[81:82], off
	s_or_b32 exec_lo, exec_lo, s17
	s_and_saveexec_b32 s17, s4
	s_cbranch_execz .LBB515_323
.LBB515_382:
	v_sub_nc_u32_e32 v10, v41, v8
	v_mov_b32_e32 v11, 0
	s_delay_alu instid0(VALU_DEP_1) | instskip(NEXT) | instid1(VALU_DEP_1)
	v_lshlrev_b64 v[10:11], 3, v[10:11]
	v_add_co_u32 v10, vcc_lo, v6, v10
	s_delay_alu instid0(VALU_DEP_2)
	v_add_co_ci_u32_e32 v11, vcc_lo, v7, v11, vcc_lo
	global_store_b64 v[10:11], v[85:86], off
	s_or_b32 exec_lo, exec_lo, s17
	s_and_saveexec_b32 s17, s3
	s_cbranch_execz .LBB515_324
.LBB515_383:
	v_sub_nc_u32_e32 v10, v40, v8
	v_mov_b32_e32 v11, 0
	s_delay_alu instid0(VALU_DEP_1) | instskip(NEXT) | instid1(VALU_DEP_1)
	v_lshlrev_b64 v[10:11], 3, v[10:11]
	v_add_co_u32 v10, vcc_lo, v6, v10
	s_delay_alu instid0(VALU_DEP_2)
	v_add_co_ci_u32_e32 v11, vcc_lo, v7, v11, vcc_lo
	global_store_b64 v[10:11], v[101:102], off
	s_or_b32 exec_lo, exec_lo, s17
	s_and_saveexec_b32 s17, s2
	s_cbranch_execz .LBB515_325
.LBB515_384:
	v_sub_nc_u32_e32 v10, v39, v8
	v_mov_b32_e32 v11, 0
	s_delay_alu instid0(VALU_DEP_1) | instskip(NEXT) | instid1(VALU_DEP_1)
	v_lshlrev_b64 v[10:11], 3, v[10:11]
	v_add_co_u32 v10, vcc_lo, v6, v10
	s_delay_alu instid0(VALU_DEP_2)
	v_add_co_ci_u32_e32 v11, vcc_lo, v7, v11, vcc_lo
	global_store_b64 v[10:11], v[105:106], off
	s_or_b32 exec_lo, exec_lo, s17
	s_and_saveexec_b32 s17, s1
	s_cbranch_execnz .LBB515_326
	s_branch .LBB515_327
.LBB515_385:
	v_sub_nc_u32_e32 v9, v71, v8
	s_delay_alu instid0(VALU_DEP_1)
	v_lshlrev_b32_e32 v9, 3, v9
	ds_store_b64 v9, v[89:90]
	s_or_b32 exec_lo, exec_lo, s17
	s_and_saveexec_b32 s14, s13
	s_cbranch_execz .LBB515_331
.LBB515_386:
	v_sub_nc_u32_e32 v9, v48, v8
	s_delay_alu instid0(VALU_DEP_1)
	v_lshlrev_b32_e32 v9, 3, v9
	ds_store_b64 v9, v[87:88]
	s_or_b32 exec_lo, exec_lo, s14
	s_and_saveexec_b32 s13, s12
	s_cbranch_execz .LBB515_332
.LBB515_387:
	v_sub_nc_u32_e32 v9, v50, v8
	s_delay_alu instid0(VALU_DEP_1)
	v_lshlrev_b32_e32 v9, 3, v9
	ds_store_b64 v9, v[93:94]
	s_or_b32 exec_lo, exec_lo, s13
	s_and_saveexec_b32 s12, s11
	s_cbranch_execz .LBB515_333
.LBB515_388:
	v_sub_nc_u32_e32 v9, v49, v8
	s_delay_alu instid0(VALU_DEP_1)
	v_lshlrev_b32_e32 v9, 3, v9
	ds_store_b64 v9, v[97:98]
	s_or_b32 exec_lo, exec_lo, s12
	s_and_saveexec_b32 s11, s10
	s_cbranch_execz .LBB515_334
.LBB515_389:
	v_sub_nc_u32_e32 v9, v47, v8
	s_delay_alu instid0(VALU_DEP_1)
	v_lshlrev_b32_e32 v9, 3, v9
	ds_store_b64 v9, v[79:80]
	s_or_b32 exec_lo, exec_lo, s11
	s_and_saveexec_b32 s10, s9
	s_cbranch_execz .LBB515_335
.LBB515_390:
	v_sub_nc_u32_e32 v9, v46, v8
	s_delay_alu instid0(VALU_DEP_1)
	v_lshlrev_b32_e32 v9, 3, v9
	ds_store_b64 v9, v[83:84]
	s_or_b32 exec_lo, exec_lo, s10
	s_and_saveexec_b32 s9, s8
	s_cbranch_execz .LBB515_336
.LBB515_391:
	v_sub_nc_u32_e32 v9, v45, v8
	s_delay_alu instid0(VALU_DEP_1)
	v_lshlrev_b32_e32 v9, 3, v9
	ds_store_b64 v9, v[91:92]
	s_or_b32 exec_lo, exec_lo, s9
	s_and_saveexec_b32 s8, s7
	s_cbranch_execz .LBB515_337
.LBB515_392:
	v_sub_nc_u32_e32 v9, v44, v8
	s_delay_alu instid0(VALU_DEP_1)
	v_lshlrev_b32_e32 v9, 3, v9
	ds_store_b64 v9, v[95:96]
	s_or_b32 exec_lo, exec_lo, s8
	s_and_saveexec_b32 s7, s6
	s_cbranch_execz .LBB515_338
.LBB515_393:
	v_sub_nc_u32_e32 v9, v43, v8
	s_delay_alu instid0(VALU_DEP_1)
	v_lshlrev_b32_e32 v9, 3, v9
	ds_store_b64 v9, v[99:100]
	s_or_b32 exec_lo, exec_lo, s7
	s_and_saveexec_b32 s6, s5
	s_cbranch_execz .LBB515_339
.LBB515_394:
	v_sub_nc_u32_e32 v9, v42, v8
	s_delay_alu instid0(VALU_DEP_1)
	v_lshlrev_b32_e32 v9, 3, v9
	ds_store_b64 v9, v[81:82]
	s_or_b32 exec_lo, exec_lo, s6
	s_and_saveexec_b32 s5, s4
	s_cbranch_execz .LBB515_340
.LBB515_395:
	v_sub_nc_u32_e32 v9, v41, v8
	s_delay_alu instid0(VALU_DEP_1)
	v_lshlrev_b32_e32 v9, 3, v9
	ds_store_b64 v9, v[85:86]
	s_or_b32 exec_lo, exec_lo, s5
	s_and_saveexec_b32 s4, s3
	s_cbranch_execz .LBB515_341
.LBB515_396:
	v_sub_nc_u32_e32 v9, v40, v8
	s_delay_alu instid0(VALU_DEP_1)
	v_lshlrev_b32_e32 v9, 3, v9
	ds_store_b64 v9, v[101:102]
	s_or_b32 exec_lo, exec_lo, s4
	s_and_saveexec_b32 s3, s2
	s_cbranch_execz .LBB515_342
.LBB515_397:
	v_sub_nc_u32_e32 v9, v39, v8
	s_delay_alu instid0(VALU_DEP_1)
	v_lshlrev_b32_e32 v9, 3, v9
	ds_store_b64 v9, v[105:106]
	s_or_b32 exec_lo, exec_lo, s3
	s_and_saveexec_b32 s2, s1
	s_cbranch_execnz .LBB515_343
	s_branch .LBB515_344
	.section	.rodata,"a",@progbits
	.p2align	6, 0x0
	.amdhsa_kernel _ZN7rocprim17ROCPRIM_400000_NS6detail17trampoline_kernelINS0_14default_configENS1_29reduce_by_key_config_selectorIxxN6thrust23THRUST_200600_302600_NS4plusIxEEEEZZNS1_33reduce_by_key_impl_wrapped_configILNS1_25lookback_scan_determinismE0ES3_S9_NS6_6detail15normal_iteratorINS6_10device_ptrIxEEEESG_SG_SG_PmS8_22is_equal_div_10_reduceIxEEE10hipError_tPvRmT2_T3_mT4_T5_T6_T7_T8_P12ihipStream_tbENKUlT_T0_E_clISt17integral_constantIbLb0EES11_EEDaSW_SX_EUlSW_E_NS1_11comp_targetILNS1_3genE9ELNS1_11target_archE1100ELNS1_3gpuE3ELNS1_3repE0EEENS1_30default_config_static_selectorELNS0_4arch9wavefront6targetE0EEEvT1_
		.amdhsa_group_segment_fixed_size 30720
		.amdhsa_private_segment_fixed_size 0
		.amdhsa_kernarg_size 136
		.amdhsa_user_sgpr_count 15
		.amdhsa_user_sgpr_dispatch_ptr 0
		.amdhsa_user_sgpr_queue_ptr 0
		.amdhsa_user_sgpr_kernarg_segment_ptr 1
		.amdhsa_user_sgpr_dispatch_id 0
		.amdhsa_user_sgpr_private_segment_size 0
		.amdhsa_wavefront_size32 1
		.amdhsa_uses_dynamic_stack 0
		.amdhsa_enable_private_segment 0
		.amdhsa_system_sgpr_workgroup_id_x 1
		.amdhsa_system_sgpr_workgroup_id_y 0
		.amdhsa_system_sgpr_workgroup_id_z 0
		.amdhsa_system_sgpr_workgroup_info 0
		.amdhsa_system_vgpr_workitem_id 0
		.amdhsa_next_free_vgpr 120
		.amdhsa_next_free_sgpr 48
		.amdhsa_reserve_vcc 1
		.amdhsa_float_round_mode_32 0
		.amdhsa_float_round_mode_16_64 0
		.amdhsa_float_denorm_mode_32 3
		.amdhsa_float_denorm_mode_16_64 3
		.amdhsa_dx10_clamp 1
		.amdhsa_ieee_mode 1
		.amdhsa_fp16_overflow 0
		.amdhsa_workgroup_processor_mode 1
		.amdhsa_memory_ordered 1
		.amdhsa_forward_progress 0
		.amdhsa_shared_vgpr_count 0
		.amdhsa_exception_fp_ieee_invalid_op 0
		.amdhsa_exception_fp_denorm_src 0
		.amdhsa_exception_fp_ieee_div_zero 0
		.amdhsa_exception_fp_ieee_overflow 0
		.amdhsa_exception_fp_ieee_underflow 0
		.amdhsa_exception_fp_ieee_inexact 0
		.amdhsa_exception_int_div_zero 0
	.end_amdhsa_kernel
	.section	.text._ZN7rocprim17ROCPRIM_400000_NS6detail17trampoline_kernelINS0_14default_configENS1_29reduce_by_key_config_selectorIxxN6thrust23THRUST_200600_302600_NS4plusIxEEEEZZNS1_33reduce_by_key_impl_wrapped_configILNS1_25lookback_scan_determinismE0ES3_S9_NS6_6detail15normal_iteratorINS6_10device_ptrIxEEEESG_SG_SG_PmS8_22is_equal_div_10_reduceIxEEE10hipError_tPvRmT2_T3_mT4_T5_T6_T7_T8_P12ihipStream_tbENKUlT_T0_E_clISt17integral_constantIbLb0EES11_EEDaSW_SX_EUlSW_E_NS1_11comp_targetILNS1_3genE9ELNS1_11target_archE1100ELNS1_3gpuE3ELNS1_3repE0EEENS1_30default_config_static_selectorELNS0_4arch9wavefront6targetE0EEEvT1_,"axG",@progbits,_ZN7rocprim17ROCPRIM_400000_NS6detail17trampoline_kernelINS0_14default_configENS1_29reduce_by_key_config_selectorIxxN6thrust23THRUST_200600_302600_NS4plusIxEEEEZZNS1_33reduce_by_key_impl_wrapped_configILNS1_25lookback_scan_determinismE0ES3_S9_NS6_6detail15normal_iteratorINS6_10device_ptrIxEEEESG_SG_SG_PmS8_22is_equal_div_10_reduceIxEEE10hipError_tPvRmT2_T3_mT4_T5_T6_T7_T8_P12ihipStream_tbENKUlT_T0_E_clISt17integral_constantIbLb0EES11_EEDaSW_SX_EUlSW_E_NS1_11comp_targetILNS1_3genE9ELNS1_11target_archE1100ELNS1_3gpuE3ELNS1_3repE0EEENS1_30default_config_static_selectorELNS0_4arch9wavefront6targetE0EEEvT1_,comdat
.Lfunc_end515:
	.size	_ZN7rocprim17ROCPRIM_400000_NS6detail17trampoline_kernelINS0_14default_configENS1_29reduce_by_key_config_selectorIxxN6thrust23THRUST_200600_302600_NS4plusIxEEEEZZNS1_33reduce_by_key_impl_wrapped_configILNS1_25lookback_scan_determinismE0ES3_S9_NS6_6detail15normal_iteratorINS6_10device_ptrIxEEEESG_SG_SG_PmS8_22is_equal_div_10_reduceIxEEE10hipError_tPvRmT2_T3_mT4_T5_T6_T7_T8_P12ihipStream_tbENKUlT_T0_E_clISt17integral_constantIbLb0EES11_EEDaSW_SX_EUlSW_E_NS1_11comp_targetILNS1_3genE9ELNS1_11target_archE1100ELNS1_3gpuE3ELNS1_3repE0EEENS1_30default_config_static_selectorELNS0_4arch9wavefront6targetE0EEEvT1_, .Lfunc_end515-_ZN7rocprim17ROCPRIM_400000_NS6detail17trampoline_kernelINS0_14default_configENS1_29reduce_by_key_config_selectorIxxN6thrust23THRUST_200600_302600_NS4plusIxEEEEZZNS1_33reduce_by_key_impl_wrapped_configILNS1_25lookback_scan_determinismE0ES3_S9_NS6_6detail15normal_iteratorINS6_10device_ptrIxEEEESG_SG_SG_PmS8_22is_equal_div_10_reduceIxEEE10hipError_tPvRmT2_T3_mT4_T5_T6_T7_T8_P12ihipStream_tbENKUlT_T0_E_clISt17integral_constantIbLb0EES11_EEDaSW_SX_EUlSW_E_NS1_11comp_targetILNS1_3genE9ELNS1_11target_archE1100ELNS1_3gpuE3ELNS1_3repE0EEENS1_30default_config_static_selectorELNS0_4arch9wavefront6targetE0EEEvT1_
                                        ; -- End function
	.section	.AMDGPU.csdata,"",@progbits
; Kernel info:
; codeLenInByte = 21732
; NumSgprs: 50
; NumVgprs: 120
; ScratchSize: 0
; MemoryBound: 0
; FloatMode: 240
; IeeeMode: 1
; LDSByteSize: 30720 bytes/workgroup (compile time only)
; SGPRBlocks: 6
; VGPRBlocks: 14
; NumSGPRsForWavesPerEU: 50
; NumVGPRsForWavesPerEU: 120
; Occupancy: 8
; WaveLimiterHint : 1
; COMPUTE_PGM_RSRC2:SCRATCH_EN: 0
; COMPUTE_PGM_RSRC2:USER_SGPR: 15
; COMPUTE_PGM_RSRC2:TRAP_HANDLER: 0
; COMPUTE_PGM_RSRC2:TGID_X_EN: 1
; COMPUTE_PGM_RSRC2:TGID_Y_EN: 0
; COMPUTE_PGM_RSRC2:TGID_Z_EN: 0
; COMPUTE_PGM_RSRC2:TIDIG_COMP_CNT: 0
	.section	.text._ZN7rocprim17ROCPRIM_400000_NS6detail17trampoline_kernelINS0_14default_configENS1_29reduce_by_key_config_selectorIxxN6thrust23THRUST_200600_302600_NS4plusIxEEEEZZNS1_33reduce_by_key_impl_wrapped_configILNS1_25lookback_scan_determinismE0ES3_S9_NS6_6detail15normal_iteratorINS6_10device_ptrIxEEEESG_SG_SG_PmS8_22is_equal_div_10_reduceIxEEE10hipError_tPvRmT2_T3_mT4_T5_T6_T7_T8_P12ihipStream_tbENKUlT_T0_E_clISt17integral_constantIbLb0EES11_EEDaSW_SX_EUlSW_E_NS1_11comp_targetILNS1_3genE8ELNS1_11target_archE1030ELNS1_3gpuE2ELNS1_3repE0EEENS1_30default_config_static_selectorELNS0_4arch9wavefront6targetE0EEEvT1_,"axG",@progbits,_ZN7rocprim17ROCPRIM_400000_NS6detail17trampoline_kernelINS0_14default_configENS1_29reduce_by_key_config_selectorIxxN6thrust23THRUST_200600_302600_NS4plusIxEEEEZZNS1_33reduce_by_key_impl_wrapped_configILNS1_25lookback_scan_determinismE0ES3_S9_NS6_6detail15normal_iteratorINS6_10device_ptrIxEEEESG_SG_SG_PmS8_22is_equal_div_10_reduceIxEEE10hipError_tPvRmT2_T3_mT4_T5_T6_T7_T8_P12ihipStream_tbENKUlT_T0_E_clISt17integral_constantIbLb0EES11_EEDaSW_SX_EUlSW_E_NS1_11comp_targetILNS1_3genE8ELNS1_11target_archE1030ELNS1_3gpuE2ELNS1_3repE0EEENS1_30default_config_static_selectorELNS0_4arch9wavefront6targetE0EEEvT1_,comdat
	.protected	_ZN7rocprim17ROCPRIM_400000_NS6detail17trampoline_kernelINS0_14default_configENS1_29reduce_by_key_config_selectorIxxN6thrust23THRUST_200600_302600_NS4plusIxEEEEZZNS1_33reduce_by_key_impl_wrapped_configILNS1_25lookback_scan_determinismE0ES3_S9_NS6_6detail15normal_iteratorINS6_10device_ptrIxEEEESG_SG_SG_PmS8_22is_equal_div_10_reduceIxEEE10hipError_tPvRmT2_T3_mT4_T5_T6_T7_T8_P12ihipStream_tbENKUlT_T0_E_clISt17integral_constantIbLb0EES11_EEDaSW_SX_EUlSW_E_NS1_11comp_targetILNS1_3genE8ELNS1_11target_archE1030ELNS1_3gpuE2ELNS1_3repE0EEENS1_30default_config_static_selectorELNS0_4arch9wavefront6targetE0EEEvT1_ ; -- Begin function _ZN7rocprim17ROCPRIM_400000_NS6detail17trampoline_kernelINS0_14default_configENS1_29reduce_by_key_config_selectorIxxN6thrust23THRUST_200600_302600_NS4plusIxEEEEZZNS1_33reduce_by_key_impl_wrapped_configILNS1_25lookback_scan_determinismE0ES3_S9_NS6_6detail15normal_iteratorINS6_10device_ptrIxEEEESG_SG_SG_PmS8_22is_equal_div_10_reduceIxEEE10hipError_tPvRmT2_T3_mT4_T5_T6_T7_T8_P12ihipStream_tbENKUlT_T0_E_clISt17integral_constantIbLb0EES11_EEDaSW_SX_EUlSW_E_NS1_11comp_targetILNS1_3genE8ELNS1_11target_archE1030ELNS1_3gpuE2ELNS1_3repE0EEENS1_30default_config_static_selectorELNS0_4arch9wavefront6targetE0EEEvT1_
	.globl	_ZN7rocprim17ROCPRIM_400000_NS6detail17trampoline_kernelINS0_14default_configENS1_29reduce_by_key_config_selectorIxxN6thrust23THRUST_200600_302600_NS4plusIxEEEEZZNS1_33reduce_by_key_impl_wrapped_configILNS1_25lookback_scan_determinismE0ES3_S9_NS6_6detail15normal_iteratorINS6_10device_ptrIxEEEESG_SG_SG_PmS8_22is_equal_div_10_reduceIxEEE10hipError_tPvRmT2_T3_mT4_T5_T6_T7_T8_P12ihipStream_tbENKUlT_T0_E_clISt17integral_constantIbLb0EES11_EEDaSW_SX_EUlSW_E_NS1_11comp_targetILNS1_3genE8ELNS1_11target_archE1030ELNS1_3gpuE2ELNS1_3repE0EEENS1_30default_config_static_selectorELNS0_4arch9wavefront6targetE0EEEvT1_
	.p2align	8
	.type	_ZN7rocprim17ROCPRIM_400000_NS6detail17trampoline_kernelINS0_14default_configENS1_29reduce_by_key_config_selectorIxxN6thrust23THRUST_200600_302600_NS4plusIxEEEEZZNS1_33reduce_by_key_impl_wrapped_configILNS1_25lookback_scan_determinismE0ES3_S9_NS6_6detail15normal_iteratorINS6_10device_ptrIxEEEESG_SG_SG_PmS8_22is_equal_div_10_reduceIxEEE10hipError_tPvRmT2_T3_mT4_T5_T6_T7_T8_P12ihipStream_tbENKUlT_T0_E_clISt17integral_constantIbLb0EES11_EEDaSW_SX_EUlSW_E_NS1_11comp_targetILNS1_3genE8ELNS1_11target_archE1030ELNS1_3gpuE2ELNS1_3repE0EEENS1_30default_config_static_selectorELNS0_4arch9wavefront6targetE0EEEvT1_,@function
_ZN7rocprim17ROCPRIM_400000_NS6detail17trampoline_kernelINS0_14default_configENS1_29reduce_by_key_config_selectorIxxN6thrust23THRUST_200600_302600_NS4plusIxEEEEZZNS1_33reduce_by_key_impl_wrapped_configILNS1_25lookback_scan_determinismE0ES3_S9_NS6_6detail15normal_iteratorINS6_10device_ptrIxEEEESG_SG_SG_PmS8_22is_equal_div_10_reduceIxEEE10hipError_tPvRmT2_T3_mT4_T5_T6_T7_T8_P12ihipStream_tbENKUlT_T0_E_clISt17integral_constantIbLb0EES11_EEDaSW_SX_EUlSW_E_NS1_11comp_targetILNS1_3genE8ELNS1_11target_archE1030ELNS1_3gpuE2ELNS1_3repE0EEENS1_30default_config_static_selectorELNS0_4arch9wavefront6targetE0EEEvT1_: ; @_ZN7rocprim17ROCPRIM_400000_NS6detail17trampoline_kernelINS0_14default_configENS1_29reduce_by_key_config_selectorIxxN6thrust23THRUST_200600_302600_NS4plusIxEEEEZZNS1_33reduce_by_key_impl_wrapped_configILNS1_25lookback_scan_determinismE0ES3_S9_NS6_6detail15normal_iteratorINS6_10device_ptrIxEEEESG_SG_SG_PmS8_22is_equal_div_10_reduceIxEEE10hipError_tPvRmT2_T3_mT4_T5_T6_T7_T8_P12ihipStream_tbENKUlT_T0_E_clISt17integral_constantIbLb0EES11_EEDaSW_SX_EUlSW_E_NS1_11comp_targetILNS1_3genE8ELNS1_11target_archE1030ELNS1_3gpuE2ELNS1_3repE0EEENS1_30default_config_static_selectorELNS0_4arch9wavefront6targetE0EEEvT1_
; %bb.0:
	.section	.rodata,"a",@progbits
	.p2align	6, 0x0
	.amdhsa_kernel _ZN7rocprim17ROCPRIM_400000_NS6detail17trampoline_kernelINS0_14default_configENS1_29reduce_by_key_config_selectorIxxN6thrust23THRUST_200600_302600_NS4plusIxEEEEZZNS1_33reduce_by_key_impl_wrapped_configILNS1_25lookback_scan_determinismE0ES3_S9_NS6_6detail15normal_iteratorINS6_10device_ptrIxEEEESG_SG_SG_PmS8_22is_equal_div_10_reduceIxEEE10hipError_tPvRmT2_T3_mT4_T5_T6_T7_T8_P12ihipStream_tbENKUlT_T0_E_clISt17integral_constantIbLb0EES11_EEDaSW_SX_EUlSW_E_NS1_11comp_targetILNS1_3genE8ELNS1_11target_archE1030ELNS1_3gpuE2ELNS1_3repE0EEENS1_30default_config_static_selectorELNS0_4arch9wavefront6targetE0EEEvT1_
		.amdhsa_group_segment_fixed_size 0
		.amdhsa_private_segment_fixed_size 0
		.amdhsa_kernarg_size 136
		.amdhsa_user_sgpr_count 15
		.amdhsa_user_sgpr_dispatch_ptr 0
		.amdhsa_user_sgpr_queue_ptr 0
		.amdhsa_user_sgpr_kernarg_segment_ptr 1
		.amdhsa_user_sgpr_dispatch_id 0
		.amdhsa_user_sgpr_private_segment_size 0
		.amdhsa_wavefront_size32 1
		.amdhsa_uses_dynamic_stack 0
		.amdhsa_enable_private_segment 0
		.amdhsa_system_sgpr_workgroup_id_x 1
		.amdhsa_system_sgpr_workgroup_id_y 0
		.amdhsa_system_sgpr_workgroup_id_z 0
		.amdhsa_system_sgpr_workgroup_info 0
		.amdhsa_system_vgpr_workitem_id 0
		.amdhsa_next_free_vgpr 1
		.amdhsa_next_free_sgpr 1
		.amdhsa_reserve_vcc 0
		.amdhsa_float_round_mode_32 0
		.amdhsa_float_round_mode_16_64 0
		.amdhsa_float_denorm_mode_32 3
		.amdhsa_float_denorm_mode_16_64 3
		.amdhsa_dx10_clamp 1
		.amdhsa_ieee_mode 1
		.amdhsa_fp16_overflow 0
		.amdhsa_workgroup_processor_mode 1
		.amdhsa_memory_ordered 1
		.amdhsa_forward_progress 0
		.amdhsa_shared_vgpr_count 0
		.amdhsa_exception_fp_ieee_invalid_op 0
		.amdhsa_exception_fp_denorm_src 0
		.amdhsa_exception_fp_ieee_div_zero 0
		.amdhsa_exception_fp_ieee_overflow 0
		.amdhsa_exception_fp_ieee_underflow 0
		.amdhsa_exception_fp_ieee_inexact 0
		.amdhsa_exception_int_div_zero 0
	.end_amdhsa_kernel
	.section	.text._ZN7rocprim17ROCPRIM_400000_NS6detail17trampoline_kernelINS0_14default_configENS1_29reduce_by_key_config_selectorIxxN6thrust23THRUST_200600_302600_NS4plusIxEEEEZZNS1_33reduce_by_key_impl_wrapped_configILNS1_25lookback_scan_determinismE0ES3_S9_NS6_6detail15normal_iteratorINS6_10device_ptrIxEEEESG_SG_SG_PmS8_22is_equal_div_10_reduceIxEEE10hipError_tPvRmT2_T3_mT4_T5_T6_T7_T8_P12ihipStream_tbENKUlT_T0_E_clISt17integral_constantIbLb0EES11_EEDaSW_SX_EUlSW_E_NS1_11comp_targetILNS1_3genE8ELNS1_11target_archE1030ELNS1_3gpuE2ELNS1_3repE0EEENS1_30default_config_static_selectorELNS0_4arch9wavefront6targetE0EEEvT1_,"axG",@progbits,_ZN7rocprim17ROCPRIM_400000_NS6detail17trampoline_kernelINS0_14default_configENS1_29reduce_by_key_config_selectorIxxN6thrust23THRUST_200600_302600_NS4plusIxEEEEZZNS1_33reduce_by_key_impl_wrapped_configILNS1_25lookback_scan_determinismE0ES3_S9_NS6_6detail15normal_iteratorINS6_10device_ptrIxEEEESG_SG_SG_PmS8_22is_equal_div_10_reduceIxEEE10hipError_tPvRmT2_T3_mT4_T5_T6_T7_T8_P12ihipStream_tbENKUlT_T0_E_clISt17integral_constantIbLb0EES11_EEDaSW_SX_EUlSW_E_NS1_11comp_targetILNS1_3genE8ELNS1_11target_archE1030ELNS1_3gpuE2ELNS1_3repE0EEENS1_30default_config_static_selectorELNS0_4arch9wavefront6targetE0EEEvT1_,comdat
.Lfunc_end516:
	.size	_ZN7rocprim17ROCPRIM_400000_NS6detail17trampoline_kernelINS0_14default_configENS1_29reduce_by_key_config_selectorIxxN6thrust23THRUST_200600_302600_NS4plusIxEEEEZZNS1_33reduce_by_key_impl_wrapped_configILNS1_25lookback_scan_determinismE0ES3_S9_NS6_6detail15normal_iteratorINS6_10device_ptrIxEEEESG_SG_SG_PmS8_22is_equal_div_10_reduceIxEEE10hipError_tPvRmT2_T3_mT4_T5_T6_T7_T8_P12ihipStream_tbENKUlT_T0_E_clISt17integral_constantIbLb0EES11_EEDaSW_SX_EUlSW_E_NS1_11comp_targetILNS1_3genE8ELNS1_11target_archE1030ELNS1_3gpuE2ELNS1_3repE0EEENS1_30default_config_static_selectorELNS0_4arch9wavefront6targetE0EEEvT1_, .Lfunc_end516-_ZN7rocprim17ROCPRIM_400000_NS6detail17trampoline_kernelINS0_14default_configENS1_29reduce_by_key_config_selectorIxxN6thrust23THRUST_200600_302600_NS4plusIxEEEEZZNS1_33reduce_by_key_impl_wrapped_configILNS1_25lookback_scan_determinismE0ES3_S9_NS6_6detail15normal_iteratorINS6_10device_ptrIxEEEESG_SG_SG_PmS8_22is_equal_div_10_reduceIxEEE10hipError_tPvRmT2_T3_mT4_T5_T6_T7_T8_P12ihipStream_tbENKUlT_T0_E_clISt17integral_constantIbLb0EES11_EEDaSW_SX_EUlSW_E_NS1_11comp_targetILNS1_3genE8ELNS1_11target_archE1030ELNS1_3gpuE2ELNS1_3repE0EEENS1_30default_config_static_selectorELNS0_4arch9wavefront6targetE0EEEvT1_
                                        ; -- End function
	.section	.AMDGPU.csdata,"",@progbits
; Kernel info:
; codeLenInByte = 0
; NumSgprs: 0
; NumVgprs: 0
; ScratchSize: 0
; MemoryBound: 0
; FloatMode: 240
; IeeeMode: 1
; LDSByteSize: 0 bytes/workgroup (compile time only)
; SGPRBlocks: 0
; VGPRBlocks: 0
; NumSGPRsForWavesPerEU: 1
; NumVGPRsForWavesPerEU: 1
; Occupancy: 16
; WaveLimiterHint : 0
; COMPUTE_PGM_RSRC2:SCRATCH_EN: 0
; COMPUTE_PGM_RSRC2:USER_SGPR: 15
; COMPUTE_PGM_RSRC2:TRAP_HANDLER: 0
; COMPUTE_PGM_RSRC2:TGID_X_EN: 1
; COMPUTE_PGM_RSRC2:TGID_Y_EN: 0
; COMPUTE_PGM_RSRC2:TGID_Z_EN: 0
; COMPUTE_PGM_RSRC2:TIDIG_COMP_CNT: 0
	.section	.text._ZN7rocprim17ROCPRIM_400000_NS6detail17trampoline_kernelINS0_14default_configENS1_29reduce_by_key_config_selectorIxxN6thrust23THRUST_200600_302600_NS4plusIxEEEEZZNS1_33reduce_by_key_impl_wrapped_configILNS1_25lookback_scan_determinismE0ES3_S9_NS6_6detail15normal_iteratorINS6_10device_ptrIxEEEESG_SG_SG_PmS8_22is_equal_div_10_reduceIxEEE10hipError_tPvRmT2_T3_mT4_T5_T6_T7_T8_P12ihipStream_tbENKUlT_T0_E_clISt17integral_constantIbLb1EES11_EEDaSW_SX_EUlSW_E_NS1_11comp_targetILNS1_3genE0ELNS1_11target_archE4294967295ELNS1_3gpuE0ELNS1_3repE0EEENS1_30default_config_static_selectorELNS0_4arch9wavefront6targetE0EEEvT1_,"axG",@progbits,_ZN7rocprim17ROCPRIM_400000_NS6detail17trampoline_kernelINS0_14default_configENS1_29reduce_by_key_config_selectorIxxN6thrust23THRUST_200600_302600_NS4plusIxEEEEZZNS1_33reduce_by_key_impl_wrapped_configILNS1_25lookback_scan_determinismE0ES3_S9_NS6_6detail15normal_iteratorINS6_10device_ptrIxEEEESG_SG_SG_PmS8_22is_equal_div_10_reduceIxEEE10hipError_tPvRmT2_T3_mT4_T5_T6_T7_T8_P12ihipStream_tbENKUlT_T0_E_clISt17integral_constantIbLb1EES11_EEDaSW_SX_EUlSW_E_NS1_11comp_targetILNS1_3genE0ELNS1_11target_archE4294967295ELNS1_3gpuE0ELNS1_3repE0EEENS1_30default_config_static_selectorELNS0_4arch9wavefront6targetE0EEEvT1_,comdat
	.protected	_ZN7rocprim17ROCPRIM_400000_NS6detail17trampoline_kernelINS0_14default_configENS1_29reduce_by_key_config_selectorIxxN6thrust23THRUST_200600_302600_NS4plusIxEEEEZZNS1_33reduce_by_key_impl_wrapped_configILNS1_25lookback_scan_determinismE0ES3_S9_NS6_6detail15normal_iteratorINS6_10device_ptrIxEEEESG_SG_SG_PmS8_22is_equal_div_10_reduceIxEEE10hipError_tPvRmT2_T3_mT4_T5_T6_T7_T8_P12ihipStream_tbENKUlT_T0_E_clISt17integral_constantIbLb1EES11_EEDaSW_SX_EUlSW_E_NS1_11comp_targetILNS1_3genE0ELNS1_11target_archE4294967295ELNS1_3gpuE0ELNS1_3repE0EEENS1_30default_config_static_selectorELNS0_4arch9wavefront6targetE0EEEvT1_ ; -- Begin function _ZN7rocprim17ROCPRIM_400000_NS6detail17trampoline_kernelINS0_14default_configENS1_29reduce_by_key_config_selectorIxxN6thrust23THRUST_200600_302600_NS4plusIxEEEEZZNS1_33reduce_by_key_impl_wrapped_configILNS1_25lookback_scan_determinismE0ES3_S9_NS6_6detail15normal_iteratorINS6_10device_ptrIxEEEESG_SG_SG_PmS8_22is_equal_div_10_reduceIxEEE10hipError_tPvRmT2_T3_mT4_T5_T6_T7_T8_P12ihipStream_tbENKUlT_T0_E_clISt17integral_constantIbLb1EES11_EEDaSW_SX_EUlSW_E_NS1_11comp_targetILNS1_3genE0ELNS1_11target_archE4294967295ELNS1_3gpuE0ELNS1_3repE0EEENS1_30default_config_static_selectorELNS0_4arch9wavefront6targetE0EEEvT1_
	.globl	_ZN7rocprim17ROCPRIM_400000_NS6detail17trampoline_kernelINS0_14default_configENS1_29reduce_by_key_config_selectorIxxN6thrust23THRUST_200600_302600_NS4plusIxEEEEZZNS1_33reduce_by_key_impl_wrapped_configILNS1_25lookback_scan_determinismE0ES3_S9_NS6_6detail15normal_iteratorINS6_10device_ptrIxEEEESG_SG_SG_PmS8_22is_equal_div_10_reduceIxEEE10hipError_tPvRmT2_T3_mT4_T5_T6_T7_T8_P12ihipStream_tbENKUlT_T0_E_clISt17integral_constantIbLb1EES11_EEDaSW_SX_EUlSW_E_NS1_11comp_targetILNS1_3genE0ELNS1_11target_archE4294967295ELNS1_3gpuE0ELNS1_3repE0EEENS1_30default_config_static_selectorELNS0_4arch9wavefront6targetE0EEEvT1_
	.p2align	8
	.type	_ZN7rocprim17ROCPRIM_400000_NS6detail17trampoline_kernelINS0_14default_configENS1_29reduce_by_key_config_selectorIxxN6thrust23THRUST_200600_302600_NS4plusIxEEEEZZNS1_33reduce_by_key_impl_wrapped_configILNS1_25lookback_scan_determinismE0ES3_S9_NS6_6detail15normal_iteratorINS6_10device_ptrIxEEEESG_SG_SG_PmS8_22is_equal_div_10_reduceIxEEE10hipError_tPvRmT2_T3_mT4_T5_T6_T7_T8_P12ihipStream_tbENKUlT_T0_E_clISt17integral_constantIbLb1EES11_EEDaSW_SX_EUlSW_E_NS1_11comp_targetILNS1_3genE0ELNS1_11target_archE4294967295ELNS1_3gpuE0ELNS1_3repE0EEENS1_30default_config_static_selectorELNS0_4arch9wavefront6targetE0EEEvT1_,@function
_ZN7rocprim17ROCPRIM_400000_NS6detail17trampoline_kernelINS0_14default_configENS1_29reduce_by_key_config_selectorIxxN6thrust23THRUST_200600_302600_NS4plusIxEEEEZZNS1_33reduce_by_key_impl_wrapped_configILNS1_25lookback_scan_determinismE0ES3_S9_NS6_6detail15normal_iteratorINS6_10device_ptrIxEEEESG_SG_SG_PmS8_22is_equal_div_10_reduceIxEEE10hipError_tPvRmT2_T3_mT4_T5_T6_T7_T8_P12ihipStream_tbENKUlT_T0_E_clISt17integral_constantIbLb1EES11_EEDaSW_SX_EUlSW_E_NS1_11comp_targetILNS1_3genE0ELNS1_11target_archE4294967295ELNS1_3gpuE0ELNS1_3repE0EEENS1_30default_config_static_selectorELNS0_4arch9wavefront6targetE0EEEvT1_: ; @_ZN7rocprim17ROCPRIM_400000_NS6detail17trampoline_kernelINS0_14default_configENS1_29reduce_by_key_config_selectorIxxN6thrust23THRUST_200600_302600_NS4plusIxEEEEZZNS1_33reduce_by_key_impl_wrapped_configILNS1_25lookback_scan_determinismE0ES3_S9_NS6_6detail15normal_iteratorINS6_10device_ptrIxEEEESG_SG_SG_PmS8_22is_equal_div_10_reduceIxEEE10hipError_tPvRmT2_T3_mT4_T5_T6_T7_T8_P12ihipStream_tbENKUlT_T0_E_clISt17integral_constantIbLb1EES11_EEDaSW_SX_EUlSW_E_NS1_11comp_targetILNS1_3genE0ELNS1_11target_archE4294967295ELNS1_3gpuE0ELNS1_3repE0EEENS1_30default_config_static_selectorELNS0_4arch9wavefront6targetE0EEEvT1_
; %bb.0:
	.section	.rodata,"a",@progbits
	.p2align	6, 0x0
	.amdhsa_kernel _ZN7rocprim17ROCPRIM_400000_NS6detail17trampoline_kernelINS0_14default_configENS1_29reduce_by_key_config_selectorIxxN6thrust23THRUST_200600_302600_NS4plusIxEEEEZZNS1_33reduce_by_key_impl_wrapped_configILNS1_25lookback_scan_determinismE0ES3_S9_NS6_6detail15normal_iteratorINS6_10device_ptrIxEEEESG_SG_SG_PmS8_22is_equal_div_10_reduceIxEEE10hipError_tPvRmT2_T3_mT4_T5_T6_T7_T8_P12ihipStream_tbENKUlT_T0_E_clISt17integral_constantIbLb1EES11_EEDaSW_SX_EUlSW_E_NS1_11comp_targetILNS1_3genE0ELNS1_11target_archE4294967295ELNS1_3gpuE0ELNS1_3repE0EEENS1_30default_config_static_selectorELNS0_4arch9wavefront6targetE0EEEvT1_
		.amdhsa_group_segment_fixed_size 0
		.amdhsa_private_segment_fixed_size 0
		.amdhsa_kernarg_size 136
		.amdhsa_user_sgpr_count 15
		.amdhsa_user_sgpr_dispatch_ptr 0
		.amdhsa_user_sgpr_queue_ptr 0
		.amdhsa_user_sgpr_kernarg_segment_ptr 1
		.amdhsa_user_sgpr_dispatch_id 0
		.amdhsa_user_sgpr_private_segment_size 0
		.amdhsa_wavefront_size32 1
		.amdhsa_uses_dynamic_stack 0
		.amdhsa_enable_private_segment 0
		.amdhsa_system_sgpr_workgroup_id_x 1
		.amdhsa_system_sgpr_workgroup_id_y 0
		.amdhsa_system_sgpr_workgroup_id_z 0
		.amdhsa_system_sgpr_workgroup_info 0
		.amdhsa_system_vgpr_workitem_id 0
		.amdhsa_next_free_vgpr 1
		.amdhsa_next_free_sgpr 1
		.amdhsa_reserve_vcc 0
		.amdhsa_float_round_mode_32 0
		.amdhsa_float_round_mode_16_64 0
		.amdhsa_float_denorm_mode_32 3
		.amdhsa_float_denorm_mode_16_64 3
		.amdhsa_dx10_clamp 1
		.amdhsa_ieee_mode 1
		.amdhsa_fp16_overflow 0
		.amdhsa_workgroup_processor_mode 1
		.amdhsa_memory_ordered 1
		.amdhsa_forward_progress 0
		.amdhsa_shared_vgpr_count 0
		.amdhsa_exception_fp_ieee_invalid_op 0
		.amdhsa_exception_fp_denorm_src 0
		.amdhsa_exception_fp_ieee_div_zero 0
		.amdhsa_exception_fp_ieee_overflow 0
		.amdhsa_exception_fp_ieee_underflow 0
		.amdhsa_exception_fp_ieee_inexact 0
		.amdhsa_exception_int_div_zero 0
	.end_amdhsa_kernel
	.section	.text._ZN7rocprim17ROCPRIM_400000_NS6detail17trampoline_kernelINS0_14default_configENS1_29reduce_by_key_config_selectorIxxN6thrust23THRUST_200600_302600_NS4plusIxEEEEZZNS1_33reduce_by_key_impl_wrapped_configILNS1_25lookback_scan_determinismE0ES3_S9_NS6_6detail15normal_iteratorINS6_10device_ptrIxEEEESG_SG_SG_PmS8_22is_equal_div_10_reduceIxEEE10hipError_tPvRmT2_T3_mT4_T5_T6_T7_T8_P12ihipStream_tbENKUlT_T0_E_clISt17integral_constantIbLb1EES11_EEDaSW_SX_EUlSW_E_NS1_11comp_targetILNS1_3genE0ELNS1_11target_archE4294967295ELNS1_3gpuE0ELNS1_3repE0EEENS1_30default_config_static_selectorELNS0_4arch9wavefront6targetE0EEEvT1_,"axG",@progbits,_ZN7rocprim17ROCPRIM_400000_NS6detail17trampoline_kernelINS0_14default_configENS1_29reduce_by_key_config_selectorIxxN6thrust23THRUST_200600_302600_NS4plusIxEEEEZZNS1_33reduce_by_key_impl_wrapped_configILNS1_25lookback_scan_determinismE0ES3_S9_NS6_6detail15normal_iteratorINS6_10device_ptrIxEEEESG_SG_SG_PmS8_22is_equal_div_10_reduceIxEEE10hipError_tPvRmT2_T3_mT4_T5_T6_T7_T8_P12ihipStream_tbENKUlT_T0_E_clISt17integral_constantIbLb1EES11_EEDaSW_SX_EUlSW_E_NS1_11comp_targetILNS1_3genE0ELNS1_11target_archE4294967295ELNS1_3gpuE0ELNS1_3repE0EEENS1_30default_config_static_selectorELNS0_4arch9wavefront6targetE0EEEvT1_,comdat
.Lfunc_end517:
	.size	_ZN7rocprim17ROCPRIM_400000_NS6detail17trampoline_kernelINS0_14default_configENS1_29reduce_by_key_config_selectorIxxN6thrust23THRUST_200600_302600_NS4plusIxEEEEZZNS1_33reduce_by_key_impl_wrapped_configILNS1_25lookback_scan_determinismE0ES3_S9_NS6_6detail15normal_iteratorINS6_10device_ptrIxEEEESG_SG_SG_PmS8_22is_equal_div_10_reduceIxEEE10hipError_tPvRmT2_T3_mT4_T5_T6_T7_T8_P12ihipStream_tbENKUlT_T0_E_clISt17integral_constantIbLb1EES11_EEDaSW_SX_EUlSW_E_NS1_11comp_targetILNS1_3genE0ELNS1_11target_archE4294967295ELNS1_3gpuE0ELNS1_3repE0EEENS1_30default_config_static_selectorELNS0_4arch9wavefront6targetE0EEEvT1_, .Lfunc_end517-_ZN7rocprim17ROCPRIM_400000_NS6detail17trampoline_kernelINS0_14default_configENS1_29reduce_by_key_config_selectorIxxN6thrust23THRUST_200600_302600_NS4plusIxEEEEZZNS1_33reduce_by_key_impl_wrapped_configILNS1_25lookback_scan_determinismE0ES3_S9_NS6_6detail15normal_iteratorINS6_10device_ptrIxEEEESG_SG_SG_PmS8_22is_equal_div_10_reduceIxEEE10hipError_tPvRmT2_T3_mT4_T5_T6_T7_T8_P12ihipStream_tbENKUlT_T0_E_clISt17integral_constantIbLb1EES11_EEDaSW_SX_EUlSW_E_NS1_11comp_targetILNS1_3genE0ELNS1_11target_archE4294967295ELNS1_3gpuE0ELNS1_3repE0EEENS1_30default_config_static_selectorELNS0_4arch9wavefront6targetE0EEEvT1_
                                        ; -- End function
	.section	.AMDGPU.csdata,"",@progbits
; Kernel info:
; codeLenInByte = 0
; NumSgprs: 0
; NumVgprs: 0
; ScratchSize: 0
; MemoryBound: 0
; FloatMode: 240
; IeeeMode: 1
; LDSByteSize: 0 bytes/workgroup (compile time only)
; SGPRBlocks: 0
; VGPRBlocks: 0
; NumSGPRsForWavesPerEU: 1
; NumVGPRsForWavesPerEU: 1
; Occupancy: 16
; WaveLimiterHint : 0
; COMPUTE_PGM_RSRC2:SCRATCH_EN: 0
; COMPUTE_PGM_RSRC2:USER_SGPR: 15
; COMPUTE_PGM_RSRC2:TRAP_HANDLER: 0
; COMPUTE_PGM_RSRC2:TGID_X_EN: 1
; COMPUTE_PGM_RSRC2:TGID_Y_EN: 0
; COMPUTE_PGM_RSRC2:TGID_Z_EN: 0
; COMPUTE_PGM_RSRC2:TIDIG_COMP_CNT: 0
	.section	.text._ZN7rocprim17ROCPRIM_400000_NS6detail17trampoline_kernelINS0_14default_configENS1_29reduce_by_key_config_selectorIxxN6thrust23THRUST_200600_302600_NS4plusIxEEEEZZNS1_33reduce_by_key_impl_wrapped_configILNS1_25lookback_scan_determinismE0ES3_S9_NS6_6detail15normal_iteratorINS6_10device_ptrIxEEEESG_SG_SG_PmS8_22is_equal_div_10_reduceIxEEE10hipError_tPvRmT2_T3_mT4_T5_T6_T7_T8_P12ihipStream_tbENKUlT_T0_E_clISt17integral_constantIbLb1EES11_EEDaSW_SX_EUlSW_E_NS1_11comp_targetILNS1_3genE5ELNS1_11target_archE942ELNS1_3gpuE9ELNS1_3repE0EEENS1_30default_config_static_selectorELNS0_4arch9wavefront6targetE0EEEvT1_,"axG",@progbits,_ZN7rocprim17ROCPRIM_400000_NS6detail17trampoline_kernelINS0_14default_configENS1_29reduce_by_key_config_selectorIxxN6thrust23THRUST_200600_302600_NS4plusIxEEEEZZNS1_33reduce_by_key_impl_wrapped_configILNS1_25lookback_scan_determinismE0ES3_S9_NS6_6detail15normal_iteratorINS6_10device_ptrIxEEEESG_SG_SG_PmS8_22is_equal_div_10_reduceIxEEE10hipError_tPvRmT2_T3_mT4_T5_T6_T7_T8_P12ihipStream_tbENKUlT_T0_E_clISt17integral_constantIbLb1EES11_EEDaSW_SX_EUlSW_E_NS1_11comp_targetILNS1_3genE5ELNS1_11target_archE942ELNS1_3gpuE9ELNS1_3repE0EEENS1_30default_config_static_selectorELNS0_4arch9wavefront6targetE0EEEvT1_,comdat
	.protected	_ZN7rocprim17ROCPRIM_400000_NS6detail17trampoline_kernelINS0_14default_configENS1_29reduce_by_key_config_selectorIxxN6thrust23THRUST_200600_302600_NS4plusIxEEEEZZNS1_33reduce_by_key_impl_wrapped_configILNS1_25lookback_scan_determinismE0ES3_S9_NS6_6detail15normal_iteratorINS6_10device_ptrIxEEEESG_SG_SG_PmS8_22is_equal_div_10_reduceIxEEE10hipError_tPvRmT2_T3_mT4_T5_T6_T7_T8_P12ihipStream_tbENKUlT_T0_E_clISt17integral_constantIbLb1EES11_EEDaSW_SX_EUlSW_E_NS1_11comp_targetILNS1_3genE5ELNS1_11target_archE942ELNS1_3gpuE9ELNS1_3repE0EEENS1_30default_config_static_selectorELNS0_4arch9wavefront6targetE0EEEvT1_ ; -- Begin function _ZN7rocprim17ROCPRIM_400000_NS6detail17trampoline_kernelINS0_14default_configENS1_29reduce_by_key_config_selectorIxxN6thrust23THRUST_200600_302600_NS4plusIxEEEEZZNS1_33reduce_by_key_impl_wrapped_configILNS1_25lookback_scan_determinismE0ES3_S9_NS6_6detail15normal_iteratorINS6_10device_ptrIxEEEESG_SG_SG_PmS8_22is_equal_div_10_reduceIxEEE10hipError_tPvRmT2_T3_mT4_T5_T6_T7_T8_P12ihipStream_tbENKUlT_T0_E_clISt17integral_constantIbLb1EES11_EEDaSW_SX_EUlSW_E_NS1_11comp_targetILNS1_3genE5ELNS1_11target_archE942ELNS1_3gpuE9ELNS1_3repE0EEENS1_30default_config_static_selectorELNS0_4arch9wavefront6targetE0EEEvT1_
	.globl	_ZN7rocprim17ROCPRIM_400000_NS6detail17trampoline_kernelINS0_14default_configENS1_29reduce_by_key_config_selectorIxxN6thrust23THRUST_200600_302600_NS4plusIxEEEEZZNS1_33reduce_by_key_impl_wrapped_configILNS1_25lookback_scan_determinismE0ES3_S9_NS6_6detail15normal_iteratorINS6_10device_ptrIxEEEESG_SG_SG_PmS8_22is_equal_div_10_reduceIxEEE10hipError_tPvRmT2_T3_mT4_T5_T6_T7_T8_P12ihipStream_tbENKUlT_T0_E_clISt17integral_constantIbLb1EES11_EEDaSW_SX_EUlSW_E_NS1_11comp_targetILNS1_3genE5ELNS1_11target_archE942ELNS1_3gpuE9ELNS1_3repE0EEENS1_30default_config_static_selectorELNS0_4arch9wavefront6targetE0EEEvT1_
	.p2align	8
	.type	_ZN7rocprim17ROCPRIM_400000_NS6detail17trampoline_kernelINS0_14default_configENS1_29reduce_by_key_config_selectorIxxN6thrust23THRUST_200600_302600_NS4plusIxEEEEZZNS1_33reduce_by_key_impl_wrapped_configILNS1_25lookback_scan_determinismE0ES3_S9_NS6_6detail15normal_iteratorINS6_10device_ptrIxEEEESG_SG_SG_PmS8_22is_equal_div_10_reduceIxEEE10hipError_tPvRmT2_T3_mT4_T5_T6_T7_T8_P12ihipStream_tbENKUlT_T0_E_clISt17integral_constantIbLb1EES11_EEDaSW_SX_EUlSW_E_NS1_11comp_targetILNS1_3genE5ELNS1_11target_archE942ELNS1_3gpuE9ELNS1_3repE0EEENS1_30default_config_static_selectorELNS0_4arch9wavefront6targetE0EEEvT1_,@function
_ZN7rocprim17ROCPRIM_400000_NS6detail17trampoline_kernelINS0_14default_configENS1_29reduce_by_key_config_selectorIxxN6thrust23THRUST_200600_302600_NS4plusIxEEEEZZNS1_33reduce_by_key_impl_wrapped_configILNS1_25lookback_scan_determinismE0ES3_S9_NS6_6detail15normal_iteratorINS6_10device_ptrIxEEEESG_SG_SG_PmS8_22is_equal_div_10_reduceIxEEE10hipError_tPvRmT2_T3_mT4_T5_T6_T7_T8_P12ihipStream_tbENKUlT_T0_E_clISt17integral_constantIbLb1EES11_EEDaSW_SX_EUlSW_E_NS1_11comp_targetILNS1_3genE5ELNS1_11target_archE942ELNS1_3gpuE9ELNS1_3repE0EEENS1_30default_config_static_selectorELNS0_4arch9wavefront6targetE0EEEvT1_: ; @_ZN7rocprim17ROCPRIM_400000_NS6detail17trampoline_kernelINS0_14default_configENS1_29reduce_by_key_config_selectorIxxN6thrust23THRUST_200600_302600_NS4plusIxEEEEZZNS1_33reduce_by_key_impl_wrapped_configILNS1_25lookback_scan_determinismE0ES3_S9_NS6_6detail15normal_iteratorINS6_10device_ptrIxEEEESG_SG_SG_PmS8_22is_equal_div_10_reduceIxEEE10hipError_tPvRmT2_T3_mT4_T5_T6_T7_T8_P12ihipStream_tbENKUlT_T0_E_clISt17integral_constantIbLb1EES11_EEDaSW_SX_EUlSW_E_NS1_11comp_targetILNS1_3genE5ELNS1_11target_archE942ELNS1_3gpuE9ELNS1_3repE0EEENS1_30default_config_static_selectorELNS0_4arch9wavefront6targetE0EEEvT1_
; %bb.0:
	.section	.rodata,"a",@progbits
	.p2align	6, 0x0
	.amdhsa_kernel _ZN7rocprim17ROCPRIM_400000_NS6detail17trampoline_kernelINS0_14default_configENS1_29reduce_by_key_config_selectorIxxN6thrust23THRUST_200600_302600_NS4plusIxEEEEZZNS1_33reduce_by_key_impl_wrapped_configILNS1_25lookback_scan_determinismE0ES3_S9_NS6_6detail15normal_iteratorINS6_10device_ptrIxEEEESG_SG_SG_PmS8_22is_equal_div_10_reduceIxEEE10hipError_tPvRmT2_T3_mT4_T5_T6_T7_T8_P12ihipStream_tbENKUlT_T0_E_clISt17integral_constantIbLb1EES11_EEDaSW_SX_EUlSW_E_NS1_11comp_targetILNS1_3genE5ELNS1_11target_archE942ELNS1_3gpuE9ELNS1_3repE0EEENS1_30default_config_static_selectorELNS0_4arch9wavefront6targetE0EEEvT1_
		.amdhsa_group_segment_fixed_size 0
		.amdhsa_private_segment_fixed_size 0
		.amdhsa_kernarg_size 136
		.amdhsa_user_sgpr_count 15
		.amdhsa_user_sgpr_dispatch_ptr 0
		.amdhsa_user_sgpr_queue_ptr 0
		.amdhsa_user_sgpr_kernarg_segment_ptr 1
		.amdhsa_user_sgpr_dispatch_id 0
		.amdhsa_user_sgpr_private_segment_size 0
		.amdhsa_wavefront_size32 1
		.amdhsa_uses_dynamic_stack 0
		.amdhsa_enable_private_segment 0
		.amdhsa_system_sgpr_workgroup_id_x 1
		.amdhsa_system_sgpr_workgroup_id_y 0
		.amdhsa_system_sgpr_workgroup_id_z 0
		.amdhsa_system_sgpr_workgroup_info 0
		.amdhsa_system_vgpr_workitem_id 0
		.amdhsa_next_free_vgpr 1
		.amdhsa_next_free_sgpr 1
		.amdhsa_reserve_vcc 0
		.amdhsa_float_round_mode_32 0
		.amdhsa_float_round_mode_16_64 0
		.amdhsa_float_denorm_mode_32 3
		.amdhsa_float_denorm_mode_16_64 3
		.amdhsa_dx10_clamp 1
		.amdhsa_ieee_mode 1
		.amdhsa_fp16_overflow 0
		.amdhsa_workgroup_processor_mode 1
		.amdhsa_memory_ordered 1
		.amdhsa_forward_progress 0
		.amdhsa_shared_vgpr_count 0
		.amdhsa_exception_fp_ieee_invalid_op 0
		.amdhsa_exception_fp_denorm_src 0
		.amdhsa_exception_fp_ieee_div_zero 0
		.amdhsa_exception_fp_ieee_overflow 0
		.amdhsa_exception_fp_ieee_underflow 0
		.amdhsa_exception_fp_ieee_inexact 0
		.amdhsa_exception_int_div_zero 0
	.end_amdhsa_kernel
	.section	.text._ZN7rocprim17ROCPRIM_400000_NS6detail17trampoline_kernelINS0_14default_configENS1_29reduce_by_key_config_selectorIxxN6thrust23THRUST_200600_302600_NS4plusIxEEEEZZNS1_33reduce_by_key_impl_wrapped_configILNS1_25lookback_scan_determinismE0ES3_S9_NS6_6detail15normal_iteratorINS6_10device_ptrIxEEEESG_SG_SG_PmS8_22is_equal_div_10_reduceIxEEE10hipError_tPvRmT2_T3_mT4_T5_T6_T7_T8_P12ihipStream_tbENKUlT_T0_E_clISt17integral_constantIbLb1EES11_EEDaSW_SX_EUlSW_E_NS1_11comp_targetILNS1_3genE5ELNS1_11target_archE942ELNS1_3gpuE9ELNS1_3repE0EEENS1_30default_config_static_selectorELNS0_4arch9wavefront6targetE0EEEvT1_,"axG",@progbits,_ZN7rocprim17ROCPRIM_400000_NS6detail17trampoline_kernelINS0_14default_configENS1_29reduce_by_key_config_selectorIxxN6thrust23THRUST_200600_302600_NS4plusIxEEEEZZNS1_33reduce_by_key_impl_wrapped_configILNS1_25lookback_scan_determinismE0ES3_S9_NS6_6detail15normal_iteratorINS6_10device_ptrIxEEEESG_SG_SG_PmS8_22is_equal_div_10_reduceIxEEE10hipError_tPvRmT2_T3_mT4_T5_T6_T7_T8_P12ihipStream_tbENKUlT_T0_E_clISt17integral_constantIbLb1EES11_EEDaSW_SX_EUlSW_E_NS1_11comp_targetILNS1_3genE5ELNS1_11target_archE942ELNS1_3gpuE9ELNS1_3repE0EEENS1_30default_config_static_selectorELNS0_4arch9wavefront6targetE0EEEvT1_,comdat
.Lfunc_end518:
	.size	_ZN7rocprim17ROCPRIM_400000_NS6detail17trampoline_kernelINS0_14default_configENS1_29reduce_by_key_config_selectorIxxN6thrust23THRUST_200600_302600_NS4plusIxEEEEZZNS1_33reduce_by_key_impl_wrapped_configILNS1_25lookback_scan_determinismE0ES3_S9_NS6_6detail15normal_iteratorINS6_10device_ptrIxEEEESG_SG_SG_PmS8_22is_equal_div_10_reduceIxEEE10hipError_tPvRmT2_T3_mT4_T5_T6_T7_T8_P12ihipStream_tbENKUlT_T0_E_clISt17integral_constantIbLb1EES11_EEDaSW_SX_EUlSW_E_NS1_11comp_targetILNS1_3genE5ELNS1_11target_archE942ELNS1_3gpuE9ELNS1_3repE0EEENS1_30default_config_static_selectorELNS0_4arch9wavefront6targetE0EEEvT1_, .Lfunc_end518-_ZN7rocprim17ROCPRIM_400000_NS6detail17trampoline_kernelINS0_14default_configENS1_29reduce_by_key_config_selectorIxxN6thrust23THRUST_200600_302600_NS4plusIxEEEEZZNS1_33reduce_by_key_impl_wrapped_configILNS1_25lookback_scan_determinismE0ES3_S9_NS6_6detail15normal_iteratorINS6_10device_ptrIxEEEESG_SG_SG_PmS8_22is_equal_div_10_reduceIxEEE10hipError_tPvRmT2_T3_mT4_T5_T6_T7_T8_P12ihipStream_tbENKUlT_T0_E_clISt17integral_constantIbLb1EES11_EEDaSW_SX_EUlSW_E_NS1_11comp_targetILNS1_3genE5ELNS1_11target_archE942ELNS1_3gpuE9ELNS1_3repE0EEENS1_30default_config_static_selectorELNS0_4arch9wavefront6targetE0EEEvT1_
                                        ; -- End function
	.section	.AMDGPU.csdata,"",@progbits
; Kernel info:
; codeLenInByte = 0
; NumSgprs: 0
; NumVgprs: 0
; ScratchSize: 0
; MemoryBound: 0
; FloatMode: 240
; IeeeMode: 1
; LDSByteSize: 0 bytes/workgroup (compile time only)
; SGPRBlocks: 0
; VGPRBlocks: 0
; NumSGPRsForWavesPerEU: 1
; NumVGPRsForWavesPerEU: 1
; Occupancy: 16
; WaveLimiterHint : 0
; COMPUTE_PGM_RSRC2:SCRATCH_EN: 0
; COMPUTE_PGM_RSRC2:USER_SGPR: 15
; COMPUTE_PGM_RSRC2:TRAP_HANDLER: 0
; COMPUTE_PGM_RSRC2:TGID_X_EN: 1
; COMPUTE_PGM_RSRC2:TGID_Y_EN: 0
; COMPUTE_PGM_RSRC2:TGID_Z_EN: 0
; COMPUTE_PGM_RSRC2:TIDIG_COMP_CNT: 0
	.section	.text._ZN7rocprim17ROCPRIM_400000_NS6detail17trampoline_kernelINS0_14default_configENS1_29reduce_by_key_config_selectorIxxN6thrust23THRUST_200600_302600_NS4plusIxEEEEZZNS1_33reduce_by_key_impl_wrapped_configILNS1_25lookback_scan_determinismE0ES3_S9_NS6_6detail15normal_iteratorINS6_10device_ptrIxEEEESG_SG_SG_PmS8_22is_equal_div_10_reduceIxEEE10hipError_tPvRmT2_T3_mT4_T5_T6_T7_T8_P12ihipStream_tbENKUlT_T0_E_clISt17integral_constantIbLb1EES11_EEDaSW_SX_EUlSW_E_NS1_11comp_targetILNS1_3genE4ELNS1_11target_archE910ELNS1_3gpuE8ELNS1_3repE0EEENS1_30default_config_static_selectorELNS0_4arch9wavefront6targetE0EEEvT1_,"axG",@progbits,_ZN7rocprim17ROCPRIM_400000_NS6detail17trampoline_kernelINS0_14default_configENS1_29reduce_by_key_config_selectorIxxN6thrust23THRUST_200600_302600_NS4plusIxEEEEZZNS1_33reduce_by_key_impl_wrapped_configILNS1_25lookback_scan_determinismE0ES3_S9_NS6_6detail15normal_iteratorINS6_10device_ptrIxEEEESG_SG_SG_PmS8_22is_equal_div_10_reduceIxEEE10hipError_tPvRmT2_T3_mT4_T5_T6_T7_T8_P12ihipStream_tbENKUlT_T0_E_clISt17integral_constantIbLb1EES11_EEDaSW_SX_EUlSW_E_NS1_11comp_targetILNS1_3genE4ELNS1_11target_archE910ELNS1_3gpuE8ELNS1_3repE0EEENS1_30default_config_static_selectorELNS0_4arch9wavefront6targetE0EEEvT1_,comdat
	.protected	_ZN7rocprim17ROCPRIM_400000_NS6detail17trampoline_kernelINS0_14default_configENS1_29reduce_by_key_config_selectorIxxN6thrust23THRUST_200600_302600_NS4plusIxEEEEZZNS1_33reduce_by_key_impl_wrapped_configILNS1_25lookback_scan_determinismE0ES3_S9_NS6_6detail15normal_iteratorINS6_10device_ptrIxEEEESG_SG_SG_PmS8_22is_equal_div_10_reduceIxEEE10hipError_tPvRmT2_T3_mT4_T5_T6_T7_T8_P12ihipStream_tbENKUlT_T0_E_clISt17integral_constantIbLb1EES11_EEDaSW_SX_EUlSW_E_NS1_11comp_targetILNS1_3genE4ELNS1_11target_archE910ELNS1_3gpuE8ELNS1_3repE0EEENS1_30default_config_static_selectorELNS0_4arch9wavefront6targetE0EEEvT1_ ; -- Begin function _ZN7rocprim17ROCPRIM_400000_NS6detail17trampoline_kernelINS0_14default_configENS1_29reduce_by_key_config_selectorIxxN6thrust23THRUST_200600_302600_NS4plusIxEEEEZZNS1_33reduce_by_key_impl_wrapped_configILNS1_25lookback_scan_determinismE0ES3_S9_NS6_6detail15normal_iteratorINS6_10device_ptrIxEEEESG_SG_SG_PmS8_22is_equal_div_10_reduceIxEEE10hipError_tPvRmT2_T3_mT4_T5_T6_T7_T8_P12ihipStream_tbENKUlT_T0_E_clISt17integral_constantIbLb1EES11_EEDaSW_SX_EUlSW_E_NS1_11comp_targetILNS1_3genE4ELNS1_11target_archE910ELNS1_3gpuE8ELNS1_3repE0EEENS1_30default_config_static_selectorELNS0_4arch9wavefront6targetE0EEEvT1_
	.globl	_ZN7rocprim17ROCPRIM_400000_NS6detail17trampoline_kernelINS0_14default_configENS1_29reduce_by_key_config_selectorIxxN6thrust23THRUST_200600_302600_NS4plusIxEEEEZZNS1_33reduce_by_key_impl_wrapped_configILNS1_25lookback_scan_determinismE0ES3_S9_NS6_6detail15normal_iteratorINS6_10device_ptrIxEEEESG_SG_SG_PmS8_22is_equal_div_10_reduceIxEEE10hipError_tPvRmT2_T3_mT4_T5_T6_T7_T8_P12ihipStream_tbENKUlT_T0_E_clISt17integral_constantIbLb1EES11_EEDaSW_SX_EUlSW_E_NS1_11comp_targetILNS1_3genE4ELNS1_11target_archE910ELNS1_3gpuE8ELNS1_3repE0EEENS1_30default_config_static_selectorELNS0_4arch9wavefront6targetE0EEEvT1_
	.p2align	8
	.type	_ZN7rocprim17ROCPRIM_400000_NS6detail17trampoline_kernelINS0_14default_configENS1_29reduce_by_key_config_selectorIxxN6thrust23THRUST_200600_302600_NS4plusIxEEEEZZNS1_33reduce_by_key_impl_wrapped_configILNS1_25lookback_scan_determinismE0ES3_S9_NS6_6detail15normal_iteratorINS6_10device_ptrIxEEEESG_SG_SG_PmS8_22is_equal_div_10_reduceIxEEE10hipError_tPvRmT2_T3_mT4_T5_T6_T7_T8_P12ihipStream_tbENKUlT_T0_E_clISt17integral_constantIbLb1EES11_EEDaSW_SX_EUlSW_E_NS1_11comp_targetILNS1_3genE4ELNS1_11target_archE910ELNS1_3gpuE8ELNS1_3repE0EEENS1_30default_config_static_selectorELNS0_4arch9wavefront6targetE0EEEvT1_,@function
_ZN7rocprim17ROCPRIM_400000_NS6detail17trampoline_kernelINS0_14default_configENS1_29reduce_by_key_config_selectorIxxN6thrust23THRUST_200600_302600_NS4plusIxEEEEZZNS1_33reduce_by_key_impl_wrapped_configILNS1_25lookback_scan_determinismE0ES3_S9_NS6_6detail15normal_iteratorINS6_10device_ptrIxEEEESG_SG_SG_PmS8_22is_equal_div_10_reduceIxEEE10hipError_tPvRmT2_T3_mT4_T5_T6_T7_T8_P12ihipStream_tbENKUlT_T0_E_clISt17integral_constantIbLb1EES11_EEDaSW_SX_EUlSW_E_NS1_11comp_targetILNS1_3genE4ELNS1_11target_archE910ELNS1_3gpuE8ELNS1_3repE0EEENS1_30default_config_static_selectorELNS0_4arch9wavefront6targetE0EEEvT1_: ; @_ZN7rocprim17ROCPRIM_400000_NS6detail17trampoline_kernelINS0_14default_configENS1_29reduce_by_key_config_selectorIxxN6thrust23THRUST_200600_302600_NS4plusIxEEEEZZNS1_33reduce_by_key_impl_wrapped_configILNS1_25lookback_scan_determinismE0ES3_S9_NS6_6detail15normal_iteratorINS6_10device_ptrIxEEEESG_SG_SG_PmS8_22is_equal_div_10_reduceIxEEE10hipError_tPvRmT2_T3_mT4_T5_T6_T7_T8_P12ihipStream_tbENKUlT_T0_E_clISt17integral_constantIbLb1EES11_EEDaSW_SX_EUlSW_E_NS1_11comp_targetILNS1_3genE4ELNS1_11target_archE910ELNS1_3gpuE8ELNS1_3repE0EEENS1_30default_config_static_selectorELNS0_4arch9wavefront6targetE0EEEvT1_
; %bb.0:
	.section	.rodata,"a",@progbits
	.p2align	6, 0x0
	.amdhsa_kernel _ZN7rocprim17ROCPRIM_400000_NS6detail17trampoline_kernelINS0_14default_configENS1_29reduce_by_key_config_selectorIxxN6thrust23THRUST_200600_302600_NS4plusIxEEEEZZNS1_33reduce_by_key_impl_wrapped_configILNS1_25lookback_scan_determinismE0ES3_S9_NS6_6detail15normal_iteratorINS6_10device_ptrIxEEEESG_SG_SG_PmS8_22is_equal_div_10_reduceIxEEE10hipError_tPvRmT2_T3_mT4_T5_T6_T7_T8_P12ihipStream_tbENKUlT_T0_E_clISt17integral_constantIbLb1EES11_EEDaSW_SX_EUlSW_E_NS1_11comp_targetILNS1_3genE4ELNS1_11target_archE910ELNS1_3gpuE8ELNS1_3repE0EEENS1_30default_config_static_selectorELNS0_4arch9wavefront6targetE0EEEvT1_
		.amdhsa_group_segment_fixed_size 0
		.amdhsa_private_segment_fixed_size 0
		.amdhsa_kernarg_size 136
		.amdhsa_user_sgpr_count 15
		.amdhsa_user_sgpr_dispatch_ptr 0
		.amdhsa_user_sgpr_queue_ptr 0
		.amdhsa_user_sgpr_kernarg_segment_ptr 1
		.amdhsa_user_sgpr_dispatch_id 0
		.amdhsa_user_sgpr_private_segment_size 0
		.amdhsa_wavefront_size32 1
		.amdhsa_uses_dynamic_stack 0
		.amdhsa_enable_private_segment 0
		.amdhsa_system_sgpr_workgroup_id_x 1
		.amdhsa_system_sgpr_workgroup_id_y 0
		.amdhsa_system_sgpr_workgroup_id_z 0
		.amdhsa_system_sgpr_workgroup_info 0
		.amdhsa_system_vgpr_workitem_id 0
		.amdhsa_next_free_vgpr 1
		.amdhsa_next_free_sgpr 1
		.amdhsa_reserve_vcc 0
		.amdhsa_float_round_mode_32 0
		.amdhsa_float_round_mode_16_64 0
		.amdhsa_float_denorm_mode_32 3
		.amdhsa_float_denorm_mode_16_64 3
		.amdhsa_dx10_clamp 1
		.amdhsa_ieee_mode 1
		.amdhsa_fp16_overflow 0
		.amdhsa_workgroup_processor_mode 1
		.amdhsa_memory_ordered 1
		.amdhsa_forward_progress 0
		.amdhsa_shared_vgpr_count 0
		.amdhsa_exception_fp_ieee_invalid_op 0
		.amdhsa_exception_fp_denorm_src 0
		.amdhsa_exception_fp_ieee_div_zero 0
		.amdhsa_exception_fp_ieee_overflow 0
		.amdhsa_exception_fp_ieee_underflow 0
		.amdhsa_exception_fp_ieee_inexact 0
		.amdhsa_exception_int_div_zero 0
	.end_amdhsa_kernel
	.section	.text._ZN7rocprim17ROCPRIM_400000_NS6detail17trampoline_kernelINS0_14default_configENS1_29reduce_by_key_config_selectorIxxN6thrust23THRUST_200600_302600_NS4plusIxEEEEZZNS1_33reduce_by_key_impl_wrapped_configILNS1_25lookback_scan_determinismE0ES3_S9_NS6_6detail15normal_iteratorINS6_10device_ptrIxEEEESG_SG_SG_PmS8_22is_equal_div_10_reduceIxEEE10hipError_tPvRmT2_T3_mT4_T5_T6_T7_T8_P12ihipStream_tbENKUlT_T0_E_clISt17integral_constantIbLb1EES11_EEDaSW_SX_EUlSW_E_NS1_11comp_targetILNS1_3genE4ELNS1_11target_archE910ELNS1_3gpuE8ELNS1_3repE0EEENS1_30default_config_static_selectorELNS0_4arch9wavefront6targetE0EEEvT1_,"axG",@progbits,_ZN7rocprim17ROCPRIM_400000_NS6detail17trampoline_kernelINS0_14default_configENS1_29reduce_by_key_config_selectorIxxN6thrust23THRUST_200600_302600_NS4plusIxEEEEZZNS1_33reduce_by_key_impl_wrapped_configILNS1_25lookback_scan_determinismE0ES3_S9_NS6_6detail15normal_iteratorINS6_10device_ptrIxEEEESG_SG_SG_PmS8_22is_equal_div_10_reduceIxEEE10hipError_tPvRmT2_T3_mT4_T5_T6_T7_T8_P12ihipStream_tbENKUlT_T0_E_clISt17integral_constantIbLb1EES11_EEDaSW_SX_EUlSW_E_NS1_11comp_targetILNS1_3genE4ELNS1_11target_archE910ELNS1_3gpuE8ELNS1_3repE0EEENS1_30default_config_static_selectorELNS0_4arch9wavefront6targetE0EEEvT1_,comdat
.Lfunc_end519:
	.size	_ZN7rocprim17ROCPRIM_400000_NS6detail17trampoline_kernelINS0_14default_configENS1_29reduce_by_key_config_selectorIxxN6thrust23THRUST_200600_302600_NS4plusIxEEEEZZNS1_33reduce_by_key_impl_wrapped_configILNS1_25lookback_scan_determinismE0ES3_S9_NS6_6detail15normal_iteratorINS6_10device_ptrIxEEEESG_SG_SG_PmS8_22is_equal_div_10_reduceIxEEE10hipError_tPvRmT2_T3_mT4_T5_T6_T7_T8_P12ihipStream_tbENKUlT_T0_E_clISt17integral_constantIbLb1EES11_EEDaSW_SX_EUlSW_E_NS1_11comp_targetILNS1_3genE4ELNS1_11target_archE910ELNS1_3gpuE8ELNS1_3repE0EEENS1_30default_config_static_selectorELNS0_4arch9wavefront6targetE0EEEvT1_, .Lfunc_end519-_ZN7rocprim17ROCPRIM_400000_NS6detail17trampoline_kernelINS0_14default_configENS1_29reduce_by_key_config_selectorIxxN6thrust23THRUST_200600_302600_NS4plusIxEEEEZZNS1_33reduce_by_key_impl_wrapped_configILNS1_25lookback_scan_determinismE0ES3_S9_NS6_6detail15normal_iteratorINS6_10device_ptrIxEEEESG_SG_SG_PmS8_22is_equal_div_10_reduceIxEEE10hipError_tPvRmT2_T3_mT4_T5_T6_T7_T8_P12ihipStream_tbENKUlT_T0_E_clISt17integral_constantIbLb1EES11_EEDaSW_SX_EUlSW_E_NS1_11comp_targetILNS1_3genE4ELNS1_11target_archE910ELNS1_3gpuE8ELNS1_3repE0EEENS1_30default_config_static_selectorELNS0_4arch9wavefront6targetE0EEEvT1_
                                        ; -- End function
	.section	.AMDGPU.csdata,"",@progbits
; Kernel info:
; codeLenInByte = 0
; NumSgprs: 0
; NumVgprs: 0
; ScratchSize: 0
; MemoryBound: 0
; FloatMode: 240
; IeeeMode: 1
; LDSByteSize: 0 bytes/workgroup (compile time only)
; SGPRBlocks: 0
; VGPRBlocks: 0
; NumSGPRsForWavesPerEU: 1
; NumVGPRsForWavesPerEU: 1
; Occupancy: 16
; WaveLimiterHint : 0
; COMPUTE_PGM_RSRC2:SCRATCH_EN: 0
; COMPUTE_PGM_RSRC2:USER_SGPR: 15
; COMPUTE_PGM_RSRC2:TRAP_HANDLER: 0
; COMPUTE_PGM_RSRC2:TGID_X_EN: 1
; COMPUTE_PGM_RSRC2:TGID_Y_EN: 0
; COMPUTE_PGM_RSRC2:TGID_Z_EN: 0
; COMPUTE_PGM_RSRC2:TIDIG_COMP_CNT: 0
	.section	.text._ZN7rocprim17ROCPRIM_400000_NS6detail17trampoline_kernelINS0_14default_configENS1_29reduce_by_key_config_selectorIxxN6thrust23THRUST_200600_302600_NS4plusIxEEEEZZNS1_33reduce_by_key_impl_wrapped_configILNS1_25lookback_scan_determinismE0ES3_S9_NS6_6detail15normal_iteratorINS6_10device_ptrIxEEEESG_SG_SG_PmS8_22is_equal_div_10_reduceIxEEE10hipError_tPvRmT2_T3_mT4_T5_T6_T7_T8_P12ihipStream_tbENKUlT_T0_E_clISt17integral_constantIbLb1EES11_EEDaSW_SX_EUlSW_E_NS1_11comp_targetILNS1_3genE3ELNS1_11target_archE908ELNS1_3gpuE7ELNS1_3repE0EEENS1_30default_config_static_selectorELNS0_4arch9wavefront6targetE0EEEvT1_,"axG",@progbits,_ZN7rocprim17ROCPRIM_400000_NS6detail17trampoline_kernelINS0_14default_configENS1_29reduce_by_key_config_selectorIxxN6thrust23THRUST_200600_302600_NS4plusIxEEEEZZNS1_33reduce_by_key_impl_wrapped_configILNS1_25lookback_scan_determinismE0ES3_S9_NS6_6detail15normal_iteratorINS6_10device_ptrIxEEEESG_SG_SG_PmS8_22is_equal_div_10_reduceIxEEE10hipError_tPvRmT2_T3_mT4_T5_T6_T7_T8_P12ihipStream_tbENKUlT_T0_E_clISt17integral_constantIbLb1EES11_EEDaSW_SX_EUlSW_E_NS1_11comp_targetILNS1_3genE3ELNS1_11target_archE908ELNS1_3gpuE7ELNS1_3repE0EEENS1_30default_config_static_selectorELNS0_4arch9wavefront6targetE0EEEvT1_,comdat
	.protected	_ZN7rocprim17ROCPRIM_400000_NS6detail17trampoline_kernelINS0_14default_configENS1_29reduce_by_key_config_selectorIxxN6thrust23THRUST_200600_302600_NS4plusIxEEEEZZNS1_33reduce_by_key_impl_wrapped_configILNS1_25lookback_scan_determinismE0ES3_S9_NS6_6detail15normal_iteratorINS6_10device_ptrIxEEEESG_SG_SG_PmS8_22is_equal_div_10_reduceIxEEE10hipError_tPvRmT2_T3_mT4_T5_T6_T7_T8_P12ihipStream_tbENKUlT_T0_E_clISt17integral_constantIbLb1EES11_EEDaSW_SX_EUlSW_E_NS1_11comp_targetILNS1_3genE3ELNS1_11target_archE908ELNS1_3gpuE7ELNS1_3repE0EEENS1_30default_config_static_selectorELNS0_4arch9wavefront6targetE0EEEvT1_ ; -- Begin function _ZN7rocprim17ROCPRIM_400000_NS6detail17trampoline_kernelINS0_14default_configENS1_29reduce_by_key_config_selectorIxxN6thrust23THRUST_200600_302600_NS4plusIxEEEEZZNS1_33reduce_by_key_impl_wrapped_configILNS1_25lookback_scan_determinismE0ES3_S9_NS6_6detail15normal_iteratorINS6_10device_ptrIxEEEESG_SG_SG_PmS8_22is_equal_div_10_reduceIxEEE10hipError_tPvRmT2_T3_mT4_T5_T6_T7_T8_P12ihipStream_tbENKUlT_T0_E_clISt17integral_constantIbLb1EES11_EEDaSW_SX_EUlSW_E_NS1_11comp_targetILNS1_3genE3ELNS1_11target_archE908ELNS1_3gpuE7ELNS1_3repE0EEENS1_30default_config_static_selectorELNS0_4arch9wavefront6targetE0EEEvT1_
	.globl	_ZN7rocprim17ROCPRIM_400000_NS6detail17trampoline_kernelINS0_14default_configENS1_29reduce_by_key_config_selectorIxxN6thrust23THRUST_200600_302600_NS4plusIxEEEEZZNS1_33reduce_by_key_impl_wrapped_configILNS1_25lookback_scan_determinismE0ES3_S9_NS6_6detail15normal_iteratorINS6_10device_ptrIxEEEESG_SG_SG_PmS8_22is_equal_div_10_reduceIxEEE10hipError_tPvRmT2_T3_mT4_T5_T6_T7_T8_P12ihipStream_tbENKUlT_T0_E_clISt17integral_constantIbLb1EES11_EEDaSW_SX_EUlSW_E_NS1_11comp_targetILNS1_3genE3ELNS1_11target_archE908ELNS1_3gpuE7ELNS1_3repE0EEENS1_30default_config_static_selectorELNS0_4arch9wavefront6targetE0EEEvT1_
	.p2align	8
	.type	_ZN7rocprim17ROCPRIM_400000_NS6detail17trampoline_kernelINS0_14default_configENS1_29reduce_by_key_config_selectorIxxN6thrust23THRUST_200600_302600_NS4plusIxEEEEZZNS1_33reduce_by_key_impl_wrapped_configILNS1_25lookback_scan_determinismE0ES3_S9_NS6_6detail15normal_iteratorINS6_10device_ptrIxEEEESG_SG_SG_PmS8_22is_equal_div_10_reduceIxEEE10hipError_tPvRmT2_T3_mT4_T5_T6_T7_T8_P12ihipStream_tbENKUlT_T0_E_clISt17integral_constantIbLb1EES11_EEDaSW_SX_EUlSW_E_NS1_11comp_targetILNS1_3genE3ELNS1_11target_archE908ELNS1_3gpuE7ELNS1_3repE0EEENS1_30default_config_static_selectorELNS0_4arch9wavefront6targetE0EEEvT1_,@function
_ZN7rocprim17ROCPRIM_400000_NS6detail17trampoline_kernelINS0_14default_configENS1_29reduce_by_key_config_selectorIxxN6thrust23THRUST_200600_302600_NS4plusIxEEEEZZNS1_33reduce_by_key_impl_wrapped_configILNS1_25lookback_scan_determinismE0ES3_S9_NS6_6detail15normal_iteratorINS6_10device_ptrIxEEEESG_SG_SG_PmS8_22is_equal_div_10_reduceIxEEE10hipError_tPvRmT2_T3_mT4_T5_T6_T7_T8_P12ihipStream_tbENKUlT_T0_E_clISt17integral_constantIbLb1EES11_EEDaSW_SX_EUlSW_E_NS1_11comp_targetILNS1_3genE3ELNS1_11target_archE908ELNS1_3gpuE7ELNS1_3repE0EEENS1_30default_config_static_selectorELNS0_4arch9wavefront6targetE0EEEvT1_: ; @_ZN7rocprim17ROCPRIM_400000_NS6detail17trampoline_kernelINS0_14default_configENS1_29reduce_by_key_config_selectorIxxN6thrust23THRUST_200600_302600_NS4plusIxEEEEZZNS1_33reduce_by_key_impl_wrapped_configILNS1_25lookback_scan_determinismE0ES3_S9_NS6_6detail15normal_iteratorINS6_10device_ptrIxEEEESG_SG_SG_PmS8_22is_equal_div_10_reduceIxEEE10hipError_tPvRmT2_T3_mT4_T5_T6_T7_T8_P12ihipStream_tbENKUlT_T0_E_clISt17integral_constantIbLb1EES11_EEDaSW_SX_EUlSW_E_NS1_11comp_targetILNS1_3genE3ELNS1_11target_archE908ELNS1_3gpuE7ELNS1_3repE0EEENS1_30default_config_static_selectorELNS0_4arch9wavefront6targetE0EEEvT1_
; %bb.0:
	.section	.rodata,"a",@progbits
	.p2align	6, 0x0
	.amdhsa_kernel _ZN7rocprim17ROCPRIM_400000_NS6detail17trampoline_kernelINS0_14default_configENS1_29reduce_by_key_config_selectorIxxN6thrust23THRUST_200600_302600_NS4plusIxEEEEZZNS1_33reduce_by_key_impl_wrapped_configILNS1_25lookback_scan_determinismE0ES3_S9_NS6_6detail15normal_iteratorINS6_10device_ptrIxEEEESG_SG_SG_PmS8_22is_equal_div_10_reduceIxEEE10hipError_tPvRmT2_T3_mT4_T5_T6_T7_T8_P12ihipStream_tbENKUlT_T0_E_clISt17integral_constantIbLb1EES11_EEDaSW_SX_EUlSW_E_NS1_11comp_targetILNS1_3genE3ELNS1_11target_archE908ELNS1_3gpuE7ELNS1_3repE0EEENS1_30default_config_static_selectorELNS0_4arch9wavefront6targetE0EEEvT1_
		.amdhsa_group_segment_fixed_size 0
		.amdhsa_private_segment_fixed_size 0
		.amdhsa_kernarg_size 136
		.amdhsa_user_sgpr_count 15
		.amdhsa_user_sgpr_dispatch_ptr 0
		.amdhsa_user_sgpr_queue_ptr 0
		.amdhsa_user_sgpr_kernarg_segment_ptr 1
		.amdhsa_user_sgpr_dispatch_id 0
		.amdhsa_user_sgpr_private_segment_size 0
		.amdhsa_wavefront_size32 1
		.amdhsa_uses_dynamic_stack 0
		.amdhsa_enable_private_segment 0
		.amdhsa_system_sgpr_workgroup_id_x 1
		.amdhsa_system_sgpr_workgroup_id_y 0
		.amdhsa_system_sgpr_workgroup_id_z 0
		.amdhsa_system_sgpr_workgroup_info 0
		.amdhsa_system_vgpr_workitem_id 0
		.amdhsa_next_free_vgpr 1
		.amdhsa_next_free_sgpr 1
		.amdhsa_reserve_vcc 0
		.amdhsa_float_round_mode_32 0
		.amdhsa_float_round_mode_16_64 0
		.amdhsa_float_denorm_mode_32 3
		.amdhsa_float_denorm_mode_16_64 3
		.amdhsa_dx10_clamp 1
		.amdhsa_ieee_mode 1
		.amdhsa_fp16_overflow 0
		.amdhsa_workgroup_processor_mode 1
		.amdhsa_memory_ordered 1
		.amdhsa_forward_progress 0
		.amdhsa_shared_vgpr_count 0
		.amdhsa_exception_fp_ieee_invalid_op 0
		.amdhsa_exception_fp_denorm_src 0
		.amdhsa_exception_fp_ieee_div_zero 0
		.amdhsa_exception_fp_ieee_overflow 0
		.amdhsa_exception_fp_ieee_underflow 0
		.amdhsa_exception_fp_ieee_inexact 0
		.amdhsa_exception_int_div_zero 0
	.end_amdhsa_kernel
	.section	.text._ZN7rocprim17ROCPRIM_400000_NS6detail17trampoline_kernelINS0_14default_configENS1_29reduce_by_key_config_selectorIxxN6thrust23THRUST_200600_302600_NS4plusIxEEEEZZNS1_33reduce_by_key_impl_wrapped_configILNS1_25lookback_scan_determinismE0ES3_S9_NS6_6detail15normal_iteratorINS6_10device_ptrIxEEEESG_SG_SG_PmS8_22is_equal_div_10_reduceIxEEE10hipError_tPvRmT2_T3_mT4_T5_T6_T7_T8_P12ihipStream_tbENKUlT_T0_E_clISt17integral_constantIbLb1EES11_EEDaSW_SX_EUlSW_E_NS1_11comp_targetILNS1_3genE3ELNS1_11target_archE908ELNS1_3gpuE7ELNS1_3repE0EEENS1_30default_config_static_selectorELNS0_4arch9wavefront6targetE0EEEvT1_,"axG",@progbits,_ZN7rocprim17ROCPRIM_400000_NS6detail17trampoline_kernelINS0_14default_configENS1_29reduce_by_key_config_selectorIxxN6thrust23THRUST_200600_302600_NS4plusIxEEEEZZNS1_33reduce_by_key_impl_wrapped_configILNS1_25lookback_scan_determinismE0ES3_S9_NS6_6detail15normal_iteratorINS6_10device_ptrIxEEEESG_SG_SG_PmS8_22is_equal_div_10_reduceIxEEE10hipError_tPvRmT2_T3_mT4_T5_T6_T7_T8_P12ihipStream_tbENKUlT_T0_E_clISt17integral_constantIbLb1EES11_EEDaSW_SX_EUlSW_E_NS1_11comp_targetILNS1_3genE3ELNS1_11target_archE908ELNS1_3gpuE7ELNS1_3repE0EEENS1_30default_config_static_selectorELNS0_4arch9wavefront6targetE0EEEvT1_,comdat
.Lfunc_end520:
	.size	_ZN7rocprim17ROCPRIM_400000_NS6detail17trampoline_kernelINS0_14default_configENS1_29reduce_by_key_config_selectorIxxN6thrust23THRUST_200600_302600_NS4plusIxEEEEZZNS1_33reduce_by_key_impl_wrapped_configILNS1_25lookback_scan_determinismE0ES3_S9_NS6_6detail15normal_iteratorINS6_10device_ptrIxEEEESG_SG_SG_PmS8_22is_equal_div_10_reduceIxEEE10hipError_tPvRmT2_T3_mT4_T5_T6_T7_T8_P12ihipStream_tbENKUlT_T0_E_clISt17integral_constantIbLb1EES11_EEDaSW_SX_EUlSW_E_NS1_11comp_targetILNS1_3genE3ELNS1_11target_archE908ELNS1_3gpuE7ELNS1_3repE0EEENS1_30default_config_static_selectorELNS0_4arch9wavefront6targetE0EEEvT1_, .Lfunc_end520-_ZN7rocprim17ROCPRIM_400000_NS6detail17trampoline_kernelINS0_14default_configENS1_29reduce_by_key_config_selectorIxxN6thrust23THRUST_200600_302600_NS4plusIxEEEEZZNS1_33reduce_by_key_impl_wrapped_configILNS1_25lookback_scan_determinismE0ES3_S9_NS6_6detail15normal_iteratorINS6_10device_ptrIxEEEESG_SG_SG_PmS8_22is_equal_div_10_reduceIxEEE10hipError_tPvRmT2_T3_mT4_T5_T6_T7_T8_P12ihipStream_tbENKUlT_T0_E_clISt17integral_constantIbLb1EES11_EEDaSW_SX_EUlSW_E_NS1_11comp_targetILNS1_3genE3ELNS1_11target_archE908ELNS1_3gpuE7ELNS1_3repE0EEENS1_30default_config_static_selectorELNS0_4arch9wavefront6targetE0EEEvT1_
                                        ; -- End function
	.section	.AMDGPU.csdata,"",@progbits
; Kernel info:
; codeLenInByte = 0
; NumSgprs: 0
; NumVgprs: 0
; ScratchSize: 0
; MemoryBound: 0
; FloatMode: 240
; IeeeMode: 1
; LDSByteSize: 0 bytes/workgroup (compile time only)
; SGPRBlocks: 0
; VGPRBlocks: 0
; NumSGPRsForWavesPerEU: 1
; NumVGPRsForWavesPerEU: 1
; Occupancy: 16
; WaveLimiterHint : 0
; COMPUTE_PGM_RSRC2:SCRATCH_EN: 0
; COMPUTE_PGM_RSRC2:USER_SGPR: 15
; COMPUTE_PGM_RSRC2:TRAP_HANDLER: 0
; COMPUTE_PGM_RSRC2:TGID_X_EN: 1
; COMPUTE_PGM_RSRC2:TGID_Y_EN: 0
; COMPUTE_PGM_RSRC2:TGID_Z_EN: 0
; COMPUTE_PGM_RSRC2:TIDIG_COMP_CNT: 0
	.section	.text._ZN7rocprim17ROCPRIM_400000_NS6detail17trampoline_kernelINS0_14default_configENS1_29reduce_by_key_config_selectorIxxN6thrust23THRUST_200600_302600_NS4plusIxEEEEZZNS1_33reduce_by_key_impl_wrapped_configILNS1_25lookback_scan_determinismE0ES3_S9_NS6_6detail15normal_iteratorINS6_10device_ptrIxEEEESG_SG_SG_PmS8_22is_equal_div_10_reduceIxEEE10hipError_tPvRmT2_T3_mT4_T5_T6_T7_T8_P12ihipStream_tbENKUlT_T0_E_clISt17integral_constantIbLb1EES11_EEDaSW_SX_EUlSW_E_NS1_11comp_targetILNS1_3genE2ELNS1_11target_archE906ELNS1_3gpuE6ELNS1_3repE0EEENS1_30default_config_static_selectorELNS0_4arch9wavefront6targetE0EEEvT1_,"axG",@progbits,_ZN7rocprim17ROCPRIM_400000_NS6detail17trampoline_kernelINS0_14default_configENS1_29reduce_by_key_config_selectorIxxN6thrust23THRUST_200600_302600_NS4plusIxEEEEZZNS1_33reduce_by_key_impl_wrapped_configILNS1_25lookback_scan_determinismE0ES3_S9_NS6_6detail15normal_iteratorINS6_10device_ptrIxEEEESG_SG_SG_PmS8_22is_equal_div_10_reduceIxEEE10hipError_tPvRmT2_T3_mT4_T5_T6_T7_T8_P12ihipStream_tbENKUlT_T0_E_clISt17integral_constantIbLb1EES11_EEDaSW_SX_EUlSW_E_NS1_11comp_targetILNS1_3genE2ELNS1_11target_archE906ELNS1_3gpuE6ELNS1_3repE0EEENS1_30default_config_static_selectorELNS0_4arch9wavefront6targetE0EEEvT1_,comdat
	.protected	_ZN7rocprim17ROCPRIM_400000_NS6detail17trampoline_kernelINS0_14default_configENS1_29reduce_by_key_config_selectorIxxN6thrust23THRUST_200600_302600_NS4plusIxEEEEZZNS1_33reduce_by_key_impl_wrapped_configILNS1_25lookback_scan_determinismE0ES3_S9_NS6_6detail15normal_iteratorINS6_10device_ptrIxEEEESG_SG_SG_PmS8_22is_equal_div_10_reduceIxEEE10hipError_tPvRmT2_T3_mT4_T5_T6_T7_T8_P12ihipStream_tbENKUlT_T0_E_clISt17integral_constantIbLb1EES11_EEDaSW_SX_EUlSW_E_NS1_11comp_targetILNS1_3genE2ELNS1_11target_archE906ELNS1_3gpuE6ELNS1_3repE0EEENS1_30default_config_static_selectorELNS0_4arch9wavefront6targetE0EEEvT1_ ; -- Begin function _ZN7rocprim17ROCPRIM_400000_NS6detail17trampoline_kernelINS0_14default_configENS1_29reduce_by_key_config_selectorIxxN6thrust23THRUST_200600_302600_NS4plusIxEEEEZZNS1_33reduce_by_key_impl_wrapped_configILNS1_25lookback_scan_determinismE0ES3_S9_NS6_6detail15normal_iteratorINS6_10device_ptrIxEEEESG_SG_SG_PmS8_22is_equal_div_10_reduceIxEEE10hipError_tPvRmT2_T3_mT4_T5_T6_T7_T8_P12ihipStream_tbENKUlT_T0_E_clISt17integral_constantIbLb1EES11_EEDaSW_SX_EUlSW_E_NS1_11comp_targetILNS1_3genE2ELNS1_11target_archE906ELNS1_3gpuE6ELNS1_3repE0EEENS1_30default_config_static_selectorELNS0_4arch9wavefront6targetE0EEEvT1_
	.globl	_ZN7rocprim17ROCPRIM_400000_NS6detail17trampoline_kernelINS0_14default_configENS1_29reduce_by_key_config_selectorIxxN6thrust23THRUST_200600_302600_NS4plusIxEEEEZZNS1_33reduce_by_key_impl_wrapped_configILNS1_25lookback_scan_determinismE0ES3_S9_NS6_6detail15normal_iteratorINS6_10device_ptrIxEEEESG_SG_SG_PmS8_22is_equal_div_10_reduceIxEEE10hipError_tPvRmT2_T3_mT4_T5_T6_T7_T8_P12ihipStream_tbENKUlT_T0_E_clISt17integral_constantIbLb1EES11_EEDaSW_SX_EUlSW_E_NS1_11comp_targetILNS1_3genE2ELNS1_11target_archE906ELNS1_3gpuE6ELNS1_3repE0EEENS1_30default_config_static_selectorELNS0_4arch9wavefront6targetE0EEEvT1_
	.p2align	8
	.type	_ZN7rocprim17ROCPRIM_400000_NS6detail17trampoline_kernelINS0_14default_configENS1_29reduce_by_key_config_selectorIxxN6thrust23THRUST_200600_302600_NS4plusIxEEEEZZNS1_33reduce_by_key_impl_wrapped_configILNS1_25lookback_scan_determinismE0ES3_S9_NS6_6detail15normal_iteratorINS6_10device_ptrIxEEEESG_SG_SG_PmS8_22is_equal_div_10_reduceIxEEE10hipError_tPvRmT2_T3_mT4_T5_T6_T7_T8_P12ihipStream_tbENKUlT_T0_E_clISt17integral_constantIbLb1EES11_EEDaSW_SX_EUlSW_E_NS1_11comp_targetILNS1_3genE2ELNS1_11target_archE906ELNS1_3gpuE6ELNS1_3repE0EEENS1_30default_config_static_selectorELNS0_4arch9wavefront6targetE0EEEvT1_,@function
_ZN7rocprim17ROCPRIM_400000_NS6detail17trampoline_kernelINS0_14default_configENS1_29reduce_by_key_config_selectorIxxN6thrust23THRUST_200600_302600_NS4plusIxEEEEZZNS1_33reduce_by_key_impl_wrapped_configILNS1_25lookback_scan_determinismE0ES3_S9_NS6_6detail15normal_iteratorINS6_10device_ptrIxEEEESG_SG_SG_PmS8_22is_equal_div_10_reduceIxEEE10hipError_tPvRmT2_T3_mT4_T5_T6_T7_T8_P12ihipStream_tbENKUlT_T0_E_clISt17integral_constantIbLb1EES11_EEDaSW_SX_EUlSW_E_NS1_11comp_targetILNS1_3genE2ELNS1_11target_archE906ELNS1_3gpuE6ELNS1_3repE0EEENS1_30default_config_static_selectorELNS0_4arch9wavefront6targetE0EEEvT1_: ; @_ZN7rocprim17ROCPRIM_400000_NS6detail17trampoline_kernelINS0_14default_configENS1_29reduce_by_key_config_selectorIxxN6thrust23THRUST_200600_302600_NS4plusIxEEEEZZNS1_33reduce_by_key_impl_wrapped_configILNS1_25lookback_scan_determinismE0ES3_S9_NS6_6detail15normal_iteratorINS6_10device_ptrIxEEEESG_SG_SG_PmS8_22is_equal_div_10_reduceIxEEE10hipError_tPvRmT2_T3_mT4_T5_T6_T7_T8_P12ihipStream_tbENKUlT_T0_E_clISt17integral_constantIbLb1EES11_EEDaSW_SX_EUlSW_E_NS1_11comp_targetILNS1_3genE2ELNS1_11target_archE906ELNS1_3gpuE6ELNS1_3repE0EEENS1_30default_config_static_selectorELNS0_4arch9wavefront6targetE0EEEvT1_
; %bb.0:
	.section	.rodata,"a",@progbits
	.p2align	6, 0x0
	.amdhsa_kernel _ZN7rocprim17ROCPRIM_400000_NS6detail17trampoline_kernelINS0_14default_configENS1_29reduce_by_key_config_selectorIxxN6thrust23THRUST_200600_302600_NS4plusIxEEEEZZNS1_33reduce_by_key_impl_wrapped_configILNS1_25lookback_scan_determinismE0ES3_S9_NS6_6detail15normal_iteratorINS6_10device_ptrIxEEEESG_SG_SG_PmS8_22is_equal_div_10_reduceIxEEE10hipError_tPvRmT2_T3_mT4_T5_T6_T7_T8_P12ihipStream_tbENKUlT_T0_E_clISt17integral_constantIbLb1EES11_EEDaSW_SX_EUlSW_E_NS1_11comp_targetILNS1_3genE2ELNS1_11target_archE906ELNS1_3gpuE6ELNS1_3repE0EEENS1_30default_config_static_selectorELNS0_4arch9wavefront6targetE0EEEvT1_
		.amdhsa_group_segment_fixed_size 0
		.amdhsa_private_segment_fixed_size 0
		.amdhsa_kernarg_size 136
		.amdhsa_user_sgpr_count 15
		.amdhsa_user_sgpr_dispatch_ptr 0
		.amdhsa_user_sgpr_queue_ptr 0
		.amdhsa_user_sgpr_kernarg_segment_ptr 1
		.amdhsa_user_sgpr_dispatch_id 0
		.amdhsa_user_sgpr_private_segment_size 0
		.amdhsa_wavefront_size32 1
		.amdhsa_uses_dynamic_stack 0
		.amdhsa_enable_private_segment 0
		.amdhsa_system_sgpr_workgroup_id_x 1
		.amdhsa_system_sgpr_workgroup_id_y 0
		.amdhsa_system_sgpr_workgroup_id_z 0
		.amdhsa_system_sgpr_workgroup_info 0
		.amdhsa_system_vgpr_workitem_id 0
		.amdhsa_next_free_vgpr 1
		.amdhsa_next_free_sgpr 1
		.amdhsa_reserve_vcc 0
		.amdhsa_float_round_mode_32 0
		.amdhsa_float_round_mode_16_64 0
		.amdhsa_float_denorm_mode_32 3
		.amdhsa_float_denorm_mode_16_64 3
		.amdhsa_dx10_clamp 1
		.amdhsa_ieee_mode 1
		.amdhsa_fp16_overflow 0
		.amdhsa_workgroup_processor_mode 1
		.amdhsa_memory_ordered 1
		.amdhsa_forward_progress 0
		.amdhsa_shared_vgpr_count 0
		.amdhsa_exception_fp_ieee_invalid_op 0
		.amdhsa_exception_fp_denorm_src 0
		.amdhsa_exception_fp_ieee_div_zero 0
		.amdhsa_exception_fp_ieee_overflow 0
		.amdhsa_exception_fp_ieee_underflow 0
		.amdhsa_exception_fp_ieee_inexact 0
		.amdhsa_exception_int_div_zero 0
	.end_amdhsa_kernel
	.section	.text._ZN7rocprim17ROCPRIM_400000_NS6detail17trampoline_kernelINS0_14default_configENS1_29reduce_by_key_config_selectorIxxN6thrust23THRUST_200600_302600_NS4plusIxEEEEZZNS1_33reduce_by_key_impl_wrapped_configILNS1_25lookback_scan_determinismE0ES3_S9_NS6_6detail15normal_iteratorINS6_10device_ptrIxEEEESG_SG_SG_PmS8_22is_equal_div_10_reduceIxEEE10hipError_tPvRmT2_T3_mT4_T5_T6_T7_T8_P12ihipStream_tbENKUlT_T0_E_clISt17integral_constantIbLb1EES11_EEDaSW_SX_EUlSW_E_NS1_11comp_targetILNS1_3genE2ELNS1_11target_archE906ELNS1_3gpuE6ELNS1_3repE0EEENS1_30default_config_static_selectorELNS0_4arch9wavefront6targetE0EEEvT1_,"axG",@progbits,_ZN7rocprim17ROCPRIM_400000_NS6detail17trampoline_kernelINS0_14default_configENS1_29reduce_by_key_config_selectorIxxN6thrust23THRUST_200600_302600_NS4plusIxEEEEZZNS1_33reduce_by_key_impl_wrapped_configILNS1_25lookback_scan_determinismE0ES3_S9_NS6_6detail15normal_iteratorINS6_10device_ptrIxEEEESG_SG_SG_PmS8_22is_equal_div_10_reduceIxEEE10hipError_tPvRmT2_T3_mT4_T5_T6_T7_T8_P12ihipStream_tbENKUlT_T0_E_clISt17integral_constantIbLb1EES11_EEDaSW_SX_EUlSW_E_NS1_11comp_targetILNS1_3genE2ELNS1_11target_archE906ELNS1_3gpuE6ELNS1_3repE0EEENS1_30default_config_static_selectorELNS0_4arch9wavefront6targetE0EEEvT1_,comdat
.Lfunc_end521:
	.size	_ZN7rocprim17ROCPRIM_400000_NS6detail17trampoline_kernelINS0_14default_configENS1_29reduce_by_key_config_selectorIxxN6thrust23THRUST_200600_302600_NS4plusIxEEEEZZNS1_33reduce_by_key_impl_wrapped_configILNS1_25lookback_scan_determinismE0ES3_S9_NS6_6detail15normal_iteratorINS6_10device_ptrIxEEEESG_SG_SG_PmS8_22is_equal_div_10_reduceIxEEE10hipError_tPvRmT2_T3_mT4_T5_T6_T7_T8_P12ihipStream_tbENKUlT_T0_E_clISt17integral_constantIbLb1EES11_EEDaSW_SX_EUlSW_E_NS1_11comp_targetILNS1_3genE2ELNS1_11target_archE906ELNS1_3gpuE6ELNS1_3repE0EEENS1_30default_config_static_selectorELNS0_4arch9wavefront6targetE0EEEvT1_, .Lfunc_end521-_ZN7rocprim17ROCPRIM_400000_NS6detail17trampoline_kernelINS0_14default_configENS1_29reduce_by_key_config_selectorIxxN6thrust23THRUST_200600_302600_NS4plusIxEEEEZZNS1_33reduce_by_key_impl_wrapped_configILNS1_25lookback_scan_determinismE0ES3_S9_NS6_6detail15normal_iteratorINS6_10device_ptrIxEEEESG_SG_SG_PmS8_22is_equal_div_10_reduceIxEEE10hipError_tPvRmT2_T3_mT4_T5_T6_T7_T8_P12ihipStream_tbENKUlT_T0_E_clISt17integral_constantIbLb1EES11_EEDaSW_SX_EUlSW_E_NS1_11comp_targetILNS1_3genE2ELNS1_11target_archE906ELNS1_3gpuE6ELNS1_3repE0EEENS1_30default_config_static_selectorELNS0_4arch9wavefront6targetE0EEEvT1_
                                        ; -- End function
	.section	.AMDGPU.csdata,"",@progbits
; Kernel info:
; codeLenInByte = 0
; NumSgprs: 0
; NumVgprs: 0
; ScratchSize: 0
; MemoryBound: 0
; FloatMode: 240
; IeeeMode: 1
; LDSByteSize: 0 bytes/workgroup (compile time only)
; SGPRBlocks: 0
; VGPRBlocks: 0
; NumSGPRsForWavesPerEU: 1
; NumVGPRsForWavesPerEU: 1
; Occupancy: 16
; WaveLimiterHint : 0
; COMPUTE_PGM_RSRC2:SCRATCH_EN: 0
; COMPUTE_PGM_RSRC2:USER_SGPR: 15
; COMPUTE_PGM_RSRC2:TRAP_HANDLER: 0
; COMPUTE_PGM_RSRC2:TGID_X_EN: 1
; COMPUTE_PGM_RSRC2:TGID_Y_EN: 0
; COMPUTE_PGM_RSRC2:TGID_Z_EN: 0
; COMPUTE_PGM_RSRC2:TIDIG_COMP_CNT: 0
	.section	.text._ZN7rocprim17ROCPRIM_400000_NS6detail17trampoline_kernelINS0_14default_configENS1_29reduce_by_key_config_selectorIxxN6thrust23THRUST_200600_302600_NS4plusIxEEEEZZNS1_33reduce_by_key_impl_wrapped_configILNS1_25lookback_scan_determinismE0ES3_S9_NS6_6detail15normal_iteratorINS6_10device_ptrIxEEEESG_SG_SG_PmS8_22is_equal_div_10_reduceIxEEE10hipError_tPvRmT2_T3_mT4_T5_T6_T7_T8_P12ihipStream_tbENKUlT_T0_E_clISt17integral_constantIbLb1EES11_EEDaSW_SX_EUlSW_E_NS1_11comp_targetILNS1_3genE10ELNS1_11target_archE1201ELNS1_3gpuE5ELNS1_3repE0EEENS1_30default_config_static_selectorELNS0_4arch9wavefront6targetE0EEEvT1_,"axG",@progbits,_ZN7rocprim17ROCPRIM_400000_NS6detail17trampoline_kernelINS0_14default_configENS1_29reduce_by_key_config_selectorIxxN6thrust23THRUST_200600_302600_NS4plusIxEEEEZZNS1_33reduce_by_key_impl_wrapped_configILNS1_25lookback_scan_determinismE0ES3_S9_NS6_6detail15normal_iteratorINS6_10device_ptrIxEEEESG_SG_SG_PmS8_22is_equal_div_10_reduceIxEEE10hipError_tPvRmT2_T3_mT4_T5_T6_T7_T8_P12ihipStream_tbENKUlT_T0_E_clISt17integral_constantIbLb1EES11_EEDaSW_SX_EUlSW_E_NS1_11comp_targetILNS1_3genE10ELNS1_11target_archE1201ELNS1_3gpuE5ELNS1_3repE0EEENS1_30default_config_static_selectorELNS0_4arch9wavefront6targetE0EEEvT1_,comdat
	.protected	_ZN7rocprim17ROCPRIM_400000_NS6detail17trampoline_kernelINS0_14default_configENS1_29reduce_by_key_config_selectorIxxN6thrust23THRUST_200600_302600_NS4plusIxEEEEZZNS1_33reduce_by_key_impl_wrapped_configILNS1_25lookback_scan_determinismE0ES3_S9_NS6_6detail15normal_iteratorINS6_10device_ptrIxEEEESG_SG_SG_PmS8_22is_equal_div_10_reduceIxEEE10hipError_tPvRmT2_T3_mT4_T5_T6_T7_T8_P12ihipStream_tbENKUlT_T0_E_clISt17integral_constantIbLb1EES11_EEDaSW_SX_EUlSW_E_NS1_11comp_targetILNS1_3genE10ELNS1_11target_archE1201ELNS1_3gpuE5ELNS1_3repE0EEENS1_30default_config_static_selectorELNS0_4arch9wavefront6targetE0EEEvT1_ ; -- Begin function _ZN7rocprim17ROCPRIM_400000_NS6detail17trampoline_kernelINS0_14default_configENS1_29reduce_by_key_config_selectorIxxN6thrust23THRUST_200600_302600_NS4plusIxEEEEZZNS1_33reduce_by_key_impl_wrapped_configILNS1_25lookback_scan_determinismE0ES3_S9_NS6_6detail15normal_iteratorINS6_10device_ptrIxEEEESG_SG_SG_PmS8_22is_equal_div_10_reduceIxEEE10hipError_tPvRmT2_T3_mT4_T5_T6_T7_T8_P12ihipStream_tbENKUlT_T0_E_clISt17integral_constantIbLb1EES11_EEDaSW_SX_EUlSW_E_NS1_11comp_targetILNS1_3genE10ELNS1_11target_archE1201ELNS1_3gpuE5ELNS1_3repE0EEENS1_30default_config_static_selectorELNS0_4arch9wavefront6targetE0EEEvT1_
	.globl	_ZN7rocprim17ROCPRIM_400000_NS6detail17trampoline_kernelINS0_14default_configENS1_29reduce_by_key_config_selectorIxxN6thrust23THRUST_200600_302600_NS4plusIxEEEEZZNS1_33reduce_by_key_impl_wrapped_configILNS1_25lookback_scan_determinismE0ES3_S9_NS6_6detail15normal_iteratorINS6_10device_ptrIxEEEESG_SG_SG_PmS8_22is_equal_div_10_reduceIxEEE10hipError_tPvRmT2_T3_mT4_T5_T6_T7_T8_P12ihipStream_tbENKUlT_T0_E_clISt17integral_constantIbLb1EES11_EEDaSW_SX_EUlSW_E_NS1_11comp_targetILNS1_3genE10ELNS1_11target_archE1201ELNS1_3gpuE5ELNS1_3repE0EEENS1_30default_config_static_selectorELNS0_4arch9wavefront6targetE0EEEvT1_
	.p2align	8
	.type	_ZN7rocprim17ROCPRIM_400000_NS6detail17trampoline_kernelINS0_14default_configENS1_29reduce_by_key_config_selectorIxxN6thrust23THRUST_200600_302600_NS4plusIxEEEEZZNS1_33reduce_by_key_impl_wrapped_configILNS1_25lookback_scan_determinismE0ES3_S9_NS6_6detail15normal_iteratorINS6_10device_ptrIxEEEESG_SG_SG_PmS8_22is_equal_div_10_reduceIxEEE10hipError_tPvRmT2_T3_mT4_T5_T6_T7_T8_P12ihipStream_tbENKUlT_T0_E_clISt17integral_constantIbLb1EES11_EEDaSW_SX_EUlSW_E_NS1_11comp_targetILNS1_3genE10ELNS1_11target_archE1201ELNS1_3gpuE5ELNS1_3repE0EEENS1_30default_config_static_selectorELNS0_4arch9wavefront6targetE0EEEvT1_,@function
_ZN7rocprim17ROCPRIM_400000_NS6detail17trampoline_kernelINS0_14default_configENS1_29reduce_by_key_config_selectorIxxN6thrust23THRUST_200600_302600_NS4plusIxEEEEZZNS1_33reduce_by_key_impl_wrapped_configILNS1_25lookback_scan_determinismE0ES3_S9_NS6_6detail15normal_iteratorINS6_10device_ptrIxEEEESG_SG_SG_PmS8_22is_equal_div_10_reduceIxEEE10hipError_tPvRmT2_T3_mT4_T5_T6_T7_T8_P12ihipStream_tbENKUlT_T0_E_clISt17integral_constantIbLb1EES11_EEDaSW_SX_EUlSW_E_NS1_11comp_targetILNS1_3genE10ELNS1_11target_archE1201ELNS1_3gpuE5ELNS1_3repE0EEENS1_30default_config_static_selectorELNS0_4arch9wavefront6targetE0EEEvT1_: ; @_ZN7rocprim17ROCPRIM_400000_NS6detail17trampoline_kernelINS0_14default_configENS1_29reduce_by_key_config_selectorIxxN6thrust23THRUST_200600_302600_NS4plusIxEEEEZZNS1_33reduce_by_key_impl_wrapped_configILNS1_25lookback_scan_determinismE0ES3_S9_NS6_6detail15normal_iteratorINS6_10device_ptrIxEEEESG_SG_SG_PmS8_22is_equal_div_10_reduceIxEEE10hipError_tPvRmT2_T3_mT4_T5_T6_T7_T8_P12ihipStream_tbENKUlT_T0_E_clISt17integral_constantIbLb1EES11_EEDaSW_SX_EUlSW_E_NS1_11comp_targetILNS1_3genE10ELNS1_11target_archE1201ELNS1_3gpuE5ELNS1_3repE0EEENS1_30default_config_static_selectorELNS0_4arch9wavefront6targetE0EEEvT1_
; %bb.0:
	.section	.rodata,"a",@progbits
	.p2align	6, 0x0
	.amdhsa_kernel _ZN7rocprim17ROCPRIM_400000_NS6detail17trampoline_kernelINS0_14default_configENS1_29reduce_by_key_config_selectorIxxN6thrust23THRUST_200600_302600_NS4plusIxEEEEZZNS1_33reduce_by_key_impl_wrapped_configILNS1_25lookback_scan_determinismE0ES3_S9_NS6_6detail15normal_iteratorINS6_10device_ptrIxEEEESG_SG_SG_PmS8_22is_equal_div_10_reduceIxEEE10hipError_tPvRmT2_T3_mT4_T5_T6_T7_T8_P12ihipStream_tbENKUlT_T0_E_clISt17integral_constantIbLb1EES11_EEDaSW_SX_EUlSW_E_NS1_11comp_targetILNS1_3genE10ELNS1_11target_archE1201ELNS1_3gpuE5ELNS1_3repE0EEENS1_30default_config_static_selectorELNS0_4arch9wavefront6targetE0EEEvT1_
		.amdhsa_group_segment_fixed_size 0
		.amdhsa_private_segment_fixed_size 0
		.amdhsa_kernarg_size 136
		.amdhsa_user_sgpr_count 15
		.amdhsa_user_sgpr_dispatch_ptr 0
		.amdhsa_user_sgpr_queue_ptr 0
		.amdhsa_user_sgpr_kernarg_segment_ptr 1
		.amdhsa_user_sgpr_dispatch_id 0
		.amdhsa_user_sgpr_private_segment_size 0
		.amdhsa_wavefront_size32 1
		.amdhsa_uses_dynamic_stack 0
		.amdhsa_enable_private_segment 0
		.amdhsa_system_sgpr_workgroup_id_x 1
		.amdhsa_system_sgpr_workgroup_id_y 0
		.amdhsa_system_sgpr_workgroup_id_z 0
		.amdhsa_system_sgpr_workgroup_info 0
		.amdhsa_system_vgpr_workitem_id 0
		.amdhsa_next_free_vgpr 1
		.amdhsa_next_free_sgpr 1
		.amdhsa_reserve_vcc 0
		.amdhsa_float_round_mode_32 0
		.amdhsa_float_round_mode_16_64 0
		.amdhsa_float_denorm_mode_32 3
		.amdhsa_float_denorm_mode_16_64 3
		.amdhsa_dx10_clamp 1
		.amdhsa_ieee_mode 1
		.amdhsa_fp16_overflow 0
		.amdhsa_workgroup_processor_mode 1
		.amdhsa_memory_ordered 1
		.amdhsa_forward_progress 0
		.amdhsa_shared_vgpr_count 0
		.amdhsa_exception_fp_ieee_invalid_op 0
		.amdhsa_exception_fp_denorm_src 0
		.amdhsa_exception_fp_ieee_div_zero 0
		.amdhsa_exception_fp_ieee_overflow 0
		.amdhsa_exception_fp_ieee_underflow 0
		.amdhsa_exception_fp_ieee_inexact 0
		.amdhsa_exception_int_div_zero 0
	.end_amdhsa_kernel
	.section	.text._ZN7rocprim17ROCPRIM_400000_NS6detail17trampoline_kernelINS0_14default_configENS1_29reduce_by_key_config_selectorIxxN6thrust23THRUST_200600_302600_NS4plusIxEEEEZZNS1_33reduce_by_key_impl_wrapped_configILNS1_25lookback_scan_determinismE0ES3_S9_NS6_6detail15normal_iteratorINS6_10device_ptrIxEEEESG_SG_SG_PmS8_22is_equal_div_10_reduceIxEEE10hipError_tPvRmT2_T3_mT4_T5_T6_T7_T8_P12ihipStream_tbENKUlT_T0_E_clISt17integral_constantIbLb1EES11_EEDaSW_SX_EUlSW_E_NS1_11comp_targetILNS1_3genE10ELNS1_11target_archE1201ELNS1_3gpuE5ELNS1_3repE0EEENS1_30default_config_static_selectorELNS0_4arch9wavefront6targetE0EEEvT1_,"axG",@progbits,_ZN7rocprim17ROCPRIM_400000_NS6detail17trampoline_kernelINS0_14default_configENS1_29reduce_by_key_config_selectorIxxN6thrust23THRUST_200600_302600_NS4plusIxEEEEZZNS1_33reduce_by_key_impl_wrapped_configILNS1_25lookback_scan_determinismE0ES3_S9_NS6_6detail15normal_iteratorINS6_10device_ptrIxEEEESG_SG_SG_PmS8_22is_equal_div_10_reduceIxEEE10hipError_tPvRmT2_T3_mT4_T5_T6_T7_T8_P12ihipStream_tbENKUlT_T0_E_clISt17integral_constantIbLb1EES11_EEDaSW_SX_EUlSW_E_NS1_11comp_targetILNS1_3genE10ELNS1_11target_archE1201ELNS1_3gpuE5ELNS1_3repE0EEENS1_30default_config_static_selectorELNS0_4arch9wavefront6targetE0EEEvT1_,comdat
.Lfunc_end522:
	.size	_ZN7rocprim17ROCPRIM_400000_NS6detail17trampoline_kernelINS0_14default_configENS1_29reduce_by_key_config_selectorIxxN6thrust23THRUST_200600_302600_NS4plusIxEEEEZZNS1_33reduce_by_key_impl_wrapped_configILNS1_25lookback_scan_determinismE0ES3_S9_NS6_6detail15normal_iteratorINS6_10device_ptrIxEEEESG_SG_SG_PmS8_22is_equal_div_10_reduceIxEEE10hipError_tPvRmT2_T3_mT4_T5_T6_T7_T8_P12ihipStream_tbENKUlT_T0_E_clISt17integral_constantIbLb1EES11_EEDaSW_SX_EUlSW_E_NS1_11comp_targetILNS1_3genE10ELNS1_11target_archE1201ELNS1_3gpuE5ELNS1_3repE0EEENS1_30default_config_static_selectorELNS0_4arch9wavefront6targetE0EEEvT1_, .Lfunc_end522-_ZN7rocprim17ROCPRIM_400000_NS6detail17trampoline_kernelINS0_14default_configENS1_29reduce_by_key_config_selectorIxxN6thrust23THRUST_200600_302600_NS4plusIxEEEEZZNS1_33reduce_by_key_impl_wrapped_configILNS1_25lookback_scan_determinismE0ES3_S9_NS6_6detail15normal_iteratorINS6_10device_ptrIxEEEESG_SG_SG_PmS8_22is_equal_div_10_reduceIxEEE10hipError_tPvRmT2_T3_mT4_T5_T6_T7_T8_P12ihipStream_tbENKUlT_T0_E_clISt17integral_constantIbLb1EES11_EEDaSW_SX_EUlSW_E_NS1_11comp_targetILNS1_3genE10ELNS1_11target_archE1201ELNS1_3gpuE5ELNS1_3repE0EEENS1_30default_config_static_selectorELNS0_4arch9wavefront6targetE0EEEvT1_
                                        ; -- End function
	.section	.AMDGPU.csdata,"",@progbits
; Kernel info:
; codeLenInByte = 0
; NumSgprs: 0
; NumVgprs: 0
; ScratchSize: 0
; MemoryBound: 0
; FloatMode: 240
; IeeeMode: 1
; LDSByteSize: 0 bytes/workgroup (compile time only)
; SGPRBlocks: 0
; VGPRBlocks: 0
; NumSGPRsForWavesPerEU: 1
; NumVGPRsForWavesPerEU: 1
; Occupancy: 16
; WaveLimiterHint : 0
; COMPUTE_PGM_RSRC2:SCRATCH_EN: 0
; COMPUTE_PGM_RSRC2:USER_SGPR: 15
; COMPUTE_PGM_RSRC2:TRAP_HANDLER: 0
; COMPUTE_PGM_RSRC2:TGID_X_EN: 1
; COMPUTE_PGM_RSRC2:TGID_Y_EN: 0
; COMPUTE_PGM_RSRC2:TGID_Z_EN: 0
; COMPUTE_PGM_RSRC2:TIDIG_COMP_CNT: 0
	.section	.text._ZN7rocprim17ROCPRIM_400000_NS6detail17trampoline_kernelINS0_14default_configENS1_29reduce_by_key_config_selectorIxxN6thrust23THRUST_200600_302600_NS4plusIxEEEEZZNS1_33reduce_by_key_impl_wrapped_configILNS1_25lookback_scan_determinismE0ES3_S9_NS6_6detail15normal_iteratorINS6_10device_ptrIxEEEESG_SG_SG_PmS8_22is_equal_div_10_reduceIxEEE10hipError_tPvRmT2_T3_mT4_T5_T6_T7_T8_P12ihipStream_tbENKUlT_T0_E_clISt17integral_constantIbLb1EES11_EEDaSW_SX_EUlSW_E_NS1_11comp_targetILNS1_3genE10ELNS1_11target_archE1200ELNS1_3gpuE4ELNS1_3repE0EEENS1_30default_config_static_selectorELNS0_4arch9wavefront6targetE0EEEvT1_,"axG",@progbits,_ZN7rocprim17ROCPRIM_400000_NS6detail17trampoline_kernelINS0_14default_configENS1_29reduce_by_key_config_selectorIxxN6thrust23THRUST_200600_302600_NS4plusIxEEEEZZNS1_33reduce_by_key_impl_wrapped_configILNS1_25lookback_scan_determinismE0ES3_S9_NS6_6detail15normal_iteratorINS6_10device_ptrIxEEEESG_SG_SG_PmS8_22is_equal_div_10_reduceIxEEE10hipError_tPvRmT2_T3_mT4_T5_T6_T7_T8_P12ihipStream_tbENKUlT_T0_E_clISt17integral_constantIbLb1EES11_EEDaSW_SX_EUlSW_E_NS1_11comp_targetILNS1_3genE10ELNS1_11target_archE1200ELNS1_3gpuE4ELNS1_3repE0EEENS1_30default_config_static_selectorELNS0_4arch9wavefront6targetE0EEEvT1_,comdat
	.protected	_ZN7rocprim17ROCPRIM_400000_NS6detail17trampoline_kernelINS0_14default_configENS1_29reduce_by_key_config_selectorIxxN6thrust23THRUST_200600_302600_NS4plusIxEEEEZZNS1_33reduce_by_key_impl_wrapped_configILNS1_25lookback_scan_determinismE0ES3_S9_NS6_6detail15normal_iteratorINS6_10device_ptrIxEEEESG_SG_SG_PmS8_22is_equal_div_10_reduceIxEEE10hipError_tPvRmT2_T3_mT4_T5_T6_T7_T8_P12ihipStream_tbENKUlT_T0_E_clISt17integral_constantIbLb1EES11_EEDaSW_SX_EUlSW_E_NS1_11comp_targetILNS1_3genE10ELNS1_11target_archE1200ELNS1_3gpuE4ELNS1_3repE0EEENS1_30default_config_static_selectorELNS0_4arch9wavefront6targetE0EEEvT1_ ; -- Begin function _ZN7rocprim17ROCPRIM_400000_NS6detail17trampoline_kernelINS0_14default_configENS1_29reduce_by_key_config_selectorIxxN6thrust23THRUST_200600_302600_NS4plusIxEEEEZZNS1_33reduce_by_key_impl_wrapped_configILNS1_25lookback_scan_determinismE0ES3_S9_NS6_6detail15normal_iteratorINS6_10device_ptrIxEEEESG_SG_SG_PmS8_22is_equal_div_10_reduceIxEEE10hipError_tPvRmT2_T3_mT4_T5_T6_T7_T8_P12ihipStream_tbENKUlT_T0_E_clISt17integral_constantIbLb1EES11_EEDaSW_SX_EUlSW_E_NS1_11comp_targetILNS1_3genE10ELNS1_11target_archE1200ELNS1_3gpuE4ELNS1_3repE0EEENS1_30default_config_static_selectorELNS0_4arch9wavefront6targetE0EEEvT1_
	.globl	_ZN7rocprim17ROCPRIM_400000_NS6detail17trampoline_kernelINS0_14default_configENS1_29reduce_by_key_config_selectorIxxN6thrust23THRUST_200600_302600_NS4plusIxEEEEZZNS1_33reduce_by_key_impl_wrapped_configILNS1_25lookback_scan_determinismE0ES3_S9_NS6_6detail15normal_iteratorINS6_10device_ptrIxEEEESG_SG_SG_PmS8_22is_equal_div_10_reduceIxEEE10hipError_tPvRmT2_T3_mT4_T5_T6_T7_T8_P12ihipStream_tbENKUlT_T0_E_clISt17integral_constantIbLb1EES11_EEDaSW_SX_EUlSW_E_NS1_11comp_targetILNS1_3genE10ELNS1_11target_archE1200ELNS1_3gpuE4ELNS1_3repE0EEENS1_30default_config_static_selectorELNS0_4arch9wavefront6targetE0EEEvT1_
	.p2align	8
	.type	_ZN7rocprim17ROCPRIM_400000_NS6detail17trampoline_kernelINS0_14default_configENS1_29reduce_by_key_config_selectorIxxN6thrust23THRUST_200600_302600_NS4plusIxEEEEZZNS1_33reduce_by_key_impl_wrapped_configILNS1_25lookback_scan_determinismE0ES3_S9_NS6_6detail15normal_iteratorINS6_10device_ptrIxEEEESG_SG_SG_PmS8_22is_equal_div_10_reduceIxEEE10hipError_tPvRmT2_T3_mT4_T5_T6_T7_T8_P12ihipStream_tbENKUlT_T0_E_clISt17integral_constantIbLb1EES11_EEDaSW_SX_EUlSW_E_NS1_11comp_targetILNS1_3genE10ELNS1_11target_archE1200ELNS1_3gpuE4ELNS1_3repE0EEENS1_30default_config_static_selectorELNS0_4arch9wavefront6targetE0EEEvT1_,@function
_ZN7rocprim17ROCPRIM_400000_NS6detail17trampoline_kernelINS0_14default_configENS1_29reduce_by_key_config_selectorIxxN6thrust23THRUST_200600_302600_NS4plusIxEEEEZZNS1_33reduce_by_key_impl_wrapped_configILNS1_25lookback_scan_determinismE0ES3_S9_NS6_6detail15normal_iteratorINS6_10device_ptrIxEEEESG_SG_SG_PmS8_22is_equal_div_10_reduceIxEEE10hipError_tPvRmT2_T3_mT4_T5_T6_T7_T8_P12ihipStream_tbENKUlT_T0_E_clISt17integral_constantIbLb1EES11_EEDaSW_SX_EUlSW_E_NS1_11comp_targetILNS1_3genE10ELNS1_11target_archE1200ELNS1_3gpuE4ELNS1_3repE0EEENS1_30default_config_static_selectorELNS0_4arch9wavefront6targetE0EEEvT1_: ; @_ZN7rocprim17ROCPRIM_400000_NS6detail17trampoline_kernelINS0_14default_configENS1_29reduce_by_key_config_selectorIxxN6thrust23THRUST_200600_302600_NS4plusIxEEEEZZNS1_33reduce_by_key_impl_wrapped_configILNS1_25lookback_scan_determinismE0ES3_S9_NS6_6detail15normal_iteratorINS6_10device_ptrIxEEEESG_SG_SG_PmS8_22is_equal_div_10_reduceIxEEE10hipError_tPvRmT2_T3_mT4_T5_T6_T7_T8_P12ihipStream_tbENKUlT_T0_E_clISt17integral_constantIbLb1EES11_EEDaSW_SX_EUlSW_E_NS1_11comp_targetILNS1_3genE10ELNS1_11target_archE1200ELNS1_3gpuE4ELNS1_3repE0EEENS1_30default_config_static_selectorELNS0_4arch9wavefront6targetE0EEEvT1_
; %bb.0:
	.section	.rodata,"a",@progbits
	.p2align	6, 0x0
	.amdhsa_kernel _ZN7rocprim17ROCPRIM_400000_NS6detail17trampoline_kernelINS0_14default_configENS1_29reduce_by_key_config_selectorIxxN6thrust23THRUST_200600_302600_NS4plusIxEEEEZZNS1_33reduce_by_key_impl_wrapped_configILNS1_25lookback_scan_determinismE0ES3_S9_NS6_6detail15normal_iteratorINS6_10device_ptrIxEEEESG_SG_SG_PmS8_22is_equal_div_10_reduceIxEEE10hipError_tPvRmT2_T3_mT4_T5_T6_T7_T8_P12ihipStream_tbENKUlT_T0_E_clISt17integral_constantIbLb1EES11_EEDaSW_SX_EUlSW_E_NS1_11comp_targetILNS1_3genE10ELNS1_11target_archE1200ELNS1_3gpuE4ELNS1_3repE0EEENS1_30default_config_static_selectorELNS0_4arch9wavefront6targetE0EEEvT1_
		.amdhsa_group_segment_fixed_size 0
		.amdhsa_private_segment_fixed_size 0
		.amdhsa_kernarg_size 136
		.amdhsa_user_sgpr_count 15
		.amdhsa_user_sgpr_dispatch_ptr 0
		.amdhsa_user_sgpr_queue_ptr 0
		.amdhsa_user_sgpr_kernarg_segment_ptr 1
		.amdhsa_user_sgpr_dispatch_id 0
		.amdhsa_user_sgpr_private_segment_size 0
		.amdhsa_wavefront_size32 1
		.amdhsa_uses_dynamic_stack 0
		.amdhsa_enable_private_segment 0
		.amdhsa_system_sgpr_workgroup_id_x 1
		.amdhsa_system_sgpr_workgroup_id_y 0
		.amdhsa_system_sgpr_workgroup_id_z 0
		.amdhsa_system_sgpr_workgroup_info 0
		.amdhsa_system_vgpr_workitem_id 0
		.amdhsa_next_free_vgpr 1
		.amdhsa_next_free_sgpr 1
		.amdhsa_reserve_vcc 0
		.amdhsa_float_round_mode_32 0
		.amdhsa_float_round_mode_16_64 0
		.amdhsa_float_denorm_mode_32 3
		.amdhsa_float_denorm_mode_16_64 3
		.amdhsa_dx10_clamp 1
		.amdhsa_ieee_mode 1
		.amdhsa_fp16_overflow 0
		.amdhsa_workgroup_processor_mode 1
		.amdhsa_memory_ordered 1
		.amdhsa_forward_progress 0
		.amdhsa_shared_vgpr_count 0
		.amdhsa_exception_fp_ieee_invalid_op 0
		.amdhsa_exception_fp_denorm_src 0
		.amdhsa_exception_fp_ieee_div_zero 0
		.amdhsa_exception_fp_ieee_overflow 0
		.amdhsa_exception_fp_ieee_underflow 0
		.amdhsa_exception_fp_ieee_inexact 0
		.amdhsa_exception_int_div_zero 0
	.end_amdhsa_kernel
	.section	.text._ZN7rocprim17ROCPRIM_400000_NS6detail17trampoline_kernelINS0_14default_configENS1_29reduce_by_key_config_selectorIxxN6thrust23THRUST_200600_302600_NS4plusIxEEEEZZNS1_33reduce_by_key_impl_wrapped_configILNS1_25lookback_scan_determinismE0ES3_S9_NS6_6detail15normal_iteratorINS6_10device_ptrIxEEEESG_SG_SG_PmS8_22is_equal_div_10_reduceIxEEE10hipError_tPvRmT2_T3_mT4_T5_T6_T7_T8_P12ihipStream_tbENKUlT_T0_E_clISt17integral_constantIbLb1EES11_EEDaSW_SX_EUlSW_E_NS1_11comp_targetILNS1_3genE10ELNS1_11target_archE1200ELNS1_3gpuE4ELNS1_3repE0EEENS1_30default_config_static_selectorELNS0_4arch9wavefront6targetE0EEEvT1_,"axG",@progbits,_ZN7rocprim17ROCPRIM_400000_NS6detail17trampoline_kernelINS0_14default_configENS1_29reduce_by_key_config_selectorIxxN6thrust23THRUST_200600_302600_NS4plusIxEEEEZZNS1_33reduce_by_key_impl_wrapped_configILNS1_25lookback_scan_determinismE0ES3_S9_NS6_6detail15normal_iteratorINS6_10device_ptrIxEEEESG_SG_SG_PmS8_22is_equal_div_10_reduceIxEEE10hipError_tPvRmT2_T3_mT4_T5_T6_T7_T8_P12ihipStream_tbENKUlT_T0_E_clISt17integral_constantIbLb1EES11_EEDaSW_SX_EUlSW_E_NS1_11comp_targetILNS1_3genE10ELNS1_11target_archE1200ELNS1_3gpuE4ELNS1_3repE0EEENS1_30default_config_static_selectorELNS0_4arch9wavefront6targetE0EEEvT1_,comdat
.Lfunc_end523:
	.size	_ZN7rocprim17ROCPRIM_400000_NS6detail17trampoline_kernelINS0_14default_configENS1_29reduce_by_key_config_selectorIxxN6thrust23THRUST_200600_302600_NS4plusIxEEEEZZNS1_33reduce_by_key_impl_wrapped_configILNS1_25lookback_scan_determinismE0ES3_S9_NS6_6detail15normal_iteratorINS6_10device_ptrIxEEEESG_SG_SG_PmS8_22is_equal_div_10_reduceIxEEE10hipError_tPvRmT2_T3_mT4_T5_T6_T7_T8_P12ihipStream_tbENKUlT_T0_E_clISt17integral_constantIbLb1EES11_EEDaSW_SX_EUlSW_E_NS1_11comp_targetILNS1_3genE10ELNS1_11target_archE1200ELNS1_3gpuE4ELNS1_3repE0EEENS1_30default_config_static_selectorELNS0_4arch9wavefront6targetE0EEEvT1_, .Lfunc_end523-_ZN7rocprim17ROCPRIM_400000_NS6detail17trampoline_kernelINS0_14default_configENS1_29reduce_by_key_config_selectorIxxN6thrust23THRUST_200600_302600_NS4plusIxEEEEZZNS1_33reduce_by_key_impl_wrapped_configILNS1_25lookback_scan_determinismE0ES3_S9_NS6_6detail15normal_iteratorINS6_10device_ptrIxEEEESG_SG_SG_PmS8_22is_equal_div_10_reduceIxEEE10hipError_tPvRmT2_T3_mT4_T5_T6_T7_T8_P12ihipStream_tbENKUlT_T0_E_clISt17integral_constantIbLb1EES11_EEDaSW_SX_EUlSW_E_NS1_11comp_targetILNS1_3genE10ELNS1_11target_archE1200ELNS1_3gpuE4ELNS1_3repE0EEENS1_30default_config_static_selectorELNS0_4arch9wavefront6targetE0EEEvT1_
                                        ; -- End function
	.section	.AMDGPU.csdata,"",@progbits
; Kernel info:
; codeLenInByte = 0
; NumSgprs: 0
; NumVgprs: 0
; ScratchSize: 0
; MemoryBound: 0
; FloatMode: 240
; IeeeMode: 1
; LDSByteSize: 0 bytes/workgroup (compile time only)
; SGPRBlocks: 0
; VGPRBlocks: 0
; NumSGPRsForWavesPerEU: 1
; NumVGPRsForWavesPerEU: 1
; Occupancy: 16
; WaveLimiterHint : 0
; COMPUTE_PGM_RSRC2:SCRATCH_EN: 0
; COMPUTE_PGM_RSRC2:USER_SGPR: 15
; COMPUTE_PGM_RSRC2:TRAP_HANDLER: 0
; COMPUTE_PGM_RSRC2:TGID_X_EN: 1
; COMPUTE_PGM_RSRC2:TGID_Y_EN: 0
; COMPUTE_PGM_RSRC2:TGID_Z_EN: 0
; COMPUTE_PGM_RSRC2:TIDIG_COMP_CNT: 0
	.section	.text._ZN7rocprim17ROCPRIM_400000_NS6detail17trampoline_kernelINS0_14default_configENS1_29reduce_by_key_config_selectorIxxN6thrust23THRUST_200600_302600_NS4plusIxEEEEZZNS1_33reduce_by_key_impl_wrapped_configILNS1_25lookback_scan_determinismE0ES3_S9_NS6_6detail15normal_iteratorINS6_10device_ptrIxEEEESG_SG_SG_PmS8_22is_equal_div_10_reduceIxEEE10hipError_tPvRmT2_T3_mT4_T5_T6_T7_T8_P12ihipStream_tbENKUlT_T0_E_clISt17integral_constantIbLb1EES11_EEDaSW_SX_EUlSW_E_NS1_11comp_targetILNS1_3genE9ELNS1_11target_archE1100ELNS1_3gpuE3ELNS1_3repE0EEENS1_30default_config_static_selectorELNS0_4arch9wavefront6targetE0EEEvT1_,"axG",@progbits,_ZN7rocprim17ROCPRIM_400000_NS6detail17trampoline_kernelINS0_14default_configENS1_29reduce_by_key_config_selectorIxxN6thrust23THRUST_200600_302600_NS4plusIxEEEEZZNS1_33reduce_by_key_impl_wrapped_configILNS1_25lookback_scan_determinismE0ES3_S9_NS6_6detail15normal_iteratorINS6_10device_ptrIxEEEESG_SG_SG_PmS8_22is_equal_div_10_reduceIxEEE10hipError_tPvRmT2_T3_mT4_T5_T6_T7_T8_P12ihipStream_tbENKUlT_T0_E_clISt17integral_constantIbLb1EES11_EEDaSW_SX_EUlSW_E_NS1_11comp_targetILNS1_3genE9ELNS1_11target_archE1100ELNS1_3gpuE3ELNS1_3repE0EEENS1_30default_config_static_selectorELNS0_4arch9wavefront6targetE0EEEvT1_,comdat
	.protected	_ZN7rocprim17ROCPRIM_400000_NS6detail17trampoline_kernelINS0_14default_configENS1_29reduce_by_key_config_selectorIxxN6thrust23THRUST_200600_302600_NS4plusIxEEEEZZNS1_33reduce_by_key_impl_wrapped_configILNS1_25lookback_scan_determinismE0ES3_S9_NS6_6detail15normal_iteratorINS6_10device_ptrIxEEEESG_SG_SG_PmS8_22is_equal_div_10_reduceIxEEE10hipError_tPvRmT2_T3_mT4_T5_T6_T7_T8_P12ihipStream_tbENKUlT_T0_E_clISt17integral_constantIbLb1EES11_EEDaSW_SX_EUlSW_E_NS1_11comp_targetILNS1_3genE9ELNS1_11target_archE1100ELNS1_3gpuE3ELNS1_3repE0EEENS1_30default_config_static_selectorELNS0_4arch9wavefront6targetE0EEEvT1_ ; -- Begin function _ZN7rocprim17ROCPRIM_400000_NS6detail17trampoline_kernelINS0_14default_configENS1_29reduce_by_key_config_selectorIxxN6thrust23THRUST_200600_302600_NS4plusIxEEEEZZNS1_33reduce_by_key_impl_wrapped_configILNS1_25lookback_scan_determinismE0ES3_S9_NS6_6detail15normal_iteratorINS6_10device_ptrIxEEEESG_SG_SG_PmS8_22is_equal_div_10_reduceIxEEE10hipError_tPvRmT2_T3_mT4_T5_T6_T7_T8_P12ihipStream_tbENKUlT_T0_E_clISt17integral_constantIbLb1EES11_EEDaSW_SX_EUlSW_E_NS1_11comp_targetILNS1_3genE9ELNS1_11target_archE1100ELNS1_3gpuE3ELNS1_3repE0EEENS1_30default_config_static_selectorELNS0_4arch9wavefront6targetE0EEEvT1_
	.globl	_ZN7rocprim17ROCPRIM_400000_NS6detail17trampoline_kernelINS0_14default_configENS1_29reduce_by_key_config_selectorIxxN6thrust23THRUST_200600_302600_NS4plusIxEEEEZZNS1_33reduce_by_key_impl_wrapped_configILNS1_25lookback_scan_determinismE0ES3_S9_NS6_6detail15normal_iteratorINS6_10device_ptrIxEEEESG_SG_SG_PmS8_22is_equal_div_10_reduceIxEEE10hipError_tPvRmT2_T3_mT4_T5_T6_T7_T8_P12ihipStream_tbENKUlT_T0_E_clISt17integral_constantIbLb1EES11_EEDaSW_SX_EUlSW_E_NS1_11comp_targetILNS1_3genE9ELNS1_11target_archE1100ELNS1_3gpuE3ELNS1_3repE0EEENS1_30default_config_static_selectorELNS0_4arch9wavefront6targetE0EEEvT1_
	.p2align	8
	.type	_ZN7rocprim17ROCPRIM_400000_NS6detail17trampoline_kernelINS0_14default_configENS1_29reduce_by_key_config_selectorIxxN6thrust23THRUST_200600_302600_NS4plusIxEEEEZZNS1_33reduce_by_key_impl_wrapped_configILNS1_25lookback_scan_determinismE0ES3_S9_NS6_6detail15normal_iteratorINS6_10device_ptrIxEEEESG_SG_SG_PmS8_22is_equal_div_10_reduceIxEEE10hipError_tPvRmT2_T3_mT4_T5_T6_T7_T8_P12ihipStream_tbENKUlT_T0_E_clISt17integral_constantIbLb1EES11_EEDaSW_SX_EUlSW_E_NS1_11comp_targetILNS1_3genE9ELNS1_11target_archE1100ELNS1_3gpuE3ELNS1_3repE0EEENS1_30default_config_static_selectorELNS0_4arch9wavefront6targetE0EEEvT1_,@function
_ZN7rocprim17ROCPRIM_400000_NS6detail17trampoline_kernelINS0_14default_configENS1_29reduce_by_key_config_selectorIxxN6thrust23THRUST_200600_302600_NS4plusIxEEEEZZNS1_33reduce_by_key_impl_wrapped_configILNS1_25lookback_scan_determinismE0ES3_S9_NS6_6detail15normal_iteratorINS6_10device_ptrIxEEEESG_SG_SG_PmS8_22is_equal_div_10_reduceIxEEE10hipError_tPvRmT2_T3_mT4_T5_T6_T7_T8_P12ihipStream_tbENKUlT_T0_E_clISt17integral_constantIbLb1EES11_EEDaSW_SX_EUlSW_E_NS1_11comp_targetILNS1_3genE9ELNS1_11target_archE1100ELNS1_3gpuE3ELNS1_3repE0EEENS1_30default_config_static_selectorELNS0_4arch9wavefront6targetE0EEEvT1_: ; @_ZN7rocprim17ROCPRIM_400000_NS6detail17trampoline_kernelINS0_14default_configENS1_29reduce_by_key_config_selectorIxxN6thrust23THRUST_200600_302600_NS4plusIxEEEEZZNS1_33reduce_by_key_impl_wrapped_configILNS1_25lookback_scan_determinismE0ES3_S9_NS6_6detail15normal_iteratorINS6_10device_ptrIxEEEESG_SG_SG_PmS8_22is_equal_div_10_reduceIxEEE10hipError_tPvRmT2_T3_mT4_T5_T6_T7_T8_P12ihipStream_tbENKUlT_T0_E_clISt17integral_constantIbLb1EES11_EEDaSW_SX_EUlSW_E_NS1_11comp_targetILNS1_3genE9ELNS1_11target_archE1100ELNS1_3gpuE3ELNS1_3repE0EEENS1_30default_config_static_selectorELNS0_4arch9wavefront6targetE0EEEvT1_
; %bb.0:
	s_clause 0x2
	s_load_b256 s[12:19], s[0:1], 0x0
	s_load_b128 s[20:23], s[0:1], 0x20
	s_load_b64 s[24:25], s[0:1], 0x78
	v_cmp_ne_u32_e64 s3, 0, v0
	v_cmp_eq_u32_e64 s2, 0, v0
	s_delay_alu instid0(VALU_DEP_1)
	s_and_saveexec_b32 s4, s2
	s_cbranch_execz .LBB524_4
; %bb.1:
	s_mov_b32 s6, exec_lo
	s_mov_b32 s5, exec_lo
	v_mbcnt_lo_u32_b32 v1, s6, 0
                                        ; implicit-def: $vgpr2
	s_delay_alu instid0(VALU_DEP_1)
	v_cmpx_eq_u32_e32 0, v1
	s_cbranch_execz .LBB524_3
; %bb.2:
	s_load_b64 s[8:9], s[0:1], 0x80
	s_bcnt1_i32_b32 s6, s6
	s_delay_alu instid0(SALU_CYCLE_1)
	v_dual_mov_b32 v2, 0 :: v_dual_mov_b32 v3, s6
	s_waitcnt lgkmcnt(0)
	global_atomic_add_u32 v2, v2, v3, s[8:9] glc
.LBB524_3:
	s_or_b32 exec_lo, exec_lo, s5
	s_waitcnt vmcnt(0)
	v_readfirstlane_b32 s5, v2
	s_delay_alu instid0(VALU_DEP_1)
	v_dual_mov_b32 v2, 0 :: v_dual_add_nc_u32 v1, s5, v1
	ds_store_b32 v2, v1
.LBB524_4:
	s_or_b32 exec_lo, exec_lo, s4
	v_mov_b32_e32 v2, 0
	s_waitcnt lgkmcnt(0)
	s_barrier
	buffer_gl0_inv
	s_load_b512 s[36:51], s[0:1], 0x38
	ds_load_b32 v1, v2
	s_lshl_b64 s[4:5], s[14:15], 3
	s_mov_b32 s0, 0
	s_add_u32 s9, s12, s4
	s_addc_u32 s10, s13, s5
	s_add_u32 s11, s16, s4
	s_addc_u32 s12, s17, s5
	s_waitcnt lgkmcnt(0)
	s_barrier
	buffer_gl0_inv
	s_mul_i32 s1, s44, s43
	v_readfirstlane_b32 s30, v1
	v_mul_lo_u32 v1, 0xf00, v1
	s_mul_hi_u32 s6, s44, s42
	s_mul_i32 s7, s45, s42
	s_add_i32 s1, s6, s1
	s_mul_i32 s8, s44, s42
	s_add_i32 s1, s1, s7
	s_add_u32 s26, s8, s30
	s_addc_u32 s27, s1, 0
	v_lshlrev_b64 v[1:2], 3, v[1:2]
	s_add_u32 s4, s46, -1
	s_addc_u32 s5, s47, -1
	s_mul_i32 s28, s4, 0xfffff100
	s_cmp_eq_u64 s[26:27], s[4:5]
	s_delay_alu instid0(VALU_DEP_1)
	v_add_co_u32 v71, vcc_lo, s9, v1
	v_add_co_ci_u32_e32 v75, vcc_lo, s10, v2, vcc_lo
	v_add_co_u32 v61, vcc_lo, s11, v1
	v_add_co_ci_u32_e32 v62, vcc_lo, s12, v2, vcc_lo
	s_cselect_b32 s17, -1, 0
	s_cmp_lg_u64 s[26:27], s[4:5]
	s_cselect_b32 s31, -1, 0
	s_and_b32 vcc_lo, exec_lo, s17
	s_cbranch_vccnz .LBB524_6
; %bb.5:
	v_lshlrev_b32_e32 v64, 3, v0
	s_delay_alu instid0(VALU_DEP_1) | instskip(SKIP_2) | instid1(VALU_DEP_3)
	v_add_co_u32 v1, vcc_lo, v71, v64
	v_add_co_ci_u32_e32 v2, vcc_lo, 0, v75, vcc_lo
	v_mad_u32_u24 v63, 0x70, v0, v64
	v_add_co_u32 v3, vcc_lo, 0x1000, v1
	s_delay_alu instid0(VALU_DEP_3)
	v_add_co_ci_u32_e32 v4, vcc_lo, 0, v2, vcc_lo
	v_add_co_u32 v5, vcc_lo, 0x2000, v1
	v_add_co_ci_u32_e32 v6, vcc_lo, 0, v2, vcc_lo
	v_add_co_u32 v7, vcc_lo, 0x3000, v1
	;; [unrolled: 2-line block ×5, first 2 shown]
	v_add_co_ci_u32_e32 v24, vcc_lo, 0, v2, vcc_lo
	s_clause 0x7
	flat_load_b64 v[9:10], v[1:2]
	flat_load_b64 v[11:12], v[1:2] offset:2048
	flat_load_b64 v[13:14], v[3:4]
	flat_load_b64 v[3:4], v[3:4] offset:2048
	;; [unrolled: 2-line block ×4, first 2 shown]
	v_add_co_u32 v1, vcc_lo, 0x7000, v1
	v_add_co_ci_u32_e32 v2, vcc_lo, 0, v2, vcc_lo
	s_clause 0x6
	flat_load_b64 v[25:26], v[19:20]
	flat_load_b64 v[19:20], v[19:20] offset:2048
	flat_load_b64 v[27:28], v[21:22]
	flat_load_b64 v[21:22], v[21:22] offset:2048
	;; [unrolled: 2-line block ×3, first 2 shown]
	flat_load_b64 v[1:2], v[1:2]
	v_add_co_u32 v31, vcc_lo, v61, v64
	v_add_co_ci_u32_e32 v32, vcc_lo, 0, v62, vcc_lo
	s_waitcnt vmcnt(13) lgkmcnt(13)
	ds_store_2addr_stride64_b64 v64, v[9:10], v[11:12] offset1:4
	s_waitcnt vmcnt(11) lgkmcnt(12)
	ds_store_2addr_stride64_b64 v64, v[13:14], v[3:4] offset0:8 offset1:12
	s_waitcnt vmcnt(9) lgkmcnt(11)
	ds_store_2addr_stride64_b64 v64, v[15:16], v[5:6] offset0:16 offset1:20
	;; [unrolled: 2-line block ×6, first 2 shown]
	s_waitcnt vmcnt(0) lgkmcnt(7)
	ds_store_b64 v64, v[1:2] offset:28672
	v_add_co_u32 v33, vcc_lo, 0x1000, v31
	v_add_co_ci_u32_e32 v34, vcc_lo, 0, v32, vcc_lo
	v_add_co_u32 v35, vcc_lo, 0x2000, v31
	v_add_co_ci_u32_e32 v36, vcc_lo, 0, v32, vcc_lo
	v_add_co_u32 v37, vcc_lo, 0x3000, v31
	v_add_co_ci_u32_e32 v38, vcc_lo, 0, v32, vcc_lo
	v_add_co_u32 v39, vcc_lo, 0x4000, v31
	v_add_co_ci_u32_e32 v40, vcc_lo, 0, v32, vcc_lo
	v_add_co_u32 v41, vcc_lo, 0x5000, v31
	v_add_co_ci_u32_e32 v42, vcc_lo, 0, v32, vcc_lo
	v_add_co_u32 v43, vcc_lo, 0x6000, v31
	v_add_co_ci_u32_e32 v44, vcc_lo, 0, v32, vcc_lo
	v_add_co_u32 v45, vcc_lo, 0x7000, v31
	v_add_co_ci_u32_e32 v46, vcc_lo, 0, v32, vcc_lo
	s_waitcnt lgkmcnt(0)
	s_barrier
	buffer_gl0_inv
	ds_load_2addr_b64 v[25:28], v63 offset1:1
	ds_load_2addr_b64 v[21:24], v63 offset0:2 offset1:3
	ds_load_2addr_b64 v[17:20], v63 offset0:4 offset1:5
	;; [unrolled: 1-line block ×6, first 2 shown]
	ds_load_b64 v[57:58], v63 offset:112
	s_waitcnt lgkmcnt(0)
	s_barrier
	buffer_gl0_inv
	s_clause 0xe
	flat_load_b64 v[29:30], v[31:32]
	flat_load_b64 v[31:32], v[31:32] offset:2048
	flat_load_b64 v[47:48], v[33:34]
	flat_load_b64 v[33:34], v[33:34] offset:2048
	;; [unrolled: 2-line block ×7, first 2 shown]
	flat_load_b64 v[45:46], v[45:46]
	s_waitcnt vmcnt(13) lgkmcnt(13)
	ds_store_2addr_stride64_b64 v64, v[29:30], v[31:32] offset1:4
	s_waitcnt vmcnt(11) lgkmcnt(12)
	ds_store_2addr_stride64_b64 v64, v[47:48], v[33:34] offset0:8 offset1:12
	s_waitcnt vmcnt(9) lgkmcnt(11)
	ds_store_2addr_stride64_b64 v64, v[49:50], v[35:36] offset0:16 offset1:20
	;; [unrolled: 2-line block ×6, first 2 shown]
	s_waitcnt vmcnt(0) lgkmcnt(7)
	ds_store_b64 v64, v[45:46] offset:28672
	s_waitcnt lgkmcnt(0)
	s_barrier
	s_and_not1_b32 vcc_lo, exec_lo, s0
	s_add_i32 s28, s28, s48
	s_cbranch_vccz .LBB524_7
	s_branch .LBB524_54
.LBB524_6:
                                        ; implicit-def: $vgpr63
                                        ; implicit-def: $vgpr25_vgpr26
                                        ; implicit-def: $vgpr21_vgpr22
                                        ; implicit-def: $vgpr17_vgpr18
                                        ; implicit-def: $vgpr13_vgpr14
                                        ; implicit-def: $vgpr9_vgpr10
                                        ; implicit-def: $vgpr5_vgpr6
                                        ; implicit-def: $vgpr1_vgpr2
                                        ; implicit-def: $vgpr57_vgpr58
	s_add_i32 s28, s28, s48
.LBB524_7:
	s_delay_alu instid0(SALU_CYCLE_1)
	v_cmp_gt_u32_e32 vcc_lo, s28, v0
                                        ; implicit-def: $vgpr1_vgpr2
	s_and_saveexec_b32 s1, vcc_lo
	s_cbranch_execz .LBB524_9
; %bb.8:
	v_lshlrev_b32_e32 v1, 3, v0
	s_delay_alu instid0(VALU_DEP_1) | instskip(NEXT) | instid1(VALU_DEP_1)
	v_add_co_u32 v1, s0, v71, v1
	v_add_co_ci_u32_e64 v2, s0, 0, v75, s0
	flat_load_b64 v[1:2], v[1:2]
.LBB524_9:
	s_or_b32 exec_lo, exec_lo, s1
	v_or_b32_e32 v3, 0x100, v0
	s_delay_alu instid0(VALU_DEP_1) | instskip(NEXT) | instid1(VALU_DEP_1)
	v_cmp_gt_u32_e64 s0, s28, v3
                                        ; implicit-def: $vgpr3_vgpr4
	s_and_saveexec_b32 s4, s0
	s_cbranch_execz .LBB524_11
; %bb.10:
	v_lshlrev_b32_e32 v3, 3, v0
	s_delay_alu instid0(VALU_DEP_1) | instskip(NEXT) | instid1(VALU_DEP_1)
	v_add_co_u32 v3, s1, v71, v3
	v_add_co_ci_u32_e64 v4, s1, 0, v75, s1
	flat_load_b64 v[3:4], v[3:4] offset:2048
.LBB524_11:
	s_or_b32 exec_lo, exec_lo, s4
	v_or_b32_e32 v35, 0x200, v0
                                        ; implicit-def: $vgpr5_vgpr6
	s_delay_alu instid0(VALU_DEP_1) | instskip(NEXT) | instid1(VALU_DEP_1)
	v_cmp_gt_u32_e64 s1, s28, v35
	s_and_saveexec_b32 s5, s1
	s_cbranch_execz .LBB524_13
; %bb.12:
	v_lshlrev_b32_e32 v5, 3, v35
	s_delay_alu instid0(VALU_DEP_1) | instskip(NEXT) | instid1(VALU_DEP_1)
	v_add_co_u32 v5, s4, v71, v5
	v_add_co_ci_u32_e64 v6, s4, 0, v75, s4
	flat_load_b64 v[5:6], v[5:6]
.LBB524_13:
	s_or_b32 exec_lo, exec_lo, s5
	v_or_b32_e32 v37, 0x300, v0
                                        ; implicit-def: $vgpr7_vgpr8
	s_delay_alu instid0(VALU_DEP_1) | instskip(NEXT) | instid1(VALU_DEP_1)
	v_cmp_gt_u32_e64 s4, s28, v37
	s_and_saveexec_b32 s6, s4
	s_cbranch_execz .LBB524_15
; %bb.14:
	v_lshlrev_b32_e32 v7, 3, v37
	s_delay_alu instid0(VALU_DEP_1) | instskip(NEXT) | instid1(VALU_DEP_1)
	v_add_co_u32 v7, s5, v71, v7
	v_add_co_ci_u32_e64 v8, s5, 0, v75, s5
	flat_load_b64 v[7:8], v[7:8]
.LBB524_15:
	s_or_b32 exec_lo, exec_lo, s6
	v_or_b32_e32 v39, 0x400, v0
                                        ; implicit-def: $vgpr9_vgpr10
	s_delay_alu instid0(VALU_DEP_1) | instskip(NEXT) | instid1(VALU_DEP_1)
	v_cmp_gt_u32_e64 s5, s28, v39
	s_and_saveexec_b32 s7, s5
	s_cbranch_execz .LBB524_17
; %bb.16:
	v_lshlrev_b32_e32 v9, 3, v39
	s_delay_alu instid0(VALU_DEP_1) | instskip(NEXT) | instid1(VALU_DEP_1)
	v_add_co_u32 v9, s6, v71, v9
	v_add_co_ci_u32_e64 v10, s6, 0, v75, s6
	flat_load_b64 v[9:10], v[9:10]
.LBB524_17:
	s_or_b32 exec_lo, exec_lo, s7
	v_or_b32_e32 v41, 0x500, v0
                                        ; implicit-def: $vgpr11_vgpr12
	s_delay_alu instid0(VALU_DEP_1) | instskip(NEXT) | instid1(VALU_DEP_1)
	v_cmp_gt_u32_e64 s6, s28, v41
	s_and_saveexec_b32 s8, s6
	s_cbranch_execz .LBB524_19
; %bb.18:
	v_lshlrev_b32_e32 v11, 3, v41
	s_delay_alu instid0(VALU_DEP_1) | instskip(NEXT) | instid1(VALU_DEP_1)
	v_add_co_u32 v11, s7, v71, v11
	v_add_co_ci_u32_e64 v12, s7, 0, v75, s7
	flat_load_b64 v[11:12], v[11:12]
.LBB524_19:
	s_or_b32 exec_lo, exec_lo, s8
	v_or_b32_e32 v43, 0x600, v0
                                        ; implicit-def: $vgpr13_vgpr14
	s_delay_alu instid0(VALU_DEP_1) | instskip(NEXT) | instid1(VALU_DEP_1)
	v_cmp_gt_u32_e64 s7, s28, v43
	s_and_saveexec_b32 s9, s7
	s_cbranch_execz .LBB524_21
; %bb.20:
	v_lshlrev_b32_e32 v13, 3, v43
	s_delay_alu instid0(VALU_DEP_1) | instskip(NEXT) | instid1(VALU_DEP_1)
	v_add_co_u32 v13, s8, v71, v13
	v_add_co_ci_u32_e64 v14, s8, 0, v75, s8
	flat_load_b64 v[13:14], v[13:14]
.LBB524_21:
	s_or_b32 exec_lo, exec_lo, s9
	v_or_b32_e32 v45, 0x700, v0
                                        ; implicit-def: $vgpr15_vgpr16
	s_delay_alu instid0(VALU_DEP_1) | instskip(NEXT) | instid1(VALU_DEP_1)
	v_cmp_gt_u32_e64 s8, s28, v45
	s_and_saveexec_b32 s10, s8
	s_cbranch_execz .LBB524_23
; %bb.22:
	v_lshlrev_b32_e32 v15, 3, v45
	s_delay_alu instid0(VALU_DEP_1) | instskip(NEXT) | instid1(VALU_DEP_1)
	v_add_co_u32 v15, s9, v71, v15
	v_add_co_ci_u32_e64 v16, s9, 0, v75, s9
	flat_load_b64 v[15:16], v[15:16]
.LBB524_23:
	s_or_b32 exec_lo, exec_lo, s10
	v_or_b32_e32 v47, 0x800, v0
                                        ; implicit-def: $vgpr17_vgpr18
	s_delay_alu instid0(VALU_DEP_1) | instskip(NEXT) | instid1(VALU_DEP_1)
	v_cmp_gt_u32_e64 s9, s28, v47
	s_and_saveexec_b32 s11, s9
	s_cbranch_execz .LBB524_25
; %bb.24:
	v_lshlrev_b32_e32 v17, 3, v47
	s_delay_alu instid0(VALU_DEP_1) | instskip(NEXT) | instid1(VALU_DEP_1)
	v_add_co_u32 v17, s10, v71, v17
	v_add_co_ci_u32_e64 v18, s10, 0, v75, s10
	flat_load_b64 v[17:18], v[17:18]
.LBB524_25:
	s_or_b32 exec_lo, exec_lo, s11
	v_or_b32_e32 v49, 0x900, v0
                                        ; implicit-def: $vgpr19_vgpr20
	s_delay_alu instid0(VALU_DEP_1) | instskip(NEXT) | instid1(VALU_DEP_1)
	v_cmp_gt_u32_e64 s10, s28, v49
	s_and_saveexec_b32 s12, s10
	s_cbranch_execz .LBB524_27
; %bb.26:
	v_lshlrev_b32_e32 v19, 3, v49
	s_delay_alu instid0(VALU_DEP_1) | instskip(NEXT) | instid1(VALU_DEP_1)
	v_add_co_u32 v19, s11, v71, v19
	v_add_co_ci_u32_e64 v20, s11, 0, v75, s11
	flat_load_b64 v[19:20], v[19:20]
.LBB524_27:
	s_or_b32 exec_lo, exec_lo, s12
	v_or_b32_e32 v51, 0xa00, v0
                                        ; implicit-def: $vgpr21_vgpr22
	s_delay_alu instid0(VALU_DEP_1) | instskip(NEXT) | instid1(VALU_DEP_1)
	v_cmp_gt_u32_e64 s11, s28, v51
	s_and_saveexec_b32 s13, s11
	s_cbranch_execz .LBB524_29
; %bb.28:
	v_lshlrev_b32_e32 v21, 3, v51
	s_delay_alu instid0(VALU_DEP_1) | instskip(NEXT) | instid1(VALU_DEP_1)
	v_add_co_u32 v21, s12, v71, v21
	v_add_co_ci_u32_e64 v22, s12, 0, v75, s12
	flat_load_b64 v[21:22], v[21:22]
.LBB524_29:
	s_or_b32 exec_lo, exec_lo, s13
	v_or_b32_e32 v53, 0xb00, v0
                                        ; implicit-def: $vgpr23_vgpr24
	s_delay_alu instid0(VALU_DEP_1) | instskip(NEXT) | instid1(VALU_DEP_1)
	v_cmp_gt_u32_e64 s12, s28, v53
	s_and_saveexec_b32 s14, s12
	s_cbranch_execz .LBB524_31
; %bb.30:
	v_lshlrev_b32_e32 v23, 3, v53
	s_delay_alu instid0(VALU_DEP_1) | instskip(NEXT) | instid1(VALU_DEP_1)
	v_add_co_u32 v23, s13, v71, v23
	v_add_co_ci_u32_e64 v24, s13, 0, v75, s13
	flat_load_b64 v[23:24], v[23:24]
.LBB524_31:
	s_or_b32 exec_lo, exec_lo, s14
	v_or_b32_e32 v55, 0xc00, v0
                                        ; implicit-def: $vgpr25_vgpr26
	s_delay_alu instid0(VALU_DEP_1) | instskip(NEXT) | instid1(VALU_DEP_1)
	v_cmp_gt_u32_e64 s13, s28, v55
	s_and_saveexec_b32 s15, s13
	s_cbranch_execz .LBB524_33
; %bb.32:
	v_lshlrev_b32_e32 v25, 3, v55
	s_delay_alu instid0(VALU_DEP_1) | instskip(NEXT) | instid1(VALU_DEP_1)
	v_add_co_u32 v25, s14, v71, v25
	v_add_co_ci_u32_e64 v26, s14, 0, v75, s14
	flat_load_b64 v[25:26], v[25:26]
.LBB524_33:
	s_or_b32 exec_lo, exec_lo, s15
	v_or_b32_e32 v59, 0xd00, v0
                                        ; implicit-def: $vgpr27_vgpr28
	s_delay_alu instid0(VALU_DEP_1) | instskip(NEXT) | instid1(VALU_DEP_1)
	v_cmp_gt_u32_e64 s14, s28, v59
	s_and_saveexec_b32 s16, s14
	s_cbranch_execz .LBB524_35
; %bb.34:
	v_lshlrev_b32_e32 v27, 3, v59
	s_delay_alu instid0(VALU_DEP_1) | instskip(NEXT) | instid1(VALU_DEP_1)
	v_add_co_u32 v27, s15, v71, v27
	v_add_co_ci_u32_e64 v28, s15, 0, v75, s15
	flat_load_b64 v[27:28], v[27:28]
.LBB524_35:
	s_or_b32 exec_lo, exec_lo, s16
	v_or_b32_e32 v65, 0xe00, v0
                                        ; implicit-def: $vgpr29_vgpr30
	s_delay_alu instid0(VALU_DEP_1) | instskip(NEXT) | instid1(VALU_DEP_1)
	v_cmp_gt_u32_e64 s15, s28, v65
	s_and_saveexec_b32 s29, s15
	s_cbranch_execz .LBB524_37
; %bb.36:
	v_lshlrev_b32_e32 v29, 3, v65
	s_delay_alu instid0(VALU_DEP_1) | instskip(NEXT) | instid1(VALU_DEP_1)
	v_add_co_u32 v29, s16, v71, v29
	v_add_co_ci_u32_e64 v30, s16, 0, v75, s16
	flat_load_b64 v[29:30], v[29:30]
.LBB524_37:
	s_or_b32 exec_lo, exec_lo, s29
	v_lshlrev_b32_e32 v64, 3, v0
	s_waitcnt vmcnt(0) lgkmcnt(0)
	ds_store_2addr_stride64_b64 v64, v[1:2], v[3:4] offset1:4
	ds_store_2addr_stride64_b64 v64, v[5:6], v[7:8] offset0:8 offset1:12
	ds_store_2addr_stride64_b64 v64, v[9:10], v[11:12] offset0:16 offset1:20
	;; [unrolled: 1-line block ×6, first 2 shown]
	v_mad_u32_u24 v63, 0x70, v0, v64
	ds_store_b64 v64, v[29:30] offset:28672
	s_waitcnt lgkmcnt(0)
	s_barrier
	buffer_gl0_inv
	ds_load_2addr_b64 v[25:28], v63 offset1:1
	ds_load_2addr_b64 v[21:24], v63 offset0:2 offset1:3
	ds_load_2addr_b64 v[17:20], v63 offset0:4 offset1:5
	;; [unrolled: 1-line block ×6, first 2 shown]
	ds_load_b64 v[57:58], v63 offset:112
	s_waitcnt lgkmcnt(0)
	s_barrier
	buffer_gl0_inv
                                        ; implicit-def: $vgpr29_vgpr30
	s_and_saveexec_b32 s16, vcc_lo
	s_cbranch_execnz .LBB524_61
; %bb.38:
	s_or_b32 exec_lo, exec_lo, s16
                                        ; implicit-def: $vgpr31_vgpr32
	s_and_saveexec_b32 s16, s0
	s_cbranch_execnz .LBB524_62
.LBB524_39:
	s_or_b32 exec_lo, exec_lo, s16
                                        ; implicit-def: $vgpr33_vgpr34
	s_and_saveexec_b32 s0, s1
	s_cbranch_execnz .LBB524_63
.LBB524_40:
	s_or_b32 exec_lo, exec_lo, s0
                                        ; implicit-def: $vgpr35_vgpr36
	s_and_saveexec_b32 s0, s4
	s_cbranch_execnz .LBB524_64
.LBB524_41:
	s_or_b32 exec_lo, exec_lo, s0
                                        ; implicit-def: $vgpr37_vgpr38
	s_and_saveexec_b32 s0, s5
	s_cbranch_execnz .LBB524_65
.LBB524_42:
	s_or_b32 exec_lo, exec_lo, s0
                                        ; implicit-def: $vgpr39_vgpr40
	s_and_saveexec_b32 s0, s6
	s_cbranch_execnz .LBB524_66
.LBB524_43:
	s_or_b32 exec_lo, exec_lo, s0
                                        ; implicit-def: $vgpr41_vgpr42
	s_and_saveexec_b32 s0, s7
	s_cbranch_execnz .LBB524_67
.LBB524_44:
	s_or_b32 exec_lo, exec_lo, s0
                                        ; implicit-def: $vgpr43_vgpr44
	s_and_saveexec_b32 s0, s8
	s_cbranch_execnz .LBB524_68
.LBB524_45:
	s_or_b32 exec_lo, exec_lo, s0
                                        ; implicit-def: $vgpr45_vgpr46
	s_and_saveexec_b32 s0, s9
	s_cbranch_execnz .LBB524_69
.LBB524_46:
	s_or_b32 exec_lo, exec_lo, s0
                                        ; implicit-def: $vgpr47_vgpr48
	s_and_saveexec_b32 s0, s10
	s_cbranch_execnz .LBB524_70
.LBB524_47:
	s_or_b32 exec_lo, exec_lo, s0
                                        ; implicit-def: $vgpr49_vgpr50
	s_and_saveexec_b32 s0, s11
	s_cbranch_execnz .LBB524_71
.LBB524_48:
	s_or_b32 exec_lo, exec_lo, s0
                                        ; implicit-def: $vgpr51_vgpr52
	s_and_saveexec_b32 s0, s12
	s_cbranch_execnz .LBB524_72
.LBB524_49:
	s_or_b32 exec_lo, exec_lo, s0
                                        ; implicit-def: $vgpr53_vgpr54
	s_and_saveexec_b32 s0, s13
	s_cbranch_execnz .LBB524_73
.LBB524_50:
	s_or_b32 exec_lo, exec_lo, s0
                                        ; implicit-def: $vgpr55_vgpr56
	s_and_saveexec_b32 s0, s14
	s_cbranch_execnz .LBB524_74
.LBB524_51:
	s_or_b32 exec_lo, exec_lo, s0
                                        ; implicit-def: $vgpr59_vgpr60
	s_and_saveexec_b32 s0, s15
	s_cbranch_execz .LBB524_53
.LBB524_52:
	v_lshlrev_b32_e32 v59, 3, v65
	s_delay_alu instid0(VALU_DEP_1)
	v_add_co_u32 v59, vcc_lo, v61, v59
	v_add_co_ci_u32_e32 v60, vcc_lo, 0, v62, vcc_lo
	flat_load_b64 v[59:60], v[59:60]
.LBB524_53:
	s_or_b32 exec_lo, exec_lo, s0
	s_waitcnt vmcnt(0) lgkmcnt(0)
	ds_store_2addr_stride64_b64 v64, v[29:30], v[31:32] offset1:4
	ds_store_2addr_stride64_b64 v64, v[33:34], v[35:36] offset0:8 offset1:12
	ds_store_2addr_stride64_b64 v64, v[37:38], v[39:40] offset0:16 offset1:20
	;; [unrolled: 1-line block ×6, first 2 shown]
	ds_store_b64 v64, v[59:60] offset:28672
	s_waitcnt lgkmcnt(0)
	s_barrier
.LBB524_54:
	buffer_gl0_inv
	ds_load_2addr_b64 v[53:56], v63 offset1:1
	ds_load_2addr_b64 v[49:52], v63 offset0:2 offset1:3
	ds_load_2addr_b64 v[45:48], v63 offset0:4 offset1:5
	;; [unrolled: 1-line block ×6, first 2 shown]
	ds_load_b64 v[73:74], v63 offset:112
	s_cmp_eq_u64 s[26:27], 0
	s_waitcnt lgkmcnt(0)
	s_cselect_b32 s29, -1, 0
	s_cmp_lg_u64 s[26:27], 0
	s_barrier
	s_cselect_b32 s16, -1, 0
	s_and_b32 vcc_lo, exec_lo, s31
	buffer_gl0_inv
	s_cbranch_vccz .LBB524_60
; %bb.55:
	s_and_b32 vcc_lo, exec_lo, s16
	s_cbranch_vccz .LBB524_75
; %bb.56:
	v_add_co_u32 v59, vcc_lo, -8, v71
	v_add_co_ci_u32_e32 v60, vcc_lo, -1, v75, vcc_lo
	v_mul_hi_i32 v61, 0x66666667, v57
	v_mul_hi_i32 v62, 0x66666667, v1
	;; [unrolled: 1-line block ×3, first 2 shown]
	flat_load_b64 v[59:60], v[59:60]
	s_waitcnt vmcnt(0) lgkmcnt(0)
	v_mul_hi_i32 v60, 0x66666667, v3
	v_mul_hi_i32 v68, 0x66666667, v5
	;; [unrolled: 1-line block ×3, first 2 shown]
	s_mov_b32 s15, -1
	v_lshrrev_b32_e32 v65, 31, v61
	v_ashrrev_i32_e32 v61, 2, v61
	v_lshrrev_b32_e32 v66, 31, v62
	v_ashrrev_i32_e32 v62, 2, v62
	;; [unrolled: 2-line block ×3, first 2 shown]
	v_add_nc_u32_e32 v61, v61, v65
	v_lshrrev_b32_e32 v65, 31, v67
	v_add_nc_u32_e32 v62, v62, v66
	v_ashrrev_i32_e32 v66, 2, v67
	v_add_nc_u32_e32 v63, v64, v63
	v_mul_hi_i32 v64, 0x66666667, v11
	v_lshrrev_b32_e32 v67, 31, v68
	v_ashrrev_i32_e32 v68, 2, v68
	v_lshlrev_b32_e32 v60, 3, v0
	v_cmp_ne_u32_e32 vcc_lo, v63, v61
	v_add_nc_u32_e32 v61, v66, v65
	v_cmp_ne_u32_e64 s0, v62, v63
	v_add_nc_u32_e32 v63, v68, v67
	v_lshrrev_b32_e32 v70, 31, v64
	v_ashrrev_i32_e32 v64, 2, v64
	v_mul_hi_i32 v66, 0x66666667, v15
	v_mul_hi_i32 v68, 0x66666667, v13
	v_cmp_ne_u32_e64 s1, v61, v62
	v_mul_hi_i32 v62, 0x66666667, v19
	v_add_nc_u32_e32 v64, v64, v70
	v_lshrrev_b32_e32 v65, 31, v69
	v_ashrrev_i32_e32 v67, 2, v69
	v_cmp_ne_u32_e64 s4, v63, v61
	ds_store_b64 v60, v[57:58]
	v_cmp_ne_u32_e64 s5, v64, v63
	v_lshrrev_b32_e32 v63, 31, v66
	v_add_nc_u32_e32 v61, v67, v65
	v_ashrrev_i32_e32 v65, 2, v66
	v_lshrrev_b32_e32 v66, 31, v68
	v_ashrrev_i32_e32 v67, 2, v68
	v_lshrrev_b32_e32 v68, 31, v62
	v_ashrrev_i32_e32 v62, 2, v62
	v_add_nc_u32_e32 v63, v65, v63
	v_cmp_ne_u32_e64 s6, v61, v64
	v_add_nc_u32_e32 v64, v67, v66
	v_mul_hi_i32 v65, 0x66666667, v17
	v_add_nc_u32_e32 v62, v62, v68
	v_cmp_ne_u32_e64 s7, v63, v61
	v_mul_hi_i32 v61, 0x66666667, v23
	v_cmp_ne_u32_e64 s8, v64, v63
	v_mul_hi_i32 v63, 0x66666667, v21
	;; [unrolled: 2-line block ×3, first 2 shown]
	v_mul_hi_i32 v67, 0x66666667, v25
	v_lshrrev_b32_e32 v66, 31, v65
	v_ashrrev_i32_e32 v65, 2, v65
	v_lshrrev_b32_e32 v68, 31, v61
	v_ashrrev_i32_e32 v61, 2, v61
	;; [unrolled: 2-line block ×5, first 2 shown]
	v_add_nc_u32_e32 v65, v65, v66
	v_add_nc_u32_e32 v61, v61, v68
	;; [unrolled: 1-line block ×5, first 2 shown]
	v_cmp_ne_u32_e64 s14, v65, v62
	v_cmp_ne_u32_e64 s10, v61, v65
	;; [unrolled: 1-line block ×5, first 2 shown]
	s_waitcnt lgkmcnt(0)
	s_barrier
	buffer_gl0_inv
	s_and_saveexec_b32 s31, s3
	s_cbranch_execz .LBB524_58
; %bb.57:
	v_add_nc_u32_e32 v59, -8, v60
	ds_load_b64 v[59:60], v59
.LBB524_58:
	s_or_b32 exec_lo, exec_lo, s31
	s_waitcnt lgkmcnt(0)
	v_mul_hi_i32 v59, 0x66666667, v59
	v_cndmask_b32_e64 v111, 0, 1, vcc_lo
	v_cndmask_b32_e64 v60, 0, 1, s0
	v_cndmask_b32_e64 v112, 0, 1, s1
	;; [unrolled: 1-line block ×6, first 2 shown]
	v_lshrrev_b32_e32 v67, 31, v59
	v_ashrrev_i32_e32 v59, 2, v59
	v_cndmask_b32_e64 v66, 0, 1, s8
	v_cndmask_b32_e64 v65, 0, 1, s9
	;; [unrolled: 1-line block ×4, first 2 shown]
	v_add_nc_u32_e32 v59, v59, v67
	v_cndmask_b32_e64 v67, 0, 1, s10
	v_cndmask_b32_e64 v69, 0, 1, s12
	;; [unrolled: 1-line block ×3, first 2 shown]
	s_delay_alu instid0(VALU_DEP_4)
	v_cmp_ne_u32_e64 s4, v59, v76
.LBB524_59:
                                        ; implicit-def: $sgpr0
	s_branch .LBB524_114
.LBB524_60:
	s_mov_b32 s15, 0
                                        ; implicit-def: $sgpr4
                                        ; implicit-def: $vgpr111
                                        ; implicit-def: $vgpr60
                                        ; implicit-def: $vgpr112
                                        ; implicit-def: $vgpr62
                                        ; implicit-def: $vgpr61
                                        ; implicit-def: $vgpr64
                                        ; implicit-def: $vgpr63
                                        ; implicit-def: $vgpr66
                                        ; implicit-def: $vgpr65
                                        ; implicit-def: $vgpr68
                                        ; implicit-def: $vgpr67
                                        ; implicit-def: $vgpr70
                                        ; implicit-def: $vgpr69
                                        ; implicit-def: $vgpr72
                                        ; implicit-def: $sgpr0
	s_cbranch_execnz .LBB524_79
	s_branch .LBB524_114
.LBB524_61:
	v_add_co_u32 v29, vcc_lo, v61, v64
	v_add_co_ci_u32_e32 v30, vcc_lo, 0, v62, vcc_lo
	flat_load_b64 v[29:30], v[29:30]
	s_or_b32 exec_lo, exec_lo, s16
                                        ; implicit-def: $vgpr31_vgpr32
	s_and_saveexec_b32 s16, s0
	s_cbranch_execz .LBB524_39
.LBB524_62:
	v_add_co_u32 v31, vcc_lo, v61, v64
	v_add_co_ci_u32_e32 v32, vcc_lo, 0, v62, vcc_lo
	flat_load_b64 v[31:32], v[31:32] offset:2048
	s_or_b32 exec_lo, exec_lo, s16
                                        ; implicit-def: $vgpr33_vgpr34
	s_and_saveexec_b32 s0, s1
	s_cbranch_execz .LBB524_40
.LBB524_63:
	v_lshlrev_b32_e32 v33, 3, v35
	s_delay_alu instid0(VALU_DEP_1)
	v_add_co_u32 v33, vcc_lo, v61, v33
	v_add_co_ci_u32_e32 v34, vcc_lo, 0, v62, vcc_lo
	flat_load_b64 v[33:34], v[33:34]
	s_or_b32 exec_lo, exec_lo, s0
                                        ; implicit-def: $vgpr35_vgpr36
	s_and_saveexec_b32 s0, s4
	s_cbranch_execz .LBB524_41
.LBB524_64:
	v_lshlrev_b32_e32 v35, 3, v37
	s_delay_alu instid0(VALU_DEP_1)
	v_add_co_u32 v35, vcc_lo, v61, v35
	v_add_co_ci_u32_e32 v36, vcc_lo, 0, v62, vcc_lo
	flat_load_b64 v[35:36], v[35:36]
	s_or_b32 exec_lo, exec_lo, s0
                                        ; implicit-def: $vgpr37_vgpr38
	s_and_saveexec_b32 s0, s5
	s_cbranch_execz .LBB524_42
.LBB524_65:
	v_lshlrev_b32_e32 v37, 3, v39
	s_delay_alu instid0(VALU_DEP_1)
	v_add_co_u32 v37, vcc_lo, v61, v37
	v_add_co_ci_u32_e32 v38, vcc_lo, 0, v62, vcc_lo
	flat_load_b64 v[37:38], v[37:38]
	s_or_b32 exec_lo, exec_lo, s0
                                        ; implicit-def: $vgpr39_vgpr40
	s_and_saveexec_b32 s0, s6
	s_cbranch_execz .LBB524_43
.LBB524_66:
	v_lshlrev_b32_e32 v39, 3, v41
	s_delay_alu instid0(VALU_DEP_1)
	v_add_co_u32 v39, vcc_lo, v61, v39
	v_add_co_ci_u32_e32 v40, vcc_lo, 0, v62, vcc_lo
	flat_load_b64 v[39:40], v[39:40]
	s_or_b32 exec_lo, exec_lo, s0
                                        ; implicit-def: $vgpr41_vgpr42
	s_and_saveexec_b32 s0, s7
	s_cbranch_execz .LBB524_44
.LBB524_67:
	v_lshlrev_b32_e32 v41, 3, v43
	s_delay_alu instid0(VALU_DEP_1)
	v_add_co_u32 v41, vcc_lo, v61, v41
	v_add_co_ci_u32_e32 v42, vcc_lo, 0, v62, vcc_lo
	flat_load_b64 v[41:42], v[41:42]
	s_or_b32 exec_lo, exec_lo, s0
                                        ; implicit-def: $vgpr43_vgpr44
	s_and_saveexec_b32 s0, s8
	s_cbranch_execz .LBB524_45
.LBB524_68:
	v_lshlrev_b32_e32 v43, 3, v45
	s_delay_alu instid0(VALU_DEP_1)
	v_add_co_u32 v43, vcc_lo, v61, v43
	v_add_co_ci_u32_e32 v44, vcc_lo, 0, v62, vcc_lo
	flat_load_b64 v[43:44], v[43:44]
	s_or_b32 exec_lo, exec_lo, s0
                                        ; implicit-def: $vgpr45_vgpr46
	s_and_saveexec_b32 s0, s9
	s_cbranch_execz .LBB524_46
.LBB524_69:
	v_lshlrev_b32_e32 v45, 3, v47
	s_delay_alu instid0(VALU_DEP_1)
	v_add_co_u32 v45, vcc_lo, v61, v45
	v_add_co_ci_u32_e32 v46, vcc_lo, 0, v62, vcc_lo
	flat_load_b64 v[45:46], v[45:46]
	s_or_b32 exec_lo, exec_lo, s0
                                        ; implicit-def: $vgpr47_vgpr48
	s_and_saveexec_b32 s0, s10
	s_cbranch_execz .LBB524_47
.LBB524_70:
	v_lshlrev_b32_e32 v47, 3, v49
	s_delay_alu instid0(VALU_DEP_1)
	v_add_co_u32 v47, vcc_lo, v61, v47
	v_add_co_ci_u32_e32 v48, vcc_lo, 0, v62, vcc_lo
	flat_load_b64 v[47:48], v[47:48]
	s_or_b32 exec_lo, exec_lo, s0
                                        ; implicit-def: $vgpr49_vgpr50
	s_and_saveexec_b32 s0, s11
	s_cbranch_execz .LBB524_48
.LBB524_71:
	v_lshlrev_b32_e32 v49, 3, v51
	s_delay_alu instid0(VALU_DEP_1)
	v_add_co_u32 v49, vcc_lo, v61, v49
	v_add_co_ci_u32_e32 v50, vcc_lo, 0, v62, vcc_lo
	flat_load_b64 v[49:50], v[49:50]
	s_or_b32 exec_lo, exec_lo, s0
                                        ; implicit-def: $vgpr51_vgpr52
	s_and_saveexec_b32 s0, s12
	s_cbranch_execz .LBB524_49
.LBB524_72:
	v_lshlrev_b32_e32 v51, 3, v53
	s_delay_alu instid0(VALU_DEP_1)
	v_add_co_u32 v51, vcc_lo, v61, v51
	v_add_co_ci_u32_e32 v52, vcc_lo, 0, v62, vcc_lo
	flat_load_b64 v[51:52], v[51:52]
	s_or_b32 exec_lo, exec_lo, s0
                                        ; implicit-def: $vgpr53_vgpr54
	s_and_saveexec_b32 s0, s13
	s_cbranch_execz .LBB524_50
.LBB524_73:
	v_lshlrev_b32_e32 v53, 3, v55
	s_delay_alu instid0(VALU_DEP_1)
	v_add_co_u32 v53, vcc_lo, v61, v53
	v_add_co_ci_u32_e32 v54, vcc_lo, 0, v62, vcc_lo
	flat_load_b64 v[53:54], v[53:54]
	s_or_b32 exec_lo, exec_lo, s0
                                        ; implicit-def: $vgpr55_vgpr56
	s_and_saveexec_b32 s0, s14
	s_cbranch_execz .LBB524_51
.LBB524_74:
	v_lshlrev_b32_e32 v55, 3, v59
	s_delay_alu instid0(VALU_DEP_1)
	v_add_co_u32 v55, vcc_lo, v61, v55
	v_add_co_ci_u32_e32 v56, vcc_lo, 0, v62, vcc_lo
	flat_load_b64 v[55:56], v[55:56]
	s_or_b32 exec_lo, exec_lo, s0
                                        ; implicit-def: $vgpr59_vgpr60
	s_and_saveexec_b32 s0, s15
	s_cbranch_execnz .LBB524_52
	s_branch .LBB524_53
.LBB524_75:
	s_mov_b32 s15, 0
                                        ; implicit-def: $sgpr4
                                        ; implicit-def: $vgpr111
                                        ; implicit-def: $vgpr60
                                        ; implicit-def: $vgpr112
                                        ; implicit-def: $vgpr62
                                        ; implicit-def: $vgpr61
                                        ; implicit-def: $vgpr64
                                        ; implicit-def: $vgpr63
                                        ; implicit-def: $vgpr66
                                        ; implicit-def: $vgpr65
                                        ; implicit-def: $vgpr68
                                        ; implicit-def: $vgpr67
                                        ; implicit-def: $vgpr70
                                        ; implicit-def: $vgpr69
                                        ; implicit-def: $vgpr72
	s_cbranch_execz .LBB524_59
; %bb.76:
	v_mul_hi_i32 v59, 0x66666667, v3
	v_mul_hi_i32 v60, 0x66666667, v57
	;; [unrolled: 1-line block ×8, first 2 shown]
	v_lshrrev_b32_e32 v64, 31, v59
	v_ashrrev_i32_e32 v65, 2, v59
	v_lshrrev_b32_e32 v66, 31, v60
	v_ashrrev_i32_e32 v60, 2, v60
	;; [unrolled: 2-line block ×3, first 2 shown]
	v_add_nc_u32_e32 v64, v65, v64
	v_lshrrev_b32_e32 v65, 31, v62
	v_add_nc_u32_e32 v60, v60, v66
	v_ashrrev_i32_e32 v62, 2, v62
	v_add_nc_u32_e32 v61, v61, v67
	v_mul_hi_i32 v67, 0x66666667, v11
	v_lshrrev_b32_e32 v66, 31, v63
	v_cmp_ne_u32_e32 vcc_lo, v64, v60
	v_ashrrev_i32_e32 v63, 2, v63
	v_add_nc_u32_e32 v62, v62, v65
	v_mul_hi_i32 v72, 0x66666667, v17
	v_mul_hi_i32 v76, 0x66666667, v25
	v_cndmask_b32_e64 v111, 0, 1, vcc_lo
	v_cmp_ne_u32_e32 vcc_lo, v61, v64
	v_add_nc_u32_e32 v63, v63, v66
	v_lshrrev_b32_e32 v64, 31, v67
	v_ashrrev_i32_e32 v65, 2, v67
	v_lshrrev_b32_e32 v66, 31, v68
	v_cndmask_b32_e64 v60, 0, 1, vcc_lo
	v_cmp_ne_u32_e32 vcc_lo, v62, v61
	v_ashrrev_i32_e32 v67, 2, v68
	v_mul_hi_i32 v68, 0x66666667, v15
	v_add_nc_u32_e32 v64, v65, v64
	v_lshlrev_b32_e32 v59, 3, v0
	v_cndmask_b32_e64 v112, 0, 1, vcc_lo
	v_cmp_ne_u32_e32 vcc_lo, v63, v62
	v_add_nc_u32_e32 v65, v67, v66
                                        ; implicit-def: $sgpr4
	ds_store_b64 v59, v[57:58]
	v_lshrrev_b32_e32 v66, 31, v68
	v_cndmask_b32_e64 v62, 0, 1, vcc_lo
	v_ashrrev_i32_e32 v67, 2, v68
	v_cmp_ne_u32_e32 vcc_lo, v64, v63
	v_lshrrev_b32_e32 v68, 31, v69
	v_ashrrev_i32_e32 v69, 2, v69
	s_waitcnt lgkmcnt(0)
	v_add_nc_u32_e32 v66, v67, v66
	v_cndmask_b32_e64 v61, 0, 1, vcc_lo
	v_cmp_ne_u32_e32 vcc_lo, v65, v64
	v_add_nc_u32_e32 v67, v69, v68
	v_lshrrev_b32_e32 v68, 31, v70
	v_ashrrev_i32_e32 v69, 2, v70
	v_lshrrev_b32_e32 v70, 31, v72
	v_ashrrev_i32_e32 v72, 2, v72
	v_cndmask_b32_e64 v64, 0, 1, vcc_lo
	v_cmp_ne_u32_e32 vcc_lo, v66, v65
	v_add_nc_u32_e32 v68, v69, v68
	s_barrier
	v_add_nc_u32_e32 v69, v72, v70
	v_mul_hi_i32 v70, 0x66666667, v23
	v_cndmask_b32_e64 v63, 0, 1, vcc_lo
	v_cmp_ne_u32_e32 vcc_lo, v67, v66
	v_mul_hi_i32 v72, 0x66666667, v21
	buffer_gl0_inv
	v_cndmask_b32_e64 v66, 0, 1, vcc_lo
	v_cmp_ne_u32_e32 vcc_lo, v68, v67
	v_lshrrev_b32_e32 v77, 31, v70
	v_ashrrev_i32_e32 v70, 2, v70
	v_mul_hi_i32 v67, 0x66666667, v27
	v_lshrrev_b32_e32 v78, 31, v72
	v_cndmask_b32_e64 v65, 0, 1, vcc_lo
	v_cmp_ne_u32_e32 vcc_lo, v69, v68
	v_ashrrev_i32_e32 v72, 2, v72
	v_add_nc_u32_e32 v70, v70, v77
	v_lshrrev_b32_e32 v77, 31, v76
	v_ashrrev_i32_e32 v76, 2, v76
	v_cndmask_b32_e64 v68, 0, 1, vcc_lo
	v_lshrrev_b32_e32 v79, 31, v67
	v_ashrrev_i32_e32 v67, 2, v67
	v_add_nc_u32_e32 v72, v72, v78
	v_cmp_ne_u32_e32 vcc_lo, v70, v69
	v_add_nc_u32_e32 v76, v76, v77
	s_delay_alu instid0(VALU_DEP_4) | instskip(SKIP_3) | instid1(VALU_DEP_4)
	v_add_nc_u32_e32 v78, v67, v79
	v_cndmask_b32_e64 v67, 0, 1, vcc_lo
	v_cmp_ne_u32_e32 vcc_lo, v72, v70
	v_cndmask_b32_e64 v70, 0, 1, vcc_lo
	v_cmp_ne_u32_e32 vcc_lo, v78, v72
	;; [unrolled: 2-line block ×3, first 2 shown]
	v_cndmask_b32_e64 v72, 0, 1, vcc_lo
	s_and_saveexec_b32 s0, s3
	s_delay_alu instid0(SALU_CYCLE_1)
	s_xor_b32 s0, exec_lo, s0
	s_cbranch_execz .LBB524_78
; %bb.77:
	v_add_nc_u32_e32 v59, -8, v59
	s_or_b32 s15, s15, exec_lo
	ds_load_b32 v59, v59
	s_waitcnt lgkmcnt(0)
	v_mul_hi_i32 v59, 0x66666667, v59
	s_delay_alu instid0(VALU_DEP_1) | instskip(SKIP_1) | instid1(VALU_DEP_1)
	v_lshrrev_b32_e32 v77, 31, v59
	v_ashrrev_i32_e32 v59, 2, v59
	v_add_nc_u32_e32 v59, v59, v77
	s_delay_alu instid0(VALU_DEP_1)
	v_cmp_ne_u32_e32 vcc_lo, v59, v76
	s_and_b32 s4, vcc_lo, exec_lo
.LBB524_78:
	s_or_b32 exec_lo, exec_lo, s0
	s_mov_b32 s0, 1
	s_branch .LBB524_114
.LBB524_79:
	s_mul_hi_u32 s0, s26, 0xfffff100
	s_mul_i32 s1, s27, 0xfffff100
	s_sub_i32 s0, s0, s26
	s_mul_i32 s4, s26, 0xfffff100
	s_add_i32 s1, s0, s1
	s_add_u32 s0, s4, s48
	s_addc_u32 s1, s1, s49
	s_and_b32 vcc_lo, exec_lo, s16
	s_cbranch_vccz .LBB524_251
; %bb.80:
	v_add_co_u32 v59, vcc_lo, -8, v71
	v_add_co_ci_u32_e32 v60, vcc_lo, -1, v75, vcc_lo
	v_mul_u32_u24_e32 v77, 15, v0
	s_mov_b32 s4, exec_lo
	v_mov_b32_e32 v111, 0
	flat_load_b64 v[75:76], v[59:60]
	v_mad_u32_u24 v59, v0, 15, 14
	v_mov_b32_e32 v60, 0
	s_waitcnt vmcnt(0) lgkmcnt(0)
	v_lshlrev_b32_e32 v76, 3, v0
	ds_store_b64 v76, v[57:58]
	v_cmpx_gt_u64_e64 s[0:1], v[59:60]
; %bb.81:
	v_mul_hi_i32 v59, 0x66666667, v3
	v_mul_hi_i32 v61, 0x66666667, v57
	s_delay_alu instid0(VALU_DEP_2) | instskip(SKIP_1) | instid1(VALU_DEP_3)
	v_lshrrev_b32_e32 v62, 31, v59
	v_ashrrev_i32_e32 v59, 2, v59
	v_lshrrev_b32_e32 v63, 31, v61
	v_ashrrev_i32_e32 v61, 2, v61
	s_delay_alu instid0(VALU_DEP_3) | instskip(NEXT) | instid1(VALU_DEP_2)
	v_add_nc_u32_e32 v59, v59, v62
	v_add_nc_u32_e32 v61, v61, v63
	s_delay_alu instid0(VALU_DEP_1)
	v_cmp_ne_u32_e32 vcc_lo, v59, v61
	v_cndmask_b32_e64 v111, 0, 1, vcc_lo
; %bb.82:
	s_or_b32 exec_lo, exec_lo, s4
	v_add_nc_u32_e32 v59, 13, v77
	s_mov_b32 s4, exec_lo
	s_delay_alu instid0(VALU_DEP_1)
	v_cmpx_gt_u64_e64 s[0:1], v[59:60]
; %bb.83:
	v_mul_hi_i32 v59, 0x66666667, v1
	v_mul_hi_i32 v60, 0x66666667, v3
	s_delay_alu instid0(VALU_DEP_2) | instskip(SKIP_1) | instid1(VALU_DEP_3)
	v_lshrrev_b32_e32 v61, 31, v59
	v_ashrrev_i32_e32 v59, 2, v59
	v_lshrrev_b32_e32 v62, 31, v60
	v_ashrrev_i32_e32 v60, 2, v60
	s_delay_alu instid0(VALU_DEP_3) | instskip(NEXT) | instid1(VALU_DEP_2)
	v_add_nc_u32_e32 v59, v59, v61
	v_add_nc_u32_e32 v60, v60, v62
	s_delay_alu instid0(VALU_DEP_1)
	v_cmp_ne_u32_e32 vcc_lo, v59, v60
	v_cndmask_b32_e64 v60, 0, 1, vcc_lo
; %bb.84:
	s_or_b32 exec_lo, exec_lo, s4
	v_dual_mov_b32 v62, 0 :: v_dual_add_nc_u32 v61, 12, v77
	v_mov_b32_e32 v112, 0
	s_mov_b32 s4, exec_lo
	s_delay_alu instid0(VALU_DEP_2)
	v_cmpx_gt_u64_e64 s[0:1], v[61:62]
; %bb.85:
	v_mul_hi_i32 v59, 0x66666667, v7
	v_mul_hi_i32 v61, 0x66666667, v1
	s_delay_alu instid0(VALU_DEP_2) | instskip(SKIP_1) | instid1(VALU_DEP_3)
	v_lshrrev_b32_e32 v63, 31, v59
	v_ashrrev_i32_e32 v59, 2, v59
	v_lshrrev_b32_e32 v64, 31, v61
	v_ashrrev_i32_e32 v61, 2, v61
	s_delay_alu instid0(VALU_DEP_3) | instskip(NEXT) | instid1(VALU_DEP_2)
	v_add_nc_u32_e32 v59, v59, v63
	v_add_nc_u32_e32 v61, v61, v64
	s_delay_alu instid0(VALU_DEP_1)
	v_cmp_ne_u32_e32 vcc_lo, v59, v61
	v_cndmask_b32_e64 v112, 0, 1, vcc_lo
; %bb.86:
	s_or_b32 exec_lo, exec_lo, s4
	v_add_nc_u32_e32 v61, 11, v77
	s_mov_b32 s4, exec_lo
	s_delay_alu instid0(VALU_DEP_1)
	v_cmpx_gt_u64_e64 s[0:1], v[61:62]
; %bb.87:
	v_mul_hi_i32 v59, 0x66666667, v5
	v_mul_hi_i32 v61, 0x66666667, v7
	s_delay_alu instid0(VALU_DEP_2) | instskip(SKIP_1) | instid1(VALU_DEP_3)
	v_lshrrev_b32_e32 v62, 31, v59
	v_ashrrev_i32_e32 v59, 2, v59
	v_lshrrev_b32_e32 v63, 31, v61
	v_ashrrev_i32_e32 v61, 2, v61
	s_delay_alu instid0(VALU_DEP_3) | instskip(NEXT) | instid1(VALU_DEP_2)
	v_add_nc_u32_e32 v59, v59, v62
	v_add_nc_u32_e32 v61, v61, v63
	s_delay_alu instid0(VALU_DEP_1)
	v_cmp_ne_u32_e32 vcc_lo, v59, v61
	v_cndmask_b32_e64 v62, 0, 1, vcc_lo
; %bb.88:
	s_or_b32 exec_lo, exec_lo, s4
	v_dual_mov_b32 v64, 0 :: v_dual_add_nc_u32 v63, 10, v77
	v_mov_b32_e32 v61, 0
	s_mov_b32 s4, exec_lo
	s_delay_alu instid0(VALU_DEP_2)
	;; [unrolled: 41-line block ×6, first 2 shown]
	v_cmpx_gt_u64_e64 s[0:1], v[71:72]
; %bb.105:
	v_mul_hi_i32 v59, 0x66666667, v27
	v_mul_hi_i32 v69, 0x66666667, v21
	s_delay_alu instid0(VALU_DEP_2) | instskip(SKIP_1) | instid1(VALU_DEP_3)
	v_lshrrev_b32_e32 v71, 31, v59
	v_ashrrev_i32_e32 v59, 2, v59
	v_lshrrev_b32_e32 v78, 31, v69
	v_ashrrev_i32_e32 v69, 2, v69
	s_delay_alu instid0(VALU_DEP_3) | instskip(NEXT) | instid1(VALU_DEP_2)
	v_add_nc_u32_e32 v59, v59, v71
	v_add_nc_u32_e32 v69, v69, v78
	s_delay_alu instid0(VALU_DEP_1)
	v_cmp_ne_u32_e32 vcc_lo, v59, v69
	v_cndmask_b32_e64 v69, 0, 1, vcc_lo
; %bb.106:
	s_or_b32 exec_lo, exec_lo, s4
	v_add_nc_u32_e32 v71, 1, v77
	s_mov_b32 s4, exec_lo
	s_delay_alu instid0(VALU_DEP_1)
	v_cmpx_gt_u64_e64 s[0:1], v[71:72]
; %bb.107:
	v_mul_hi_i32 v59, 0x66666667, v25
	v_mul_hi_i32 v71, 0x66666667, v27
	s_delay_alu instid0(VALU_DEP_2) | instskip(SKIP_1) | instid1(VALU_DEP_3)
	v_lshrrev_b32_e32 v72, 31, v59
	v_ashrrev_i32_e32 v59, 2, v59
	v_lshrrev_b32_e32 v78, 31, v71
	v_ashrrev_i32_e32 v71, 2, v71
	s_delay_alu instid0(VALU_DEP_3) | instskip(NEXT) | instid1(VALU_DEP_2)
	v_add_nc_u32_e32 v59, v59, v72
	v_add_nc_u32_e32 v71, v71, v78
	s_delay_alu instid0(VALU_DEP_1)
	v_cmp_ne_u32_e32 vcc_lo, v59, v71
	v_cndmask_b32_e64 v72, 0, 1, vcc_lo
; %bb.108:
	s_or_b32 exec_lo, exec_lo, s4
	s_waitcnt lgkmcnt(0)
	s_barrier
	buffer_gl0_inv
	s_and_saveexec_b32 s4, s3
	s_cbranch_execz .LBB524_110
; %bb.109:
	v_add_nc_u32_e32 v59, -8, v76
	ds_load_b64 v[75:76], v59
.LBB524_110:
	s_or_b32 exec_lo, exec_lo, s4
	v_mov_b32_e32 v78, 0
	s_mov_b32 s5, 0
	s_mov_b32 s4, 0
	s_mov_b32 s6, exec_lo
	s_delay_alu instid0(VALU_DEP_1)
	v_cmpx_gt_u64_e64 s[0:1], v[77:78]
	s_cbranch_execz .LBB524_112
; %bb.111:
	s_waitcnt lgkmcnt(0)
	v_mul_hi_i32 v59, 0x66666667, v75
	v_mul_hi_i32 v71, 0x66666667, v25
	s_delay_alu instid0(VALU_DEP_2) | instskip(SKIP_1) | instid1(VALU_DEP_3)
	v_lshrrev_b32_e32 v75, 31, v59
	v_ashrrev_i32_e32 v59, 2, v59
	v_lshrrev_b32_e32 v76, 31, v71
	v_ashrrev_i32_e32 v71, 2, v71
	s_delay_alu instid0(VALU_DEP_3) | instskip(NEXT) | instid1(VALU_DEP_2)
	v_add_nc_u32_e32 v59, v59, v75
	v_add_nc_u32_e32 v71, v71, v76
	s_delay_alu instid0(VALU_DEP_1)
	v_cmp_ne_u32_e32 vcc_lo, v59, v71
	s_and_b32 s4, vcc_lo, exec_lo
.LBB524_112:
	s_or_b32 exec_lo, exec_lo, s6
	s_mov_b32 s15, -1
	s_and_b32 vcc_lo, exec_lo, s5
	s_cbranch_vccnz .LBB524_252
.LBB524_113:
                                        ; implicit-def: $sgpr0
.LBB524_114:
	v_mov_b32_e32 v71, s0
	s_and_saveexec_b32 s0, s15
.LBB524_115:
	s_delay_alu instid0(VALU_DEP_2)
	v_cndmask_b32_e64 v71, 0, 1, s4
.LBB524_116:
	s_or_b32 exec_lo, exec_lo, s0
	s_delay_alu instid0(VALU_DEP_1)
	v_add3_u32 v59, v72, v71, v69
	v_dual_mov_b32 v107, v53 :: v_dual_mov_b32 v108, v54
	v_cmp_eq_u32_e64 s13, 0, v72
	v_cmp_eq_u32_e64 s12, 0, v69
	;; [unrolled: 1-line block ×3, first 2 shown]
	v_add3_u32 v115, v59, v70, v67
	v_cmp_eq_u32_e64 s10, 0, v67
	v_cmp_eq_u32_e64 s9, 0, v68
	;; [unrolled: 1-line block ×10, first 2 shown]
	v_cmp_eq_u32_e32 vcc_lo, 0, v111
	v_mbcnt_lo_u32_b32 v114, -1, 0
	s_cmp_eq_u64 s[42:43], 0
	s_cselect_b32 s15, -1, 0
	s_cmp_lg_u32 s30, 0
	s_cbranch_scc0 .LBB524_183
; %bb.117:
	v_cndmask_b32_e64 v59, 0, v53, s13
	s_waitcnt lgkmcnt(0)
	v_cndmask_b32_e64 v75, 0, v54, s13
	v_add3_u32 v76, v115, v68, v65
	s_delay_alu instid0(VALU_DEP_3) | instskip(NEXT) | instid1(VALU_DEP_1)
	v_add_co_u32 v59, s14, v59, v55
	v_add_co_ci_u32_e64 v75, s14, v75, v56, s14
	s_delay_alu instid0(VALU_DEP_3) | instskip(NEXT) | instid1(VALU_DEP_3)
	v_add3_u32 v76, v76, v66, v63
	v_cndmask_b32_e64 v59, 0, v59, s12
	s_delay_alu instid0(VALU_DEP_3) | instskip(NEXT) | instid1(VALU_DEP_3)
	v_cndmask_b32_e64 v75, 0, v75, s12
	v_add3_u32 v76, v76, v64, v61
	s_delay_alu instid0(VALU_DEP_3) | instskip(NEXT) | instid1(VALU_DEP_1)
	v_add_co_u32 v59, s14, v59, v49
	v_add_co_ci_u32_e64 v75, s14, v75, v50, s14
	s_delay_alu instid0(VALU_DEP_3) | instskip(NEXT) | instid1(VALU_DEP_3)
	v_add3_u32 v76, v76, v62, v112
	v_cndmask_b32_e64 v59, 0, v59, s11
	s_delay_alu instid0(VALU_DEP_3) | instskip(NEXT) | instid1(VALU_DEP_3)
	v_cndmask_b32_e64 v75, 0, v75, s11
	v_add3_u32 v79, v76, v60, v111
	s_delay_alu instid0(VALU_DEP_3) | instskip(NEXT) | instid1(VALU_DEP_1)
	v_add_co_u32 v59, s14, v59, v51
	v_add_co_ci_u32_e64 v75, s14, v75, v52, s14
	s_delay_alu instid0(VALU_DEP_2) | instskip(NEXT) | instid1(VALU_DEP_2)
	v_cndmask_b32_e64 v59, 0, v59, s10
	v_cndmask_b32_e64 v75, 0, v75, s10
	s_delay_alu instid0(VALU_DEP_2) | instskip(NEXT) | instid1(VALU_DEP_1)
	v_add_co_u32 v59, s14, v59, v45
	v_add_co_ci_u32_e64 v75, s14, v75, v46, s14
	s_delay_alu instid0(VALU_DEP_2) | instskip(NEXT) | instid1(VALU_DEP_2)
	v_cndmask_b32_e64 v59, 0, v59, s9
	v_cndmask_b32_e64 v75, 0, v75, s9
	s_delay_alu instid0(VALU_DEP_2) | instskip(NEXT) | instid1(VALU_DEP_1)
	;; [unrolled: 6-line block ×10, first 2 shown]
	v_add_co_u32 v59, s14, v59, v31
	v_add_co_ci_u32_e64 v75, s14, v75, v32, s14
	s_mov_b32 s14, exec_lo
	s_delay_alu instid0(VALU_DEP_2) | instskip(NEXT) | instid1(VALU_DEP_2)
	v_cndmask_b32_e32 v59, 0, v59, vcc_lo
	v_cndmask_b32_e32 v75, 0, v75, vcc_lo
	s_delay_alu instid0(VALU_DEP_2) | instskip(NEXT) | instid1(VALU_DEP_2)
	v_add_co_u32 v77, vcc_lo, v59, v73
	v_add_co_ci_u32_e32 v78, vcc_lo, v75, v74, vcc_lo
	v_and_b32_e32 v59, 15, v114
	v_mov_b32_dpp v75, v79 row_shr:1 row_mask:0xf bank_mask:0xf
	s_delay_alu instid0(VALU_DEP_4) | instskip(NEXT) | instid1(VALU_DEP_4)
	v_mov_b32_dpp v76, v77 row_shr:1 row_mask:0xf bank_mask:0xf
	v_mov_b32_dpp v80, v78 row_shr:1 row_mask:0xf bank_mask:0xf
	s_delay_alu instid0(VALU_DEP_4)
	v_cmpx_ne_u32_e32 0, v59
; %bb.118:
	v_cmp_eq_u32_e32 vcc_lo, 0, v79
	s_delay_alu instid0(VALU_DEP_4) | instskip(NEXT) | instid1(VALU_DEP_4)
	v_dual_cndmask_b32 v76, 0, v76 :: v_dual_add_nc_u32 v79, v75, v79
	v_cndmask_b32_e32 v80, 0, v80, vcc_lo
	s_delay_alu instid0(VALU_DEP_2) | instskip(NEXT) | instid1(VALU_DEP_2)
	v_add_co_u32 v77, vcc_lo, v76, v77
	v_add_co_ci_u32_e32 v78, vcc_lo, v80, v78, vcc_lo
; %bb.119:
	s_or_b32 exec_lo, exec_lo, s14
	v_mov_b32_dpp v75, v79 row_shr:2 row_mask:0xf bank_mask:0xf
	s_delay_alu instid0(VALU_DEP_3) | instskip(NEXT) | instid1(VALU_DEP_3)
	v_mov_b32_dpp v76, v77 row_shr:2 row_mask:0xf bank_mask:0xf
	v_mov_b32_dpp v80, v78 row_shr:2 row_mask:0xf bank_mask:0xf
	s_mov_b32 s14, exec_lo
	v_cmpx_lt_u32_e32 1, v59
; %bb.120:
	v_cmp_eq_u32_e32 vcc_lo, 0, v79
	v_dual_cndmask_b32 v76, 0, v76 :: v_dual_add_nc_u32 v79, v75, v79
	v_cndmask_b32_e32 v80, 0, v80, vcc_lo
	s_delay_alu instid0(VALU_DEP_2) | instskip(NEXT) | instid1(VALU_DEP_2)
	v_add_co_u32 v77, vcc_lo, v76, v77
	v_add_co_ci_u32_e32 v78, vcc_lo, v80, v78, vcc_lo
; %bb.121:
	s_or_b32 exec_lo, exec_lo, s14
	v_mov_b32_dpp v75, v79 row_shr:4 row_mask:0xf bank_mask:0xf
	s_delay_alu instid0(VALU_DEP_3) | instskip(NEXT) | instid1(VALU_DEP_3)
	v_mov_b32_dpp v76, v77 row_shr:4 row_mask:0xf bank_mask:0xf
	v_mov_b32_dpp v80, v78 row_shr:4 row_mask:0xf bank_mask:0xf
	s_mov_b32 s14, exec_lo
	v_cmpx_lt_u32_e32 3, v59
; %bb.122:
	v_cmp_eq_u32_e32 vcc_lo, 0, v79
	;; [unrolled: 15-line block ×3, first 2 shown]
	v_dual_cndmask_b32 v76, 0, v76 :: v_dual_add_nc_u32 v79, v75, v79
	v_cndmask_b32_e32 v59, 0, v80, vcc_lo
	s_delay_alu instid0(VALU_DEP_2) | instskip(NEXT) | instid1(VALU_DEP_2)
	v_add_co_u32 v77, vcc_lo, v76, v77
	v_add_co_ci_u32_e32 v78, vcc_lo, v59, v78, vcc_lo
; %bb.125:
	s_or_b32 exec_lo, exec_lo, s14
	ds_swizzle_b32 v59, v79 offset:swizzle(BROADCAST,32,15)
	ds_swizzle_b32 v75, v77 offset:swizzle(BROADCAST,32,15)
	;; [unrolled: 1-line block ×3, first 2 shown]
	v_and_b32_e32 v80, 16, v114
	s_mov_b32 s14, exec_lo
	s_delay_alu instid0(VALU_DEP_1)
	v_cmpx_ne_u32_e32 0, v80
	s_cbranch_execz .LBB524_127
; %bb.126:
	v_cmp_eq_u32_e32 vcc_lo, 0, v79
	s_waitcnt lgkmcnt(0)
	v_dual_cndmask_b32 v76, 0, v76 :: v_dual_add_nc_u32 v79, v59, v79
	v_cndmask_b32_e32 v75, 0, v75, vcc_lo
	s_delay_alu instid0(VALU_DEP_1) | instskip(NEXT) | instid1(VALU_DEP_3)
	v_add_co_u32 v77, vcc_lo, v75, v77
	v_add_co_ci_u32_e32 v78, vcc_lo, v76, v78, vcc_lo
.LBB524_127:
	s_or_b32 exec_lo, exec_lo, s14
	s_waitcnt lgkmcnt(1)
	v_lshrrev_b32_e32 v75, 5, v0
	v_or_b32_e32 v59, 31, v0
	s_mov_b32 s14, exec_lo
	s_delay_alu instid0(VALU_DEP_2) | instskip(NEXT) | instid1(VALU_DEP_2)
	v_lshlrev_b32_e32 v80, 4, v75
	v_cmpx_eq_u32_e64 v59, v0
	s_cbranch_execz .LBB524_129
; %bb.128:
	ds_store_b32 v80, v79 offset:4128
	ds_store_b64 v80, v[77:78] offset:4136
.LBB524_129:
	s_or_b32 exec_lo, exec_lo, s14
	s_delay_alu instid0(SALU_CYCLE_1)
	s_mov_b32 s14, exec_lo
	s_waitcnt lgkmcnt(0)
	s_barrier
	buffer_gl0_inv
	v_cmpx_gt_u32_e32 8, v0
	s_cbranch_execz .LBB524_137
; %bb.130:
	v_lshlrev_b32_e32 v59, 4, v0
	v_and_b32_e32 v82, 7, v114
	s_mov_b32 s16, exec_lo
	ds_load_b32 v81, v59 offset:4128
	ds_load_b64 v[75:76], v59 offset:4136
	s_waitcnt lgkmcnt(1)
	v_mov_b32_dpp v83, v81 row_shr:1 row_mask:0xf bank_mask:0xf
	s_waitcnt lgkmcnt(0)
	v_mov_b32_dpp v84, v75 row_shr:1 row_mask:0xf bank_mask:0xf
	v_mov_b32_dpp v85, v76 row_shr:1 row_mask:0xf bank_mask:0xf
	v_cmpx_ne_u32_e32 0, v82
; %bb.131:
	v_cmp_eq_u32_e32 vcc_lo, 0, v81
	v_add_nc_u32_e32 v81, v83, v81
	s_delay_alu instid0(VALU_DEP_4) | instskip(NEXT) | instid1(VALU_DEP_1)
	v_dual_cndmask_b32 v85, 0, v85 :: v_dual_cndmask_b32 v84, 0, v84
	v_add_co_u32 v75, vcc_lo, v84, v75
	s_delay_alu instid0(VALU_DEP_2)
	v_add_co_ci_u32_e32 v76, vcc_lo, v85, v76, vcc_lo
; %bb.132:
	s_or_b32 exec_lo, exec_lo, s16
	v_mov_b32_dpp v83, v81 row_shr:2 row_mask:0xf bank_mask:0xf
	s_delay_alu instid0(VALU_DEP_3) | instskip(NEXT) | instid1(VALU_DEP_3)
	v_mov_b32_dpp v84, v75 row_shr:2 row_mask:0xf bank_mask:0xf
	v_mov_b32_dpp v85, v76 row_shr:2 row_mask:0xf bank_mask:0xf
	s_mov_b32 s16, exec_lo
	v_cmpx_lt_u32_e32 1, v82
; %bb.133:
	v_cmp_eq_u32_e32 vcc_lo, 0, v81
	v_add_nc_u32_e32 v81, v83, v81
	v_dual_cndmask_b32 v85, 0, v85 :: v_dual_cndmask_b32 v84, 0, v84
	s_delay_alu instid0(VALU_DEP_1) | instskip(NEXT) | instid1(VALU_DEP_2)
	v_add_co_u32 v75, vcc_lo, v84, v75
	v_add_co_ci_u32_e32 v76, vcc_lo, v85, v76, vcc_lo
; %bb.134:
	s_or_b32 exec_lo, exec_lo, s16
	v_mov_b32_dpp v83, v81 row_shr:4 row_mask:0xf bank_mask:0xf
	s_delay_alu instid0(VALU_DEP_3) | instskip(NEXT) | instid1(VALU_DEP_3)
	v_mov_b32_dpp v84, v75 row_shr:4 row_mask:0xf bank_mask:0xf
	v_mov_b32_dpp v85, v76 row_shr:4 row_mask:0xf bank_mask:0xf
	s_mov_b32 s16, exec_lo
	v_cmpx_lt_u32_e32 3, v82
; %bb.135:
	v_cmp_eq_u32_e32 vcc_lo, 0, v81
	v_dual_cndmask_b32 v84, 0, v84 :: v_dual_add_nc_u32 v81, v83, v81
	v_cndmask_b32_e32 v82, 0, v85, vcc_lo
	s_delay_alu instid0(VALU_DEP_2) | instskip(NEXT) | instid1(VALU_DEP_2)
	v_add_co_u32 v75, vcc_lo, v84, v75
	v_add_co_ci_u32_e32 v76, vcc_lo, v82, v76, vcc_lo
; %bb.136:
	s_or_b32 exec_lo, exec_lo, s16
	ds_store_b32 v59, v81 offset:4128
	ds_store_b64 v59, v[75:76] offset:4136
.LBB524_137:
	s_or_b32 exec_lo, exec_lo, s14
	v_mov_b32_e32 v75, 0
	v_cmp_gt_u32_e32 vcc_lo, 32, v0
	v_dual_mov_b32 v76, 0 :: v_dual_mov_b32 v59, 0
	s_mov_b32 s16, exec_lo
	s_waitcnt lgkmcnt(0)
	s_barrier
	buffer_gl0_inv
	v_cmpx_lt_u32_e32 31, v0
	s_cbranch_execz .LBB524_139
; %bb.138:
	ds_load_b64 v[75:76], v80 offset:4120
	ds_load_b32 v59, v80 offset:4112
	v_cmp_eq_u32_e64 s14, 0, v79
	s_waitcnt lgkmcnt(1)
	s_delay_alu instid0(VALU_DEP_1) | instskip(SKIP_3) | instid1(VALU_DEP_3)
	v_cndmask_b32_e64 v81, 0, v75, s14
	v_cndmask_b32_e64 v80, 0, v76, s14
	s_waitcnt lgkmcnt(0)
	v_add_nc_u32_e32 v79, v59, v79
	v_add_co_u32 v77, s14, v81, v77
	s_delay_alu instid0(VALU_DEP_1)
	v_add_co_ci_u32_e64 v78, s14, v80, v78, s14
.LBB524_139:
	s_or_b32 exec_lo, exec_lo, s16
	v_add_nc_u32_e32 v80, -1, v114
	s_delay_alu instid0(VALU_DEP_1) | instskip(NEXT) | instid1(VALU_DEP_1)
	v_cmp_gt_i32_e64 s14, 0, v80
	v_cndmask_b32_e64 v80, v80, v114, s14
	v_cmp_eq_u32_e64 s14, 0, v114
	s_delay_alu instid0(VALU_DEP_2)
	v_lshlrev_b32_e32 v80, 2, v80
	ds_bpermute_b32 v87, v80, v79
	ds_bpermute_b32 v86, v80, v77
	ds_bpermute_b32 v85, v80, v78
	s_and_saveexec_b32 s16, vcc_lo
	s_cbranch_execz .LBB524_182
; %bb.140:
	v_mov_b32_e32 v81, 0
	ds_load_b32 v88, v81 offset:4240
	ds_load_b64 v[77:78], v81 offset:4248
	s_and_saveexec_b32 s26, s14
	s_cbranch_execz .LBB524_142
; %bb.141:
	s_add_i32 s34, s30, 32
	s_mov_b32 s35, 0
	v_dual_mov_b32 v79, s34 :: v_dual_mov_b32 v80, 1
	s_lshl_b64 s[42:43], s[34:35], 4
	s_delay_alu instid0(SALU_CYCLE_1)
	s_add_u32 s34, s36, s42
	s_addc_u32 s35, s37, s43
	s_waitcnt lgkmcnt(1)
	global_store_b32 v81, v88, s[34:35]
	s_waitcnt lgkmcnt(0)
	global_store_b64 v81, v[77:78], s[34:35] offset:8
	s_waitcnt_vscnt null, 0x0
	buffer_gl1_inv
	buffer_gl0_inv
	global_store_b8 v79, v80, s[40:41]
.LBB524_142:
	s_or_b32 exec_lo, exec_lo, s26
	v_xad_u32 v79, v114, -1, s30
	s_mov_b32 s27, 0
	s_mov_b32 s26, exec_lo
	s_delay_alu instid0(VALU_DEP_1)
	v_add_nc_u32_e32 v80, 32, v79
	global_load_u8 v89, v80, s[40:41] glc
	s_waitcnt vmcnt(0)
	v_cmpx_eq_u16_e32 0, v89
	s_cbranch_execz .LBB524_148
; %bb.143:
	v_add_co_u32 v82, s31, s40, v80
	s_delay_alu instid0(VALU_DEP_1)
	v_add_co_ci_u32_e64 v83, null, s41, 0, s31
	s_mov_b32 s31, 1
.LBB524_144:                            ; =>This Loop Header: Depth=1
                                        ;     Child Loop BB524_145 Depth 2
	s_delay_alu instid0(SALU_CYCLE_1)
	s_max_u32 s33, s31, 1
.LBB524_145:                            ;   Parent Loop BB524_144 Depth=1
                                        ; =>  This Inner Loop Header: Depth=2
	s_delay_alu instid0(SALU_CYCLE_1)
	s_add_i32 s33, s33, -1
	s_sleep 1
	s_cmp_eq_u32 s33, 0
	s_cbranch_scc0 .LBB524_145
; %bb.146:                              ;   in Loop: Header=BB524_144 Depth=1
	global_load_u8 v89, v[82:83], off glc
	s_cmp_lt_u32 s31, 32
	s_cselect_b32 s33, -1, 0
	s_delay_alu instid0(SALU_CYCLE_1) | instskip(SKIP_4) | instid1(SALU_CYCLE_1)
	s_cmp_lg_u32 s33, 0
	s_addc_u32 s31, s31, 0
	s_waitcnt vmcnt(0)
	v_cmp_ne_u16_e32 vcc_lo, 0, v89
	s_or_b32 s27, vcc_lo, s27
	s_and_not1_b32 exec_lo, exec_lo, s27
	s_cbranch_execnz .LBB524_144
; %bb.147:
	s_or_b32 exec_lo, exec_lo, s27
.LBB524_148:
	s_delay_alu instid0(SALU_CYCLE_1)
	s_or_b32 exec_lo, exec_lo, s26
	v_dual_mov_b32 v82, s37 :: v_dual_mov_b32 v83, s36
	v_cmp_eq_u16_e32 vcc_lo, 1, v89
	v_lshlrev_b64 v[80:81], 4, v[80:81]
	s_waitcnt lgkmcnt(0)
	s_waitcnt_vscnt null, 0x0
	buffer_gl1_inv
	buffer_gl0_inv
	v_lshlrev_b32_e64 v91, v114, -1
	s_mov_b32 s26, exec_lo
	v_cndmask_b32_e32 v83, s38, v83, vcc_lo
	v_cndmask_b32_e32 v82, s39, v82, vcc_lo
	s_delay_alu instid0(VALU_DEP_2) | instskip(NEXT) | instid1(VALU_DEP_2)
	v_add_co_u32 v80, vcc_lo, v83, v80
	v_add_co_ci_u32_e32 v81, vcc_lo, v82, v81, vcc_lo
	v_cmp_ne_u32_e32 vcc_lo, 31, v114
	s_clause 0x1
	global_load_b32 v101, v[80:81], off
	global_load_b64 v[83:84], v[80:81], off offset:8
	v_add_co_ci_u32_e32 v80, vcc_lo, 0, v114, vcc_lo
	v_cmp_eq_u16_e32 vcc_lo, 2, v89
	s_delay_alu instid0(VALU_DEP_2) | instskip(SKIP_1) | instid1(VALU_DEP_1)
	v_lshlrev_b32_e32 v90, 2, v80
	v_and_or_b32 v80, vcc_lo, v91, 0x80000000
	v_ctz_i32_b32_e32 v80, v80
	s_waitcnt vmcnt(1)
	ds_bpermute_b32 v81, v90, v101
	s_waitcnt vmcnt(0)
	ds_bpermute_b32 v82, v90, v83
	ds_bpermute_b32 v92, v90, v84
	v_cmpx_lt_u32_e64 v114, v80
	s_cbranch_execz .LBB524_150
; %bb.149:
	v_cmp_eq_u32_e32 vcc_lo, 0, v101
	s_waitcnt lgkmcnt(1)
	v_dual_cndmask_b32 v82, 0, v82 :: v_dual_add_nc_u32 v101, v81, v101
	s_waitcnt lgkmcnt(0)
	v_cndmask_b32_e32 v92, 0, v92, vcc_lo
	s_delay_alu instid0(VALU_DEP_2) | instskip(NEXT) | instid1(VALU_DEP_2)
	v_add_co_u32 v83, vcc_lo, v82, v83
	v_add_co_ci_u32_e32 v84, vcc_lo, v92, v84, vcc_lo
.LBB524_150:
	s_or_b32 exec_lo, exec_lo, s26
	v_cmp_gt_u32_e32 vcc_lo, 30, v114
	v_add_nc_u32_e32 v93, 2, v114
	s_mov_b32 s26, exec_lo
	s_waitcnt lgkmcnt(2)
	v_cndmask_b32_e64 v81, 0, 1, vcc_lo
	s_delay_alu instid0(VALU_DEP_1) | instskip(SKIP_1) | instid1(VALU_DEP_1)
	v_lshlrev_b32_e32 v81, 1, v81
	s_waitcnt lgkmcnt(0)
	v_add_lshl_u32 v92, v81, v114, 2
	ds_bpermute_b32 v81, v92, v101
	ds_bpermute_b32 v82, v92, v83
	ds_bpermute_b32 v94, v92, v84
	v_cmpx_le_u32_e64 v93, v80
	s_cbranch_execz .LBB524_152
; %bb.151:
	v_cmp_eq_u32_e32 vcc_lo, 0, v101
	s_waitcnt lgkmcnt(1)
	v_dual_cndmask_b32 v82, 0, v82 :: v_dual_add_nc_u32 v101, v81, v101
	s_waitcnt lgkmcnt(0)
	v_cndmask_b32_e32 v94, 0, v94, vcc_lo
	s_delay_alu instid0(VALU_DEP_2) | instskip(NEXT) | instid1(VALU_DEP_2)
	v_add_co_u32 v83, vcc_lo, v82, v83
	v_add_co_ci_u32_e32 v84, vcc_lo, v94, v84, vcc_lo
.LBB524_152:
	s_or_b32 exec_lo, exec_lo, s26
	v_cmp_gt_u32_e32 vcc_lo, 28, v114
	v_add_nc_u32_e32 v95, 4, v114
	s_mov_b32 s26, exec_lo
	s_waitcnt lgkmcnt(2)
	v_cndmask_b32_e64 v81, 0, 1, vcc_lo
	s_delay_alu instid0(VALU_DEP_1) | instskip(SKIP_1) | instid1(VALU_DEP_1)
	v_lshlrev_b32_e32 v81, 2, v81
	s_waitcnt lgkmcnt(0)
	v_add_lshl_u32 v94, v81, v114, 2
	ds_bpermute_b32 v81, v94, v101
	ds_bpermute_b32 v82, v94, v83
	ds_bpermute_b32 v96, v94, v84
	v_cmpx_le_u32_e64 v95, v80
	;; [unrolled: 25-line block ×3, first 2 shown]
	s_cbranch_execz .LBB524_156
; %bb.155:
	v_cmp_eq_u32_e32 vcc_lo, 0, v101
	s_waitcnt lgkmcnt(1)
	v_dual_cndmask_b32 v82, 0, v82 :: v_dual_add_nc_u32 v101, v81, v101
	s_waitcnt lgkmcnt(0)
	v_cndmask_b32_e32 v98, 0, v98, vcc_lo
	s_delay_alu instid0(VALU_DEP_2) | instskip(NEXT) | instid1(VALU_DEP_2)
	v_add_co_u32 v83, vcc_lo, v82, v83
	v_add_co_ci_u32_e32 v84, vcc_lo, v98, v84, vcc_lo
.LBB524_156:
	s_or_b32 exec_lo, exec_lo, s26
	v_cmp_gt_u32_e32 vcc_lo, 16, v114
	v_add_nc_u32_e32 v100, 16, v114
	s_mov_b32 s26, exec_lo
	s_waitcnt lgkmcnt(2)
	v_cndmask_b32_e64 v81, 0, 1, vcc_lo
	s_delay_alu instid0(VALU_DEP_1) | instskip(NEXT) | instid1(VALU_DEP_1)
	v_lshlrev_b32_e32 v81, 4, v81
	v_add_lshl_u32 v99, v81, v114, 2
	ds_bpermute_b32 v81, v99, v101
	s_waitcnt lgkmcnt(2)
	ds_bpermute_b32 v82, v99, v83
	s_waitcnt lgkmcnt(2)
	ds_bpermute_b32 v98, v99, v84
	v_cmpx_le_u32_e64 v100, v80
	s_cbranch_execz .LBB524_158
; %bb.157:
	v_cmp_eq_u32_e32 vcc_lo, 0, v101
	s_waitcnt lgkmcnt(1)
	v_dual_cndmask_b32 v82, 0, v82 :: v_dual_add_nc_u32 v101, v81, v101
	s_waitcnt lgkmcnt(0)
	v_cndmask_b32_e32 v80, 0, v98, vcc_lo
	s_delay_alu instid0(VALU_DEP_2) | instskip(NEXT) | instid1(VALU_DEP_2)
	v_add_co_u32 v83, vcc_lo, v82, v83
	v_add_co_ci_u32_e32 v84, vcc_lo, v80, v84, vcc_lo
.LBB524_158:
	s_or_b32 exec_lo, exec_lo, s26
	v_mov_b32_e32 v80, 0
	s_branch .LBB524_160
.LBB524_159:                            ;   in Loop: Header=BB524_160 Depth=1
	s_or_b32 exec_lo, exec_lo, s26
	v_cmp_eq_u32_e32 vcc_lo, 0, v98
	v_subrev_nc_u32_e32 v79, 32, v79
	v_add_nc_u32_e32 v101, v101, v98
	v_dual_cndmask_b32 v84, 0, v84 :: v_dual_cndmask_b32 v83, 0, v83
	s_delay_alu instid0(VALU_DEP_1) | instskip(NEXT) | instid1(VALU_DEP_2)
	v_add_co_u32 v83, vcc_lo, v83, v81
	v_add_co_ci_u32_e32 v84, vcc_lo, v84, v82, vcc_lo
.LBB524_160:                            ; =>This Loop Header: Depth=1
                                        ;     Child Loop BB524_163 Depth 2
                                        ;       Child Loop BB524_164 Depth 3
	s_waitcnt lgkmcnt(0)
	v_dual_mov_b32 v98, v101 :: v_dual_and_b32 v81, 0xff, v89
	s_delay_alu instid0(VALU_DEP_1) | instskip(SKIP_2) | instid1(VALU_DEP_1)
	v_cmp_ne_u16_e32 vcc_lo, 2, v81
	v_cndmask_b32_e64 v81, 0, 1, vcc_lo
	;;#ASMSTART
	;;#ASMEND
	v_cmp_ne_u32_e32 vcc_lo, 0, v81
	v_dual_mov_b32 v81, v83 :: v_dual_mov_b32 v82, v84
	s_cmp_lg_u32 vcc_lo, exec_lo
	s_cbranch_scc1 .LBB524_177
; %bb.161:                              ;   in Loop: Header=BB524_160 Depth=1
	global_load_u8 v89, v79, s[40:41] glc
	s_mov_b32 s26, exec_lo
	s_waitcnt vmcnt(0)
	v_cmpx_eq_u16_e32 0, v89
	s_cbranch_execz .LBB524_167
; %bb.162:                              ;   in Loop: Header=BB524_160 Depth=1
	v_add_co_u32 v83, s27, s40, v79
	s_delay_alu instid0(VALU_DEP_1)
	v_add_co_ci_u32_e64 v84, null, s41, 0, s27
	s_mov_b32 s31, 1
	s_mov_b32 s27, 0
.LBB524_163:                            ;   Parent Loop BB524_160 Depth=1
                                        ; =>  This Loop Header: Depth=2
                                        ;       Child Loop BB524_164 Depth 3
	s_max_u32 s33, s31, 1
.LBB524_164:                            ;   Parent Loop BB524_160 Depth=1
                                        ;     Parent Loop BB524_163 Depth=2
                                        ; =>    This Inner Loop Header: Depth=3
	s_delay_alu instid0(SALU_CYCLE_1)
	s_add_i32 s33, s33, -1
	s_sleep 1
	s_cmp_eq_u32 s33, 0
	s_cbranch_scc0 .LBB524_164
; %bb.165:                              ;   in Loop: Header=BB524_163 Depth=2
	global_load_u8 v89, v[83:84], off glc
	s_cmp_lt_u32 s31, 32
	s_cselect_b32 s33, -1, 0
	s_delay_alu instid0(SALU_CYCLE_1) | instskip(SKIP_4) | instid1(SALU_CYCLE_1)
	s_cmp_lg_u32 s33, 0
	s_addc_u32 s31, s31, 0
	s_waitcnt vmcnt(0)
	v_cmp_ne_u16_e32 vcc_lo, 0, v89
	s_or_b32 s27, vcc_lo, s27
	s_and_not1_b32 exec_lo, exec_lo, s27
	s_cbranch_execnz .LBB524_163
; %bb.166:                              ;   in Loop: Header=BB524_160 Depth=1
	s_or_b32 exec_lo, exec_lo, s27
.LBB524_167:                            ;   in Loop: Header=BB524_160 Depth=1
	s_delay_alu instid0(SALU_CYCLE_1)
	s_or_b32 exec_lo, exec_lo, s26
	v_dual_mov_b32 v101, s37 :: v_dual_mov_b32 v102, s36
	v_cmp_eq_u16_e32 vcc_lo, 1, v89
	v_lshlrev_b64 v[83:84], 4, v[79:80]
	buffer_gl1_inv
	buffer_gl0_inv
	s_mov_b32 s26, exec_lo
	v_cndmask_b32_e32 v102, s38, v102, vcc_lo
	v_cndmask_b32_e32 v101, s39, v101, vcc_lo
	s_delay_alu instid0(VALU_DEP_2) | instskip(NEXT) | instid1(VALU_DEP_2)
	v_add_co_u32 v83, vcc_lo, v102, v83
	v_add_co_ci_u32_e32 v84, vcc_lo, v101, v84, vcc_lo
	v_cmp_eq_u16_e32 vcc_lo, 2, v89
	s_clause 0x1
	global_load_b32 v101, v[83:84], off
	global_load_b64 v[83:84], v[83:84], off offset:8
	v_and_or_b32 v102, vcc_lo, v91, 0x80000000
	s_delay_alu instid0(VALU_DEP_1)
	v_ctz_i32_b32_e32 v102, v102
	s_waitcnt vmcnt(1)
	ds_bpermute_b32 v103, v90, v101
	s_waitcnt vmcnt(0)
	ds_bpermute_b32 v104, v90, v83
	ds_bpermute_b32 v105, v90, v84
	v_cmpx_lt_u32_e64 v114, v102
	s_cbranch_execz .LBB524_169
; %bb.168:                              ;   in Loop: Header=BB524_160 Depth=1
	v_cmp_eq_u32_e32 vcc_lo, 0, v101
	s_waitcnt lgkmcnt(2)
	v_add_nc_u32_e32 v101, v103, v101
	s_waitcnt lgkmcnt(0)
	v_dual_cndmask_b32 v105, 0, v105 :: v_dual_cndmask_b32 v104, 0, v104
	s_delay_alu instid0(VALU_DEP_1) | instskip(NEXT) | instid1(VALU_DEP_2)
	v_add_co_u32 v83, vcc_lo, v104, v83
	v_add_co_ci_u32_e32 v84, vcc_lo, v105, v84, vcc_lo
.LBB524_169:                            ;   in Loop: Header=BB524_160 Depth=1
	s_or_b32 exec_lo, exec_lo, s26
	s_waitcnt lgkmcnt(2)
	ds_bpermute_b32 v103, v92, v101
	s_waitcnt lgkmcnt(2)
	ds_bpermute_b32 v104, v92, v83
	s_waitcnt lgkmcnt(2)
	ds_bpermute_b32 v105, v92, v84
	s_mov_b32 s26, exec_lo
	v_cmpx_le_u32_e64 v93, v102
	s_cbranch_execz .LBB524_171
; %bb.170:                              ;   in Loop: Header=BB524_160 Depth=1
	v_cmp_eq_u32_e32 vcc_lo, 0, v101
	s_waitcnt lgkmcnt(2)
	v_add_nc_u32_e32 v101, v103, v101
	s_waitcnt lgkmcnt(0)
	v_dual_cndmask_b32 v105, 0, v105 :: v_dual_cndmask_b32 v104, 0, v104
	s_delay_alu instid0(VALU_DEP_1) | instskip(NEXT) | instid1(VALU_DEP_2)
	v_add_co_u32 v83, vcc_lo, v104, v83
	v_add_co_ci_u32_e32 v84, vcc_lo, v105, v84, vcc_lo
.LBB524_171:                            ;   in Loop: Header=BB524_160 Depth=1
	s_or_b32 exec_lo, exec_lo, s26
	s_waitcnt lgkmcnt(2)
	ds_bpermute_b32 v103, v94, v101
	s_waitcnt lgkmcnt(2)
	ds_bpermute_b32 v104, v94, v83
	s_waitcnt lgkmcnt(2)
	ds_bpermute_b32 v105, v94, v84
	s_mov_b32 s26, exec_lo
	v_cmpx_le_u32_e64 v95, v102
	;; [unrolled: 20-line block ×4, first 2 shown]
	s_cbranch_execz .LBB524_159
; %bb.176:                              ;   in Loop: Header=BB524_160 Depth=1
	v_cmp_eq_u32_e32 vcc_lo, 0, v101
	s_waitcnt lgkmcnt(1)
	v_dual_cndmask_b32 v104, 0, v104 :: v_dual_add_nc_u32 v101, v103, v101
	s_waitcnt lgkmcnt(0)
	v_cndmask_b32_e32 v102, 0, v105, vcc_lo
	s_delay_alu instid0(VALU_DEP_2) | instskip(NEXT) | instid1(VALU_DEP_2)
	v_add_co_u32 v83, vcc_lo, v104, v83
	v_add_co_ci_u32_e32 v84, vcc_lo, v102, v84, vcc_lo
	s_branch .LBB524_159
.LBB524_177:                            ;   in Loop: Header=BB524_160 Depth=1
                                        ; implicit-def: $vgpr83_vgpr84
                                        ; implicit-def: $vgpr101
                                        ; implicit-def: $vgpr89
	s_cbranch_execz .LBB524_160
; %bb.178:
	s_and_saveexec_b32 s26, s14
	s_cbranch_execz .LBB524_180
; %bb.179:
	v_cmp_eq_u32_e32 vcc_lo, 0, v88
	s_mov_b32 s31, 0
	s_add_i32 s30, s30, 32
	v_dual_mov_b32 v84, 0 :: v_dual_add_nc_u32 v83, v98, v88
	v_dual_cndmask_b32 v80, 0, v82 :: v_dual_cndmask_b32 v79, 0, v81
	s_lshl_b64 s[34:35], s[30:31], 4
	v_dual_mov_b32 v89, s30 :: v_dual_mov_b32 v90, 2
	s_add_u32 s34, s38, s34
	s_delay_alu instid0(VALU_DEP_2)
	v_add_co_u32 v79, vcc_lo, v79, v77
	v_add_co_ci_u32_e32 v80, vcc_lo, v80, v78, vcc_lo
	s_addc_u32 s35, s39, s35
	s_clause 0x1
	global_store_b32 v84, v83, s[34:35]
	global_store_b64 v84, v[79:80], s[34:35] offset:8
	s_waitcnt lgkmcnt(0)
	s_waitcnt_vscnt null, 0x0
	buffer_gl1_inv
	buffer_gl0_inv
	global_store_b8 v89, v90, s[40:41]
	ds_store_b32 v84, v88 offset:4096
	ds_store_b64 v84, v[77:78] offset:4104
	ds_store_b32 v84, v98 offset:4112
	ds_store_b64 v84, v[81:82] offset:4120
.LBB524_180:
	s_or_b32 exec_lo, exec_lo, s26
	s_delay_alu instid0(SALU_CYCLE_1)
	s_and_b32 exec_lo, exec_lo, s2
	s_cbranch_execz .LBB524_182
; %bb.181:
	v_mov_b32_e32 v77, 0
	ds_store_b32 v77, v98 offset:4240
	ds_store_b64 v77, v[81:82] offset:4248
.LBB524_182:
	s_or_b32 exec_lo, exec_lo, s16
	s_waitcnt lgkmcnt(0)
	v_mov_b32_e32 v105, 0
	s_waitcnt_vscnt null, 0x0
	s_barrier
	buffer_gl0_inv
	v_cndmask_b32_e64 v106, v87, v59, s14
	ds_load_b64 v[77:78], v105 offset:4248
	v_cndmask_b32_e64 v59, v86, v75, s14
	v_cndmask_b32_e64 v76, v85, v76, s14
	v_cmp_eq_u32_e32 vcc_lo, 0, v106
	v_cndmask_b32_e64 v109, v106, 0, s2
	s_waitcnt lgkmcnt(0)
	v_cndmask_b32_e32 v79, 0, v77, vcc_lo
	v_cndmask_b32_e32 v75, 0, v78, vcc_lo
	s_delay_alu instid0(VALU_DEP_2) | instskip(NEXT) | instid1(VALU_DEP_2)
	v_add_co_u32 v59, vcc_lo, v79, v59
	v_add_co_ci_u32_e32 v75, vcc_lo, v75, v76, vcc_lo
	v_cmp_eq_u32_e32 vcc_lo, 0, v71
	s_delay_alu instid0(VALU_DEP_3) | instskip(NEXT) | instid1(VALU_DEP_3)
	v_cndmask_b32_e64 v91, v59, v77, s2
	v_cndmask_b32_e64 v92, v75, v78, s2
	ds_load_b32 v78, v105 offset:4240
	s_waitcnt lgkmcnt(0)
	v_cndmask_b32_e32 v75, 0, v91, vcc_lo
	s_barrier
	v_cndmask_b32_e32 v59, 0, v92, vcc_lo
	buffer_gl0_inv
	ds_load_b64 v[116:117], v105 offset:4104
	v_add_co_u32 v87, vcc_lo, v75, v53
	v_add_co_ci_u32_e32 v88, vcc_lo, v59, v54, vcc_lo
	s_delay_alu instid0(VALU_DEP_2) | instskip(NEXT) | instid1(VALU_DEP_2)
	v_cndmask_b32_e64 v59, 0, v87, s13
	v_cndmask_b32_e64 v75, 0, v88, s13
	s_delay_alu instid0(VALU_DEP_2) | instskip(NEXT) | instid1(VALU_DEP_2)
	v_add_co_u32 v93, vcc_lo, v59, v55
	v_add_co_ci_u32_e32 v94, vcc_lo, v75, v56, vcc_lo
	v_add_nc_u32_e32 v113, v78, v109
	s_delay_alu instid0(VALU_DEP_3) | instskip(NEXT) | instid1(VALU_DEP_3)
	v_cndmask_b32_e64 v59, 0, v93, s12
	v_cndmask_b32_e64 v75, 0, v94, s12
	s_delay_alu instid0(VALU_DEP_2) | instskip(NEXT) | instid1(VALU_DEP_2)
	v_add_co_u32 v97, vcc_lo, v59, v49
	v_add_co_ci_u32_e32 v98, vcc_lo, v75, v50, vcc_lo
	s_delay_alu instid0(VALU_DEP_2) | instskip(NEXT) | instid1(VALU_DEP_2)
	v_cndmask_b32_e64 v59, 0, v97, s11
	v_cndmask_b32_e64 v75, 0, v98, s11
	s_delay_alu instid0(VALU_DEP_2) | instskip(NEXT) | instid1(VALU_DEP_2)
	v_add_co_u32 v79, vcc_lo, v59, v51
	v_add_co_ci_u32_e32 v80, vcc_lo, v75, v52, vcc_lo
	s_delay_alu instid0(VALU_DEP_2) | instskip(NEXT) | instid1(VALU_DEP_2)
	;; [unrolled: 6-line block ×7, first 2 shown]
	v_cndmask_b32_e64 v59, 0, v81, s5
	v_cndmask_b32_e64 v75, 0, v82, s5
	s_delay_alu instid0(VALU_DEP_2) | instskip(NEXT) | instid1(VALU_DEP_2)
	v_add_co_u32 v85, vcc_lo, v59, v39
	v_add_co_ci_u32_e32 v86, vcc_lo, v75, v40, vcc_lo
	ds_load_b32 v59, v105 offset:4096
	v_cndmask_b32_e64 v75, 0, v85, s4
	v_cndmask_b32_e64 v76, 0, v86, s4
	s_delay_alu instid0(VALU_DEP_2) | instskip(NEXT) | instid1(VALU_DEP_2)
	v_add_co_u32 v101, vcc_lo, v75, v33
	v_add_co_ci_u32_e32 v102, vcc_lo, v76, v34, vcc_lo
	ds_load_b64 v[75:76], v105 offset:4120
	v_cndmask_b32_e64 v77, 0, v101, s3
	v_cndmask_b32_e64 v104, 0, v102, s3
	s_delay_alu instid0(VALU_DEP_2)
	v_add_co_u32 v103, vcc_lo, v77, v35
	ds_load_b32 v77, v105 offset:4112
	v_add_co_ci_u32_e32 v104, vcc_lo, v104, v36, vcc_lo
	v_cndmask_b32_e64 v105, 0, v103, s1
	s_waitcnt lgkmcnt(2)
	v_cmp_eq_u32_e32 vcc_lo, 0, v59
	s_delay_alu instid0(VALU_DEP_3) | instskip(NEXT) | instid1(VALU_DEP_3)
	v_cndmask_b32_e64 v106, 0, v104, s1
	v_add_co_u32 v105, s1, v105, v29
	s_delay_alu instid0(VALU_DEP_1) | instskip(SKIP_2) | instid1(VALU_DEP_3)
	v_add_co_ci_u32_e64 v106, s1, v106, v30, s1
	s_waitcnt lgkmcnt(1)
	v_dual_cndmask_b32 v75, 0, v75 :: v_dual_cndmask_b32 v76, 0, v76
	v_cndmask_b32_e64 v109, 0, v105, s0
	s_delay_alu instid0(VALU_DEP_3) | instskip(NEXT) | instid1(VALU_DEP_3)
	v_cndmask_b32_e64 v110, 0, v106, s0
	v_add_co_u32 v75, vcc_lo, v75, v116
	s_delay_alu instid0(VALU_DEP_4)
	v_add_co_ci_u32_e32 v76, vcc_lo, v76, v117, vcc_lo
	s_branch .LBB524_211
.LBB524_183:
                                        ; implicit-def: $vgpr59
                                        ; implicit-def: $vgpr75_vgpr76
                                        ; implicit-def: $vgpr77
                                        ; implicit-def: $vgpr91_vgpr92
                                        ; implicit-def: $vgpr87_vgpr88
                                        ; implicit-def: $vgpr93_vgpr94
                                        ; implicit-def: $vgpr97_vgpr98
                                        ; implicit-def: $vgpr79_vgpr80
                                        ; implicit-def: $vgpr83_vgpr84
                                        ; implicit-def: $vgpr89_vgpr90
                                        ; implicit-def: $vgpr95_vgpr96
                                        ; implicit-def: $vgpr99_vgpr100
                                        ; implicit-def: $vgpr81_vgpr82
                                        ; implicit-def: $vgpr85_vgpr86
                                        ; implicit-def: $vgpr101_vgpr102
                                        ; implicit-def: $vgpr103_vgpr104
                                        ; implicit-def: $vgpr105_vgpr106
                                        ; implicit-def: $vgpr109_vgpr110
                                        ; implicit-def: $vgpr113
	s_cbranch_execz .LBB524_211
; %bb.184:
	s_and_b32 s0, s15, exec_lo
	s_cselect_b32 s1, 0, s25
	s_cselect_b32 s0, 0, s24
	s_delay_alu instid0(SALU_CYCLE_1)
	s_cmp_eq_u64 s[0:1], 0
	s_cbranch_scc1 .LBB524_186
; %bb.185:
	v_mov_b32_e32 v59, 0
	global_load_b64 v[107:108], v59, s[0:1]
.LBB524_186:
	v_cmp_eq_u32_e64 s12, 0, v72
	v_cmp_eq_u32_e64 s11, 0, v69
	;; [unrolled: 1-line block ×5, first 2 shown]
	s_waitcnt lgkmcnt(0)
	v_cndmask_b32_e64 v75, 0, v53, s12
	v_cndmask_b32_e64 v59, 0, v54, s12
	v_cmp_eq_u32_e64 s7, 0, v65
	v_cmp_eq_u32_e64 s6, 0, v66
	;; [unrolled: 1-line block ×3, first 2 shown]
	v_add_co_u32 v75, vcc_lo, v75, v55
	v_add_co_ci_u32_e32 v59, vcc_lo, v59, v56, vcc_lo
	v_cmp_eq_u32_e64 s4, 0, v64
	s_delay_alu instid0(VALU_DEP_3) | instskip(SKIP_1) | instid1(VALU_DEP_4)
	v_cndmask_b32_e64 v75, 0, v75, s11
	v_cmp_eq_u32_e64 s3, 0, v61
	v_cndmask_b32_e64 v59, 0, v59, s11
	v_cmp_eq_u32_e64 s1, 0, v112
	v_add3_u32 v76, v115, v68, v65
	v_add_co_u32 v75, vcc_lo, v75, v49
	s_delay_alu instid0(VALU_DEP_4) | instskip(NEXT) | instid1(VALU_DEP_3)
	v_add_co_ci_u32_e32 v59, vcc_lo, v59, v50, vcc_lo
	v_add3_u32 v76, v76, v66, v63
	s_delay_alu instid0(VALU_DEP_3) | instskip(SKIP_1) | instid1(VALU_DEP_3)
	v_cndmask_b32_e64 v75, 0, v75, s10
	s_mov_b32 s14, exec_lo
	v_cndmask_b32_e64 v59, 0, v59, s10
	s_delay_alu instid0(VALU_DEP_3) | instskip(NEXT) | instid1(VALU_DEP_3)
	v_add3_u32 v76, v76, v64, v61
	v_add_co_u32 v75, vcc_lo, v75, v51
	s_delay_alu instid0(VALU_DEP_3) | instskip(NEXT) | instid1(VALU_DEP_3)
	v_add_co_ci_u32_e32 v59, vcc_lo, v59, v52, vcc_lo
	v_add3_u32 v76, v76, v62, v112
	s_delay_alu instid0(VALU_DEP_3) | instskip(NEXT) | instid1(VALU_DEP_3)
	v_cndmask_b32_e64 v75, 0, v75, s9
	v_cndmask_b32_e64 v59, 0, v59, s9
	s_delay_alu instid0(VALU_DEP_2) | instskip(NEXT) | instid1(VALU_DEP_2)
	v_add_co_u32 v75, vcc_lo, v75, v45
	v_add_co_ci_u32_e32 v59, vcc_lo, v59, v46, vcc_lo
	s_delay_alu instid0(VALU_DEP_2) | instskip(NEXT) | instid1(VALU_DEP_2)
	v_cndmask_b32_e64 v75, 0, v75, s8
	v_cndmask_b32_e64 v59, 0, v59, s8
	s_delay_alu instid0(VALU_DEP_2) | instskip(NEXT) | instid1(VALU_DEP_2)
	v_add_co_u32 v75, vcc_lo, v75, v47
	v_add_co_ci_u32_e32 v59, vcc_lo, v59, v48, vcc_lo
	s_delay_alu instid0(VALU_DEP_2) | instskip(NEXT) | instid1(VALU_DEP_2)
	;; [unrolled: 6-line block ×6, first 2 shown]
	v_cndmask_b32_e64 v75, 0, v75, s3
	v_cndmask_b32_e64 v59, 0, v59, s3
	s_delay_alu instid0(VALU_DEP_2) | instskip(NEXT) | instid1(VALU_DEP_2)
	v_add_co_u32 v75, vcc_lo, v75, v33
	v_add_co_ci_u32_e32 v59, vcc_lo, v59, v34, vcc_lo
	v_cmp_eq_u32_e32 vcc_lo, 0, v62
	s_delay_alu instid0(VALU_DEP_3) | instskip(NEXT) | instid1(VALU_DEP_3)
	v_cndmask_b32_e32 v75, 0, v75, vcc_lo
	v_cndmask_b32_e32 v59, 0, v59, vcc_lo
	s_delay_alu instid0(VALU_DEP_2) | instskip(NEXT) | instid1(VALU_DEP_1)
	v_add_co_u32 v75, s0, v75, v35
	v_add_co_ci_u32_e64 v59, s0, v59, v36, s0
	s_delay_alu instid0(VALU_DEP_2) | instskip(NEXT) | instid1(VALU_DEP_2)
	v_cndmask_b32_e64 v75, 0, v75, s1
	v_cndmask_b32_e64 v59, 0, v59, s1
	s_delay_alu instid0(VALU_DEP_2) | instskip(NEXT) | instid1(VALU_DEP_1)
	v_add_co_u32 v75, s0, v75, v29
	v_add_co_ci_u32_e64 v59, s0, v59, v30, s0
	v_cmp_eq_u32_e64 s0, 0, v60
	s_delay_alu instid0(VALU_DEP_1) | instskip(NEXT) | instid1(VALU_DEP_3)
	v_cndmask_b32_e64 v75, 0, v75, s0
	v_cndmask_b32_e64 v59, 0, v59, s0
	s_delay_alu instid0(VALU_DEP_2) | instskip(NEXT) | instid1(VALU_DEP_1)
	v_add_co_u32 v75, s13, v75, v31
	v_add_co_ci_u32_e64 v59, s13, v59, v32, s13
	v_cmp_eq_u32_e64 s13, 0, v111
	s_delay_alu instid0(VALU_DEP_1) | instskip(NEXT) | instid1(VALU_DEP_3)
	v_cndmask_b32_e64 v75, 0, v75, s13
	v_cndmask_b32_e64 v77, 0, v59, s13
	v_add3_u32 v59, v76, v60, v111
	s_delay_alu instid0(VALU_DEP_3) | instskip(NEXT) | instid1(VALU_DEP_1)
	v_add_co_u32 v73, s13, v75, v73
	v_add_co_ci_u32_e64 v74, s13, v77, v74, s13
	v_and_b32_e32 v75, 15, v114
	s_delay_alu instid0(VALU_DEP_4) | instskip(NEXT) | instid1(VALU_DEP_4)
	v_mov_b32_dpp v76, v59 row_shr:1 row_mask:0xf bank_mask:0xf
	v_mov_b32_dpp v77, v73 row_shr:1 row_mask:0xf bank_mask:0xf
	s_delay_alu instid0(VALU_DEP_4) | instskip(NEXT) | instid1(VALU_DEP_4)
	v_mov_b32_dpp v78, v74 row_shr:1 row_mask:0xf bank_mask:0xf
	v_cmpx_ne_u32_e32 0, v75
; %bb.187:
	v_cmp_eq_u32_e64 s13, 0, v59
	v_add_nc_u32_e32 v59, v76, v59
	s_delay_alu instid0(VALU_DEP_2) | instskip(SKIP_1) | instid1(VALU_DEP_2)
	v_cndmask_b32_e64 v77, 0, v77, s13
	v_cndmask_b32_e64 v78, 0, v78, s13
	v_add_co_u32 v73, s13, v77, v73
	s_delay_alu instid0(VALU_DEP_1)
	v_add_co_ci_u32_e64 v74, s13, v78, v74, s13
; %bb.188:
	s_or_b32 exec_lo, exec_lo, s14
	v_mov_b32_dpp v76, v59 row_shr:2 row_mask:0xf bank_mask:0xf
	s_delay_alu instid0(VALU_DEP_3) | instskip(NEXT) | instid1(VALU_DEP_3)
	v_mov_b32_dpp v77, v73 row_shr:2 row_mask:0xf bank_mask:0xf
	v_mov_b32_dpp v78, v74 row_shr:2 row_mask:0xf bank_mask:0xf
	s_mov_b32 s14, exec_lo
	v_cmpx_lt_u32_e32 1, v75
; %bb.189:
	v_cmp_eq_u32_e64 s13, 0, v59
	v_add_nc_u32_e32 v59, v76, v59
	s_delay_alu instid0(VALU_DEP_2) | instskip(SKIP_1) | instid1(VALU_DEP_2)
	v_cndmask_b32_e64 v77, 0, v77, s13
	v_cndmask_b32_e64 v78, 0, v78, s13
	v_add_co_u32 v73, s13, v77, v73
	s_delay_alu instid0(VALU_DEP_1)
	v_add_co_ci_u32_e64 v74, s13, v78, v74, s13
; %bb.190:
	s_or_b32 exec_lo, exec_lo, s14
	v_mov_b32_dpp v76, v59 row_shr:4 row_mask:0xf bank_mask:0xf
	s_delay_alu instid0(VALU_DEP_3) | instskip(NEXT) | instid1(VALU_DEP_3)
	v_mov_b32_dpp v77, v73 row_shr:4 row_mask:0xf bank_mask:0xf
	v_mov_b32_dpp v78, v74 row_shr:4 row_mask:0xf bank_mask:0xf
	s_mov_b32 s14, exec_lo
	v_cmpx_lt_u32_e32 3, v75
	;; [unrolled: 17-line block ×3, first 2 shown]
; %bb.193:
	v_cmp_eq_u32_e64 s13, 0, v59
	v_add_nc_u32_e32 v59, v76, v59
	s_delay_alu instid0(VALU_DEP_2) | instskip(SKIP_1) | instid1(VALU_DEP_2)
	v_cndmask_b32_e64 v77, 0, v77, s13
	v_cndmask_b32_e64 v75, 0, v78, s13
	v_add_co_u32 v73, s13, v77, v73
	s_delay_alu instid0(VALU_DEP_1)
	v_add_co_ci_u32_e64 v74, s13, v75, v74, s13
; %bb.194:
	s_or_b32 exec_lo, exec_lo, s14
	ds_swizzle_b32 v75, v59 offset:swizzle(BROADCAST,32,15)
	ds_swizzle_b32 v76, v73 offset:swizzle(BROADCAST,32,15)
	;; [unrolled: 1-line block ×3, first 2 shown]
	v_and_b32_e32 v78, 16, v114
	s_mov_b32 s14, exec_lo
	s_delay_alu instid0(VALU_DEP_1)
	v_cmpx_ne_u32_e32 0, v78
	s_cbranch_execz .LBB524_196
; %bb.195:
	v_cmp_eq_u32_e64 s13, 0, v59
	s_waitcnt lgkmcnt(2)
	v_add_nc_u32_e32 v59, v75, v59
	s_waitcnt lgkmcnt(1)
	s_delay_alu instid0(VALU_DEP_2) | instskip(SKIP_2) | instid1(VALU_DEP_2)
	v_cndmask_b32_e64 v76, 0, v76, s13
	s_waitcnt lgkmcnt(0)
	v_cndmask_b32_e64 v77, 0, v77, s13
	v_add_co_u32 v73, s13, v76, v73
	s_delay_alu instid0(VALU_DEP_1)
	v_add_co_ci_u32_e64 v74, s13, v77, v74, s13
.LBB524_196:
	s_or_b32 exec_lo, exec_lo, s14
	s_waitcnt lgkmcnt(2)
	v_or_b32_e32 v75, 31, v0
	s_waitcnt lgkmcnt(0)
	v_lshrrev_b32_e32 v77, 5, v0
	s_mov_b32 s14, exec_lo
	s_delay_alu instid0(VALU_DEP_2)
	v_cmpx_eq_u32_e64 v75, v0
	s_cbranch_execz .LBB524_198
; %bb.197:
	s_delay_alu instid0(VALU_DEP_2)
	v_lshlrev_b32_e32 v75, 4, v77
	ds_store_b32 v75, v59 offset:4128
	ds_store_b64 v75, v[73:74] offset:4136
.LBB524_198:
	s_or_b32 exec_lo, exec_lo, s14
	s_delay_alu instid0(SALU_CYCLE_1)
	s_mov_b32 s14, exec_lo
	s_waitcnt vmcnt(0) lgkmcnt(0)
	s_barrier
	buffer_gl0_inv
	v_cmpx_gt_u32_e32 8, v0
	s_cbranch_execz .LBB524_206
; %bb.199:
	v_lshlrev_b32_e32 v78, 4, v0
	v_and_b32_e32 v80, 7, v114
	s_mov_b32 s16, exec_lo
	ds_load_b32 v79, v78 offset:4128
	ds_load_b64 v[75:76], v78 offset:4136
	s_waitcnt lgkmcnt(1)
	v_mov_b32_dpp v81, v79 row_shr:1 row_mask:0xf bank_mask:0xf
	s_waitcnt lgkmcnt(0)
	v_mov_b32_dpp v82, v75 row_shr:1 row_mask:0xf bank_mask:0xf
	v_mov_b32_dpp v83, v76 row_shr:1 row_mask:0xf bank_mask:0xf
	v_cmpx_ne_u32_e32 0, v80
; %bb.200:
	v_cmp_eq_u32_e64 s13, 0, v79
	v_add_nc_u32_e32 v79, v81, v79
	s_delay_alu instid0(VALU_DEP_2) | instskip(SKIP_1) | instid1(VALU_DEP_2)
	v_cndmask_b32_e64 v82, 0, v82, s13
	v_cndmask_b32_e64 v83, 0, v83, s13
	v_add_co_u32 v75, s13, v82, v75
	s_delay_alu instid0(VALU_DEP_1)
	v_add_co_ci_u32_e64 v76, s13, v83, v76, s13
; %bb.201:
	s_or_b32 exec_lo, exec_lo, s16
	v_mov_b32_dpp v81, v79 row_shr:2 row_mask:0xf bank_mask:0xf
	s_delay_alu instid0(VALU_DEP_3) | instskip(NEXT) | instid1(VALU_DEP_3)
	v_mov_b32_dpp v82, v75 row_shr:2 row_mask:0xf bank_mask:0xf
	v_mov_b32_dpp v83, v76 row_shr:2 row_mask:0xf bank_mask:0xf
	s_mov_b32 s16, exec_lo
	v_cmpx_lt_u32_e32 1, v80
; %bb.202:
	v_cmp_eq_u32_e64 s13, 0, v79
	v_add_nc_u32_e32 v79, v81, v79
	s_delay_alu instid0(VALU_DEP_2) | instskip(SKIP_1) | instid1(VALU_DEP_2)
	v_cndmask_b32_e64 v82, 0, v82, s13
	v_cndmask_b32_e64 v83, 0, v83, s13
	v_add_co_u32 v75, s13, v82, v75
	s_delay_alu instid0(VALU_DEP_1)
	v_add_co_ci_u32_e64 v76, s13, v83, v76, s13
; %bb.203:
	s_or_b32 exec_lo, exec_lo, s16
	v_mov_b32_dpp v81, v79 row_shr:4 row_mask:0xf bank_mask:0xf
	s_delay_alu instid0(VALU_DEP_3) | instskip(NEXT) | instid1(VALU_DEP_3)
	v_mov_b32_dpp v82, v75 row_shr:4 row_mask:0xf bank_mask:0xf
	v_mov_b32_dpp v83, v76 row_shr:4 row_mask:0xf bank_mask:0xf
	s_mov_b32 s16, exec_lo
	v_cmpx_lt_u32_e32 3, v80
; %bb.204:
	v_cmp_eq_u32_e64 s13, 0, v79
	v_add_nc_u32_e32 v79, v81, v79
	s_delay_alu instid0(VALU_DEP_2) | instskip(SKIP_1) | instid1(VALU_DEP_2)
	v_cndmask_b32_e64 v82, 0, v82, s13
	v_cndmask_b32_e64 v80, 0, v83, s13
	v_add_co_u32 v75, s13, v82, v75
	s_delay_alu instid0(VALU_DEP_1)
	v_add_co_ci_u32_e64 v76, s13, v80, v76, s13
; %bb.205:
	s_or_b32 exec_lo, exec_lo, s16
	ds_store_b32 v78, v79 offset:4128
	ds_store_b64 v78, v[75:76] offset:4136
.LBB524_206:
	s_or_b32 exec_lo, exec_lo, s14
	v_dual_mov_b32 v78, 0 :: v_dual_mov_b32 v79, 0
	v_dual_mov_b32 v75, v107 :: v_dual_mov_b32 v76, v108
	s_mov_b32 s14, exec_lo
	s_waitcnt lgkmcnt(0)
	s_barrier
	buffer_gl0_inv
	v_cmpx_lt_u32_e32 31, v0
	s_cbranch_execz .LBB524_208
; %bb.207:
	v_lshlrev_b32_e32 v75, 4, v77
	ds_load_b32 v79, v75 offset:4112
	ds_load_b64 v[75:76], v75 offset:4120
	s_waitcnt lgkmcnt(1)
	v_cmp_eq_u32_e64 s13, 0, v79
	s_delay_alu instid0(VALU_DEP_1) | instskip(SKIP_2) | instid1(VALU_DEP_2)
	v_cndmask_b32_e64 v80, 0, v107, s13
	v_cndmask_b32_e64 v77, 0, v108, s13
	s_waitcnt lgkmcnt(0)
	v_add_co_u32 v75, s13, v80, v75
	s_delay_alu instid0(VALU_DEP_1)
	v_add_co_ci_u32_e64 v76, s13, v77, v76, s13
.LBB524_208:
	s_or_b32 exec_lo, exec_lo, s14
	v_add_nc_u32_e32 v77, -1, v114
	v_cmp_eq_u32_e64 s13, 0, v59
	v_add_nc_u32_e32 v59, v79, v59
	s_delay_alu instid0(VALU_DEP_3) | instskip(NEXT) | instid1(VALU_DEP_3)
	v_cmp_gt_i32_e64 s14, 0, v77
	v_cndmask_b32_e64 v81, 0, v75, s13
	v_cndmask_b32_e64 v80, 0, v76, s13
	s_delay_alu instid0(VALU_DEP_3) | instskip(NEXT) | instid1(VALU_DEP_3)
	v_cndmask_b32_e64 v77, v77, v114, s14
	v_add_co_u32 v73, s13, v81, v73
	s_delay_alu instid0(VALU_DEP_1) | instskip(NEXT) | instid1(VALU_DEP_3)
	v_add_co_ci_u32_e64 v74, s13, v80, v74, s13
	v_lshlrev_b32_e32 v77, 2, v77
	v_cmp_eq_u32_e64 s13, 0, v114
	ds_bpermute_b32 v73, v77, v73
	ds_bpermute_b32 v74, v77, v74
	;; [unrolled: 1-line block ×3, first 2 shown]
	s_waitcnt lgkmcnt(2)
	v_cndmask_b32_e64 v91, v73, v75, s13
	s_waitcnt lgkmcnt(1)
	v_cndmask_b32_e64 v92, v74, v76, s13
	;; [unrolled: 2-line block ×3, first 2 shown]
	v_cmp_eq_u32_e64 s13, 0, v71
	v_cndmask_b32_e64 v59, v91, v107, s2
	v_cndmask_b32_e64 v73, v92, v108, s2
	s_delay_alu instid0(VALU_DEP_2) | instskip(NEXT) | instid1(VALU_DEP_2)
	v_cndmask_b32_e64 v59, 0, v59, s13
	v_cndmask_b32_e64 v73, 0, v73, s13
	s_delay_alu instid0(VALU_DEP_2) | instskip(NEXT) | instid1(VALU_DEP_1)
	v_add_co_u32 v87, s13, v59, v53
	v_add_co_ci_u32_e64 v88, s13, v73, v54, s13
	ds_load_b32 v59, v78 offset:4240
	v_cndmask_b32_e64 v53, 0, v87, s12
	v_cndmask_b32_e64 v54, 0, v88, s12
	s_delay_alu instid0(VALU_DEP_2) | instskip(NEXT) | instid1(VALU_DEP_1)
	v_add_co_u32 v93, s12, v53, v55
	v_add_co_ci_u32_e64 v94, s12, v54, v56, s12
	s_delay_alu instid0(VALU_DEP_2) | instskip(NEXT) | instid1(VALU_DEP_2)
	v_cndmask_b32_e64 v53, 0, v93, s11
	v_cndmask_b32_e64 v54, 0, v94, s11
	s_delay_alu instid0(VALU_DEP_2) | instskip(NEXT) | instid1(VALU_DEP_1)
	v_add_co_u32 v97, s11, v53, v49
	v_add_co_ci_u32_e64 v98, s11, v54, v50, s11
	s_delay_alu instid0(VALU_DEP_2) | instskip(NEXT) | instid1(VALU_DEP_2)
	;; [unrolled: 6-line block ×9, first 2 shown]
	v_cndmask_b32_e64 v37, 0, v85, s3
	v_cndmask_b32_e64 v38, 0, v86, s3
	s_delay_alu instid0(VALU_DEP_2) | instskip(NEXT) | instid1(VALU_DEP_1)
	v_add_co_u32 v101, s3, v37, v33
	v_add_co_ci_u32_e64 v102, s3, v38, v34, s3
	ds_load_b64 v[33:34], v78 offset:4248
	v_dual_cndmask_b32 v37, 0, v101 :: v_dual_cndmask_b32 v38, 0, v102
	s_delay_alu instid0(VALU_DEP_1) | instskip(NEXT) | instid1(VALU_DEP_2)
	v_add_co_u32 v103, vcc_lo, v37, v35
	v_add_co_ci_u32_e32 v104, vcc_lo, v38, v36, vcc_lo
	s_waitcnt lgkmcnt(1)
	v_cmp_eq_u32_e32 vcc_lo, 0, v59
	s_delay_alu instid0(VALU_DEP_3) | instskip(NEXT) | instid1(VALU_DEP_3)
	v_cndmask_b32_e64 v35, 0, v103, s1
	v_cndmask_b32_e64 v36, 0, v104, s1
	s_delay_alu instid0(VALU_DEP_2) | instskip(NEXT) | instid1(VALU_DEP_1)
	v_add_co_u32 v105, s1, v35, v29
	v_add_co_ci_u32_e64 v106, s1, v36, v30, s1
	v_dual_cndmask_b32 v30, 0, v107 :: v_dual_cndmask_b32 v29, 0, v108
	s_delay_alu instid0(VALU_DEP_3) | instskip(NEXT) | instid1(VALU_DEP_3)
	v_cndmask_b32_e64 v109, 0, v105, s0
	v_cndmask_b32_e64 v110, 0, v106, s0
	s_waitcnt lgkmcnt(0)
	s_delay_alu instid0(VALU_DEP_3)
	v_add_co_u32 v75, vcc_lo, v30, v33
	v_add_co_ci_u32_e32 v76, vcc_lo, v29, v34, vcc_lo
	s_and_saveexec_b32 s0, s2
	s_cbranch_execz .LBB524_210
; %bb.209:
	v_mov_b32_e32 v91, v107
	v_dual_mov_b32 v113, 0 :: v_dual_mov_b32 v92, v108
	v_mov_b32_e32 v29, 2
	s_clause 0x1
	global_store_b32 v113, v59, s[38:39] offset:512
	global_store_b64 v113, v[75:76], s[38:39] offset:520
	s_waitcnt_vscnt null, 0x0
	buffer_gl1_inv
	buffer_gl0_inv
	global_store_b8 v113, v29, s[40:41] offset:32
.LBB524_210:
	s_or_b32 exec_lo, exec_lo, s0
	v_mov_b32_e32 v77, 0
.LBB524_211:
	v_mov_b32_e32 v29, 0
	s_and_b32 s0, s15, exec_lo
	v_mov_b32_e32 v30, 0
	s_cselect_b32 s1, 0, s51
	s_cselect_b32 s0, 0, s50
	s_waitcnt lgkmcnt(0)
	s_waitcnt_vscnt null, 0x0
	s_cmp_eq_u64 s[0:1], 0
	s_barrier
	buffer_gl0_inv
	s_cbranch_scc1 .LBB524_213
; %bb.212:
	v_mov_b32_e32 v29, 0
	global_load_b64 v[29:30], v29, s[0:1]
.LBB524_213:
	v_cmp_eq_u32_e32 vcc_lo, 0, v71
	v_add_nc_u32_e32 v48, v113, v71
	v_cmp_ne_u32_e64 s13, 0, v71
	v_cmp_ne_u32_e64 s12, 0, v72
	;; [unrolled: 1-line block ×3, first 2 shown]
	v_cndmask_b32_e64 v33, 1, 2, vcc_lo
	v_cmp_eq_u32_e32 vcc_lo, 0, v72
	v_add_nc_u32_e32 v50, v48, v72
	v_cmp_ne_u32_e64 s9, 0, v70
	v_cmp_ne_u32_e64 s15, 0, v67
	;; [unrolled: 1-line block ×3, first 2 shown]
	v_cndmask_b32_e64 v34, 1, 2, vcc_lo
	v_cmp_eq_u32_e32 vcc_lo, 0, v69
	v_add_nc_u32_e32 v49, v50, v69
	v_cmp_ne_u32_e64 s11, 0, v65
	s_delay_alu instid0(VALU_DEP_4)
	v_dual_mov_b32 v78, 0 :: v_dual_and_b32 v33, v34, v33
	v_cndmask_b32_e64 v35, 1, 2, vcc_lo
	v_cmp_eq_u32_e32 vcc_lo, 0, v70
	v_add_nc_u32_e32 v47, v49, v70
	v_cmp_ne_u32_e64 s8, 0, v66
	v_cmp_ne_u32_e64 s7, 0, v63
	v_and_b32_e32 v35, v33, v35
	v_cndmask_b32_e64 v36, 1, 2, vcc_lo
	v_cmp_eq_u32_e32 vcc_lo, 0, v67
	v_add_nc_u32_e32 v46, v47, v67
	s_waitcnt vmcnt(0)
	v_lshlrev_b64 v[33:34], 3, v[29:30]
	v_cmp_ne_u32_e64 s6, 0, v64
	v_and_b32_e32 v35, v35, v36
	v_cndmask_b32_e64 v37, 1, 2, vcc_lo
	v_cmp_eq_u32_e32 vcc_lo, 0, v68
	v_add_nc_u32_e32 v45, v46, v68
	v_cmp_ne_u32_e64 s5, 0, v61
	v_cmp_ne_u32_e64 s4, 0, v62
	v_and_b32_e32 v35, v35, v37
	v_cndmask_b32_e64 v36, 1, 2, vcc_lo
	v_cmp_eq_u32_e32 vcc_lo, 0, v65
	v_add_nc_u32_e32 v44, v45, v65
	v_cmp_ne_u32_e64 s3, 0, v112
	;; [unrolled: 6-line block ×3, first 2 shown]
	s_delay_alu instid0(VALU_DEP_4) | instskip(SKIP_3) | instid1(VALU_DEP_3)
	v_and_b32_e32 v35, v35, v37
	v_cndmask_b32_e64 v36, 1, 2, vcc_lo
	v_cmp_eq_u32_e32 vcc_lo, 0, v63
	v_add_nc_u32_e32 v42, v43, v63
	v_and_b32_e32 v35, v35, v36
	v_cndmask_b32_e64 v37, 1, 2, vcc_lo
	v_cmp_eq_u32_e32 vcc_lo, 0, v64
	s_delay_alu instid0(VALU_DEP_4) | instskip(NEXT) | instid1(VALU_DEP_3)
	v_add_nc_u32_e32 v41, v42, v64
	v_and_b32_e32 v35, v35, v37
	v_cndmask_b32_e64 v36, 1, 2, vcc_lo
	v_cmp_eq_u32_e32 vcc_lo, 0, v61
	s_delay_alu instid0(VALU_DEP_4) | instskip(NEXT) | instid1(VALU_DEP_3)
	v_add_nc_u32_e32 v40, v41, v61
	v_and_b32_e32 v39, v35, v36
	v_cndmask_b32_e64 v37, 1, 2, vcc_lo
	v_cmp_eq_u32_e32 vcc_lo, 0, v62
	v_lshlrev_b64 v[35:36], 3, v[77:78]
	s_delay_alu instid0(VALU_DEP_3) | instskip(SKIP_3) | instid1(VALU_DEP_3)
	v_and_b32_e32 v37, v39, v37
	v_cndmask_b32_e64 v38, 1, 2, vcc_lo
	v_cmp_eq_u32_e32 vcc_lo, 0, v112
	v_add_nc_u32_e32 v39, v40, v62
	v_and_b32_e32 v54, v37, v38
	v_cndmask_b32_e64 v53, 1, 2, vcc_lo
	v_add_co_u32 v51, vcc_lo, s18, v33
	v_add_co_ci_u32_e32 v52, vcc_lo, s19, v34, vcc_lo
	s_delay_alu instid0(VALU_DEP_3) | instskip(NEXT) | instid1(VALU_DEP_3)
	v_and_b32_e32 v53, v54, v53
	v_add_co_u32 v51, vcc_lo, v51, v35
	s_delay_alu instid0(VALU_DEP_3)
	v_add_co_ci_u32_e32 v52, vcc_lo, v52, v36, vcc_lo
	v_cmp_eq_u32_e32 vcc_lo, 0, v60
	v_add_nc_u32_e32 v38, v39, v112
	s_mov_b32 s18, -1
	v_cndmask_b32_e64 v54, 1, 2, vcc_lo
	v_cmp_eq_u32_e32 vcc_lo, 0, v111
	s_delay_alu instid0(VALU_DEP_3) | instskip(NEXT) | instid1(VALU_DEP_3)
	v_add_nc_u32_e32 v37, v38, v60
	v_and_b32_e32 v53, v53, v54
	v_cndmask_b32_e64 v54, 1, 2, vcc_lo
	v_cmp_gt_u32_e32 vcc_lo, 0x100, v59
	s_delay_alu instid0(VALU_DEP_2) | instskip(NEXT) | instid1(VALU_DEP_1)
	v_and_b32_e32 v53, v53, v54
	v_cmp_gt_i16_e64 s16, 2, v53
	s_cbranch_vccz .LBB524_220
; %bb.214:
	s_delay_alu instid0(VALU_DEP_1)
	s_and_saveexec_b32 s18, s16
	s_cbranch_execz .LBB524_219
; %bb.215:
	s_mov_b32 s19, 0
	s_mov_b32 s16, exec_lo
	v_cmpx_ne_u16_e32 1, v53
	s_xor_b32 s16, exec_lo, s16
	s_cbranch_execnz .LBB524_285
; %bb.216:
	s_and_not1_saveexec_b32 s16, s16
	s_cbranch_execnz .LBB524_301
.LBB524_217:
	s_or_b32 exec_lo, exec_lo, s16
	s_delay_alu instid0(SALU_CYCLE_1)
	s_and_b32 exec_lo, exec_lo, s19
	s_cbranch_execz .LBB524_219
.LBB524_218:
	v_sub_nc_u32_e32 v54, v37, v77
	v_mov_b32_e32 v55, 0
	s_delay_alu instid0(VALU_DEP_1) | instskip(NEXT) | instid1(VALU_DEP_1)
	v_lshlrev_b64 v[54:55], 3, v[54:55]
	v_add_co_u32 v54, vcc_lo, v51, v54
	s_delay_alu instid0(VALU_DEP_2)
	v_add_co_ci_u32_e32 v55, vcc_lo, v52, v55, vcc_lo
	global_store_b64 v[54:55], v[57:58], off
.LBB524_219:
	s_or_b32 exec_lo, exec_lo, s18
	s_mov_b32 s18, 0
.LBB524_220:
	s_delay_alu instid0(SALU_CYCLE_1)
	s_and_b32 vcc_lo, exec_lo, s18
	s_cbranch_vccz .LBB524_230
; %bb.221:
	s_mov_b32 s16, exec_lo
	v_cmpx_gt_i16_e32 2, v53
	s_cbranch_execz .LBB524_226
; %bb.222:
	s_mov_b32 s19, 0
	s_mov_b32 s18, exec_lo
	v_cmpx_ne_u16_e32 1, v53
	s_xor_b32 s18, exec_lo, s18
	s_cbranch_execnz .LBB524_302
; %bb.223:
	s_and_not1_saveexec_b32 s0, s18
	s_cbranch_execnz .LBB524_318
.LBB524_224:
	s_or_b32 exec_lo, exec_lo, s0
	s_delay_alu instid0(SALU_CYCLE_1)
	s_and_b32 exec_lo, exec_lo, s19
	s_cbranch_execz .LBB524_226
.LBB524_225:
	v_sub_nc_u32_e32 v1, v37, v77
	s_delay_alu instid0(VALU_DEP_1)
	v_lshlrev_b32_e32 v1, 3, v1
	ds_store_b64 v1, v[57:58]
.LBB524_226:
	s_or_b32 exec_lo, exec_lo, s16
	s_delay_alu instid0(SALU_CYCLE_1)
	s_mov_b32 s1, exec_lo
	s_waitcnt lgkmcnt(0)
	s_waitcnt_vscnt null, 0x0
	s_barrier
	buffer_gl0_inv
	v_cmpx_lt_u32_e64 v0, v59
	s_cbranch_execz .LBB524_229
; %bb.227:
	v_dual_mov_b32 v2, 0 :: v_dual_lshlrev_b32 v3, 3, v0
	v_mov_b32_e32 v1, v0
	s_mov_b32 s3, 0
	.p2align	6
.LBB524_228:                            ; =>This Inner Loop Header: Depth=1
	ds_load_b64 v[4:5], v3
	v_lshlrev_b64 v[6:7], 3, v[1:2]
	v_add_nc_u32_e32 v1, 0x100, v1
	v_add_nc_u32_e32 v3, 0x800, v3
	s_delay_alu instid0(VALU_DEP_2) | instskip(NEXT) | instid1(VALU_DEP_4)
	v_cmp_ge_u32_e32 vcc_lo, v1, v59
	v_add_co_u32 v6, s0, v51, v6
	s_delay_alu instid0(VALU_DEP_1)
	v_add_co_ci_u32_e64 v7, s0, v52, v7, s0
	s_or_b32 s3, vcc_lo, s3
	s_waitcnt lgkmcnt(0)
	global_store_b64 v[6:7], v[4:5], off
	s_and_not1_b32 exec_lo, exec_lo, s3
	s_cbranch_execnz .LBB524_228
.LBB524_229:
	s_or_b32 exec_lo, exec_lo, s1
.LBB524_230:
	s_cmpk_lg_i32 s28, 0xf00
	v_cndmask_b32_e64 v8, 0, 1, s29
	s_cselect_b32 s0, -1, 0
	v_mad_i32_i24 v5, v0, -15, s28
	s_and_b32 s0, s0, s17
	v_add_co_u32 v1, vcc_lo, v109, v31
	v_cndmask_b32_e64 v4, 0, 1, s0
	s_mul_hi_u32 s0, s28, 0x88888889
	s_and_b32 s1, s2, s29
	s_lshr_b32 s0, s0, 3
	v_add_co_ci_u32_e32 v2, vcc_lo, v110, v32, vcc_lo
	v_sub_nc_u32_e32 v3, v59, v8
	v_cndmask_b32_e64 v6, v71, 0, s1
	v_cmp_eq_u32_e32 vcc_lo, s0, v0
	v_cmp_ne_u32_e64 s0, 0, v5
	s_mov_b32 s16, -1
	s_waitcnt_vscnt null, 0x0
	s_barrier
	s_and_b32 vcc_lo, vcc_lo, s17
	v_add_nc_u32_e32 v3, v3, v4
	v_cndmask_b32_e64 v4, 1, v6, s0
	v_cmp_ne_u32_e64 s0, 1, v5
	buffer_gl0_inv
	v_cndmask_b32_e64 v7, 1, v72, s0
	v_cmp_ne_u32_e64 s0, 14, v5
	s_delay_alu instid0(VALU_DEP_1) | instskip(SKIP_1) | instid1(VALU_DEP_2)
	v_cndmask_b32_e64 v9, 1, v111, s0
	v_cmp_ne_u32_e64 s0, 2, v5
	v_dual_cndmask_b32 v12, v111, v9 :: v_dual_cndmask_b32 v9, v6, v4
	s_delay_alu instid0(VALU_DEP_2) | instskip(SKIP_1) | instid1(VALU_DEP_3)
	v_cndmask_b32_e64 v10, 1, v69, s0
	v_cmp_ne_u32_e64 s0, 3, v5
	v_cmp_ne_u32_e64 s14, 0, v9
	s_delay_alu instid0(VALU_DEP_3) | instskip(NEXT) | instid1(VALU_DEP_3)
	v_cndmask_b32_e32 v10, v69, v10, vcc_lo
	v_cndmask_b32_e64 v11, 1, v70, s0
	v_cmp_ne_u32_e64 s0, 4, v5
	s_delay_alu instid0(VALU_DEP_3) | instskip(NEXT) | instid1(VALU_DEP_2)
	v_cmp_ne_u32_e64 s12, 0, v10
	v_cndmask_b32_e64 v4, 1, v67, s0
	v_cmp_ne_u32_e64 s0, 5, v5
	s_delay_alu instid0(VALU_DEP_2) | instskip(NEXT) | instid1(VALU_DEP_2)
	v_dual_cndmask_b32 v13, v72, v7 :: v_dual_cndmask_b32 v18, v67, v4
	v_cndmask_b32_e64 v6, 1, v68, s0
	v_cmp_eq_u32_e64 s0, 0, v9
	s_delay_alu instid0(VALU_DEP_3) | instskip(NEXT) | instid1(VALU_DEP_4)
	v_cmp_ne_u32_e64 s13, 0, v13
	v_cmp_ne_u32_e64 s10, 0, v18
	s_delay_alu instid0(VALU_DEP_4) | instskip(NEXT) | instid1(VALU_DEP_4)
	v_cndmask_b32_e32 v19, v68, v6, vcc_lo
	v_cndmask_b32_e64 v7, 1, 2, s0
	v_cmp_eq_u32_e64 s0, 0, v13
	s_delay_alu instid0(VALU_DEP_1) | instskip(SKIP_1) | instid1(VALU_DEP_2)
	v_cndmask_b32_e64 v14, 1, 2, s0
	v_cmp_ne_u32_e64 s0, 6, v5
	v_and_b32_e32 v7, v14, v7
	s_delay_alu instid0(VALU_DEP_2) | instskip(SKIP_1) | instid1(VALU_DEP_2)
	v_cndmask_b32_e64 v15, 1, v65, s0
	v_cmp_eq_u32_e64 s0, 0, v10
	v_cndmask_b32_e32 v15, v65, v15, vcc_lo
	s_delay_alu instid0(VALU_DEP_2) | instskip(SKIP_1) | instid1(VALU_DEP_1)
	v_cndmask_b32_e64 v14, 1, 2, s0
	v_cmp_ne_u32_e64 s0, 7, v5
	v_cndmask_b32_e64 v16, 1, v66, s0
	v_cmp_ne_u32_e64 s0, 8, v5
	s_delay_alu instid0(VALU_DEP_2) | instskip(SKIP_1) | instid1(VALU_DEP_3)
	v_dual_cndmask_b32 v16, v66, v16 :: v_dual_and_b32 v7, v7, v14
	v_cndmask_b32_e32 v11, v70, v11, vcc_lo
	v_cndmask_b32_e64 v17, 1, v63, s0
	s_delay_alu instid0(VALU_DEP_3) | instskip(NEXT) | instid1(VALU_DEP_3)
	v_cmp_ne_u32_e64 s7, 0, v16
	v_cmp_eq_u32_e64 s0, 0, v11
	s_delay_alu instid0(VALU_DEP_3) | instskip(NEXT) | instid1(VALU_DEP_2)
	v_cndmask_b32_e32 v17, v63, v17, vcc_lo
	v_cndmask_b32_e64 v14, 1, 2, s0
	v_cmp_ne_u32_e64 s0, 9, v5
	s_delay_alu instid0(VALU_DEP_3) | instskip(NEXT) | instid1(VALU_DEP_3)
	v_cmp_ne_u32_e64 s6, 0, v17
	v_and_b32_e32 v6, v7, v14
	s_delay_alu instid0(VALU_DEP_3) | instskip(SKIP_2) | instid1(VALU_DEP_3)
	v_cndmask_b32_e64 v4, 1, v64, s0
	v_cmp_eq_u32_e64 s0, 0, v18
	v_cmp_ne_u32_e64 s11, 0, v11
	v_cndmask_b32_e32 v23, v64, v4, vcc_lo
	s_delay_alu instid0(VALU_DEP_3) | instskip(SKIP_1) | instid1(VALU_DEP_3)
	v_cndmask_b32_e64 v7, 1, 2, s0
	v_cmp_ne_u32_e64 s0, 10, v5
	v_cmp_ne_u32_e64 s5, 0, v23
	s_delay_alu instid0(VALU_DEP_3) | instskip(NEXT) | instid1(VALU_DEP_3)
	v_and_b32_e32 v6, v6, v7
	v_cndmask_b32_e64 v14, 1, v61, s0
	v_cmp_ne_u32_e64 s0, 12, v5
	v_cmp_ne_u32_e64 s9, 0, v19
	s_delay_alu instid0(VALU_DEP_3) | instskip(NEXT) | instid1(VALU_DEP_3)
	v_cndmask_b32_e32 v14, v61, v14, vcc_lo
	v_cndmask_b32_e64 v20, 1, v112, s0
	v_cmp_eq_u32_e64 s0, 0, v19
	s_delay_alu instid0(VALU_DEP_3) | instskip(NEXT) | instid1(VALU_DEP_3)
	v_cmp_ne_u32_e64 s4, 0, v14
	v_cndmask_b32_e32 v20, v112, v20, vcc_lo
	s_delay_alu instid0(VALU_DEP_3) | instskip(SKIP_1) | instid1(VALU_DEP_3)
	v_cndmask_b32_e64 v7, 1, 2, s0
	v_cmp_ne_u32_e64 s0, 13, v5
	v_cmp_ne_u32_e64 s2, 0, v20
	s_delay_alu instid0(VALU_DEP_2) | instskip(SKIP_1) | instid1(VALU_DEP_2)
	v_cndmask_b32_e64 v21, 1, v60, s0
	v_cmp_eq_u32_e64 s0, 0, v15
	v_dual_cndmask_b32 v21, v60, v21 :: v_dual_and_b32 v6, v6, v7
	s_delay_alu instid0(VALU_DEP_2) | instskip(SKIP_1) | instid1(VALU_DEP_3)
	v_cndmask_b32_e64 v7, 1, 2, s0
	v_cmp_ne_u32_e64 s0, 11, v5
	v_cmp_ne_u32_e64 s1, 0, v21
	s_delay_alu instid0(VALU_DEP_3) | instskip(NEXT) | instid1(VALU_DEP_3)
	v_and_b32_e32 v6, v6, v7
	v_cndmask_b32_e64 v5, 1, v62, s0
	v_cmp_eq_u32_e64 s0, 0, v16
	s_delay_alu instid0(VALU_DEP_2) | instskip(NEXT) | instid1(VALU_DEP_2)
	v_cndmask_b32_e32 v22, v62, v5, vcc_lo
	v_cndmask_b32_e64 v7, 1, 2, s0
	v_cmp_eq_u32_e32 vcc_lo, 0, v17
	v_cmp_ne_u32_e64 s8, 0, v15
	v_cmp_ne_u32_e64 s0, 0, v12
	;; [unrolled: 1-line block ×3, first 2 shown]
	v_and_b32_e32 v4, v6, v7
	v_cndmask_b32_e64 v5, 1, 2, vcc_lo
	v_add_co_u32 v6, vcc_lo, s20, v33
	v_add_co_ci_u32_e32 v7, vcc_lo, s21, v34, vcc_lo
	v_cmp_eq_u32_e32 vcc_lo, 0, v23
	s_delay_alu instid0(VALU_DEP_4)
	v_and_b32_e32 v24, v4, v5
	v_cndmask_b32_e64 v25, 1, 2, vcc_lo
	v_add_co_u32 v4, vcc_lo, v6, v35
	v_add_co_ci_u32_e32 v5, vcc_lo, v7, v36, vcc_lo
	v_lshlrev_b32_e32 v6, 3, v8
	v_cmp_eq_u32_e32 vcc_lo, 0, v14
	v_and_b32_e32 v7, v24, v25
	v_add_nc_u32_e32 v8, v77, v8
	v_cndmask_b32_e64 v24, 1, 2, vcc_lo
	v_add_co_u32 v6, vcc_lo, v6, v4
	v_add_co_ci_u32_e32 v25, vcc_lo, 0, v5, vcc_lo
	v_cmp_eq_u32_e32 vcc_lo, 0, v22
	s_delay_alu instid0(VALU_DEP_4) | instskip(SKIP_4) | instid1(VALU_DEP_4)
	v_and_b32_e32 v24, v7, v24
	v_cndmask_b32_e64 v26, 1, 2, vcc_lo
	v_add_co_u32 v6, vcc_lo, v6, -8
	v_add_co_ci_u32_e32 v7, vcc_lo, -1, v25, vcc_lo
	v_cmp_eq_u32_e32 vcc_lo, 0, v20
	v_and_b32_e32 v24, v24, v26
	v_cndmask_b32_e64 v25, 1, 2, vcc_lo
	v_cmp_eq_u32_e32 vcc_lo, 0, v21
	s_delay_alu instid0(VALU_DEP_2) | instskip(SKIP_2) | instid1(VALU_DEP_2)
	v_and_b32_e32 v9, v24, v25
	v_cndmask_b32_e64 v10, 1, 2, vcc_lo
	v_cmp_eq_u32_e32 vcc_lo, 0, v12
	v_and_b32_e32 v9, v9, v10
	v_cndmask_b32_e64 v10, 1, 2, vcc_lo
	v_cmp_gt_u32_e32 vcc_lo, 0x100, v3
	s_delay_alu instid0(VALU_DEP_2) | instskip(NEXT) | instid1(VALU_DEP_1)
	v_and_b32_e32 v9, v9, v10
	v_cmp_gt_i16_e64 s15, 2, v9
	s_cbranch_vccnz .LBB524_234
; %bb.231:
	s_and_b32 vcc_lo, exec_lo, s16
	s_cbranch_vccnz .LBB524_240
.LBB524_232:
	v_cmp_eq_u32_e32 vcc_lo, 0xff, v0
	s_and_b32 s0, vcc_lo, s17
	s_delay_alu instid0(SALU_CYCLE_1)
	s_and_saveexec_b32 s1, s0
	s_cbranch_execnz .LBB524_249
.LBB524_233:
	s_nop 0
	s_sendmsg sendmsg(MSG_DEALLOC_VGPRS)
	s_endpgm
.LBB524_234:
	s_delay_alu instid0(VALU_DEP_1)
	s_and_saveexec_b32 s16, s15
	s_cbranch_execz .LBB524_239
; %bb.235:
	s_mov_b32 s18, 0
	s_mov_b32 s15, exec_lo
	v_cmpx_ne_u16_e32 1, v9
	s_xor_b32 s15, exec_lo, s15
	s_cbranch_execnz .LBB524_319
; %bb.236:
	s_and_not1_saveexec_b32 s15, s15
	s_cbranch_execnz .LBB524_335
.LBB524_237:
	s_or_b32 exec_lo, exec_lo, s15
	s_delay_alu instid0(SALU_CYCLE_1)
	s_and_b32 exec_lo, exec_lo, s18
	s_cbranch_execz .LBB524_239
.LBB524_238:
	v_sub_nc_u32_e32 v10, v37, v8
	v_mov_b32_e32 v11, 0
	s_delay_alu instid0(VALU_DEP_1) | instskip(NEXT) | instid1(VALU_DEP_1)
	v_lshlrev_b64 v[10:11], 3, v[10:11]
	v_add_co_u32 v10, vcc_lo, v6, v10
	s_delay_alu instid0(VALU_DEP_2)
	v_add_co_ci_u32_e32 v11, vcc_lo, v7, v11, vcc_lo
	global_store_b64 v[10:11], v[1:2], off
.LBB524_239:
	s_or_b32 exec_lo, exec_lo, s16
	s_branch .LBB524_232
.LBB524_240:
	s_mov_b32 s15, exec_lo
	v_cmpx_gt_i16_e32 2, v9
	s_cbranch_execz .LBB524_245
; %bb.241:
	s_mov_b32 s18, 0
	s_mov_b32 s16, exec_lo
	v_cmpx_ne_u16_e32 1, v9
	s_xor_b32 s16, exec_lo, s16
	s_cbranch_execnz .LBB524_336
; %bb.242:
	s_and_not1_saveexec_b32 s0, s16
	s_cbranch_execnz .LBB524_352
.LBB524_243:
	s_or_b32 exec_lo, exec_lo, s0
	s_delay_alu instid0(SALU_CYCLE_1)
	s_and_b32 exec_lo, exec_lo, s18
	s_cbranch_execz .LBB524_245
.LBB524_244:
	v_sub_nc_u32_e32 v8, v37, v8
	s_delay_alu instid0(VALU_DEP_1)
	v_lshlrev_b32_e32 v8, 3, v8
	ds_store_b64 v8, v[1:2]
.LBB524_245:
	s_or_b32 exec_lo, exec_lo, s15
	s_delay_alu instid0(SALU_CYCLE_1)
	s_mov_b32 s1, exec_lo
	s_waitcnt lgkmcnt(0)
	s_waitcnt_vscnt null, 0x0
	s_barrier
	buffer_gl0_inv
	v_cmpx_lt_u32_e64 v0, v3
	s_cbranch_execz .LBB524_248
; %bb.246:
	v_dual_mov_b32 v1, v0 :: v_dual_lshlrev_b32 v8, 3, v0
	v_mov_b32_e32 v2, 0
	s_mov_b32 s2, 0
	.p2align	6
.LBB524_247:                            ; =>This Inner Loop Header: Depth=1
	ds_load_b64 v[9:10], v8
	v_lshlrev_b64 v[11:12], 3, v[1:2]
	v_add_nc_u32_e32 v1, 0x100, v1
	v_add_nc_u32_e32 v8, 0x800, v8
	s_delay_alu instid0(VALU_DEP_2) | instskip(NEXT) | instid1(VALU_DEP_4)
	v_cmp_ge_u32_e32 vcc_lo, v1, v3
	v_add_co_u32 v11, s0, v6, v11
	s_delay_alu instid0(VALU_DEP_1)
	v_add_co_ci_u32_e64 v12, s0, v7, v12, s0
	s_or_b32 s2, vcc_lo, s2
	s_waitcnt lgkmcnt(0)
	global_store_b64 v[11:12], v[9:10], off
	s_and_not1_b32 exec_lo, exec_lo, s2
	s_cbranch_execnz .LBB524_247
.LBB524_248:
	s_or_b32 exec_lo, exec_lo, s1
	v_cmp_eq_u32_e32 vcc_lo, 0xff, v0
	s_and_b32 s0, vcc_lo, s17
	s_delay_alu instid0(SALU_CYCLE_1)
	s_and_saveexec_b32 s1, s0
	s_cbranch_execz .LBB524_233
.LBB524_249:
	v_add_co_u32 v0, s0, v59, v77
	s_delay_alu instid0(VALU_DEP_1) | instskip(SKIP_1) | instid1(VALU_DEP_3)
	v_add_co_ci_u32_e64 v1, null, 0, 0, s0
	v_mov_b32_e32 v60, 0
	v_add_co_u32 v0, vcc_lo, v0, v29
	s_delay_alu instid0(VALU_DEP_3)
	v_add_co_ci_u32_e32 v1, vcc_lo, v1, v30, vcc_lo
	s_cmpk_lg_i32 s28, 0xf00
	global_store_b64 v60, v[0:1], s[22:23]
	s_cbranch_scc1 .LBB524_233
; %bb.250:
	v_lshlrev_b64 v[0:1], 3, v[59:60]
	s_delay_alu instid0(VALU_DEP_1) | instskip(NEXT) | instid1(VALU_DEP_2)
	v_add_co_u32 v0, vcc_lo, v4, v0
	v_add_co_ci_u32_e32 v1, vcc_lo, v5, v1, vcc_lo
	global_store_b64 v[0:1], v[75:76], off offset:-8
	s_nop 0
	s_sendmsg sendmsg(MSG_DEALLOC_VGPRS)
	s_endpgm
.LBB524_251:
                                        ; implicit-def: $sgpr4
                                        ; implicit-def: $vgpr111
                                        ; implicit-def: $vgpr60
                                        ; implicit-def: $vgpr112
                                        ; implicit-def: $vgpr62
                                        ; implicit-def: $vgpr61
                                        ; implicit-def: $vgpr64
                                        ; implicit-def: $vgpr63
                                        ; implicit-def: $vgpr66
                                        ; implicit-def: $vgpr65
                                        ; implicit-def: $vgpr68
                                        ; implicit-def: $vgpr67
                                        ; implicit-def: $vgpr70
                                        ; implicit-def: $vgpr69
                                        ; implicit-def: $vgpr72
	s_cbranch_execz .LBB524_113
.LBB524_252:
	v_mad_u32_u24 v59, v0, 15, 14
	v_dual_mov_b32 v60, 0 :: v_dual_lshlrev_b32 v77, 3, v0
	s_waitcnt lgkmcnt(0)
	v_mul_u32_u24_e32 v75, 15, v0
	v_mov_b32_e32 v111, 0
	s_mov_b32 s4, exec_lo
	ds_store_b64 v77, v[57:58]
	v_cmpx_gt_u64_e64 s[0:1], v[59:60]
; %bb.253:
	v_mul_hi_i32 v59, 0x66666667, v3
	v_mul_hi_i32 v61, 0x66666667, v57
	s_delay_alu instid0(VALU_DEP_2) | instskip(SKIP_1) | instid1(VALU_DEP_3)
	v_lshrrev_b32_e32 v62, 31, v59
	v_ashrrev_i32_e32 v59, 2, v59
	v_lshrrev_b32_e32 v63, 31, v61
	v_ashrrev_i32_e32 v61, 2, v61
	s_delay_alu instid0(VALU_DEP_3) | instskip(NEXT) | instid1(VALU_DEP_2)
	v_add_nc_u32_e32 v59, v59, v62
	v_add_nc_u32_e32 v61, v61, v63
	s_delay_alu instid0(VALU_DEP_1)
	v_cmp_ne_u32_e32 vcc_lo, v59, v61
	v_cndmask_b32_e64 v111, 0, 1, vcc_lo
; %bb.254:
	s_or_b32 exec_lo, exec_lo, s4
	v_add_nc_u32_e32 v59, 13, v75
	s_mov_b32 s4, exec_lo
	s_delay_alu instid0(VALU_DEP_1)
	v_cmpx_gt_u64_e64 s[0:1], v[59:60]
; %bb.255:
	v_mul_hi_i32 v59, 0x66666667, v1
	v_mul_hi_i32 v60, 0x66666667, v3
	s_delay_alu instid0(VALU_DEP_2) | instskip(SKIP_1) | instid1(VALU_DEP_3)
	v_lshrrev_b32_e32 v61, 31, v59
	v_ashrrev_i32_e32 v59, 2, v59
	v_lshrrev_b32_e32 v62, 31, v60
	v_ashrrev_i32_e32 v60, 2, v60
	s_delay_alu instid0(VALU_DEP_3) | instskip(NEXT) | instid1(VALU_DEP_2)
	v_add_nc_u32_e32 v59, v59, v61
	v_add_nc_u32_e32 v60, v60, v62
	s_delay_alu instid0(VALU_DEP_1)
	v_cmp_ne_u32_e32 vcc_lo, v59, v60
	v_cndmask_b32_e64 v60, 0, 1, vcc_lo
; %bb.256:
	s_or_b32 exec_lo, exec_lo, s4
	v_dual_mov_b32 v62, 0 :: v_dual_add_nc_u32 v61, 12, v75
	v_mov_b32_e32 v112, 0
	s_mov_b32 s4, exec_lo
	s_delay_alu instid0(VALU_DEP_2)
	v_cmpx_gt_u64_e64 s[0:1], v[61:62]
; %bb.257:
	v_mul_hi_i32 v59, 0x66666667, v7
	v_mul_hi_i32 v61, 0x66666667, v1
	s_delay_alu instid0(VALU_DEP_2) | instskip(SKIP_1) | instid1(VALU_DEP_3)
	v_lshrrev_b32_e32 v63, 31, v59
	v_ashrrev_i32_e32 v59, 2, v59
	v_lshrrev_b32_e32 v64, 31, v61
	v_ashrrev_i32_e32 v61, 2, v61
	s_delay_alu instid0(VALU_DEP_3) | instskip(NEXT) | instid1(VALU_DEP_2)
	v_add_nc_u32_e32 v59, v59, v63
	v_add_nc_u32_e32 v61, v61, v64
	s_delay_alu instid0(VALU_DEP_1)
	v_cmp_ne_u32_e32 vcc_lo, v59, v61
	v_cndmask_b32_e64 v112, 0, 1, vcc_lo
; %bb.258:
	s_or_b32 exec_lo, exec_lo, s4
	v_add_nc_u32_e32 v61, 11, v75
	s_mov_b32 s4, exec_lo
	s_delay_alu instid0(VALU_DEP_1)
	v_cmpx_gt_u64_e64 s[0:1], v[61:62]
; %bb.259:
	v_mul_hi_i32 v59, 0x66666667, v5
	v_mul_hi_i32 v61, 0x66666667, v7
	s_delay_alu instid0(VALU_DEP_2) | instskip(SKIP_1) | instid1(VALU_DEP_3)
	v_lshrrev_b32_e32 v62, 31, v59
	v_ashrrev_i32_e32 v59, 2, v59
	v_lshrrev_b32_e32 v63, 31, v61
	v_ashrrev_i32_e32 v61, 2, v61
	s_delay_alu instid0(VALU_DEP_3) | instskip(NEXT) | instid1(VALU_DEP_2)
	v_add_nc_u32_e32 v59, v59, v62
	v_add_nc_u32_e32 v61, v61, v63
	s_delay_alu instid0(VALU_DEP_1)
	v_cmp_ne_u32_e32 vcc_lo, v59, v61
	v_cndmask_b32_e64 v62, 0, 1, vcc_lo
; %bb.260:
	s_or_b32 exec_lo, exec_lo, s4
	v_dual_mov_b32 v64, 0 :: v_dual_add_nc_u32 v63, 10, v75
	v_mov_b32_e32 v61, 0
	s_mov_b32 s4, exec_lo
	s_delay_alu instid0(VALU_DEP_2)
	;; [unrolled: 41-line block ×6, first 2 shown]
	v_cmpx_gt_u64_e64 s[0:1], v[71:72]
; %bb.277:
	v_mul_hi_i32 v59, 0x66666667, v27
	v_mul_hi_i32 v69, 0x66666667, v21
	s_delay_alu instid0(VALU_DEP_2) | instskip(SKIP_1) | instid1(VALU_DEP_3)
	v_lshrrev_b32_e32 v71, 31, v59
	v_ashrrev_i32_e32 v59, 2, v59
	v_lshrrev_b32_e32 v76, 31, v69
	v_ashrrev_i32_e32 v69, 2, v69
	s_delay_alu instid0(VALU_DEP_3) | instskip(NEXT) | instid1(VALU_DEP_2)
	v_add_nc_u32_e32 v59, v59, v71
	v_add_nc_u32_e32 v69, v69, v76
	s_delay_alu instid0(VALU_DEP_1)
	v_cmp_ne_u32_e32 vcc_lo, v59, v69
	v_cndmask_b32_e64 v69, 0, 1, vcc_lo
; %bb.278:
	s_or_b32 exec_lo, exec_lo, s4
	v_add_nc_u32_e32 v71, 1, v75
	s_mov_b32 s4, exec_lo
	s_delay_alu instid0(VALU_DEP_1)
	v_cmpx_gt_u64_e64 s[0:1], v[71:72]
; %bb.279:
	v_mul_hi_i32 v59, 0x66666667, v25
	v_mul_hi_i32 v71, 0x66666667, v27
	s_delay_alu instid0(VALU_DEP_2) | instskip(SKIP_1) | instid1(VALU_DEP_3)
	v_lshrrev_b32_e32 v72, 31, v59
	v_ashrrev_i32_e32 v59, 2, v59
	v_lshrrev_b32_e32 v76, 31, v71
	v_ashrrev_i32_e32 v71, 2, v71
	s_delay_alu instid0(VALU_DEP_3) | instskip(NEXT) | instid1(VALU_DEP_2)
	v_add_nc_u32_e32 v59, v59, v72
	v_add_nc_u32_e32 v71, v71, v76
	s_delay_alu instid0(VALU_DEP_1)
	v_cmp_ne_u32_e32 vcc_lo, v59, v71
	v_cndmask_b32_e64 v72, 0, 1, vcc_lo
; %bb.280:
	s_or_b32 exec_lo, exec_lo, s4
	s_waitcnt lgkmcnt(0)
	s_barrier
	buffer_gl0_inv
                                        ; implicit-def: $sgpr4
	s_and_saveexec_b32 s5, s3
	s_cbranch_execz .LBB524_284
; %bb.281:
	v_mov_b32_e32 v76, 0
	s_delay_alu instid0(VALU_DEP_1)
	v_cmp_gt_u64_e32 vcc_lo, s[0:1], v[75:76]
	s_mov_b32 s1, 0
	s_and_saveexec_b32 s0, vcc_lo
	s_cbranch_execz .LBB524_283
; %bb.282:
	v_add_nc_u32_e32 v59, -8, v77
	v_mul_hi_i32 v71, 0x66666667, v25
	ds_load_b32 v59, v59
	v_lshrrev_b32_e32 v75, 31, v71
	v_ashrrev_i32_e32 v71, 2, v71
	s_delay_alu instid0(VALU_DEP_1) | instskip(SKIP_2) | instid1(VALU_DEP_1)
	v_add_nc_u32_e32 v71, v71, v75
	s_waitcnt lgkmcnt(0)
	v_mul_hi_i32 v59, 0x66666667, v59
	v_lshrrev_b32_e32 v76, 31, v59
	v_ashrrev_i32_e32 v59, 2, v59
	s_delay_alu instid0(VALU_DEP_1) | instskip(NEXT) | instid1(VALU_DEP_1)
	v_add_nc_u32_e32 v59, v59, v76
	v_cmp_ne_u32_e32 vcc_lo, v59, v71
	s_and_b32 s1, vcc_lo, exec_lo
.LBB524_283:
	s_or_b32 exec_lo, exec_lo, s0
	s_delay_alu instid0(SALU_CYCLE_1)
	s_and_b32 s4, s1, exec_lo
	s_or_b32 s15, s15, exec_lo
.LBB524_284:
	s_or_b32 exec_lo, exec_lo, s5
	s_mov_b32 s0, 1
	s_delay_alu instid0(SALU_CYCLE_1)
	v_mov_b32_e32 v71, s0
	s_and_saveexec_b32 s0, s15
	s_cbranch_execnz .LBB524_115
	s_branch .LBB524_116
.LBB524_285:
	s_and_saveexec_b32 s19, s13
	s_cbranch_execnz .LBB524_353
; %bb.286:
	s_or_b32 exec_lo, exec_lo, s19
	s_and_saveexec_b32 s19, s12
	s_cbranch_execnz .LBB524_354
.LBB524_287:
	s_or_b32 exec_lo, exec_lo, s19
	s_and_saveexec_b32 s19, s10
	s_cbranch_execnz .LBB524_355
.LBB524_288:
	s_or_b32 exec_lo, exec_lo, s19
	s_and_saveexec_b32 s19, s9
	s_cbranch_execnz .LBB524_356
.LBB524_289:
	s_or_b32 exec_lo, exec_lo, s19
	s_and_saveexec_b32 s19, s15
	s_cbranch_execnz .LBB524_357
.LBB524_290:
	s_or_b32 exec_lo, exec_lo, s19
	s_and_saveexec_b32 s19, s14
	s_cbranch_execnz .LBB524_358
.LBB524_291:
	s_or_b32 exec_lo, exec_lo, s19
	s_and_saveexec_b32 s19, s11
	s_cbranch_execnz .LBB524_359
.LBB524_292:
	s_or_b32 exec_lo, exec_lo, s19
	s_and_saveexec_b32 s19, s8
	s_cbranch_execnz .LBB524_360
.LBB524_293:
	s_or_b32 exec_lo, exec_lo, s19
	s_and_saveexec_b32 s19, s7
	s_cbranch_execnz .LBB524_361
.LBB524_294:
	s_or_b32 exec_lo, exec_lo, s19
	s_and_saveexec_b32 s19, s6
	s_cbranch_execnz .LBB524_362
.LBB524_295:
	s_or_b32 exec_lo, exec_lo, s19
	s_and_saveexec_b32 s19, s5
	s_cbranch_execnz .LBB524_363
.LBB524_296:
	s_or_b32 exec_lo, exec_lo, s19
	s_and_saveexec_b32 s19, s4
	s_cbranch_execnz .LBB524_364
.LBB524_297:
	s_or_b32 exec_lo, exec_lo, s19
	s_and_saveexec_b32 s19, s3
	s_cbranch_execnz .LBB524_365
.LBB524_298:
	s_or_b32 exec_lo, exec_lo, s19
	s_and_saveexec_b32 s19, s1
	s_cbranch_execz .LBB524_300
.LBB524_299:
	v_sub_nc_u32_e32 v54, v38, v77
	v_mov_b32_e32 v55, 0
	s_delay_alu instid0(VALU_DEP_1) | instskip(NEXT) | instid1(VALU_DEP_1)
	v_lshlrev_b64 v[54:55], 3, v[54:55]
	v_add_co_u32 v54, vcc_lo, v51, v54
	s_delay_alu instid0(VALU_DEP_2)
	v_add_co_ci_u32_e32 v55, vcc_lo, v52, v55, vcc_lo
	global_store_b64 v[54:55], v[3:4], off
.LBB524_300:
	s_or_b32 exec_lo, exec_lo, s19
	s_delay_alu instid0(SALU_CYCLE_1)
	s_and_b32 s19, s0, exec_lo
	s_and_not1_saveexec_b32 s16, s16
	s_cbranch_execz .LBB524_217
.LBB524_301:
	v_sub_nc_u32_e32 v54, v113, v77
	v_mov_b32_e32 v55, 0
	s_or_b32 s19, s19, exec_lo
	s_delay_alu instid0(VALU_DEP_1) | instskip(SKIP_1) | instid1(VALU_DEP_1)
	v_lshlrev_b64 v[73:74], 3, v[54:55]
	v_sub_nc_u32_e32 v54, v48, v77
	v_lshlrev_b64 v[107:108], 3, v[54:55]
	v_sub_nc_u32_e32 v54, v50, v77
	s_delay_alu instid0(VALU_DEP_4) | instskip(SKIP_1) | instid1(VALU_DEP_3)
	v_add_co_u32 v73, vcc_lo, v51, v73
	v_add_co_ci_u32_e32 v74, vcc_lo, v52, v74, vcc_lo
	v_lshlrev_b64 v[114:115], 3, v[54:55]
	v_sub_nc_u32_e32 v54, v49, v77
	v_add_co_u32 v107, vcc_lo, v51, v107
	v_add_co_ci_u32_e32 v108, vcc_lo, v52, v108, vcc_lo
	global_store_b64 v[73:74], v[25:26], off
	v_lshlrev_b64 v[73:74], 3, v[54:55]
	v_sub_nc_u32_e32 v54, v47, v77
	global_store_b64 v[107:108], v[27:28], off
	v_add_co_u32 v107, vcc_lo, v51, v114
	v_add_co_ci_u32_e32 v108, vcc_lo, v52, v115, vcc_lo
	v_lshlrev_b64 v[114:115], 3, v[54:55]
	v_sub_nc_u32_e32 v54, v46, v77
	v_add_co_u32 v73, vcc_lo, v51, v73
	v_add_co_ci_u32_e32 v74, vcc_lo, v52, v74, vcc_lo
	s_delay_alu instid0(VALU_DEP_3) | instskip(SKIP_3) | instid1(VALU_DEP_3)
	v_lshlrev_b64 v[116:117], 3, v[54:55]
	v_sub_nc_u32_e32 v54, v45, v77
	v_add_co_u32 v114, vcc_lo, v51, v114
	v_add_co_ci_u32_e32 v115, vcc_lo, v52, v115, vcc_lo
	v_lshlrev_b64 v[118:119], 3, v[54:55]
	v_sub_nc_u32_e32 v54, v44, v77
	v_add_co_u32 v116, vcc_lo, v51, v116
	v_add_co_ci_u32_e32 v117, vcc_lo, v52, v117, vcc_lo
	s_clause 0x3
	global_store_b64 v[107:108], v[21:22], off
	global_store_b64 v[73:74], v[23:24], off
	;; [unrolled: 1-line block ×4, first 2 shown]
	v_lshlrev_b64 v[73:74], 3, v[54:55]
	v_sub_nc_u32_e32 v54, v43, v77
	v_add_co_u32 v107, vcc_lo, v51, v118
	v_add_co_ci_u32_e32 v108, vcc_lo, v52, v119, vcc_lo
	s_delay_alu instid0(VALU_DEP_3) | instskip(SKIP_3) | instid1(VALU_DEP_3)
	v_lshlrev_b64 v[114:115], 3, v[54:55]
	v_sub_nc_u32_e32 v54, v42, v77
	v_add_co_u32 v73, vcc_lo, v51, v73
	v_add_co_ci_u32_e32 v74, vcc_lo, v52, v74, vcc_lo
	v_lshlrev_b64 v[116:117], 3, v[54:55]
	v_sub_nc_u32_e32 v54, v41, v77
	v_add_co_u32 v114, vcc_lo, v51, v114
	v_add_co_ci_u32_e32 v115, vcc_lo, v52, v115, vcc_lo
	s_delay_alu instid0(VALU_DEP_3)
	v_lshlrev_b64 v[118:119], 3, v[54:55]
	v_sub_nc_u32_e32 v54, v40, v77
	v_add_co_u32 v116, vcc_lo, v51, v116
	v_add_co_ci_u32_e32 v117, vcc_lo, v52, v117, vcc_lo
	s_clause 0x3
	global_store_b64 v[107:108], v[13:14], off
	global_store_b64 v[73:74], v[15:16], off
	;; [unrolled: 1-line block ×4, first 2 shown]
	v_lshlrev_b64 v[73:74], 3, v[54:55]
	v_sub_nc_u32_e32 v54, v39, v77
	v_add_co_u32 v107, vcc_lo, v51, v118
	v_add_co_ci_u32_e32 v108, vcc_lo, v52, v119, vcc_lo
	s_delay_alu instid0(VALU_DEP_3) | instskip(SKIP_3) | instid1(VALU_DEP_3)
	v_lshlrev_b64 v[114:115], 3, v[54:55]
	v_sub_nc_u32_e32 v54, v38, v77
	v_add_co_u32 v73, vcc_lo, v51, v73
	v_add_co_ci_u32_e32 v74, vcc_lo, v52, v74, vcc_lo
	v_lshlrev_b64 v[54:55], 3, v[54:55]
	v_add_co_u32 v114, vcc_lo, v51, v114
	v_add_co_ci_u32_e32 v115, vcc_lo, v52, v115, vcc_lo
	s_clause 0x2
	global_store_b64 v[107:108], v[5:6], off
	global_store_b64 v[73:74], v[7:8], off
	;; [unrolled: 1-line block ×3, first 2 shown]
	v_add_co_u32 v54, vcc_lo, v51, v54
	v_add_co_ci_u32_e32 v55, vcc_lo, v52, v55, vcc_lo
	global_store_b64 v[54:55], v[3:4], off
	s_or_b32 exec_lo, exec_lo, s16
	s_delay_alu instid0(SALU_CYCLE_1)
	s_and_b32 exec_lo, exec_lo, s19
	s_cbranch_execnz .LBB524_218
	s_branch .LBB524_219
.LBB524_302:
	s_and_saveexec_b32 s19, s13
	s_cbranch_execnz .LBB524_366
; %bb.303:
	s_or_b32 exec_lo, exec_lo, s19
	s_and_saveexec_b32 s13, s12
	s_cbranch_execnz .LBB524_367
.LBB524_304:
	s_or_b32 exec_lo, exec_lo, s13
	s_and_saveexec_b32 s12, s10
	s_cbranch_execnz .LBB524_368
.LBB524_305:
	s_or_b32 exec_lo, exec_lo, s12
	s_and_saveexec_b32 s10, s9
	s_cbranch_execnz .LBB524_369
.LBB524_306:
	s_or_b32 exec_lo, exec_lo, s10
	s_and_saveexec_b32 s9, s15
	s_cbranch_execnz .LBB524_370
.LBB524_307:
	s_or_b32 exec_lo, exec_lo, s9
	s_and_saveexec_b32 s9, s14
	s_cbranch_execnz .LBB524_371
.LBB524_308:
	s_or_b32 exec_lo, exec_lo, s9
	s_and_saveexec_b32 s9, s11
	s_cbranch_execnz .LBB524_372
.LBB524_309:
	s_or_b32 exec_lo, exec_lo, s9
	s_and_saveexec_b32 s9, s8
	s_cbranch_execnz .LBB524_373
.LBB524_310:
	s_or_b32 exec_lo, exec_lo, s9
	s_and_saveexec_b32 s8, s7
	s_cbranch_execnz .LBB524_374
.LBB524_311:
	s_or_b32 exec_lo, exec_lo, s8
	s_and_saveexec_b32 s7, s6
	s_cbranch_execnz .LBB524_375
.LBB524_312:
	s_or_b32 exec_lo, exec_lo, s7
	s_and_saveexec_b32 s6, s5
	s_cbranch_execnz .LBB524_376
.LBB524_313:
	s_or_b32 exec_lo, exec_lo, s6
	s_and_saveexec_b32 s5, s4
	s_cbranch_execnz .LBB524_377
.LBB524_314:
	s_or_b32 exec_lo, exec_lo, s5
	s_and_saveexec_b32 s4, s3
	s_cbranch_execnz .LBB524_378
.LBB524_315:
	s_or_b32 exec_lo, exec_lo, s4
	s_and_saveexec_b32 s3, s1
	s_cbranch_execz .LBB524_317
.LBB524_316:
	v_sub_nc_u32_e32 v1, v38, v77
	s_delay_alu instid0(VALU_DEP_1)
	v_lshlrev_b32_e32 v1, 3, v1
	ds_store_b64 v1, v[3:4]
.LBB524_317:
	s_or_b32 exec_lo, exec_lo, s3
	s_delay_alu instid0(SALU_CYCLE_1)
	s_and_b32 s19, s0, exec_lo
                                        ; implicit-def: $vgpr25_vgpr26
                                        ; implicit-def: $vgpr21_vgpr22
                                        ; implicit-def: $vgpr17_vgpr18
                                        ; implicit-def: $vgpr13_vgpr14
                                        ; implicit-def: $vgpr9_vgpr10
                                        ; implicit-def: $vgpr5_vgpr6
                                        ; implicit-def: $vgpr1_vgpr2
	s_and_not1_saveexec_b32 s0, s18
	s_cbranch_execz .LBB524_224
.LBB524_318:
	v_sub_nc_u32_e32 v53, v113, v77
	v_sub_nc_u32_e32 v54, v48, v77
	;; [unrolled: 1-line block ×4, first 2 shown]
	s_or_b32 s19, s19, exec_lo
	v_lshlrev_b32_e32 v53, 3, v53
	v_lshlrev_b32_e32 v54, 3, v54
	v_lshlrev_b32_e32 v56, 3, v56
	v_lshlrev_b32_e32 v55, 3, v55
	ds_store_b64 v53, v[25:26]
	ds_store_b64 v54, v[27:28]
	;; [unrolled: 1-line block ×3, first 2 shown]
	v_sub_nc_u32_e32 v21, v47, v77
	v_sub_nc_u32_e32 v22, v46, v77
	ds_store_b64 v56, v[23:24]
	v_sub_nc_u32_e32 v23, v45, v77
	v_sub_nc_u32_e32 v24, v44, v77
	v_lshlrev_b32_e32 v21, 3, v21
	v_sub_nc_u32_e32 v25, v43, v77
	v_lshlrev_b32_e32 v22, 3, v22
	v_lshlrev_b32_e32 v23, 3, v23
	;; [unrolled: 1-line block ×3, first 2 shown]
	ds_store_b64 v21, v[17:18]
	v_lshlrev_b32_e32 v17, 3, v25
	ds_store_b64 v22, v[19:20]
	ds_store_b64 v23, v[13:14]
	;; [unrolled: 1-line block ×3, first 2 shown]
	v_sub_nc_u32_e32 v13, v42, v77
	v_sub_nc_u32_e32 v15, v38, v77
	;; [unrolled: 1-line block ×3, first 2 shown]
	ds_store_b64 v17, v[9:10]
	v_sub_nc_u32_e32 v9, v41, v77
	v_lshlrev_b32_e32 v13, 3, v13
	v_sub_nc_u32_e32 v10, v40, v77
	v_lshlrev_b32_e32 v14, 3, v14
	s_delay_alu instid0(VALU_DEP_4)
	v_lshlrev_b32_e32 v9, 3, v9
	ds_store_b64 v13, v[11:12]
	v_lshlrev_b32_e32 v11, 3, v15
	v_lshlrev_b32_e32 v10, 3, v10
	ds_store_b64 v9, v[5:6]
	ds_store_b64 v10, v[7:8]
	;; [unrolled: 1-line block ×4, first 2 shown]
	s_or_b32 exec_lo, exec_lo, s0
	s_delay_alu instid0(SALU_CYCLE_1)
	s_and_b32 exec_lo, exec_lo, s19
	s_cbranch_execnz .LBB524_225
	s_branch .LBB524_226
.LBB524_319:
	s_and_saveexec_b32 s18, s14
	s_cbranch_execnz .LBB524_379
; %bb.320:
	s_or_b32 exec_lo, exec_lo, s18
	s_and_saveexec_b32 s18, s13
	s_cbranch_execnz .LBB524_380
.LBB524_321:
	s_or_b32 exec_lo, exec_lo, s18
	s_and_saveexec_b32 s18, s12
	s_cbranch_execnz .LBB524_381
.LBB524_322:
	s_or_b32 exec_lo, exec_lo, s18
	s_and_saveexec_b32 s18, s11
	s_cbranch_execnz .LBB524_382
.LBB524_323:
	s_or_b32 exec_lo, exec_lo, s18
	s_and_saveexec_b32 s18, s10
	s_cbranch_execnz .LBB524_383
.LBB524_324:
	s_or_b32 exec_lo, exec_lo, s18
	s_and_saveexec_b32 s18, s9
	s_cbranch_execnz .LBB524_384
.LBB524_325:
	s_or_b32 exec_lo, exec_lo, s18
	s_and_saveexec_b32 s18, s8
	s_cbranch_execnz .LBB524_385
.LBB524_326:
	s_or_b32 exec_lo, exec_lo, s18
	s_and_saveexec_b32 s18, s7
	s_cbranch_execnz .LBB524_386
.LBB524_327:
	s_or_b32 exec_lo, exec_lo, s18
	s_and_saveexec_b32 s18, s6
	s_cbranch_execnz .LBB524_387
.LBB524_328:
	s_or_b32 exec_lo, exec_lo, s18
	s_and_saveexec_b32 s18, s5
	s_cbranch_execnz .LBB524_388
.LBB524_329:
	s_or_b32 exec_lo, exec_lo, s18
	s_and_saveexec_b32 s18, s4
	s_cbranch_execnz .LBB524_389
.LBB524_330:
	s_or_b32 exec_lo, exec_lo, s18
	s_and_saveexec_b32 s18, s3
	s_cbranch_execnz .LBB524_390
.LBB524_331:
	s_or_b32 exec_lo, exec_lo, s18
	s_and_saveexec_b32 s18, s2
	s_cbranch_execnz .LBB524_391
.LBB524_332:
	s_or_b32 exec_lo, exec_lo, s18
	s_and_saveexec_b32 s18, s1
	s_cbranch_execz .LBB524_334
.LBB524_333:
	v_sub_nc_u32_e32 v10, v38, v8
	v_mov_b32_e32 v11, 0
	s_delay_alu instid0(VALU_DEP_1) | instskip(NEXT) | instid1(VALU_DEP_1)
	v_lshlrev_b64 v[10:11], 3, v[10:11]
	v_add_co_u32 v10, vcc_lo, v6, v10
	s_delay_alu instid0(VALU_DEP_2)
	v_add_co_ci_u32_e32 v11, vcc_lo, v7, v11, vcc_lo
	global_store_b64 v[10:11], v[105:106], off
.LBB524_334:
	s_or_b32 exec_lo, exec_lo, s18
	s_delay_alu instid0(SALU_CYCLE_1)
	s_and_b32 s18, s0, exec_lo
	s_and_not1_saveexec_b32 s15, s15
	s_cbranch_execz .LBB524_237
.LBB524_335:
	v_sub_nc_u32_e32 v10, v113, v8
	v_mov_b32_e32 v11, 0
	s_or_b32 s18, s18, exec_lo
	s_delay_alu instid0(VALU_DEP_1) | instskip(SKIP_1) | instid1(VALU_DEP_1)
	v_lshlrev_b64 v[12:13], 3, v[10:11]
	v_sub_nc_u32_e32 v10, v48, v8
	v_lshlrev_b64 v[14:15], 3, v[10:11]
	v_sub_nc_u32_e32 v10, v50, v8
	s_delay_alu instid0(VALU_DEP_4) | instskip(SKIP_1) | instid1(VALU_DEP_3)
	v_add_co_u32 v12, vcc_lo, v6, v12
	v_add_co_ci_u32_e32 v13, vcc_lo, v7, v13, vcc_lo
	v_lshlrev_b64 v[16:17], 3, v[10:11]
	v_sub_nc_u32_e32 v10, v49, v8
	v_add_co_u32 v14, vcc_lo, v6, v14
	v_add_co_ci_u32_e32 v15, vcc_lo, v7, v15, vcc_lo
	global_store_b64 v[12:13], v[91:92], off
	v_lshlrev_b64 v[12:13], 3, v[10:11]
	v_sub_nc_u32_e32 v10, v47, v8
	global_store_b64 v[14:15], v[87:88], off
	v_add_co_u32 v14, vcc_lo, v6, v16
	v_add_co_ci_u32_e32 v15, vcc_lo, v7, v17, vcc_lo
	v_lshlrev_b64 v[16:17], 3, v[10:11]
	v_sub_nc_u32_e32 v10, v46, v8
	v_add_co_u32 v12, vcc_lo, v6, v12
	v_add_co_ci_u32_e32 v13, vcc_lo, v7, v13, vcc_lo
	s_delay_alu instid0(VALU_DEP_3) | instskip(SKIP_3) | instid1(VALU_DEP_3)
	v_lshlrev_b64 v[18:19], 3, v[10:11]
	v_sub_nc_u32_e32 v10, v45, v8
	v_add_co_u32 v16, vcc_lo, v6, v16
	v_add_co_ci_u32_e32 v17, vcc_lo, v7, v17, vcc_lo
	v_lshlrev_b64 v[20:21], 3, v[10:11]
	v_sub_nc_u32_e32 v10, v44, v8
	v_add_co_u32 v18, vcc_lo, v6, v18
	v_add_co_ci_u32_e32 v19, vcc_lo, v7, v19, vcc_lo
	s_clause 0x3
	global_store_b64 v[14:15], v[93:94], off
	global_store_b64 v[12:13], v[97:98], off
	;; [unrolled: 1-line block ×4, first 2 shown]
	v_lshlrev_b64 v[12:13], 3, v[10:11]
	v_sub_nc_u32_e32 v10, v43, v8
	v_add_co_u32 v14, vcc_lo, v6, v20
	v_add_co_ci_u32_e32 v15, vcc_lo, v7, v21, vcc_lo
	s_delay_alu instid0(VALU_DEP_3) | instskip(SKIP_3) | instid1(VALU_DEP_3)
	v_lshlrev_b64 v[16:17], 3, v[10:11]
	v_sub_nc_u32_e32 v10, v42, v8
	v_add_co_u32 v12, vcc_lo, v6, v12
	v_add_co_ci_u32_e32 v13, vcc_lo, v7, v13, vcc_lo
	v_lshlrev_b64 v[18:19], 3, v[10:11]
	v_sub_nc_u32_e32 v10, v41, v8
	v_add_co_u32 v16, vcc_lo, v6, v16
	v_add_co_ci_u32_e32 v17, vcc_lo, v7, v17, vcc_lo
	s_delay_alu instid0(VALU_DEP_3)
	v_lshlrev_b64 v[20:21], 3, v[10:11]
	v_sub_nc_u32_e32 v10, v40, v8
	v_add_co_u32 v18, vcc_lo, v6, v18
	v_add_co_ci_u32_e32 v19, vcc_lo, v7, v19, vcc_lo
	s_clause 0x3
	global_store_b64 v[14:15], v[89:90], off
	global_store_b64 v[12:13], v[95:96], off
	;; [unrolled: 1-line block ×4, first 2 shown]
	v_lshlrev_b64 v[12:13], 3, v[10:11]
	v_sub_nc_u32_e32 v10, v39, v8
	v_add_co_u32 v14, vcc_lo, v6, v20
	v_add_co_ci_u32_e32 v15, vcc_lo, v7, v21, vcc_lo
	s_delay_alu instid0(VALU_DEP_3) | instskip(SKIP_3) | instid1(VALU_DEP_3)
	v_lshlrev_b64 v[16:17], 3, v[10:11]
	v_sub_nc_u32_e32 v10, v38, v8
	v_add_co_u32 v12, vcc_lo, v6, v12
	v_add_co_ci_u32_e32 v13, vcc_lo, v7, v13, vcc_lo
	v_lshlrev_b64 v[10:11], 3, v[10:11]
	v_add_co_u32 v16, vcc_lo, v6, v16
	v_add_co_ci_u32_e32 v17, vcc_lo, v7, v17, vcc_lo
	s_clause 0x2
	global_store_b64 v[14:15], v[85:86], off
	global_store_b64 v[12:13], v[101:102], off
	global_store_b64 v[16:17], v[103:104], off
	v_add_co_u32 v10, vcc_lo, v6, v10
	v_add_co_ci_u32_e32 v11, vcc_lo, v7, v11, vcc_lo
	global_store_b64 v[10:11], v[105:106], off
	s_or_b32 exec_lo, exec_lo, s15
	s_delay_alu instid0(SALU_CYCLE_1)
	s_and_b32 exec_lo, exec_lo, s18
	s_cbranch_execnz .LBB524_238
	s_branch .LBB524_239
.LBB524_336:
	s_and_saveexec_b32 s18, s14
	s_cbranch_execnz .LBB524_392
; %bb.337:
	s_or_b32 exec_lo, exec_lo, s18
	s_and_saveexec_b32 s14, s13
	s_cbranch_execnz .LBB524_393
.LBB524_338:
	s_or_b32 exec_lo, exec_lo, s14
	s_and_saveexec_b32 s13, s12
	s_cbranch_execnz .LBB524_394
.LBB524_339:
	s_or_b32 exec_lo, exec_lo, s13
	s_and_saveexec_b32 s12, s11
	s_cbranch_execnz .LBB524_395
.LBB524_340:
	s_or_b32 exec_lo, exec_lo, s12
	s_and_saveexec_b32 s11, s10
	s_cbranch_execnz .LBB524_396
.LBB524_341:
	s_or_b32 exec_lo, exec_lo, s11
	s_and_saveexec_b32 s10, s9
	s_cbranch_execnz .LBB524_397
.LBB524_342:
	s_or_b32 exec_lo, exec_lo, s10
	s_and_saveexec_b32 s9, s8
	s_cbranch_execnz .LBB524_398
.LBB524_343:
	s_or_b32 exec_lo, exec_lo, s9
	s_and_saveexec_b32 s8, s7
	s_cbranch_execnz .LBB524_399
.LBB524_344:
	s_or_b32 exec_lo, exec_lo, s8
	s_and_saveexec_b32 s7, s6
	s_cbranch_execnz .LBB524_400
.LBB524_345:
	s_or_b32 exec_lo, exec_lo, s7
	s_and_saveexec_b32 s6, s5
	s_cbranch_execnz .LBB524_401
.LBB524_346:
	s_or_b32 exec_lo, exec_lo, s6
	s_and_saveexec_b32 s5, s4
	s_cbranch_execnz .LBB524_402
.LBB524_347:
	s_or_b32 exec_lo, exec_lo, s5
	s_and_saveexec_b32 s4, s3
	s_cbranch_execnz .LBB524_403
.LBB524_348:
	s_or_b32 exec_lo, exec_lo, s4
	s_and_saveexec_b32 s3, s2
	s_cbranch_execnz .LBB524_404
.LBB524_349:
	s_or_b32 exec_lo, exec_lo, s3
	s_and_saveexec_b32 s2, s1
	s_cbranch_execz .LBB524_351
.LBB524_350:
	v_sub_nc_u32_e32 v9, v38, v8
	s_delay_alu instid0(VALU_DEP_1)
	v_lshlrev_b32_e32 v9, 3, v9
	ds_store_b64 v9, v[105:106]
.LBB524_351:
	s_or_b32 exec_lo, exec_lo, s2
	s_delay_alu instid0(SALU_CYCLE_1)
	s_and_b32 s18, s0, exec_lo
                                        ; implicit-def: $vgpr91_vgpr92
                                        ; implicit-def: $vgpr87_vgpr88
                                        ; implicit-def: $vgpr93_vgpr94
                                        ; implicit-def: $vgpr97_vgpr98
                                        ; implicit-def: $vgpr79_vgpr80
                                        ; implicit-def: $vgpr83_vgpr84
                                        ; implicit-def: $vgpr89_vgpr90
                                        ; implicit-def: $vgpr95_vgpr96
                                        ; implicit-def: $vgpr99_vgpr100
                                        ; implicit-def: $vgpr81_vgpr82
                                        ; implicit-def: $vgpr85_vgpr86
                                        ; implicit-def: $vgpr101_vgpr102
                                        ; implicit-def: $vgpr103_vgpr104
                                        ; implicit-def: $vgpr105_vgpr106
                                        ; implicit-def: $vgpr113
                                        ; implicit-def: $vgpr48
                                        ; implicit-def: $vgpr50
                                        ; implicit-def: $vgpr49
                                        ; implicit-def: $vgpr47
                                        ; implicit-def: $vgpr46
                                        ; implicit-def: $vgpr45
                                        ; implicit-def: $vgpr44
                                        ; implicit-def: $vgpr43
                                        ; implicit-def: $vgpr42
                                        ; implicit-def: $vgpr41
                                        ; implicit-def: $vgpr40
                                        ; implicit-def: $vgpr39
                                        ; implicit-def: $vgpr38
	s_and_not1_saveexec_b32 s0, s16
	s_cbranch_execz .LBB524_243
.LBB524_352:
	v_sub_nc_u32_e32 v9, v113, v8
	v_sub_nc_u32_e32 v10, v48, v8
	;; [unrolled: 1-line block ×5, first 2 shown]
	v_lshlrev_b32_e32 v9, 3, v9
	v_lshlrev_b32_e32 v10, 3, v10
	;; [unrolled: 1-line block ×4, first 2 shown]
	s_or_b32 s18, s18, exec_lo
	ds_store_b64 v9, v[91:92]
	ds_store_b64 v10, v[87:88]
	;; [unrolled: 1-line block ×3, first 2 shown]
	v_sub_nc_u32_e32 v9, v47, v8
	v_sub_nc_u32_e32 v10, v46, v8
	;; [unrolled: 1-line block ×3, first 2 shown]
	ds_store_b64 v12, v[97:98]
	v_sub_nc_u32_e32 v12, v44, v8
	v_lshlrev_b32_e32 v9, 3, v9
	v_lshlrev_b32_e32 v10, 3, v10
	;; [unrolled: 1-line block ×3, first 2 shown]
	s_delay_alu instid0(VALU_DEP_4)
	v_lshlrev_b32_e32 v12, 3, v12
	ds_store_b64 v9, v[79:80]
	v_lshlrev_b32_e32 v9, 3, v13
	ds_store_b64 v10, v[83:84]
	ds_store_b64 v11, v[89:90]
	;; [unrolled: 1-line block ×3, first 2 shown]
	v_sub_nc_u32_e32 v10, v42, v8
	v_sub_nc_u32_e32 v13, v38, v8
	;; [unrolled: 1-line block ×3, first 2 shown]
	ds_store_b64 v9, v[99:100]
	v_sub_nc_u32_e32 v9, v41, v8
	v_lshlrev_b32_e32 v10, 3, v10
	v_sub_nc_u32_e32 v12, v39, v8
	v_lshlrev_b32_e32 v11, 3, v11
	s_delay_alu instid0(VALU_DEP_4)
	v_lshlrev_b32_e32 v9, 3, v9
	ds_store_b64 v10, v[81:82]
	v_lshlrev_b32_e32 v10, 3, v13
	v_lshlrev_b32_e32 v12, 3, v12
	ds_store_b64 v9, v[85:86]
	ds_store_b64 v11, v[101:102]
	;; [unrolled: 1-line block ×4, first 2 shown]
	s_or_b32 exec_lo, exec_lo, s0
	s_delay_alu instid0(SALU_CYCLE_1)
	s_and_b32 exec_lo, exec_lo, s18
	s_cbranch_execnz .LBB524_244
	s_branch .LBB524_245
.LBB524_353:
	v_sub_nc_u32_e32 v54, v113, v77
	v_mov_b32_e32 v55, 0
	s_delay_alu instid0(VALU_DEP_1) | instskip(NEXT) | instid1(VALU_DEP_1)
	v_lshlrev_b64 v[54:55], 3, v[54:55]
	v_add_co_u32 v54, vcc_lo, v51, v54
	s_delay_alu instid0(VALU_DEP_2)
	v_add_co_ci_u32_e32 v55, vcc_lo, v52, v55, vcc_lo
	global_store_b64 v[54:55], v[25:26], off
	s_or_b32 exec_lo, exec_lo, s19
	s_and_saveexec_b32 s19, s12
	s_cbranch_execz .LBB524_287
.LBB524_354:
	v_sub_nc_u32_e32 v54, v48, v77
	v_mov_b32_e32 v55, 0
	s_delay_alu instid0(VALU_DEP_1) | instskip(NEXT) | instid1(VALU_DEP_1)
	v_lshlrev_b64 v[54:55], 3, v[54:55]
	v_add_co_u32 v54, vcc_lo, v51, v54
	s_delay_alu instid0(VALU_DEP_2)
	v_add_co_ci_u32_e32 v55, vcc_lo, v52, v55, vcc_lo
	global_store_b64 v[54:55], v[27:28], off
	s_or_b32 exec_lo, exec_lo, s19
	s_and_saveexec_b32 s19, s10
	s_cbranch_execz .LBB524_288
.LBB524_355:
	v_sub_nc_u32_e32 v54, v50, v77
	v_mov_b32_e32 v55, 0
	s_delay_alu instid0(VALU_DEP_1) | instskip(NEXT) | instid1(VALU_DEP_1)
	v_lshlrev_b64 v[54:55], 3, v[54:55]
	v_add_co_u32 v54, vcc_lo, v51, v54
	s_delay_alu instid0(VALU_DEP_2)
	v_add_co_ci_u32_e32 v55, vcc_lo, v52, v55, vcc_lo
	global_store_b64 v[54:55], v[21:22], off
	s_or_b32 exec_lo, exec_lo, s19
	s_and_saveexec_b32 s19, s9
	s_cbranch_execz .LBB524_289
.LBB524_356:
	v_sub_nc_u32_e32 v54, v49, v77
	v_mov_b32_e32 v55, 0
	s_delay_alu instid0(VALU_DEP_1) | instskip(NEXT) | instid1(VALU_DEP_1)
	v_lshlrev_b64 v[54:55], 3, v[54:55]
	v_add_co_u32 v54, vcc_lo, v51, v54
	s_delay_alu instid0(VALU_DEP_2)
	v_add_co_ci_u32_e32 v55, vcc_lo, v52, v55, vcc_lo
	global_store_b64 v[54:55], v[23:24], off
	s_or_b32 exec_lo, exec_lo, s19
	s_and_saveexec_b32 s19, s15
	s_cbranch_execz .LBB524_290
.LBB524_357:
	v_sub_nc_u32_e32 v54, v47, v77
	v_mov_b32_e32 v55, 0
	s_delay_alu instid0(VALU_DEP_1) | instskip(NEXT) | instid1(VALU_DEP_1)
	v_lshlrev_b64 v[54:55], 3, v[54:55]
	v_add_co_u32 v54, vcc_lo, v51, v54
	s_delay_alu instid0(VALU_DEP_2)
	v_add_co_ci_u32_e32 v55, vcc_lo, v52, v55, vcc_lo
	global_store_b64 v[54:55], v[17:18], off
	s_or_b32 exec_lo, exec_lo, s19
	s_and_saveexec_b32 s19, s14
	s_cbranch_execz .LBB524_291
.LBB524_358:
	v_sub_nc_u32_e32 v54, v46, v77
	v_mov_b32_e32 v55, 0
	s_delay_alu instid0(VALU_DEP_1) | instskip(NEXT) | instid1(VALU_DEP_1)
	v_lshlrev_b64 v[54:55], 3, v[54:55]
	v_add_co_u32 v54, vcc_lo, v51, v54
	s_delay_alu instid0(VALU_DEP_2)
	v_add_co_ci_u32_e32 v55, vcc_lo, v52, v55, vcc_lo
	global_store_b64 v[54:55], v[19:20], off
	s_or_b32 exec_lo, exec_lo, s19
	s_and_saveexec_b32 s19, s11
	s_cbranch_execz .LBB524_292
.LBB524_359:
	v_sub_nc_u32_e32 v54, v45, v77
	v_mov_b32_e32 v55, 0
	s_delay_alu instid0(VALU_DEP_1) | instskip(NEXT) | instid1(VALU_DEP_1)
	v_lshlrev_b64 v[54:55], 3, v[54:55]
	v_add_co_u32 v54, vcc_lo, v51, v54
	s_delay_alu instid0(VALU_DEP_2)
	v_add_co_ci_u32_e32 v55, vcc_lo, v52, v55, vcc_lo
	global_store_b64 v[54:55], v[13:14], off
	s_or_b32 exec_lo, exec_lo, s19
	s_and_saveexec_b32 s19, s8
	s_cbranch_execz .LBB524_293
.LBB524_360:
	v_sub_nc_u32_e32 v54, v44, v77
	v_mov_b32_e32 v55, 0
	s_delay_alu instid0(VALU_DEP_1) | instskip(NEXT) | instid1(VALU_DEP_1)
	v_lshlrev_b64 v[54:55], 3, v[54:55]
	v_add_co_u32 v54, vcc_lo, v51, v54
	s_delay_alu instid0(VALU_DEP_2)
	v_add_co_ci_u32_e32 v55, vcc_lo, v52, v55, vcc_lo
	global_store_b64 v[54:55], v[15:16], off
	s_or_b32 exec_lo, exec_lo, s19
	s_and_saveexec_b32 s19, s7
	s_cbranch_execz .LBB524_294
.LBB524_361:
	v_sub_nc_u32_e32 v54, v43, v77
	v_mov_b32_e32 v55, 0
	s_delay_alu instid0(VALU_DEP_1) | instskip(NEXT) | instid1(VALU_DEP_1)
	v_lshlrev_b64 v[54:55], 3, v[54:55]
	v_add_co_u32 v54, vcc_lo, v51, v54
	s_delay_alu instid0(VALU_DEP_2)
	v_add_co_ci_u32_e32 v55, vcc_lo, v52, v55, vcc_lo
	global_store_b64 v[54:55], v[9:10], off
	s_or_b32 exec_lo, exec_lo, s19
	s_and_saveexec_b32 s19, s6
	s_cbranch_execz .LBB524_295
.LBB524_362:
	v_sub_nc_u32_e32 v54, v42, v77
	v_mov_b32_e32 v55, 0
	s_delay_alu instid0(VALU_DEP_1) | instskip(NEXT) | instid1(VALU_DEP_1)
	v_lshlrev_b64 v[54:55], 3, v[54:55]
	v_add_co_u32 v54, vcc_lo, v51, v54
	s_delay_alu instid0(VALU_DEP_2)
	v_add_co_ci_u32_e32 v55, vcc_lo, v52, v55, vcc_lo
	global_store_b64 v[54:55], v[11:12], off
	s_or_b32 exec_lo, exec_lo, s19
	s_and_saveexec_b32 s19, s5
	s_cbranch_execz .LBB524_296
.LBB524_363:
	v_sub_nc_u32_e32 v54, v41, v77
	v_mov_b32_e32 v55, 0
	s_delay_alu instid0(VALU_DEP_1) | instskip(NEXT) | instid1(VALU_DEP_1)
	v_lshlrev_b64 v[54:55], 3, v[54:55]
	v_add_co_u32 v54, vcc_lo, v51, v54
	s_delay_alu instid0(VALU_DEP_2)
	v_add_co_ci_u32_e32 v55, vcc_lo, v52, v55, vcc_lo
	global_store_b64 v[54:55], v[5:6], off
	s_or_b32 exec_lo, exec_lo, s19
	s_and_saveexec_b32 s19, s4
	s_cbranch_execz .LBB524_297
.LBB524_364:
	v_sub_nc_u32_e32 v54, v40, v77
	v_mov_b32_e32 v55, 0
	s_delay_alu instid0(VALU_DEP_1) | instskip(NEXT) | instid1(VALU_DEP_1)
	v_lshlrev_b64 v[54:55], 3, v[54:55]
	v_add_co_u32 v54, vcc_lo, v51, v54
	s_delay_alu instid0(VALU_DEP_2)
	v_add_co_ci_u32_e32 v55, vcc_lo, v52, v55, vcc_lo
	global_store_b64 v[54:55], v[7:8], off
	s_or_b32 exec_lo, exec_lo, s19
	s_and_saveexec_b32 s19, s3
	s_cbranch_execz .LBB524_298
.LBB524_365:
	v_sub_nc_u32_e32 v54, v39, v77
	v_mov_b32_e32 v55, 0
	s_delay_alu instid0(VALU_DEP_1) | instskip(NEXT) | instid1(VALU_DEP_1)
	v_lshlrev_b64 v[54:55], 3, v[54:55]
	v_add_co_u32 v54, vcc_lo, v51, v54
	s_delay_alu instid0(VALU_DEP_2)
	v_add_co_ci_u32_e32 v55, vcc_lo, v52, v55, vcc_lo
	global_store_b64 v[54:55], v[1:2], off
	s_or_b32 exec_lo, exec_lo, s19
	s_and_saveexec_b32 s19, s1
	s_cbranch_execnz .LBB524_299
	s_branch .LBB524_300
.LBB524_366:
	v_sub_nc_u32_e32 v53, v113, v77
	s_delay_alu instid0(VALU_DEP_1)
	v_lshlrev_b32_e32 v53, 3, v53
	ds_store_b64 v53, v[25:26]
	s_or_b32 exec_lo, exec_lo, s19
	s_and_saveexec_b32 s13, s12
	s_cbranch_execz .LBB524_304
.LBB524_367:
	v_sub_nc_u32_e32 v25, v48, v77
	s_delay_alu instid0(VALU_DEP_1)
	v_lshlrev_b32_e32 v25, 3, v25
	ds_store_b64 v25, v[27:28]
	s_or_b32 exec_lo, exec_lo, s13
	s_and_saveexec_b32 s12, s10
	s_cbranch_execz .LBB524_305
.LBB524_368:
	v_sub_nc_u32_e32 v25, v50, v77
	s_delay_alu instid0(VALU_DEP_1)
	v_lshlrev_b32_e32 v25, 3, v25
	ds_store_b64 v25, v[21:22]
	s_or_b32 exec_lo, exec_lo, s12
	s_and_saveexec_b32 s10, s9
	s_cbranch_execz .LBB524_306
.LBB524_369:
	v_sub_nc_u32_e32 v21, v49, v77
	s_delay_alu instid0(VALU_DEP_1)
	v_lshlrev_b32_e32 v21, 3, v21
	ds_store_b64 v21, v[23:24]
	s_or_b32 exec_lo, exec_lo, s10
	s_and_saveexec_b32 s9, s15
	s_cbranch_execz .LBB524_307
.LBB524_370:
	v_sub_nc_u32_e32 v21, v47, v77
	s_delay_alu instid0(VALU_DEP_1)
	v_lshlrev_b32_e32 v21, 3, v21
	ds_store_b64 v21, v[17:18]
	s_or_b32 exec_lo, exec_lo, s9
	s_and_saveexec_b32 s9, s14
	s_cbranch_execz .LBB524_308
.LBB524_371:
	v_sub_nc_u32_e32 v17, v46, v77
	s_delay_alu instid0(VALU_DEP_1)
	v_lshlrev_b32_e32 v17, 3, v17
	ds_store_b64 v17, v[19:20]
	s_or_b32 exec_lo, exec_lo, s9
	s_and_saveexec_b32 s9, s11
	s_cbranch_execz .LBB524_309
.LBB524_372:
	v_sub_nc_u32_e32 v17, v45, v77
	s_delay_alu instid0(VALU_DEP_1)
	v_lshlrev_b32_e32 v17, 3, v17
	ds_store_b64 v17, v[13:14]
	s_or_b32 exec_lo, exec_lo, s9
	s_and_saveexec_b32 s9, s8
	s_cbranch_execz .LBB524_310
.LBB524_373:
	v_sub_nc_u32_e32 v13, v44, v77
	s_delay_alu instid0(VALU_DEP_1)
	v_lshlrev_b32_e32 v13, 3, v13
	ds_store_b64 v13, v[15:16]
	s_or_b32 exec_lo, exec_lo, s9
	s_and_saveexec_b32 s8, s7
	s_cbranch_execz .LBB524_311
.LBB524_374:
	v_sub_nc_u32_e32 v13, v43, v77
	s_delay_alu instid0(VALU_DEP_1)
	v_lshlrev_b32_e32 v13, 3, v13
	ds_store_b64 v13, v[9:10]
	s_or_b32 exec_lo, exec_lo, s8
	s_and_saveexec_b32 s7, s6
	s_cbranch_execz .LBB524_312
.LBB524_375:
	v_sub_nc_u32_e32 v9, v42, v77
	s_delay_alu instid0(VALU_DEP_1)
	v_lshlrev_b32_e32 v9, 3, v9
	ds_store_b64 v9, v[11:12]
	s_or_b32 exec_lo, exec_lo, s7
	s_and_saveexec_b32 s6, s5
	s_cbranch_execz .LBB524_313
.LBB524_376:
	v_sub_nc_u32_e32 v9, v41, v77
	s_delay_alu instid0(VALU_DEP_1)
	v_lshlrev_b32_e32 v9, 3, v9
	ds_store_b64 v9, v[5:6]
	s_or_b32 exec_lo, exec_lo, s6
	s_and_saveexec_b32 s5, s4
	s_cbranch_execz .LBB524_314
.LBB524_377:
	v_sub_nc_u32_e32 v5, v40, v77
	s_delay_alu instid0(VALU_DEP_1)
	v_lshlrev_b32_e32 v5, 3, v5
	ds_store_b64 v5, v[7:8]
	s_or_b32 exec_lo, exec_lo, s5
	s_and_saveexec_b32 s4, s3
	s_cbranch_execz .LBB524_315
.LBB524_378:
	v_sub_nc_u32_e32 v5, v39, v77
	s_delay_alu instid0(VALU_DEP_1)
	v_lshlrev_b32_e32 v5, 3, v5
	ds_store_b64 v5, v[1:2]
	s_or_b32 exec_lo, exec_lo, s4
	s_and_saveexec_b32 s3, s1
	s_cbranch_execnz .LBB524_316
	s_branch .LBB524_317
.LBB524_379:
	v_sub_nc_u32_e32 v10, v113, v8
	v_mov_b32_e32 v11, 0
	s_delay_alu instid0(VALU_DEP_1) | instskip(NEXT) | instid1(VALU_DEP_1)
	v_lshlrev_b64 v[10:11], 3, v[10:11]
	v_add_co_u32 v10, vcc_lo, v6, v10
	s_delay_alu instid0(VALU_DEP_2)
	v_add_co_ci_u32_e32 v11, vcc_lo, v7, v11, vcc_lo
	global_store_b64 v[10:11], v[91:92], off
	s_or_b32 exec_lo, exec_lo, s18
	s_and_saveexec_b32 s18, s13
	s_cbranch_execz .LBB524_321
.LBB524_380:
	v_sub_nc_u32_e32 v10, v48, v8
	v_mov_b32_e32 v11, 0
	s_delay_alu instid0(VALU_DEP_1) | instskip(NEXT) | instid1(VALU_DEP_1)
	v_lshlrev_b64 v[10:11], 3, v[10:11]
	v_add_co_u32 v10, vcc_lo, v6, v10
	s_delay_alu instid0(VALU_DEP_2)
	v_add_co_ci_u32_e32 v11, vcc_lo, v7, v11, vcc_lo
	global_store_b64 v[10:11], v[87:88], off
	s_or_b32 exec_lo, exec_lo, s18
	s_and_saveexec_b32 s18, s12
	s_cbranch_execz .LBB524_322
.LBB524_381:
	v_sub_nc_u32_e32 v10, v50, v8
	v_mov_b32_e32 v11, 0
	s_delay_alu instid0(VALU_DEP_1) | instskip(NEXT) | instid1(VALU_DEP_1)
	v_lshlrev_b64 v[10:11], 3, v[10:11]
	v_add_co_u32 v10, vcc_lo, v6, v10
	s_delay_alu instid0(VALU_DEP_2)
	v_add_co_ci_u32_e32 v11, vcc_lo, v7, v11, vcc_lo
	global_store_b64 v[10:11], v[93:94], off
	s_or_b32 exec_lo, exec_lo, s18
	s_and_saveexec_b32 s18, s11
	s_cbranch_execz .LBB524_323
.LBB524_382:
	v_sub_nc_u32_e32 v10, v49, v8
	v_mov_b32_e32 v11, 0
	s_delay_alu instid0(VALU_DEP_1) | instskip(NEXT) | instid1(VALU_DEP_1)
	v_lshlrev_b64 v[10:11], 3, v[10:11]
	v_add_co_u32 v10, vcc_lo, v6, v10
	s_delay_alu instid0(VALU_DEP_2)
	v_add_co_ci_u32_e32 v11, vcc_lo, v7, v11, vcc_lo
	global_store_b64 v[10:11], v[97:98], off
	s_or_b32 exec_lo, exec_lo, s18
	s_and_saveexec_b32 s18, s10
	s_cbranch_execz .LBB524_324
.LBB524_383:
	v_sub_nc_u32_e32 v10, v47, v8
	v_mov_b32_e32 v11, 0
	s_delay_alu instid0(VALU_DEP_1) | instskip(NEXT) | instid1(VALU_DEP_1)
	v_lshlrev_b64 v[10:11], 3, v[10:11]
	v_add_co_u32 v10, vcc_lo, v6, v10
	s_delay_alu instid0(VALU_DEP_2)
	v_add_co_ci_u32_e32 v11, vcc_lo, v7, v11, vcc_lo
	global_store_b64 v[10:11], v[79:80], off
	s_or_b32 exec_lo, exec_lo, s18
	s_and_saveexec_b32 s18, s9
	s_cbranch_execz .LBB524_325
.LBB524_384:
	v_sub_nc_u32_e32 v10, v46, v8
	v_mov_b32_e32 v11, 0
	s_delay_alu instid0(VALU_DEP_1) | instskip(NEXT) | instid1(VALU_DEP_1)
	v_lshlrev_b64 v[10:11], 3, v[10:11]
	v_add_co_u32 v10, vcc_lo, v6, v10
	s_delay_alu instid0(VALU_DEP_2)
	v_add_co_ci_u32_e32 v11, vcc_lo, v7, v11, vcc_lo
	global_store_b64 v[10:11], v[83:84], off
	s_or_b32 exec_lo, exec_lo, s18
	s_and_saveexec_b32 s18, s8
	s_cbranch_execz .LBB524_326
.LBB524_385:
	v_sub_nc_u32_e32 v10, v45, v8
	v_mov_b32_e32 v11, 0
	s_delay_alu instid0(VALU_DEP_1) | instskip(NEXT) | instid1(VALU_DEP_1)
	v_lshlrev_b64 v[10:11], 3, v[10:11]
	v_add_co_u32 v10, vcc_lo, v6, v10
	s_delay_alu instid0(VALU_DEP_2)
	v_add_co_ci_u32_e32 v11, vcc_lo, v7, v11, vcc_lo
	global_store_b64 v[10:11], v[89:90], off
	s_or_b32 exec_lo, exec_lo, s18
	s_and_saveexec_b32 s18, s7
	s_cbranch_execz .LBB524_327
.LBB524_386:
	v_sub_nc_u32_e32 v10, v44, v8
	v_mov_b32_e32 v11, 0
	s_delay_alu instid0(VALU_DEP_1) | instskip(NEXT) | instid1(VALU_DEP_1)
	v_lshlrev_b64 v[10:11], 3, v[10:11]
	v_add_co_u32 v10, vcc_lo, v6, v10
	s_delay_alu instid0(VALU_DEP_2)
	v_add_co_ci_u32_e32 v11, vcc_lo, v7, v11, vcc_lo
	global_store_b64 v[10:11], v[95:96], off
	s_or_b32 exec_lo, exec_lo, s18
	s_and_saveexec_b32 s18, s6
	s_cbranch_execz .LBB524_328
.LBB524_387:
	v_sub_nc_u32_e32 v10, v43, v8
	v_mov_b32_e32 v11, 0
	s_delay_alu instid0(VALU_DEP_1) | instskip(NEXT) | instid1(VALU_DEP_1)
	v_lshlrev_b64 v[10:11], 3, v[10:11]
	v_add_co_u32 v10, vcc_lo, v6, v10
	s_delay_alu instid0(VALU_DEP_2)
	v_add_co_ci_u32_e32 v11, vcc_lo, v7, v11, vcc_lo
	global_store_b64 v[10:11], v[99:100], off
	s_or_b32 exec_lo, exec_lo, s18
	s_and_saveexec_b32 s18, s5
	s_cbranch_execz .LBB524_329
.LBB524_388:
	v_sub_nc_u32_e32 v10, v42, v8
	v_mov_b32_e32 v11, 0
	s_delay_alu instid0(VALU_DEP_1) | instskip(NEXT) | instid1(VALU_DEP_1)
	v_lshlrev_b64 v[10:11], 3, v[10:11]
	v_add_co_u32 v10, vcc_lo, v6, v10
	s_delay_alu instid0(VALU_DEP_2)
	v_add_co_ci_u32_e32 v11, vcc_lo, v7, v11, vcc_lo
	global_store_b64 v[10:11], v[81:82], off
	s_or_b32 exec_lo, exec_lo, s18
	s_and_saveexec_b32 s18, s4
	s_cbranch_execz .LBB524_330
.LBB524_389:
	v_sub_nc_u32_e32 v10, v41, v8
	v_mov_b32_e32 v11, 0
	s_delay_alu instid0(VALU_DEP_1) | instskip(NEXT) | instid1(VALU_DEP_1)
	v_lshlrev_b64 v[10:11], 3, v[10:11]
	v_add_co_u32 v10, vcc_lo, v6, v10
	s_delay_alu instid0(VALU_DEP_2)
	v_add_co_ci_u32_e32 v11, vcc_lo, v7, v11, vcc_lo
	global_store_b64 v[10:11], v[85:86], off
	s_or_b32 exec_lo, exec_lo, s18
	s_and_saveexec_b32 s18, s3
	s_cbranch_execz .LBB524_331
.LBB524_390:
	v_sub_nc_u32_e32 v10, v40, v8
	v_mov_b32_e32 v11, 0
	s_delay_alu instid0(VALU_DEP_1) | instskip(NEXT) | instid1(VALU_DEP_1)
	v_lshlrev_b64 v[10:11], 3, v[10:11]
	v_add_co_u32 v10, vcc_lo, v6, v10
	s_delay_alu instid0(VALU_DEP_2)
	v_add_co_ci_u32_e32 v11, vcc_lo, v7, v11, vcc_lo
	global_store_b64 v[10:11], v[101:102], off
	s_or_b32 exec_lo, exec_lo, s18
	s_and_saveexec_b32 s18, s2
	s_cbranch_execz .LBB524_332
.LBB524_391:
	v_sub_nc_u32_e32 v10, v39, v8
	v_mov_b32_e32 v11, 0
	s_delay_alu instid0(VALU_DEP_1) | instskip(NEXT) | instid1(VALU_DEP_1)
	v_lshlrev_b64 v[10:11], 3, v[10:11]
	v_add_co_u32 v10, vcc_lo, v6, v10
	s_delay_alu instid0(VALU_DEP_2)
	v_add_co_ci_u32_e32 v11, vcc_lo, v7, v11, vcc_lo
	global_store_b64 v[10:11], v[103:104], off
	s_or_b32 exec_lo, exec_lo, s18
	s_and_saveexec_b32 s18, s1
	s_cbranch_execnz .LBB524_333
	s_branch .LBB524_334
.LBB524_392:
	v_sub_nc_u32_e32 v9, v113, v8
	s_delay_alu instid0(VALU_DEP_1)
	v_lshlrev_b32_e32 v9, 3, v9
	ds_store_b64 v9, v[91:92]
	s_or_b32 exec_lo, exec_lo, s18
	s_and_saveexec_b32 s14, s13
	s_cbranch_execz .LBB524_338
.LBB524_393:
	v_sub_nc_u32_e32 v9, v48, v8
	s_delay_alu instid0(VALU_DEP_1)
	v_lshlrev_b32_e32 v9, 3, v9
	ds_store_b64 v9, v[87:88]
	s_or_b32 exec_lo, exec_lo, s14
	s_and_saveexec_b32 s13, s12
	s_cbranch_execz .LBB524_339
.LBB524_394:
	v_sub_nc_u32_e32 v9, v50, v8
	s_delay_alu instid0(VALU_DEP_1)
	v_lshlrev_b32_e32 v9, 3, v9
	ds_store_b64 v9, v[93:94]
	s_or_b32 exec_lo, exec_lo, s13
	s_and_saveexec_b32 s12, s11
	s_cbranch_execz .LBB524_340
.LBB524_395:
	v_sub_nc_u32_e32 v9, v49, v8
	s_delay_alu instid0(VALU_DEP_1)
	v_lshlrev_b32_e32 v9, 3, v9
	ds_store_b64 v9, v[97:98]
	s_or_b32 exec_lo, exec_lo, s12
	s_and_saveexec_b32 s11, s10
	s_cbranch_execz .LBB524_341
.LBB524_396:
	v_sub_nc_u32_e32 v9, v47, v8
	s_delay_alu instid0(VALU_DEP_1)
	v_lshlrev_b32_e32 v9, 3, v9
	ds_store_b64 v9, v[79:80]
	s_or_b32 exec_lo, exec_lo, s11
	s_and_saveexec_b32 s10, s9
	s_cbranch_execz .LBB524_342
.LBB524_397:
	v_sub_nc_u32_e32 v9, v46, v8
	s_delay_alu instid0(VALU_DEP_1)
	v_lshlrev_b32_e32 v9, 3, v9
	ds_store_b64 v9, v[83:84]
	s_or_b32 exec_lo, exec_lo, s10
	s_and_saveexec_b32 s9, s8
	s_cbranch_execz .LBB524_343
.LBB524_398:
	v_sub_nc_u32_e32 v9, v45, v8
	s_delay_alu instid0(VALU_DEP_1)
	v_lshlrev_b32_e32 v9, 3, v9
	ds_store_b64 v9, v[89:90]
	s_or_b32 exec_lo, exec_lo, s9
	s_and_saveexec_b32 s8, s7
	s_cbranch_execz .LBB524_344
.LBB524_399:
	v_sub_nc_u32_e32 v9, v44, v8
	s_delay_alu instid0(VALU_DEP_1)
	v_lshlrev_b32_e32 v9, 3, v9
	ds_store_b64 v9, v[95:96]
	s_or_b32 exec_lo, exec_lo, s8
	s_and_saveexec_b32 s7, s6
	s_cbranch_execz .LBB524_345
.LBB524_400:
	v_sub_nc_u32_e32 v9, v43, v8
	s_delay_alu instid0(VALU_DEP_1)
	v_lshlrev_b32_e32 v9, 3, v9
	ds_store_b64 v9, v[99:100]
	s_or_b32 exec_lo, exec_lo, s7
	s_and_saveexec_b32 s6, s5
	s_cbranch_execz .LBB524_346
.LBB524_401:
	v_sub_nc_u32_e32 v9, v42, v8
	s_delay_alu instid0(VALU_DEP_1)
	v_lshlrev_b32_e32 v9, 3, v9
	ds_store_b64 v9, v[81:82]
	s_or_b32 exec_lo, exec_lo, s6
	s_and_saveexec_b32 s5, s4
	s_cbranch_execz .LBB524_347
.LBB524_402:
	v_sub_nc_u32_e32 v9, v41, v8
	s_delay_alu instid0(VALU_DEP_1)
	v_lshlrev_b32_e32 v9, 3, v9
	ds_store_b64 v9, v[85:86]
	s_or_b32 exec_lo, exec_lo, s5
	s_and_saveexec_b32 s4, s3
	s_cbranch_execz .LBB524_348
.LBB524_403:
	v_sub_nc_u32_e32 v9, v40, v8
	s_delay_alu instid0(VALU_DEP_1)
	v_lshlrev_b32_e32 v9, 3, v9
	ds_store_b64 v9, v[101:102]
	s_or_b32 exec_lo, exec_lo, s4
	s_and_saveexec_b32 s3, s2
	s_cbranch_execz .LBB524_349
.LBB524_404:
	v_sub_nc_u32_e32 v9, v39, v8
	s_delay_alu instid0(VALU_DEP_1)
	v_lshlrev_b32_e32 v9, 3, v9
	ds_store_b64 v9, v[103:104]
	s_or_b32 exec_lo, exec_lo, s3
	s_and_saveexec_b32 s2, s1
	s_cbranch_execnz .LBB524_350
	s_branch .LBB524_351
	.section	.rodata,"a",@progbits
	.p2align	6, 0x0
	.amdhsa_kernel _ZN7rocprim17ROCPRIM_400000_NS6detail17trampoline_kernelINS0_14default_configENS1_29reduce_by_key_config_selectorIxxN6thrust23THRUST_200600_302600_NS4plusIxEEEEZZNS1_33reduce_by_key_impl_wrapped_configILNS1_25lookback_scan_determinismE0ES3_S9_NS6_6detail15normal_iteratorINS6_10device_ptrIxEEEESG_SG_SG_PmS8_22is_equal_div_10_reduceIxEEE10hipError_tPvRmT2_T3_mT4_T5_T6_T7_T8_P12ihipStream_tbENKUlT_T0_E_clISt17integral_constantIbLb1EES11_EEDaSW_SX_EUlSW_E_NS1_11comp_targetILNS1_3genE9ELNS1_11target_archE1100ELNS1_3gpuE3ELNS1_3repE0EEENS1_30default_config_static_selectorELNS0_4arch9wavefront6targetE0EEEvT1_
		.amdhsa_group_segment_fixed_size 30720
		.amdhsa_private_segment_fixed_size 0
		.amdhsa_kernarg_size 136
		.amdhsa_user_sgpr_count 15
		.amdhsa_user_sgpr_dispatch_ptr 0
		.amdhsa_user_sgpr_queue_ptr 0
		.amdhsa_user_sgpr_kernarg_segment_ptr 1
		.amdhsa_user_sgpr_dispatch_id 0
		.amdhsa_user_sgpr_private_segment_size 0
		.amdhsa_wavefront_size32 1
		.amdhsa_uses_dynamic_stack 0
		.amdhsa_enable_private_segment 0
		.amdhsa_system_sgpr_workgroup_id_x 1
		.amdhsa_system_sgpr_workgroup_id_y 0
		.amdhsa_system_sgpr_workgroup_id_z 0
		.amdhsa_system_sgpr_workgroup_info 0
		.amdhsa_system_vgpr_workitem_id 0
		.amdhsa_next_free_vgpr 120
		.amdhsa_next_free_sgpr 52
		.amdhsa_reserve_vcc 1
		.amdhsa_float_round_mode_32 0
		.amdhsa_float_round_mode_16_64 0
		.amdhsa_float_denorm_mode_32 3
		.amdhsa_float_denorm_mode_16_64 3
		.amdhsa_dx10_clamp 1
		.amdhsa_ieee_mode 1
		.amdhsa_fp16_overflow 0
		.amdhsa_workgroup_processor_mode 1
		.amdhsa_memory_ordered 1
		.amdhsa_forward_progress 0
		.amdhsa_shared_vgpr_count 0
		.amdhsa_exception_fp_ieee_invalid_op 0
		.amdhsa_exception_fp_denorm_src 0
		.amdhsa_exception_fp_ieee_div_zero 0
		.amdhsa_exception_fp_ieee_overflow 0
		.amdhsa_exception_fp_ieee_underflow 0
		.amdhsa_exception_fp_ieee_inexact 0
		.amdhsa_exception_int_div_zero 0
	.end_amdhsa_kernel
	.section	.text._ZN7rocprim17ROCPRIM_400000_NS6detail17trampoline_kernelINS0_14default_configENS1_29reduce_by_key_config_selectorIxxN6thrust23THRUST_200600_302600_NS4plusIxEEEEZZNS1_33reduce_by_key_impl_wrapped_configILNS1_25lookback_scan_determinismE0ES3_S9_NS6_6detail15normal_iteratorINS6_10device_ptrIxEEEESG_SG_SG_PmS8_22is_equal_div_10_reduceIxEEE10hipError_tPvRmT2_T3_mT4_T5_T6_T7_T8_P12ihipStream_tbENKUlT_T0_E_clISt17integral_constantIbLb1EES11_EEDaSW_SX_EUlSW_E_NS1_11comp_targetILNS1_3genE9ELNS1_11target_archE1100ELNS1_3gpuE3ELNS1_3repE0EEENS1_30default_config_static_selectorELNS0_4arch9wavefront6targetE0EEEvT1_,"axG",@progbits,_ZN7rocprim17ROCPRIM_400000_NS6detail17trampoline_kernelINS0_14default_configENS1_29reduce_by_key_config_selectorIxxN6thrust23THRUST_200600_302600_NS4plusIxEEEEZZNS1_33reduce_by_key_impl_wrapped_configILNS1_25lookback_scan_determinismE0ES3_S9_NS6_6detail15normal_iteratorINS6_10device_ptrIxEEEESG_SG_SG_PmS8_22is_equal_div_10_reduceIxEEE10hipError_tPvRmT2_T3_mT4_T5_T6_T7_T8_P12ihipStream_tbENKUlT_T0_E_clISt17integral_constantIbLb1EES11_EEDaSW_SX_EUlSW_E_NS1_11comp_targetILNS1_3genE9ELNS1_11target_archE1100ELNS1_3gpuE3ELNS1_3repE0EEENS1_30default_config_static_selectorELNS0_4arch9wavefront6targetE0EEEvT1_,comdat
.Lfunc_end524:
	.size	_ZN7rocprim17ROCPRIM_400000_NS6detail17trampoline_kernelINS0_14default_configENS1_29reduce_by_key_config_selectorIxxN6thrust23THRUST_200600_302600_NS4plusIxEEEEZZNS1_33reduce_by_key_impl_wrapped_configILNS1_25lookback_scan_determinismE0ES3_S9_NS6_6detail15normal_iteratorINS6_10device_ptrIxEEEESG_SG_SG_PmS8_22is_equal_div_10_reduceIxEEE10hipError_tPvRmT2_T3_mT4_T5_T6_T7_T8_P12ihipStream_tbENKUlT_T0_E_clISt17integral_constantIbLb1EES11_EEDaSW_SX_EUlSW_E_NS1_11comp_targetILNS1_3genE9ELNS1_11target_archE1100ELNS1_3gpuE3ELNS1_3repE0EEENS1_30default_config_static_selectorELNS0_4arch9wavefront6targetE0EEEvT1_, .Lfunc_end524-_ZN7rocprim17ROCPRIM_400000_NS6detail17trampoline_kernelINS0_14default_configENS1_29reduce_by_key_config_selectorIxxN6thrust23THRUST_200600_302600_NS4plusIxEEEEZZNS1_33reduce_by_key_impl_wrapped_configILNS1_25lookback_scan_determinismE0ES3_S9_NS6_6detail15normal_iteratorINS6_10device_ptrIxEEEESG_SG_SG_PmS8_22is_equal_div_10_reduceIxEEE10hipError_tPvRmT2_T3_mT4_T5_T6_T7_T8_P12ihipStream_tbENKUlT_T0_E_clISt17integral_constantIbLb1EES11_EEDaSW_SX_EUlSW_E_NS1_11comp_targetILNS1_3genE9ELNS1_11target_archE1100ELNS1_3gpuE3ELNS1_3repE0EEENS1_30default_config_static_selectorELNS0_4arch9wavefront6targetE0EEEvT1_
                                        ; -- End function
	.section	.AMDGPU.csdata,"",@progbits
; Kernel info:
; codeLenInByte = 21972
; NumSgprs: 54
; NumVgprs: 120
; ScratchSize: 0
; MemoryBound: 0
; FloatMode: 240
; IeeeMode: 1
; LDSByteSize: 30720 bytes/workgroup (compile time only)
; SGPRBlocks: 6
; VGPRBlocks: 14
; NumSGPRsForWavesPerEU: 54
; NumVGPRsForWavesPerEU: 120
; Occupancy: 8
; WaveLimiterHint : 1
; COMPUTE_PGM_RSRC2:SCRATCH_EN: 0
; COMPUTE_PGM_RSRC2:USER_SGPR: 15
; COMPUTE_PGM_RSRC2:TRAP_HANDLER: 0
; COMPUTE_PGM_RSRC2:TGID_X_EN: 1
; COMPUTE_PGM_RSRC2:TGID_Y_EN: 0
; COMPUTE_PGM_RSRC2:TGID_Z_EN: 0
; COMPUTE_PGM_RSRC2:TIDIG_COMP_CNT: 0
	.section	.text._ZN7rocprim17ROCPRIM_400000_NS6detail17trampoline_kernelINS0_14default_configENS1_29reduce_by_key_config_selectorIxxN6thrust23THRUST_200600_302600_NS4plusIxEEEEZZNS1_33reduce_by_key_impl_wrapped_configILNS1_25lookback_scan_determinismE0ES3_S9_NS6_6detail15normal_iteratorINS6_10device_ptrIxEEEESG_SG_SG_PmS8_22is_equal_div_10_reduceIxEEE10hipError_tPvRmT2_T3_mT4_T5_T6_T7_T8_P12ihipStream_tbENKUlT_T0_E_clISt17integral_constantIbLb1EES11_EEDaSW_SX_EUlSW_E_NS1_11comp_targetILNS1_3genE8ELNS1_11target_archE1030ELNS1_3gpuE2ELNS1_3repE0EEENS1_30default_config_static_selectorELNS0_4arch9wavefront6targetE0EEEvT1_,"axG",@progbits,_ZN7rocprim17ROCPRIM_400000_NS6detail17trampoline_kernelINS0_14default_configENS1_29reduce_by_key_config_selectorIxxN6thrust23THRUST_200600_302600_NS4plusIxEEEEZZNS1_33reduce_by_key_impl_wrapped_configILNS1_25lookback_scan_determinismE0ES3_S9_NS6_6detail15normal_iteratorINS6_10device_ptrIxEEEESG_SG_SG_PmS8_22is_equal_div_10_reduceIxEEE10hipError_tPvRmT2_T3_mT4_T5_T6_T7_T8_P12ihipStream_tbENKUlT_T0_E_clISt17integral_constantIbLb1EES11_EEDaSW_SX_EUlSW_E_NS1_11comp_targetILNS1_3genE8ELNS1_11target_archE1030ELNS1_3gpuE2ELNS1_3repE0EEENS1_30default_config_static_selectorELNS0_4arch9wavefront6targetE0EEEvT1_,comdat
	.protected	_ZN7rocprim17ROCPRIM_400000_NS6detail17trampoline_kernelINS0_14default_configENS1_29reduce_by_key_config_selectorIxxN6thrust23THRUST_200600_302600_NS4plusIxEEEEZZNS1_33reduce_by_key_impl_wrapped_configILNS1_25lookback_scan_determinismE0ES3_S9_NS6_6detail15normal_iteratorINS6_10device_ptrIxEEEESG_SG_SG_PmS8_22is_equal_div_10_reduceIxEEE10hipError_tPvRmT2_T3_mT4_T5_T6_T7_T8_P12ihipStream_tbENKUlT_T0_E_clISt17integral_constantIbLb1EES11_EEDaSW_SX_EUlSW_E_NS1_11comp_targetILNS1_3genE8ELNS1_11target_archE1030ELNS1_3gpuE2ELNS1_3repE0EEENS1_30default_config_static_selectorELNS0_4arch9wavefront6targetE0EEEvT1_ ; -- Begin function _ZN7rocprim17ROCPRIM_400000_NS6detail17trampoline_kernelINS0_14default_configENS1_29reduce_by_key_config_selectorIxxN6thrust23THRUST_200600_302600_NS4plusIxEEEEZZNS1_33reduce_by_key_impl_wrapped_configILNS1_25lookback_scan_determinismE0ES3_S9_NS6_6detail15normal_iteratorINS6_10device_ptrIxEEEESG_SG_SG_PmS8_22is_equal_div_10_reduceIxEEE10hipError_tPvRmT2_T3_mT4_T5_T6_T7_T8_P12ihipStream_tbENKUlT_T0_E_clISt17integral_constantIbLb1EES11_EEDaSW_SX_EUlSW_E_NS1_11comp_targetILNS1_3genE8ELNS1_11target_archE1030ELNS1_3gpuE2ELNS1_3repE0EEENS1_30default_config_static_selectorELNS0_4arch9wavefront6targetE0EEEvT1_
	.globl	_ZN7rocprim17ROCPRIM_400000_NS6detail17trampoline_kernelINS0_14default_configENS1_29reduce_by_key_config_selectorIxxN6thrust23THRUST_200600_302600_NS4plusIxEEEEZZNS1_33reduce_by_key_impl_wrapped_configILNS1_25lookback_scan_determinismE0ES3_S9_NS6_6detail15normal_iteratorINS6_10device_ptrIxEEEESG_SG_SG_PmS8_22is_equal_div_10_reduceIxEEE10hipError_tPvRmT2_T3_mT4_T5_T6_T7_T8_P12ihipStream_tbENKUlT_T0_E_clISt17integral_constantIbLb1EES11_EEDaSW_SX_EUlSW_E_NS1_11comp_targetILNS1_3genE8ELNS1_11target_archE1030ELNS1_3gpuE2ELNS1_3repE0EEENS1_30default_config_static_selectorELNS0_4arch9wavefront6targetE0EEEvT1_
	.p2align	8
	.type	_ZN7rocprim17ROCPRIM_400000_NS6detail17trampoline_kernelINS0_14default_configENS1_29reduce_by_key_config_selectorIxxN6thrust23THRUST_200600_302600_NS4plusIxEEEEZZNS1_33reduce_by_key_impl_wrapped_configILNS1_25lookback_scan_determinismE0ES3_S9_NS6_6detail15normal_iteratorINS6_10device_ptrIxEEEESG_SG_SG_PmS8_22is_equal_div_10_reduceIxEEE10hipError_tPvRmT2_T3_mT4_T5_T6_T7_T8_P12ihipStream_tbENKUlT_T0_E_clISt17integral_constantIbLb1EES11_EEDaSW_SX_EUlSW_E_NS1_11comp_targetILNS1_3genE8ELNS1_11target_archE1030ELNS1_3gpuE2ELNS1_3repE0EEENS1_30default_config_static_selectorELNS0_4arch9wavefront6targetE0EEEvT1_,@function
_ZN7rocprim17ROCPRIM_400000_NS6detail17trampoline_kernelINS0_14default_configENS1_29reduce_by_key_config_selectorIxxN6thrust23THRUST_200600_302600_NS4plusIxEEEEZZNS1_33reduce_by_key_impl_wrapped_configILNS1_25lookback_scan_determinismE0ES3_S9_NS6_6detail15normal_iteratorINS6_10device_ptrIxEEEESG_SG_SG_PmS8_22is_equal_div_10_reduceIxEEE10hipError_tPvRmT2_T3_mT4_T5_T6_T7_T8_P12ihipStream_tbENKUlT_T0_E_clISt17integral_constantIbLb1EES11_EEDaSW_SX_EUlSW_E_NS1_11comp_targetILNS1_3genE8ELNS1_11target_archE1030ELNS1_3gpuE2ELNS1_3repE0EEENS1_30default_config_static_selectorELNS0_4arch9wavefront6targetE0EEEvT1_: ; @_ZN7rocprim17ROCPRIM_400000_NS6detail17trampoline_kernelINS0_14default_configENS1_29reduce_by_key_config_selectorIxxN6thrust23THRUST_200600_302600_NS4plusIxEEEEZZNS1_33reduce_by_key_impl_wrapped_configILNS1_25lookback_scan_determinismE0ES3_S9_NS6_6detail15normal_iteratorINS6_10device_ptrIxEEEESG_SG_SG_PmS8_22is_equal_div_10_reduceIxEEE10hipError_tPvRmT2_T3_mT4_T5_T6_T7_T8_P12ihipStream_tbENKUlT_T0_E_clISt17integral_constantIbLb1EES11_EEDaSW_SX_EUlSW_E_NS1_11comp_targetILNS1_3genE8ELNS1_11target_archE1030ELNS1_3gpuE2ELNS1_3repE0EEENS1_30default_config_static_selectorELNS0_4arch9wavefront6targetE0EEEvT1_
; %bb.0:
	.section	.rodata,"a",@progbits
	.p2align	6, 0x0
	.amdhsa_kernel _ZN7rocprim17ROCPRIM_400000_NS6detail17trampoline_kernelINS0_14default_configENS1_29reduce_by_key_config_selectorIxxN6thrust23THRUST_200600_302600_NS4plusIxEEEEZZNS1_33reduce_by_key_impl_wrapped_configILNS1_25lookback_scan_determinismE0ES3_S9_NS6_6detail15normal_iteratorINS6_10device_ptrIxEEEESG_SG_SG_PmS8_22is_equal_div_10_reduceIxEEE10hipError_tPvRmT2_T3_mT4_T5_T6_T7_T8_P12ihipStream_tbENKUlT_T0_E_clISt17integral_constantIbLb1EES11_EEDaSW_SX_EUlSW_E_NS1_11comp_targetILNS1_3genE8ELNS1_11target_archE1030ELNS1_3gpuE2ELNS1_3repE0EEENS1_30default_config_static_selectorELNS0_4arch9wavefront6targetE0EEEvT1_
		.amdhsa_group_segment_fixed_size 0
		.amdhsa_private_segment_fixed_size 0
		.amdhsa_kernarg_size 136
		.amdhsa_user_sgpr_count 15
		.amdhsa_user_sgpr_dispatch_ptr 0
		.amdhsa_user_sgpr_queue_ptr 0
		.amdhsa_user_sgpr_kernarg_segment_ptr 1
		.amdhsa_user_sgpr_dispatch_id 0
		.amdhsa_user_sgpr_private_segment_size 0
		.amdhsa_wavefront_size32 1
		.amdhsa_uses_dynamic_stack 0
		.amdhsa_enable_private_segment 0
		.amdhsa_system_sgpr_workgroup_id_x 1
		.amdhsa_system_sgpr_workgroup_id_y 0
		.amdhsa_system_sgpr_workgroup_id_z 0
		.amdhsa_system_sgpr_workgroup_info 0
		.amdhsa_system_vgpr_workitem_id 0
		.amdhsa_next_free_vgpr 1
		.amdhsa_next_free_sgpr 1
		.amdhsa_reserve_vcc 0
		.amdhsa_float_round_mode_32 0
		.amdhsa_float_round_mode_16_64 0
		.amdhsa_float_denorm_mode_32 3
		.amdhsa_float_denorm_mode_16_64 3
		.amdhsa_dx10_clamp 1
		.amdhsa_ieee_mode 1
		.amdhsa_fp16_overflow 0
		.amdhsa_workgroup_processor_mode 1
		.amdhsa_memory_ordered 1
		.amdhsa_forward_progress 0
		.amdhsa_shared_vgpr_count 0
		.amdhsa_exception_fp_ieee_invalid_op 0
		.amdhsa_exception_fp_denorm_src 0
		.amdhsa_exception_fp_ieee_div_zero 0
		.amdhsa_exception_fp_ieee_overflow 0
		.amdhsa_exception_fp_ieee_underflow 0
		.amdhsa_exception_fp_ieee_inexact 0
		.amdhsa_exception_int_div_zero 0
	.end_amdhsa_kernel
	.section	.text._ZN7rocprim17ROCPRIM_400000_NS6detail17trampoline_kernelINS0_14default_configENS1_29reduce_by_key_config_selectorIxxN6thrust23THRUST_200600_302600_NS4plusIxEEEEZZNS1_33reduce_by_key_impl_wrapped_configILNS1_25lookback_scan_determinismE0ES3_S9_NS6_6detail15normal_iteratorINS6_10device_ptrIxEEEESG_SG_SG_PmS8_22is_equal_div_10_reduceIxEEE10hipError_tPvRmT2_T3_mT4_T5_T6_T7_T8_P12ihipStream_tbENKUlT_T0_E_clISt17integral_constantIbLb1EES11_EEDaSW_SX_EUlSW_E_NS1_11comp_targetILNS1_3genE8ELNS1_11target_archE1030ELNS1_3gpuE2ELNS1_3repE0EEENS1_30default_config_static_selectorELNS0_4arch9wavefront6targetE0EEEvT1_,"axG",@progbits,_ZN7rocprim17ROCPRIM_400000_NS6detail17trampoline_kernelINS0_14default_configENS1_29reduce_by_key_config_selectorIxxN6thrust23THRUST_200600_302600_NS4plusIxEEEEZZNS1_33reduce_by_key_impl_wrapped_configILNS1_25lookback_scan_determinismE0ES3_S9_NS6_6detail15normal_iteratorINS6_10device_ptrIxEEEESG_SG_SG_PmS8_22is_equal_div_10_reduceIxEEE10hipError_tPvRmT2_T3_mT4_T5_T6_T7_T8_P12ihipStream_tbENKUlT_T0_E_clISt17integral_constantIbLb1EES11_EEDaSW_SX_EUlSW_E_NS1_11comp_targetILNS1_3genE8ELNS1_11target_archE1030ELNS1_3gpuE2ELNS1_3repE0EEENS1_30default_config_static_selectorELNS0_4arch9wavefront6targetE0EEEvT1_,comdat
.Lfunc_end525:
	.size	_ZN7rocprim17ROCPRIM_400000_NS6detail17trampoline_kernelINS0_14default_configENS1_29reduce_by_key_config_selectorIxxN6thrust23THRUST_200600_302600_NS4plusIxEEEEZZNS1_33reduce_by_key_impl_wrapped_configILNS1_25lookback_scan_determinismE0ES3_S9_NS6_6detail15normal_iteratorINS6_10device_ptrIxEEEESG_SG_SG_PmS8_22is_equal_div_10_reduceIxEEE10hipError_tPvRmT2_T3_mT4_T5_T6_T7_T8_P12ihipStream_tbENKUlT_T0_E_clISt17integral_constantIbLb1EES11_EEDaSW_SX_EUlSW_E_NS1_11comp_targetILNS1_3genE8ELNS1_11target_archE1030ELNS1_3gpuE2ELNS1_3repE0EEENS1_30default_config_static_selectorELNS0_4arch9wavefront6targetE0EEEvT1_, .Lfunc_end525-_ZN7rocprim17ROCPRIM_400000_NS6detail17trampoline_kernelINS0_14default_configENS1_29reduce_by_key_config_selectorIxxN6thrust23THRUST_200600_302600_NS4plusIxEEEEZZNS1_33reduce_by_key_impl_wrapped_configILNS1_25lookback_scan_determinismE0ES3_S9_NS6_6detail15normal_iteratorINS6_10device_ptrIxEEEESG_SG_SG_PmS8_22is_equal_div_10_reduceIxEEE10hipError_tPvRmT2_T3_mT4_T5_T6_T7_T8_P12ihipStream_tbENKUlT_T0_E_clISt17integral_constantIbLb1EES11_EEDaSW_SX_EUlSW_E_NS1_11comp_targetILNS1_3genE8ELNS1_11target_archE1030ELNS1_3gpuE2ELNS1_3repE0EEENS1_30default_config_static_selectorELNS0_4arch9wavefront6targetE0EEEvT1_
                                        ; -- End function
	.section	.AMDGPU.csdata,"",@progbits
; Kernel info:
; codeLenInByte = 0
; NumSgprs: 0
; NumVgprs: 0
; ScratchSize: 0
; MemoryBound: 0
; FloatMode: 240
; IeeeMode: 1
; LDSByteSize: 0 bytes/workgroup (compile time only)
; SGPRBlocks: 0
; VGPRBlocks: 0
; NumSGPRsForWavesPerEU: 1
; NumVGPRsForWavesPerEU: 1
; Occupancy: 16
; WaveLimiterHint : 0
; COMPUTE_PGM_RSRC2:SCRATCH_EN: 0
; COMPUTE_PGM_RSRC2:USER_SGPR: 15
; COMPUTE_PGM_RSRC2:TRAP_HANDLER: 0
; COMPUTE_PGM_RSRC2:TGID_X_EN: 1
; COMPUTE_PGM_RSRC2:TGID_Y_EN: 0
; COMPUTE_PGM_RSRC2:TGID_Z_EN: 0
; COMPUTE_PGM_RSRC2:TIDIG_COMP_CNT: 0
	.section	.text._ZN7rocprim17ROCPRIM_400000_NS6detail17trampoline_kernelINS0_14default_configENS1_29reduce_by_key_config_selectorIxxN6thrust23THRUST_200600_302600_NS4plusIxEEEEZZNS1_33reduce_by_key_impl_wrapped_configILNS1_25lookback_scan_determinismE0ES3_S9_NS6_6detail15normal_iteratorINS6_10device_ptrIxEEEESG_SG_SG_PmS8_22is_equal_div_10_reduceIxEEE10hipError_tPvRmT2_T3_mT4_T5_T6_T7_T8_P12ihipStream_tbENKUlT_T0_E_clISt17integral_constantIbLb1EES10_IbLb0EEEEDaSW_SX_EUlSW_E_NS1_11comp_targetILNS1_3genE0ELNS1_11target_archE4294967295ELNS1_3gpuE0ELNS1_3repE0EEENS1_30default_config_static_selectorELNS0_4arch9wavefront6targetE0EEEvT1_,"axG",@progbits,_ZN7rocprim17ROCPRIM_400000_NS6detail17trampoline_kernelINS0_14default_configENS1_29reduce_by_key_config_selectorIxxN6thrust23THRUST_200600_302600_NS4plusIxEEEEZZNS1_33reduce_by_key_impl_wrapped_configILNS1_25lookback_scan_determinismE0ES3_S9_NS6_6detail15normal_iteratorINS6_10device_ptrIxEEEESG_SG_SG_PmS8_22is_equal_div_10_reduceIxEEE10hipError_tPvRmT2_T3_mT4_T5_T6_T7_T8_P12ihipStream_tbENKUlT_T0_E_clISt17integral_constantIbLb1EES10_IbLb0EEEEDaSW_SX_EUlSW_E_NS1_11comp_targetILNS1_3genE0ELNS1_11target_archE4294967295ELNS1_3gpuE0ELNS1_3repE0EEENS1_30default_config_static_selectorELNS0_4arch9wavefront6targetE0EEEvT1_,comdat
	.protected	_ZN7rocprim17ROCPRIM_400000_NS6detail17trampoline_kernelINS0_14default_configENS1_29reduce_by_key_config_selectorIxxN6thrust23THRUST_200600_302600_NS4plusIxEEEEZZNS1_33reduce_by_key_impl_wrapped_configILNS1_25lookback_scan_determinismE0ES3_S9_NS6_6detail15normal_iteratorINS6_10device_ptrIxEEEESG_SG_SG_PmS8_22is_equal_div_10_reduceIxEEE10hipError_tPvRmT2_T3_mT4_T5_T6_T7_T8_P12ihipStream_tbENKUlT_T0_E_clISt17integral_constantIbLb1EES10_IbLb0EEEEDaSW_SX_EUlSW_E_NS1_11comp_targetILNS1_3genE0ELNS1_11target_archE4294967295ELNS1_3gpuE0ELNS1_3repE0EEENS1_30default_config_static_selectorELNS0_4arch9wavefront6targetE0EEEvT1_ ; -- Begin function _ZN7rocprim17ROCPRIM_400000_NS6detail17trampoline_kernelINS0_14default_configENS1_29reduce_by_key_config_selectorIxxN6thrust23THRUST_200600_302600_NS4plusIxEEEEZZNS1_33reduce_by_key_impl_wrapped_configILNS1_25lookback_scan_determinismE0ES3_S9_NS6_6detail15normal_iteratorINS6_10device_ptrIxEEEESG_SG_SG_PmS8_22is_equal_div_10_reduceIxEEE10hipError_tPvRmT2_T3_mT4_T5_T6_T7_T8_P12ihipStream_tbENKUlT_T0_E_clISt17integral_constantIbLb1EES10_IbLb0EEEEDaSW_SX_EUlSW_E_NS1_11comp_targetILNS1_3genE0ELNS1_11target_archE4294967295ELNS1_3gpuE0ELNS1_3repE0EEENS1_30default_config_static_selectorELNS0_4arch9wavefront6targetE0EEEvT1_
	.globl	_ZN7rocprim17ROCPRIM_400000_NS6detail17trampoline_kernelINS0_14default_configENS1_29reduce_by_key_config_selectorIxxN6thrust23THRUST_200600_302600_NS4plusIxEEEEZZNS1_33reduce_by_key_impl_wrapped_configILNS1_25lookback_scan_determinismE0ES3_S9_NS6_6detail15normal_iteratorINS6_10device_ptrIxEEEESG_SG_SG_PmS8_22is_equal_div_10_reduceIxEEE10hipError_tPvRmT2_T3_mT4_T5_T6_T7_T8_P12ihipStream_tbENKUlT_T0_E_clISt17integral_constantIbLb1EES10_IbLb0EEEEDaSW_SX_EUlSW_E_NS1_11comp_targetILNS1_3genE0ELNS1_11target_archE4294967295ELNS1_3gpuE0ELNS1_3repE0EEENS1_30default_config_static_selectorELNS0_4arch9wavefront6targetE0EEEvT1_
	.p2align	8
	.type	_ZN7rocprim17ROCPRIM_400000_NS6detail17trampoline_kernelINS0_14default_configENS1_29reduce_by_key_config_selectorIxxN6thrust23THRUST_200600_302600_NS4plusIxEEEEZZNS1_33reduce_by_key_impl_wrapped_configILNS1_25lookback_scan_determinismE0ES3_S9_NS6_6detail15normal_iteratorINS6_10device_ptrIxEEEESG_SG_SG_PmS8_22is_equal_div_10_reduceIxEEE10hipError_tPvRmT2_T3_mT4_T5_T6_T7_T8_P12ihipStream_tbENKUlT_T0_E_clISt17integral_constantIbLb1EES10_IbLb0EEEEDaSW_SX_EUlSW_E_NS1_11comp_targetILNS1_3genE0ELNS1_11target_archE4294967295ELNS1_3gpuE0ELNS1_3repE0EEENS1_30default_config_static_selectorELNS0_4arch9wavefront6targetE0EEEvT1_,@function
_ZN7rocprim17ROCPRIM_400000_NS6detail17trampoline_kernelINS0_14default_configENS1_29reduce_by_key_config_selectorIxxN6thrust23THRUST_200600_302600_NS4plusIxEEEEZZNS1_33reduce_by_key_impl_wrapped_configILNS1_25lookback_scan_determinismE0ES3_S9_NS6_6detail15normal_iteratorINS6_10device_ptrIxEEEESG_SG_SG_PmS8_22is_equal_div_10_reduceIxEEE10hipError_tPvRmT2_T3_mT4_T5_T6_T7_T8_P12ihipStream_tbENKUlT_T0_E_clISt17integral_constantIbLb1EES10_IbLb0EEEEDaSW_SX_EUlSW_E_NS1_11comp_targetILNS1_3genE0ELNS1_11target_archE4294967295ELNS1_3gpuE0ELNS1_3repE0EEENS1_30default_config_static_selectorELNS0_4arch9wavefront6targetE0EEEvT1_: ; @_ZN7rocprim17ROCPRIM_400000_NS6detail17trampoline_kernelINS0_14default_configENS1_29reduce_by_key_config_selectorIxxN6thrust23THRUST_200600_302600_NS4plusIxEEEEZZNS1_33reduce_by_key_impl_wrapped_configILNS1_25lookback_scan_determinismE0ES3_S9_NS6_6detail15normal_iteratorINS6_10device_ptrIxEEEESG_SG_SG_PmS8_22is_equal_div_10_reduceIxEEE10hipError_tPvRmT2_T3_mT4_T5_T6_T7_T8_P12ihipStream_tbENKUlT_T0_E_clISt17integral_constantIbLb1EES10_IbLb0EEEEDaSW_SX_EUlSW_E_NS1_11comp_targetILNS1_3genE0ELNS1_11target_archE4294967295ELNS1_3gpuE0ELNS1_3repE0EEENS1_30default_config_static_selectorELNS0_4arch9wavefront6targetE0EEEvT1_
; %bb.0:
	.section	.rodata,"a",@progbits
	.p2align	6, 0x0
	.amdhsa_kernel _ZN7rocprim17ROCPRIM_400000_NS6detail17trampoline_kernelINS0_14default_configENS1_29reduce_by_key_config_selectorIxxN6thrust23THRUST_200600_302600_NS4plusIxEEEEZZNS1_33reduce_by_key_impl_wrapped_configILNS1_25lookback_scan_determinismE0ES3_S9_NS6_6detail15normal_iteratorINS6_10device_ptrIxEEEESG_SG_SG_PmS8_22is_equal_div_10_reduceIxEEE10hipError_tPvRmT2_T3_mT4_T5_T6_T7_T8_P12ihipStream_tbENKUlT_T0_E_clISt17integral_constantIbLb1EES10_IbLb0EEEEDaSW_SX_EUlSW_E_NS1_11comp_targetILNS1_3genE0ELNS1_11target_archE4294967295ELNS1_3gpuE0ELNS1_3repE0EEENS1_30default_config_static_selectorELNS0_4arch9wavefront6targetE0EEEvT1_
		.amdhsa_group_segment_fixed_size 0
		.amdhsa_private_segment_fixed_size 0
		.amdhsa_kernarg_size 136
		.amdhsa_user_sgpr_count 15
		.amdhsa_user_sgpr_dispatch_ptr 0
		.amdhsa_user_sgpr_queue_ptr 0
		.amdhsa_user_sgpr_kernarg_segment_ptr 1
		.amdhsa_user_sgpr_dispatch_id 0
		.amdhsa_user_sgpr_private_segment_size 0
		.amdhsa_wavefront_size32 1
		.amdhsa_uses_dynamic_stack 0
		.amdhsa_enable_private_segment 0
		.amdhsa_system_sgpr_workgroup_id_x 1
		.amdhsa_system_sgpr_workgroup_id_y 0
		.amdhsa_system_sgpr_workgroup_id_z 0
		.amdhsa_system_sgpr_workgroup_info 0
		.amdhsa_system_vgpr_workitem_id 0
		.amdhsa_next_free_vgpr 1
		.amdhsa_next_free_sgpr 1
		.amdhsa_reserve_vcc 0
		.amdhsa_float_round_mode_32 0
		.amdhsa_float_round_mode_16_64 0
		.amdhsa_float_denorm_mode_32 3
		.amdhsa_float_denorm_mode_16_64 3
		.amdhsa_dx10_clamp 1
		.amdhsa_ieee_mode 1
		.amdhsa_fp16_overflow 0
		.amdhsa_workgroup_processor_mode 1
		.amdhsa_memory_ordered 1
		.amdhsa_forward_progress 0
		.amdhsa_shared_vgpr_count 0
		.amdhsa_exception_fp_ieee_invalid_op 0
		.amdhsa_exception_fp_denorm_src 0
		.amdhsa_exception_fp_ieee_div_zero 0
		.amdhsa_exception_fp_ieee_overflow 0
		.amdhsa_exception_fp_ieee_underflow 0
		.amdhsa_exception_fp_ieee_inexact 0
		.amdhsa_exception_int_div_zero 0
	.end_amdhsa_kernel
	.section	.text._ZN7rocprim17ROCPRIM_400000_NS6detail17trampoline_kernelINS0_14default_configENS1_29reduce_by_key_config_selectorIxxN6thrust23THRUST_200600_302600_NS4plusIxEEEEZZNS1_33reduce_by_key_impl_wrapped_configILNS1_25lookback_scan_determinismE0ES3_S9_NS6_6detail15normal_iteratorINS6_10device_ptrIxEEEESG_SG_SG_PmS8_22is_equal_div_10_reduceIxEEE10hipError_tPvRmT2_T3_mT4_T5_T6_T7_T8_P12ihipStream_tbENKUlT_T0_E_clISt17integral_constantIbLb1EES10_IbLb0EEEEDaSW_SX_EUlSW_E_NS1_11comp_targetILNS1_3genE0ELNS1_11target_archE4294967295ELNS1_3gpuE0ELNS1_3repE0EEENS1_30default_config_static_selectorELNS0_4arch9wavefront6targetE0EEEvT1_,"axG",@progbits,_ZN7rocprim17ROCPRIM_400000_NS6detail17trampoline_kernelINS0_14default_configENS1_29reduce_by_key_config_selectorIxxN6thrust23THRUST_200600_302600_NS4plusIxEEEEZZNS1_33reduce_by_key_impl_wrapped_configILNS1_25lookback_scan_determinismE0ES3_S9_NS6_6detail15normal_iteratorINS6_10device_ptrIxEEEESG_SG_SG_PmS8_22is_equal_div_10_reduceIxEEE10hipError_tPvRmT2_T3_mT4_T5_T6_T7_T8_P12ihipStream_tbENKUlT_T0_E_clISt17integral_constantIbLb1EES10_IbLb0EEEEDaSW_SX_EUlSW_E_NS1_11comp_targetILNS1_3genE0ELNS1_11target_archE4294967295ELNS1_3gpuE0ELNS1_3repE0EEENS1_30default_config_static_selectorELNS0_4arch9wavefront6targetE0EEEvT1_,comdat
.Lfunc_end526:
	.size	_ZN7rocprim17ROCPRIM_400000_NS6detail17trampoline_kernelINS0_14default_configENS1_29reduce_by_key_config_selectorIxxN6thrust23THRUST_200600_302600_NS4plusIxEEEEZZNS1_33reduce_by_key_impl_wrapped_configILNS1_25lookback_scan_determinismE0ES3_S9_NS6_6detail15normal_iteratorINS6_10device_ptrIxEEEESG_SG_SG_PmS8_22is_equal_div_10_reduceIxEEE10hipError_tPvRmT2_T3_mT4_T5_T6_T7_T8_P12ihipStream_tbENKUlT_T0_E_clISt17integral_constantIbLb1EES10_IbLb0EEEEDaSW_SX_EUlSW_E_NS1_11comp_targetILNS1_3genE0ELNS1_11target_archE4294967295ELNS1_3gpuE0ELNS1_3repE0EEENS1_30default_config_static_selectorELNS0_4arch9wavefront6targetE0EEEvT1_, .Lfunc_end526-_ZN7rocprim17ROCPRIM_400000_NS6detail17trampoline_kernelINS0_14default_configENS1_29reduce_by_key_config_selectorIxxN6thrust23THRUST_200600_302600_NS4plusIxEEEEZZNS1_33reduce_by_key_impl_wrapped_configILNS1_25lookback_scan_determinismE0ES3_S9_NS6_6detail15normal_iteratorINS6_10device_ptrIxEEEESG_SG_SG_PmS8_22is_equal_div_10_reduceIxEEE10hipError_tPvRmT2_T3_mT4_T5_T6_T7_T8_P12ihipStream_tbENKUlT_T0_E_clISt17integral_constantIbLb1EES10_IbLb0EEEEDaSW_SX_EUlSW_E_NS1_11comp_targetILNS1_3genE0ELNS1_11target_archE4294967295ELNS1_3gpuE0ELNS1_3repE0EEENS1_30default_config_static_selectorELNS0_4arch9wavefront6targetE0EEEvT1_
                                        ; -- End function
	.section	.AMDGPU.csdata,"",@progbits
; Kernel info:
; codeLenInByte = 0
; NumSgprs: 0
; NumVgprs: 0
; ScratchSize: 0
; MemoryBound: 0
; FloatMode: 240
; IeeeMode: 1
; LDSByteSize: 0 bytes/workgroup (compile time only)
; SGPRBlocks: 0
; VGPRBlocks: 0
; NumSGPRsForWavesPerEU: 1
; NumVGPRsForWavesPerEU: 1
; Occupancy: 16
; WaveLimiterHint : 0
; COMPUTE_PGM_RSRC2:SCRATCH_EN: 0
; COMPUTE_PGM_RSRC2:USER_SGPR: 15
; COMPUTE_PGM_RSRC2:TRAP_HANDLER: 0
; COMPUTE_PGM_RSRC2:TGID_X_EN: 1
; COMPUTE_PGM_RSRC2:TGID_Y_EN: 0
; COMPUTE_PGM_RSRC2:TGID_Z_EN: 0
; COMPUTE_PGM_RSRC2:TIDIG_COMP_CNT: 0
	.section	.text._ZN7rocprim17ROCPRIM_400000_NS6detail17trampoline_kernelINS0_14default_configENS1_29reduce_by_key_config_selectorIxxN6thrust23THRUST_200600_302600_NS4plusIxEEEEZZNS1_33reduce_by_key_impl_wrapped_configILNS1_25lookback_scan_determinismE0ES3_S9_NS6_6detail15normal_iteratorINS6_10device_ptrIxEEEESG_SG_SG_PmS8_22is_equal_div_10_reduceIxEEE10hipError_tPvRmT2_T3_mT4_T5_T6_T7_T8_P12ihipStream_tbENKUlT_T0_E_clISt17integral_constantIbLb1EES10_IbLb0EEEEDaSW_SX_EUlSW_E_NS1_11comp_targetILNS1_3genE5ELNS1_11target_archE942ELNS1_3gpuE9ELNS1_3repE0EEENS1_30default_config_static_selectorELNS0_4arch9wavefront6targetE0EEEvT1_,"axG",@progbits,_ZN7rocprim17ROCPRIM_400000_NS6detail17trampoline_kernelINS0_14default_configENS1_29reduce_by_key_config_selectorIxxN6thrust23THRUST_200600_302600_NS4plusIxEEEEZZNS1_33reduce_by_key_impl_wrapped_configILNS1_25lookback_scan_determinismE0ES3_S9_NS6_6detail15normal_iteratorINS6_10device_ptrIxEEEESG_SG_SG_PmS8_22is_equal_div_10_reduceIxEEE10hipError_tPvRmT2_T3_mT4_T5_T6_T7_T8_P12ihipStream_tbENKUlT_T0_E_clISt17integral_constantIbLb1EES10_IbLb0EEEEDaSW_SX_EUlSW_E_NS1_11comp_targetILNS1_3genE5ELNS1_11target_archE942ELNS1_3gpuE9ELNS1_3repE0EEENS1_30default_config_static_selectorELNS0_4arch9wavefront6targetE0EEEvT1_,comdat
	.protected	_ZN7rocprim17ROCPRIM_400000_NS6detail17trampoline_kernelINS0_14default_configENS1_29reduce_by_key_config_selectorIxxN6thrust23THRUST_200600_302600_NS4plusIxEEEEZZNS1_33reduce_by_key_impl_wrapped_configILNS1_25lookback_scan_determinismE0ES3_S9_NS6_6detail15normal_iteratorINS6_10device_ptrIxEEEESG_SG_SG_PmS8_22is_equal_div_10_reduceIxEEE10hipError_tPvRmT2_T3_mT4_T5_T6_T7_T8_P12ihipStream_tbENKUlT_T0_E_clISt17integral_constantIbLb1EES10_IbLb0EEEEDaSW_SX_EUlSW_E_NS1_11comp_targetILNS1_3genE5ELNS1_11target_archE942ELNS1_3gpuE9ELNS1_3repE0EEENS1_30default_config_static_selectorELNS0_4arch9wavefront6targetE0EEEvT1_ ; -- Begin function _ZN7rocprim17ROCPRIM_400000_NS6detail17trampoline_kernelINS0_14default_configENS1_29reduce_by_key_config_selectorIxxN6thrust23THRUST_200600_302600_NS4plusIxEEEEZZNS1_33reduce_by_key_impl_wrapped_configILNS1_25lookback_scan_determinismE0ES3_S9_NS6_6detail15normal_iteratorINS6_10device_ptrIxEEEESG_SG_SG_PmS8_22is_equal_div_10_reduceIxEEE10hipError_tPvRmT2_T3_mT4_T5_T6_T7_T8_P12ihipStream_tbENKUlT_T0_E_clISt17integral_constantIbLb1EES10_IbLb0EEEEDaSW_SX_EUlSW_E_NS1_11comp_targetILNS1_3genE5ELNS1_11target_archE942ELNS1_3gpuE9ELNS1_3repE0EEENS1_30default_config_static_selectorELNS0_4arch9wavefront6targetE0EEEvT1_
	.globl	_ZN7rocprim17ROCPRIM_400000_NS6detail17trampoline_kernelINS0_14default_configENS1_29reduce_by_key_config_selectorIxxN6thrust23THRUST_200600_302600_NS4plusIxEEEEZZNS1_33reduce_by_key_impl_wrapped_configILNS1_25lookback_scan_determinismE0ES3_S9_NS6_6detail15normal_iteratorINS6_10device_ptrIxEEEESG_SG_SG_PmS8_22is_equal_div_10_reduceIxEEE10hipError_tPvRmT2_T3_mT4_T5_T6_T7_T8_P12ihipStream_tbENKUlT_T0_E_clISt17integral_constantIbLb1EES10_IbLb0EEEEDaSW_SX_EUlSW_E_NS1_11comp_targetILNS1_3genE5ELNS1_11target_archE942ELNS1_3gpuE9ELNS1_3repE0EEENS1_30default_config_static_selectorELNS0_4arch9wavefront6targetE0EEEvT1_
	.p2align	8
	.type	_ZN7rocprim17ROCPRIM_400000_NS6detail17trampoline_kernelINS0_14default_configENS1_29reduce_by_key_config_selectorIxxN6thrust23THRUST_200600_302600_NS4plusIxEEEEZZNS1_33reduce_by_key_impl_wrapped_configILNS1_25lookback_scan_determinismE0ES3_S9_NS6_6detail15normal_iteratorINS6_10device_ptrIxEEEESG_SG_SG_PmS8_22is_equal_div_10_reduceIxEEE10hipError_tPvRmT2_T3_mT4_T5_T6_T7_T8_P12ihipStream_tbENKUlT_T0_E_clISt17integral_constantIbLb1EES10_IbLb0EEEEDaSW_SX_EUlSW_E_NS1_11comp_targetILNS1_3genE5ELNS1_11target_archE942ELNS1_3gpuE9ELNS1_3repE0EEENS1_30default_config_static_selectorELNS0_4arch9wavefront6targetE0EEEvT1_,@function
_ZN7rocprim17ROCPRIM_400000_NS6detail17trampoline_kernelINS0_14default_configENS1_29reduce_by_key_config_selectorIxxN6thrust23THRUST_200600_302600_NS4plusIxEEEEZZNS1_33reduce_by_key_impl_wrapped_configILNS1_25lookback_scan_determinismE0ES3_S9_NS6_6detail15normal_iteratorINS6_10device_ptrIxEEEESG_SG_SG_PmS8_22is_equal_div_10_reduceIxEEE10hipError_tPvRmT2_T3_mT4_T5_T6_T7_T8_P12ihipStream_tbENKUlT_T0_E_clISt17integral_constantIbLb1EES10_IbLb0EEEEDaSW_SX_EUlSW_E_NS1_11comp_targetILNS1_3genE5ELNS1_11target_archE942ELNS1_3gpuE9ELNS1_3repE0EEENS1_30default_config_static_selectorELNS0_4arch9wavefront6targetE0EEEvT1_: ; @_ZN7rocprim17ROCPRIM_400000_NS6detail17trampoline_kernelINS0_14default_configENS1_29reduce_by_key_config_selectorIxxN6thrust23THRUST_200600_302600_NS4plusIxEEEEZZNS1_33reduce_by_key_impl_wrapped_configILNS1_25lookback_scan_determinismE0ES3_S9_NS6_6detail15normal_iteratorINS6_10device_ptrIxEEEESG_SG_SG_PmS8_22is_equal_div_10_reduceIxEEE10hipError_tPvRmT2_T3_mT4_T5_T6_T7_T8_P12ihipStream_tbENKUlT_T0_E_clISt17integral_constantIbLb1EES10_IbLb0EEEEDaSW_SX_EUlSW_E_NS1_11comp_targetILNS1_3genE5ELNS1_11target_archE942ELNS1_3gpuE9ELNS1_3repE0EEENS1_30default_config_static_selectorELNS0_4arch9wavefront6targetE0EEEvT1_
; %bb.0:
	.section	.rodata,"a",@progbits
	.p2align	6, 0x0
	.amdhsa_kernel _ZN7rocprim17ROCPRIM_400000_NS6detail17trampoline_kernelINS0_14default_configENS1_29reduce_by_key_config_selectorIxxN6thrust23THRUST_200600_302600_NS4plusIxEEEEZZNS1_33reduce_by_key_impl_wrapped_configILNS1_25lookback_scan_determinismE0ES3_S9_NS6_6detail15normal_iteratorINS6_10device_ptrIxEEEESG_SG_SG_PmS8_22is_equal_div_10_reduceIxEEE10hipError_tPvRmT2_T3_mT4_T5_T6_T7_T8_P12ihipStream_tbENKUlT_T0_E_clISt17integral_constantIbLb1EES10_IbLb0EEEEDaSW_SX_EUlSW_E_NS1_11comp_targetILNS1_3genE5ELNS1_11target_archE942ELNS1_3gpuE9ELNS1_3repE0EEENS1_30default_config_static_selectorELNS0_4arch9wavefront6targetE0EEEvT1_
		.amdhsa_group_segment_fixed_size 0
		.amdhsa_private_segment_fixed_size 0
		.amdhsa_kernarg_size 136
		.amdhsa_user_sgpr_count 15
		.amdhsa_user_sgpr_dispatch_ptr 0
		.amdhsa_user_sgpr_queue_ptr 0
		.amdhsa_user_sgpr_kernarg_segment_ptr 1
		.amdhsa_user_sgpr_dispatch_id 0
		.amdhsa_user_sgpr_private_segment_size 0
		.amdhsa_wavefront_size32 1
		.amdhsa_uses_dynamic_stack 0
		.amdhsa_enable_private_segment 0
		.amdhsa_system_sgpr_workgroup_id_x 1
		.amdhsa_system_sgpr_workgroup_id_y 0
		.amdhsa_system_sgpr_workgroup_id_z 0
		.amdhsa_system_sgpr_workgroup_info 0
		.amdhsa_system_vgpr_workitem_id 0
		.amdhsa_next_free_vgpr 1
		.amdhsa_next_free_sgpr 1
		.amdhsa_reserve_vcc 0
		.amdhsa_float_round_mode_32 0
		.amdhsa_float_round_mode_16_64 0
		.amdhsa_float_denorm_mode_32 3
		.amdhsa_float_denorm_mode_16_64 3
		.amdhsa_dx10_clamp 1
		.amdhsa_ieee_mode 1
		.amdhsa_fp16_overflow 0
		.amdhsa_workgroup_processor_mode 1
		.amdhsa_memory_ordered 1
		.amdhsa_forward_progress 0
		.amdhsa_shared_vgpr_count 0
		.amdhsa_exception_fp_ieee_invalid_op 0
		.amdhsa_exception_fp_denorm_src 0
		.amdhsa_exception_fp_ieee_div_zero 0
		.amdhsa_exception_fp_ieee_overflow 0
		.amdhsa_exception_fp_ieee_underflow 0
		.amdhsa_exception_fp_ieee_inexact 0
		.amdhsa_exception_int_div_zero 0
	.end_amdhsa_kernel
	.section	.text._ZN7rocprim17ROCPRIM_400000_NS6detail17trampoline_kernelINS0_14default_configENS1_29reduce_by_key_config_selectorIxxN6thrust23THRUST_200600_302600_NS4plusIxEEEEZZNS1_33reduce_by_key_impl_wrapped_configILNS1_25lookback_scan_determinismE0ES3_S9_NS6_6detail15normal_iteratorINS6_10device_ptrIxEEEESG_SG_SG_PmS8_22is_equal_div_10_reduceIxEEE10hipError_tPvRmT2_T3_mT4_T5_T6_T7_T8_P12ihipStream_tbENKUlT_T0_E_clISt17integral_constantIbLb1EES10_IbLb0EEEEDaSW_SX_EUlSW_E_NS1_11comp_targetILNS1_3genE5ELNS1_11target_archE942ELNS1_3gpuE9ELNS1_3repE0EEENS1_30default_config_static_selectorELNS0_4arch9wavefront6targetE0EEEvT1_,"axG",@progbits,_ZN7rocprim17ROCPRIM_400000_NS6detail17trampoline_kernelINS0_14default_configENS1_29reduce_by_key_config_selectorIxxN6thrust23THRUST_200600_302600_NS4plusIxEEEEZZNS1_33reduce_by_key_impl_wrapped_configILNS1_25lookback_scan_determinismE0ES3_S9_NS6_6detail15normal_iteratorINS6_10device_ptrIxEEEESG_SG_SG_PmS8_22is_equal_div_10_reduceIxEEE10hipError_tPvRmT2_T3_mT4_T5_T6_T7_T8_P12ihipStream_tbENKUlT_T0_E_clISt17integral_constantIbLb1EES10_IbLb0EEEEDaSW_SX_EUlSW_E_NS1_11comp_targetILNS1_3genE5ELNS1_11target_archE942ELNS1_3gpuE9ELNS1_3repE0EEENS1_30default_config_static_selectorELNS0_4arch9wavefront6targetE0EEEvT1_,comdat
.Lfunc_end527:
	.size	_ZN7rocprim17ROCPRIM_400000_NS6detail17trampoline_kernelINS0_14default_configENS1_29reduce_by_key_config_selectorIxxN6thrust23THRUST_200600_302600_NS4plusIxEEEEZZNS1_33reduce_by_key_impl_wrapped_configILNS1_25lookback_scan_determinismE0ES3_S9_NS6_6detail15normal_iteratorINS6_10device_ptrIxEEEESG_SG_SG_PmS8_22is_equal_div_10_reduceIxEEE10hipError_tPvRmT2_T3_mT4_T5_T6_T7_T8_P12ihipStream_tbENKUlT_T0_E_clISt17integral_constantIbLb1EES10_IbLb0EEEEDaSW_SX_EUlSW_E_NS1_11comp_targetILNS1_3genE5ELNS1_11target_archE942ELNS1_3gpuE9ELNS1_3repE0EEENS1_30default_config_static_selectorELNS0_4arch9wavefront6targetE0EEEvT1_, .Lfunc_end527-_ZN7rocprim17ROCPRIM_400000_NS6detail17trampoline_kernelINS0_14default_configENS1_29reduce_by_key_config_selectorIxxN6thrust23THRUST_200600_302600_NS4plusIxEEEEZZNS1_33reduce_by_key_impl_wrapped_configILNS1_25lookback_scan_determinismE0ES3_S9_NS6_6detail15normal_iteratorINS6_10device_ptrIxEEEESG_SG_SG_PmS8_22is_equal_div_10_reduceIxEEE10hipError_tPvRmT2_T3_mT4_T5_T6_T7_T8_P12ihipStream_tbENKUlT_T0_E_clISt17integral_constantIbLb1EES10_IbLb0EEEEDaSW_SX_EUlSW_E_NS1_11comp_targetILNS1_3genE5ELNS1_11target_archE942ELNS1_3gpuE9ELNS1_3repE0EEENS1_30default_config_static_selectorELNS0_4arch9wavefront6targetE0EEEvT1_
                                        ; -- End function
	.section	.AMDGPU.csdata,"",@progbits
; Kernel info:
; codeLenInByte = 0
; NumSgprs: 0
; NumVgprs: 0
; ScratchSize: 0
; MemoryBound: 0
; FloatMode: 240
; IeeeMode: 1
; LDSByteSize: 0 bytes/workgroup (compile time only)
; SGPRBlocks: 0
; VGPRBlocks: 0
; NumSGPRsForWavesPerEU: 1
; NumVGPRsForWavesPerEU: 1
; Occupancy: 16
; WaveLimiterHint : 0
; COMPUTE_PGM_RSRC2:SCRATCH_EN: 0
; COMPUTE_PGM_RSRC2:USER_SGPR: 15
; COMPUTE_PGM_RSRC2:TRAP_HANDLER: 0
; COMPUTE_PGM_RSRC2:TGID_X_EN: 1
; COMPUTE_PGM_RSRC2:TGID_Y_EN: 0
; COMPUTE_PGM_RSRC2:TGID_Z_EN: 0
; COMPUTE_PGM_RSRC2:TIDIG_COMP_CNT: 0
	.section	.text._ZN7rocprim17ROCPRIM_400000_NS6detail17trampoline_kernelINS0_14default_configENS1_29reduce_by_key_config_selectorIxxN6thrust23THRUST_200600_302600_NS4plusIxEEEEZZNS1_33reduce_by_key_impl_wrapped_configILNS1_25lookback_scan_determinismE0ES3_S9_NS6_6detail15normal_iteratorINS6_10device_ptrIxEEEESG_SG_SG_PmS8_22is_equal_div_10_reduceIxEEE10hipError_tPvRmT2_T3_mT4_T5_T6_T7_T8_P12ihipStream_tbENKUlT_T0_E_clISt17integral_constantIbLb1EES10_IbLb0EEEEDaSW_SX_EUlSW_E_NS1_11comp_targetILNS1_3genE4ELNS1_11target_archE910ELNS1_3gpuE8ELNS1_3repE0EEENS1_30default_config_static_selectorELNS0_4arch9wavefront6targetE0EEEvT1_,"axG",@progbits,_ZN7rocprim17ROCPRIM_400000_NS6detail17trampoline_kernelINS0_14default_configENS1_29reduce_by_key_config_selectorIxxN6thrust23THRUST_200600_302600_NS4plusIxEEEEZZNS1_33reduce_by_key_impl_wrapped_configILNS1_25lookback_scan_determinismE0ES3_S9_NS6_6detail15normal_iteratorINS6_10device_ptrIxEEEESG_SG_SG_PmS8_22is_equal_div_10_reduceIxEEE10hipError_tPvRmT2_T3_mT4_T5_T6_T7_T8_P12ihipStream_tbENKUlT_T0_E_clISt17integral_constantIbLb1EES10_IbLb0EEEEDaSW_SX_EUlSW_E_NS1_11comp_targetILNS1_3genE4ELNS1_11target_archE910ELNS1_3gpuE8ELNS1_3repE0EEENS1_30default_config_static_selectorELNS0_4arch9wavefront6targetE0EEEvT1_,comdat
	.protected	_ZN7rocprim17ROCPRIM_400000_NS6detail17trampoline_kernelINS0_14default_configENS1_29reduce_by_key_config_selectorIxxN6thrust23THRUST_200600_302600_NS4plusIxEEEEZZNS1_33reduce_by_key_impl_wrapped_configILNS1_25lookback_scan_determinismE0ES3_S9_NS6_6detail15normal_iteratorINS6_10device_ptrIxEEEESG_SG_SG_PmS8_22is_equal_div_10_reduceIxEEE10hipError_tPvRmT2_T3_mT4_T5_T6_T7_T8_P12ihipStream_tbENKUlT_T0_E_clISt17integral_constantIbLb1EES10_IbLb0EEEEDaSW_SX_EUlSW_E_NS1_11comp_targetILNS1_3genE4ELNS1_11target_archE910ELNS1_3gpuE8ELNS1_3repE0EEENS1_30default_config_static_selectorELNS0_4arch9wavefront6targetE0EEEvT1_ ; -- Begin function _ZN7rocprim17ROCPRIM_400000_NS6detail17trampoline_kernelINS0_14default_configENS1_29reduce_by_key_config_selectorIxxN6thrust23THRUST_200600_302600_NS4plusIxEEEEZZNS1_33reduce_by_key_impl_wrapped_configILNS1_25lookback_scan_determinismE0ES3_S9_NS6_6detail15normal_iteratorINS6_10device_ptrIxEEEESG_SG_SG_PmS8_22is_equal_div_10_reduceIxEEE10hipError_tPvRmT2_T3_mT4_T5_T6_T7_T8_P12ihipStream_tbENKUlT_T0_E_clISt17integral_constantIbLb1EES10_IbLb0EEEEDaSW_SX_EUlSW_E_NS1_11comp_targetILNS1_3genE4ELNS1_11target_archE910ELNS1_3gpuE8ELNS1_3repE0EEENS1_30default_config_static_selectorELNS0_4arch9wavefront6targetE0EEEvT1_
	.globl	_ZN7rocprim17ROCPRIM_400000_NS6detail17trampoline_kernelINS0_14default_configENS1_29reduce_by_key_config_selectorIxxN6thrust23THRUST_200600_302600_NS4plusIxEEEEZZNS1_33reduce_by_key_impl_wrapped_configILNS1_25lookback_scan_determinismE0ES3_S9_NS6_6detail15normal_iteratorINS6_10device_ptrIxEEEESG_SG_SG_PmS8_22is_equal_div_10_reduceIxEEE10hipError_tPvRmT2_T3_mT4_T5_T6_T7_T8_P12ihipStream_tbENKUlT_T0_E_clISt17integral_constantIbLb1EES10_IbLb0EEEEDaSW_SX_EUlSW_E_NS1_11comp_targetILNS1_3genE4ELNS1_11target_archE910ELNS1_3gpuE8ELNS1_3repE0EEENS1_30default_config_static_selectorELNS0_4arch9wavefront6targetE0EEEvT1_
	.p2align	8
	.type	_ZN7rocprim17ROCPRIM_400000_NS6detail17trampoline_kernelINS0_14default_configENS1_29reduce_by_key_config_selectorIxxN6thrust23THRUST_200600_302600_NS4plusIxEEEEZZNS1_33reduce_by_key_impl_wrapped_configILNS1_25lookback_scan_determinismE0ES3_S9_NS6_6detail15normal_iteratorINS6_10device_ptrIxEEEESG_SG_SG_PmS8_22is_equal_div_10_reduceIxEEE10hipError_tPvRmT2_T3_mT4_T5_T6_T7_T8_P12ihipStream_tbENKUlT_T0_E_clISt17integral_constantIbLb1EES10_IbLb0EEEEDaSW_SX_EUlSW_E_NS1_11comp_targetILNS1_3genE4ELNS1_11target_archE910ELNS1_3gpuE8ELNS1_3repE0EEENS1_30default_config_static_selectorELNS0_4arch9wavefront6targetE0EEEvT1_,@function
_ZN7rocprim17ROCPRIM_400000_NS6detail17trampoline_kernelINS0_14default_configENS1_29reduce_by_key_config_selectorIxxN6thrust23THRUST_200600_302600_NS4plusIxEEEEZZNS1_33reduce_by_key_impl_wrapped_configILNS1_25lookback_scan_determinismE0ES3_S9_NS6_6detail15normal_iteratorINS6_10device_ptrIxEEEESG_SG_SG_PmS8_22is_equal_div_10_reduceIxEEE10hipError_tPvRmT2_T3_mT4_T5_T6_T7_T8_P12ihipStream_tbENKUlT_T0_E_clISt17integral_constantIbLb1EES10_IbLb0EEEEDaSW_SX_EUlSW_E_NS1_11comp_targetILNS1_3genE4ELNS1_11target_archE910ELNS1_3gpuE8ELNS1_3repE0EEENS1_30default_config_static_selectorELNS0_4arch9wavefront6targetE0EEEvT1_: ; @_ZN7rocprim17ROCPRIM_400000_NS6detail17trampoline_kernelINS0_14default_configENS1_29reduce_by_key_config_selectorIxxN6thrust23THRUST_200600_302600_NS4plusIxEEEEZZNS1_33reduce_by_key_impl_wrapped_configILNS1_25lookback_scan_determinismE0ES3_S9_NS6_6detail15normal_iteratorINS6_10device_ptrIxEEEESG_SG_SG_PmS8_22is_equal_div_10_reduceIxEEE10hipError_tPvRmT2_T3_mT4_T5_T6_T7_T8_P12ihipStream_tbENKUlT_T0_E_clISt17integral_constantIbLb1EES10_IbLb0EEEEDaSW_SX_EUlSW_E_NS1_11comp_targetILNS1_3genE4ELNS1_11target_archE910ELNS1_3gpuE8ELNS1_3repE0EEENS1_30default_config_static_selectorELNS0_4arch9wavefront6targetE0EEEvT1_
; %bb.0:
	.section	.rodata,"a",@progbits
	.p2align	6, 0x0
	.amdhsa_kernel _ZN7rocprim17ROCPRIM_400000_NS6detail17trampoline_kernelINS0_14default_configENS1_29reduce_by_key_config_selectorIxxN6thrust23THRUST_200600_302600_NS4plusIxEEEEZZNS1_33reduce_by_key_impl_wrapped_configILNS1_25lookback_scan_determinismE0ES3_S9_NS6_6detail15normal_iteratorINS6_10device_ptrIxEEEESG_SG_SG_PmS8_22is_equal_div_10_reduceIxEEE10hipError_tPvRmT2_T3_mT4_T5_T6_T7_T8_P12ihipStream_tbENKUlT_T0_E_clISt17integral_constantIbLb1EES10_IbLb0EEEEDaSW_SX_EUlSW_E_NS1_11comp_targetILNS1_3genE4ELNS1_11target_archE910ELNS1_3gpuE8ELNS1_3repE0EEENS1_30default_config_static_selectorELNS0_4arch9wavefront6targetE0EEEvT1_
		.amdhsa_group_segment_fixed_size 0
		.amdhsa_private_segment_fixed_size 0
		.amdhsa_kernarg_size 136
		.amdhsa_user_sgpr_count 15
		.amdhsa_user_sgpr_dispatch_ptr 0
		.amdhsa_user_sgpr_queue_ptr 0
		.amdhsa_user_sgpr_kernarg_segment_ptr 1
		.amdhsa_user_sgpr_dispatch_id 0
		.amdhsa_user_sgpr_private_segment_size 0
		.amdhsa_wavefront_size32 1
		.amdhsa_uses_dynamic_stack 0
		.amdhsa_enable_private_segment 0
		.amdhsa_system_sgpr_workgroup_id_x 1
		.amdhsa_system_sgpr_workgroup_id_y 0
		.amdhsa_system_sgpr_workgroup_id_z 0
		.amdhsa_system_sgpr_workgroup_info 0
		.amdhsa_system_vgpr_workitem_id 0
		.amdhsa_next_free_vgpr 1
		.amdhsa_next_free_sgpr 1
		.amdhsa_reserve_vcc 0
		.amdhsa_float_round_mode_32 0
		.amdhsa_float_round_mode_16_64 0
		.amdhsa_float_denorm_mode_32 3
		.amdhsa_float_denorm_mode_16_64 3
		.amdhsa_dx10_clamp 1
		.amdhsa_ieee_mode 1
		.amdhsa_fp16_overflow 0
		.amdhsa_workgroup_processor_mode 1
		.amdhsa_memory_ordered 1
		.amdhsa_forward_progress 0
		.amdhsa_shared_vgpr_count 0
		.amdhsa_exception_fp_ieee_invalid_op 0
		.amdhsa_exception_fp_denorm_src 0
		.amdhsa_exception_fp_ieee_div_zero 0
		.amdhsa_exception_fp_ieee_overflow 0
		.amdhsa_exception_fp_ieee_underflow 0
		.amdhsa_exception_fp_ieee_inexact 0
		.amdhsa_exception_int_div_zero 0
	.end_amdhsa_kernel
	.section	.text._ZN7rocprim17ROCPRIM_400000_NS6detail17trampoline_kernelINS0_14default_configENS1_29reduce_by_key_config_selectorIxxN6thrust23THRUST_200600_302600_NS4plusIxEEEEZZNS1_33reduce_by_key_impl_wrapped_configILNS1_25lookback_scan_determinismE0ES3_S9_NS6_6detail15normal_iteratorINS6_10device_ptrIxEEEESG_SG_SG_PmS8_22is_equal_div_10_reduceIxEEE10hipError_tPvRmT2_T3_mT4_T5_T6_T7_T8_P12ihipStream_tbENKUlT_T0_E_clISt17integral_constantIbLb1EES10_IbLb0EEEEDaSW_SX_EUlSW_E_NS1_11comp_targetILNS1_3genE4ELNS1_11target_archE910ELNS1_3gpuE8ELNS1_3repE0EEENS1_30default_config_static_selectorELNS0_4arch9wavefront6targetE0EEEvT1_,"axG",@progbits,_ZN7rocprim17ROCPRIM_400000_NS6detail17trampoline_kernelINS0_14default_configENS1_29reduce_by_key_config_selectorIxxN6thrust23THRUST_200600_302600_NS4plusIxEEEEZZNS1_33reduce_by_key_impl_wrapped_configILNS1_25lookback_scan_determinismE0ES3_S9_NS6_6detail15normal_iteratorINS6_10device_ptrIxEEEESG_SG_SG_PmS8_22is_equal_div_10_reduceIxEEE10hipError_tPvRmT2_T3_mT4_T5_T6_T7_T8_P12ihipStream_tbENKUlT_T0_E_clISt17integral_constantIbLb1EES10_IbLb0EEEEDaSW_SX_EUlSW_E_NS1_11comp_targetILNS1_3genE4ELNS1_11target_archE910ELNS1_3gpuE8ELNS1_3repE0EEENS1_30default_config_static_selectorELNS0_4arch9wavefront6targetE0EEEvT1_,comdat
.Lfunc_end528:
	.size	_ZN7rocprim17ROCPRIM_400000_NS6detail17trampoline_kernelINS0_14default_configENS1_29reduce_by_key_config_selectorIxxN6thrust23THRUST_200600_302600_NS4plusIxEEEEZZNS1_33reduce_by_key_impl_wrapped_configILNS1_25lookback_scan_determinismE0ES3_S9_NS6_6detail15normal_iteratorINS6_10device_ptrIxEEEESG_SG_SG_PmS8_22is_equal_div_10_reduceIxEEE10hipError_tPvRmT2_T3_mT4_T5_T6_T7_T8_P12ihipStream_tbENKUlT_T0_E_clISt17integral_constantIbLb1EES10_IbLb0EEEEDaSW_SX_EUlSW_E_NS1_11comp_targetILNS1_3genE4ELNS1_11target_archE910ELNS1_3gpuE8ELNS1_3repE0EEENS1_30default_config_static_selectorELNS0_4arch9wavefront6targetE0EEEvT1_, .Lfunc_end528-_ZN7rocprim17ROCPRIM_400000_NS6detail17trampoline_kernelINS0_14default_configENS1_29reduce_by_key_config_selectorIxxN6thrust23THRUST_200600_302600_NS4plusIxEEEEZZNS1_33reduce_by_key_impl_wrapped_configILNS1_25lookback_scan_determinismE0ES3_S9_NS6_6detail15normal_iteratorINS6_10device_ptrIxEEEESG_SG_SG_PmS8_22is_equal_div_10_reduceIxEEE10hipError_tPvRmT2_T3_mT4_T5_T6_T7_T8_P12ihipStream_tbENKUlT_T0_E_clISt17integral_constantIbLb1EES10_IbLb0EEEEDaSW_SX_EUlSW_E_NS1_11comp_targetILNS1_3genE4ELNS1_11target_archE910ELNS1_3gpuE8ELNS1_3repE0EEENS1_30default_config_static_selectorELNS0_4arch9wavefront6targetE0EEEvT1_
                                        ; -- End function
	.section	.AMDGPU.csdata,"",@progbits
; Kernel info:
; codeLenInByte = 0
; NumSgprs: 0
; NumVgprs: 0
; ScratchSize: 0
; MemoryBound: 0
; FloatMode: 240
; IeeeMode: 1
; LDSByteSize: 0 bytes/workgroup (compile time only)
; SGPRBlocks: 0
; VGPRBlocks: 0
; NumSGPRsForWavesPerEU: 1
; NumVGPRsForWavesPerEU: 1
; Occupancy: 16
; WaveLimiterHint : 0
; COMPUTE_PGM_RSRC2:SCRATCH_EN: 0
; COMPUTE_PGM_RSRC2:USER_SGPR: 15
; COMPUTE_PGM_RSRC2:TRAP_HANDLER: 0
; COMPUTE_PGM_RSRC2:TGID_X_EN: 1
; COMPUTE_PGM_RSRC2:TGID_Y_EN: 0
; COMPUTE_PGM_RSRC2:TGID_Z_EN: 0
; COMPUTE_PGM_RSRC2:TIDIG_COMP_CNT: 0
	.section	.text._ZN7rocprim17ROCPRIM_400000_NS6detail17trampoline_kernelINS0_14default_configENS1_29reduce_by_key_config_selectorIxxN6thrust23THRUST_200600_302600_NS4plusIxEEEEZZNS1_33reduce_by_key_impl_wrapped_configILNS1_25lookback_scan_determinismE0ES3_S9_NS6_6detail15normal_iteratorINS6_10device_ptrIxEEEESG_SG_SG_PmS8_22is_equal_div_10_reduceIxEEE10hipError_tPvRmT2_T3_mT4_T5_T6_T7_T8_P12ihipStream_tbENKUlT_T0_E_clISt17integral_constantIbLb1EES10_IbLb0EEEEDaSW_SX_EUlSW_E_NS1_11comp_targetILNS1_3genE3ELNS1_11target_archE908ELNS1_3gpuE7ELNS1_3repE0EEENS1_30default_config_static_selectorELNS0_4arch9wavefront6targetE0EEEvT1_,"axG",@progbits,_ZN7rocprim17ROCPRIM_400000_NS6detail17trampoline_kernelINS0_14default_configENS1_29reduce_by_key_config_selectorIxxN6thrust23THRUST_200600_302600_NS4plusIxEEEEZZNS1_33reduce_by_key_impl_wrapped_configILNS1_25lookback_scan_determinismE0ES3_S9_NS6_6detail15normal_iteratorINS6_10device_ptrIxEEEESG_SG_SG_PmS8_22is_equal_div_10_reduceIxEEE10hipError_tPvRmT2_T3_mT4_T5_T6_T7_T8_P12ihipStream_tbENKUlT_T0_E_clISt17integral_constantIbLb1EES10_IbLb0EEEEDaSW_SX_EUlSW_E_NS1_11comp_targetILNS1_3genE3ELNS1_11target_archE908ELNS1_3gpuE7ELNS1_3repE0EEENS1_30default_config_static_selectorELNS0_4arch9wavefront6targetE0EEEvT1_,comdat
	.protected	_ZN7rocprim17ROCPRIM_400000_NS6detail17trampoline_kernelINS0_14default_configENS1_29reduce_by_key_config_selectorIxxN6thrust23THRUST_200600_302600_NS4plusIxEEEEZZNS1_33reduce_by_key_impl_wrapped_configILNS1_25lookback_scan_determinismE0ES3_S9_NS6_6detail15normal_iteratorINS6_10device_ptrIxEEEESG_SG_SG_PmS8_22is_equal_div_10_reduceIxEEE10hipError_tPvRmT2_T3_mT4_T5_T6_T7_T8_P12ihipStream_tbENKUlT_T0_E_clISt17integral_constantIbLb1EES10_IbLb0EEEEDaSW_SX_EUlSW_E_NS1_11comp_targetILNS1_3genE3ELNS1_11target_archE908ELNS1_3gpuE7ELNS1_3repE0EEENS1_30default_config_static_selectorELNS0_4arch9wavefront6targetE0EEEvT1_ ; -- Begin function _ZN7rocprim17ROCPRIM_400000_NS6detail17trampoline_kernelINS0_14default_configENS1_29reduce_by_key_config_selectorIxxN6thrust23THRUST_200600_302600_NS4plusIxEEEEZZNS1_33reduce_by_key_impl_wrapped_configILNS1_25lookback_scan_determinismE0ES3_S9_NS6_6detail15normal_iteratorINS6_10device_ptrIxEEEESG_SG_SG_PmS8_22is_equal_div_10_reduceIxEEE10hipError_tPvRmT2_T3_mT4_T5_T6_T7_T8_P12ihipStream_tbENKUlT_T0_E_clISt17integral_constantIbLb1EES10_IbLb0EEEEDaSW_SX_EUlSW_E_NS1_11comp_targetILNS1_3genE3ELNS1_11target_archE908ELNS1_3gpuE7ELNS1_3repE0EEENS1_30default_config_static_selectorELNS0_4arch9wavefront6targetE0EEEvT1_
	.globl	_ZN7rocprim17ROCPRIM_400000_NS6detail17trampoline_kernelINS0_14default_configENS1_29reduce_by_key_config_selectorIxxN6thrust23THRUST_200600_302600_NS4plusIxEEEEZZNS1_33reduce_by_key_impl_wrapped_configILNS1_25lookback_scan_determinismE0ES3_S9_NS6_6detail15normal_iteratorINS6_10device_ptrIxEEEESG_SG_SG_PmS8_22is_equal_div_10_reduceIxEEE10hipError_tPvRmT2_T3_mT4_T5_T6_T7_T8_P12ihipStream_tbENKUlT_T0_E_clISt17integral_constantIbLb1EES10_IbLb0EEEEDaSW_SX_EUlSW_E_NS1_11comp_targetILNS1_3genE3ELNS1_11target_archE908ELNS1_3gpuE7ELNS1_3repE0EEENS1_30default_config_static_selectorELNS0_4arch9wavefront6targetE0EEEvT1_
	.p2align	8
	.type	_ZN7rocprim17ROCPRIM_400000_NS6detail17trampoline_kernelINS0_14default_configENS1_29reduce_by_key_config_selectorIxxN6thrust23THRUST_200600_302600_NS4plusIxEEEEZZNS1_33reduce_by_key_impl_wrapped_configILNS1_25lookback_scan_determinismE0ES3_S9_NS6_6detail15normal_iteratorINS6_10device_ptrIxEEEESG_SG_SG_PmS8_22is_equal_div_10_reduceIxEEE10hipError_tPvRmT2_T3_mT4_T5_T6_T7_T8_P12ihipStream_tbENKUlT_T0_E_clISt17integral_constantIbLb1EES10_IbLb0EEEEDaSW_SX_EUlSW_E_NS1_11comp_targetILNS1_3genE3ELNS1_11target_archE908ELNS1_3gpuE7ELNS1_3repE0EEENS1_30default_config_static_selectorELNS0_4arch9wavefront6targetE0EEEvT1_,@function
_ZN7rocprim17ROCPRIM_400000_NS6detail17trampoline_kernelINS0_14default_configENS1_29reduce_by_key_config_selectorIxxN6thrust23THRUST_200600_302600_NS4plusIxEEEEZZNS1_33reduce_by_key_impl_wrapped_configILNS1_25lookback_scan_determinismE0ES3_S9_NS6_6detail15normal_iteratorINS6_10device_ptrIxEEEESG_SG_SG_PmS8_22is_equal_div_10_reduceIxEEE10hipError_tPvRmT2_T3_mT4_T5_T6_T7_T8_P12ihipStream_tbENKUlT_T0_E_clISt17integral_constantIbLb1EES10_IbLb0EEEEDaSW_SX_EUlSW_E_NS1_11comp_targetILNS1_3genE3ELNS1_11target_archE908ELNS1_3gpuE7ELNS1_3repE0EEENS1_30default_config_static_selectorELNS0_4arch9wavefront6targetE0EEEvT1_: ; @_ZN7rocprim17ROCPRIM_400000_NS6detail17trampoline_kernelINS0_14default_configENS1_29reduce_by_key_config_selectorIxxN6thrust23THRUST_200600_302600_NS4plusIxEEEEZZNS1_33reduce_by_key_impl_wrapped_configILNS1_25lookback_scan_determinismE0ES3_S9_NS6_6detail15normal_iteratorINS6_10device_ptrIxEEEESG_SG_SG_PmS8_22is_equal_div_10_reduceIxEEE10hipError_tPvRmT2_T3_mT4_T5_T6_T7_T8_P12ihipStream_tbENKUlT_T0_E_clISt17integral_constantIbLb1EES10_IbLb0EEEEDaSW_SX_EUlSW_E_NS1_11comp_targetILNS1_3genE3ELNS1_11target_archE908ELNS1_3gpuE7ELNS1_3repE0EEENS1_30default_config_static_selectorELNS0_4arch9wavefront6targetE0EEEvT1_
; %bb.0:
	.section	.rodata,"a",@progbits
	.p2align	6, 0x0
	.amdhsa_kernel _ZN7rocprim17ROCPRIM_400000_NS6detail17trampoline_kernelINS0_14default_configENS1_29reduce_by_key_config_selectorIxxN6thrust23THRUST_200600_302600_NS4plusIxEEEEZZNS1_33reduce_by_key_impl_wrapped_configILNS1_25lookback_scan_determinismE0ES3_S9_NS6_6detail15normal_iteratorINS6_10device_ptrIxEEEESG_SG_SG_PmS8_22is_equal_div_10_reduceIxEEE10hipError_tPvRmT2_T3_mT4_T5_T6_T7_T8_P12ihipStream_tbENKUlT_T0_E_clISt17integral_constantIbLb1EES10_IbLb0EEEEDaSW_SX_EUlSW_E_NS1_11comp_targetILNS1_3genE3ELNS1_11target_archE908ELNS1_3gpuE7ELNS1_3repE0EEENS1_30default_config_static_selectorELNS0_4arch9wavefront6targetE0EEEvT1_
		.amdhsa_group_segment_fixed_size 0
		.amdhsa_private_segment_fixed_size 0
		.amdhsa_kernarg_size 136
		.amdhsa_user_sgpr_count 15
		.amdhsa_user_sgpr_dispatch_ptr 0
		.amdhsa_user_sgpr_queue_ptr 0
		.amdhsa_user_sgpr_kernarg_segment_ptr 1
		.amdhsa_user_sgpr_dispatch_id 0
		.amdhsa_user_sgpr_private_segment_size 0
		.amdhsa_wavefront_size32 1
		.amdhsa_uses_dynamic_stack 0
		.amdhsa_enable_private_segment 0
		.amdhsa_system_sgpr_workgroup_id_x 1
		.amdhsa_system_sgpr_workgroup_id_y 0
		.amdhsa_system_sgpr_workgroup_id_z 0
		.amdhsa_system_sgpr_workgroup_info 0
		.amdhsa_system_vgpr_workitem_id 0
		.amdhsa_next_free_vgpr 1
		.amdhsa_next_free_sgpr 1
		.amdhsa_reserve_vcc 0
		.amdhsa_float_round_mode_32 0
		.amdhsa_float_round_mode_16_64 0
		.amdhsa_float_denorm_mode_32 3
		.amdhsa_float_denorm_mode_16_64 3
		.amdhsa_dx10_clamp 1
		.amdhsa_ieee_mode 1
		.amdhsa_fp16_overflow 0
		.amdhsa_workgroup_processor_mode 1
		.amdhsa_memory_ordered 1
		.amdhsa_forward_progress 0
		.amdhsa_shared_vgpr_count 0
		.amdhsa_exception_fp_ieee_invalid_op 0
		.amdhsa_exception_fp_denorm_src 0
		.amdhsa_exception_fp_ieee_div_zero 0
		.amdhsa_exception_fp_ieee_overflow 0
		.amdhsa_exception_fp_ieee_underflow 0
		.amdhsa_exception_fp_ieee_inexact 0
		.amdhsa_exception_int_div_zero 0
	.end_amdhsa_kernel
	.section	.text._ZN7rocprim17ROCPRIM_400000_NS6detail17trampoline_kernelINS0_14default_configENS1_29reduce_by_key_config_selectorIxxN6thrust23THRUST_200600_302600_NS4plusIxEEEEZZNS1_33reduce_by_key_impl_wrapped_configILNS1_25lookback_scan_determinismE0ES3_S9_NS6_6detail15normal_iteratorINS6_10device_ptrIxEEEESG_SG_SG_PmS8_22is_equal_div_10_reduceIxEEE10hipError_tPvRmT2_T3_mT4_T5_T6_T7_T8_P12ihipStream_tbENKUlT_T0_E_clISt17integral_constantIbLb1EES10_IbLb0EEEEDaSW_SX_EUlSW_E_NS1_11comp_targetILNS1_3genE3ELNS1_11target_archE908ELNS1_3gpuE7ELNS1_3repE0EEENS1_30default_config_static_selectorELNS0_4arch9wavefront6targetE0EEEvT1_,"axG",@progbits,_ZN7rocprim17ROCPRIM_400000_NS6detail17trampoline_kernelINS0_14default_configENS1_29reduce_by_key_config_selectorIxxN6thrust23THRUST_200600_302600_NS4plusIxEEEEZZNS1_33reduce_by_key_impl_wrapped_configILNS1_25lookback_scan_determinismE0ES3_S9_NS6_6detail15normal_iteratorINS6_10device_ptrIxEEEESG_SG_SG_PmS8_22is_equal_div_10_reduceIxEEE10hipError_tPvRmT2_T3_mT4_T5_T6_T7_T8_P12ihipStream_tbENKUlT_T0_E_clISt17integral_constantIbLb1EES10_IbLb0EEEEDaSW_SX_EUlSW_E_NS1_11comp_targetILNS1_3genE3ELNS1_11target_archE908ELNS1_3gpuE7ELNS1_3repE0EEENS1_30default_config_static_selectorELNS0_4arch9wavefront6targetE0EEEvT1_,comdat
.Lfunc_end529:
	.size	_ZN7rocprim17ROCPRIM_400000_NS6detail17trampoline_kernelINS0_14default_configENS1_29reduce_by_key_config_selectorIxxN6thrust23THRUST_200600_302600_NS4plusIxEEEEZZNS1_33reduce_by_key_impl_wrapped_configILNS1_25lookback_scan_determinismE0ES3_S9_NS6_6detail15normal_iteratorINS6_10device_ptrIxEEEESG_SG_SG_PmS8_22is_equal_div_10_reduceIxEEE10hipError_tPvRmT2_T3_mT4_T5_T6_T7_T8_P12ihipStream_tbENKUlT_T0_E_clISt17integral_constantIbLb1EES10_IbLb0EEEEDaSW_SX_EUlSW_E_NS1_11comp_targetILNS1_3genE3ELNS1_11target_archE908ELNS1_3gpuE7ELNS1_3repE0EEENS1_30default_config_static_selectorELNS0_4arch9wavefront6targetE0EEEvT1_, .Lfunc_end529-_ZN7rocprim17ROCPRIM_400000_NS6detail17trampoline_kernelINS0_14default_configENS1_29reduce_by_key_config_selectorIxxN6thrust23THRUST_200600_302600_NS4plusIxEEEEZZNS1_33reduce_by_key_impl_wrapped_configILNS1_25lookback_scan_determinismE0ES3_S9_NS6_6detail15normal_iteratorINS6_10device_ptrIxEEEESG_SG_SG_PmS8_22is_equal_div_10_reduceIxEEE10hipError_tPvRmT2_T3_mT4_T5_T6_T7_T8_P12ihipStream_tbENKUlT_T0_E_clISt17integral_constantIbLb1EES10_IbLb0EEEEDaSW_SX_EUlSW_E_NS1_11comp_targetILNS1_3genE3ELNS1_11target_archE908ELNS1_3gpuE7ELNS1_3repE0EEENS1_30default_config_static_selectorELNS0_4arch9wavefront6targetE0EEEvT1_
                                        ; -- End function
	.section	.AMDGPU.csdata,"",@progbits
; Kernel info:
; codeLenInByte = 0
; NumSgprs: 0
; NumVgprs: 0
; ScratchSize: 0
; MemoryBound: 0
; FloatMode: 240
; IeeeMode: 1
; LDSByteSize: 0 bytes/workgroup (compile time only)
; SGPRBlocks: 0
; VGPRBlocks: 0
; NumSGPRsForWavesPerEU: 1
; NumVGPRsForWavesPerEU: 1
; Occupancy: 16
; WaveLimiterHint : 0
; COMPUTE_PGM_RSRC2:SCRATCH_EN: 0
; COMPUTE_PGM_RSRC2:USER_SGPR: 15
; COMPUTE_PGM_RSRC2:TRAP_HANDLER: 0
; COMPUTE_PGM_RSRC2:TGID_X_EN: 1
; COMPUTE_PGM_RSRC2:TGID_Y_EN: 0
; COMPUTE_PGM_RSRC2:TGID_Z_EN: 0
; COMPUTE_PGM_RSRC2:TIDIG_COMP_CNT: 0
	.section	.text._ZN7rocprim17ROCPRIM_400000_NS6detail17trampoline_kernelINS0_14default_configENS1_29reduce_by_key_config_selectorIxxN6thrust23THRUST_200600_302600_NS4plusIxEEEEZZNS1_33reduce_by_key_impl_wrapped_configILNS1_25lookback_scan_determinismE0ES3_S9_NS6_6detail15normal_iteratorINS6_10device_ptrIxEEEESG_SG_SG_PmS8_22is_equal_div_10_reduceIxEEE10hipError_tPvRmT2_T3_mT4_T5_T6_T7_T8_P12ihipStream_tbENKUlT_T0_E_clISt17integral_constantIbLb1EES10_IbLb0EEEEDaSW_SX_EUlSW_E_NS1_11comp_targetILNS1_3genE2ELNS1_11target_archE906ELNS1_3gpuE6ELNS1_3repE0EEENS1_30default_config_static_selectorELNS0_4arch9wavefront6targetE0EEEvT1_,"axG",@progbits,_ZN7rocprim17ROCPRIM_400000_NS6detail17trampoline_kernelINS0_14default_configENS1_29reduce_by_key_config_selectorIxxN6thrust23THRUST_200600_302600_NS4plusIxEEEEZZNS1_33reduce_by_key_impl_wrapped_configILNS1_25lookback_scan_determinismE0ES3_S9_NS6_6detail15normal_iteratorINS6_10device_ptrIxEEEESG_SG_SG_PmS8_22is_equal_div_10_reduceIxEEE10hipError_tPvRmT2_T3_mT4_T5_T6_T7_T8_P12ihipStream_tbENKUlT_T0_E_clISt17integral_constantIbLb1EES10_IbLb0EEEEDaSW_SX_EUlSW_E_NS1_11comp_targetILNS1_3genE2ELNS1_11target_archE906ELNS1_3gpuE6ELNS1_3repE0EEENS1_30default_config_static_selectorELNS0_4arch9wavefront6targetE0EEEvT1_,comdat
	.protected	_ZN7rocprim17ROCPRIM_400000_NS6detail17trampoline_kernelINS0_14default_configENS1_29reduce_by_key_config_selectorIxxN6thrust23THRUST_200600_302600_NS4plusIxEEEEZZNS1_33reduce_by_key_impl_wrapped_configILNS1_25lookback_scan_determinismE0ES3_S9_NS6_6detail15normal_iteratorINS6_10device_ptrIxEEEESG_SG_SG_PmS8_22is_equal_div_10_reduceIxEEE10hipError_tPvRmT2_T3_mT4_T5_T6_T7_T8_P12ihipStream_tbENKUlT_T0_E_clISt17integral_constantIbLb1EES10_IbLb0EEEEDaSW_SX_EUlSW_E_NS1_11comp_targetILNS1_3genE2ELNS1_11target_archE906ELNS1_3gpuE6ELNS1_3repE0EEENS1_30default_config_static_selectorELNS0_4arch9wavefront6targetE0EEEvT1_ ; -- Begin function _ZN7rocprim17ROCPRIM_400000_NS6detail17trampoline_kernelINS0_14default_configENS1_29reduce_by_key_config_selectorIxxN6thrust23THRUST_200600_302600_NS4plusIxEEEEZZNS1_33reduce_by_key_impl_wrapped_configILNS1_25lookback_scan_determinismE0ES3_S9_NS6_6detail15normal_iteratorINS6_10device_ptrIxEEEESG_SG_SG_PmS8_22is_equal_div_10_reduceIxEEE10hipError_tPvRmT2_T3_mT4_T5_T6_T7_T8_P12ihipStream_tbENKUlT_T0_E_clISt17integral_constantIbLb1EES10_IbLb0EEEEDaSW_SX_EUlSW_E_NS1_11comp_targetILNS1_3genE2ELNS1_11target_archE906ELNS1_3gpuE6ELNS1_3repE0EEENS1_30default_config_static_selectorELNS0_4arch9wavefront6targetE0EEEvT1_
	.globl	_ZN7rocprim17ROCPRIM_400000_NS6detail17trampoline_kernelINS0_14default_configENS1_29reduce_by_key_config_selectorIxxN6thrust23THRUST_200600_302600_NS4plusIxEEEEZZNS1_33reduce_by_key_impl_wrapped_configILNS1_25lookback_scan_determinismE0ES3_S9_NS6_6detail15normal_iteratorINS6_10device_ptrIxEEEESG_SG_SG_PmS8_22is_equal_div_10_reduceIxEEE10hipError_tPvRmT2_T3_mT4_T5_T6_T7_T8_P12ihipStream_tbENKUlT_T0_E_clISt17integral_constantIbLb1EES10_IbLb0EEEEDaSW_SX_EUlSW_E_NS1_11comp_targetILNS1_3genE2ELNS1_11target_archE906ELNS1_3gpuE6ELNS1_3repE0EEENS1_30default_config_static_selectorELNS0_4arch9wavefront6targetE0EEEvT1_
	.p2align	8
	.type	_ZN7rocprim17ROCPRIM_400000_NS6detail17trampoline_kernelINS0_14default_configENS1_29reduce_by_key_config_selectorIxxN6thrust23THRUST_200600_302600_NS4plusIxEEEEZZNS1_33reduce_by_key_impl_wrapped_configILNS1_25lookback_scan_determinismE0ES3_S9_NS6_6detail15normal_iteratorINS6_10device_ptrIxEEEESG_SG_SG_PmS8_22is_equal_div_10_reduceIxEEE10hipError_tPvRmT2_T3_mT4_T5_T6_T7_T8_P12ihipStream_tbENKUlT_T0_E_clISt17integral_constantIbLb1EES10_IbLb0EEEEDaSW_SX_EUlSW_E_NS1_11comp_targetILNS1_3genE2ELNS1_11target_archE906ELNS1_3gpuE6ELNS1_3repE0EEENS1_30default_config_static_selectorELNS0_4arch9wavefront6targetE0EEEvT1_,@function
_ZN7rocprim17ROCPRIM_400000_NS6detail17trampoline_kernelINS0_14default_configENS1_29reduce_by_key_config_selectorIxxN6thrust23THRUST_200600_302600_NS4plusIxEEEEZZNS1_33reduce_by_key_impl_wrapped_configILNS1_25lookback_scan_determinismE0ES3_S9_NS6_6detail15normal_iteratorINS6_10device_ptrIxEEEESG_SG_SG_PmS8_22is_equal_div_10_reduceIxEEE10hipError_tPvRmT2_T3_mT4_T5_T6_T7_T8_P12ihipStream_tbENKUlT_T0_E_clISt17integral_constantIbLb1EES10_IbLb0EEEEDaSW_SX_EUlSW_E_NS1_11comp_targetILNS1_3genE2ELNS1_11target_archE906ELNS1_3gpuE6ELNS1_3repE0EEENS1_30default_config_static_selectorELNS0_4arch9wavefront6targetE0EEEvT1_: ; @_ZN7rocprim17ROCPRIM_400000_NS6detail17trampoline_kernelINS0_14default_configENS1_29reduce_by_key_config_selectorIxxN6thrust23THRUST_200600_302600_NS4plusIxEEEEZZNS1_33reduce_by_key_impl_wrapped_configILNS1_25lookback_scan_determinismE0ES3_S9_NS6_6detail15normal_iteratorINS6_10device_ptrIxEEEESG_SG_SG_PmS8_22is_equal_div_10_reduceIxEEE10hipError_tPvRmT2_T3_mT4_T5_T6_T7_T8_P12ihipStream_tbENKUlT_T0_E_clISt17integral_constantIbLb1EES10_IbLb0EEEEDaSW_SX_EUlSW_E_NS1_11comp_targetILNS1_3genE2ELNS1_11target_archE906ELNS1_3gpuE6ELNS1_3repE0EEENS1_30default_config_static_selectorELNS0_4arch9wavefront6targetE0EEEvT1_
; %bb.0:
	.section	.rodata,"a",@progbits
	.p2align	6, 0x0
	.amdhsa_kernel _ZN7rocprim17ROCPRIM_400000_NS6detail17trampoline_kernelINS0_14default_configENS1_29reduce_by_key_config_selectorIxxN6thrust23THRUST_200600_302600_NS4plusIxEEEEZZNS1_33reduce_by_key_impl_wrapped_configILNS1_25lookback_scan_determinismE0ES3_S9_NS6_6detail15normal_iteratorINS6_10device_ptrIxEEEESG_SG_SG_PmS8_22is_equal_div_10_reduceIxEEE10hipError_tPvRmT2_T3_mT4_T5_T6_T7_T8_P12ihipStream_tbENKUlT_T0_E_clISt17integral_constantIbLb1EES10_IbLb0EEEEDaSW_SX_EUlSW_E_NS1_11comp_targetILNS1_3genE2ELNS1_11target_archE906ELNS1_3gpuE6ELNS1_3repE0EEENS1_30default_config_static_selectorELNS0_4arch9wavefront6targetE0EEEvT1_
		.amdhsa_group_segment_fixed_size 0
		.amdhsa_private_segment_fixed_size 0
		.amdhsa_kernarg_size 136
		.amdhsa_user_sgpr_count 15
		.amdhsa_user_sgpr_dispatch_ptr 0
		.amdhsa_user_sgpr_queue_ptr 0
		.amdhsa_user_sgpr_kernarg_segment_ptr 1
		.amdhsa_user_sgpr_dispatch_id 0
		.amdhsa_user_sgpr_private_segment_size 0
		.amdhsa_wavefront_size32 1
		.amdhsa_uses_dynamic_stack 0
		.amdhsa_enable_private_segment 0
		.amdhsa_system_sgpr_workgroup_id_x 1
		.amdhsa_system_sgpr_workgroup_id_y 0
		.amdhsa_system_sgpr_workgroup_id_z 0
		.amdhsa_system_sgpr_workgroup_info 0
		.amdhsa_system_vgpr_workitem_id 0
		.amdhsa_next_free_vgpr 1
		.amdhsa_next_free_sgpr 1
		.amdhsa_reserve_vcc 0
		.amdhsa_float_round_mode_32 0
		.amdhsa_float_round_mode_16_64 0
		.amdhsa_float_denorm_mode_32 3
		.amdhsa_float_denorm_mode_16_64 3
		.amdhsa_dx10_clamp 1
		.amdhsa_ieee_mode 1
		.amdhsa_fp16_overflow 0
		.amdhsa_workgroup_processor_mode 1
		.amdhsa_memory_ordered 1
		.amdhsa_forward_progress 0
		.amdhsa_shared_vgpr_count 0
		.amdhsa_exception_fp_ieee_invalid_op 0
		.amdhsa_exception_fp_denorm_src 0
		.amdhsa_exception_fp_ieee_div_zero 0
		.amdhsa_exception_fp_ieee_overflow 0
		.amdhsa_exception_fp_ieee_underflow 0
		.amdhsa_exception_fp_ieee_inexact 0
		.amdhsa_exception_int_div_zero 0
	.end_amdhsa_kernel
	.section	.text._ZN7rocprim17ROCPRIM_400000_NS6detail17trampoline_kernelINS0_14default_configENS1_29reduce_by_key_config_selectorIxxN6thrust23THRUST_200600_302600_NS4plusIxEEEEZZNS1_33reduce_by_key_impl_wrapped_configILNS1_25lookback_scan_determinismE0ES3_S9_NS6_6detail15normal_iteratorINS6_10device_ptrIxEEEESG_SG_SG_PmS8_22is_equal_div_10_reduceIxEEE10hipError_tPvRmT2_T3_mT4_T5_T6_T7_T8_P12ihipStream_tbENKUlT_T0_E_clISt17integral_constantIbLb1EES10_IbLb0EEEEDaSW_SX_EUlSW_E_NS1_11comp_targetILNS1_3genE2ELNS1_11target_archE906ELNS1_3gpuE6ELNS1_3repE0EEENS1_30default_config_static_selectorELNS0_4arch9wavefront6targetE0EEEvT1_,"axG",@progbits,_ZN7rocprim17ROCPRIM_400000_NS6detail17trampoline_kernelINS0_14default_configENS1_29reduce_by_key_config_selectorIxxN6thrust23THRUST_200600_302600_NS4plusIxEEEEZZNS1_33reduce_by_key_impl_wrapped_configILNS1_25lookback_scan_determinismE0ES3_S9_NS6_6detail15normal_iteratorINS6_10device_ptrIxEEEESG_SG_SG_PmS8_22is_equal_div_10_reduceIxEEE10hipError_tPvRmT2_T3_mT4_T5_T6_T7_T8_P12ihipStream_tbENKUlT_T0_E_clISt17integral_constantIbLb1EES10_IbLb0EEEEDaSW_SX_EUlSW_E_NS1_11comp_targetILNS1_3genE2ELNS1_11target_archE906ELNS1_3gpuE6ELNS1_3repE0EEENS1_30default_config_static_selectorELNS0_4arch9wavefront6targetE0EEEvT1_,comdat
.Lfunc_end530:
	.size	_ZN7rocprim17ROCPRIM_400000_NS6detail17trampoline_kernelINS0_14default_configENS1_29reduce_by_key_config_selectorIxxN6thrust23THRUST_200600_302600_NS4plusIxEEEEZZNS1_33reduce_by_key_impl_wrapped_configILNS1_25lookback_scan_determinismE0ES3_S9_NS6_6detail15normal_iteratorINS6_10device_ptrIxEEEESG_SG_SG_PmS8_22is_equal_div_10_reduceIxEEE10hipError_tPvRmT2_T3_mT4_T5_T6_T7_T8_P12ihipStream_tbENKUlT_T0_E_clISt17integral_constantIbLb1EES10_IbLb0EEEEDaSW_SX_EUlSW_E_NS1_11comp_targetILNS1_3genE2ELNS1_11target_archE906ELNS1_3gpuE6ELNS1_3repE0EEENS1_30default_config_static_selectorELNS0_4arch9wavefront6targetE0EEEvT1_, .Lfunc_end530-_ZN7rocprim17ROCPRIM_400000_NS6detail17trampoline_kernelINS0_14default_configENS1_29reduce_by_key_config_selectorIxxN6thrust23THRUST_200600_302600_NS4plusIxEEEEZZNS1_33reduce_by_key_impl_wrapped_configILNS1_25lookback_scan_determinismE0ES3_S9_NS6_6detail15normal_iteratorINS6_10device_ptrIxEEEESG_SG_SG_PmS8_22is_equal_div_10_reduceIxEEE10hipError_tPvRmT2_T3_mT4_T5_T6_T7_T8_P12ihipStream_tbENKUlT_T0_E_clISt17integral_constantIbLb1EES10_IbLb0EEEEDaSW_SX_EUlSW_E_NS1_11comp_targetILNS1_3genE2ELNS1_11target_archE906ELNS1_3gpuE6ELNS1_3repE0EEENS1_30default_config_static_selectorELNS0_4arch9wavefront6targetE0EEEvT1_
                                        ; -- End function
	.section	.AMDGPU.csdata,"",@progbits
; Kernel info:
; codeLenInByte = 0
; NumSgprs: 0
; NumVgprs: 0
; ScratchSize: 0
; MemoryBound: 0
; FloatMode: 240
; IeeeMode: 1
; LDSByteSize: 0 bytes/workgroup (compile time only)
; SGPRBlocks: 0
; VGPRBlocks: 0
; NumSGPRsForWavesPerEU: 1
; NumVGPRsForWavesPerEU: 1
; Occupancy: 16
; WaveLimiterHint : 0
; COMPUTE_PGM_RSRC2:SCRATCH_EN: 0
; COMPUTE_PGM_RSRC2:USER_SGPR: 15
; COMPUTE_PGM_RSRC2:TRAP_HANDLER: 0
; COMPUTE_PGM_RSRC2:TGID_X_EN: 1
; COMPUTE_PGM_RSRC2:TGID_Y_EN: 0
; COMPUTE_PGM_RSRC2:TGID_Z_EN: 0
; COMPUTE_PGM_RSRC2:TIDIG_COMP_CNT: 0
	.section	.text._ZN7rocprim17ROCPRIM_400000_NS6detail17trampoline_kernelINS0_14default_configENS1_29reduce_by_key_config_selectorIxxN6thrust23THRUST_200600_302600_NS4plusIxEEEEZZNS1_33reduce_by_key_impl_wrapped_configILNS1_25lookback_scan_determinismE0ES3_S9_NS6_6detail15normal_iteratorINS6_10device_ptrIxEEEESG_SG_SG_PmS8_22is_equal_div_10_reduceIxEEE10hipError_tPvRmT2_T3_mT4_T5_T6_T7_T8_P12ihipStream_tbENKUlT_T0_E_clISt17integral_constantIbLb1EES10_IbLb0EEEEDaSW_SX_EUlSW_E_NS1_11comp_targetILNS1_3genE10ELNS1_11target_archE1201ELNS1_3gpuE5ELNS1_3repE0EEENS1_30default_config_static_selectorELNS0_4arch9wavefront6targetE0EEEvT1_,"axG",@progbits,_ZN7rocprim17ROCPRIM_400000_NS6detail17trampoline_kernelINS0_14default_configENS1_29reduce_by_key_config_selectorIxxN6thrust23THRUST_200600_302600_NS4plusIxEEEEZZNS1_33reduce_by_key_impl_wrapped_configILNS1_25lookback_scan_determinismE0ES3_S9_NS6_6detail15normal_iteratorINS6_10device_ptrIxEEEESG_SG_SG_PmS8_22is_equal_div_10_reduceIxEEE10hipError_tPvRmT2_T3_mT4_T5_T6_T7_T8_P12ihipStream_tbENKUlT_T0_E_clISt17integral_constantIbLb1EES10_IbLb0EEEEDaSW_SX_EUlSW_E_NS1_11comp_targetILNS1_3genE10ELNS1_11target_archE1201ELNS1_3gpuE5ELNS1_3repE0EEENS1_30default_config_static_selectorELNS0_4arch9wavefront6targetE0EEEvT1_,comdat
	.protected	_ZN7rocprim17ROCPRIM_400000_NS6detail17trampoline_kernelINS0_14default_configENS1_29reduce_by_key_config_selectorIxxN6thrust23THRUST_200600_302600_NS4plusIxEEEEZZNS1_33reduce_by_key_impl_wrapped_configILNS1_25lookback_scan_determinismE0ES3_S9_NS6_6detail15normal_iteratorINS6_10device_ptrIxEEEESG_SG_SG_PmS8_22is_equal_div_10_reduceIxEEE10hipError_tPvRmT2_T3_mT4_T5_T6_T7_T8_P12ihipStream_tbENKUlT_T0_E_clISt17integral_constantIbLb1EES10_IbLb0EEEEDaSW_SX_EUlSW_E_NS1_11comp_targetILNS1_3genE10ELNS1_11target_archE1201ELNS1_3gpuE5ELNS1_3repE0EEENS1_30default_config_static_selectorELNS0_4arch9wavefront6targetE0EEEvT1_ ; -- Begin function _ZN7rocprim17ROCPRIM_400000_NS6detail17trampoline_kernelINS0_14default_configENS1_29reduce_by_key_config_selectorIxxN6thrust23THRUST_200600_302600_NS4plusIxEEEEZZNS1_33reduce_by_key_impl_wrapped_configILNS1_25lookback_scan_determinismE0ES3_S9_NS6_6detail15normal_iteratorINS6_10device_ptrIxEEEESG_SG_SG_PmS8_22is_equal_div_10_reduceIxEEE10hipError_tPvRmT2_T3_mT4_T5_T6_T7_T8_P12ihipStream_tbENKUlT_T0_E_clISt17integral_constantIbLb1EES10_IbLb0EEEEDaSW_SX_EUlSW_E_NS1_11comp_targetILNS1_3genE10ELNS1_11target_archE1201ELNS1_3gpuE5ELNS1_3repE0EEENS1_30default_config_static_selectorELNS0_4arch9wavefront6targetE0EEEvT1_
	.globl	_ZN7rocprim17ROCPRIM_400000_NS6detail17trampoline_kernelINS0_14default_configENS1_29reduce_by_key_config_selectorIxxN6thrust23THRUST_200600_302600_NS4plusIxEEEEZZNS1_33reduce_by_key_impl_wrapped_configILNS1_25lookback_scan_determinismE0ES3_S9_NS6_6detail15normal_iteratorINS6_10device_ptrIxEEEESG_SG_SG_PmS8_22is_equal_div_10_reduceIxEEE10hipError_tPvRmT2_T3_mT4_T5_T6_T7_T8_P12ihipStream_tbENKUlT_T0_E_clISt17integral_constantIbLb1EES10_IbLb0EEEEDaSW_SX_EUlSW_E_NS1_11comp_targetILNS1_3genE10ELNS1_11target_archE1201ELNS1_3gpuE5ELNS1_3repE0EEENS1_30default_config_static_selectorELNS0_4arch9wavefront6targetE0EEEvT1_
	.p2align	8
	.type	_ZN7rocprim17ROCPRIM_400000_NS6detail17trampoline_kernelINS0_14default_configENS1_29reduce_by_key_config_selectorIxxN6thrust23THRUST_200600_302600_NS4plusIxEEEEZZNS1_33reduce_by_key_impl_wrapped_configILNS1_25lookback_scan_determinismE0ES3_S9_NS6_6detail15normal_iteratorINS6_10device_ptrIxEEEESG_SG_SG_PmS8_22is_equal_div_10_reduceIxEEE10hipError_tPvRmT2_T3_mT4_T5_T6_T7_T8_P12ihipStream_tbENKUlT_T0_E_clISt17integral_constantIbLb1EES10_IbLb0EEEEDaSW_SX_EUlSW_E_NS1_11comp_targetILNS1_3genE10ELNS1_11target_archE1201ELNS1_3gpuE5ELNS1_3repE0EEENS1_30default_config_static_selectorELNS0_4arch9wavefront6targetE0EEEvT1_,@function
_ZN7rocprim17ROCPRIM_400000_NS6detail17trampoline_kernelINS0_14default_configENS1_29reduce_by_key_config_selectorIxxN6thrust23THRUST_200600_302600_NS4plusIxEEEEZZNS1_33reduce_by_key_impl_wrapped_configILNS1_25lookback_scan_determinismE0ES3_S9_NS6_6detail15normal_iteratorINS6_10device_ptrIxEEEESG_SG_SG_PmS8_22is_equal_div_10_reduceIxEEE10hipError_tPvRmT2_T3_mT4_T5_T6_T7_T8_P12ihipStream_tbENKUlT_T0_E_clISt17integral_constantIbLb1EES10_IbLb0EEEEDaSW_SX_EUlSW_E_NS1_11comp_targetILNS1_3genE10ELNS1_11target_archE1201ELNS1_3gpuE5ELNS1_3repE0EEENS1_30default_config_static_selectorELNS0_4arch9wavefront6targetE0EEEvT1_: ; @_ZN7rocprim17ROCPRIM_400000_NS6detail17trampoline_kernelINS0_14default_configENS1_29reduce_by_key_config_selectorIxxN6thrust23THRUST_200600_302600_NS4plusIxEEEEZZNS1_33reduce_by_key_impl_wrapped_configILNS1_25lookback_scan_determinismE0ES3_S9_NS6_6detail15normal_iteratorINS6_10device_ptrIxEEEESG_SG_SG_PmS8_22is_equal_div_10_reduceIxEEE10hipError_tPvRmT2_T3_mT4_T5_T6_T7_T8_P12ihipStream_tbENKUlT_T0_E_clISt17integral_constantIbLb1EES10_IbLb0EEEEDaSW_SX_EUlSW_E_NS1_11comp_targetILNS1_3genE10ELNS1_11target_archE1201ELNS1_3gpuE5ELNS1_3repE0EEENS1_30default_config_static_selectorELNS0_4arch9wavefront6targetE0EEEvT1_
; %bb.0:
	.section	.rodata,"a",@progbits
	.p2align	6, 0x0
	.amdhsa_kernel _ZN7rocprim17ROCPRIM_400000_NS6detail17trampoline_kernelINS0_14default_configENS1_29reduce_by_key_config_selectorIxxN6thrust23THRUST_200600_302600_NS4plusIxEEEEZZNS1_33reduce_by_key_impl_wrapped_configILNS1_25lookback_scan_determinismE0ES3_S9_NS6_6detail15normal_iteratorINS6_10device_ptrIxEEEESG_SG_SG_PmS8_22is_equal_div_10_reduceIxEEE10hipError_tPvRmT2_T3_mT4_T5_T6_T7_T8_P12ihipStream_tbENKUlT_T0_E_clISt17integral_constantIbLb1EES10_IbLb0EEEEDaSW_SX_EUlSW_E_NS1_11comp_targetILNS1_3genE10ELNS1_11target_archE1201ELNS1_3gpuE5ELNS1_3repE0EEENS1_30default_config_static_selectorELNS0_4arch9wavefront6targetE0EEEvT1_
		.amdhsa_group_segment_fixed_size 0
		.amdhsa_private_segment_fixed_size 0
		.amdhsa_kernarg_size 136
		.amdhsa_user_sgpr_count 15
		.amdhsa_user_sgpr_dispatch_ptr 0
		.amdhsa_user_sgpr_queue_ptr 0
		.amdhsa_user_sgpr_kernarg_segment_ptr 1
		.amdhsa_user_sgpr_dispatch_id 0
		.amdhsa_user_sgpr_private_segment_size 0
		.amdhsa_wavefront_size32 1
		.amdhsa_uses_dynamic_stack 0
		.amdhsa_enable_private_segment 0
		.amdhsa_system_sgpr_workgroup_id_x 1
		.amdhsa_system_sgpr_workgroup_id_y 0
		.amdhsa_system_sgpr_workgroup_id_z 0
		.amdhsa_system_sgpr_workgroup_info 0
		.amdhsa_system_vgpr_workitem_id 0
		.amdhsa_next_free_vgpr 1
		.amdhsa_next_free_sgpr 1
		.amdhsa_reserve_vcc 0
		.amdhsa_float_round_mode_32 0
		.amdhsa_float_round_mode_16_64 0
		.amdhsa_float_denorm_mode_32 3
		.amdhsa_float_denorm_mode_16_64 3
		.amdhsa_dx10_clamp 1
		.amdhsa_ieee_mode 1
		.amdhsa_fp16_overflow 0
		.amdhsa_workgroup_processor_mode 1
		.amdhsa_memory_ordered 1
		.amdhsa_forward_progress 0
		.amdhsa_shared_vgpr_count 0
		.amdhsa_exception_fp_ieee_invalid_op 0
		.amdhsa_exception_fp_denorm_src 0
		.amdhsa_exception_fp_ieee_div_zero 0
		.amdhsa_exception_fp_ieee_overflow 0
		.amdhsa_exception_fp_ieee_underflow 0
		.amdhsa_exception_fp_ieee_inexact 0
		.amdhsa_exception_int_div_zero 0
	.end_amdhsa_kernel
	.section	.text._ZN7rocprim17ROCPRIM_400000_NS6detail17trampoline_kernelINS0_14default_configENS1_29reduce_by_key_config_selectorIxxN6thrust23THRUST_200600_302600_NS4plusIxEEEEZZNS1_33reduce_by_key_impl_wrapped_configILNS1_25lookback_scan_determinismE0ES3_S9_NS6_6detail15normal_iteratorINS6_10device_ptrIxEEEESG_SG_SG_PmS8_22is_equal_div_10_reduceIxEEE10hipError_tPvRmT2_T3_mT4_T5_T6_T7_T8_P12ihipStream_tbENKUlT_T0_E_clISt17integral_constantIbLb1EES10_IbLb0EEEEDaSW_SX_EUlSW_E_NS1_11comp_targetILNS1_3genE10ELNS1_11target_archE1201ELNS1_3gpuE5ELNS1_3repE0EEENS1_30default_config_static_selectorELNS0_4arch9wavefront6targetE0EEEvT1_,"axG",@progbits,_ZN7rocprim17ROCPRIM_400000_NS6detail17trampoline_kernelINS0_14default_configENS1_29reduce_by_key_config_selectorIxxN6thrust23THRUST_200600_302600_NS4plusIxEEEEZZNS1_33reduce_by_key_impl_wrapped_configILNS1_25lookback_scan_determinismE0ES3_S9_NS6_6detail15normal_iteratorINS6_10device_ptrIxEEEESG_SG_SG_PmS8_22is_equal_div_10_reduceIxEEE10hipError_tPvRmT2_T3_mT4_T5_T6_T7_T8_P12ihipStream_tbENKUlT_T0_E_clISt17integral_constantIbLb1EES10_IbLb0EEEEDaSW_SX_EUlSW_E_NS1_11comp_targetILNS1_3genE10ELNS1_11target_archE1201ELNS1_3gpuE5ELNS1_3repE0EEENS1_30default_config_static_selectorELNS0_4arch9wavefront6targetE0EEEvT1_,comdat
.Lfunc_end531:
	.size	_ZN7rocprim17ROCPRIM_400000_NS6detail17trampoline_kernelINS0_14default_configENS1_29reduce_by_key_config_selectorIxxN6thrust23THRUST_200600_302600_NS4plusIxEEEEZZNS1_33reduce_by_key_impl_wrapped_configILNS1_25lookback_scan_determinismE0ES3_S9_NS6_6detail15normal_iteratorINS6_10device_ptrIxEEEESG_SG_SG_PmS8_22is_equal_div_10_reduceIxEEE10hipError_tPvRmT2_T3_mT4_T5_T6_T7_T8_P12ihipStream_tbENKUlT_T0_E_clISt17integral_constantIbLb1EES10_IbLb0EEEEDaSW_SX_EUlSW_E_NS1_11comp_targetILNS1_3genE10ELNS1_11target_archE1201ELNS1_3gpuE5ELNS1_3repE0EEENS1_30default_config_static_selectorELNS0_4arch9wavefront6targetE0EEEvT1_, .Lfunc_end531-_ZN7rocprim17ROCPRIM_400000_NS6detail17trampoline_kernelINS0_14default_configENS1_29reduce_by_key_config_selectorIxxN6thrust23THRUST_200600_302600_NS4plusIxEEEEZZNS1_33reduce_by_key_impl_wrapped_configILNS1_25lookback_scan_determinismE0ES3_S9_NS6_6detail15normal_iteratorINS6_10device_ptrIxEEEESG_SG_SG_PmS8_22is_equal_div_10_reduceIxEEE10hipError_tPvRmT2_T3_mT4_T5_T6_T7_T8_P12ihipStream_tbENKUlT_T0_E_clISt17integral_constantIbLb1EES10_IbLb0EEEEDaSW_SX_EUlSW_E_NS1_11comp_targetILNS1_3genE10ELNS1_11target_archE1201ELNS1_3gpuE5ELNS1_3repE0EEENS1_30default_config_static_selectorELNS0_4arch9wavefront6targetE0EEEvT1_
                                        ; -- End function
	.section	.AMDGPU.csdata,"",@progbits
; Kernel info:
; codeLenInByte = 0
; NumSgprs: 0
; NumVgprs: 0
; ScratchSize: 0
; MemoryBound: 0
; FloatMode: 240
; IeeeMode: 1
; LDSByteSize: 0 bytes/workgroup (compile time only)
; SGPRBlocks: 0
; VGPRBlocks: 0
; NumSGPRsForWavesPerEU: 1
; NumVGPRsForWavesPerEU: 1
; Occupancy: 16
; WaveLimiterHint : 0
; COMPUTE_PGM_RSRC2:SCRATCH_EN: 0
; COMPUTE_PGM_RSRC2:USER_SGPR: 15
; COMPUTE_PGM_RSRC2:TRAP_HANDLER: 0
; COMPUTE_PGM_RSRC2:TGID_X_EN: 1
; COMPUTE_PGM_RSRC2:TGID_Y_EN: 0
; COMPUTE_PGM_RSRC2:TGID_Z_EN: 0
; COMPUTE_PGM_RSRC2:TIDIG_COMP_CNT: 0
	.section	.text._ZN7rocprim17ROCPRIM_400000_NS6detail17trampoline_kernelINS0_14default_configENS1_29reduce_by_key_config_selectorIxxN6thrust23THRUST_200600_302600_NS4plusIxEEEEZZNS1_33reduce_by_key_impl_wrapped_configILNS1_25lookback_scan_determinismE0ES3_S9_NS6_6detail15normal_iteratorINS6_10device_ptrIxEEEESG_SG_SG_PmS8_22is_equal_div_10_reduceIxEEE10hipError_tPvRmT2_T3_mT4_T5_T6_T7_T8_P12ihipStream_tbENKUlT_T0_E_clISt17integral_constantIbLb1EES10_IbLb0EEEEDaSW_SX_EUlSW_E_NS1_11comp_targetILNS1_3genE10ELNS1_11target_archE1200ELNS1_3gpuE4ELNS1_3repE0EEENS1_30default_config_static_selectorELNS0_4arch9wavefront6targetE0EEEvT1_,"axG",@progbits,_ZN7rocprim17ROCPRIM_400000_NS6detail17trampoline_kernelINS0_14default_configENS1_29reduce_by_key_config_selectorIxxN6thrust23THRUST_200600_302600_NS4plusIxEEEEZZNS1_33reduce_by_key_impl_wrapped_configILNS1_25lookback_scan_determinismE0ES3_S9_NS6_6detail15normal_iteratorINS6_10device_ptrIxEEEESG_SG_SG_PmS8_22is_equal_div_10_reduceIxEEE10hipError_tPvRmT2_T3_mT4_T5_T6_T7_T8_P12ihipStream_tbENKUlT_T0_E_clISt17integral_constantIbLb1EES10_IbLb0EEEEDaSW_SX_EUlSW_E_NS1_11comp_targetILNS1_3genE10ELNS1_11target_archE1200ELNS1_3gpuE4ELNS1_3repE0EEENS1_30default_config_static_selectorELNS0_4arch9wavefront6targetE0EEEvT1_,comdat
	.protected	_ZN7rocprim17ROCPRIM_400000_NS6detail17trampoline_kernelINS0_14default_configENS1_29reduce_by_key_config_selectorIxxN6thrust23THRUST_200600_302600_NS4plusIxEEEEZZNS1_33reduce_by_key_impl_wrapped_configILNS1_25lookback_scan_determinismE0ES3_S9_NS6_6detail15normal_iteratorINS6_10device_ptrIxEEEESG_SG_SG_PmS8_22is_equal_div_10_reduceIxEEE10hipError_tPvRmT2_T3_mT4_T5_T6_T7_T8_P12ihipStream_tbENKUlT_T0_E_clISt17integral_constantIbLb1EES10_IbLb0EEEEDaSW_SX_EUlSW_E_NS1_11comp_targetILNS1_3genE10ELNS1_11target_archE1200ELNS1_3gpuE4ELNS1_3repE0EEENS1_30default_config_static_selectorELNS0_4arch9wavefront6targetE0EEEvT1_ ; -- Begin function _ZN7rocprim17ROCPRIM_400000_NS6detail17trampoline_kernelINS0_14default_configENS1_29reduce_by_key_config_selectorIxxN6thrust23THRUST_200600_302600_NS4plusIxEEEEZZNS1_33reduce_by_key_impl_wrapped_configILNS1_25lookback_scan_determinismE0ES3_S9_NS6_6detail15normal_iteratorINS6_10device_ptrIxEEEESG_SG_SG_PmS8_22is_equal_div_10_reduceIxEEE10hipError_tPvRmT2_T3_mT4_T5_T6_T7_T8_P12ihipStream_tbENKUlT_T0_E_clISt17integral_constantIbLb1EES10_IbLb0EEEEDaSW_SX_EUlSW_E_NS1_11comp_targetILNS1_3genE10ELNS1_11target_archE1200ELNS1_3gpuE4ELNS1_3repE0EEENS1_30default_config_static_selectorELNS0_4arch9wavefront6targetE0EEEvT1_
	.globl	_ZN7rocprim17ROCPRIM_400000_NS6detail17trampoline_kernelINS0_14default_configENS1_29reduce_by_key_config_selectorIxxN6thrust23THRUST_200600_302600_NS4plusIxEEEEZZNS1_33reduce_by_key_impl_wrapped_configILNS1_25lookback_scan_determinismE0ES3_S9_NS6_6detail15normal_iteratorINS6_10device_ptrIxEEEESG_SG_SG_PmS8_22is_equal_div_10_reduceIxEEE10hipError_tPvRmT2_T3_mT4_T5_T6_T7_T8_P12ihipStream_tbENKUlT_T0_E_clISt17integral_constantIbLb1EES10_IbLb0EEEEDaSW_SX_EUlSW_E_NS1_11comp_targetILNS1_3genE10ELNS1_11target_archE1200ELNS1_3gpuE4ELNS1_3repE0EEENS1_30default_config_static_selectorELNS0_4arch9wavefront6targetE0EEEvT1_
	.p2align	8
	.type	_ZN7rocprim17ROCPRIM_400000_NS6detail17trampoline_kernelINS0_14default_configENS1_29reduce_by_key_config_selectorIxxN6thrust23THRUST_200600_302600_NS4plusIxEEEEZZNS1_33reduce_by_key_impl_wrapped_configILNS1_25lookback_scan_determinismE0ES3_S9_NS6_6detail15normal_iteratorINS6_10device_ptrIxEEEESG_SG_SG_PmS8_22is_equal_div_10_reduceIxEEE10hipError_tPvRmT2_T3_mT4_T5_T6_T7_T8_P12ihipStream_tbENKUlT_T0_E_clISt17integral_constantIbLb1EES10_IbLb0EEEEDaSW_SX_EUlSW_E_NS1_11comp_targetILNS1_3genE10ELNS1_11target_archE1200ELNS1_3gpuE4ELNS1_3repE0EEENS1_30default_config_static_selectorELNS0_4arch9wavefront6targetE0EEEvT1_,@function
_ZN7rocprim17ROCPRIM_400000_NS6detail17trampoline_kernelINS0_14default_configENS1_29reduce_by_key_config_selectorIxxN6thrust23THRUST_200600_302600_NS4plusIxEEEEZZNS1_33reduce_by_key_impl_wrapped_configILNS1_25lookback_scan_determinismE0ES3_S9_NS6_6detail15normal_iteratorINS6_10device_ptrIxEEEESG_SG_SG_PmS8_22is_equal_div_10_reduceIxEEE10hipError_tPvRmT2_T3_mT4_T5_T6_T7_T8_P12ihipStream_tbENKUlT_T0_E_clISt17integral_constantIbLb1EES10_IbLb0EEEEDaSW_SX_EUlSW_E_NS1_11comp_targetILNS1_3genE10ELNS1_11target_archE1200ELNS1_3gpuE4ELNS1_3repE0EEENS1_30default_config_static_selectorELNS0_4arch9wavefront6targetE0EEEvT1_: ; @_ZN7rocprim17ROCPRIM_400000_NS6detail17trampoline_kernelINS0_14default_configENS1_29reduce_by_key_config_selectorIxxN6thrust23THRUST_200600_302600_NS4plusIxEEEEZZNS1_33reduce_by_key_impl_wrapped_configILNS1_25lookback_scan_determinismE0ES3_S9_NS6_6detail15normal_iteratorINS6_10device_ptrIxEEEESG_SG_SG_PmS8_22is_equal_div_10_reduceIxEEE10hipError_tPvRmT2_T3_mT4_T5_T6_T7_T8_P12ihipStream_tbENKUlT_T0_E_clISt17integral_constantIbLb1EES10_IbLb0EEEEDaSW_SX_EUlSW_E_NS1_11comp_targetILNS1_3genE10ELNS1_11target_archE1200ELNS1_3gpuE4ELNS1_3repE0EEENS1_30default_config_static_selectorELNS0_4arch9wavefront6targetE0EEEvT1_
; %bb.0:
	.section	.rodata,"a",@progbits
	.p2align	6, 0x0
	.amdhsa_kernel _ZN7rocprim17ROCPRIM_400000_NS6detail17trampoline_kernelINS0_14default_configENS1_29reduce_by_key_config_selectorIxxN6thrust23THRUST_200600_302600_NS4plusIxEEEEZZNS1_33reduce_by_key_impl_wrapped_configILNS1_25lookback_scan_determinismE0ES3_S9_NS6_6detail15normal_iteratorINS6_10device_ptrIxEEEESG_SG_SG_PmS8_22is_equal_div_10_reduceIxEEE10hipError_tPvRmT2_T3_mT4_T5_T6_T7_T8_P12ihipStream_tbENKUlT_T0_E_clISt17integral_constantIbLb1EES10_IbLb0EEEEDaSW_SX_EUlSW_E_NS1_11comp_targetILNS1_3genE10ELNS1_11target_archE1200ELNS1_3gpuE4ELNS1_3repE0EEENS1_30default_config_static_selectorELNS0_4arch9wavefront6targetE0EEEvT1_
		.amdhsa_group_segment_fixed_size 0
		.amdhsa_private_segment_fixed_size 0
		.amdhsa_kernarg_size 136
		.amdhsa_user_sgpr_count 15
		.amdhsa_user_sgpr_dispatch_ptr 0
		.amdhsa_user_sgpr_queue_ptr 0
		.amdhsa_user_sgpr_kernarg_segment_ptr 1
		.amdhsa_user_sgpr_dispatch_id 0
		.amdhsa_user_sgpr_private_segment_size 0
		.amdhsa_wavefront_size32 1
		.amdhsa_uses_dynamic_stack 0
		.amdhsa_enable_private_segment 0
		.amdhsa_system_sgpr_workgroup_id_x 1
		.amdhsa_system_sgpr_workgroup_id_y 0
		.amdhsa_system_sgpr_workgroup_id_z 0
		.amdhsa_system_sgpr_workgroup_info 0
		.amdhsa_system_vgpr_workitem_id 0
		.amdhsa_next_free_vgpr 1
		.amdhsa_next_free_sgpr 1
		.amdhsa_reserve_vcc 0
		.amdhsa_float_round_mode_32 0
		.amdhsa_float_round_mode_16_64 0
		.amdhsa_float_denorm_mode_32 3
		.amdhsa_float_denorm_mode_16_64 3
		.amdhsa_dx10_clamp 1
		.amdhsa_ieee_mode 1
		.amdhsa_fp16_overflow 0
		.amdhsa_workgroup_processor_mode 1
		.amdhsa_memory_ordered 1
		.amdhsa_forward_progress 0
		.amdhsa_shared_vgpr_count 0
		.amdhsa_exception_fp_ieee_invalid_op 0
		.amdhsa_exception_fp_denorm_src 0
		.amdhsa_exception_fp_ieee_div_zero 0
		.amdhsa_exception_fp_ieee_overflow 0
		.amdhsa_exception_fp_ieee_underflow 0
		.amdhsa_exception_fp_ieee_inexact 0
		.amdhsa_exception_int_div_zero 0
	.end_amdhsa_kernel
	.section	.text._ZN7rocprim17ROCPRIM_400000_NS6detail17trampoline_kernelINS0_14default_configENS1_29reduce_by_key_config_selectorIxxN6thrust23THRUST_200600_302600_NS4plusIxEEEEZZNS1_33reduce_by_key_impl_wrapped_configILNS1_25lookback_scan_determinismE0ES3_S9_NS6_6detail15normal_iteratorINS6_10device_ptrIxEEEESG_SG_SG_PmS8_22is_equal_div_10_reduceIxEEE10hipError_tPvRmT2_T3_mT4_T5_T6_T7_T8_P12ihipStream_tbENKUlT_T0_E_clISt17integral_constantIbLb1EES10_IbLb0EEEEDaSW_SX_EUlSW_E_NS1_11comp_targetILNS1_3genE10ELNS1_11target_archE1200ELNS1_3gpuE4ELNS1_3repE0EEENS1_30default_config_static_selectorELNS0_4arch9wavefront6targetE0EEEvT1_,"axG",@progbits,_ZN7rocprim17ROCPRIM_400000_NS6detail17trampoline_kernelINS0_14default_configENS1_29reduce_by_key_config_selectorIxxN6thrust23THRUST_200600_302600_NS4plusIxEEEEZZNS1_33reduce_by_key_impl_wrapped_configILNS1_25lookback_scan_determinismE0ES3_S9_NS6_6detail15normal_iteratorINS6_10device_ptrIxEEEESG_SG_SG_PmS8_22is_equal_div_10_reduceIxEEE10hipError_tPvRmT2_T3_mT4_T5_T6_T7_T8_P12ihipStream_tbENKUlT_T0_E_clISt17integral_constantIbLb1EES10_IbLb0EEEEDaSW_SX_EUlSW_E_NS1_11comp_targetILNS1_3genE10ELNS1_11target_archE1200ELNS1_3gpuE4ELNS1_3repE0EEENS1_30default_config_static_selectorELNS0_4arch9wavefront6targetE0EEEvT1_,comdat
.Lfunc_end532:
	.size	_ZN7rocprim17ROCPRIM_400000_NS6detail17trampoline_kernelINS0_14default_configENS1_29reduce_by_key_config_selectorIxxN6thrust23THRUST_200600_302600_NS4plusIxEEEEZZNS1_33reduce_by_key_impl_wrapped_configILNS1_25lookback_scan_determinismE0ES3_S9_NS6_6detail15normal_iteratorINS6_10device_ptrIxEEEESG_SG_SG_PmS8_22is_equal_div_10_reduceIxEEE10hipError_tPvRmT2_T3_mT4_T5_T6_T7_T8_P12ihipStream_tbENKUlT_T0_E_clISt17integral_constantIbLb1EES10_IbLb0EEEEDaSW_SX_EUlSW_E_NS1_11comp_targetILNS1_3genE10ELNS1_11target_archE1200ELNS1_3gpuE4ELNS1_3repE0EEENS1_30default_config_static_selectorELNS0_4arch9wavefront6targetE0EEEvT1_, .Lfunc_end532-_ZN7rocprim17ROCPRIM_400000_NS6detail17trampoline_kernelINS0_14default_configENS1_29reduce_by_key_config_selectorIxxN6thrust23THRUST_200600_302600_NS4plusIxEEEEZZNS1_33reduce_by_key_impl_wrapped_configILNS1_25lookback_scan_determinismE0ES3_S9_NS6_6detail15normal_iteratorINS6_10device_ptrIxEEEESG_SG_SG_PmS8_22is_equal_div_10_reduceIxEEE10hipError_tPvRmT2_T3_mT4_T5_T6_T7_T8_P12ihipStream_tbENKUlT_T0_E_clISt17integral_constantIbLb1EES10_IbLb0EEEEDaSW_SX_EUlSW_E_NS1_11comp_targetILNS1_3genE10ELNS1_11target_archE1200ELNS1_3gpuE4ELNS1_3repE0EEENS1_30default_config_static_selectorELNS0_4arch9wavefront6targetE0EEEvT1_
                                        ; -- End function
	.section	.AMDGPU.csdata,"",@progbits
; Kernel info:
; codeLenInByte = 0
; NumSgprs: 0
; NumVgprs: 0
; ScratchSize: 0
; MemoryBound: 0
; FloatMode: 240
; IeeeMode: 1
; LDSByteSize: 0 bytes/workgroup (compile time only)
; SGPRBlocks: 0
; VGPRBlocks: 0
; NumSGPRsForWavesPerEU: 1
; NumVGPRsForWavesPerEU: 1
; Occupancy: 16
; WaveLimiterHint : 0
; COMPUTE_PGM_RSRC2:SCRATCH_EN: 0
; COMPUTE_PGM_RSRC2:USER_SGPR: 15
; COMPUTE_PGM_RSRC2:TRAP_HANDLER: 0
; COMPUTE_PGM_RSRC2:TGID_X_EN: 1
; COMPUTE_PGM_RSRC2:TGID_Y_EN: 0
; COMPUTE_PGM_RSRC2:TGID_Z_EN: 0
; COMPUTE_PGM_RSRC2:TIDIG_COMP_CNT: 0
	.section	.text._ZN7rocprim17ROCPRIM_400000_NS6detail17trampoline_kernelINS0_14default_configENS1_29reduce_by_key_config_selectorIxxN6thrust23THRUST_200600_302600_NS4plusIxEEEEZZNS1_33reduce_by_key_impl_wrapped_configILNS1_25lookback_scan_determinismE0ES3_S9_NS6_6detail15normal_iteratorINS6_10device_ptrIxEEEESG_SG_SG_PmS8_22is_equal_div_10_reduceIxEEE10hipError_tPvRmT2_T3_mT4_T5_T6_T7_T8_P12ihipStream_tbENKUlT_T0_E_clISt17integral_constantIbLb1EES10_IbLb0EEEEDaSW_SX_EUlSW_E_NS1_11comp_targetILNS1_3genE9ELNS1_11target_archE1100ELNS1_3gpuE3ELNS1_3repE0EEENS1_30default_config_static_selectorELNS0_4arch9wavefront6targetE0EEEvT1_,"axG",@progbits,_ZN7rocprim17ROCPRIM_400000_NS6detail17trampoline_kernelINS0_14default_configENS1_29reduce_by_key_config_selectorIxxN6thrust23THRUST_200600_302600_NS4plusIxEEEEZZNS1_33reduce_by_key_impl_wrapped_configILNS1_25lookback_scan_determinismE0ES3_S9_NS6_6detail15normal_iteratorINS6_10device_ptrIxEEEESG_SG_SG_PmS8_22is_equal_div_10_reduceIxEEE10hipError_tPvRmT2_T3_mT4_T5_T6_T7_T8_P12ihipStream_tbENKUlT_T0_E_clISt17integral_constantIbLb1EES10_IbLb0EEEEDaSW_SX_EUlSW_E_NS1_11comp_targetILNS1_3genE9ELNS1_11target_archE1100ELNS1_3gpuE3ELNS1_3repE0EEENS1_30default_config_static_selectorELNS0_4arch9wavefront6targetE0EEEvT1_,comdat
	.protected	_ZN7rocprim17ROCPRIM_400000_NS6detail17trampoline_kernelINS0_14default_configENS1_29reduce_by_key_config_selectorIxxN6thrust23THRUST_200600_302600_NS4plusIxEEEEZZNS1_33reduce_by_key_impl_wrapped_configILNS1_25lookback_scan_determinismE0ES3_S9_NS6_6detail15normal_iteratorINS6_10device_ptrIxEEEESG_SG_SG_PmS8_22is_equal_div_10_reduceIxEEE10hipError_tPvRmT2_T3_mT4_T5_T6_T7_T8_P12ihipStream_tbENKUlT_T0_E_clISt17integral_constantIbLb1EES10_IbLb0EEEEDaSW_SX_EUlSW_E_NS1_11comp_targetILNS1_3genE9ELNS1_11target_archE1100ELNS1_3gpuE3ELNS1_3repE0EEENS1_30default_config_static_selectorELNS0_4arch9wavefront6targetE0EEEvT1_ ; -- Begin function _ZN7rocprim17ROCPRIM_400000_NS6detail17trampoline_kernelINS0_14default_configENS1_29reduce_by_key_config_selectorIxxN6thrust23THRUST_200600_302600_NS4plusIxEEEEZZNS1_33reduce_by_key_impl_wrapped_configILNS1_25lookback_scan_determinismE0ES3_S9_NS6_6detail15normal_iteratorINS6_10device_ptrIxEEEESG_SG_SG_PmS8_22is_equal_div_10_reduceIxEEE10hipError_tPvRmT2_T3_mT4_T5_T6_T7_T8_P12ihipStream_tbENKUlT_T0_E_clISt17integral_constantIbLb1EES10_IbLb0EEEEDaSW_SX_EUlSW_E_NS1_11comp_targetILNS1_3genE9ELNS1_11target_archE1100ELNS1_3gpuE3ELNS1_3repE0EEENS1_30default_config_static_selectorELNS0_4arch9wavefront6targetE0EEEvT1_
	.globl	_ZN7rocprim17ROCPRIM_400000_NS6detail17trampoline_kernelINS0_14default_configENS1_29reduce_by_key_config_selectorIxxN6thrust23THRUST_200600_302600_NS4plusIxEEEEZZNS1_33reduce_by_key_impl_wrapped_configILNS1_25lookback_scan_determinismE0ES3_S9_NS6_6detail15normal_iteratorINS6_10device_ptrIxEEEESG_SG_SG_PmS8_22is_equal_div_10_reduceIxEEE10hipError_tPvRmT2_T3_mT4_T5_T6_T7_T8_P12ihipStream_tbENKUlT_T0_E_clISt17integral_constantIbLb1EES10_IbLb0EEEEDaSW_SX_EUlSW_E_NS1_11comp_targetILNS1_3genE9ELNS1_11target_archE1100ELNS1_3gpuE3ELNS1_3repE0EEENS1_30default_config_static_selectorELNS0_4arch9wavefront6targetE0EEEvT1_
	.p2align	8
	.type	_ZN7rocprim17ROCPRIM_400000_NS6detail17trampoline_kernelINS0_14default_configENS1_29reduce_by_key_config_selectorIxxN6thrust23THRUST_200600_302600_NS4plusIxEEEEZZNS1_33reduce_by_key_impl_wrapped_configILNS1_25lookback_scan_determinismE0ES3_S9_NS6_6detail15normal_iteratorINS6_10device_ptrIxEEEESG_SG_SG_PmS8_22is_equal_div_10_reduceIxEEE10hipError_tPvRmT2_T3_mT4_T5_T6_T7_T8_P12ihipStream_tbENKUlT_T0_E_clISt17integral_constantIbLb1EES10_IbLb0EEEEDaSW_SX_EUlSW_E_NS1_11comp_targetILNS1_3genE9ELNS1_11target_archE1100ELNS1_3gpuE3ELNS1_3repE0EEENS1_30default_config_static_selectorELNS0_4arch9wavefront6targetE0EEEvT1_,@function
_ZN7rocprim17ROCPRIM_400000_NS6detail17trampoline_kernelINS0_14default_configENS1_29reduce_by_key_config_selectorIxxN6thrust23THRUST_200600_302600_NS4plusIxEEEEZZNS1_33reduce_by_key_impl_wrapped_configILNS1_25lookback_scan_determinismE0ES3_S9_NS6_6detail15normal_iteratorINS6_10device_ptrIxEEEESG_SG_SG_PmS8_22is_equal_div_10_reduceIxEEE10hipError_tPvRmT2_T3_mT4_T5_T6_T7_T8_P12ihipStream_tbENKUlT_T0_E_clISt17integral_constantIbLb1EES10_IbLb0EEEEDaSW_SX_EUlSW_E_NS1_11comp_targetILNS1_3genE9ELNS1_11target_archE1100ELNS1_3gpuE3ELNS1_3repE0EEENS1_30default_config_static_selectorELNS0_4arch9wavefront6targetE0EEEvT1_: ; @_ZN7rocprim17ROCPRIM_400000_NS6detail17trampoline_kernelINS0_14default_configENS1_29reduce_by_key_config_selectorIxxN6thrust23THRUST_200600_302600_NS4plusIxEEEEZZNS1_33reduce_by_key_impl_wrapped_configILNS1_25lookback_scan_determinismE0ES3_S9_NS6_6detail15normal_iteratorINS6_10device_ptrIxEEEESG_SG_SG_PmS8_22is_equal_div_10_reduceIxEEE10hipError_tPvRmT2_T3_mT4_T5_T6_T7_T8_P12ihipStream_tbENKUlT_T0_E_clISt17integral_constantIbLb1EES10_IbLb0EEEEDaSW_SX_EUlSW_E_NS1_11comp_targetILNS1_3genE9ELNS1_11target_archE1100ELNS1_3gpuE3ELNS1_3repE0EEENS1_30default_config_static_selectorELNS0_4arch9wavefront6targetE0EEEvT1_
; %bb.0:
	s_clause 0x2
	s_load_b256 s[36:43], s[0:1], 0x0
	s_load_b512 s[16:31], s[0:1], 0x38
	s_load_b128 s[44:47], s[0:1], 0x20
	s_mov_b32 s3, 0
	s_mul_i32 s2, s15, 0xf00
	s_waitcnt lgkmcnt(0)
	s_lshl_b64 s[4:5], s[38:39], 3
	s_mul_i32 s6, s24, s23
	s_add_u32 s10, s36, s4
	s_mul_hi_u32 s7, s24, s22
	s_addc_u32 s11, s37, s5
	s_add_u32 s12, s40, s4
	s_mul_i32 s8, s25, s22
	s_addc_u32 s13, s41, s5
	s_add_i32 s6, s7, s6
	s_lshl_b64 s[4:5], s[2:3], 3
	s_add_i32 s6, s6, s8
	s_add_u32 s14, s10, s4
	s_addc_u32 s36, s11, s5
	s_mul_i32 s9, s24, s22
	s_add_u32 s33, s12, s4
	s_addc_u32 s38, s13, s5
	s_add_u32 s34, s9, s15
	s_addc_u32 s35, s6, 0
	s_add_u32 s4, s26, -1
	s_addc_u32 s5, s27, -1
	s_mul_i32 s27, s4, 0xfffff100
	s_cmp_eq_u64 s[34:35], s[4:5]
	s_cselect_b32 s26, -1, 0
	s_cmp_lg_u64 s[34:35], s[4:5]
	s_cselect_b32 s37, -1, 0
	s_and_b32 vcc_lo, exec_lo, s26
	s_cbranch_vccnz .LBB533_2
; %bb.1:
	v_lshlrev_b32_e32 v62, 3, v0
	s_delay_alu instid0(VALU_DEP_1) | instskip(NEXT) | instid1(VALU_DEP_1)
	v_add_co_u32 v1, s2, s14, v62
	v_add_co_ci_u32_e64 v2, null, s36, 0, s2
	v_add_co_u32 v31, s2, s33, v62
	s_delay_alu instid0(VALU_DEP_3) | instskip(NEXT) | instid1(VALU_DEP_3)
	v_add_co_u32 v3, vcc_lo, 0x1000, v1
	v_add_co_ci_u32_e32 v4, vcc_lo, 0, v2, vcc_lo
	v_add_co_u32 v5, vcc_lo, 0x2000, v1
	v_add_co_ci_u32_e32 v6, vcc_lo, 0, v2, vcc_lo
	;; [unrolled: 2-line block ×6, first 2 shown]
	s_clause 0x7
	flat_load_b64 v[9:10], v[1:2]
	flat_load_b64 v[11:12], v[1:2] offset:2048
	flat_load_b64 v[13:14], v[3:4]
	flat_load_b64 v[3:4], v[3:4] offset:2048
	;; [unrolled: 2-line block ×4, first 2 shown]
	v_add_co_u32 v1, vcc_lo, 0x7000, v1
	v_add_co_ci_u32_e32 v2, vcc_lo, 0, v2, vcc_lo
	s_clause 0x6
	flat_load_b64 v[25:26], v[19:20]
	flat_load_b64 v[19:20], v[19:20] offset:2048
	flat_load_b64 v[27:28], v[21:22]
	flat_load_b64 v[21:22], v[21:22] offset:2048
	;; [unrolled: 2-line block ×3, first 2 shown]
	flat_load_b64 v[1:2], v[1:2]
	v_add_co_ci_u32_e64 v32, null, s38, 0, s2
	v_add_co_u32 v33, vcc_lo, 0x1000, v31
	v_mad_u32_u24 v61, 0x70, v0, v62
	s_delay_alu instid0(VALU_DEP_3)
	v_add_co_ci_u32_e32 v34, vcc_lo, 0, v32, vcc_lo
	v_add_co_u32 v35, vcc_lo, 0x2000, v31
	v_add_co_ci_u32_e32 v36, vcc_lo, 0, v32, vcc_lo
	v_add_co_u32 v37, vcc_lo, 0x3000, v31
	;; [unrolled: 2-line block ×6, first 2 shown]
	v_add_co_ci_u32_e32 v46, vcc_lo, 0, v32, vcc_lo
	s_waitcnt vmcnt(13) lgkmcnt(13)
	ds_store_2addr_stride64_b64 v62, v[9:10], v[11:12] offset1:4
	s_waitcnt vmcnt(11) lgkmcnt(12)
	ds_store_2addr_stride64_b64 v62, v[13:14], v[3:4] offset0:8 offset1:12
	s_waitcnt vmcnt(9) lgkmcnt(11)
	ds_store_2addr_stride64_b64 v62, v[15:16], v[5:6] offset0:16 offset1:20
	;; [unrolled: 2-line block ×6, first 2 shown]
	s_waitcnt vmcnt(0) lgkmcnt(7)
	ds_store_b64 v62, v[1:2] offset:28672
	s_waitcnt lgkmcnt(0)
	s_barrier
	buffer_gl0_inv
	ds_load_2addr_b64 v[25:28], v61 offset1:1
	ds_load_2addr_b64 v[21:24], v61 offset0:2 offset1:3
	ds_load_2addr_b64 v[17:20], v61 offset0:4 offset1:5
	;; [unrolled: 1-line block ×6, first 2 shown]
	ds_load_b64 v[57:58], v61 offset:112
	s_waitcnt lgkmcnt(0)
	s_barrier
	buffer_gl0_inv
	s_clause 0xe
	flat_load_b64 v[29:30], v[31:32]
	flat_load_b64 v[31:32], v[31:32] offset:2048
	flat_load_b64 v[47:48], v[33:34]
	flat_load_b64 v[33:34], v[33:34] offset:2048
	;; [unrolled: 2-line block ×7, first 2 shown]
	flat_load_b64 v[45:46], v[45:46]
	s_waitcnt vmcnt(13) lgkmcnt(13)
	ds_store_2addr_stride64_b64 v62, v[29:30], v[31:32] offset1:4
	s_waitcnt vmcnt(11) lgkmcnt(12)
	ds_store_2addr_stride64_b64 v62, v[47:48], v[33:34] offset0:8 offset1:12
	s_waitcnt vmcnt(9) lgkmcnt(11)
	ds_store_2addr_stride64_b64 v62, v[49:50], v[35:36] offset0:16 offset1:20
	;; [unrolled: 2-line block ×6, first 2 shown]
	s_waitcnt vmcnt(0) lgkmcnt(7)
	ds_store_b64 v62, v[45:46] offset:28672
	s_waitcnt lgkmcnt(0)
	s_barrier
	s_load_b64 s[24:25], s[0:1], 0x78
	s_and_not1_b32 vcc_lo, exec_lo, s3
	s_add_i32 s27, s27, s28
	s_cbranch_vccz .LBB533_3
	s_branch .LBB533_50
.LBB533_2:
                                        ; implicit-def: $vgpr61
                                        ; implicit-def: $vgpr25_vgpr26
                                        ; implicit-def: $vgpr21_vgpr22
                                        ; implicit-def: $vgpr17_vgpr18
                                        ; implicit-def: $vgpr13_vgpr14
                                        ; implicit-def: $vgpr9_vgpr10
                                        ; implicit-def: $vgpr5_vgpr6
                                        ; implicit-def: $vgpr1_vgpr2
                                        ; implicit-def: $vgpr57_vgpr58
	s_load_b64 s[24:25], s[0:1], 0x78
	s_add_i32 s27, s27, s28
.LBB533_3:
	s_delay_alu instid0(SALU_CYCLE_1)
	v_cmp_gt_u32_e32 vcc_lo, s27, v0
                                        ; implicit-def: $vgpr1_vgpr2
	s_and_saveexec_b32 s0, vcc_lo
	s_cbranch_execz .LBB533_5
; %bb.4:
	v_lshlrev_b32_e32 v1, 3, v0
	s_delay_alu instid0(VALU_DEP_1) | instskip(NEXT) | instid1(VALU_DEP_1)
	v_add_co_u32 v1, s1, s14, v1
	v_add_co_ci_u32_e64 v2, null, s36, 0, s1
	flat_load_b64 v[1:2], v[1:2]
.LBB533_5:
	s_or_b32 exec_lo, exec_lo, s0
	v_or_b32_e32 v3, 0x100, v0
	s_delay_alu instid0(VALU_DEP_1) | instskip(NEXT) | instid1(VALU_DEP_1)
	v_cmp_gt_u32_e64 s0, s27, v3
                                        ; implicit-def: $vgpr3_vgpr4
	s_and_saveexec_b32 s1, s0
	s_cbranch_execz .LBB533_7
; %bb.6:
	v_lshlrev_b32_e32 v3, 3, v0
	s_delay_alu instid0(VALU_DEP_1) | instskip(NEXT) | instid1(VALU_DEP_1)
	v_add_co_u32 v3, s2, s14, v3
	v_add_co_ci_u32_e64 v4, null, s36, 0, s2
	flat_load_b64 v[3:4], v[3:4] offset:2048
.LBB533_7:
	s_or_b32 exec_lo, exec_lo, s1
	v_or_b32_e32 v35, 0x200, v0
                                        ; implicit-def: $vgpr5_vgpr6
	s_delay_alu instid0(VALU_DEP_1) | instskip(NEXT) | instid1(VALU_DEP_1)
	v_cmp_gt_u32_e64 s1, s27, v35
	s_and_saveexec_b32 s2, s1
	s_cbranch_execz .LBB533_9
; %bb.8:
	v_lshlrev_b32_e32 v5, 3, v35
	s_delay_alu instid0(VALU_DEP_1) | instskip(NEXT) | instid1(VALU_DEP_1)
	v_add_co_u32 v5, s3, s14, v5
	v_add_co_ci_u32_e64 v6, null, s36, 0, s3
	flat_load_b64 v[5:6], v[5:6]
.LBB533_9:
	s_or_b32 exec_lo, exec_lo, s2
	v_or_b32_e32 v37, 0x300, v0
                                        ; implicit-def: $vgpr7_vgpr8
	s_delay_alu instid0(VALU_DEP_1) | instskip(NEXT) | instid1(VALU_DEP_1)
	v_cmp_gt_u32_e64 s2, s27, v37
	s_and_saveexec_b32 s3, s2
	s_cbranch_execz .LBB533_11
; %bb.10:
	v_lshlrev_b32_e32 v7, 3, v37
	s_delay_alu instid0(VALU_DEP_1) | instskip(NEXT) | instid1(VALU_DEP_1)
	v_add_co_u32 v7, s4, s14, v7
	v_add_co_ci_u32_e64 v8, null, s36, 0, s4
	flat_load_b64 v[7:8], v[7:8]
.LBB533_11:
	s_or_b32 exec_lo, exec_lo, s3
	v_or_b32_e32 v39, 0x400, v0
                                        ; implicit-def: $vgpr9_vgpr10
	s_delay_alu instid0(VALU_DEP_1) | instskip(NEXT) | instid1(VALU_DEP_1)
	v_cmp_gt_u32_e64 s3, s27, v39
	s_and_saveexec_b32 s4, s3
	s_cbranch_execz .LBB533_13
; %bb.12:
	v_lshlrev_b32_e32 v9, 3, v39
	s_delay_alu instid0(VALU_DEP_1) | instskip(NEXT) | instid1(VALU_DEP_1)
	v_add_co_u32 v9, s5, s14, v9
	v_add_co_ci_u32_e64 v10, null, s36, 0, s5
	flat_load_b64 v[9:10], v[9:10]
.LBB533_13:
	s_or_b32 exec_lo, exec_lo, s4
	v_or_b32_e32 v41, 0x500, v0
                                        ; implicit-def: $vgpr11_vgpr12
	s_delay_alu instid0(VALU_DEP_1) | instskip(NEXT) | instid1(VALU_DEP_1)
	v_cmp_gt_u32_e64 s4, s27, v41
	s_and_saveexec_b32 s5, s4
	s_cbranch_execz .LBB533_15
; %bb.14:
	v_lshlrev_b32_e32 v11, 3, v41
	s_delay_alu instid0(VALU_DEP_1) | instskip(NEXT) | instid1(VALU_DEP_1)
	v_add_co_u32 v11, s6, s14, v11
	v_add_co_ci_u32_e64 v12, null, s36, 0, s6
	flat_load_b64 v[11:12], v[11:12]
.LBB533_15:
	s_or_b32 exec_lo, exec_lo, s5
	v_or_b32_e32 v43, 0x600, v0
                                        ; implicit-def: $vgpr13_vgpr14
	s_delay_alu instid0(VALU_DEP_1) | instskip(NEXT) | instid1(VALU_DEP_1)
	v_cmp_gt_u32_e64 s5, s27, v43
	s_and_saveexec_b32 s6, s5
	s_cbranch_execz .LBB533_17
; %bb.16:
	v_lshlrev_b32_e32 v13, 3, v43
	s_delay_alu instid0(VALU_DEP_1) | instskip(NEXT) | instid1(VALU_DEP_1)
	v_add_co_u32 v13, s7, s14, v13
	v_add_co_ci_u32_e64 v14, null, s36, 0, s7
	flat_load_b64 v[13:14], v[13:14]
.LBB533_17:
	s_or_b32 exec_lo, exec_lo, s6
	v_or_b32_e32 v45, 0x700, v0
                                        ; implicit-def: $vgpr15_vgpr16
	s_delay_alu instid0(VALU_DEP_1) | instskip(NEXT) | instid1(VALU_DEP_1)
	v_cmp_gt_u32_e64 s6, s27, v45
	s_and_saveexec_b32 s7, s6
	s_cbranch_execz .LBB533_19
; %bb.18:
	v_lshlrev_b32_e32 v15, 3, v45
	s_delay_alu instid0(VALU_DEP_1) | instskip(NEXT) | instid1(VALU_DEP_1)
	v_add_co_u32 v15, s8, s14, v15
	v_add_co_ci_u32_e64 v16, null, s36, 0, s8
	flat_load_b64 v[15:16], v[15:16]
.LBB533_19:
	s_or_b32 exec_lo, exec_lo, s7
	v_or_b32_e32 v47, 0x800, v0
                                        ; implicit-def: $vgpr17_vgpr18
	s_delay_alu instid0(VALU_DEP_1) | instskip(NEXT) | instid1(VALU_DEP_1)
	v_cmp_gt_u32_e64 s7, s27, v47
	s_and_saveexec_b32 s8, s7
	s_cbranch_execz .LBB533_21
; %bb.20:
	v_lshlrev_b32_e32 v17, 3, v47
	s_delay_alu instid0(VALU_DEP_1) | instskip(NEXT) | instid1(VALU_DEP_1)
	v_add_co_u32 v17, s9, s14, v17
	v_add_co_ci_u32_e64 v18, null, s36, 0, s9
	flat_load_b64 v[17:18], v[17:18]
.LBB533_21:
	s_or_b32 exec_lo, exec_lo, s8
	v_or_b32_e32 v49, 0x900, v0
                                        ; implicit-def: $vgpr19_vgpr20
	s_delay_alu instid0(VALU_DEP_1) | instskip(NEXT) | instid1(VALU_DEP_1)
	v_cmp_gt_u32_e64 s8, s27, v49
	s_and_saveexec_b32 s9, s8
	s_cbranch_execz .LBB533_23
; %bb.22:
	v_lshlrev_b32_e32 v19, 3, v49
	s_delay_alu instid0(VALU_DEP_1) | instskip(NEXT) | instid1(VALU_DEP_1)
	v_add_co_u32 v19, s10, s14, v19
	v_add_co_ci_u32_e64 v20, null, s36, 0, s10
	flat_load_b64 v[19:20], v[19:20]
.LBB533_23:
	s_or_b32 exec_lo, exec_lo, s9
	v_or_b32_e32 v51, 0xa00, v0
                                        ; implicit-def: $vgpr21_vgpr22
	s_delay_alu instid0(VALU_DEP_1) | instskip(NEXT) | instid1(VALU_DEP_1)
	v_cmp_gt_u32_e64 s9, s27, v51
	s_and_saveexec_b32 s10, s9
	s_cbranch_execz .LBB533_25
; %bb.24:
	v_lshlrev_b32_e32 v21, 3, v51
	s_delay_alu instid0(VALU_DEP_1) | instskip(NEXT) | instid1(VALU_DEP_1)
	v_add_co_u32 v21, s11, s14, v21
	v_add_co_ci_u32_e64 v22, null, s36, 0, s11
	flat_load_b64 v[21:22], v[21:22]
.LBB533_25:
	s_or_b32 exec_lo, exec_lo, s10
	v_or_b32_e32 v53, 0xb00, v0
                                        ; implicit-def: $vgpr23_vgpr24
	s_delay_alu instid0(VALU_DEP_1) | instskip(NEXT) | instid1(VALU_DEP_1)
	v_cmp_gt_u32_e64 s10, s27, v53
	s_and_saveexec_b32 s11, s10
	s_cbranch_execz .LBB533_27
; %bb.26:
	v_lshlrev_b32_e32 v23, 3, v53
	s_delay_alu instid0(VALU_DEP_1) | instskip(NEXT) | instid1(VALU_DEP_1)
	v_add_co_u32 v23, s12, s14, v23
	v_add_co_ci_u32_e64 v24, null, s36, 0, s12
	flat_load_b64 v[23:24], v[23:24]
.LBB533_27:
	s_or_b32 exec_lo, exec_lo, s11
	v_or_b32_e32 v55, 0xc00, v0
                                        ; implicit-def: $vgpr25_vgpr26
	s_delay_alu instid0(VALU_DEP_1) | instskip(NEXT) | instid1(VALU_DEP_1)
	v_cmp_gt_u32_e64 s11, s27, v55
	s_and_saveexec_b32 s12, s11
	s_cbranch_execz .LBB533_29
; %bb.28:
	v_lshlrev_b32_e32 v25, 3, v55
	s_delay_alu instid0(VALU_DEP_1) | instskip(NEXT) | instid1(VALU_DEP_1)
	v_add_co_u32 v25, s13, s14, v25
	v_add_co_ci_u32_e64 v26, null, s36, 0, s13
	flat_load_b64 v[25:26], v[25:26]
.LBB533_29:
	s_or_b32 exec_lo, exec_lo, s12
	v_or_b32_e32 v59, 0xd00, v0
                                        ; implicit-def: $vgpr27_vgpr28
	s_delay_alu instid0(VALU_DEP_1) | instskip(NEXT) | instid1(VALU_DEP_1)
	v_cmp_gt_u32_e64 s12, s27, v59
	s_and_saveexec_b32 s13, s12
	s_cbranch_execz .LBB533_31
; %bb.30:
	v_lshlrev_b32_e32 v27, 3, v59
	s_delay_alu instid0(VALU_DEP_1) | instskip(NEXT) | instid1(VALU_DEP_1)
	v_add_co_u32 v27, s39, s14, v27
	v_add_co_ci_u32_e64 v28, null, s36, 0, s39
	flat_load_b64 v[27:28], v[27:28]
.LBB533_31:
	s_or_b32 exec_lo, exec_lo, s13
	v_or_b32_e32 v63, 0xe00, v0
                                        ; implicit-def: $vgpr29_vgpr30
	s_delay_alu instid0(VALU_DEP_1) | instskip(NEXT) | instid1(VALU_DEP_1)
	v_cmp_gt_u32_e64 s13, s27, v63
	s_and_saveexec_b32 s39, s13
	s_cbranch_execz .LBB533_33
; %bb.32:
	v_lshlrev_b32_e32 v29, 3, v63
	s_delay_alu instid0(VALU_DEP_1) | instskip(NEXT) | instid1(VALU_DEP_1)
	v_add_co_u32 v29, s40, s14, v29
	v_add_co_ci_u32_e64 v30, null, s36, 0, s40
	flat_load_b64 v[29:30], v[29:30]
.LBB533_33:
	s_or_b32 exec_lo, exec_lo, s39
	v_lshlrev_b32_e32 v62, 3, v0
	s_waitcnt vmcnt(0) lgkmcnt(0)
	ds_store_2addr_stride64_b64 v62, v[1:2], v[3:4] offset1:4
	ds_store_2addr_stride64_b64 v62, v[5:6], v[7:8] offset0:8 offset1:12
	ds_store_2addr_stride64_b64 v62, v[9:10], v[11:12] offset0:16 offset1:20
	;; [unrolled: 1-line block ×6, first 2 shown]
	v_mad_u32_u24 v61, 0x70, v0, v62
	ds_store_b64 v62, v[29:30] offset:28672
	s_waitcnt lgkmcnt(0)
	s_barrier
	buffer_gl0_inv
	ds_load_2addr_b64 v[25:28], v61 offset1:1
	ds_load_2addr_b64 v[21:24], v61 offset0:2 offset1:3
	ds_load_2addr_b64 v[17:20], v61 offset0:4 offset1:5
	;; [unrolled: 1-line block ×6, first 2 shown]
	ds_load_b64 v[57:58], v61 offset:112
	s_waitcnt lgkmcnt(0)
	s_barrier
	buffer_gl0_inv
                                        ; implicit-def: $vgpr29_vgpr30
	s_and_saveexec_b32 s39, vcc_lo
	s_cbranch_execnz .LBB533_57
; %bb.34:
	s_or_b32 exec_lo, exec_lo, s39
                                        ; implicit-def: $vgpr31_vgpr32
	s_and_saveexec_b32 s39, s0
	s_cbranch_execnz .LBB533_58
.LBB533_35:
	s_or_b32 exec_lo, exec_lo, s39
                                        ; implicit-def: $vgpr33_vgpr34
	s_and_saveexec_b32 s0, s1
	s_cbranch_execnz .LBB533_59
.LBB533_36:
	s_or_b32 exec_lo, exec_lo, s0
                                        ; implicit-def: $vgpr35_vgpr36
	s_and_saveexec_b32 s0, s2
	s_cbranch_execnz .LBB533_60
.LBB533_37:
	s_or_b32 exec_lo, exec_lo, s0
                                        ; implicit-def: $vgpr37_vgpr38
	s_and_saveexec_b32 s0, s3
	s_cbranch_execnz .LBB533_61
.LBB533_38:
	s_or_b32 exec_lo, exec_lo, s0
                                        ; implicit-def: $vgpr39_vgpr40
	s_and_saveexec_b32 s0, s4
	s_cbranch_execnz .LBB533_62
.LBB533_39:
	s_or_b32 exec_lo, exec_lo, s0
                                        ; implicit-def: $vgpr41_vgpr42
	s_and_saveexec_b32 s0, s5
	s_cbranch_execnz .LBB533_63
.LBB533_40:
	s_or_b32 exec_lo, exec_lo, s0
                                        ; implicit-def: $vgpr43_vgpr44
	s_and_saveexec_b32 s0, s6
	s_cbranch_execnz .LBB533_64
.LBB533_41:
	s_or_b32 exec_lo, exec_lo, s0
                                        ; implicit-def: $vgpr45_vgpr46
	s_and_saveexec_b32 s0, s7
	s_cbranch_execnz .LBB533_65
.LBB533_42:
	s_or_b32 exec_lo, exec_lo, s0
                                        ; implicit-def: $vgpr47_vgpr48
	s_and_saveexec_b32 s0, s8
	s_cbranch_execnz .LBB533_66
.LBB533_43:
	s_or_b32 exec_lo, exec_lo, s0
                                        ; implicit-def: $vgpr49_vgpr50
	s_and_saveexec_b32 s0, s9
	s_cbranch_execnz .LBB533_67
.LBB533_44:
	s_or_b32 exec_lo, exec_lo, s0
                                        ; implicit-def: $vgpr51_vgpr52
	s_and_saveexec_b32 s0, s10
	s_cbranch_execnz .LBB533_68
.LBB533_45:
	s_or_b32 exec_lo, exec_lo, s0
                                        ; implicit-def: $vgpr53_vgpr54
	s_and_saveexec_b32 s0, s11
	s_cbranch_execnz .LBB533_69
.LBB533_46:
	s_or_b32 exec_lo, exec_lo, s0
                                        ; implicit-def: $vgpr55_vgpr56
	s_and_saveexec_b32 s0, s12
	s_cbranch_execnz .LBB533_70
.LBB533_47:
	s_or_b32 exec_lo, exec_lo, s0
                                        ; implicit-def: $vgpr59_vgpr60
	s_and_saveexec_b32 s0, s13
	s_cbranch_execz .LBB533_49
.LBB533_48:
	v_lshlrev_b32_e32 v59, 3, v63
	s_delay_alu instid0(VALU_DEP_1) | instskip(NEXT) | instid1(VALU_DEP_1)
	v_add_co_u32 v59, s1, s33, v59
	v_add_co_ci_u32_e64 v60, null, s38, 0, s1
	flat_load_b64 v[59:60], v[59:60]
.LBB533_49:
	s_or_b32 exec_lo, exec_lo, s0
	s_waitcnt vmcnt(0) lgkmcnt(0)
	ds_store_2addr_stride64_b64 v62, v[29:30], v[31:32] offset1:4
	ds_store_2addr_stride64_b64 v62, v[33:34], v[35:36] offset0:8 offset1:12
	ds_store_2addr_stride64_b64 v62, v[37:38], v[39:40] offset0:16 offset1:20
	;; [unrolled: 1-line block ×6, first 2 shown]
	ds_store_b64 v62, v[59:60] offset:28672
	s_waitcnt lgkmcnt(0)
	s_barrier
.LBB533_50:
	s_waitcnt lgkmcnt(0)
	buffer_gl0_inv
	ds_load_2addr_b64 v[53:56], v61 offset1:1
	ds_load_2addr_b64 v[49:52], v61 offset0:2 offset1:3
	ds_load_2addr_b64 v[45:48], v61 offset0:4 offset1:5
	;; [unrolled: 1-line block ×6, first 2 shown]
	ds_load_b64 v[73:74], v61 offset:112
	s_cmp_eq_u64 s[34:35], 0
	s_waitcnt lgkmcnt(0)
	s_cselect_b32 s33, -1, 0
	s_cmp_lg_u64 s[34:35], 0
	s_barrier
	s_cselect_b32 s38, -1, 0
	s_and_b32 vcc_lo, exec_lo, s37
	buffer_gl0_inv
	s_cbranch_vccz .LBB533_56
; %bb.51:
	s_and_b32 vcc_lo, exec_lo, s38
	s_cbranch_vccz .LBB533_71
; %bb.52:
	v_add_co_u32 v59, s0, -8, s14
	s_delay_alu instid0(VALU_DEP_1)
	v_add_co_ci_u32_e64 v60, null, -1, s36, s0
	v_mul_hi_i32 v61, 0x66666667, v3
	v_mul_hi_i32 v62, 0x66666667, v57
	;; [unrolled: 1-line block ×3, first 2 shown]
	flat_load_b64 v[59:60], v[59:60]
	v_mul_hi_i32 v67, 0x66666667, v7
	v_mul_hi_i32 v68, 0x66666667, v5
	;; [unrolled: 1-line block ×3, first 2 shown]
	s_waitcnt vmcnt(0) lgkmcnt(0)
	v_lshlrev_b32_e32 v60, 3, v0
	v_lshrrev_b32_e32 v64, 31, v61
	v_ashrrev_i32_e32 v61, 2, v61
	v_lshrrev_b32_e32 v65, 31, v62
	v_ashrrev_i32_e32 v62, 2, v62
	;; [unrolled: 2-line block ×3, first 2 shown]
	v_add_nc_u32_e32 v61, v61, v64
	v_mul_hi_i32 v64, 0x66666667, v11
	v_add_nc_u32_e32 v62, v62, v65
	v_lshrrev_b32_e32 v65, 31, v67
	v_add_nc_u32_e32 v63, v63, v66
	v_ashrrev_i32_e32 v66, 2, v67
	v_lshrrev_b32_e32 v67, 31, v68
	v_ashrrev_i32_e32 v68, 2, v68
	v_cmp_ne_u32_e32 vcc_lo, v61, v62
	v_cmp_ne_u32_e64 s0, v63, v61
	v_add_nc_u32_e32 v61, v66, v65
	v_lshrrev_b32_e32 v70, 31, v64
	v_ashrrev_i32_e32 v64, 2, v64
	v_add_nc_u32_e32 v62, v68, v67
	v_mul_hi_i32 v66, 0x66666667, v15
	v_mul_hi_i32 v68, 0x66666667, v13
	v_cmp_ne_u32_e64 s1, v61, v63
	v_mul_hi_i32 v63, 0x66666667, v19
	v_add_nc_u32_e32 v64, v64, v70
	v_lshrrev_b32_e32 v65, 31, v69
	v_ashrrev_i32_e32 v67, 2, v69
	v_cmp_ne_u32_e64 s2, v62, v61
	s_mov_b32 s37, -1
	v_cmp_ne_u32_e64 s3, v64, v62
	v_lshrrev_b32_e32 v62, 31, v66
	v_add_nc_u32_e32 v61, v67, v65
	v_ashrrev_i32_e32 v65, 2, v66
	v_lshrrev_b32_e32 v66, 31, v68
	v_ashrrev_i32_e32 v67, 2, v68
	v_lshrrev_b32_e32 v68, 31, v63
	v_ashrrev_i32_e32 v63, 2, v63
	v_add_nc_u32_e32 v62, v65, v62
	v_cmp_ne_u32_e64 s4, v61, v64
	v_add_nc_u32_e32 v64, v67, v66
	v_mul_hi_i32 v65, 0x66666667, v17
	v_add_nc_u32_e32 v63, v63, v68
	v_cmp_ne_u32_e64 s5, v62, v61
	v_mul_hi_i32 v61, 0x66666667, v23
	v_cmp_ne_u32_e64 s6, v64, v62
	v_mul_hi_i32 v62, 0x66666667, v21
	;; [unrolled: 2-line block ×3, first 2 shown]
	v_mul_hi_i32 v67, 0x66666667, v25
	v_lshrrev_b32_e32 v66, 31, v65
	v_ashrrev_i32_e32 v65, 2, v65
	v_lshrrev_b32_e32 v68, 31, v61
	v_ashrrev_i32_e32 v61, 2, v61
	;; [unrolled: 2-line block ×5, first 2 shown]
	v_add_nc_u32_e32 v65, v65, v66
	v_add_nc_u32_e32 v61, v61, v68
	;; [unrolled: 1-line block ×5, first 2 shown]
	v_cmp_ne_u32_e64 s12, v65, v63
	v_cmp_ne_u32_e64 s8, v61, v65
	;; [unrolled: 1-line block ×5, first 2 shown]
	s_mov_b32 s39, 0
	s_mov_b32 s40, exec_lo
	ds_store_b64 v60, v[57:58]
	s_waitcnt lgkmcnt(0)
	s_barrier
	buffer_gl0_inv
	v_cmpx_ne_u32_e32 0, v0
	s_cbranch_execz .LBB533_54
; %bb.53:
	v_add_nc_u32_e32 v59, -8, v60
	ds_load_b64 v[59:60], v59
.LBB533_54:
	s_or_b32 exec_lo, exec_lo, s40
	s_waitcnt lgkmcnt(0)
	v_mul_hi_i32 v59, 0x66666667, v59
	v_cndmask_b32_e64 v111, 0, 1, vcc_lo
	v_cndmask_b32_e64 v60, 0, 1, s0
	v_cndmask_b32_e64 v112, 0, 1, s1
	;; [unrolled: 1-line block ×6, first 2 shown]
	v_lshrrev_b32_e32 v67, 31, v59
	v_ashrrev_i32_e32 v59, 2, v59
	v_cndmask_b32_e64 v66, 0, 1, s6
	v_cndmask_b32_e64 v65, 0, 1, s7
	;; [unrolled: 1-line block ×4, first 2 shown]
	v_add_nc_u32_e32 v59, v59, v67
	v_cndmask_b32_e64 v67, 0, 1, s8
	v_cndmask_b32_e64 v69, 0, 1, s10
	;; [unrolled: 1-line block ×3, first 2 shown]
	s_delay_alu instid0(VALU_DEP_4)
	v_cmp_ne_u32_e64 s2, v59, v71
	s_and_b32 vcc_lo, exec_lo, s39
	s_cbranch_vccnz .LBB533_72
.LBB533_55:
                                        ; implicit-def: $sgpr0
	s_branch .LBB533_110
.LBB533_56:
	s_mov_b32 s37, 0
                                        ; implicit-def: $sgpr2
                                        ; implicit-def: $vgpr111
                                        ; implicit-def: $vgpr60
                                        ; implicit-def: $vgpr112
                                        ; implicit-def: $vgpr62
                                        ; implicit-def: $vgpr61
                                        ; implicit-def: $vgpr64
                                        ; implicit-def: $vgpr63
                                        ; implicit-def: $vgpr66
                                        ; implicit-def: $vgpr65
                                        ; implicit-def: $vgpr68
                                        ; implicit-def: $vgpr67
                                        ; implicit-def: $vgpr70
                                        ; implicit-def: $vgpr69
                                        ; implicit-def: $vgpr72
                                        ; implicit-def: $sgpr0
	s_cbranch_execnz .LBB533_75
	s_branch .LBB533_110
.LBB533_57:
	v_add_co_u32 v29, s40, s33, v62
	s_delay_alu instid0(VALU_DEP_1)
	v_add_co_ci_u32_e64 v30, null, s38, 0, s40
	flat_load_b64 v[29:30], v[29:30]
	s_or_b32 exec_lo, exec_lo, s39
                                        ; implicit-def: $vgpr31_vgpr32
	s_and_saveexec_b32 s39, s0
	s_cbranch_execz .LBB533_35
.LBB533_58:
	v_add_co_u32 v31, s0, s33, v62
	s_delay_alu instid0(VALU_DEP_1)
	v_add_co_ci_u32_e64 v32, null, s38, 0, s0
	flat_load_b64 v[31:32], v[31:32] offset:2048
	s_or_b32 exec_lo, exec_lo, s39
                                        ; implicit-def: $vgpr33_vgpr34
	s_and_saveexec_b32 s0, s1
	s_cbranch_execz .LBB533_36
.LBB533_59:
	v_lshlrev_b32_e32 v33, 3, v35
	s_delay_alu instid0(VALU_DEP_1) | instskip(NEXT) | instid1(VALU_DEP_1)
	v_add_co_u32 v33, s1, s33, v33
	v_add_co_ci_u32_e64 v34, null, s38, 0, s1
	flat_load_b64 v[33:34], v[33:34]
	s_or_b32 exec_lo, exec_lo, s0
                                        ; implicit-def: $vgpr35_vgpr36
	s_and_saveexec_b32 s0, s2
	s_cbranch_execz .LBB533_37
.LBB533_60:
	v_lshlrev_b32_e32 v35, 3, v37
	s_delay_alu instid0(VALU_DEP_1) | instskip(NEXT) | instid1(VALU_DEP_1)
	v_add_co_u32 v35, s1, s33, v35
	v_add_co_ci_u32_e64 v36, null, s38, 0, s1
	flat_load_b64 v[35:36], v[35:36]
	s_or_b32 exec_lo, exec_lo, s0
                                        ; implicit-def: $vgpr37_vgpr38
	s_and_saveexec_b32 s0, s3
	s_cbranch_execz .LBB533_38
.LBB533_61:
	v_lshlrev_b32_e32 v37, 3, v39
	s_delay_alu instid0(VALU_DEP_1) | instskip(NEXT) | instid1(VALU_DEP_1)
	v_add_co_u32 v37, s1, s33, v37
	v_add_co_ci_u32_e64 v38, null, s38, 0, s1
	flat_load_b64 v[37:38], v[37:38]
	s_or_b32 exec_lo, exec_lo, s0
                                        ; implicit-def: $vgpr39_vgpr40
	s_and_saveexec_b32 s0, s4
	s_cbranch_execz .LBB533_39
.LBB533_62:
	v_lshlrev_b32_e32 v39, 3, v41
	s_delay_alu instid0(VALU_DEP_1) | instskip(NEXT) | instid1(VALU_DEP_1)
	v_add_co_u32 v39, s1, s33, v39
	v_add_co_ci_u32_e64 v40, null, s38, 0, s1
	flat_load_b64 v[39:40], v[39:40]
	s_or_b32 exec_lo, exec_lo, s0
                                        ; implicit-def: $vgpr41_vgpr42
	s_and_saveexec_b32 s0, s5
	s_cbranch_execz .LBB533_40
.LBB533_63:
	v_lshlrev_b32_e32 v41, 3, v43
	s_delay_alu instid0(VALU_DEP_1) | instskip(NEXT) | instid1(VALU_DEP_1)
	v_add_co_u32 v41, s1, s33, v41
	v_add_co_ci_u32_e64 v42, null, s38, 0, s1
	flat_load_b64 v[41:42], v[41:42]
	s_or_b32 exec_lo, exec_lo, s0
                                        ; implicit-def: $vgpr43_vgpr44
	s_and_saveexec_b32 s0, s6
	s_cbranch_execz .LBB533_41
.LBB533_64:
	v_lshlrev_b32_e32 v43, 3, v45
	s_delay_alu instid0(VALU_DEP_1) | instskip(NEXT) | instid1(VALU_DEP_1)
	v_add_co_u32 v43, s1, s33, v43
	v_add_co_ci_u32_e64 v44, null, s38, 0, s1
	flat_load_b64 v[43:44], v[43:44]
	s_or_b32 exec_lo, exec_lo, s0
                                        ; implicit-def: $vgpr45_vgpr46
	s_and_saveexec_b32 s0, s7
	s_cbranch_execz .LBB533_42
.LBB533_65:
	v_lshlrev_b32_e32 v45, 3, v47
	s_delay_alu instid0(VALU_DEP_1) | instskip(NEXT) | instid1(VALU_DEP_1)
	v_add_co_u32 v45, s1, s33, v45
	v_add_co_ci_u32_e64 v46, null, s38, 0, s1
	flat_load_b64 v[45:46], v[45:46]
	s_or_b32 exec_lo, exec_lo, s0
                                        ; implicit-def: $vgpr47_vgpr48
	s_and_saveexec_b32 s0, s8
	s_cbranch_execz .LBB533_43
.LBB533_66:
	v_lshlrev_b32_e32 v47, 3, v49
	s_delay_alu instid0(VALU_DEP_1) | instskip(NEXT) | instid1(VALU_DEP_1)
	v_add_co_u32 v47, s1, s33, v47
	v_add_co_ci_u32_e64 v48, null, s38, 0, s1
	flat_load_b64 v[47:48], v[47:48]
	s_or_b32 exec_lo, exec_lo, s0
                                        ; implicit-def: $vgpr49_vgpr50
	s_and_saveexec_b32 s0, s9
	s_cbranch_execz .LBB533_44
.LBB533_67:
	v_lshlrev_b32_e32 v49, 3, v51
	s_delay_alu instid0(VALU_DEP_1) | instskip(NEXT) | instid1(VALU_DEP_1)
	v_add_co_u32 v49, s1, s33, v49
	v_add_co_ci_u32_e64 v50, null, s38, 0, s1
	flat_load_b64 v[49:50], v[49:50]
	s_or_b32 exec_lo, exec_lo, s0
                                        ; implicit-def: $vgpr51_vgpr52
	s_and_saveexec_b32 s0, s10
	s_cbranch_execz .LBB533_45
.LBB533_68:
	v_lshlrev_b32_e32 v51, 3, v53
	s_delay_alu instid0(VALU_DEP_1) | instskip(NEXT) | instid1(VALU_DEP_1)
	v_add_co_u32 v51, s1, s33, v51
	v_add_co_ci_u32_e64 v52, null, s38, 0, s1
	flat_load_b64 v[51:52], v[51:52]
	s_or_b32 exec_lo, exec_lo, s0
                                        ; implicit-def: $vgpr53_vgpr54
	s_and_saveexec_b32 s0, s11
	s_cbranch_execz .LBB533_46
.LBB533_69:
	v_lshlrev_b32_e32 v53, 3, v55
	s_delay_alu instid0(VALU_DEP_1) | instskip(NEXT) | instid1(VALU_DEP_1)
	v_add_co_u32 v53, s1, s33, v53
	v_add_co_ci_u32_e64 v54, null, s38, 0, s1
	flat_load_b64 v[53:54], v[53:54]
	s_or_b32 exec_lo, exec_lo, s0
                                        ; implicit-def: $vgpr55_vgpr56
	s_and_saveexec_b32 s0, s12
	s_cbranch_execz .LBB533_47
.LBB533_70:
	v_lshlrev_b32_e32 v55, 3, v59
	s_delay_alu instid0(VALU_DEP_1) | instskip(NEXT) | instid1(VALU_DEP_1)
	v_add_co_u32 v55, s1, s33, v55
	v_add_co_ci_u32_e64 v56, null, s38, 0, s1
	flat_load_b64 v[55:56], v[55:56]
	s_or_b32 exec_lo, exec_lo, s0
                                        ; implicit-def: $vgpr59_vgpr60
	s_and_saveexec_b32 s0, s13
	s_cbranch_execnz .LBB533_48
	s_branch .LBB533_49
.LBB533_71:
	s_mov_b32 s37, 0
                                        ; implicit-def: $sgpr2
                                        ; implicit-def: $vgpr111
                                        ; implicit-def: $vgpr60
                                        ; implicit-def: $vgpr112
                                        ; implicit-def: $vgpr62
                                        ; implicit-def: $vgpr61
                                        ; implicit-def: $vgpr64
                                        ; implicit-def: $vgpr63
                                        ; implicit-def: $vgpr66
                                        ; implicit-def: $vgpr65
                                        ; implicit-def: $vgpr68
                                        ; implicit-def: $vgpr67
                                        ; implicit-def: $vgpr70
                                        ; implicit-def: $vgpr69
                                        ; implicit-def: $vgpr72
	s_cbranch_execz .LBB533_55
.LBB533_72:
	v_mul_hi_i32 v59, 0x66666667, v3
	v_mul_hi_i32 v60, 0x66666667, v57
	;; [unrolled: 1-line block ×8, first 2 shown]
	v_lshrrev_b32_e32 v64, 31, v59
	v_ashrrev_i32_e32 v65, 2, v59
	v_lshrrev_b32_e32 v66, 31, v60
	v_ashrrev_i32_e32 v60, 2, v60
	;; [unrolled: 2-line block ×3, first 2 shown]
	v_add_nc_u32_e32 v64, v65, v64
	v_lshrrev_b32_e32 v65, 31, v62
	v_add_nc_u32_e32 v60, v60, v66
	v_ashrrev_i32_e32 v62, 2, v62
	v_add_nc_u32_e32 v61, v61, v67
	v_mul_hi_i32 v67, 0x66666667, v11
	v_lshrrev_b32_e32 v66, 31, v63
	v_cmp_ne_u32_e32 vcc_lo, v64, v60
	v_ashrrev_i32_e32 v63, 2, v63
	v_add_nc_u32_e32 v62, v62, v65
	v_mul_hi_i32 v71, 0x66666667, v17
	v_mul_hi_i32 v72, 0x66666667, v25
	v_cndmask_b32_e64 v111, 0, 1, vcc_lo
	v_cmp_ne_u32_e32 vcc_lo, v61, v64
	v_add_nc_u32_e32 v63, v63, v66
	v_lshrrev_b32_e32 v64, 31, v67
	v_ashrrev_i32_e32 v65, 2, v67
	v_lshrrev_b32_e32 v66, 31, v68
	v_cndmask_b32_e64 v60, 0, 1, vcc_lo
	v_cmp_ne_u32_e32 vcc_lo, v62, v61
	v_ashrrev_i32_e32 v67, 2, v68
	v_mul_hi_i32 v68, 0x66666667, v15
	v_add_nc_u32_e32 v64, v65, v64
	v_lshlrev_b32_e32 v59, 3, v0
	v_cndmask_b32_e64 v112, 0, 1, vcc_lo
	v_cmp_ne_u32_e32 vcc_lo, v63, v62
	v_add_nc_u32_e32 v65, v67, v66
	s_mov_b32 s0, exec_lo
	ds_store_b64 v59, v[57:58]
	v_lshrrev_b32_e32 v66, 31, v68
	v_cndmask_b32_e64 v62, 0, 1, vcc_lo
	v_ashrrev_i32_e32 v67, 2, v68
	v_cmp_ne_u32_e32 vcc_lo, v64, v63
	v_lshrrev_b32_e32 v68, 31, v69
	v_ashrrev_i32_e32 v69, 2, v69
	s_waitcnt lgkmcnt(0)
	v_add_nc_u32_e32 v66, v67, v66
	v_cndmask_b32_e64 v61, 0, 1, vcc_lo
	v_cmp_ne_u32_e32 vcc_lo, v65, v64
	v_add_nc_u32_e32 v67, v69, v68
	v_lshrrev_b32_e32 v68, 31, v70
	v_ashrrev_i32_e32 v69, 2, v70
	v_lshrrev_b32_e32 v70, 31, v71
	v_ashrrev_i32_e32 v71, 2, v71
	v_cndmask_b32_e64 v64, 0, 1, vcc_lo
	v_cmp_ne_u32_e32 vcc_lo, v66, v65
	v_add_nc_u32_e32 v68, v69, v68
	s_barrier
	v_add_nc_u32_e32 v69, v71, v70
	v_mul_hi_i32 v70, 0x66666667, v23
	v_cndmask_b32_e64 v63, 0, 1, vcc_lo
	v_cmp_ne_u32_e32 vcc_lo, v67, v66
	v_mul_hi_i32 v71, 0x66666667, v21
	buffer_gl0_inv
                                        ; implicit-def: $sgpr2
	v_cndmask_b32_e64 v66, 0, 1, vcc_lo
	v_cmp_ne_u32_e32 vcc_lo, v68, v67
	v_lshrrev_b32_e32 v75, 31, v70
	v_ashrrev_i32_e32 v70, 2, v70
	v_mul_hi_i32 v67, 0x66666667, v27
	v_lshrrev_b32_e32 v76, 31, v71
	v_cndmask_b32_e64 v65, 0, 1, vcc_lo
	v_cmp_ne_u32_e32 vcc_lo, v69, v68
	v_ashrrev_i32_e32 v71, 2, v71
	v_add_nc_u32_e32 v70, v70, v75
	v_lshrrev_b32_e32 v75, 31, v72
	v_ashrrev_i32_e32 v72, 2, v72
	v_cndmask_b32_e64 v68, 0, 1, vcc_lo
	v_lshrrev_b32_e32 v77, 31, v67
	v_ashrrev_i32_e32 v67, 2, v67
	v_add_nc_u32_e32 v76, v71, v76
	v_cmp_ne_u32_e32 vcc_lo, v70, v69
	v_add_nc_u32_e32 v71, v72, v75
	s_delay_alu instid0(VALU_DEP_4) | instskip(SKIP_3) | instid1(VALU_DEP_4)
	v_add_nc_u32_e32 v77, v67, v77
	v_cndmask_b32_e64 v67, 0, 1, vcc_lo
	v_cmp_ne_u32_e32 vcc_lo, v76, v70
	v_cndmask_b32_e64 v70, 0, 1, vcc_lo
	v_cmp_ne_u32_e32 vcc_lo, v77, v76
	;; [unrolled: 2-line block ×3, first 2 shown]
	v_cndmask_b32_e64 v72, 0, 1, vcc_lo
	v_cmpx_ne_u32_e32 0, v0
	s_xor_b32 s0, exec_lo, s0
	s_cbranch_execz .LBB533_74
; %bb.73:
	v_add_nc_u32_e32 v59, -8, v59
	s_or_b32 s37, s37, exec_lo
	ds_load_b32 v59, v59
	s_waitcnt lgkmcnt(0)
	v_mul_hi_i32 v59, 0x66666667, v59
	s_delay_alu instid0(VALU_DEP_1) | instskip(SKIP_1) | instid1(VALU_DEP_1)
	v_lshrrev_b32_e32 v75, 31, v59
	v_ashrrev_i32_e32 v59, 2, v59
	v_add_nc_u32_e32 v59, v59, v75
	s_delay_alu instid0(VALU_DEP_1)
	v_cmp_ne_u32_e32 vcc_lo, v59, v71
	s_and_b32 s2, vcc_lo, exec_lo
.LBB533_74:
	s_or_b32 exec_lo, exec_lo, s0
	s_mov_b32 s0, 1
	s_branch .LBB533_110
.LBB533_75:
	s_mul_hi_u32 s0, s34, 0xfffff100
	s_mul_i32 s1, s35, 0xfffff100
	s_sub_i32 s0, s0, s34
	s_mul_i32 s2, s34, 0xfffff100
	s_add_i32 s1, s0, s1
	s_add_u32 s0, s2, s28
	s_addc_u32 s1, s1, s29
	s_and_b32 vcc_lo, exec_lo, s38
	s_cbranch_vccz .LBB533_247
; %bb.76:
	v_add_co_u32 v59, s2, -8, s14
	s_delay_alu instid0(VALU_DEP_1)
	v_add_co_ci_u32_e64 v60, null, -1, s36, s2
	v_mul_u32_u24_e32 v77, 15, v0
	s_mov_b32 s2, exec_lo
	v_mov_b32_e32 v111, 0
	flat_load_b64 v[75:76], v[59:60]
	v_mad_u32_u24 v59, v0, 15, 14
	v_mov_b32_e32 v60, 0
	s_waitcnt vmcnt(0) lgkmcnt(0)
	v_lshlrev_b32_e32 v76, 3, v0
	ds_store_b64 v76, v[57:58]
	v_cmpx_gt_u64_e64 s[0:1], v[59:60]
; %bb.77:
	v_mul_hi_i32 v59, 0x66666667, v3
	v_mul_hi_i32 v61, 0x66666667, v57
	s_delay_alu instid0(VALU_DEP_2) | instskip(SKIP_1) | instid1(VALU_DEP_3)
	v_lshrrev_b32_e32 v62, 31, v59
	v_ashrrev_i32_e32 v59, 2, v59
	v_lshrrev_b32_e32 v63, 31, v61
	v_ashrrev_i32_e32 v61, 2, v61
	s_delay_alu instid0(VALU_DEP_3) | instskip(NEXT) | instid1(VALU_DEP_2)
	v_add_nc_u32_e32 v59, v59, v62
	v_add_nc_u32_e32 v61, v61, v63
	s_delay_alu instid0(VALU_DEP_1)
	v_cmp_ne_u32_e32 vcc_lo, v59, v61
	v_cndmask_b32_e64 v111, 0, 1, vcc_lo
; %bb.78:
	s_or_b32 exec_lo, exec_lo, s2
	v_add_nc_u32_e32 v59, 13, v77
	s_mov_b32 s2, exec_lo
	s_delay_alu instid0(VALU_DEP_1)
	v_cmpx_gt_u64_e64 s[0:1], v[59:60]
; %bb.79:
	v_mul_hi_i32 v59, 0x66666667, v1
	v_mul_hi_i32 v60, 0x66666667, v3
	s_delay_alu instid0(VALU_DEP_2) | instskip(SKIP_1) | instid1(VALU_DEP_3)
	v_lshrrev_b32_e32 v61, 31, v59
	v_ashrrev_i32_e32 v59, 2, v59
	v_lshrrev_b32_e32 v62, 31, v60
	v_ashrrev_i32_e32 v60, 2, v60
	s_delay_alu instid0(VALU_DEP_3) | instskip(NEXT) | instid1(VALU_DEP_2)
	v_add_nc_u32_e32 v59, v59, v61
	v_add_nc_u32_e32 v60, v60, v62
	s_delay_alu instid0(VALU_DEP_1)
	v_cmp_ne_u32_e32 vcc_lo, v59, v60
	v_cndmask_b32_e64 v60, 0, 1, vcc_lo
; %bb.80:
	s_or_b32 exec_lo, exec_lo, s2
	v_dual_mov_b32 v62, 0 :: v_dual_add_nc_u32 v61, 12, v77
	v_mov_b32_e32 v112, 0
	s_mov_b32 s2, exec_lo
	s_delay_alu instid0(VALU_DEP_2)
	v_cmpx_gt_u64_e64 s[0:1], v[61:62]
; %bb.81:
	v_mul_hi_i32 v59, 0x66666667, v7
	v_mul_hi_i32 v61, 0x66666667, v1
	s_delay_alu instid0(VALU_DEP_2) | instskip(SKIP_1) | instid1(VALU_DEP_3)
	v_lshrrev_b32_e32 v63, 31, v59
	v_ashrrev_i32_e32 v59, 2, v59
	v_lshrrev_b32_e32 v64, 31, v61
	v_ashrrev_i32_e32 v61, 2, v61
	s_delay_alu instid0(VALU_DEP_3) | instskip(NEXT) | instid1(VALU_DEP_2)
	v_add_nc_u32_e32 v59, v59, v63
	v_add_nc_u32_e32 v61, v61, v64
	s_delay_alu instid0(VALU_DEP_1)
	v_cmp_ne_u32_e32 vcc_lo, v59, v61
	v_cndmask_b32_e64 v112, 0, 1, vcc_lo
; %bb.82:
	s_or_b32 exec_lo, exec_lo, s2
	v_add_nc_u32_e32 v61, 11, v77
	s_mov_b32 s2, exec_lo
	s_delay_alu instid0(VALU_DEP_1)
	v_cmpx_gt_u64_e64 s[0:1], v[61:62]
; %bb.83:
	v_mul_hi_i32 v59, 0x66666667, v5
	v_mul_hi_i32 v61, 0x66666667, v7
	s_delay_alu instid0(VALU_DEP_2) | instskip(SKIP_1) | instid1(VALU_DEP_3)
	v_lshrrev_b32_e32 v62, 31, v59
	v_ashrrev_i32_e32 v59, 2, v59
	v_lshrrev_b32_e32 v63, 31, v61
	v_ashrrev_i32_e32 v61, 2, v61
	s_delay_alu instid0(VALU_DEP_3) | instskip(NEXT) | instid1(VALU_DEP_2)
	v_add_nc_u32_e32 v59, v59, v62
	v_add_nc_u32_e32 v61, v61, v63
	s_delay_alu instid0(VALU_DEP_1)
	v_cmp_ne_u32_e32 vcc_lo, v59, v61
	v_cndmask_b32_e64 v62, 0, 1, vcc_lo
; %bb.84:
	s_or_b32 exec_lo, exec_lo, s2
	v_dual_mov_b32 v64, 0 :: v_dual_add_nc_u32 v63, 10, v77
	v_mov_b32_e32 v61, 0
	s_mov_b32 s2, exec_lo
	s_delay_alu instid0(VALU_DEP_2)
	;; [unrolled: 41-line block ×6, first 2 shown]
	v_cmpx_gt_u64_e64 s[0:1], v[71:72]
; %bb.101:
	v_mul_hi_i32 v59, 0x66666667, v27
	v_mul_hi_i32 v69, 0x66666667, v21
	s_delay_alu instid0(VALU_DEP_2) | instskip(SKIP_1) | instid1(VALU_DEP_3)
	v_lshrrev_b32_e32 v71, 31, v59
	v_ashrrev_i32_e32 v59, 2, v59
	v_lshrrev_b32_e32 v78, 31, v69
	v_ashrrev_i32_e32 v69, 2, v69
	s_delay_alu instid0(VALU_DEP_3) | instskip(NEXT) | instid1(VALU_DEP_2)
	v_add_nc_u32_e32 v59, v59, v71
	v_add_nc_u32_e32 v69, v69, v78
	s_delay_alu instid0(VALU_DEP_1)
	v_cmp_ne_u32_e32 vcc_lo, v59, v69
	v_cndmask_b32_e64 v69, 0, 1, vcc_lo
; %bb.102:
	s_or_b32 exec_lo, exec_lo, s2
	v_add_nc_u32_e32 v71, 1, v77
	s_mov_b32 s2, exec_lo
	s_delay_alu instid0(VALU_DEP_1)
	v_cmpx_gt_u64_e64 s[0:1], v[71:72]
; %bb.103:
	v_mul_hi_i32 v59, 0x66666667, v25
	v_mul_hi_i32 v71, 0x66666667, v27
	s_delay_alu instid0(VALU_DEP_2) | instskip(SKIP_1) | instid1(VALU_DEP_3)
	v_lshrrev_b32_e32 v72, 31, v59
	v_ashrrev_i32_e32 v59, 2, v59
	v_lshrrev_b32_e32 v78, 31, v71
	v_ashrrev_i32_e32 v71, 2, v71
	s_delay_alu instid0(VALU_DEP_3) | instskip(NEXT) | instid1(VALU_DEP_2)
	v_add_nc_u32_e32 v59, v59, v72
	v_add_nc_u32_e32 v71, v71, v78
	s_delay_alu instid0(VALU_DEP_1)
	v_cmp_ne_u32_e32 vcc_lo, v59, v71
	v_cndmask_b32_e64 v72, 0, 1, vcc_lo
; %bb.104:
	s_or_b32 exec_lo, exec_lo, s2
	s_mov_b32 s2, 0
	s_mov_b32 s3, exec_lo
	s_waitcnt lgkmcnt(0)
	s_barrier
	buffer_gl0_inv
	v_cmpx_ne_u32_e32 0, v0
	s_cbranch_execz .LBB533_106
; %bb.105:
	v_add_nc_u32_e32 v59, -8, v76
	ds_load_b64 v[75:76], v59
.LBB533_106:
	s_or_b32 exec_lo, exec_lo, s3
	v_mov_b32_e32 v78, 0
	s_mov_b32 s3, exec_lo
	s_delay_alu instid0(VALU_DEP_1)
	v_cmpx_gt_u64_e64 s[0:1], v[77:78]
	s_cbranch_execz .LBB533_108
; %bb.107:
	s_waitcnt lgkmcnt(0)
	v_mul_hi_i32 v59, 0x66666667, v75
	v_mul_hi_i32 v71, 0x66666667, v25
	s_delay_alu instid0(VALU_DEP_2) | instskip(SKIP_1) | instid1(VALU_DEP_3)
	v_lshrrev_b32_e32 v75, 31, v59
	v_ashrrev_i32_e32 v59, 2, v59
	v_lshrrev_b32_e32 v76, 31, v71
	v_ashrrev_i32_e32 v71, 2, v71
	s_delay_alu instid0(VALU_DEP_3) | instskip(NEXT) | instid1(VALU_DEP_2)
	v_add_nc_u32_e32 v59, v59, v75
	v_add_nc_u32_e32 v71, v71, v76
	s_delay_alu instid0(VALU_DEP_1)
	v_cmp_ne_u32_e32 vcc_lo, v59, v71
	s_and_b32 s2, vcc_lo, exec_lo
.LBB533_108:
	s_or_b32 exec_lo, exec_lo, s3
	s_mov_b32 s37, -1
.LBB533_109:
                                        ; implicit-def: $sgpr0
.LBB533_110:
	v_mov_b32_e32 v71, s0
	s_and_saveexec_b32 s0, s37
.LBB533_111:
	v_cndmask_b32_e64 v71, 0, 1, s2
.LBB533_112:
	s_or_b32 exec_lo, exec_lo, s0
	s_delay_alu instid0(VALU_DEP_1)
	v_add3_u32 v59, v72, v71, v69
	v_dual_mov_b32 v107, v53 :: v_dual_mov_b32 v108, v54
	v_cmp_eq_u32_e64 s12, 0, v72
	v_cmp_eq_u32_e64 s11, 0, v69
	v_cmp_eq_u32_e64 s10, 0, v70
	v_add3_u32 v115, v59, v70, v67
	v_cmp_eq_u32_e64 s9, 0, v67
	v_cmp_eq_u32_e64 s8, 0, v68
	;; [unrolled: 1-line block ×10, first 2 shown]
	v_cmp_eq_u32_e32 vcc_lo, 0, v111
	v_mbcnt_lo_u32_b32 v114, -1, 0
	s_cmp_eq_u64 s[22:23], 0
	s_cselect_b32 s14, -1, 0
	s_cmp_lg_u32 s15, 0
	s_cbranch_scc0 .LBB533_179
; %bb.113:
	v_cndmask_b32_e64 v59, 0, v53, s12
	s_waitcnt lgkmcnt(0)
	v_cndmask_b32_e64 v75, 0, v54, s12
	v_add3_u32 v76, v115, v68, v65
	s_delay_alu instid0(VALU_DEP_3) | instskip(NEXT) | instid1(VALU_DEP_1)
	v_add_co_u32 v59, s13, v59, v55
	v_add_co_ci_u32_e64 v75, s13, v75, v56, s13
	s_delay_alu instid0(VALU_DEP_3) | instskip(NEXT) | instid1(VALU_DEP_3)
	v_add3_u32 v76, v76, v66, v63
	v_cndmask_b32_e64 v59, 0, v59, s11
	s_delay_alu instid0(VALU_DEP_3) | instskip(NEXT) | instid1(VALU_DEP_3)
	v_cndmask_b32_e64 v75, 0, v75, s11
	v_add3_u32 v76, v76, v64, v61
	s_delay_alu instid0(VALU_DEP_3) | instskip(NEXT) | instid1(VALU_DEP_1)
	v_add_co_u32 v59, s13, v59, v49
	v_add_co_ci_u32_e64 v75, s13, v75, v50, s13
	s_delay_alu instid0(VALU_DEP_3) | instskip(NEXT) | instid1(VALU_DEP_3)
	v_add3_u32 v76, v76, v62, v112
	v_cndmask_b32_e64 v59, 0, v59, s10
	s_delay_alu instid0(VALU_DEP_3) | instskip(NEXT) | instid1(VALU_DEP_3)
	v_cndmask_b32_e64 v75, 0, v75, s10
	v_add3_u32 v79, v76, v60, v111
	s_delay_alu instid0(VALU_DEP_3) | instskip(NEXT) | instid1(VALU_DEP_1)
	v_add_co_u32 v59, s13, v59, v51
	v_add_co_ci_u32_e64 v75, s13, v75, v52, s13
	s_delay_alu instid0(VALU_DEP_2) | instskip(NEXT) | instid1(VALU_DEP_2)
	v_cndmask_b32_e64 v59, 0, v59, s9
	v_cndmask_b32_e64 v75, 0, v75, s9
	s_delay_alu instid0(VALU_DEP_2) | instskip(NEXT) | instid1(VALU_DEP_1)
	v_add_co_u32 v59, s13, v59, v45
	v_add_co_ci_u32_e64 v75, s13, v75, v46, s13
	s_delay_alu instid0(VALU_DEP_2) | instskip(NEXT) | instid1(VALU_DEP_2)
	v_cndmask_b32_e64 v59, 0, v59, s8
	v_cndmask_b32_e64 v75, 0, v75, s8
	s_delay_alu instid0(VALU_DEP_2) | instskip(NEXT) | instid1(VALU_DEP_1)
	;; [unrolled: 6-line block ×10, first 2 shown]
	v_add_co_u32 v59, s13, v59, v31
	v_add_co_ci_u32_e64 v75, s13, v75, v32, s13
	s_mov_b32 s13, exec_lo
	s_delay_alu instid0(VALU_DEP_2) | instskip(NEXT) | instid1(VALU_DEP_2)
	v_cndmask_b32_e32 v59, 0, v59, vcc_lo
	v_cndmask_b32_e32 v75, 0, v75, vcc_lo
	s_delay_alu instid0(VALU_DEP_2) | instskip(NEXT) | instid1(VALU_DEP_2)
	v_add_co_u32 v77, vcc_lo, v59, v73
	v_add_co_ci_u32_e32 v78, vcc_lo, v75, v74, vcc_lo
	v_and_b32_e32 v59, 15, v114
	v_mov_b32_dpp v75, v79 row_shr:1 row_mask:0xf bank_mask:0xf
	s_delay_alu instid0(VALU_DEP_4) | instskip(NEXT) | instid1(VALU_DEP_4)
	v_mov_b32_dpp v76, v77 row_shr:1 row_mask:0xf bank_mask:0xf
	v_mov_b32_dpp v80, v78 row_shr:1 row_mask:0xf bank_mask:0xf
	s_delay_alu instid0(VALU_DEP_4)
	v_cmpx_ne_u32_e32 0, v59
; %bb.114:
	v_cmp_eq_u32_e32 vcc_lo, 0, v79
	s_delay_alu instid0(VALU_DEP_4) | instskip(NEXT) | instid1(VALU_DEP_4)
	v_dual_cndmask_b32 v76, 0, v76 :: v_dual_add_nc_u32 v79, v75, v79
	v_cndmask_b32_e32 v80, 0, v80, vcc_lo
	s_delay_alu instid0(VALU_DEP_2) | instskip(NEXT) | instid1(VALU_DEP_2)
	v_add_co_u32 v77, vcc_lo, v76, v77
	v_add_co_ci_u32_e32 v78, vcc_lo, v80, v78, vcc_lo
; %bb.115:
	s_or_b32 exec_lo, exec_lo, s13
	v_mov_b32_dpp v75, v79 row_shr:2 row_mask:0xf bank_mask:0xf
	s_delay_alu instid0(VALU_DEP_3) | instskip(NEXT) | instid1(VALU_DEP_3)
	v_mov_b32_dpp v76, v77 row_shr:2 row_mask:0xf bank_mask:0xf
	v_mov_b32_dpp v80, v78 row_shr:2 row_mask:0xf bank_mask:0xf
	s_mov_b32 s13, exec_lo
	v_cmpx_lt_u32_e32 1, v59
; %bb.116:
	v_cmp_eq_u32_e32 vcc_lo, 0, v79
	v_dual_cndmask_b32 v76, 0, v76 :: v_dual_add_nc_u32 v79, v75, v79
	v_cndmask_b32_e32 v80, 0, v80, vcc_lo
	s_delay_alu instid0(VALU_DEP_2) | instskip(NEXT) | instid1(VALU_DEP_2)
	v_add_co_u32 v77, vcc_lo, v76, v77
	v_add_co_ci_u32_e32 v78, vcc_lo, v80, v78, vcc_lo
; %bb.117:
	s_or_b32 exec_lo, exec_lo, s13
	v_mov_b32_dpp v75, v79 row_shr:4 row_mask:0xf bank_mask:0xf
	s_delay_alu instid0(VALU_DEP_3) | instskip(NEXT) | instid1(VALU_DEP_3)
	v_mov_b32_dpp v76, v77 row_shr:4 row_mask:0xf bank_mask:0xf
	v_mov_b32_dpp v80, v78 row_shr:4 row_mask:0xf bank_mask:0xf
	s_mov_b32 s13, exec_lo
	v_cmpx_lt_u32_e32 3, v59
; %bb.118:
	v_cmp_eq_u32_e32 vcc_lo, 0, v79
	;; [unrolled: 15-line block ×3, first 2 shown]
	v_dual_cndmask_b32 v76, 0, v76 :: v_dual_add_nc_u32 v79, v75, v79
	v_cndmask_b32_e32 v59, 0, v80, vcc_lo
	s_delay_alu instid0(VALU_DEP_2) | instskip(NEXT) | instid1(VALU_DEP_2)
	v_add_co_u32 v77, vcc_lo, v76, v77
	v_add_co_ci_u32_e32 v78, vcc_lo, v59, v78, vcc_lo
; %bb.121:
	s_or_b32 exec_lo, exec_lo, s13
	ds_swizzle_b32 v59, v79 offset:swizzle(BROADCAST,32,15)
	ds_swizzle_b32 v75, v77 offset:swizzle(BROADCAST,32,15)
	;; [unrolled: 1-line block ×3, first 2 shown]
	v_and_b32_e32 v80, 16, v114
	s_mov_b32 s13, exec_lo
	s_delay_alu instid0(VALU_DEP_1)
	v_cmpx_ne_u32_e32 0, v80
	s_cbranch_execz .LBB533_123
; %bb.122:
	v_cmp_eq_u32_e32 vcc_lo, 0, v79
	s_waitcnt lgkmcnt(0)
	v_dual_cndmask_b32 v76, 0, v76 :: v_dual_add_nc_u32 v79, v59, v79
	v_cndmask_b32_e32 v75, 0, v75, vcc_lo
	s_delay_alu instid0(VALU_DEP_1) | instskip(NEXT) | instid1(VALU_DEP_3)
	v_add_co_u32 v77, vcc_lo, v75, v77
	v_add_co_ci_u32_e32 v78, vcc_lo, v76, v78, vcc_lo
.LBB533_123:
	s_or_b32 exec_lo, exec_lo, s13
	s_waitcnt lgkmcnt(1)
	v_lshrrev_b32_e32 v75, 5, v0
	v_or_b32_e32 v59, 31, v0
	s_mov_b32 s13, exec_lo
	s_delay_alu instid0(VALU_DEP_2) | instskip(NEXT) | instid1(VALU_DEP_2)
	v_lshlrev_b32_e32 v80, 4, v75
	v_cmpx_eq_u32_e64 v59, v0
	s_cbranch_execz .LBB533_125
; %bb.124:
	ds_store_b32 v80, v79 offset:4128
	ds_store_b64 v80, v[77:78] offset:4136
.LBB533_125:
	s_or_b32 exec_lo, exec_lo, s13
	s_delay_alu instid0(SALU_CYCLE_1)
	s_mov_b32 s13, exec_lo
	s_waitcnt lgkmcnt(0)
	s_barrier
	buffer_gl0_inv
	v_cmpx_gt_u32_e32 8, v0
	s_cbranch_execz .LBB533_133
; %bb.126:
	v_lshlrev_b32_e32 v59, 4, v0
	v_and_b32_e32 v82, 7, v114
	s_mov_b32 s22, exec_lo
	ds_load_b32 v81, v59 offset:4128
	ds_load_b64 v[75:76], v59 offset:4136
	s_waitcnt lgkmcnt(1)
	v_mov_b32_dpp v83, v81 row_shr:1 row_mask:0xf bank_mask:0xf
	s_waitcnt lgkmcnt(0)
	v_mov_b32_dpp v84, v75 row_shr:1 row_mask:0xf bank_mask:0xf
	v_mov_b32_dpp v85, v76 row_shr:1 row_mask:0xf bank_mask:0xf
	v_cmpx_ne_u32_e32 0, v82
; %bb.127:
	v_cmp_eq_u32_e32 vcc_lo, 0, v81
	v_add_nc_u32_e32 v81, v83, v81
	s_delay_alu instid0(VALU_DEP_4) | instskip(NEXT) | instid1(VALU_DEP_1)
	v_dual_cndmask_b32 v85, 0, v85 :: v_dual_cndmask_b32 v84, 0, v84
	v_add_co_u32 v75, vcc_lo, v84, v75
	s_delay_alu instid0(VALU_DEP_2)
	v_add_co_ci_u32_e32 v76, vcc_lo, v85, v76, vcc_lo
; %bb.128:
	s_or_b32 exec_lo, exec_lo, s22
	v_mov_b32_dpp v83, v81 row_shr:2 row_mask:0xf bank_mask:0xf
	s_delay_alu instid0(VALU_DEP_3) | instskip(NEXT) | instid1(VALU_DEP_3)
	v_mov_b32_dpp v84, v75 row_shr:2 row_mask:0xf bank_mask:0xf
	v_mov_b32_dpp v85, v76 row_shr:2 row_mask:0xf bank_mask:0xf
	s_mov_b32 s22, exec_lo
	v_cmpx_lt_u32_e32 1, v82
; %bb.129:
	v_cmp_eq_u32_e32 vcc_lo, 0, v81
	v_add_nc_u32_e32 v81, v83, v81
	v_dual_cndmask_b32 v85, 0, v85 :: v_dual_cndmask_b32 v84, 0, v84
	s_delay_alu instid0(VALU_DEP_1) | instskip(NEXT) | instid1(VALU_DEP_2)
	v_add_co_u32 v75, vcc_lo, v84, v75
	v_add_co_ci_u32_e32 v76, vcc_lo, v85, v76, vcc_lo
; %bb.130:
	s_or_b32 exec_lo, exec_lo, s22
	v_mov_b32_dpp v83, v81 row_shr:4 row_mask:0xf bank_mask:0xf
	s_delay_alu instid0(VALU_DEP_3) | instskip(NEXT) | instid1(VALU_DEP_3)
	v_mov_b32_dpp v84, v75 row_shr:4 row_mask:0xf bank_mask:0xf
	v_mov_b32_dpp v85, v76 row_shr:4 row_mask:0xf bank_mask:0xf
	s_mov_b32 s22, exec_lo
	v_cmpx_lt_u32_e32 3, v82
; %bb.131:
	v_cmp_eq_u32_e32 vcc_lo, 0, v81
	v_dual_cndmask_b32 v84, 0, v84 :: v_dual_add_nc_u32 v81, v83, v81
	v_cndmask_b32_e32 v82, 0, v85, vcc_lo
	s_delay_alu instid0(VALU_DEP_2) | instskip(NEXT) | instid1(VALU_DEP_2)
	v_add_co_u32 v75, vcc_lo, v84, v75
	v_add_co_ci_u32_e32 v76, vcc_lo, v82, v76, vcc_lo
; %bb.132:
	s_or_b32 exec_lo, exec_lo, s22
	ds_store_b32 v59, v81 offset:4128
	ds_store_b64 v59, v[75:76] offset:4136
.LBB533_133:
	s_or_b32 exec_lo, exec_lo, s13
	v_mov_b32_e32 v75, 0
	v_cmp_gt_u32_e32 vcc_lo, 32, v0
	v_dual_mov_b32 v76, 0 :: v_dual_mov_b32 v59, 0
	s_mov_b32 s22, exec_lo
	s_waitcnt lgkmcnt(0)
	s_barrier
	buffer_gl0_inv
	v_cmpx_lt_u32_e32 31, v0
	s_cbranch_execz .LBB533_135
; %bb.134:
	ds_load_b64 v[75:76], v80 offset:4120
	ds_load_b32 v59, v80 offset:4112
	v_cmp_eq_u32_e64 s13, 0, v79
	s_waitcnt lgkmcnt(1)
	s_delay_alu instid0(VALU_DEP_1) | instskip(SKIP_3) | instid1(VALU_DEP_3)
	v_cndmask_b32_e64 v81, 0, v75, s13
	v_cndmask_b32_e64 v80, 0, v76, s13
	s_waitcnt lgkmcnt(0)
	v_add_nc_u32_e32 v79, v59, v79
	v_add_co_u32 v77, s13, v81, v77
	s_delay_alu instid0(VALU_DEP_1)
	v_add_co_ci_u32_e64 v78, s13, v80, v78, s13
.LBB533_135:
	s_or_b32 exec_lo, exec_lo, s22
	v_add_nc_u32_e32 v80, -1, v114
	s_delay_alu instid0(VALU_DEP_1) | instskip(NEXT) | instid1(VALU_DEP_1)
	v_cmp_gt_i32_e64 s13, 0, v80
	v_cndmask_b32_e64 v80, v80, v114, s13
	v_cmp_eq_u32_e64 s13, 0, v114
	s_delay_alu instid0(VALU_DEP_2)
	v_lshlrev_b32_e32 v80, 2, v80
	ds_bpermute_b32 v87, v80, v79
	ds_bpermute_b32 v86, v80, v77
	;; [unrolled: 1-line block ×3, first 2 shown]
	s_and_saveexec_b32 s22, vcc_lo
	s_cbranch_execz .LBB533_178
; %bb.136:
	v_mov_b32_e32 v81, 0
	ds_load_b32 v88, v81 offset:4240
	ds_load_b64 v[77:78], v81 offset:4248
	s_and_saveexec_b32 s23, s13
	s_cbranch_execz .LBB533_138
; %bb.137:
	s_add_i32 s28, s15, 32
	s_mov_b32 s29, 0
	v_dual_mov_b32 v79, s28 :: v_dual_mov_b32 v80, 1
	s_lshl_b64 s[34:35], s[28:29], 4
	s_delay_alu instid0(SALU_CYCLE_1)
	s_add_u32 s28, s16, s34
	s_addc_u32 s29, s17, s35
	s_waitcnt lgkmcnt(1)
	global_store_b32 v81, v88, s[28:29]
	s_waitcnt lgkmcnt(0)
	global_store_b64 v81, v[77:78], s[28:29] offset:8
	s_waitcnt_vscnt null, 0x0
	buffer_gl1_inv
	buffer_gl0_inv
	global_store_b8 v79, v80, s[20:21]
.LBB533_138:
	s_or_b32 exec_lo, exec_lo, s23
	v_xad_u32 v79, v114, -1, s15
	s_mov_b32 s28, 0
	s_mov_b32 s23, exec_lo
	s_delay_alu instid0(VALU_DEP_1)
	v_add_nc_u32_e32 v80, 32, v79
	global_load_u8 v89, v80, s[20:21] glc
	s_waitcnt vmcnt(0)
	v_cmpx_eq_u16_e32 0, v89
	s_cbranch_execz .LBB533_144
; %bb.139:
	v_add_co_u32 v82, s29, s20, v80
	s_delay_alu instid0(VALU_DEP_1)
	v_add_co_ci_u32_e64 v83, null, s21, 0, s29
	s_mov_b32 s29, 1
.LBB533_140:                            ; =>This Loop Header: Depth=1
                                        ;     Child Loop BB533_141 Depth 2
	s_delay_alu instid0(SALU_CYCLE_1)
	s_max_u32 s34, s29, 1
.LBB533_141:                            ;   Parent Loop BB533_140 Depth=1
                                        ; =>  This Inner Loop Header: Depth=2
	s_delay_alu instid0(SALU_CYCLE_1)
	s_add_i32 s34, s34, -1
	s_sleep 1
	s_cmp_eq_u32 s34, 0
	s_cbranch_scc0 .LBB533_141
; %bb.142:                              ;   in Loop: Header=BB533_140 Depth=1
	global_load_u8 v89, v[82:83], off glc
	s_cmp_lt_u32 s29, 32
	s_cselect_b32 s34, -1, 0
	s_delay_alu instid0(SALU_CYCLE_1) | instskip(SKIP_4) | instid1(SALU_CYCLE_1)
	s_cmp_lg_u32 s34, 0
	s_addc_u32 s29, s29, 0
	s_waitcnt vmcnt(0)
	v_cmp_ne_u16_e32 vcc_lo, 0, v89
	s_or_b32 s28, vcc_lo, s28
	s_and_not1_b32 exec_lo, exec_lo, s28
	s_cbranch_execnz .LBB533_140
; %bb.143:
	s_or_b32 exec_lo, exec_lo, s28
.LBB533_144:
	s_delay_alu instid0(SALU_CYCLE_1)
	s_or_b32 exec_lo, exec_lo, s23
	v_dual_mov_b32 v82, s17 :: v_dual_mov_b32 v83, s16
	v_cmp_eq_u16_e32 vcc_lo, 1, v89
	v_lshlrev_b64 v[80:81], 4, v[80:81]
	s_waitcnt lgkmcnt(0)
	s_waitcnt_vscnt null, 0x0
	buffer_gl1_inv
	buffer_gl0_inv
	v_lshlrev_b32_e64 v91, v114, -1
	s_mov_b32 s23, exec_lo
	v_cndmask_b32_e32 v83, s18, v83, vcc_lo
	v_cndmask_b32_e32 v82, s19, v82, vcc_lo
	s_delay_alu instid0(VALU_DEP_2) | instskip(NEXT) | instid1(VALU_DEP_2)
	v_add_co_u32 v80, vcc_lo, v83, v80
	v_add_co_ci_u32_e32 v81, vcc_lo, v82, v81, vcc_lo
	v_cmp_ne_u32_e32 vcc_lo, 31, v114
	s_clause 0x1
	global_load_b32 v101, v[80:81], off
	global_load_b64 v[83:84], v[80:81], off offset:8
	v_add_co_ci_u32_e32 v80, vcc_lo, 0, v114, vcc_lo
	v_cmp_eq_u16_e32 vcc_lo, 2, v89
	s_delay_alu instid0(VALU_DEP_2) | instskip(SKIP_1) | instid1(VALU_DEP_1)
	v_lshlrev_b32_e32 v90, 2, v80
	v_and_or_b32 v80, vcc_lo, v91, 0x80000000
	v_ctz_i32_b32_e32 v80, v80
	s_waitcnt vmcnt(1)
	ds_bpermute_b32 v81, v90, v101
	s_waitcnt vmcnt(0)
	ds_bpermute_b32 v82, v90, v83
	ds_bpermute_b32 v92, v90, v84
	v_cmpx_lt_u32_e64 v114, v80
	s_cbranch_execz .LBB533_146
; %bb.145:
	v_cmp_eq_u32_e32 vcc_lo, 0, v101
	s_waitcnt lgkmcnt(1)
	v_dual_cndmask_b32 v82, 0, v82 :: v_dual_add_nc_u32 v101, v81, v101
	s_waitcnt lgkmcnt(0)
	v_cndmask_b32_e32 v92, 0, v92, vcc_lo
	s_delay_alu instid0(VALU_DEP_2) | instskip(NEXT) | instid1(VALU_DEP_2)
	v_add_co_u32 v83, vcc_lo, v82, v83
	v_add_co_ci_u32_e32 v84, vcc_lo, v92, v84, vcc_lo
.LBB533_146:
	s_or_b32 exec_lo, exec_lo, s23
	v_cmp_gt_u32_e32 vcc_lo, 30, v114
	v_add_nc_u32_e32 v93, 2, v114
	s_mov_b32 s23, exec_lo
	s_waitcnt lgkmcnt(2)
	v_cndmask_b32_e64 v81, 0, 1, vcc_lo
	s_delay_alu instid0(VALU_DEP_1) | instskip(SKIP_1) | instid1(VALU_DEP_1)
	v_lshlrev_b32_e32 v81, 1, v81
	s_waitcnt lgkmcnt(0)
	v_add_lshl_u32 v92, v81, v114, 2
	ds_bpermute_b32 v81, v92, v101
	ds_bpermute_b32 v82, v92, v83
	ds_bpermute_b32 v94, v92, v84
	v_cmpx_le_u32_e64 v93, v80
	s_cbranch_execz .LBB533_148
; %bb.147:
	v_cmp_eq_u32_e32 vcc_lo, 0, v101
	s_waitcnt lgkmcnt(1)
	v_dual_cndmask_b32 v82, 0, v82 :: v_dual_add_nc_u32 v101, v81, v101
	s_waitcnt lgkmcnt(0)
	v_cndmask_b32_e32 v94, 0, v94, vcc_lo
	s_delay_alu instid0(VALU_DEP_2) | instskip(NEXT) | instid1(VALU_DEP_2)
	v_add_co_u32 v83, vcc_lo, v82, v83
	v_add_co_ci_u32_e32 v84, vcc_lo, v94, v84, vcc_lo
.LBB533_148:
	s_or_b32 exec_lo, exec_lo, s23
	v_cmp_gt_u32_e32 vcc_lo, 28, v114
	v_add_nc_u32_e32 v95, 4, v114
	s_mov_b32 s23, exec_lo
	s_waitcnt lgkmcnt(2)
	v_cndmask_b32_e64 v81, 0, 1, vcc_lo
	s_delay_alu instid0(VALU_DEP_1) | instskip(SKIP_1) | instid1(VALU_DEP_1)
	v_lshlrev_b32_e32 v81, 2, v81
	s_waitcnt lgkmcnt(0)
	v_add_lshl_u32 v94, v81, v114, 2
	ds_bpermute_b32 v81, v94, v101
	ds_bpermute_b32 v82, v94, v83
	ds_bpermute_b32 v96, v94, v84
	v_cmpx_le_u32_e64 v95, v80
	;; [unrolled: 25-line block ×3, first 2 shown]
	s_cbranch_execz .LBB533_152
; %bb.151:
	v_cmp_eq_u32_e32 vcc_lo, 0, v101
	s_waitcnt lgkmcnt(1)
	v_dual_cndmask_b32 v82, 0, v82 :: v_dual_add_nc_u32 v101, v81, v101
	s_waitcnt lgkmcnt(0)
	v_cndmask_b32_e32 v98, 0, v98, vcc_lo
	s_delay_alu instid0(VALU_DEP_2) | instskip(NEXT) | instid1(VALU_DEP_2)
	v_add_co_u32 v83, vcc_lo, v82, v83
	v_add_co_ci_u32_e32 v84, vcc_lo, v98, v84, vcc_lo
.LBB533_152:
	s_or_b32 exec_lo, exec_lo, s23
	v_cmp_gt_u32_e32 vcc_lo, 16, v114
	v_add_nc_u32_e32 v100, 16, v114
	s_mov_b32 s23, exec_lo
	s_waitcnt lgkmcnt(2)
	v_cndmask_b32_e64 v81, 0, 1, vcc_lo
	s_delay_alu instid0(VALU_DEP_1) | instskip(NEXT) | instid1(VALU_DEP_1)
	v_lshlrev_b32_e32 v81, 4, v81
	v_add_lshl_u32 v99, v81, v114, 2
	ds_bpermute_b32 v81, v99, v101
	s_waitcnt lgkmcnt(2)
	ds_bpermute_b32 v82, v99, v83
	s_waitcnt lgkmcnt(2)
	ds_bpermute_b32 v98, v99, v84
	v_cmpx_le_u32_e64 v100, v80
	s_cbranch_execz .LBB533_154
; %bb.153:
	v_cmp_eq_u32_e32 vcc_lo, 0, v101
	s_waitcnt lgkmcnt(1)
	v_dual_cndmask_b32 v82, 0, v82 :: v_dual_add_nc_u32 v101, v81, v101
	s_waitcnt lgkmcnt(0)
	v_cndmask_b32_e32 v80, 0, v98, vcc_lo
	s_delay_alu instid0(VALU_DEP_2) | instskip(NEXT) | instid1(VALU_DEP_2)
	v_add_co_u32 v83, vcc_lo, v82, v83
	v_add_co_ci_u32_e32 v84, vcc_lo, v80, v84, vcc_lo
.LBB533_154:
	s_or_b32 exec_lo, exec_lo, s23
	v_mov_b32_e32 v80, 0
	s_branch .LBB533_156
.LBB533_155:                            ;   in Loop: Header=BB533_156 Depth=1
	s_or_b32 exec_lo, exec_lo, s23
	v_cmp_eq_u32_e32 vcc_lo, 0, v98
	v_subrev_nc_u32_e32 v79, 32, v79
	v_add_nc_u32_e32 v101, v101, v98
	v_dual_cndmask_b32 v84, 0, v84 :: v_dual_cndmask_b32 v83, 0, v83
	s_delay_alu instid0(VALU_DEP_1) | instskip(NEXT) | instid1(VALU_DEP_2)
	v_add_co_u32 v83, vcc_lo, v83, v81
	v_add_co_ci_u32_e32 v84, vcc_lo, v84, v82, vcc_lo
.LBB533_156:                            ; =>This Loop Header: Depth=1
                                        ;     Child Loop BB533_159 Depth 2
                                        ;       Child Loop BB533_160 Depth 3
	s_waitcnt lgkmcnt(0)
	v_dual_mov_b32 v98, v101 :: v_dual_and_b32 v81, 0xff, v89
	s_delay_alu instid0(VALU_DEP_1) | instskip(SKIP_2) | instid1(VALU_DEP_1)
	v_cmp_ne_u16_e32 vcc_lo, 2, v81
	v_cndmask_b32_e64 v81, 0, 1, vcc_lo
	;;#ASMSTART
	;;#ASMEND
	v_cmp_ne_u32_e32 vcc_lo, 0, v81
	v_dual_mov_b32 v81, v83 :: v_dual_mov_b32 v82, v84
	s_cmp_lg_u32 vcc_lo, exec_lo
	s_cbranch_scc1 .LBB533_173
; %bb.157:                              ;   in Loop: Header=BB533_156 Depth=1
	global_load_u8 v89, v79, s[20:21] glc
	s_mov_b32 s23, exec_lo
	s_waitcnt vmcnt(0)
	v_cmpx_eq_u16_e32 0, v89
	s_cbranch_execz .LBB533_163
; %bb.158:                              ;   in Loop: Header=BB533_156 Depth=1
	v_add_co_u32 v83, s28, s20, v79
	s_delay_alu instid0(VALU_DEP_1)
	v_add_co_ci_u32_e64 v84, null, s21, 0, s28
	s_mov_b32 s29, 1
	s_mov_b32 s28, 0
.LBB533_159:                            ;   Parent Loop BB533_156 Depth=1
                                        ; =>  This Loop Header: Depth=2
                                        ;       Child Loop BB533_160 Depth 3
	s_max_u32 s34, s29, 1
.LBB533_160:                            ;   Parent Loop BB533_156 Depth=1
                                        ;     Parent Loop BB533_159 Depth=2
                                        ; =>    This Inner Loop Header: Depth=3
	s_delay_alu instid0(SALU_CYCLE_1)
	s_add_i32 s34, s34, -1
	s_sleep 1
	s_cmp_eq_u32 s34, 0
	s_cbranch_scc0 .LBB533_160
; %bb.161:                              ;   in Loop: Header=BB533_159 Depth=2
	global_load_u8 v89, v[83:84], off glc
	s_cmp_lt_u32 s29, 32
	s_cselect_b32 s34, -1, 0
	s_delay_alu instid0(SALU_CYCLE_1) | instskip(SKIP_4) | instid1(SALU_CYCLE_1)
	s_cmp_lg_u32 s34, 0
	s_addc_u32 s29, s29, 0
	s_waitcnt vmcnt(0)
	v_cmp_ne_u16_e32 vcc_lo, 0, v89
	s_or_b32 s28, vcc_lo, s28
	s_and_not1_b32 exec_lo, exec_lo, s28
	s_cbranch_execnz .LBB533_159
; %bb.162:                              ;   in Loop: Header=BB533_156 Depth=1
	s_or_b32 exec_lo, exec_lo, s28
.LBB533_163:                            ;   in Loop: Header=BB533_156 Depth=1
	s_delay_alu instid0(SALU_CYCLE_1)
	s_or_b32 exec_lo, exec_lo, s23
	v_dual_mov_b32 v101, s17 :: v_dual_mov_b32 v102, s16
	v_cmp_eq_u16_e32 vcc_lo, 1, v89
	v_lshlrev_b64 v[83:84], 4, v[79:80]
	buffer_gl1_inv
	buffer_gl0_inv
	s_mov_b32 s23, exec_lo
	v_cndmask_b32_e32 v102, s18, v102, vcc_lo
	v_cndmask_b32_e32 v101, s19, v101, vcc_lo
	s_delay_alu instid0(VALU_DEP_2) | instskip(NEXT) | instid1(VALU_DEP_2)
	v_add_co_u32 v83, vcc_lo, v102, v83
	v_add_co_ci_u32_e32 v84, vcc_lo, v101, v84, vcc_lo
	v_cmp_eq_u16_e32 vcc_lo, 2, v89
	s_clause 0x1
	global_load_b32 v101, v[83:84], off
	global_load_b64 v[83:84], v[83:84], off offset:8
	v_and_or_b32 v102, vcc_lo, v91, 0x80000000
	s_delay_alu instid0(VALU_DEP_1)
	v_ctz_i32_b32_e32 v102, v102
	s_waitcnt vmcnt(1)
	ds_bpermute_b32 v103, v90, v101
	s_waitcnt vmcnt(0)
	ds_bpermute_b32 v104, v90, v83
	ds_bpermute_b32 v105, v90, v84
	v_cmpx_lt_u32_e64 v114, v102
	s_cbranch_execz .LBB533_165
; %bb.164:                              ;   in Loop: Header=BB533_156 Depth=1
	v_cmp_eq_u32_e32 vcc_lo, 0, v101
	s_waitcnt lgkmcnt(2)
	v_add_nc_u32_e32 v101, v103, v101
	s_waitcnt lgkmcnt(0)
	v_dual_cndmask_b32 v105, 0, v105 :: v_dual_cndmask_b32 v104, 0, v104
	s_delay_alu instid0(VALU_DEP_1) | instskip(NEXT) | instid1(VALU_DEP_2)
	v_add_co_u32 v83, vcc_lo, v104, v83
	v_add_co_ci_u32_e32 v84, vcc_lo, v105, v84, vcc_lo
.LBB533_165:                            ;   in Loop: Header=BB533_156 Depth=1
	s_or_b32 exec_lo, exec_lo, s23
	s_waitcnt lgkmcnt(2)
	ds_bpermute_b32 v103, v92, v101
	s_waitcnt lgkmcnt(2)
	ds_bpermute_b32 v104, v92, v83
	s_waitcnt lgkmcnt(2)
	ds_bpermute_b32 v105, v92, v84
	s_mov_b32 s23, exec_lo
	v_cmpx_le_u32_e64 v93, v102
	s_cbranch_execz .LBB533_167
; %bb.166:                              ;   in Loop: Header=BB533_156 Depth=1
	v_cmp_eq_u32_e32 vcc_lo, 0, v101
	s_waitcnt lgkmcnt(2)
	v_add_nc_u32_e32 v101, v103, v101
	s_waitcnt lgkmcnt(0)
	v_dual_cndmask_b32 v105, 0, v105 :: v_dual_cndmask_b32 v104, 0, v104
	s_delay_alu instid0(VALU_DEP_1) | instskip(NEXT) | instid1(VALU_DEP_2)
	v_add_co_u32 v83, vcc_lo, v104, v83
	v_add_co_ci_u32_e32 v84, vcc_lo, v105, v84, vcc_lo
.LBB533_167:                            ;   in Loop: Header=BB533_156 Depth=1
	s_or_b32 exec_lo, exec_lo, s23
	s_waitcnt lgkmcnt(2)
	ds_bpermute_b32 v103, v94, v101
	s_waitcnt lgkmcnt(2)
	ds_bpermute_b32 v104, v94, v83
	s_waitcnt lgkmcnt(2)
	ds_bpermute_b32 v105, v94, v84
	s_mov_b32 s23, exec_lo
	v_cmpx_le_u32_e64 v95, v102
	;; [unrolled: 20-line block ×4, first 2 shown]
	s_cbranch_execz .LBB533_155
; %bb.172:                              ;   in Loop: Header=BB533_156 Depth=1
	v_cmp_eq_u32_e32 vcc_lo, 0, v101
	s_waitcnt lgkmcnt(1)
	v_dual_cndmask_b32 v104, 0, v104 :: v_dual_add_nc_u32 v101, v103, v101
	s_waitcnt lgkmcnt(0)
	v_cndmask_b32_e32 v102, 0, v105, vcc_lo
	s_delay_alu instid0(VALU_DEP_2) | instskip(NEXT) | instid1(VALU_DEP_2)
	v_add_co_u32 v83, vcc_lo, v104, v83
	v_add_co_ci_u32_e32 v84, vcc_lo, v102, v84, vcc_lo
	s_branch .LBB533_155
.LBB533_173:                            ;   in Loop: Header=BB533_156 Depth=1
                                        ; implicit-def: $vgpr83_vgpr84
                                        ; implicit-def: $vgpr101
                                        ; implicit-def: $vgpr89
	s_cbranch_execz .LBB533_156
; %bb.174:
	s_and_saveexec_b32 s16, s13
	s_cbranch_execz .LBB533_176
; %bb.175:
	v_cmp_eq_u32_e32 vcc_lo, 0, v88
	s_mov_b32 s29, 0
	s_add_i32 s28, s15, 32
	v_dual_mov_b32 v84, 0 :: v_dual_add_nc_u32 v83, v98, v88
	v_dual_cndmask_b32 v80, 0, v82 :: v_dual_cndmask_b32 v79, 0, v81
	s_lshl_b64 s[34:35], s[28:29], 4
	v_dual_mov_b32 v89, s28 :: v_dual_mov_b32 v90, 2
	s_add_u32 s34, s18, s34
	s_delay_alu instid0(VALU_DEP_2)
	v_add_co_u32 v79, vcc_lo, v79, v77
	v_add_co_ci_u32_e32 v80, vcc_lo, v80, v78, vcc_lo
	s_addc_u32 s35, s19, s35
	s_clause 0x1
	global_store_b32 v84, v83, s[34:35]
	global_store_b64 v84, v[79:80], s[34:35] offset:8
	s_waitcnt lgkmcnt(0)
	s_waitcnt_vscnt null, 0x0
	buffer_gl1_inv
	buffer_gl0_inv
	global_store_b8 v89, v90, s[20:21]
	ds_store_b32 v84, v88 offset:4096
	ds_store_b64 v84, v[77:78] offset:4104
	ds_store_b32 v84, v98 offset:4112
	ds_store_b64 v84, v[81:82] offset:4120
.LBB533_176:
	s_or_b32 exec_lo, exec_lo, s16
	v_cmp_eq_u32_e32 vcc_lo, 0, v0
	s_and_b32 exec_lo, exec_lo, vcc_lo
	s_cbranch_execz .LBB533_178
; %bb.177:
	v_mov_b32_e32 v77, 0
	ds_store_b32 v77, v98 offset:4240
	ds_store_b64 v77, v[81:82] offset:4248
.LBB533_178:
	s_or_b32 exec_lo, exec_lo, s22
	s_waitcnt lgkmcnt(2)
	v_cndmask_b32_e64 v59, v87, v59, s13
	s_waitcnt lgkmcnt(0)
	s_waitcnt_vscnt null, 0x0
	s_barrier
	buffer_gl0_inv
	v_cndmask_b32_e64 v75, v86, v75, s13
	v_cmp_eq_u32_e32 vcc_lo, 0, v59
	v_mov_b32_e32 v103, 0
	v_cndmask_b32_e64 v76, v85, v76, s13
	ds_load_b64 v[77:78], v103 offset:4248
	s_waitcnt lgkmcnt(0)
	v_dual_cndmask_b32 v80, 0, v77 :: v_dual_cndmask_b32 v79, 0, v78
	s_delay_alu instid0(VALU_DEP_1) | instskip(NEXT) | instid1(VALU_DEP_2)
	v_add_co_u32 v75, vcc_lo, v80, v75
	v_add_co_ci_u32_e32 v76, vcc_lo, v79, v76, vcc_lo
	v_cmp_eq_u32_e32 vcc_lo, 0, v0
	v_cndmask_b32_e64 v109, v59, 0, vcc_lo
	s_delay_alu instid0(VALU_DEP_3)
	v_dual_cndmask_b32 v90, v76, v78 :: v_dual_cndmask_b32 v89, v75, v77
	v_cmp_eq_u32_e32 vcc_lo, 0, v71
	ds_load_b32 v78, v103 offset:4240
	s_waitcnt lgkmcnt(0)
	s_barrier
	buffer_gl0_inv
	v_cndmask_b32_e32 v75, 0, v89, vcc_lo
	v_cndmask_b32_e32 v59, 0, v90, vcc_lo
	ds_load_b64 v[116:117], v103 offset:4104
	v_add_co_u32 v87, vcc_lo, v75, v53
	v_add_co_ci_u32_e32 v88, vcc_lo, v59, v54, vcc_lo
	s_delay_alu instid0(VALU_DEP_2) | instskip(NEXT) | instid1(VALU_DEP_2)
	v_cndmask_b32_e64 v59, 0, v87, s12
	v_cndmask_b32_e64 v75, 0, v88, s12
	s_delay_alu instid0(VALU_DEP_2) | instskip(NEXT) | instid1(VALU_DEP_2)
	v_add_co_u32 v93, vcc_lo, v59, v55
	v_add_co_ci_u32_e32 v94, vcc_lo, v75, v56, vcc_lo
	v_add_nc_u32_e32 v113, v78, v109
	s_delay_alu instid0(VALU_DEP_3) | instskip(NEXT) | instid1(VALU_DEP_3)
	v_cndmask_b32_e64 v59, 0, v93, s11
	v_cndmask_b32_e64 v75, 0, v94, s11
	s_delay_alu instid0(VALU_DEP_2) | instskip(NEXT) | instid1(VALU_DEP_2)
	v_add_co_u32 v97, vcc_lo, v59, v49
	v_add_co_ci_u32_e32 v98, vcc_lo, v75, v50, vcc_lo
	s_delay_alu instid0(VALU_DEP_2) | instskip(NEXT) | instid1(VALU_DEP_2)
	v_cndmask_b32_e64 v59, 0, v97, s10
	v_cndmask_b32_e64 v75, 0, v98, s10
	s_delay_alu instid0(VALU_DEP_2) | instskip(NEXT) | instid1(VALU_DEP_2)
	v_add_co_u32 v79, vcc_lo, v59, v51
	v_add_co_ci_u32_e32 v80, vcc_lo, v75, v52, vcc_lo
	s_delay_alu instid0(VALU_DEP_2) | instskip(NEXT) | instid1(VALU_DEP_2)
	;; [unrolled: 6-line block ×7, first 2 shown]
	v_cndmask_b32_e64 v59, 0, v81, s4
	v_cndmask_b32_e64 v75, 0, v82, s4
	s_delay_alu instid0(VALU_DEP_2) | instskip(NEXT) | instid1(VALU_DEP_2)
	v_add_co_u32 v85, vcc_lo, v59, v39
	v_add_co_ci_u32_e32 v86, vcc_lo, v75, v40, vcc_lo
	ds_load_b32 v59, v103 offset:4096
	v_cndmask_b32_e64 v75, 0, v85, s3
	v_cndmask_b32_e64 v76, 0, v86, s3
	s_delay_alu instid0(VALU_DEP_2) | instskip(NEXT) | instid1(VALU_DEP_2)
	v_add_co_u32 v101, vcc_lo, v75, v33
	v_add_co_ci_u32_e32 v102, vcc_lo, v76, v34, vcc_lo
	ds_load_b64 v[75:76], v103 offset:4120
	v_cndmask_b32_e64 v77, 0, v101, s2
	v_cndmask_b32_e64 v104, 0, v102, s2
	s_delay_alu instid0(VALU_DEP_2)
	v_add_co_u32 v105, vcc_lo, v77, v35
	ds_load_b32 v77, v103 offset:4112
	v_add_co_ci_u32_e32 v106, vcc_lo, v104, v36, vcc_lo
	v_cndmask_b32_e64 v104, 0, v105, s1
	s_waitcnt lgkmcnt(2)
	v_cmp_eq_u32_e32 vcc_lo, 0, v59
	s_delay_alu instid0(VALU_DEP_3) | instskip(NEXT) | instid1(VALU_DEP_3)
	v_cndmask_b32_e64 v110, 0, v106, s1
	v_add_co_u32 v103, s1, v104, v29
	s_delay_alu instid0(VALU_DEP_1) | instskip(SKIP_2) | instid1(VALU_DEP_3)
	v_add_co_ci_u32_e64 v104, s1, v110, v30, s1
	s_waitcnt lgkmcnt(1)
	v_dual_cndmask_b32 v75, 0, v75 :: v_dual_cndmask_b32 v76, 0, v76
	v_cndmask_b32_e64 v109, 0, v103, s0
	s_delay_alu instid0(VALU_DEP_3) | instskip(NEXT) | instid1(VALU_DEP_3)
	v_cndmask_b32_e64 v110, 0, v104, s0
	v_add_co_u32 v75, vcc_lo, v75, v116
	s_delay_alu instid0(VALU_DEP_4)
	v_add_co_ci_u32_e32 v76, vcc_lo, v76, v117, vcc_lo
	s_branch .LBB533_207
.LBB533_179:
                                        ; implicit-def: $vgpr59
                                        ; implicit-def: $vgpr75_vgpr76
                                        ; implicit-def: $vgpr77
                                        ; implicit-def: $vgpr89_vgpr90
                                        ; implicit-def: $vgpr87_vgpr88
                                        ; implicit-def: $vgpr93_vgpr94
                                        ; implicit-def: $vgpr97_vgpr98
                                        ; implicit-def: $vgpr79_vgpr80
                                        ; implicit-def: $vgpr83_vgpr84
                                        ; implicit-def: $vgpr91_vgpr92
                                        ; implicit-def: $vgpr95_vgpr96
                                        ; implicit-def: $vgpr99_vgpr100
                                        ; implicit-def: $vgpr81_vgpr82
                                        ; implicit-def: $vgpr85_vgpr86
                                        ; implicit-def: $vgpr101_vgpr102
                                        ; implicit-def: $vgpr105_vgpr106
                                        ; implicit-def: $vgpr103_vgpr104
                                        ; implicit-def: $vgpr109_vgpr110
                                        ; implicit-def: $vgpr113
	s_cbranch_execz .LBB533_207
; %bb.180:
	s_and_b32 s0, s14, exec_lo
	s_cselect_b32 s1, 0, s25
	s_cselect_b32 s0, 0, s24
	s_delay_alu instid0(SALU_CYCLE_1)
	s_cmp_eq_u64 s[0:1], 0
	s_cbranch_scc1 .LBB533_182
; %bb.181:
	v_mov_b32_e32 v59, 0
	global_load_b64 v[107:108], v59, s[0:1]
.LBB533_182:
	v_cmp_eq_u32_e64 s11, 0, v72
	v_cmp_eq_u32_e64 s10, 0, v69
	;; [unrolled: 1-line block ×5, first 2 shown]
	s_waitcnt lgkmcnt(0)
	v_cndmask_b32_e64 v75, 0, v53, s11
	v_cndmask_b32_e64 v59, 0, v54, s11
	v_cmp_eq_u32_e64 s6, 0, v65
	v_cmp_eq_u32_e64 s5, 0, v66
	;; [unrolled: 1-line block ×3, first 2 shown]
	v_add_co_u32 v75, vcc_lo, v75, v55
	v_add_co_ci_u32_e32 v59, vcc_lo, v59, v56, vcc_lo
	v_cmp_eq_u32_e64 s3, 0, v64
	s_delay_alu instid0(VALU_DEP_3) | instskip(SKIP_1) | instid1(VALU_DEP_4)
	v_cndmask_b32_e64 v75, 0, v75, s10
	v_cmp_eq_u32_e64 s2, 0, v61
	v_cndmask_b32_e64 v59, 0, v59, s10
	v_cmp_eq_u32_e64 s1, 0, v112
	v_add3_u32 v76, v115, v68, v65
	v_add_co_u32 v75, vcc_lo, v75, v49
	s_delay_alu instid0(VALU_DEP_4) | instskip(NEXT) | instid1(VALU_DEP_3)
	v_add_co_ci_u32_e32 v59, vcc_lo, v59, v50, vcc_lo
	v_add3_u32 v76, v76, v66, v63
	s_delay_alu instid0(VALU_DEP_3) | instskip(SKIP_1) | instid1(VALU_DEP_3)
	v_cndmask_b32_e64 v75, 0, v75, s9
	s_mov_b32 s13, exec_lo
	v_cndmask_b32_e64 v59, 0, v59, s9
	s_delay_alu instid0(VALU_DEP_3) | instskip(NEXT) | instid1(VALU_DEP_3)
	v_add3_u32 v76, v76, v64, v61
	v_add_co_u32 v75, vcc_lo, v75, v51
	s_delay_alu instid0(VALU_DEP_3) | instskip(NEXT) | instid1(VALU_DEP_3)
	v_add_co_ci_u32_e32 v59, vcc_lo, v59, v52, vcc_lo
	v_add3_u32 v76, v76, v62, v112
	s_delay_alu instid0(VALU_DEP_3) | instskip(NEXT) | instid1(VALU_DEP_3)
	v_cndmask_b32_e64 v75, 0, v75, s8
	v_cndmask_b32_e64 v59, 0, v59, s8
	s_delay_alu instid0(VALU_DEP_2) | instskip(NEXT) | instid1(VALU_DEP_2)
	v_add_co_u32 v75, vcc_lo, v75, v45
	v_add_co_ci_u32_e32 v59, vcc_lo, v59, v46, vcc_lo
	s_delay_alu instid0(VALU_DEP_2) | instskip(NEXT) | instid1(VALU_DEP_2)
	v_cndmask_b32_e64 v75, 0, v75, s7
	v_cndmask_b32_e64 v59, 0, v59, s7
	s_delay_alu instid0(VALU_DEP_2) | instskip(NEXT) | instid1(VALU_DEP_2)
	v_add_co_u32 v75, vcc_lo, v75, v47
	v_add_co_ci_u32_e32 v59, vcc_lo, v59, v48, vcc_lo
	s_delay_alu instid0(VALU_DEP_2) | instskip(NEXT) | instid1(VALU_DEP_2)
	;; [unrolled: 6-line block ×6, first 2 shown]
	v_cndmask_b32_e64 v75, 0, v75, s2
	v_cndmask_b32_e64 v59, 0, v59, s2
	s_delay_alu instid0(VALU_DEP_2) | instskip(NEXT) | instid1(VALU_DEP_2)
	v_add_co_u32 v75, vcc_lo, v75, v33
	v_add_co_ci_u32_e32 v59, vcc_lo, v59, v34, vcc_lo
	v_cmp_eq_u32_e32 vcc_lo, 0, v62
	s_delay_alu instid0(VALU_DEP_3) | instskip(NEXT) | instid1(VALU_DEP_3)
	v_cndmask_b32_e32 v75, 0, v75, vcc_lo
	v_cndmask_b32_e32 v59, 0, v59, vcc_lo
	s_delay_alu instid0(VALU_DEP_2) | instskip(NEXT) | instid1(VALU_DEP_1)
	v_add_co_u32 v75, s0, v75, v35
	v_add_co_ci_u32_e64 v59, s0, v59, v36, s0
	s_delay_alu instid0(VALU_DEP_2) | instskip(NEXT) | instid1(VALU_DEP_2)
	v_cndmask_b32_e64 v75, 0, v75, s1
	v_cndmask_b32_e64 v59, 0, v59, s1
	s_delay_alu instid0(VALU_DEP_2) | instskip(NEXT) | instid1(VALU_DEP_1)
	v_add_co_u32 v75, s0, v75, v29
	v_add_co_ci_u32_e64 v59, s0, v59, v30, s0
	v_cmp_eq_u32_e64 s0, 0, v60
	s_delay_alu instid0(VALU_DEP_1) | instskip(NEXT) | instid1(VALU_DEP_3)
	v_cndmask_b32_e64 v75, 0, v75, s0
	v_cndmask_b32_e64 v59, 0, v59, s0
	s_delay_alu instid0(VALU_DEP_2) | instskip(NEXT) | instid1(VALU_DEP_1)
	v_add_co_u32 v75, s12, v75, v31
	v_add_co_ci_u32_e64 v59, s12, v59, v32, s12
	v_cmp_eq_u32_e64 s12, 0, v111
	s_delay_alu instid0(VALU_DEP_1) | instskip(NEXT) | instid1(VALU_DEP_3)
	v_cndmask_b32_e64 v75, 0, v75, s12
	v_cndmask_b32_e64 v77, 0, v59, s12
	v_add3_u32 v59, v76, v60, v111
	s_delay_alu instid0(VALU_DEP_3) | instskip(NEXT) | instid1(VALU_DEP_1)
	v_add_co_u32 v73, s12, v75, v73
	v_add_co_ci_u32_e64 v74, s12, v77, v74, s12
	v_and_b32_e32 v75, 15, v114
	s_delay_alu instid0(VALU_DEP_4) | instskip(NEXT) | instid1(VALU_DEP_4)
	v_mov_b32_dpp v76, v59 row_shr:1 row_mask:0xf bank_mask:0xf
	v_mov_b32_dpp v77, v73 row_shr:1 row_mask:0xf bank_mask:0xf
	s_delay_alu instid0(VALU_DEP_4) | instskip(NEXT) | instid1(VALU_DEP_4)
	v_mov_b32_dpp v78, v74 row_shr:1 row_mask:0xf bank_mask:0xf
	v_cmpx_ne_u32_e32 0, v75
; %bb.183:
	v_cmp_eq_u32_e64 s12, 0, v59
	v_add_nc_u32_e32 v59, v76, v59
	s_delay_alu instid0(VALU_DEP_2) | instskip(SKIP_1) | instid1(VALU_DEP_2)
	v_cndmask_b32_e64 v77, 0, v77, s12
	v_cndmask_b32_e64 v78, 0, v78, s12
	v_add_co_u32 v73, s12, v77, v73
	s_delay_alu instid0(VALU_DEP_1)
	v_add_co_ci_u32_e64 v74, s12, v78, v74, s12
; %bb.184:
	s_or_b32 exec_lo, exec_lo, s13
	v_mov_b32_dpp v76, v59 row_shr:2 row_mask:0xf bank_mask:0xf
	s_delay_alu instid0(VALU_DEP_3) | instskip(NEXT) | instid1(VALU_DEP_3)
	v_mov_b32_dpp v77, v73 row_shr:2 row_mask:0xf bank_mask:0xf
	v_mov_b32_dpp v78, v74 row_shr:2 row_mask:0xf bank_mask:0xf
	s_mov_b32 s13, exec_lo
	v_cmpx_lt_u32_e32 1, v75
; %bb.185:
	v_cmp_eq_u32_e64 s12, 0, v59
	v_add_nc_u32_e32 v59, v76, v59
	s_delay_alu instid0(VALU_DEP_2) | instskip(SKIP_1) | instid1(VALU_DEP_2)
	v_cndmask_b32_e64 v77, 0, v77, s12
	v_cndmask_b32_e64 v78, 0, v78, s12
	v_add_co_u32 v73, s12, v77, v73
	s_delay_alu instid0(VALU_DEP_1)
	v_add_co_ci_u32_e64 v74, s12, v78, v74, s12
; %bb.186:
	s_or_b32 exec_lo, exec_lo, s13
	v_mov_b32_dpp v76, v59 row_shr:4 row_mask:0xf bank_mask:0xf
	s_delay_alu instid0(VALU_DEP_3) | instskip(NEXT) | instid1(VALU_DEP_3)
	v_mov_b32_dpp v77, v73 row_shr:4 row_mask:0xf bank_mask:0xf
	v_mov_b32_dpp v78, v74 row_shr:4 row_mask:0xf bank_mask:0xf
	s_mov_b32 s13, exec_lo
	v_cmpx_lt_u32_e32 3, v75
	;; [unrolled: 17-line block ×3, first 2 shown]
; %bb.189:
	v_cmp_eq_u32_e64 s12, 0, v59
	v_add_nc_u32_e32 v59, v76, v59
	s_delay_alu instid0(VALU_DEP_2) | instskip(SKIP_1) | instid1(VALU_DEP_2)
	v_cndmask_b32_e64 v77, 0, v77, s12
	v_cndmask_b32_e64 v75, 0, v78, s12
	v_add_co_u32 v73, s12, v77, v73
	s_delay_alu instid0(VALU_DEP_1)
	v_add_co_ci_u32_e64 v74, s12, v75, v74, s12
; %bb.190:
	s_or_b32 exec_lo, exec_lo, s13
	ds_swizzle_b32 v75, v59 offset:swizzle(BROADCAST,32,15)
	ds_swizzle_b32 v76, v73 offset:swizzle(BROADCAST,32,15)
	;; [unrolled: 1-line block ×3, first 2 shown]
	v_and_b32_e32 v78, 16, v114
	s_mov_b32 s13, exec_lo
	s_delay_alu instid0(VALU_DEP_1)
	v_cmpx_ne_u32_e32 0, v78
	s_cbranch_execz .LBB533_192
; %bb.191:
	v_cmp_eq_u32_e64 s12, 0, v59
	s_waitcnt lgkmcnt(2)
	v_add_nc_u32_e32 v59, v75, v59
	s_waitcnt lgkmcnt(1)
	s_delay_alu instid0(VALU_DEP_2) | instskip(SKIP_2) | instid1(VALU_DEP_2)
	v_cndmask_b32_e64 v76, 0, v76, s12
	s_waitcnt lgkmcnt(0)
	v_cndmask_b32_e64 v77, 0, v77, s12
	v_add_co_u32 v73, s12, v76, v73
	s_delay_alu instid0(VALU_DEP_1)
	v_add_co_ci_u32_e64 v74, s12, v77, v74, s12
.LBB533_192:
	s_or_b32 exec_lo, exec_lo, s13
	s_waitcnt lgkmcnt(2)
	v_or_b32_e32 v75, 31, v0
	s_waitcnt lgkmcnt(0)
	v_lshrrev_b32_e32 v77, 5, v0
	s_mov_b32 s13, exec_lo
	s_delay_alu instid0(VALU_DEP_2)
	v_cmpx_eq_u32_e64 v75, v0
	s_cbranch_execz .LBB533_194
; %bb.193:
	s_delay_alu instid0(VALU_DEP_2)
	v_lshlrev_b32_e32 v75, 4, v77
	ds_store_b32 v75, v59 offset:4128
	ds_store_b64 v75, v[73:74] offset:4136
.LBB533_194:
	s_or_b32 exec_lo, exec_lo, s13
	s_delay_alu instid0(SALU_CYCLE_1)
	s_mov_b32 s13, exec_lo
	s_waitcnt vmcnt(0) lgkmcnt(0)
	s_barrier
	buffer_gl0_inv
	v_cmpx_gt_u32_e32 8, v0
	s_cbranch_execz .LBB533_202
; %bb.195:
	v_lshlrev_b32_e32 v78, 4, v0
	v_and_b32_e32 v80, 7, v114
	s_mov_b32 s15, exec_lo
	ds_load_b32 v79, v78 offset:4128
	ds_load_b64 v[75:76], v78 offset:4136
	s_waitcnt lgkmcnt(1)
	v_mov_b32_dpp v81, v79 row_shr:1 row_mask:0xf bank_mask:0xf
	s_waitcnt lgkmcnt(0)
	v_mov_b32_dpp v82, v75 row_shr:1 row_mask:0xf bank_mask:0xf
	v_mov_b32_dpp v83, v76 row_shr:1 row_mask:0xf bank_mask:0xf
	v_cmpx_ne_u32_e32 0, v80
; %bb.196:
	v_cmp_eq_u32_e64 s12, 0, v79
	v_add_nc_u32_e32 v79, v81, v79
	s_delay_alu instid0(VALU_DEP_2) | instskip(SKIP_1) | instid1(VALU_DEP_2)
	v_cndmask_b32_e64 v82, 0, v82, s12
	v_cndmask_b32_e64 v83, 0, v83, s12
	v_add_co_u32 v75, s12, v82, v75
	s_delay_alu instid0(VALU_DEP_1)
	v_add_co_ci_u32_e64 v76, s12, v83, v76, s12
; %bb.197:
	s_or_b32 exec_lo, exec_lo, s15
	v_mov_b32_dpp v81, v79 row_shr:2 row_mask:0xf bank_mask:0xf
	s_delay_alu instid0(VALU_DEP_3) | instskip(NEXT) | instid1(VALU_DEP_3)
	v_mov_b32_dpp v82, v75 row_shr:2 row_mask:0xf bank_mask:0xf
	v_mov_b32_dpp v83, v76 row_shr:2 row_mask:0xf bank_mask:0xf
	s_mov_b32 s15, exec_lo
	v_cmpx_lt_u32_e32 1, v80
; %bb.198:
	v_cmp_eq_u32_e64 s12, 0, v79
	v_add_nc_u32_e32 v79, v81, v79
	s_delay_alu instid0(VALU_DEP_2) | instskip(SKIP_1) | instid1(VALU_DEP_2)
	v_cndmask_b32_e64 v82, 0, v82, s12
	v_cndmask_b32_e64 v83, 0, v83, s12
	v_add_co_u32 v75, s12, v82, v75
	s_delay_alu instid0(VALU_DEP_1)
	v_add_co_ci_u32_e64 v76, s12, v83, v76, s12
; %bb.199:
	s_or_b32 exec_lo, exec_lo, s15
	v_mov_b32_dpp v81, v79 row_shr:4 row_mask:0xf bank_mask:0xf
	s_delay_alu instid0(VALU_DEP_3) | instskip(NEXT) | instid1(VALU_DEP_3)
	v_mov_b32_dpp v82, v75 row_shr:4 row_mask:0xf bank_mask:0xf
	v_mov_b32_dpp v83, v76 row_shr:4 row_mask:0xf bank_mask:0xf
	s_mov_b32 s15, exec_lo
	v_cmpx_lt_u32_e32 3, v80
; %bb.200:
	v_cmp_eq_u32_e64 s12, 0, v79
	v_add_nc_u32_e32 v79, v81, v79
	s_delay_alu instid0(VALU_DEP_2) | instskip(SKIP_1) | instid1(VALU_DEP_2)
	v_cndmask_b32_e64 v82, 0, v82, s12
	v_cndmask_b32_e64 v80, 0, v83, s12
	v_add_co_u32 v75, s12, v82, v75
	s_delay_alu instid0(VALU_DEP_1)
	v_add_co_ci_u32_e64 v76, s12, v80, v76, s12
; %bb.201:
	s_or_b32 exec_lo, exec_lo, s15
	ds_store_b32 v78, v79 offset:4128
	ds_store_b64 v78, v[75:76] offset:4136
.LBB533_202:
	s_or_b32 exec_lo, exec_lo, s13
	v_dual_mov_b32 v78, 0 :: v_dual_mov_b32 v79, 0
	v_dual_mov_b32 v75, v107 :: v_dual_mov_b32 v76, v108
	s_mov_b32 s13, exec_lo
	s_waitcnt lgkmcnt(0)
	s_barrier
	buffer_gl0_inv
	v_cmpx_lt_u32_e32 31, v0
	s_cbranch_execz .LBB533_204
; %bb.203:
	v_lshlrev_b32_e32 v75, 4, v77
	ds_load_b32 v79, v75 offset:4112
	ds_load_b64 v[75:76], v75 offset:4120
	s_waitcnt lgkmcnt(1)
	v_cmp_eq_u32_e64 s12, 0, v79
	s_delay_alu instid0(VALU_DEP_1) | instskip(SKIP_2) | instid1(VALU_DEP_2)
	v_cndmask_b32_e64 v80, 0, v107, s12
	v_cndmask_b32_e64 v77, 0, v108, s12
	s_waitcnt lgkmcnt(0)
	v_add_co_u32 v75, s12, v80, v75
	s_delay_alu instid0(VALU_DEP_1)
	v_add_co_ci_u32_e64 v76, s12, v77, v76, s12
.LBB533_204:
	s_or_b32 exec_lo, exec_lo, s13
	v_add_nc_u32_e32 v77, -1, v114
	v_cmp_eq_u32_e64 s12, 0, v59
	v_add_nc_u32_e32 v59, v79, v59
	s_delay_alu instid0(VALU_DEP_3) | instskip(NEXT) | instid1(VALU_DEP_3)
	v_cmp_gt_i32_e64 s13, 0, v77
	v_cndmask_b32_e64 v81, 0, v75, s12
	v_cndmask_b32_e64 v80, 0, v76, s12
	s_delay_alu instid0(VALU_DEP_3) | instskip(NEXT) | instid1(VALU_DEP_3)
	v_cndmask_b32_e64 v77, v77, v114, s13
	v_add_co_u32 v73, s12, v81, v73
	s_delay_alu instid0(VALU_DEP_1) | instskip(NEXT) | instid1(VALU_DEP_3)
	v_add_co_ci_u32_e64 v74, s12, v80, v74, s12
	v_lshlrev_b32_e32 v77, 2, v77
	v_cmp_eq_u32_e64 s12, 0, v114
	v_cmp_eq_u32_e64 s13, 0, v71
	ds_bpermute_b32 v59, v77, v59
	ds_bpermute_b32 v74, v77, v74
	;; [unrolled: 1-line block ×3, first 2 shown]
	s_waitcnt lgkmcnt(2)
	v_cndmask_b32_e64 v113, v59, v79, s12
	s_waitcnt lgkmcnt(1)
	v_cndmask_b32_e64 v90, v74, v76, s12
	;; [unrolled: 2-line block ×3, first 2 shown]
	v_cmp_eq_u32_e64 s12, 0, v0
	s_delay_alu instid0(VALU_DEP_1) | instskip(SKIP_1) | instid1(VALU_DEP_2)
	v_cndmask_b32_e64 v59, v89, v107, s12
	v_cndmask_b32_e64 v73, v90, v108, s12
	;; [unrolled: 1-line block ×3, first 2 shown]
	s_delay_alu instid0(VALU_DEP_2) | instskip(NEXT) | instid1(VALU_DEP_2)
	v_cndmask_b32_e64 v73, 0, v73, s13
	v_add_co_u32 v87, s13, v59, v53
	s_delay_alu instid0(VALU_DEP_1) | instskip(SKIP_3) | instid1(VALU_DEP_2)
	v_add_co_ci_u32_e64 v88, s13, v73, v54, s13
	ds_load_b32 v59, v78 offset:4240
	v_cndmask_b32_e64 v53, 0, v87, s11
	v_cndmask_b32_e64 v54, 0, v88, s11
	v_add_co_u32 v93, s11, v53, v55
	s_delay_alu instid0(VALU_DEP_1) | instskip(NEXT) | instid1(VALU_DEP_2)
	v_add_co_ci_u32_e64 v94, s11, v54, v56, s11
	v_cndmask_b32_e64 v53, 0, v93, s10
	s_delay_alu instid0(VALU_DEP_2) | instskip(NEXT) | instid1(VALU_DEP_2)
	v_cndmask_b32_e64 v54, 0, v94, s10
	v_add_co_u32 v97, s10, v53, v49
	s_delay_alu instid0(VALU_DEP_1) | instskip(NEXT) | instid1(VALU_DEP_2)
	v_add_co_ci_u32_e64 v98, s10, v54, v50, s10
	v_cndmask_b32_e64 v49, 0, v97, s9
	s_delay_alu instid0(VALU_DEP_2) | instskip(NEXT) | instid1(VALU_DEP_2)
	;; [unrolled: 6-line block ×9, first 2 shown]
	v_cndmask_b32_e64 v38, 0, v86, s2
	v_add_co_u32 v101, s2, v37, v33
	s_delay_alu instid0(VALU_DEP_1) | instskip(SKIP_2) | instid1(VALU_DEP_1)
	v_add_co_ci_u32_e64 v102, s2, v38, v34, s2
	ds_load_b64 v[33:34], v78 offset:4248
	v_dual_cndmask_b32 v37, 0, v101 :: v_dual_cndmask_b32 v38, 0, v102
	v_add_co_u32 v105, vcc_lo, v37, v35
	s_delay_alu instid0(VALU_DEP_2) | instskip(SKIP_2) | instid1(VALU_DEP_3)
	v_add_co_ci_u32_e32 v106, vcc_lo, v38, v36, vcc_lo
	s_waitcnt lgkmcnt(1)
	v_cmp_eq_u32_e32 vcc_lo, 0, v59
	v_cndmask_b32_e64 v35, 0, v105, s1
	s_delay_alu instid0(VALU_DEP_3) | instskip(NEXT) | instid1(VALU_DEP_2)
	v_cndmask_b32_e64 v36, 0, v106, s1
	v_add_co_u32 v103, s1, v35, v29
	s_delay_alu instid0(VALU_DEP_1) | instskip(SKIP_1) | instid1(VALU_DEP_3)
	v_add_co_ci_u32_e64 v104, s1, v36, v30, s1
	v_dual_cndmask_b32 v30, 0, v107 :: v_dual_cndmask_b32 v29, 0, v108
	v_cndmask_b32_e64 v109, 0, v103, s0
	s_delay_alu instid0(VALU_DEP_3) | instskip(SKIP_1) | instid1(VALU_DEP_3)
	v_cndmask_b32_e64 v110, 0, v104, s0
	s_waitcnt lgkmcnt(0)
	v_add_co_u32 v75, vcc_lo, v30, v33
	v_add_co_ci_u32_e32 v76, vcc_lo, v29, v34, vcc_lo
	s_and_saveexec_b32 s0, s12
	s_cbranch_execz .LBB533_206
; %bb.205:
	v_mov_b32_e32 v89, v107
	v_dual_mov_b32 v113, 0 :: v_dual_mov_b32 v90, v108
	v_mov_b32_e32 v29, 2
	s_clause 0x1
	global_store_b32 v113, v59, s[18:19] offset:512
	global_store_b64 v113, v[75:76], s[18:19] offset:520
	s_waitcnt_vscnt null, 0x0
	buffer_gl1_inv
	buffer_gl0_inv
	global_store_b8 v113, v29, s[20:21] offset:32
.LBB533_206:
	s_or_b32 exec_lo, exec_lo, s0
	v_mov_b32_e32 v77, 0
.LBB533_207:
	v_mov_b32_e32 v29, 0
	s_and_b32 s0, s14, exec_lo
	v_mov_b32_e32 v30, 0
	s_cselect_b32 s1, 0, s31
	s_cselect_b32 s0, 0, s30
	s_waitcnt lgkmcnt(0)
	s_waitcnt_vscnt null, 0x0
	s_cmp_eq_u64 s[0:1], 0
	s_barrier
	buffer_gl0_inv
	s_cbranch_scc1 .LBB533_209
; %bb.208:
	v_mov_b32_e32 v29, 0
	global_load_b64 v[29:30], v29, s[0:1]
.LBB533_209:
	v_cmp_eq_u32_e32 vcc_lo, 0, v71
	v_add_nc_u32_e32 v48, v113, v71
	v_cmp_ne_u32_e64 s12, 0, v71
	v_cmp_ne_u32_e64 s11, 0, v72
	;; [unrolled: 1-line block ×3, first 2 shown]
	v_cndmask_b32_e64 v33, 1, 2, vcc_lo
	v_cmp_eq_u32_e32 vcc_lo, 0, v72
	v_add_nc_u32_e32 v50, v48, v72
	v_cmp_ne_u32_e64 s8, 0, v70
	v_cmp_ne_u32_e64 s14, 0, v67
	;; [unrolled: 1-line block ×3, first 2 shown]
	v_cndmask_b32_e64 v34, 1, 2, vcc_lo
	v_cmp_eq_u32_e32 vcc_lo, 0, v69
	v_add_nc_u32_e32 v49, v50, v69
	v_cmp_ne_u32_e64 s10, 0, v65
	s_delay_alu instid0(VALU_DEP_4)
	v_dual_mov_b32 v78, 0 :: v_dual_and_b32 v33, v34, v33
	v_cndmask_b32_e64 v35, 1, 2, vcc_lo
	v_cmp_eq_u32_e32 vcc_lo, 0, v70
	v_add_nc_u32_e32 v47, v49, v70
	v_cmp_ne_u32_e64 s7, 0, v66
	v_cmp_ne_u32_e64 s6, 0, v63
	v_and_b32_e32 v35, v33, v35
	v_cndmask_b32_e64 v36, 1, 2, vcc_lo
	v_cmp_eq_u32_e32 vcc_lo, 0, v67
	v_add_nc_u32_e32 v46, v47, v67
	s_waitcnt vmcnt(0)
	v_lshlrev_b64 v[33:34], 3, v[29:30]
	v_cmp_ne_u32_e64 s5, 0, v64
	v_and_b32_e32 v35, v35, v36
	v_cndmask_b32_e64 v37, 1, 2, vcc_lo
	v_cmp_eq_u32_e32 vcc_lo, 0, v68
	v_add_nc_u32_e32 v45, v46, v68
	v_cmp_ne_u32_e64 s4, 0, v61
	v_cmp_ne_u32_e64 s3, 0, v62
	v_and_b32_e32 v35, v35, v37
	v_cndmask_b32_e64 v36, 1, 2, vcc_lo
	v_cmp_eq_u32_e32 vcc_lo, 0, v65
	v_add_nc_u32_e32 v44, v45, v65
	v_cmp_ne_u32_e64 s2, 0, v112
	;; [unrolled: 6-line block ×3, first 2 shown]
	s_mov_b32 s16, -1
	v_and_b32_e32 v35, v35, v37
	v_cndmask_b32_e64 v36, 1, 2, vcc_lo
	v_cmp_eq_u32_e32 vcc_lo, 0, v63
	v_add_nc_u32_e32 v42, v43, v63
	s_delay_alu instid0(VALU_DEP_3) | instskip(SKIP_2) | instid1(VALU_DEP_4)
	v_and_b32_e32 v35, v35, v36
	v_cndmask_b32_e64 v37, 1, 2, vcc_lo
	v_cmp_eq_u32_e32 vcc_lo, 0, v64
	v_add_nc_u32_e32 v41, v42, v64
	s_delay_alu instid0(VALU_DEP_3) | instskip(SKIP_2) | instid1(VALU_DEP_4)
	v_and_b32_e32 v35, v35, v37
	v_cndmask_b32_e64 v36, 1, 2, vcc_lo
	v_cmp_eq_u32_e32 vcc_lo, 0, v61
	v_add_nc_u32_e32 v40, v41, v61
	s_delay_alu instid0(VALU_DEP_3) | instskip(SKIP_3) | instid1(VALU_DEP_3)
	v_and_b32_e32 v39, v35, v36
	v_cndmask_b32_e64 v37, 1, 2, vcc_lo
	v_cmp_eq_u32_e32 vcc_lo, 0, v62
	v_lshlrev_b64 v[35:36], 3, v[77:78]
	v_and_b32_e32 v37, v39, v37
	v_cndmask_b32_e64 v38, 1, 2, vcc_lo
	v_cmp_eq_u32_e32 vcc_lo, 0, v112
	v_add_nc_u32_e32 v39, v40, v62
	s_delay_alu instid0(VALU_DEP_3) | instskip(SKIP_3) | instid1(VALU_DEP_3)
	v_and_b32_e32 v54, v37, v38
	v_cndmask_b32_e64 v53, 1, 2, vcc_lo
	v_add_co_u32 v51, vcc_lo, s42, v33
	v_add_co_ci_u32_e32 v52, vcc_lo, s43, v34, vcc_lo
	v_and_b32_e32 v53, v54, v53
	s_delay_alu instid0(VALU_DEP_3) | instskip(NEXT) | instid1(VALU_DEP_3)
	v_add_co_u32 v51, vcc_lo, v51, v35
	v_add_co_ci_u32_e32 v52, vcc_lo, v52, v36, vcc_lo
	v_cmp_eq_u32_e32 vcc_lo, 0, v60
	v_add_nc_u32_e32 v38, v39, v112
	v_cndmask_b32_e64 v54, 1, 2, vcc_lo
	v_cmp_eq_u32_e32 vcc_lo, 0, v111
	s_delay_alu instid0(VALU_DEP_3) | instskip(NEXT) | instid1(VALU_DEP_3)
	v_add_nc_u32_e32 v37, v38, v60
	v_and_b32_e32 v53, v53, v54
	v_cndmask_b32_e64 v54, 1, 2, vcc_lo
	v_cmp_gt_u32_e32 vcc_lo, 0x100, v59
	s_delay_alu instid0(VALU_DEP_2) | instskip(NEXT) | instid1(VALU_DEP_1)
	v_and_b32_e32 v53, v53, v54
	v_cmp_gt_i16_e64 s15, 2, v53
	s_cbranch_vccz .LBB533_216
; %bb.210:
	s_delay_alu instid0(VALU_DEP_1)
	s_and_saveexec_b32 s16, s15
	s_cbranch_execz .LBB533_215
; %bb.211:
	s_mov_b32 s17, 0
	s_mov_b32 s15, exec_lo
	v_cmpx_ne_u16_e32 1, v53
	s_xor_b32 s15, exec_lo, s15
	s_cbranch_execnz .LBB533_281
; %bb.212:
	s_and_not1_saveexec_b32 s15, s15
	s_cbranch_execnz .LBB533_297
.LBB533_213:
	s_or_b32 exec_lo, exec_lo, s15
	s_delay_alu instid0(SALU_CYCLE_1)
	s_and_b32 exec_lo, exec_lo, s17
	s_cbranch_execz .LBB533_215
.LBB533_214:
	v_sub_nc_u32_e32 v54, v37, v77
	v_mov_b32_e32 v55, 0
	s_delay_alu instid0(VALU_DEP_1) | instskip(NEXT) | instid1(VALU_DEP_1)
	v_lshlrev_b64 v[54:55], 3, v[54:55]
	v_add_co_u32 v54, vcc_lo, v51, v54
	s_delay_alu instid0(VALU_DEP_2)
	v_add_co_ci_u32_e32 v55, vcc_lo, v52, v55, vcc_lo
	global_store_b64 v[54:55], v[57:58], off
.LBB533_215:
	s_or_b32 exec_lo, exec_lo, s16
	s_mov_b32 s16, 0
.LBB533_216:
	s_delay_alu instid0(SALU_CYCLE_1)
	s_and_b32 vcc_lo, exec_lo, s16
	s_cbranch_vccz .LBB533_226
; %bb.217:
	s_mov_b32 s15, exec_lo
	v_cmpx_gt_i16_e32 2, v53
	s_cbranch_execz .LBB533_222
; %bb.218:
	s_mov_b32 s17, 0
	s_mov_b32 s16, exec_lo
	v_cmpx_ne_u16_e32 1, v53
	s_xor_b32 s16, exec_lo, s16
	s_cbranch_execnz .LBB533_298
; %bb.219:
	s_and_not1_saveexec_b32 s0, s16
	s_cbranch_execnz .LBB533_314
.LBB533_220:
	s_or_b32 exec_lo, exec_lo, s0
	s_delay_alu instid0(SALU_CYCLE_1)
	s_and_b32 exec_lo, exec_lo, s17
	s_cbranch_execz .LBB533_222
.LBB533_221:
	v_sub_nc_u32_e32 v1, v37, v77
	s_delay_alu instid0(VALU_DEP_1)
	v_lshlrev_b32_e32 v1, 3, v1
	ds_store_b64 v1, v[57:58]
.LBB533_222:
	s_or_b32 exec_lo, exec_lo, s15
	s_delay_alu instid0(SALU_CYCLE_1)
	s_mov_b32 s1, exec_lo
	s_waitcnt lgkmcnt(0)
	s_waitcnt_vscnt null, 0x0
	s_barrier
	buffer_gl0_inv
	v_cmpx_lt_u32_e64 v0, v59
	s_cbranch_execz .LBB533_225
; %bb.223:
	v_dual_mov_b32 v2, 0 :: v_dual_lshlrev_b32 v3, 3, v0
	v_mov_b32_e32 v1, v0
	s_mov_b32 s2, 0
	.p2align	6
.LBB533_224:                            ; =>This Inner Loop Header: Depth=1
	ds_load_b64 v[4:5], v3
	v_lshlrev_b64 v[6:7], 3, v[1:2]
	v_add_nc_u32_e32 v1, 0x100, v1
	v_add_nc_u32_e32 v3, 0x800, v3
	s_delay_alu instid0(VALU_DEP_2) | instskip(NEXT) | instid1(VALU_DEP_4)
	v_cmp_ge_u32_e32 vcc_lo, v1, v59
	v_add_co_u32 v6, s0, v51, v6
	s_delay_alu instid0(VALU_DEP_1)
	v_add_co_ci_u32_e64 v7, s0, v52, v7, s0
	s_or_b32 s2, vcc_lo, s2
	s_waitcnt lgkmcnt(0)
	global_store_b64 v[6:7], v[4:5], off
	s_and_not1_b32 exec_lo, exec_lo, s2
	s_cbranch_execnz .LBB533_224
.LBB533_225:
	s_or_b32 exec_lo, exec_lo, s1
.LBB533_226:
	v_add_co_u32 v1, vcc_lo, v109, v31
	s_cmpk_lg_i32 s27, 0xf00
	v_add_co_ci_u32_e32 v2, vcc_lo, v110, v32, vcc_lo
	s_cselect_b32 s0, -1, 0
	v_cmp_eq_u32_e32 vcc_lo, 0, v0
	s_and_b32 s0, s26, s0
	v_cndmask_b32_e64 v8, 0, 1, s33
	v_mad_i32_i24 v5, v0, -15, s27
	v_cndmask_b32_e64 v4, 0, 1, s0
	s_mul_hi_u32 s0, s27, 0x88888889
	s_and_b32 s1, vcc_lo, s33
	s_lshr_b32 s0, s0, 3
	v_sub_nc_u32_e32 v3, v59, v8
	v_cndmask_b32_e64 v6, v71, 0, s1
	v_cmp_eq_u32_e32 vcc_lo, s0, v0
	v_cmp_ne_u32_e64 s0, 0, v5
	s_mov_b32 s16, -1
	s_waitcnt_vscnt null, 0x0
	s_barrier
	s_and_b32 vcc_lo, s26, vcc_lo
	v_add_nc_u32_e32 v3, v3, v4
	v_cndmask_b32_e64 v4, 1, v6, s0
	v_cmp_ne_u32_e64 s0, 1, v5
	buffer_gl0_inv
	v_cndmask_b32_e64 v7, 1, v72, s0
	v_cmp_ne_u32_e64 s0, 14, v5
	s_delay_alu instid0(VALU_DEP_1) | instskip(SKIP_1) | instid1(VALU_DEP_2)
	v_cndmask_b32_e64 v9, 1, v111, s0
	v_cmp_ne_u32_e64 s0, 2, v5
	v_dual_cndmask_b32 v12, v111, v9 :: v_dual_cndmask_b32 v9, v6, v4
	s_delay_alu instid0(VALU_DEP_2) | instskip(SKIP_1) | instid1(VALU_DEP_3)
	v_cndmask_b32_e64 v10, 1, v69, s0
	v_cmp_ne_u32_e64 s0, 3, v5
	v_cmp_ne_u32_e64 s14, 0, v9
	s_delay_alu instid0(VALU_DEP_3) | instskip(NEXT) | instid1(VALU_DEP_3)
	v_cndmask_b32_e32 v10, v69, v10, vcc_lo
	v_cndmask_b32_e64 v11, 1, v70, s0
	v_cmp_ne_u32_e64 s0, 4, v5
	s_delay_alu instid0(VALU_DEP_3) | instskip(NEXT) | instid1(VALU_DEP_2)
	v_cmp_ne_u32_e64 s12, 0, v10
	v_cndmask_b32_e64 v4, 1, v67, s0
	v_cmp_ne_u32_e64 s0, 5, v5
	s_delay_alu instid0(VALU_DEP_2) | instskip(NEXT) | instid1(VALU_DEP_2)
	v_dual_cndmask_b32 v13, v72, v7 :: v_dual_cndmask_b32 v18, v67, v4
	v_cndmask_b32_e64 v6, 1, v68, s0
	v_cmp_eq_u32_e64 s0, 0, v9
	s_delay_alu instid0(VALU_DEP_3) | instskip(NEXT) | instid1(VALU_DEP_4)
	v_cmp_ne_u32_e64 s13, 0, v13
	v_cmp_ne_u32_e64 s10, 0, v18
	s_delay_alu instid0(VALU_DEP_4) | instskip(NEXT) | instid1(VALU_DEP_4)
	v_cndmask_b32_e32 v19, v68, v6, vcc_lo
	v_cndmask_b32_e64 v7, 1, 2, s0
	v_cmp_eq_u32_e64 s0, 0, v13
	s_delay_alu instid0(VALU_DEP_1) | instskip(SKIP_1) | instid1(VALU_DEP_2)
	v_cndmask_b32_e64 v14, 1, 2, s0
	v_cmp_ne_u32_e64 s0, 6, v5
	v_and_b32_e32 v7, v14, v7
	s_delay_alu instid0(VALU_DEP_2) | instskip(SKIP_1) | instid1(VALU_DEP_2)
	v_cndmask_b32_e64 v15, 1, v65, s0
	v_cmp_eq_u32_e64 s0, 0, v10
	v_cndmask_b32_e32 v15, v65, v15, vcc_lo
	s_delay_alu instid0(VALU_DEP_2) | instskip(SKIP_1) | instid1(VALU_DEP_1)
	v_cndmask_b32_e64 v14, 1, 2, s0
	v_cmp_ne_u32_e64 s0, 7, v5
	v_cndmask_b32_e64 v16, 1, v66, s0
	v_cmp_ne_u32_e64 s0, 8, v5
	s_delay_alu instid0(VALU_DEP_2) | instskip(SKIP_1) | instid1(VALU_DEP_3)
	v_dual_cndmask_b32 v16, v66, v16 :: v_dual_and_b32 v7, v7, v14
	v_cndmask_b32_e32 v11, v70, v11, vcc_lo
	v_cndmask_b32_e64 v17, 1, v63, s0
	s_delay_alu instid0(VALU_DEP_3) | instskip(NEXT) | instid1(VALU_DEP_3)
	v_cmp_ne_u32_e64 s7, 0, v16
	v_cmp_eq_u32_e64 s0, 0, v11
	s_delay_alu instid0(VALU_DEP_3) | instskip(NEXT) | instid1(VALU_DEP_2)
	v_cndmask_b32_e32 v17, v63, v17, vcc_lo
	v_cndmask_b32_e64 v14, 1, 2, s0
	v_cmp_ne_u32_e64 s0, 9, v5
	s_delay_alu instid0(VALU_DEP_3) | instskip(NEXT) | instid1(VALU_DEP_3)
	v_cmp_ne_u32_e64 s6, 0, v17
	v_and_b32_e32 v6, v7, v14
	s_delay_alu instid0(VALU_DEP_3) | instskip(SKIP_2) | instid1(VALU_DEP_3)
	v_cndmask_b32_e64 v4, 1, v64, s0
	v_cmp_eq_u32_e64 s0, 0, v18
	v_cmp_ne_u32_e64 s11, 0, v11
	v_cndmask_b32_e32 v23, v64, v4, vcc_lo
	s_delay_alu instid0(VALU_DEP_3) | instskip(SKIP_1) | instid1(VALU_DEP_3)
	v_cndmask_b32_e64 v7, 1, 2, s0
	v_cmp_ne_u32_e64 s0, 10, v5
	v_cmp_ne_u32_e64 s5, 0, v23
	s_delay_alu instid0(VALU_DEP_3) | instskip(NEXT) | instid1(VALU_DEP_3)
	v_and_b32_e32 v6, v6, v7
	v_cndmask_b32_e64 v14, 1, v61, s0
	v_cmp_ne_u32_e64 s0, 12, v5
	v_cmp_ne_u32_e64 s9, 0, v19
	s_delay_alu instid0(VALU_DEP_3) | instskip(NEXT) | instid1(VALU_DEP_3)
	v_cndmask_b32_e32 v14, v61, v14, vcc_lo
	v_cndmask_b32_e64 v20, 1, v112, s0
	v_cmp_eq_u32_e64 s0, 0, v19
	s_delay_alu instid0(VALU_DEP_3) | instskip(NEXT) | instid1(VALU_DEP_3)
	v_cmp_ne_u32_e64 s4, 0, v14
	v_cndmask_b32_e32 v20, v112, v20, vcc_lo
	s_delay_alu instid0(VALU_DEP_3) | instskip(SKIP_1) | instid1(VALU_DEP_3)
	v_cndmask_b32_e64 v7, 1, 2, s0
	v_cmp_ne_u32_e64 s0, 13, v5
	v_cmp_ne_u32_e64 s2, 0, v20
	s_delay_alu instid0(VALU_DEP_2) | instskip(SKIP_1) | instid1(VALU_DEP_2)
	v_cndmask_b32_e64 v21, 1, v60, s0
	v_cmp_eq_u32_e64 s0, 0, v15
	v_dual_cndmask_b32 v21, v60, v21 :: v_dual_and_b32 v6, v6, v7
	s_delay_alu instid0(VALU_DEP_2) | instskip(SKIP_1) | instid1(VALU_DEP_3)
	v_cndmask_b32_e64 v7, 1, 2, s0
	v_cmp_ne_u32_e64 s0, 11, v5
	v_cmp_ne_u32_e64 s1, 0, v21
	s_delay_alu instid0(VALU_DEP_3) | instskip(NEXT) | instid1(VALU_DEP_3)
	v_and_b32_e32 v6, v6, v7
	v_cndmask_b32_e64 v5, 1, v62, s0
	v_cmp_eq_u32_e64 s0, 0, v16
	s_delay_alu instid0(VALU_DEP_2) | instskip(NEXT) | instid1(VALU_DEP_2)
	v_cndmask_b32_e32 v22, v62, v5, vcc_lo
	v_cndmask_b32_e64 v7, 1, 2, s0
	v_cmp_eq_u32_e32 vcc_lo, 0, v17
	v_cmp_ne_u32_e64 s8, 0, v15
	v_cmp_ne_u32_e64 s0, 0, v12
	;; [unrolled: 1-line block ×3, first 2 shown]
	v_and_b32_e32 v4, v6, v7
	v_cndmask_b32_e64 v5, 1, 2, vcc_lo
	v_add_co_u32 v6, vcc_lo, s44, v33
	v_add_co_ci_u32_e32 v7, vcc_lo, s45, v34, vcc_lo
	v_cmp_eq_u32_e32 vcc_lo, 0, v23
	s_delay_alu instid0(VALU_DEP_4)
	v_and_b32_e32 v24, v4, v5
	v_cndmask_b32_e64 v25, 1, 2, vcc_lo
	v_add_co_u32 v4, vcc_lo, v6, v35
	v_add_co_ci_u32_e32 v5, vcc_lo, v7, v36, vcc_lo
	v_lshlrev_b32_e32 v6, 3, v8
	v_cmp_eq_u32_e32 vcc_lo, 0, v14
	v_and_b32_e32 v7, v24, v25
	v_add_nc_u32_e32 v8, v77, v8
	v_cndmask_b32_e64 v24, 1, 2, vcc_lo
	v_add_co_u32 v6, vcc_lo, v6, v4
	v_add_co_ci_u32_e32 v25, vcc_lo, 0, v5, vcc_lo
	v_cmp_eq_u32_e32 vcc_lo, 0, v22
	s_delay_alu instid0(VALU_DEP_4) | instskip(SKIP_4) | instid1(VALU_DEP_4)
	v_and_b32_e32 v24, v7, v24
	v_cndmask_b32_e64 v26, 1, 2, vcc_lo
	v_add_co_u32 v6, vcc_lo, v6, -8
	v_add_co_ci_u32_e32 v7, vcc_lo, -1, v25, vcc_lo
	v_cmp_eq_u32_e32 vcc_lo, 0, v20
	v_and_b32_e32 v24, v24, v26
	v_cndmask_b32_e64 v25, 1, 2, vcc_lo
	v_cmp_eq_u32_e32 vcc_lo, 0, v21
	s_delay_alu instid0(VALU_DEP_2) | instskip(SKIP_2) | instid1(VALU_DEP_2)
	v_and_b32_e32 v9, v24, v25
	v_cndmask_b32_e64 v10, 1, 2, vcc_lo
	v_cmp_eq_u32_e32 vcc_lo, 0, v12
	v_and_b32_e32 v9, v9, v10
	v_cndmask_b32_e64 v10, 1, 2, vcc_lo
	v_cmp_gt_u32_e32 vcc_lo, 0x100, v3
	s_delay_alu instid0(VALU_DEP_2) | instskip(NEXT) | instid1(VALU_DEP_1)
	v_and_b32_e32 v9, v9, v10
	v_cmp_gt_i16_e64 s15, 2, v9
	s_cbranch_vccnz .LBB533_230
; %bb.227:
	s_and_b32 vcc_lo, exec_lo, s16
	s_cbranch_vccnz .LBB533_236
.LBB533_228:
	v_cmp_eq_u32_e32 vcc_lo, 0xff, v0
	s_and_b32 s0, vcc_lo, s26
	s_delay_alu instid0(SALU_CYCLE_1)
	s_and_saveexec_b32 s1, s0
	s_cbranch_execnz .LBB533_245
.LBB533_229:
	s_nop 0
	s_sendmsg sendmsg(MSG_DEALLOC_VGPRS)
	s_endpgm
.LBB533_230:
	s_delay_alu instid0(VALU_DEP_1)
	s_and_saveexec_b32 s16, s15
	s_cbranch_execz .LBB533_235
; %bb.231:
	s_mov_b32 s17, 0
	s_mov_b32 s15, exec_lo
	v_cmpx_ne_u16_e32 1, v9
	s_xor_b32 s15, exec_lo, s15
	s_cbranch_execnz .LBB533_315
; %bb.232:
	s_and_not1_saveexec_b32 s15, s15
	s_cbranch_execnz .LBB533_331
.LBB533_233:
	s_or_b32 exec_lo, exec_lo, s15
	s_delay_alu instid0(SALU_CYCLE_1)
	s_and_b32 exec_lo, exec_lo, s17
	s_cbranch_execz .LBB533_235
.LBB533_234:
	v_sub_nc_u32_e32 v10, v37, v8
	v_mov_b32_e32 v11, 0
	s_delay_alu instid0(VALU_DEP_1) | instskip(NEXT) | instid1(VALU_DEP_1)
	v_lshlrev_b64 v[10:11], 3, v[10:11]
	v_add_co_u32 v10, vcc_lo, v6, v10
	s_delay_alu instid0(VALU_DEP_2)
	v_add_co_ci_u32_e32 v11, vcc_lo, v7, v11, vcc_lo
	global_store_b64 v[10:11], v[1:2], off
.LBB533_235:
	s_or_b32 exec_lo, exec_lo, s16
	s_branch .LBB533_228
.LBB533_236:
	s_mov_b32 s15, exec_lo
	v_cmpx_gt_i16_e32 2, v9
	s_cbranch_execz .LBB533_241
; %bb.237:
	s_mov_b32 s17, 0
	s_mov_b32 s16, exec_lo
	v_cmpx_ne_u16_e32 1, v9
	s_xor_b32 s16, exec_lo, s16
	s_cbranch_execnz .LBB533_332
; %bb.238:
	s_and_not1_saveexec_b32 s0, s16
	s_cbranch_execnz .LBB533_348
.LBB533_239:
	s_or_b32 exec_lo, exec_lo, s0
	s_delay_alu instid0(SALU_CYCLE_1)
	s_and_b32 exec_lo, exec_lo, s17
	s_cbranch_execz .LBB533_241
.LBB533_240:
	v_sub_nc_u32_e32 v8, v37, v8
	s_delay_alu instid0(VALU_DEP_1)
	v_lshlrev_b32_e32 v8, 3, v8
	ds_store_b64 v8, v[1:2]
.LBB533_241:
	s_or_b32 exec_lo, exec_lo, s15
	s_delay_alu instid0(SALU_CYCLE_1)
	s_mov_b32 s1, exec_lo
	s_waitcnt lgkmcnt(0)
	s_waitcnt_vscnt null, 0x0
	s_barrier
	buffer_gl0_inv
	v_cmpx_lt_u32_e64 v0, v3
	s_cbranch_execz .LBB533_244
; %bb.242:
	v_dual_mov_b32 v1, v0 :: v_dual_lshlrev_b32 v8, 3, v0
	v_mov_b32_e32 v2, 0
	s_mov_b32 s2, 0
	.p2align	6
.LBB533_243:                            ; =>This Inner Loop Header: Depth=1
	ds_load_b64 v[9:10], v8
	v_lshlrev_b64 v[11:12], 3, v[1:2]
	v_add_nc_u32_e32 v1, 0x100, v1
	v_add_nc_u32_e32 v8, 0x800, v8
	s_delay_alu instid0(VALU_DEP_2) | instskip(NEXT) | instid1(VALU_DEP_4)
	v_cmp_ge_u32_e32 vcc_lo, v1, v3
	v_add_co_u32 v11, s0, v6, v11
	s_delay_alu instid0(VALU_DEP_1)
	v_add_co_ci_u32_e64 v12, s0, v7, v12, s0
	s_or_b32 s2, vcc_lo, s2
	s_waitcnt lgkmcnt(0)
	global_store_b64 v[11:12], v[9:10], off
	s_and_not1_b32 exec_lo, exec_lo, s2
	s_cbranch_execnz .LBB533_243
.LBB533_244:
	s_or_b32 exec_lo, exec_lo, s1
	v_cmp_eq_u32_e32 vcc_lo, 0xff, v0
	s_and_b32 s0, vcc_lo, s26
	s_delay_alu instid0(SALU_CYCLE_1)
	s_and_saveexec_b32 s1, s0
	s_cbranch_execz .LBB533_229
.LBB533_245:
	v_add_co_u32 v0, s0, v59, v77
	s_delay_alu instid0(VALU_DEP_1) | instskip(SKIP_1) | instid1(VALU_DEP_3)
	v_add_co_ci_u32_e64 v1, null, 0, 0, s0
	v_mov_b32_e32 v60, 0
	v_add_co_u32 v0, vcc_lo, v0, v29
	s_delay_alu instid0(VALU_DEP_3)
	v_add_co_ci_u32_e32 v1, vcc_lo, v1, v30, vcc_lo
	s_cmpk_lg_i32 s27, 0xf00
	global_store_b64 v60, v[0:1], s[46:47]
	s_cbranch_scc1 .LBB533_229
; %bb.246:
	v_lshlrev_b64 v[0:1], 3, v[59:60]
	s_delay_alu instid0(VALU_DEP_1) | instskip(NEXT) | instid1(VALU_DEP_2)
	v_add_co_u32 v0, vcc_lo, v4, v0
	v_add_co_ci_u32_e32 v1, vcc_lo, v5, v1, vcc_lo
	global_store_b64 v[0:1], v[75:76], off offset:-8
	s_nop 0
	s_sendmsg sendmsg(MSG_DEALLOC_VGPRS)
	s_endpgm
.LBB533_247:
                                        ; implicit-def: $sgpr2
                                        ; implicit-def: $vgpr111
                                        ; implicit-def: $vgpr60
                                        ; implicit-def: $vgpr112
                                        ; implicit-def: $vgpr62
                                        ; implicit-def: $vgpr61
                                        ; implicit-def: $vgpr64
                                        ; implicit-def: $vgpr63
                                        ; implicit-def: $vgpr66
                                        ; implicit-def: $vgpr65
                                        ; implicit-def: $vgpr68
                                        ; implicit-def: $vgpr67
                                        ; implicit-def: $vgpr70
                                        ; implicit-def: $vgpr69
                                        ; implicit-def: $vgpr72
	s_cbranch_execz .LBB533_109
; %bb.248:
	v_mad_u32_u24 v59, v0, 15, 14
	v_dual_mov_b32 v60, 0 :: v_dual_lshlrev_b32 v77, 3, v0
	s_waitcnt lgkmcnt(0)
	v_mul_u32_u24_e32 v75, 15, v0
	v_mov_b32_e32 v111, 0
	s_mov_b32 s2, exec_lo
	ds_store_b64 v77, v[57:58]
	v_cmpx_gt_u64_e64 s[0:1], v[59:60]
; %bb.249:
	v_mul_hi_i32 v59, 0x66666667, v3
	v_mul_hi_i32 v61, 0x66666667, v57
	s_delay_alu instid0(VALU_DEP_2) | instskip(SKIP_1) | instid1(VALU_DEP_3)
	v_lshrrev_b32_e32 v62, 31, v59
	v_ashrrev_i32_e32 v59, 2, v59
	v_lshrrev_b32_e32 v63, 31, v61
	v_ashrrev_i32_e32 v61, 2, v61
	s_delay_alu instid0(VALU_DEP_3) | instskip(NEXT) | instid1(VALU_DEP_2)
	v_add_nc_u32_e32 v59, v59, v62
	v_add_nc_u32_e32 v61, v61, v63
	s_delay_alu instid0(VALU_DEP_1)
	v_cmp_ne_u32_e32 vcc_lo, v59, v61
	v_cndmask_b32_e64 v111, 0, 1, vcc_lo
; %bb.250:
	s_or_b32 exec_lo, exec_lo, s2
	v_add_nc_u32_e32 v59, 13, v75
	s_mov_b32 s2, exec_lo
	s_delay_alu instid0(VALU_DEP_1)
	v_cmpx_gt_u64_e64 s[0:1], v[59:60]
; %bb.251:
	v_mul_hi_i32 v59, 0x66666667, v1
	v_mul_hi_i32 v60, 0x66666667, v3
	s_delay_alu instid0(VALU_DEP_2) | instskip(SKIP_1) | instid1(VALU_DEP_3)
	v_lshrrev_b32_e32 v61, 31, v59
	v_ashrrev_i32_e32 v59, 2, v59
	v_lshrrev_b32_e32 v62, 31, v60
	v_ashrrev_i32_e32 v60, 2, v60
	s_delay_alu instid0(VALU_DEP_3) | instskip(NEXT) | instid1(VALU_DEP_2)
	v_add_nc_u32_e32 v59, v59, v61
	v_add_nc_u32_e32 v60, v60, v62
	s_delay_alu instid0(VALU_DEP_1)
	v_cmp_ne_u32_e32 vcc_lo, v59, v60
	v_cndmask_b32_e64 v60, 0, 1, vcc_lo
; %bb.252:
	s_or_b32 exec_lo, exec_lo, s2
	v_dual_mov_b32 v62, 0 :: v_dual_add_nc_u32 v61, 12, v75
	v_mov_b32_e32 v112, 0
	s_mov_b32 s2, exec_lo
	s_delay_alu instid0(VALU_DEP_2)
	v_cmpx_gt_u64_e64 s[0:1], v[61:62]
; %bb.253:
	v_mul_hi_i32 v59, 0x66666667, v7
	v_mul_hi_i32 v61, 0x66666667, v1
	s_delay_alu instid0(VALU_DEP_2) | instskip(SKIP_1) | instid1(VALU_DEP_3)
	v_lshrrev_b32_e32 v63, 31, v59
	v_ashrrev_i32_e32 v59, 2, v59
	v_lshrrev_b32_e32 v64, 31, v61
	v_ashrrev_i32_e32 v61, 2, v61
	s_delay_alu instid0(VALU_DEP_3) | instskip(NEXT) | instid1(VALU_DEP_2)
	v_add_nc_u32_e32 v59, v59, v63
	v_add_nc_u32_e32 v61, v61, v64
	s_delay_alu instid0(VALU_DEP_1)
	v_cmp_ne_u32_e32 vcc_lo, v59, v61
	v_cndmask_b32_e64 v112, 0, 1, vcc_lo
; %bb.254:
	s_or_b32 exec_lo, exec_lo, s2
	v_add_nc_u32_e32 v61, 11, v75
	s_mov_b32 s2, exec_lo
	s_delay_alu instid0(VALU_DEP_1)
	v_cmpx_gt_u64_e64 s[0:1], v[61:62]
; %bb.255:
	v_mul_hi_i32 v59, 0x66666667, v5
	v_mul_hi_i32 v61, 0x66666667, v7
	s_delay_alu instid0(VALU_DEP_2) | instskip(SKIP_1) | instid1(VALU_DEP_3)
	v_lshrrev_b32_e32 v62, 31, v59
	v_ashrrev_i32_e32 v59, 2, v59
	v_lshrrev_b32_e32 v63, 31, v61
	v_ashrrev_i32_e32 v61, 2, v61
	s_delay_alu instid0(VALU_DEP_3) | instskip(NEXT) | instid1(VALU_DEP_2)
	v_add_nc_u32_e32 v59, v59, v62
	v_add_nc_u32_e32 v61, v61, v63
	s_delay_alu instid0(VALU_DEP_1)
	v_cmp_ne_u32_e32 vcc_lo, v59, v61
	v_cndmask_b32_e64 v62, 0, 1, vcc_lo
; %bb.256:
	s_or_b32 exec_lo, exec_lo, s2
	v_dual_mov_b32 v64, 0 :: v_dual_add_nc_u32 v63, 10, v75
	v_mov_b32_e32 v61, 0
	s_mov_b32 s2, exec_lo
	s_delay_alu instid0(VALU_DEP_2)
	;; [unrolled: 41-line block ×6, first 2 shown]
	v_cmpx_gt_u64_e64 s[0:1], v[71:72]
; %bb.273:
	v_mul_hi_i32 v59, 0x66666667, v27
	v_mul_hi_i32 v69, 0x66666667, v21
	s_delay_alu instid0(VALU_DEP_2) | instskip(SKIP_1) | instid1(VALU_DEP_3)
	v_lshrrev_b32_e32 v71, 31, v59
	v_ashrrev_i32_e32 v59, 2, v59
	v_lshrrev_b32_e32 v76, 31, v69
	v_ashrrev_i32_e32 v69, 2, v69
	s_delay_alu instid0(VALU_DEP_3) | instskip(NEXT) | instid1(VALU_DEP_2)
	v_add_nc_u32_e32 v59, v59, v71
	v_add_nc_u32_e32 v69, v69, v76
	s_delay_alu instid0(VALU_DEP_1)
	v_cmp_ne_u32_e32 vcc_lo, v59, v69
	v_cndmask_b32_e64 v69, 0, 1, vcc_lo
; %bb.274:
	s_or_b32 exec_lo, exec_lo, s2
	v_add_nc_u32_e32 v71, 1, v75
	s_mov_b32 s2, exec_lo
	s_delay_alu instid0(VALU_DEP_1)
	v_cmpx_gt_u64_e64 s[0:1], v[71:72]
; %bb.275:
	v_mul_hi_i32 v59, 0x66666667, v25
	v_mul_hi_i32 v71, 0x66666667, v27
	s_delay_alu instid0(VALU_DEP_2) | instskip(SKIP_1) | instid1(VALU_DEP_3)
	v_lshrrev_b32_e32 v72, 31, v59
	v_ashrrev_i32_e32 v59, 2, v59
	v_lshrrev_b32_e32 v76, 31, v71
	v_ashrrev_i32_e32 v71, 2, v71
	s_delay_alu instid0(VALU_DEP_3) | instskip(NEXT) | instid1(VALU_DEP_2)
	v_add_nc_u32_e32 v59, v59, v72
	v_add_nc_u32_e32 v71, v71, v76
	s_delay_alu instid0(VALU_DEP_1)
	v_cmp_ne_u32_e32 vcc_lo, v59, v71
	v_cndmask_b32_e64 v72, 0, 1, vcc_lo
; %bb.276:
	s_or_b32 exec_lo, exec_lo, s2
	s_mov_b32 s4, 0
	s_mov_b32 s3, exec_lo
	s_waitcnt lgkmcnt(0)
	s_barrier
	buffer_gl0_inv
                                        ; implicit-def: $sgpr2
	v_cmpx_ne_u32_e32 0, v0
	s_cbranch_execz .LBB533_280
; %bb.277:
	v_mov_b32_e32 v76, 0
	s_delay_alu instid0(VALU_DEP_1)
	v_cmp_gt_u64_e32 vcc_lo, s[0:1], v[75:76]
	s_and_saveexec_b32 s0, vcc_lo
	s_cbranch_execz .LBB533_279
; %bb.278:
	v_add_nc_u32_e32 v59, -8, v77
	v_mul_hi_i32 v71, 0x66666667, v25
	ds_load_b32 v59, v59
	v_lshrrev_b32_e32 v75, 31, v71
	v_ashrrev_i32_e32 v71, 2, v71
	s_delay_alu instid0(VALU_DEP_1) | instskip(SKIP_2) | instid1(VALU_DEP_1)
	v_add_nc_u32_e32 v71, v71, v75
	s_waitcnt lgkmcnt(0)
	v_mul_hi_i32 v59, 0x66666667, v59
	v_lshrrev_b32_e32 v76, 31, v59
	v_ashrrev_i32_e32 v59, 2, v59
	s_delay_alu instid0(VALU_DEP_1) | instskip(NEXT) | instid1(VALU_DEP_1)
	v_add_nc_u32_e32 v59, v59, v76
	v_cmp_ne_u32_e32 vcc_lo, v59, v71
	s_and_b32 s4, vcc_lo, exec_lo
.LBB533_279:
	s_or_b32 exec_lo, exec_lo, s0
	s_delay_alu instid0(SALU_CYCLE_1)
	s_and_b32 s2, s4, exec_lo
	s_or_b32 s37, s37, exec_lo
.LBB533_280:
	s_or_b32 exec_lo, exec_lo, s3
	s_mov_b32 s0, 1
	s_delay_alu instid0(SALU_CYCLE_1)
	v_mov_b32_e32 v71, s0
	s_and_saveexec_b32 s0, s37
	s_cbranch_execnz .LBB533_111
	s_branch .LBB533_112
.LBB533_281:
	s_and_saveexec_b32 s17, s12
	s_cbranch_execnz .LBB533_349
; %bb.282:
	s_or_b32 exec_lo, exec_lo, s17
	s_and_saveexec_b32 s17, s11
	s_cbranch_execnz .LBB533_350
.LBB533_283:
	s_or_b32 exec_lo, exec_lo, s17
	s_and_saveexec_b32 s17, s9
	s_cbranch_execnz .LBB533_351
.LBB533_284:
	s_or_b32 exec_lo, exec_lo, s17
	s_and_saveexec_b32 s17, s8
	s_cbranch_execnz .LBB533_352
.LBB533_285:
	s_or_b32 exec_lo, exec_lo, s17
	s_and_saveexec_b32 s17, s14
	s_cbranch_execnz .LBB533_353
.LBB533_286:
	s_or_b32 exec_lo, exec_lo, s17
	s_and_saveexec_b32 s17, s13
	s_cbranch_execnz .LBB533_354
.LBB533_287:
	s_or_b32 exec_lo, exec_lo, s17
	s_and_saveexec_b32 s17, s10
	s_cbranch_execnz .LBB533_355
.LBB533_288:
	s_or_b32 exec_lo, exec_lo, s17
	s_and_saveexec_b32 s17, s7
	s_cbranch_execnz .LBB533_356
.LBB533_289:
	s_or_b32 exec_lo, exec_lo, s17
	s_and_saveexec_b32 s17, s6
	s_cbranch_execnz .LBB533_357
.LBB533_290:
	s_or_b32 exec_lo, exec_lo, s17
	s_and_saveexec_b32 s17, s5
	s_cbranch_execnz .LBB533_358
.LBB533_291:
	s_or_b32 exec_lo, exec_lo, s17
	s_and_saveexec_b32 s17, s4
	s_cbranch_execnz .LBB533_359
.LBB533_292:
	s_or_b32 exec_lo, exec_lo, s17
	s_and_saveexec_b32 s17, s3
	s_cbranch_execnz .LBB533_360
.LBB533_293:
	s_or_b32 exec_lo, exec_lo, s17
	s_and_saveexec_b32 s17, s2
	s_cbranch_execnz .LBB533_361
.LBB533_294:
	s_or_b32 exec_lo, exec_lo, s17
	s_and_saveexec_b32 s17, s1
	s_cbranch_execz .LBB533_296
.LBB533_295:
	v_sub_nc_u32_e32 v54, v38, v77
	v_mov_b32_e32 v55, 0
	s_delay_alu instid0(VALU_DEP_1) | instskip(NEXT) | instid1(VALU_DEP_1)
	v_lshlrev_b64 v[54:55], 3, v[54:55]
	v_add_co_u32 v54, vcc_lo, v51, v54
	s_delay_alu instid0(VALU_DEP_2)
	v_add_co_ci_u32_e32 v55, vcc_lo, v52, v55, vcc_lo
	global_store_b64 v[54:55], v[3:4], off
.LBB533_296:
	s_or_b32 exec_lo, exec_lo, s17
	s_delay_alu instid0(SALU_CYCLE_1)
	s_and_b32 s17, s0, exec_lo
	s_and_not1_saveexec_b32 s15, s15
	s_cbranch_execz .LBB533_213
.LBB533_297:
	v_sub_nc_u32_e32 v54, v113, v77
	v_mov_b32_e32 v55, 0
	s_or_b32 s17, s17, exec_lo
	s_delay_alu instid0(VALU_DEP_1) | instskip(SKIP_1) | instid1(VALU_DEP_1)
	v_lshlrev_b64 v[73:74], 3, v[54:55]
	v_sub_nc_u32_e32 v54, v48, v77
	v_lshlrev_b64 v[107:108], 3, v[54:55]
	v_sub_nc_u32_e32 v54, v50, v77
	s_delay_alu instid0(VALU_DEP_4) | instskip(SKIP_1) | instid1(VALU_DEP_3)
	v_add_co_u32 v73, vcc_lo, v51, v73
	v_add_co_ci_u32_e32 v74, vcc_lo, v52, v74, vcc_lo
	v_lshlrev_b64 v[114:115], 3, v[54:55]
	v_sub_nc_u32_e32 v54, v49, v77
	v_add_co_u32 v107, vcc_lo, v51, v107
	v_add_co_ci_u32_e32 v108, vcc_lo, v52, v108, vcc_lo
	global_store_b64 v[73:74], v[25:26], off
	v_lshlrev_b64 v[73:74], 3, v[54:55]
	v_sub_nc_u32_e32 v54, v47, v77
	global_store_b64 v[107:108], v[27:28], off
	v_add_co_u32 v107, vcc_lo, v51, v114
	v_add_co_ci_u32_e32 v108, vcc_lo, v52, v115, vcc_lo
	v_lshlrev_b64 v[114:115], 3, v[54:55]
	v_sub_nc_u32_e32 v54, v46, v77
	v_add_co_u32 v73, vcc_lo, v51, v73
	v_add_co_ci_u32_e32 v74, vcc_lo, v52, v74, vcc_lo
	s_delay_alu instid0(VALU_DEP_3) | instskip(SKIP_3) | instid1(VALU_DEP_3)
	v_lshlrev_b64 v[116:117], 3, v[54:55]
	v_sub_nc_u32_e32 v54, v45, v77
	v_add_co_u32 v114, vcc_lo, v51, v114
	v_add_co_ci_u32_e32 v115, vcc_lo, v52, v115, vcc_lo
	v_lshlrev_b64 v[118:119], 3, v[54:55]
	v_sub_nc_u32_e32 v54, v44, v77
	v_add_co_u32 v116, vcc_lo, v51, v116
	v_add_co_ci_u32_e32 v117, vcc_lo, v52, v117, vcc_lo
	s_clause 0x3
	global_store_b64 v[107:108], v[21:22], off
	global_store_b64 v[73:74], v[23:24], off
	;; [unrolled: 1-line block ×4, first 2 shown]
	v_lshlrev_b64 v[73:74], 3, v[54:55]
	v_sub_nc_u32_e32 v54, v43, v77
	v_add_co_u32 v107, vcc_lo, v51, v118
	v_add_co_ci_u32_e32 v108, vcc_lo, v52, v119, vcc_lo
	s_delay_alu instid0(VALU_DEP_3) | instskip(SKIP_3) | instid1(VALU_DEP_3)
	v_lshlrev_b64 v[114:115], 3, v[54:55]
	v_sub_nc_u32_e32 v54, v42, v77
	v_add_co_u32 v73, vcc_lo, v51, v73
	v_add_co_ci_u32_e32 v74, vcc_lo, v52, v74, vcc_lo
	v_lshlrev_b64 v[116:117], 3, v[54:55]
	v_sub_nc_u32_e32 v54, v41, v77
	v_add_co_u32 v114, vcc_lo, v51, v114
	v_add_co_ci_u32_e32 v115, vcc_lo, v52, v115, vcc_lo
	s_delay_alu instid0(VALU_DEP_3)
	v_lshlrev_b64 v[118:119], 3, v[54:55]
	v_sub_nc_u32_e32 v54, v40, v77
	v_add_co_u32 v116, vcc_lo, v51, v116
	v_add_co_ci_u32_e32 v117, vcc_lo, v52, v117, vcc_lo
	s_clause 0x3
	global_store_b64 v[107:108], v[13:14], off
	global_store_b64 v[73:74], v[15:16], off
	;; [unrolled: 1-line block ×4, first 2 shown]
	v_lshlrev_b64 v[73:74], 3, v[54:55]
	v_sub_nc_u32_e32 v54, v39, v77
	v_add_co_u32 v107, vcc_lo, v51, v118
	v_add_co_ci_u32_e32 v108, vcc_lo, v52, v119, vcc_lo
	s_delay_alu instid0(VALU_DEP_3) | instskip(SKIP_3) | instid1(VALU_DEP_3)
	v_lshlrev_b64 v[114:115], 3, v[54:55]
	v_sub_nc_u32_e32 v54, v38, v77
	v_add_co_u32 v73, vcc_lo, v51, v73
	v_add_co_ci_u32_e32 v74, vcc_lo, v52, v74, vcc_lo
	v_lshlrev_b64 v[54:55], 3, v[54:55]
	v_add_co_u32 v114, vcc_lo, v51, v114
	v_add_co_ci_u32_e32 v115, vcc_lo, v52, v115, vcc_lo
	s_clause 0x2
	global_store_b64 v[107:108], v[5:6], off
	global_store_b64 v[73:74], v[7:8], off
	;; [unrolled: 1-line block ×3, first 2 shown]
	v_add_co_u32 v54, vcc_lo, v51, v54
	v_add_co_ci_u32_e32 v55, vcc_lo, v52, v55, vcc_lo
	global_store_b64 v[54:55], v[3:4], off
	s_or_b32 exec_lo, exec_lo, s15
	s_delay_alu instid0(SALU_CYCLE_1)
	s_and_b32 exec_lo, exec_lo, s17
	s_cbranch_execnz .LBB533_214
	s_branch .LBB533_215
.LBB533_298:
	s_and_saveexec_b32 s17, s12
	s_cbranch_execnz .LBB533_362
; %bb.299:
	s_or_b32 exec_lo, exec_lo, s17
	s_and_saveexec_b32 s12, s11
	s_cbranch_execnz .LBB533_363
.LBB533_300:
	s_or_b32 exec_lo, exec_lo, s12
	s_and_saveexec_b32 s11, s9
	s_cbranch_execnz .LBB533_364
.LBB533_301:
	s_or_b32 exec_lo, exec_lo, s11
	s_and_saveexec_b32 s9, s8
	s_cbranch_execnz .LBB533_365
.LBB533_302:
	s_or_b32 exec_lo, exec_lo, s9
	s_and_saveexec_b32 s8, s14
	s_cbranch_execnz .LBB533_366
.LBB533_303:
	s_or_b32 exec_lo, exec_lo, s8
	s_and_saveexec_b32 s8, s13
	s_cbranch_execnz .LBB533_367
.LBB533_304:
	s_or_b32 exec_lo, exec_lo, s8
	s_and_saveexec_b32 s8, s10
	s_cbranch_execnz .LBB533_368
.LBB533_305:
	s_or_b32 exec_lo, exec_lo, s8
	s_and_saveexec_b32 s8, s7
	s_cbranch_execnz .LBB533_369
.LBB533_306:
	s_or_b32 exec_lo, exec_lo, s8
	s_and_saveexec_b32 s7, s6
	s_cbranch_execnz .LBB533_370
.LBB533_307:
	s_or_b32 exec_lo, exec_lo, s7
	s_and_saveexec_b32 s6, s5
	s_cbranch_execnz .LBB533_371
.LBB533_308:
	s_or_b32 exec_lo, exec_lo, s6
	s_and_saveexec_b32 s5, s4
	s_cbranch_execnz .LBB533_372
.LBB533_309:
	s_or_b32 exec_lo, exec_lo, s5
	s_and_saveexec_b32 s4, s3
	s_cbranch_execnz .LBB533_373
.LBB533_310:
	s_or_b32 exec_lo, exec_lo, s4
	s_and_saveexec_b32 s3, s2
	s_cbranch_execnz .LBB533_374
.LBB533_311:
	s_or_b32 exec_lo, exec_lo, s3
	s_and_saveexec_b32 s2, s1
	s_cbranch_execz .LBB533_313
.LBB533_312:
	v_sub_nc_u32_e32 v1, v38, v77
	s_delay_alu instid0(VALU_DEP_1)
	v_lshlrev_b32_e32 v1, 3, v1
	ds_store_b64 v1, v[3:4]
.LBB533_313:
	s_or_b32 exec_lo, exec_lo, s2
	s_delay_alu instid0(SALU_CYCLE_1)
	s_and_b32 s17, s0, exec_lo
                                        ; implicit-def: $vgpr25_vgpr26
                                        ; implicit-def: $vgpr21_vgpr22
                                        ; implicit-def: $vgpr17_vgpr18
                                        ; implicit-def: $vgpr13_vgpr14
                                        ; implicit-def: $vgpr9_vgpr10
                                        ; implicit-def: $vgpr5_vgpr6
                                        ; implicit-def: $vgpr1_vgpr2
	s_and_not1_saveexec_b32 s0, s16
	s_cbranch_execz .LBB533_220
.LBB533_314:
	v_sub_nc_u32_e32 v53, v113, v77
	v_sub_nc_u32_e32 v54, v48, v77
	;; [unrolled: 1-line block ×4, first 2 shown]
	s_or_b32 s17, s17, exec_lo
	v_lshlrev_b32_e32 v53, 3, v53
	v_lshlrev_b32_e32 v54, 3, v54
	;; [unrolled: 1-line block ×4, first 2 shown]
	ds_store_b64 v53, v[25:26]
	ds_store_b64 v54, v[27:28]
	;; [unrolled: 1-line block ×3, first 2 shown]
	v_sub_nc_u32_e32 v21, v47, v77
	v_sub_nc_u32_e32 v22, v46, v77
	ds_store_b64 v56, v[23:24]
	v_sub_nc_u32_e32 v23, v45, v77
	v_sub_nc_u32_e32 v24, v44, v77
	v_lshlrev_b32_e32 v21, 3, v21
	v_sub_nc_u32_e32 v25, v43, v77
	v_lshlrev_b32_e32 v22, 3, v22
	v_lshlrev_b32_e32 v23, 3, v23
	;; [unrolled: 1-line block ×3, first 2 shown]
	ds_store_b64 v21, v[17:18]
	v_lshlrev_b32_e32 v17, 3, v25
	ds_store_b64 v22, v[19:20]
	ds_store_b64 v23, v[13:14]
	;; [unrolled: 1-line block ×3, first 2 shown]
	v_sub_nc_u32_e32 v13, v42, v77
	v_sub_nc_u32_e32 v15, v38, v77
	;; [unrolled: 1-line block ×3, first 2 shown]
	ds_store_b64 v17, v[9:10]
	v_sub_nc_u32_e32 v9, v41, v77
	v_lshlrev_b32_e32 v13, 3, v13
	v_sub_nc_u32_e32 v10, v40, v77
	v_lshlrev_b32_e32 v14, 3, v14
	s_delay_alu instid0(VALU_DEP_4)
	v_lshlrev_b32_e32 v9, 3, v9
	ds_store_b64 v13, v[11:12]
	v_lshlrev_b32_e32 v11, 3, v15
	v_lshlrev_b32_e32 v10, 3, v10
	ds_store_b64 v9, v[5:6]
	ds_store_b64 v10, v[7:8]
	;; [unrolled: 1-line block ×4, first 2 shown]
	s_or_b32 exec_lo, exec_lo, s0
	s_delay_alu instid0(SALU_CYCLE_1)
	s_and_b32 exec_lo, exec_lo, s17
	s_cbranch_execnz .LBB533_221
	s_branch .LBB533_222
.LBB533_315:
	s_and_saveexec_b32 s17, s14
	s_cbranch_execnz .LBB533_375
; %bb.316:
	s_or_b32 exec_lo, exec_lo, s17
	s_and_saveexec_b32 s17, s13
	s_cbranch_execnz .LBB533_376
.LBB533_317:
	s_or_b32 exec_lo, exec_lo, s17
	s_and_saveexec_b32 s17, s12
	s_cbranch_execnz .LBB533_377
.LBB533_318:
	s_or_b32 exec_lo, exec_lo, s17
	s_and_saveexec_b32 s17, s11
	s_cbranch_execnz .LBB533_378
.LBB533_319:
	s_or_b32 exec_lo, exec_lo, s17
	s_and_saveexec_b32 s17, s10
	s_cbranch_execnz .LBB533_379
.LBB533_320:
	s_or_b32 exec_lo, exec_lo, s17
	s_and_saveexec_b32 s17, s9
	s_cbranch_execnz .LBB533_380
.LBB533_321:
	s_or_b32 exec_lo, exec_lo, s17
	s_and_saveexec_b32 s17, s8
	s_cbranch_execnz .LBB533_381
.LBB533_322:
	s_or_b32 exec_lo, exec_lo, s17
	s_and_saveexec_b32 s17, s7
	s_cbranch_execnz .LBB533_382
.LBB533_323:
	s_or_b32 exec_lo, exec_lo, s17
	s_and_saveexec_b32 s17, s6
	s_cbranch_execnz .LBB533_383
.LBB533_324:
	s_or_b32 exec_lo, exec_lo, s17
	s_and_saveexec_b32 s17, s5
	s_cbranch_execnz .LBB533_384
.LBB533_325:
	s_or_b32 exec_lo, exec_lo, s17
	s_and_saveexec_b32 s17, s4
	s_cbranch_execnz .LBB533_385
.LBB533_326:
	s_or_b32 exec_lo, exec_lo, s17
	s_and_saveexec_b32 s17, s3
	s_cbranch_execnz .LBB533_386
.LBB533_327:
	s_or_b32 exec_lo, exec_lo, s17
	s_and_saveexec_b32 s17, s2
	s_cbranch_execnz .LBB533_387
.LBB533_328:
	s_or_b32 exec_lo, exec_lo, s17
	s_and_saveexec_b32 s17, s1
	s_cbranch_execz .LBB533_330
.LBB533_329:
	v_sub_nc_u32_e32 v10, v38, v8
	v_mov_b32_e32 v11, 0
	s_delay_alu instid0(VALU_DEP_1) | instskip(NEXT) | instid1(VALU_DEP_1)
	v_lshlrev_b64 v[10:11], 3, v[10:11]
	v_add_co_u32 v10, vcc_lo, v6, v10
	s_delay_alu instid0(VALU_DEP_2)
	v_add_co_ci_u32_e32 v11, vcc_lo, v7, v11, vcc_lo
	global_store_b64 v[10:11], v[103:104], off
.LBB533_330:
	s_or_b32 exec_lo, exec_lo, s17
	s_delay_alu instid0(SALU_CYCLE_1)
	s_and_b32 s17, s0, exec_lo
	s_and_not1_saveexec_b32 s15, s15
	s_cbranch_execz .LBB533_233
.LBB533_331:
	v_sub_nc_u32_e32 v10, v113, v8
	v_mov_b32_e32 v11, 0
	s_or_b32 s17, s17, exec_lo
	s_delay_alu instid0(VALU_DEP_1) | instskip(SKIP_1) | instid1(VALU_DEP_1)
	v_lshlrev_b64 v[12:13], 3, v[10:11]
	v_sub_nc_u32_e32 v10, v48, v8
	v_lshlrev_b64 v[14:15], 3, v[10:11]
	v_sub_nc_u32_e32 v10, v50, v8
	s_delay_alu instid0(VALU_DEP_4) | instskip(SKIP_1) | instid1(VALU_DEP_3)
	v_add_co_u32 v12, vcc_lo, v6, v12
	v_add_co_ci_u32_e32 v13, vcc_lo, v7, v13, vcc_lo
	v_lshlrev_b64 v[16:17], 3, v[10:11]
	v_sub_nc_u32_e32 v10, v49, v8
	v_add_co_u32 v14, vcc_lo, v6, v14
	v_add_co_ci_u32_e32 v15, vcc_lo, v7, v15, vcc_lo
	global_store_b64 v[12:13], v[89:90], off
	v_lshlrev_b64 v[12:13], 3, v[10:11]
	v_sub_nc_u32_e32 v10, v47, v8
	global_store_b64 v[14:15], v[87:88], off
	v_add_co_u32 v14, vcc_lo, v6, v16
	v_add_co_ci_u32_e32 v15, vcc_lo, v7, v17, vcc_lo
	v_lshlrev_b64 v[16:17], 3, v[10:11]
	v_sub_nc_u32_e32 v10, v46, v8
	v_add_co_u32 v12, vcc_lo, v6, v12
	v_add_co_ci_u32_e32 v13, vcc_lo, v7, v13, vcc_lo
	s_delay_alu instid0(VALU_DEP_3) | instskip(SKIP_3) | instid1(VALU_DEP_3)
	v_lshlrev_b64 v[18:19], 3, v[10:11]
	v_sub_nc_u32_e32 v10, v45, v8
	v_add_co_u32 v16, vcc_lo, v6, v16
	v_add_co_ci_u32_e32 v17, vcc_lo, v7, v17, vcc_lo
	v_lshlrev_b64 v[20:21], 3, v[10:11]
	v_sub_nc_u32_e32 v10, v44, v8
	v_add_co_u32 v18, vcc_lo, v6, v18
	v_add_co_ci_u32_e32 v19, vcc_lo, v7, v19, vcc_lo
	s_clause 0x3
	global_store_b64 v[14:15], v[93:94], off
	global_store_b64 v[12:13], v[97:98], off
	;; [unrolled: 1-line block ×4, first 2 shown]
	v_lshlrev_b64 v[12:13], 3, v[10:11]
	v_sub_nc_u32_e32 v10, v43, v8
	v_add_co_u32 v14, vcc_lo, v6, v20
	v_add_co_ci_u32_e32 v15, vcc_lo, v7, v21, vcc_lo
	s_delay_alu instid0(VALU_DEP_3) | instskip(SKIP_3) | instid1(VALU_DEP_3)
	v_lshlrev_b64 v[16:17], 3, v[10:11]
	v_sub_nc_u32_e32 v10, v42, v8
	v_add_co_u32 v12, vcc_lo, v6, v12
	v_add_co_ci_u32_e32 v13, vcc_lo, v7, v13, vcc_lo
	v_lshlrev_b64 v[18:19], 3, v[10:11]
	v_sub_nc_u32_e32 v10, v41, v8
	v_add_co_u32 v16, vcc_lo, v6, v16
	v_add_co_ci_u32_e32 v17, vcc_lo, v7, v17, vcc_lo
	s_delay_alu instid0(VALU_DEP_3)
	v_lshlrev_b64 v[20:21], 3, v[10:11]
	v_sub_nc_u32_e32 v10, v40, v8
	v_add_co_u32 v18, vcc_lo, v6, v18
	v_add_co_ci_u32_e32 v19, vcc_lo, v7, v19, vcc_lo
	s_clause 0x3
	global_store_b64 v[14:15], v[91:92], off
	global_store_b64 v[12:13], v[95:96], off
	;; [unrolled: 1-line block ×4, first 2 shown]
	v_lshlrev_b64 v[12:13], 3, v[10:11]
	v_sub_nc_u32_e32 v10, v39, v8
	v_add_co_u32 v14, vcc_lo, v6, v20
	v_add_co_ci_u32_e32 v15, vcc_lo, v7, v21, vcc_lo
	s_delay_alu instid0(VALU_DEP_3) | instskip(SKIP_3) | instid1(VALU_DEP_3)
	v_lshlrev_b64 v[16:17], 3, v[10:11]
	v_sub_nc_u32_e32 v10, v38, v8
	v_add_co_u32 v12, vcc_lo, v6, v12
	v_add_co_ci_u32_e32 v13, vcc_lo, v7, v13, vcc_lo
	v_lshlrev_b64 v[10:11], 3, v[10:11]
	v_add_co_u32 v16, vcc_lo, v6, v16
	v_add_co_ci_u32_e32 v17, vcc_lo, v7, v17, vcc_lo
	s_clause 0x2
	global_store_b64 v[14:15], v[85:86], off
	global_store_b64 v[12:13], v[101:102], off
	;; [unrolled: 1-line block ×3, first 2 shown]
	v_add_co_u32 v10, vcc_lo, v6, v10
	v_add_co_ci_u32_e32 v11, vcc_lo, v7, v11, vcc_lo
	global_store_b64 v[10:11], v[103:104], off
	s_or_b32 exec_lo, exec_lo, s15
	s_delay_alu instid0(SALU_CYCLE_1)
	s_and_b32 exec_lo, exec_lo, s17
	s_cbranch_execnz .LBB533_234
	s_branch .LBB533_235
.LBB533_332:
	s_and_saveexec_b32 s17, s14
	s_cbranch_execnz .LBB533_388
; %bb.333:
	s_or_b32 exec_lo, exec_lo, s17
	s_and_saveexec_b32 s14, s13
	s_cbranch_execnz .LBB533_389
.LBB533_334:
	s_or_b32 exec_lo, exec_lo, s14
	s_and_saveexec_b32 s13, s12
	s_cbranch_execnz .LBB533_390
.LBB533_335:
	s_or_b32 exec_lo, exec_lo, s13
	s_and_saveexec_b32 s12, s11
	s_cbranch_execnz .LBB533_391
.LBB533_336:
	s_or_b32 exec_lo, exec_lo, s12
	s_and_saveexec_b32 s11, s10
	s_cbranch_execnz .LBB533_392
.LBB533_337:
	s_or_b32 exec_lo, exec_lo, s11
	s_and_saveexec_b32 s10, s9
	s_cbranch_execnz .LBB533_393
.LBB533_338:
	s_or_b32 exec_lo, exec_lo, s10
	s_and_saveexec_b32 s9, s8
	s_cbranch_execnz .LBB533_394
.LBB533_339:
	s_or_b32 exec_lo, exec_lo, s9
	s_and_saveexec_b32 s8, s7
	s_cbranch_execnz .LBB533_395
.LBB533_340:
	s_or_b32 exec_lo, exec_lo, s8
	s_and_saveexec_b32 s7, s6
	s_cbranch_execnz .LBB533_396
.LBB533_341:
	s_or_b32 exec_lo, exec_lo, s7
	s_and_saveexec_b32 s6, s5
	s_cbranch_execnz .LBB533_397
.LBB533_342:
	s_or_b32 exec_lo, exec_lo, s6
	s_and_saveexec_b32 s5, s4
	s_cbranch_execnz .LBB533_398
.LBB533_343:
	s_or_b32 exec_lo, exec_lo, s5
	s_and_saveexec_b32 s4, s3
	s_cbranch_execnz .LBB533_399
.LBB533_344:
	s_or_b32 exec_lo, exec_lo, s4
	s_and_saveexec_b32 s3, s2
	s_cbranch_execnz .LBB533_400
.LBB533_345:
	s_or_b32 exec_lo, exec_lo, s3
	s_and_saveexec_b32 s2, s1
	s_cbranch_execz .LBB533_347
.LBB533_346:
	v_sub_nc_u32_e32 v9, v38, v8
	s_delay_alu instid0(VALU_DEP_1)
	v_lshlrev_b32_e32 v9, 3, v9
	ds_store_b64 v9, v[103:104]
.LBB533_347:
	s_or_b32 exec_lo, exec_lo, s2
	s_delay_alu instid0(SALU_CYCLE_1)
	s_and_b32 s17, s0, exec_lo
                                        ; implicit-def: $vgpr89_vgpr90
                                        ; implicit-def: $vgpr87_vgpr88
                                        ; implicit-def: $vgpr93_vgpr94
                                        ; implicit-def: $vgpr97_vgpr98
                                        ; implicit-def: $vgpr79_vgpr80
                                        ; implicit-def: $vgpr83_vgpr84
                                        ; implicit-def: $vgpr91_vgpr92
                                        ; implicit-def: $vgpr95_vgpr96
                                        ; implicit-def: $vgpr99_vgpr100
                                        ; implicit-def: $vgpr81_vgpr82
                                        ; implicit-def: $vgpr85_vgpr86
                                        ; implicit-def: $vgpr101_vgpr102
                                        ; implicit-def: $vgpr105_vgpr106
                                        ; implicit-def: $vgpr103_vgpr104
                                        ; implicit-def: $vgpr113
                                        ; implicit-def: $vgpr48
                                        ; implicit-def: $vgpr50
                                        ; implicit-def: $vgpr49
                                        ; implicit-def: $vgpr47
                                        ; implicit-def: $vgpr46
                                        ; implicit-def: $vgpr45
                                        ; implicit-def: $vgpr44
                                        ; implicit-def: $vgpr43
                                        ; implicit-def: $vgpr42
                                        ; implicit-def: $vgpr41
                                        ; implicit-def: $vgpr40
                                        ; implicit-def: $vgpr39
                                        ; implicit-def: $vgpr38
	s_and_not1_saveexec_b32 s0, s16
	s_cbranch_execz .LBB533_239
.LBB533_348:
	v_sub_nc_u32_e32 v9, v113, v8
	v_sub_nc_u32_e32 v10, v48, v8
	;; [unrolled: 1-line block ×5, first 2 shown]
	v_lshlrev_b32_e32 v9, 3, v9
	v_lshlrev_b32_e32 v10, 3, v10
	;; [unrolled: 1-line block ×4, first 2 shown]
	s_or_b32 s17, s17, exec_lo
	ds_store_b64 v9, v[89:90]
	ds_store_b64 v10, v[87:88]
	;; [unrolled: 1-line block ×3, first 2 shown]
	v_sub_nc_u32_e32 v9, v47, v8
	v_sub_nc_u32_e32 v10, v46, v8
	;; [unrolled: 1-line block ×3, first 2 shown]
	ds_store_b64 v12, v[97:98]
	v_sub_nc_u32_e32 v12, v44, v8
	v_lshlrev_b32_e32 v9, 3, v9
	v_lshlrev_b32_e32 v10, 3, v10
	;; [unrolled: 1-line block ×3, first 2 shown]
	s_delay_alu instid0(VALU_DEP_4)
	v_lshlrev_b32_e32 v12, 3, v12
	ds_store_b64 v9, v[79:80]
	v_lshlrev_b32_e32 v9, 3, v13
	ds_store_b64 v10, v[83:84]
	ds_store_b64 v11, v[91:92]
	;; [unrolled: 1-line block ×3, first 2 shown]
	v_sub_nc_u32_e32 v10, v42, v8
	v_sub_nc_u32_e32 v13, v38, v8
	;; [unrolled: 1-line block ×3, first 2 shown]
	ds_store_b64 v9, v[99:100]
	v_sub_nc_u32_e32 v9, v41, v8
	v_lshlrev_b32_e32 v10, 3, v10
	v_sub_nc_u32_e32 v12, v39, v8
	v_lshlrev_b32_e32 v11, 3, v11
	s_delay_alu instid0(VALU_DEP_4)
	v_lshlrev_b32_e32 v9, 3, v9
	ds_store_b64 v10, v[81:82]
	v_lshlrev_b32_e32 v10, 3, v13
	v_lshlrev_b32_e32 v12, 3, v12
	ds_store_b64 v9, v[85:86]
	ds_store_b64 v11, v[101:102]
	;; [unrolled: 1-line block ×4, first 2 shown]
	s_or_b32 exec_lo, exec_lo, s0
	s_delay_alu instid0(SALU_CYCLE_1)
	s_and_b32 exec_lo, exec_lo, s17
	s_cbranch_execnz .LBB533_240
	s_branch .LBB533_241
.LBB533_349:
	v_sub_nc_u32_e32 v54, v113, v77
	v_mov_b32_e32 v55, 0
	s_delay_alu instid0(VALU_DEP_1) | instskip(NEXT) | instid1(VALU_DEP_1)
	v_lshlrev_b64 v[54:55], 3, v[54:55]
	v_add_co_u32 v54, vcc_lo, v51, v54
	s_delay_alu instid0(VALU_DEP_2)
	v_add_co_ci_u32_e32 v55, vcc_lo, v52, v55, vcc_lo
	global_store_b64 v[54:55], v[25:26], off
	s_or_b32 exec_lo, exec_lo, s17
	s_and_saveexec_b32 s17, s11
	s_cbranch_execz .LBB533_283
.LBB533_350:
	v_sub_nc_u32_e32 v54, v48, v77
	v_mov_b32_e32 v55, 0
	s_delay_alu instid0(VALU_DEP_1) | instskip(NEXT) | instid1(VALU_DEP_1)
	v_lshlrev_b64 v[54:55], 3, v[54:55]
	v_add_co_u32 v54, vcc_lo, v51, v54
	s_delay_alu instid0(VALU_DEP_2)
	v_add_co_ci_u32_e32 v55, vcc_lo, v52, v55, vcc_lo
	global_store_b64 v[54:55], v[27:28], off
	s_or_b32 exec_lo, exec_lo, s17
	s_and_saveexec_b32 s17, s9
	s_cbranch_execz .LBB533_284
.LBB533_351:
	v_sub_nc_u32_e32 v54, v50, v77
	v_mov_b32_e32 v55, 0
	s_delay_alu instid0(VALU_DEP_1) | instskip(NEXT) | instid1(VALU_DEP_1)
	v_lshlrev_b64 v[54:55], 3, v[54:55]
	v_add_co_u32 v54, vcc_lo, v51, v54
	s_delay_alu instid0(VALU_DEP_2)
	v_add_co_ci_u32_e32 v55, vcc_lo, v52, v55, vcc_lo
	global_store_b64 v[54:55], v[21:22], off
	s_or_b32 exec_lo, exec_lo, s17
	s_and_saveexec_b32 s17, s8
	s_cbranch_execz .LBB533_285
.LBB533_352:
	v_sub_nc_u32_e32 v54, v49, v77
	v_mov_b32_e32 v55, 0
	s_delay_alu instid0(VALU_DEP_1) | instskip(NEXT) | instid1(VALU_DEP_1)
	v_lshlrev_b64 v[54:55], 3, v[54:55]
	v_add_co_u32 v54, vcc_lo, v51, v54
	s_delay_alu instid0(VALU_DEP_2)
	v_add_co_ci_u32_e32 v55, vcc_lo, v52, v55, vcc_lo
	global_store_b64 v[54:55], v[23:24], off
	s_or_b32 exec_lo, exec_lo, s17
	s_and_saveexec_b32 s17, s14
	s_cbranch_execz .LBB533_286
.LBB533_353:
	v_sub_nc_u32_e32 v54, v47, v77
	v_mov_b32_e32 v55, 0
	s_delay_alu instid0(VALU_DEP_1) | instskip(NEXT) | instid1(VALU_DEP_1)
	v_lshlrev_b64 v[54:55], 3, v[54:55]
	v_add_co_u32 v54, vcc_lo, v51, v54
	s_delay_alu instid0(VALU_DEP_2)
	v_add_co_ci_u32_e32 v55, vcc_lo, v52, v55, vcc_lo
	global_store_b64 v[54:55], v[17:18], off
	s_or_b32 exec_lo, exec_lo, s17
	s_and_saveexec_b32 s17, s13
	s_cbranch_execz .LBB533_287
.LBB533_354:
	v_sub_nc_u32_e32 v54, v46, v77
	v_mov_b32_e32 v55, 0
	s_delay_alu instid0(VALU_DEP_1) | instskip(NEXT) | instid1(VALU_DEP_1)
	v_lshlrev_b64 v[54:55], 3, v[54:55]
	v_add_co_u32 v54, vcc_lo, v51, v54
	s_delay_alu instid0(VALU_DEP_2)
	v_add_co_ci_u32_e32 v55, vcc_lo, v52, v55, vcc_lo
	global_store_b64 v[54:55], v[19:20], off
	s_or_b32 exec_lo, exec_lo, s17
	s_and_saveexec_b32 s17, s10
	s_cbranch_execz .LBB533_288
.LBB533_355:
	v_sub_nc_u32_e32 v54, v45, v77
	v_mov_b32_e32 v55, 0
	s_delay_alu instid0(VALU_DEP_1) | instskip(NEXT) | instid1(VALU_DEP_1)
	v_lshlrev_b64 v[54:55], 3, v[54:55]
	v_add_co_u32 v54, vcc_lo, v51, v54
	s_delay_alu instid0(VALU_DEP_2)
	v_add_co_ci_u32_e32 v55, vcc_lo, v52, v55, vcc_lo
	global_store_b64 v[54:55], v[13:14], off
	s_or_b32 exec_lo, exec_lo, s17
	s_and_saveexec_b32 s17, s7
	s_cbranch_execz .LBB533_289
.LBB533_356:
	v_sub_nc_u32_e32 v54, v44, v77
	v_mov_b32_e32 v55, 0
	s_delay_alu instid0(VALU_DEP_1) | instskip(NEXT) | instid1(VALU_DEP_1)
	v_lshlrev_b64 v[54:55], 3, v[54:55]
	v_add_co_u32 v54, vcc_lo, v51, v54
	s_delay_alu instid0(VALU_DEP_2)
	v_add_co_ci_u32_e32 v55, vcc_lo, v52, v55, vcc_lo
	global_store_b64 v[54:55], v[15:16], off
	s_or_b32 exec_lo, exec_lo, s17
	s_and_saveexec_b32 s17, s6
	s_cbranch_execz .LBB533_290
.LBB533_357:
	v_sub_nc_u32_e32 v54, v43, v77
	v_mov_b32_e32 v55, 0
	s_delay_alu instid0(VALU_DEP_1) | instskip(NEXT) | instid1(VALU_DEP_1)
	v_lshlrev_b64 v[54:55], 3, v[54:55]
	v_add_co_u32 v54, vcc_lo, v51, v54
	s_delay_alu instid0(VALU_DEP_2)
	v_add_co_ci_u32_e32 v55, vcc_lo, v52, v55, vcc_lo
	global_store_b64 v[54:55], v[9:10], off
	s_or_b32 exec_lo, exec_lo, s17
	s_and_saveexec_b32 s17, s5
	s_cbranch_execz .LBB533_291
.LBB533_358:
	v_sub_nc_u32_e32 v54, v42, v77
	v_mov_b32_e32 v55, 0
	s_delay_alu instid0(VALU_DEP_1) | instskip(NEXT) | instid1(VALU_DEP_1)
	v_lshlrev_b64 v[54:55], 3, v[54:55]
	v_add_co_u32 v54, vcc_lo, v51, v54
	s_delay_alu instid0(VALU_DEP_2)
	v_add_co_ci_u32_e32 v55, vcc_lo, v52, v55, vcc_lo
	global_store_b64 v[54:55], v[11:12], off
	s_or_b32 exec_lo, exec_lo, s17
	s_and_saveexec_b32 s17, s4
	s_cbranch_execz .LBB533_292
.LBB533_359:
	v_sub_nc_u32_e32 v54, v41, v77
	v_mov_b32_e32 v55, 0
	s_delay_alu instid0(VALU_DEP_1) | instskip(NEXT) | instid1(VALU_DEP_1)
	v_lshlrev_b64 v[54:55], 3, v[54:55]
	v_add_co_u32 v54, vcc_lo, v51, v54
	s_delay_alu instid0(VALU_DEP_2)
	v_add_co_ci_u32_e32 v55, vcc_lo, v52, v55, vcc_lo
	global_store_b64 v[54:55], v[5:6], off
	s_or_b32 exec_lo, exec_lo, s17
	s_and_saveexec_b32 s17, s3
	s_cbranch_execz .LBB533_293
.LBB533_360:
	v_sub_nc_u32_e32 v54, v40, v77
	v_mov_b32_e32 v55, 0
	s_delay_alu instid0(VALU_DEP_1) | instskip(NEXT) | instid1(VALU_DEP_1)
	v_lshlrev_b64 v[54:55], 3, v[54:55]
	v_add_co_u32 v54, vcc_lo, v51, v54
	s_delay_alu instid0(VALU_DEP_2)
	v_add_co_ci_u32_e32 v55, vcc_lo, v52, v55, vcc_lo
	global_store_b64 v[54:55], v[7:8], off
	s_or_b32 exec_lo, exec_lo, s17
	s_and_saveexec_b32 s17, s2
	s_cbranch_execz .LBB533_294
.LBB533_361:
	v_sub_nc_u32_e32 v54, v39, v77
	v_mov_b32_e32 v55, 0
	s_delay_alu instid0(VALU_DEP_1) | instskip(NEXT) | instid1(VALU_DEP_1)
	v_lshlrev_b64 v[54:55], 3, v[54:55]
	v_add_co_u32 v54, vcc_lo, v51, v54
	s_delay_alu instid0(VALU_DEP_2)
	v_add_co_ci_u32_e32 v55, vcc_lo, v52, v55, vcc_lo
	global_store_b64 v[54:55], v[1:2], off
	s_or_b32 exec_lo, exec_lo, s17
	s_and_saveexec_b32 s17, s1
	s_cbranch_execnz .LBB533_295
	s_branch .LBB533_296
.LBB533_362:
	v_sub_nc_u32_e32 v53, v113, v77
	s_delay_alu instid0(VALU_DEP_1)
	v_lshlrev_b32_e32 v53, 3, v53
	ds_store_b64 v53, v[25:26]
	s_or_b32 exec_lo, exec_lo, s17
	s_and_saveexec_b32 s12, s11
	s_cbranch_execz .LBB533_300
.LBB533_363:
	v_sub_nc_u32_e32 v25, v48, v77
	s_delay_alu instid0(VALU_DEP_1)
	v_lshlrev_b32_e32 v25, 3, v25
	ds_store_b64 v25, v[27:28]
	s_or_b32 exec_lo, exec_lo, s12
	s_and_saveexec_b32 s11, s9
	s_cbranch_execz .LBB533_301
.LBB533_364:
	v_sub_nc_u32_e32 v25, v50, v77
	s_delay_alu instid0(VALU_DEP_1)
	v_lshlrev_b32_e32 v25, 3, v25
	ds_store_b64 v25, v[21:22]
	s_or_b32 exec_lo, exec_lo, s11
	s_and_saveexec_b32 s9, s8
	s_cbranch_execz .LBB533_302
.LBB533_365:
	v_sub_nc_u32_e32 v21, v49, v77
	s_delay_alu instid0(VALU_DEP_1)
	v_lshlrev_b32_e32 v21, 3, v21
	ds_store_b64 v21, v[23:24]
	s_or_b32 exec_lo, exec_lo, s9
	s_and_saveexec_b32 s8, s14
	s_cbranch_execz .LBB533_303
.LBB533_366:
	v_sub_nc_u32_e32 v21, v47, v77
	s_delay_alu instid0(VALU_DEP_1)
	v_lshlrev_b32_e32 v21, 3, v21
	ds_store_b64 v21, v[17:18]
	s_or_b32 exec_lo, exec_lo, s8
	s_and_saveexec_b32 s8, s13
	s_cbranch_execz .LBB533_304
.LBB533_367:
	v_sub_nc_u32_e32 v17, v46, v77
	s_delay_alu instid0(VALU_DEP_1)
	v_lshlrev_b32_e32 v17, 3, v17
	ds_store_b64 v17, v[19:20]
	s_or_b32 exec_lo, exec_lo, s8
	s_and_saveexec_b32 s8, s10
	s_cbranch_execz .LBB533_305
.LBB533_368:
	v_sub_nc_u32_e32 v17, v45, v77
	s_delay_alu instid0(VALU_DEP_1)
	v_lshlrev_b32_e32 v17, 3, v17
	ds_store_b64 v17, v[13:14]
	s_or_b32 exec_lo, exec_lo, s8
	s_and_saveexec_b32 s8, s7
	s_cbranch_execz .LBB533_306
.LBB533_369:
	v_sub_nc_u32_e32 v13, v44, v77
	s_delay_alu instid0(VALU_DEP_1)
	v_lshlrev_b32_e32 v13, 3, v13
	ds_store_b64 v13, v[15:16]
	s_or_b32 exec_lo, exec_lo, s8
	s_and_saveexec_b32 s7, s6
	s_cbranch_execz .LBB533_307
.LBB533_370:
	v_sub_nc_u32_e32 v13, v43, v77
	s_delay_alu instid0(VALU_DEP_1)
	v_lshlrev_b32_e32 v13, 3, v13
	ds_store_b64 v13, v[9:10]
	s_or_b32 exec_lo, exec_lo, s7
	s_and_saveexec_b32 s6, s5
	s_cbranch_execz .LBB533_308
.LBB533_371:
	v_sub_nc_u32_e32 v9, v42, v77
	s_delay_alu instid0(VALU_DEP_1)
	v_lshlrev_b32_e32 v9, 3, v9
	ds_store_b64 v9, v[11:12]
	s_or_b32 exec_lo, exec_lo, s6
	s_and_saveexec_b32 s5, s4
	s_cbranch_execz .LBB533_309
.LBB533_372:
	v_sub_nc_u32_e32 v9, v41, v77
	s_delay_alu instid0(VALU_DEP_1)
	v_lshlrev_b32_e32 v9, 3, v9
	ds_store_b64 v9, v[5:6]
	s_or_b32 exec_lo, exec_lo, s5
	s_and_saveexec_b32 s4, s3
	s_cbranch_execz .LBB533_310
.LBB533_373:
	v_sub_nc_u32_e32 v5, v40, v77
	s_delay_alu instid0(VALU_DEP_1)
	v_lshlrev_b32_e32 v5, 3, v5
	ds_store_b64 v5, v[7:8]
	s_or_b32 exec_lo, exec_lo, s4
	s_and_saveexec_b32 s3, s2
	s_cbranch_execz .LBB533_311
.LBB533_374:
	v_sub_nc_u32_e32 v5, v39, v77
	s_delay_alu instid0(VALU_DEP_1)
	v_lshlrev_b32_e32 v5, 3, v5
	ds_store_b64 v5, v[1:2]
	s_or_b32 exec_lo, exec_lo, s3
	s_and_saveexec_b32 s2, s1
	s_cbranch_execnz .LBB533_312
	s_branch .LBB533_313
.LBB533_375:
	v_sub_nc_u32_e32 v10, v113, v8
	v_mov_b32_e32 v11, 0
	s_delay_alu instid0(VALU_DEP_1) | instskip(NEXT) | instid1(VALU_DEP_1)
	v_lshlrev_b64 v[10:11], 3, v[10:11]
	v_add_co_u32 v10, vcc_lo, v6, v10
	s_delay_alu instid0(VALU_DEP_2)
	v_add_co_ci_u32_e32 v11, vcc_lo, v7, v11, vcc_lo
	global_store_b64 v[10:11], v[89:90], off
	s_or_b32 exec_lo, exec_lo, s17
	s_and_saveexec_b32 s17, s13
	s_cbranch_execz .LBB533_317
.LBB533_376:
	v_sub_nc_u32_e32 v10, v48, v8
	v_mov_b32_e32 v11, 0
	s_delay_alu instid0(VALU_DEP_1) | instskip(NEXT) | instid1(VALU_DEP_1)
	v_lshlrev_b64 v[10:11], 3, v[10:11]
	v_add_co_u32 v10, vcc_lo, v6, v10
	s_delay_alu instid0(VALU_DEP_2)
	v_add_co_ci_u32_e32 v11, vcc_lo, v7, v11, vcc_lo
	global_store_b64 v[10:11], v[87:88], off
	s_or_b32 exec_lo, exec_lo, s17
	s_and_saveexec_b32 s17, s12
	s_cbranch_execz .LBB533_318
.LBB533_377:
	v_sub_nc_u32_e32 v10, v50, v8
	v_mov_b32_e32 v11, 0
	s_delay_alu instid0(VALU_DEP_1) | instskip(NEXT) | instid1(VALU_DEP_1)
	v_lshlrev_b64 v[10:11], 3, v[10:11]
	v_add_co_u32 v10, vcc_lo, v6, v10
	s_delay_alu instid0(VALU_DEP_2)
	v_add_co_ci_u32_e32 v11, vcc_lo, v7, v11, vcc_lo
	global_store_b64 v[10:11], v[93:94], off
	s_or_b32 exec_lo, exec_lo, s17
	s_and_saveexec_b32 s17, s11
	s_cbranch_execz .LBB533_319
.LBB533_378:
	v_sub_nc_u32_e32 v10, v49, v8
	v_mov_b32_e32 v11, 0
	s_delay_alu instid0(VALU_DEP_1) | instskip(NEXT) | instid1(VALU_DEP_1)
	v_lshlrev_b64 v[10:11], 3, v[10:11]
	v_add_co_u32 v10, vcc_lo, v6, v10
	s_delay_alu instid0(VALU_DEP_2)
	v_add_co_ci_u32_e32 v11, vcc_lo, v7, v11, vcc_lo
	global_store_b64 v[10:11], v[97:98], off
	s_or_b32 exec_lo, exec_lo, s17
	s_and_saveexec_b32 s17, s10
	s_cbranch_execz .LBB533_320
.LBB533_379:
	v_sub_nc_u32_e32 v10, v47, v8
	v_mov_b32_e32 v11, 0
	s_delay_alu instid0(VALU_DEP_1) | instskip(NEXT) | instid1(VALU_DEP_1)
	v_lshlrev_b64 v[10:11], 3, v[10:11]
	v_add_co_u32 v10, vcc_lo, v6, v10
	s_delay_alu instid0(VALU_DEP_2)
	v_add_co_ci_u32_e32 v11, vcc_lo, v7, v11, vcc_lo
	global_store_b64 v[10:11], v[79:80], off
	s_or_b32 exec_lo, exec_lo, s17
	s_and_saveexec_b32 s17, s9
	s_cbranch_execz .LBB533_321
.LBB533_380:
	v_sub_nc_u32_e32 v10, v46, v8
	v_mov_b32_e32 v11, 0
	s_delay_alu instid0(VALU_DEP_1) | instskip(NEXT) | instid1(VALU_DEP_1)
	v_lshlrev_b64 v[10:11], 3, v[10:11]
	v_add_co_u32 v10, vcc_lo, v6, v10
	s_delay_alu instid0(VALU_DEP_2)
	v_add_co_ci_u32_e32 v11, vcc_lo, v7, v11, vcc_lo
	global_store_b64 v[10:11], v[83:84], off
	s_or_b32 exec_lo, exec_lo, s17
	s_and_saveexec_b32 s17, s8
	s_cbranch_execz .LBB533_322
.LBB533_381:
	v_sub_nc_u32_e32 v10, v45, v8
	v_mov_b32_e32 v11, 0
	s_delay_alu instid0(VALU_DEP_1) | instskip(NEXT) | instid1(VALU_DEP_1)
	v_lshlrev_b64 v[10:11], 3, v[10:11]
	v_add_co_u32 v10, vcc_lo, v6, v10
	s_delay_alu instid0(VALU_DEP_2)
	v_add_co_ci_u32_e32 v11, vcc_lo, v7, v11, vcc_lo
	global_store_b64 v[10:11], v[91:92], off
	s_or_b32 exec_lo, exec_lo, s17
	s_and_saveexec_b32 s17, s7
	s_cbranch_execz .LBB533_323
.LBB533_382:
	v_sub_nc_u32_e32 v10, v44, v8
	v_mov_b32_e32 v11, 0
	s_delay_alu instid0(VALU_DEP_1) | instskip(NEXT) | instid1(VALU_DEP_1)
	v_lshlrev_b64 v[10:11], 3, v[10:11]
	v_add_co_u32 v10, vcc_lo, v6, v10
	s_delay_alu instid0(VALU_DEP_2)
	v_add_co_ci_u32_e32 v11, vcc_lo, v7, v11, vcc_lo
	global_store_b64 v[10:11], v[95:96], off
	s_or_b32 exec_lo, exec_lo, s17
	s_and_saveexec_b32 s17, s6
	s_cbranch_execz .LBB533_324
.LBB533_383:
	v_sub_nc_u32_e32 v10, v43, v8
	v_mov_b32_e32 v11, 0
	s_delay_alu instid0(VALU_DEP_1) | instskip(NEXT) | instid1(VALU_DEP_1)
	v_lshlrev_b64 v[10:11], 3, v[10:11]
	v_add_co_u32 v10, vcc_lo, v6, v10
	s_delay_alu instid0(VALU_DEP_2)
	v_add_co_ci_u32_e32 v11, vcc_lo, v7, v11, vcc_lo
	global_store_b64 v[10:11], v[99:100], off
	s_or_b32 exec_lo, exec_lo, s17
	s_and_saveexec_b32 s17, s5
	s_cbranch_execz .LBB533_325
.LBB533_384:
	v_sub_nc_u32_e32 v10, v42, v8
	v_mov_b32_e32 v11, 0
	s_delay_alu instid0(VALU_DEP_1) | instskip(NEXT) | instid1(VALU_DEP_1)
	v_lshlrev_b64 v[10:11], 3, v[10:11]
	v_add_co_u32 v10, vcc_lo, v6, v10
	s_delay_alu instid0(VALU_DEP_2)
	v_add_co_ci_u32_e32 v11, vcc_lo, v7, v11, vcc_lo
	global_store_b64 v[10:11], v[81:82], off
	s_or_b32 exec_lo, exec_lo, s17
	s_and_saveexec_b32 s17, s4
	s_cbranch_execz .LBB533_326
.LBB533_385:
	v_sub_nc_u32_e32 v10, v41, v8
	v_mov_b32_e32 v11, 0
	s_delay_alu instid0(VALU_DEP_1) | instskip(NEXT) | instid1(VALU_DEP_1)
	v_lshlrev_b64 v[10:11], 3, v[10:11]
	v_add_co_u32 v10, vcc_lo, v6, v10
	s_delay_alu instid0(VALU_DEP_2)
	v_add_co_ci_u32_e32 v11, vcc_lo, v7, v11, vcc_lo
	global_store_b64 v[10:11], v[85:86], off
	s_or_b32 exec_lo, exec_lo, s17
	s_and_saveexec_b32 s17, s3
	s_cbranch_execz .LBB533_327
.LBB533_386:
	v_sub_nc_u32_e32 v10, v40, v8
	v_mov_b32_e32 v11, 0
	s_delay_alu instid0(VALU_DEP_1) | instskip(NEXT) | instid1(VALU_DEP_1)
	v_lshlrev_b64 v[10:11], 3, v[10:11]
	v_add_co_u32 v10, vcc_lo, v6, v10
	s_delay_alu instid0(VALU_DEP_2)
	v_add_co_ci_u32_e32 v11, vcc_lo, v7, v11, vcc_lo
	global_store_b64 v[10:11], v[101:102], off
	s_or_b32 exec_lo, exec_lo, s17
	s_and_saveexec_b32 s17, s2
	s_cbranch_execz .LBB533_328
.LBB533_387:
	v_sub_nc_u32_e32 v10, v39, v8
	v_mov_b32_e32 v11, 0
	s_delay_alu instid0(VALU_DEP_1) | instskip(NEXT) | instid1(VALU_DEP_1)
	v_lshlrev_b64 v[10:11], 3, v[10:11]
	v_add_co_u32 v10, vcc_lo, v6, v10
	s_delay_alu instid0(VALU_DEP_2)
	v_add_co_ci_u32_e32 v11, vcc_lo, v7, v11, vcc_lo
	global_store_b64 v[10:11], v[105:106], off
	s_or_b32 exec_lo, exec_lo, s17
	s_and_saveexec_b32 s17, s1
	s_cbranch_execnz .LBB533_329
	s_branch .LBB533_330
.LBB533_388:
	v_sub_nc_u32_e32 v9, v113, v8
	s_delay_alu instid0(VALU_DEP_1)
	v_lshlrev_b32_e32 v9, 3, v9
	ds_store_b64 v9, v[89:90]
	s_or_b32 exec_lo, exec_lo, s17
	s_and_saveexec_b32 s14, s13
	s_cbranch_execz .LBB533_334
.LBB533_389:
	v_sub_nc_u32_e32 v9, v48, v8
	s_delay_alu instid0(VALU_DEP_1)
	v_lshlrev_b32_e32 v9, 3, v9
	ds_store_b64 v9, v[87:88]
	s_or_b32 exec_lo, exec_lo, s14
	s_and_saveexec_b32 s13, s12
	s_cbranch_execz .LBB533_335
.LBB533_390:
	v_sub_nc_u32_e32 v9, v50, v8
	s_delay_alu instid0(VALU_DEP_1)
	v_lshlrev_b32_e32 v9, 3, v9
	ds_store_b64 v9, v[93:94]
	s_or_b32 exec_lo, exec_lo, s13
	s_and_saveexec_b32 s12, s11
	s_cbranch_execz .LBB533_336
.LBB533_391:
	v_sub_nc_u32_e32 v9, v49, v8
	s_delay_alu instid0(VALU_DEP_1)
	v_lshlrev_b32_e32 v9, 3, v9
	ds_store_b64 v9, v[97:98]
	s_or_b32 exec_lo, exec_lo, s12
	s_and_saveexec_b32 s11, s10
	s_cbranch_execz .LBB533_337
.LBB533_392:
	v_sub_nc_u32_e32 v9, v47, v8
	s_delay_alu instid0(VALU_DEP_1)
	v_lshlrev_b32_e32 v9, 3, v9
	ds_store_b64 v9, v[79:80]
	s_or_b32 exec_lo, exec_lo, s11
	s_and_saveexec_b32 s10, s9
	s_cbranch_execz .LBB533_338
.LBB533_393:
	v_sub_nc_u32_e32 v9, v46, v8
	s_delay_alu instid0(VALU_DEP_1)
	v_lshlrev_b32_e32 v9, 3, v9
	ds_store_b64 v9, v[83:84]
	s_or_b32 exec_lo, exec_lo, s10
	s_and_saveexec_b32 s9, s8
	s_cbranch_execz .LBB533_339
.LBB533_394:
	v_sub_nc_u32_e32 v9, v45, v8
	s_delay_alu instid0(VALU_DEP_1)
	v_lshlrev_b32_e32 v9, 3, v9
	ds_store_b64 v9, v[91:92]
	s_or_b32 exec_lo, exec_lo, s9
	s_and_saveexec_b32 s8, s7
	s_cbranch_execz .LBB533_340
.LBB533_395:
	v_sub_nc_u32_e32 v9, v44, v8
	s_delay_alu instid0(VALU_DEP_1)
	v_lshlrev_b32_e32 v9, 3, v9
	ds_store_b64 v9, v[95:96]
	s_or_b32 exec_lo, exec_lo, s8
	s_and_saveexec_b32 s7, s6
	s_cbranch_execz .LBB533_341
.LBB533_396:
	v_sub_nc_u32_e32 v9, v43, v8
	s_delay_alu instid0(VALU_DEP_1)
	v_lshlrev_b32_e32 v9, 3, v9
	ds_store_b64 v9, v[99:100]
	s_or_b32 exec_lo, exec_lo, s7
	s_and_saveexec_b32 s6, s5
	s_cbranch_execz .LBB533_342
.LBB533_397:
	v_sub_nc_u32_e32 v9, v42, v8
	s_delay_alu instid0(VALU_DEP_1)
	v_lshlrev_b32_e32 v9, 3, v9
	ds_store_b64 v9, v[81:82]
	s_or_b32 exec_lo, exec_lo, s6
	s_and_saveexec_b32 s5, s4
	s_cbranch_execz .LBB533_343
.LBB533_398:
	v_sub_nc_u32_e32 v9, v41, v8
	s_delay_alu instid0(VALU_DEP_1)
	v_lshlrev_b32_e32 v9, 3, v9
	ds_store_b64 v9, v[85:86]
	s_or_b32 exec_lo, exec_lo, s5
	s_and_saveexec_b32 s4, s3
	s_cbranch_execz .LBB533_344
.LBB533_399:
	v_sub_nc_u32_e32 v9, v40, v8
	s_delay_alu instid0(VALU_DEP_1)
	v_lshlrev_b32_e32 v9, 3, v9
	ds_store_b64 v9, v[101:102]
	s_or_b32 exec_lo, exec_lo, s4
	s_and_saveexec_b32 s3, s2
	s_cbranch_execz .LBB533_345
.LBB533_400:
	v_sub_nc_u32_e32 v9, v39, v8
	s_delay_alu instid0(VALU_DEP_1)
	v_lshlrev_b32_e32 v9, 3, v9
	ds_store_b64 v9, v[105:106]
	s_or_b32 exec_lo, exec_lo, s3
	s_and_saveexec_b32 s2, s1
	s_cbranch_execnz .LBB533_346
	s_branch .LBB533_347
	.section	.rodata,"a",@progbits
	.p2align	6, 0x0
	.amdhsa_kernel _ZN7rocprim17ROCPRIM_400000_NS6detail17trampoline_kernelINS0_14default_configENS1_29reduce_by_key_config_selectorIxxN6thrust23THRUST_200600_302600_NS4plusIxEEEEZZNS1_33reduce_by_key_impl_wrapped_configILNS1_25lookback_scan_determinismE0ES3_S9_NS6_6detail15normal_iteratorINS6_10device_ptrIxEEEESG_SG_SG_PmS8_22is_equal_div_10_reduceIxEEE10hipError_tPvRmT2_T3_mT4_T5_T6_T7_T8_P12ihipStream_tbENKUlT_T0_E_clISt17integral_constantIbLb1EES10_IbLb0EEEEDaSW_SX_EUlSW_E_NS1_11comp_targetILNS1_3genE9ELNS1_11target_archE1100ELNS1_3gpuE3ELNS1_3repE0EEENS1_30default_config_static_selectorELNS0_4arch9wavefront6targetE0EEEvT1_
		.amdhsa_group_segment_fixed_size 30720
		.amdhsa_private_segment_fixed_size 0
		.amdhsa_kernarg_size 136
		.amdhsa_user_sgpr_count 15
		.amdhsa_user_sgpr_dispatch_ptr 0
		.amdhsa_user_sgpr_queue_ptr 0
		.amdhsa_user_sgpr_kernarg_segment_ptr 1
		.amdhsa_user_sgpr_dispatch_id 0
		.amdhsa_user_sgpr_private_segment_size 0
		.amdhsa_wavefront_size32 1
		.amdhsa_uses_dynamic_stack 0
		.amdhsa_enable_private_segment 0
		.amdhsa_system_sgpr_workgroup_id_x 1
		.amdhsa_system_sgpr_workgroup_id_y 0
		.amdhsa_system_sgpr_workgroup_id_z 0
		.amdhsa_system_sgpr_workgroup_info 0
		.amdhsa_system_vgpr_workitem_id 0
		.amdhsa_next_free_vgpr 120
		.amdhsa_next_free_sgpr 48
		.amdhsa_reserve_vcc 1
		.amdhsa_float_round_mode_32 0
		.amdhsa_float_round_mode_16_64 0
		.amdhsa_float_denorm_mode_32 3
		.amdhsa_float_denorm_mode_16_64 3
		.amdhsa_dx10_clamp 1
		.amdhsa_ieee_mode 1
		.amdhsa_fp16_overflow 0
		.amdhsa_workgroup_processor_mode 1
		.amdhsa_memory_ordered 1
		.amdhsa_forward_progress 0
		.amdhsa_shared_vgpr_count 0
		.amdhsa_exception_fp_ieee_invalid_op 0
		.amdhsa_exception_fp_denorm_src 0
		.amdhsa_exception_fp_ieee_div_zero 0
		.amdhsa_exception_fp_ieee_overflow 0
		.amdhsa_exception_fp_ieee_underflow 0
		.amdhsa_exception_fp_ieee_inexact 0
		.amdhsa_exception_int_div_zero 0
	.end_amdhsa_kernel
	.section	.text._ZN7rocprim17ROCPRIM_400000_NS6detail17trampoline_kernelINS0_14default_configENS1_29reduce_by_key_config_selectorIxxN6thrust23THRUST_200600_302600_NS4plusIxEEEEZZNS1_33reduce_by_key_impl_wrapped_configILNS1_25lookback_scan_determinismE0ES3_S9_NS6_6detail15normal_iteratorINS6_10device_ptrIxEEEESG_SG_SG_PmS8_22is_equal_div_10_reduceIxEEE10hipError_tPvRmT2_T3_mT4_T5_T6_T7_T8_P12ihipStream_tbENKUlT_T0_E_clISt17integral_constantIbLb1EES10_IbLb0EEEEDaSW_SX_EUlSW_E_NS1_11comp_targetILNS1_3genE9ELNS1_11target_archE1100ELNS1_3gpuE3ELNS1_3repE0EEENS1_30default_config_static_selectorELNS0_4arch9wavefront6targetE0EEEvT1_,"axG",@progbits,_ZN7rocprim17ROCPRIM_400000_NS6detail17trampoline_kernelINS0_14default_configENS1_29reduce_by_key_config_selectorIxxN6thrust23THRUST_200600_302600_NS4plusIxEEEEZZNS1_33reduce_by_key_impl_wrapped_configILNS1_25lookback_scan_determinismE0ES3_S9_NS6_6detail15normal_iteratorINS6_10device_ptrIxEEEESG_SG_SG_PmS8_22is_equal_div_10_reduceIxEEE10hipError_tPvRmT2_T3_mT4_T5_T6_T7_T8_P12ihipStream_tbENKUlT_T0_E_clISt17integral_constantIbLb1EES10_IbLb0EEEEDaSW_SX_EUlSW_E_NS1_11comp_targetILNS1_3genE9ELNS1_11target_archE1100ELNS1_3gpuE3ELNS1_3repE0EEENS1_30default_config_static_selectorELNS0_4arch9wavefront6targetE0EEEvT1_,comdat
.Lfunc_end533:
	.size	_ZN7rocprim17ROCPRIM_400000_NS6detail17trampoline_kernelINS0_14default_configENS1_29reduce_by_key_config_selectorIxxN6thrust23THRUST_200600_302600_NS4plusIxEEEEZZNS1_33reduce_by_key_impl_wrapped_configILNS1_25lookback_scan_determinismE0ES3_S9_NS6_6detail15normal_iteratorINS6_10device_ptrIxEEEESG_SG_SG_PmS8_22is_equal_div_10_reduceIxEEE10hipError_tPvRmT2_T3_mT4_T5_T6_T7_T8_P12ihipStream_tbENKUlT_T0_E_clISt17integral_constantIbLb1EES10_IbLb0EEEEDaSW_SX_EUlSW_E_NS1_11comp_targetILNS1_3genE9ELNS1_11target_archE1100ELNS1_3gpuE3ELNS1_3repE0EEENS1_30default_config_static_selectorELNS0_4arch9wavefront6targetE0EEEvT1_, .Lfunc_end533-_ZN7rocprim17ROCPRIM_400000_NS6detail17trampoline_kernelINS0_14default_configENS1_29reduce_by_key_config_selectorIxxN6thrust23THRUST_200600_302600_NS4plusIxEEEEZZNS1_33reduce_by_key_impl_wrapped_configILNS1_25lookback_scan_determinismE0ES3_S9_NS6_6detail15normal_iteratorINS6_10device_ptrIxEEEESG_SG_SG_PmS8_22is_equal_div_10_reduceIxEEE10hipError_tPvRmT2_T3_mT4_T5_T6_T7_T8_P12ihipStream_tbENKUlT_T0_E_clISt17integral_constantIbLb1EES10_IbLb0EEEEDaSW_SX_EUlSW_E_NS1_11comp_targetILNS1_3genE9ELNS1_11target_archE1100ELNS1_3gpuE3ELNS1_3repE0EEENS1_30default_config_static_selectorELNS0_4arch9wavefront6targetE0EEEvT1_
                                        ; -- End function
	.section	.AMDGPU.csdata,"",@progbits
; Kernel info:
; codeLenInByte = 21904
; NumSgprs: 50
; NumVgprs: 120
; ScratchSize: 0
; MemoryBound: 0
; FloatMode: 240
; IeeeMode: 1
; LDSByteSize: 30720 bytes/workgroup (compile time only)
; SGPRBlocks: 6
; VGPRBlocks: 14
; NumSGPRsForWavesPerEU: 50
; NumVGPRsForWavesPerEU: 120
; Occupancy: 8
; WaveLimiterHint : 1
; COMPUTE_PGM_RSRC2:SCRATCH_EN: 0
; COMPUTE_PGM_RSRC2:USER_SGPR: 15
; COMPUTE_PGM_RSRC2:TRAP_HANDLER: 0
; COMPUTE_PGM_RSRC2:TGID_X_EN: 1
; COMPUTE_PGM_RSRC2:TGID_Y_EN: 0
; COMPUTE_PGM_RSRC2:TGID_Z_EN: 0
; COMPUTE_PGM_RSRC2:TIDIG_COMP_CNT: 0
	.section	.text._ZN7rocprim17ROCPRIM_400000_NS6detail17trampoline_kernelINS0_14default_configENS1_29reduce_by_key_config_selectorIxxN6thrust23THRUST_200600_302600_NS4plusIxEEEEZZNS1_33reduce_by_key_impl_wrapped_configILNS1_25lookback_scan_determinismE0ES3_S9_NS6_6detail15normal_iteratorINS6_10device_ptrIxEEEESG_SG_SG_PmS8_22is_equal_div_10_reduceIxEEE10hipError_tPvRmT2_T3_mT4_T5_T6_T7_T8_P12ihipStream_tbENKUlT_T0_E_clISt17integral_constantIbLb1EES10_IbLb0EEEEDaSW_SX_EUlSW_E_NS1_11comp_targetILNS1_3genE8ELNS1_11target_archE1030ELNS1_3gpuE2ELNS1_3repE0EEENS1_30default_config_static_selectorELNS0_4arch9wavefront6targetE0EEEvT1_,"axG",@progbits,_ZN7rocprim17ROCPRIM_400000_NS6detail17trampoline_kernelINS0_14default_configENS1_29reduce_by_key_config_selectorIxxN6thrust23THRUST_200600_302600_NS4plusIxEEEEZZNS1_33reduce_by_key_impl_wrapped_configILNS1_25lookback_scan_determinismE0ES3_S9_NS6_6detail15normal_iteratorINS6_10device_ptrIxEEEESG_SG_SG_PmS8_22is_equal_div_10_reduceIxEEE10hipError_tPvRmT2_T3_mT4_T5_T6_T7_T8_P12ihipStream_tbENKUlT_T0_E_clISt17integral_constantIbLb1EES10_IbLb0EEEEDaSW_SX_EUlSW_E_NS1_11comp_targetILNS1_3genE8ELNS1_11target_archE1030ELNS1_3gpuE2ELNS1_3repE0EEENS1_30default_config_static_selectorELNS0_4arch9wavefront6targetE0EEEvT1_,comdat
	.protected	_ZN7rocprim17ROCPRIM_400000_NS6detail17trampoline_kernelINS0_14default_configENS1_29reduce_by_key_config_selectorIxxN6thrust23THRUST_200600_302600_NS4plusIxEEEEZZNS1_33reduce_by_key_impl_wrapped_configILNS1_25lookback_scan_determinismE0ES3_S9_NS6_6detail15normal_iteratorINS6_10device_ptrIxEEEESG_SG_SG_PmS8_22is_equal_div_10_reduceIxEEE10hipError_tPvRmT2_T3_mT4_T5_T6_T7_T8_P12ihipStream_tbENKUlT_T0_E_clISt17integral_constantIbLb1EES10_IbLb0EEEEDaSW_SX_EUlSW_E_NS1_11comp_targetILNS1_3genE8ELNS1_11target_archE1030ELNS1_3gpuE2ELNS1_3repE0EEENS1_30default_config_static_selectorELNS0_4arch9wavefront6targetE0EEEvT1_ ; -- Begin function _ZN7rocprim17ROCPRIM_400000_NS6detail17trampoline_kernelINS0_14default_configENS1_29reduce_by_key_config_selectorIxxN6thrust23THRUST_200600_302600_NS4plusIxEEEEZZNS1_33reduce_by_key_impl_wrapped_configILNS1_25lookback_scan_determinismE0ES3_S9_NS6_6detail15normal_iteratorINS6_10device_ptrIxEEEESG_SG_SG_PmS8_22is_equal_div_10_reduceIxEEE10hipError_tPvRmT2_T3_mT4_T5_T6_T7_T8_P12ihipStream_tbENKUlT_T0_E_clISt17integral_constantIbLb1EES10_IbLb0EEEEDaSW_SX_EUlSW_E_NS1_11comp_targetILNS1_3genE8ELNS1_11target_archE1030ELNS1_3gpuE2ELNS1_3repE0EEENS1_30default_config_static_selectorELNS0_4arch9wavefront6targetE0EEEvT1_
	.globl	_ZN7rocprim17ROCPRIM_400000_NS6detail17trampoline_kernelINS0_14default_configENS1_29reduce_by_key_config_selectorIxxN6thrust23THRUST_200600_302600_NS4plusIxEEEEZZNS1_33reduce_by_key_impl_wrapped_configILNS1_25lookback_scan_determinismE0ES3_S9_NS6_6detail15normal_iteratorINS6_10device_ptrIxEEEESG_SG_SG_PmS8_22is_equal_div_10_reduceIxEEE10hipError_tPvRmT2_T3_mT4_T5_T6_T7_T8_P12ihipStream_tbENKUlT_T0_E_clISt17integral_constantIbLb1EES10_IbLb0EEEEDaSW_SX_EUlSW_E_NS1_11comp_targetILNS1_3genE8ELNS1_11target_archE1030ELNS1_3gpuE2ELNS1_3repE0EEENS1_30default_config_static_selectorELNS0_4arch9wavefront6targetE0EEEvT1_
	.p2align	8
	.type	_ZN7rocprim17ROCPRIM_400000_NS6detail17trampoline_kernelINS0_14default_configENS1_29reduce_by_key_config_selectorIxxN6thrust23THRUST_200600_302600_NS4plusIxEEEEZZNS1_33reduce_by_key_impl_wrapped_configILNS1_25lookback_scan_determinismE0ES3_S9_NS6_6detail15normal_iteratorINS6_10device_ptrIxEEEESG_SG_SG_PmS8_22is_equal_div_10_reduceIxEEE10hipError_tPvRmT2_T3_mT4_T5_T6_T7_T8_P12ihipStream_tbENKUlT_T0_E_clISt17integral_constantIbLb1EES10_IbLb0EEEEDaSW_SX_EUlSW_E_NS1_11comp_targetILNS1_3genE8ELNS1_11target_archE1030ELNS1_3gpuE2ELNS1_3repE0EEENS1_30default_config_static_selectorELNS0_4arch9wavefront6targetE0EEEvT1_,@function
_ZN7rocprim17ROCPRIM_400000_NS6detail17trampoline_kernelINS0_14default_configENS1_29reduce_by_key_config_selectorIxxN6thrust23THRUST_200600_302600_NS4plusIxEEEEZZNS1_33reduce_by_key_impl_wrapped_configILNS1_25lookback_scan_determinismE0ES3_S9_NS6_6detail15normal_iteratorINS6_10device_ptrIxEEEESG_SG_SG_PmS8_22is_equal_div_10_reduceIxEEE10hipError_tPvRmT2_T3_mT4_T5_T6_T7_T8_P12ihipStream_tbENKUlT_T0_E_clISt17integral_constantIbLb1EES10_IbLb0EEEEDaSW_SX_EUlSW_E_NS1_11comp_targetILNS1_3genE8ELNS1_11target_archE1030ELNS1_3gpuE2ELNS1_3repE0EEENS1_30default_config_static_selectorELNS0_4arch9wavefront6targetE0EEEvT1_: ; @_ZN7rocprim17ROCPRIM_400000_NS6detail17trampoline_kernelINS0_14default_configENS1_29reduce_by_key_config_selectorIxxN6thrust23THRUST_200600_302600_NS4plusIxEEEEZZNS1_33reduce_by_key_impl_wrapped_configILNS1_25lookback_scan_determinismE0ES3_S9_NS6_6detail15normal_iteratorINS6_10device_ptrIxEEEESG_SG_SG_PmS8_22is_equal_div_10_reduceIxEEE10hipError_tPvRmT2_T3_mT4_T5_T6_T7_T8_P12ihipStream_tbENKUlT_T0_E_clISt17integral_constantIbLb1EES10_IbLb0EEEEDaSW_SX_EUlSW_E_NS1_11comp_targetILNS1_3genE8ELNS1_11target_archE1030ELNS1_3gpuE2ELNS1_3repE0EEENS1_30default_config_static_selectorELNS0_4arch9wavefront6targetE0EEEvT1_
; %bb.0:
	.section	.rodata,"a",@progbits
	.p2align	6, 0x0
	.amdhsa_kernel _ZN7rocprim17ROCPRIM_400000_NS6detail17trampoline_kernelINS0_14default_configENS1_29reduce_by_key_config_selectorIxxN6thrust23THRUST_200600_302600_NS4plusIxEEEEZZNS1_33reduce_by_key_impl_wrapped_configILNS1_25lookback_scan_determinismE0ES3_S9_NS6_6detail15normal_iteratorINS6_10device_ptrIxEEEESG_SG_SG_PmS8_22is_equal_div_10_reduceIxEEE10hipError_tPvRmT2_T3_mT4_T5_T6_T7_T8_P12ihipStream_tbENKUlT_T0_E_clISt17integral_constantIbLb1EES10_IbLb0EEEEDaSW_SX_EUlSW_E_NS1_11comp_targetILNS1_3genE8ELNS1_11target_archE1030ELNS1_3gpuE2ELNS1_3repE0EEENS1_30default_config_static_selectorELNS0_4arch9wavefront6targetE0EEEvT1_
		.amdhsa_group_segment_fixed_size 0
		.amdhsa_private_segment_fixed_size 0
		.amdhsa_kernarg_size 136
		.amdhsa_user_sgpr_count 15
		.amdhsa_user_sgpr_dispatch_ptr 0
		.amdhsa_user_sgpr_queue_ptr 0
		.amdhsa_user_sgpr_kernarg_segment_ptr 1
		.amdhsa_user_sgpr_dispatch_id 0
		.amdhsa_user_sgpr_private_segment_size 0
		.amdhsa_wavefront_size32 1
		.amdhsa_uses_dynamic_stack 0
		.amdhsa_enable_private_segment 0
		.amdhsa_system_sgpr_workgroup_id_x 1
		.amdhsa_system_sgpr_workgroup_id_y 0
		.amdhsa_system_sgpr_workgroup_id_z 0
		.amdhsa_system_sgpr_workgroup_info 0
		.amdhsa_system_vgpr_workitem_id 0
		.amdhsa_next_free_vgpr 1
		.amdhsa_next_free_sgpr 1
		.amdhsa_reserve_vcc 0
		.amdhsa_float_round_mode_32 0
		.amdhsa_float_round_mode_16_64 0
		.amdhsa_float_denorm_mode_32 3
		.amdhsa_float_denorm_mode_16_64 3
		.amdhsa_dx10_clamp 1
		.amdhsa_ieee_mode 1
		.amdhsa_fp16_overflow 0
		.amdhsa_workgroup_processor_mode 1
		.amdhsa_memory_ordered 1
		.amdhsa_forward_progress 0
		.amdhsa_shared_vgpr_count 0
		.amdhsa_exception_fp_ieee_invalid_op 0
		.amdhsa_exception_fp_denorm_src 0
		.amdhsa_exception_fp_ieee_div_zero 0
		.amdhsa_exception_fp_ieee_overflow 0
		.amdhsa_exception_fp_ieee_underflow 0
		.amdhsa_exception_fp_ieee_inexact 0
		.amdhsa_exception_int_div_zero 0
	.end_amdhsa_kernel
	.section	.text._ZN7rocprim17ROCPRIM_400000_NS6detail17trampoline_kernelINS0_14default_configENS1_29reduce_by_key_config_selectorIxxN6thrust23THRUST_200600_302600_NS4plusIxEEEEZZNS1_33reduce_by_key_impl_wrapped_configILNS1_25lookback_scan_determinismE0ES3_S9_NS6_6detail15normal_iteratorINS6_10device_ptrIxEEEESG_SG_SG_PmS8_22is_equal_div_10_reduceIxEEE10hipError_tPvRmT2_T3_mT4_T5_T6_T7_T8_P12ihipStream_tbENKUlT_T0_E_clISt17integral_constantIbLb1EES10_IbLb0EEEEDaSW_SX_EUlSW_E_NS1_11comp_targetILNS1_3genE8ELNS1_11target_archE1030ELNS1_3gpuE2ELNS1_3repE0EEENS1_30default_config_static_selectorELNS0_4arch9wavefront6targetE0EEEvT1_,"axG",@progbits,_ZN7rocprim17ROCPRIM_400000_NS6detail17trampoline_kernelINS0_14default_configENS1_29reduce_by_key_config_selectorIxxN6thrust23THRUST_200600_302600_NS4plusIxEEEEZZNS1_33reduce_by_key_impl_wrapped_configILNS1_25lookback_scan_determinismE0ES3_S9_NS6_6detail15normal_iteratorINS6_10device_ptrIxEEEESG_SG_SG_PmS8_22is_equal_div_10_reduceIxEEE10hipError_tPvRmT2_T3_mT4_T5_T6_T7_T8_P12ihipStream_tbENKUlT_T0_E_clISt17integral_constantIbLb1EES10_IbLb0EEEEDaSW_SX_EUlSW_E_NS1_11comp_targetILNS1_3genE8ELNS1_11target_archE1030ELNS1_3gpuE2ELNS1_3repE0EEENS1_30default_config_static_selectorELNS0_4arch9wavefront6targetE0EEEvT1_,comdat
.Lfunc_end534:
	.size	_ZN7rocprim17ROCPRIM_400000_NS6detail17trampoline_kernelINS0_14default_configENS1_29reduce_by_key_config_selectorIxxN6thrust23THRUST_200600_302600_NS4plusIxEEEEZZNS1_33reduce_by_key_impl_wrapped_configILNS1_25lookback_scan_determinismE0ES3_S9_NS6_6detail15normal_iteratorINS6_10device_ptrIxEEEESG_SG_SG_PmS8_22is_equal_div_10_reduceIxEEE10hipError_tPvRmT2_T3_mT4_T5_T6_T7_T8_P12ihipStream_tbENKUlT_T0_E_clISt17integral_constantIbLb1EES10_IbLb0EEEEDaSW_SX_EUlSW_E_NS1_11comp_targetILNS1_3genE8ELNS1_11target_archE1030ELNS1_3gpuE2ELNS1_3repE0EEENS1_30default_config_static_selectorELNS0_4arch9wavefront6targetE0EEEvT1_, .Lfunc_end534-_ZN7rocprim17ROCPRIM_400000_NS6detail17trampoline_kernelINS0_14default_configENS1_29reduce_by_key_config_selectorIxxN6thrust23THRUST_200600_302600_NS4plusIxEEEEZZNS1_33reduce_by_key_impl_wrapped_configILNS1_25lookback_scan_determinismE0ES3_S9_NS6_6detail15normal_iteratorINS6_10device_ptrIxEEEESG_SG_SG_PmS8_22is_equal_div_10_reduceIxEEE10hipError_tPvRmT2_T3_mT4_T5_T6_T7_T8_P12ihipStream_tbENKUlT_T0_E_clISt17integral_constantIbLb1EES10_IbLb0EEEEDaSW_SX_EUlSW_E_NS1_11comp_targetILNS1_3genE8ELNS1_11target_archE1030ELNS1_3gpuE2ELNS1_3repE0EEENS1_30default_config_static_selectorELNS0_4arch9wavefront6targetE0EEEvT1_
                                        ; -- End function
	.section	.AMDGPU.csdata,"",@progbits
; Kernel info:
; codeLenInByte = 0
; NumSgprs: 0
; NumVgprs: 0
; ScratchSize: 0
; MemoryBound: 0
; FloatMode: 240
; IeeeMode: 1
; LDSByteSize: 0 bytes/workgroup (compile time only)
; SGPRBlocks: 0
; VGPRBlocks: 0
; NumSGPRsForWavesPerEU: 1
; NumVGPRsForWavesPerEU: 1
; Occupancy: 16
; WaveLimiterHint : 0
; COMPUTE_PGM_RSRC2:SCRATCH_EN: 0
; COMPUTE_PGM_RSRC2:USER_SGPR: 15
; COMPUTE_PGM_RSRC2:TRAP_HANDLER: 0
; COMPUTE_PGM_RSRC2:TGID_X_EN: 1
; COMPUTE_PGM_RSRC2:TGID_Y_EN: 0
; COMPUTE_PGM_RSRC2:TGID_Z_EN: 0
; COMPUTE_PGM_RSRC2:TIDIG_COMP_CNT: 0
	.section	.text._ZN7rocprim17ROCPRIM_400000_NS6detail17trampoline_kernelINS0_14default_configENS1_29reduce_by_key_config_selectorIxxN6thrust23THRUST_200600_302600_NS4plusIxEEEEZZNS1_33reduce_by_key_impl_wrapped_configILNS1_25lookback_scan_determinismE0ES3_S9_NS6_6detail15normal_iteratorINS6_10device_ptrIxEEEESG_SG_SG_PmS8_22is_equal_div_10_reduceIxEEE10hipError_tPvRmT2_T3_mT4_T5_T6_T7_T8_P12ihipStream_tbENKUlT_T0_E_clISt17integral_constantIbLb0EES10_IbLb1EEEEDaSW_SX_EUlSW_E_NS1_11comp_targetILNS1_3genE0ELNS1_11target_archE4294967295ELNS1_3gpuE0ELNS1_3repE0EEENS1_30default_config_static_selectorELNS0_4arch9wavefront6targetE0EEEvT1_,"axG",@progbits,_ZN7rocprim17ROCPRIM_400000_NS6detail17trampoline_kernelINS0_14default_configENS1_29reduce_by_key_config_selectorIxxN6thrust23THRUST_200600_302600_NS4plusIxEEEEZZNS1_33reduce_by_key_impl_wrapped_configILNS1_25lookback_scan_determinismE0ES3_S9_NS6_6detail15normal_iteratorINS6_10device_ptrIxEEEESG_SG_SG_PmS8_22is_equal_div_10_reduceIxEEE10hipError_tPvRmT2_T3_mT4_T5_T6_T7_T8_P12ihipStream_tbENKUlT_T0_E_clISt17integral_constantIbLb0EES10_IbLb1EEEEDaSW_SX_EUlSW_E_NS1_11comp_targetILNS1_3genE0ELNS1_11target_archE4294967295ELNS1_3gpuE0ELNS1_3repE0EEENS1_30default_config_static_selectorELNS0_4arch9wavefront6targetE0EEEvT1_,comdat
	.protected	_ZN7rocprim17ROCPRIM_400000_NS6detail17trampoline_kernelINS0_14default_configENS1_29reduce_by_key_config_selectorIxxN6thrust23THRUST_200600_302600_NS4plusIxEEEEZZNS1_33reduce_by_key_impl_wrapped_configILNS1_25lookback_scan_determinismE0ES3_S9_NS6_6detail15normal_iteratorINS6_10device_ptrIxEEEESG_SG_SG_PmS8_22is_equal_div_10_reduceIxEEE10hipError_tPvRmT2_T3_mT4_T5_T6_T7_T8_P12ihipStream_tbENKUlT_T0_E_clISt17integral_constantIbLb0EES10_IbLb1EEEEDaSW_SX_EUlSW_E_NS1_11comp_targetILNS1_3genE0ELNS1_11target_archE4294967295ELNS1_3gpuE0ELNS1_3repE0EEENS1_30default_config_static_selectorELNS0_4arch9wavefront6targetE0EEEvT1_ ; -- Begin function _ZN7rocprim17ROCPRIM_400000_NS6detail17trampoline_kernelINS0_14default_configENS1_29reduce_by_key_config_selectorIxxN6thrust23THRUST_200600_302600_NS4plusIxEEEEZZNS1_33reduce_by_key_impl_wrapped_configILNS1_25lookback_scan_determinismE0ES3_S9_NS6_6detail15normal_iteratorINS6_10device_ptrIxEEEESG_SG_SG_PmS8_22is_equal_div_10_reduceIxEEE10hipError_tPvRmT2_T3_mT4_T5_T6_T7_T8_P12ihipStream_tbENKUlT_T0_E_clISt17integral_constantIbLb0EES10_IbLb1EEEEDaSW_SX_EUlSW_E_NS1_11comp_targetILNS1_3genE0ELNS1_11target_archE4294967295ELNS1_3gpuE0ELNS1_3repE0EEENS1_30default_config_static_selectorELNS0_4arch9wavefront6targetE0EEEvT1_
	.globl	_ZN7rocprim17ROCPRIM_400000_NS6detail17trampoline_kernelINS0_14default_configENS1_29reduce_by_key_config_selectorIxxN6thrust23THRUST_200600_302600_NS4plusIxEEEEZZNS1_33reduce_by_key_impl_wrapped_configILNS1_25lookback_scan_determinismE0ES3_S9_NS6_6detail15normal_iteratorINS6_10device_ptrIxEEEESG_SG_SG_PmS8_22is_equal_div_10_reduceIxEEE10hipError_tPvRmT2_T3_mT4_T5_T6_T7_T8_P12ihipStream_tbENKUlT_T0_E_clISt17integral_constantIbLb0EES10_IbLb1EEEEDaSW_SX_EUlSW_E_NS1_11comp_targetILNS1_3genE0ELNS1_11target_archE4294967295ELNS1_3gpuE0ELNS1_3repE0EEENS1_30default_config_static_selectorELNS0_4arch9wavefront6targetE0EEEvT1_
	.p2align	8
	.type	_ZN7rocprim17ROCPRIM_400000_NS6detail17trampoline_kernelINS0_14default_configENS1_29reduce_by_key_config_selectorIxxN6thrust23THRUST_200600_302600_NS4plusIxEEEEZZNS1_33reduce_by_key_impl_wrapped_configILNS1_25lookback_scan_determinismE0ES3_S9_NS6_6detail15normal_iteratorINS6_10device_ptrIxEEEESG_SG_SG_PmS8_22is_equal_div_10_reduceIxEEE10hipError_tPvRmT2_T3_mT4_T5_T6_T7_T8_P12ihipStream_tbENKUlT_T0_E_clISt17integral_constantIbLb0EES10_IbLb1EEEEDaSW_SX_EUlSW_E_NS1_11comp_targetILNS1_3genE0ELNS1_11target_archE4294967295ELNS1_3gpuE0ELNS1_3repE0EEENS1_30default_config_static_selectorELNS0_4arch9wavefront6targetE0EEEvT1_,@function
_ZN7rocprim17ROCPRIM_400000_NS6detail17trampoline_kernelINS0_14default_configENS1_29reduce_by_key_config_selectorIxxN6thrust23THRUST_200600_302600_NS4plusIxEEEEZZNS1_33reduce_by_key_impl_wrapped_configILNS1_25lookback_scan_determinismE0ES3_S9_NS6_6detail15normal_iteratorINS6_10device_ptrIxEEEESG_SG_SG_PmS8_22is_equal_div_10_reduceIxEEE10hipError_tPvRmT2_T3_mT4_T5_T6_T7_T8_P12ihipStream_tbENKUlT_T0_E_clISt17integral_constantIbLb0EES10_IbLb1EEEEDaSW_SX_EUlSW_E_NS1_11comp_targetILNS1_3genE0ELNS1_11target_archE4294967295ELNS1_3gpuE0ELNS1_3repE0EEENS1_30default_config_static_selectorELNS0_4arch9wavefront6targetE0EEEvT1_: ; @_ZN7rocprim17ROCPRIM_400000_NS6detail17trampoline_kernelINS0_14default_configENS1_29reduce_by_key_config_selectorIxxN6thrust23THRUST_200600_302600_NS4plusIxEEEEZZNS1_33reduce_by_key_impl_wrapped_configILNS1_25lookback_scan_determinismE0ES3_S9_NS6_6detail15normal_iteratorINS6_10device_ptrIxEEEESG_SG_SG_PmS8_22is_equal_div_10_reduceIxEEE10hipError_tPvRmT2_T3_mT4_T5_T6_T7_T8_P12ihipStream_tbENKUlT_T0_E_clISt17integral_constantIbLb0EES10_IbLb1EEEEDaSW_SX_EUlSW_E_NS1_11comp_targetILNS1_3genE0ELNS1_11target_archE4294967295ELNS1_3gpuE0ELNS1_3repE0EEENS1_30default_config_static_selectorELNS0_4arch9wavefront6targetE0EEEvT1_
; %bb.0:
	.section	.rodata,"a",@progbits
	.p2align	6, 0x0
	.amdhsa_kernel _ZN7rocprim17ROCPRIM_400000_NS6detail17trampoline_kernelINS0_14default_configENS1_29reduce_by_key_config_selectorIxxN6thrust23THRUST_200600_302600_NS4plusIxEEEEZZNS1_33reduce_by_key_impl_wrapped_configILNS1_25lookback_scan_determinismE0ES3_S9_NS6_6detail15normal_iteratorINS6_10device_ptrIxEEEESG_SG_SG_PmS8_22is_equal_div_10_reduceIxEEE10hipError_tPvRmT2_T3_mT4_T5_T6_T7_T8_P12ihipStream_tbENKUlT_T0_E_clISt17integral_constantIbLb0EES10_IbLb1EEEEDaSW_SX_EUlSW_E_NS1_11comp_targetILNS1_3genE0ELNS1_11target_archE4294967295ELNS1_3gpuE0ELNS1_3repE0EEENS1_30default_config_static_selectorELNS0_4arch9wavefront6targetE0EEEvT1_
		.amdhsa_group_segment_fixed_size 0
		.amdhsa_private_segment_fixed_size 0
		.amdhsa_kernarg_size 136
		.amdhsa_user_sgpr_count 15
		.amdhsa_user_sgpr_dispatch_ptr 0
		.amdhsa_user_sgpr_queue_ptr 0
		.amdhsa_user_sgpr_kernarg_segment_ptr 1
		.amdhsa_user_sgpr_dispatch_id 0
		.amdhsa_user_sgpr_private_segment_size 0
		.amdhsa_wavefront_size32 1
		.amdhsa_uses_dynamic_stack 0
		.amdhsa_enable_private_segment 0
		.amdhsa_system_sgpr_workgroup_id_x 1
		.amdhsa_system_sgpr_workgroup_id_y 0
		.amdhsa_system_sgpr_workgroup_id_z 0
		.amdhsa_system_sgpr_workgroup_info 0
		.amdhsa_system_vgpr_workitem_id 0
		.amdhsa_next_free_vgpr 1
		.amdhsa_next_free_sgpr 1
		.amdhsa_reserve_vcc 0
		.amdhsa_float_round_mode_32 0
		.amdhsa_float_round_mode_16_64 0
		.amdhsa_float_denorm_mode_32 3
		.amdhsa_float_denorm_mode_16_64 3
		.amdhsa_dx10_clamp 1
		.amdhsa_ieee_mode 1
		.amdhsa_fp16_overflow 0
		.amdhsa_workgroup_processor_mode 1
		.amdhsa_memory_ordered 1
		.amdhsa_forward_progress 0
		.amdhsa_shared_vgpr_count 0
		.amdhsa_exception_fp_ieee_invalid_op 0
		.amdhsa_exception_fp_denorm_src 0
		.amdhsa_exception_fp_ieee_div_zero 0
		.amdhsa_exception_fp_ieee_overflow 0
		.amdhsa_exception_fp_ieee_underflow 0
		.amdhsa_exception_fp_ieee_inexact 0
		.amdhsa_exception_int_div_zero 0
	.end_amdhsa_kernel
	.section	.text._ZN7rocprim17ROCPRIM_400000_NS6detail17trampoline_kernelINS0_14default_configENS1_29reduce_by_key_config_selectorIxxN6thrust23THRUST_200600_302600_NS4plusIxEEEEZZNS1_33reduce_by_key_impl_wrapped_configILNS1_25lookback_scan_determinismE0ES3_S9_NS6_6detail15normal_iteratorINS6_10device_ptrIxEEEESG_SG_SG_PmS8_22is_equal_div_10_reduceIxEEE10hipError_tPvRmT2_T3_mT4_T5_T6_T7_T8_P12ihipStream_tbENKUlT_T0_E_clISt17integral_constantIbLb0EES10_IbLb1EEEEDaSW_SX_EUlSW_E_NS1_11comp_targetILNS1_3genE0ELNS1_11target_archE4294967295ELNS1_3gpuE0ELNS1_3repE0EEENS1_30default_config_static_selectorELNS0_4arch9wavefront6targetE0EEEvT1_,"axG",@progbits,_ZN7rocprim17ROCPRIM_400000_NS6detail17trampoline_kernelINS0_14default_configENS1_29reduce_by_key_config_selectorIxxN6thrust23THRUST_200600_302600_NS4plusIxEEEEZZNS1_33reduce_by_key_impl_wrapped_configILNS1_25lookback_scan_determinismE0ES3_S9_NS6_6detail15normal_iteratorINS6_10device_ptrIxEEEESG_SG_SG_PmS8_22is_equal_div_10_reduceIxEEE10hipError_tPvRmT2_T3_mT4_T5_T6_T7_T8_P12ihipStream_tbENKUlT_T0_E_clISt17integral_constantIbLb0EES10_IbLb1EEEEDaSW_SX_EUlSW_E_NS1_11comp_targetILNS1_3genE0ELNS1_11target_archE4294967295ELNS1_3gpuE0ELNS1_3repE0EEENS1_30default_config_static_selectorELNS0_4arch9wavefront6targetE0EEEvT1_,comdat
.Lfunc_end535:
	.size	_ZN7rocprim17ROCPRIM_400000_NS6detail17trampoline_kernelINS0_14default_configENS1_29reduce_by_key_config_selectorIxxN6thrust23THRUST_200600_302600_NS4plusIxEEEEZZNS1_33reduce_by_key_impl_wrapped_configILNS1_25lookback_scan_determinismE0ES3_S9_NS6_6detail15normal_iteratorINS6_10device_ptrIxEEEESG_SG_SG_PmS8_22is_equal_div_10_reduceIxEEE10hipError_tPvRmT2_T3_mT4_T5_T6_T7_T8_P12ihipStream_tbENKUlT_T0_E_clISt17integral_constantIbLb0EES10_IbLb1EEEEDaSW_SX_EUlSW_E_NS1_11comp_targetILNS1_3genE0ELNS1_11target_archE4294967295ELNS1_3gpuE0ELNS1_3repE0EEENS1_30default_config_static_selectorELNS0_4arch9wavefront6targetE0EEEvT1_, .Lfunc_end535-_ZN7rocprim17ROCPRIM_400000_NS6detail17trampoline_kernelINS0_14default_configENS1_29reduce_by_key_config_selectorIxxN6thrust23THRUST_200600_302600_NS4plusIxEEEEZZNS1_33reduce_by_key_impl_wrapped_configILNS1_25lookback_scan_determinismE0ES3_S9_NS6_6detail15normal_iteratorINS6_10device_ptrIxEEEESG_SG_SG_PmS8_22is_equal_div_10_reduceIxEEE10hipError_tPvRmT2_T3_mT4_T5_T6_T7_T8_P12ihipStream_tbENKUlT_T0_E_clISt17integral_constantIbLb0EES10_IbLb1EEEEDaSW_SX_EUlSW_E_NS1_11comp_targetILNS1_3genE0ELNS1_11target_archE4294967295ELNS1_3gpuE0ELNS1_3repE0EEENS1_30default_config_static_selectorELNS0_4arch9wavefront6targetE0EEEvT1_
                                        ; -- End function
	.section	.AMDGPU.csdata,"",@progbits
; Kernel info:
; codeLenInByte = 0
; NumSgprs: 0
; NumVgprs: 0
; ScratchSize: 0
; MemoryBound: 0
; FloatMode: 240
; IeeeMode: 1
; LDSByteSize: 0 bytes/workgroup (compile time only)
; SGPRBlocks: 0
; VGPRBlocks: 0
; NumSGPRsForWavesPerEU: 1
; NumVGPRsForWavesPerEU: 1
; Occupancy: 16
; WaveLimiterHint : 0
; COMPUTE_PGM_RSRC2:SCRATCH_EN: 0
; COMPUTE_PGM_RSRC2:USER_SGPR: 15
; COMPUTE_PGM_RSRC2:TRAP_HANDLER: 0
; COMPUTE_PGM_RSRC2:TGID_X_EN: 1
; COMPUTE_PGM_RSRC2:TGID_Y_EN: 0
; COMPUTE_PGM_RSRC2:TGID_Z_EN: 0
; COMPUTE_PGM_RSRC2:TIDIG_COMP_CNT: 0
	.section	.text._ZN7rocprim17ROCPRIM_400000_NS6detail17trampoline_kernelINS0_14default_configENS1_29reduce_by_key_config_selectorIxxN6thrust23THRUST_200600_302600_NS4plusIxEEEEZZNS1_33reduce_by_key_impl_wrapped_configILNS1_25lookback_scan_determinismE0ES3_S9_NS6_6detail15normal_iteratorINS6_10device_ptrIxEEEESG_SG_SG_PmS8_22is_equal_div_10_reduceIxEEE10hipError_tPvRmT2_T3_mT4_T5_T6_T7_T8_P12ihipStream_tbENKUlT_T0_E_clISt17integral_constantIbLb0EES10_IbLb1EEEEDaSW_SX_EUlSW_E_NS1_11comp_targetILNS1_3genE5ELNS1_11target_archE942ELNS1_3gpuE9ELNS1_3repE0EEENS1_30default_config_static_selectorELNS0_4arch9wavefront6targetE0EEEvT1_,"axG",@progbits,_ZN7rocprim17ROCPRIM_400000_NS6detail17trampoline_kernelINS0_14default_configENS1_29reduce_by_key_config_selectorIxxN6thrust23THRUST_200600_302600_NS4plusIxEEEEZZNS1_33reduce_by_key_impl_wrapped_configILNS1_25lookback_scan_determinismE0ES3_S9_NS6_6detail15normal_iteratorINS6_10device_ptrIxEEEESG_SG_SG_PmS8_22is_equal_div_10_reduceIxEEE10hipError_tPvRmT2_T3_mT4_T5_T6_T7_T8_P12ihipStream_tbENKUlT_T0_E_clISt17integral_constantIbLb0EES10_IbLb1EEEEDaSW_SX_EUlSW_E_NS1_11comp_targetILNS1_3genE5ELNS1_11target_archE942ELNS1_3gpuE9ELNS1_3repE0EEENS1_30default_config_static_selectorELNS0_4arch9wavefront6targetE0EEEvT1_,comdat
	.protected	_ZN7rocprim17ROCPRIM_400000_NS6detail17trampoline_kernelINS0_14default_configENS1_29reduce_by_key_config_selectorIxxN6thrust23THRUST_200600_302600_NS4plusIxEEEEZZNS1_33reduce_by_key_impl_wrapped_configILNS1_25lookback_scan_determinismE0ES3_S9_NS6_6detail15normal_iteratorINS6_10device_ptrIxEEEESG_SG_SG_PmS8_22is_equal_div_10_reduceIxEEE10hipError_tPvRmT2_T3_mT4_T5_T6_T7_T8_P12ihipStream_tbENKUlT_T0_E_clISt17integral_constantIbLb0EES10_IbLb1EEEEDaSW_SX_EUlSW_E_NS1_11comp_targetILNS1_3genE5ELNS1_11target_archE942ELNS1_3gpuE9ELNS1_3repE0EEENS1_30default_config_static_selectorELNS0_4arch9wavefront6targetE0EEEvT1_ ; -- Begin function _ZN7rocprim17ROCPRIM_400000_NS6detail17trampoline_kernelINS0_14default_configENS1_29reduce_by_key_config_selectorIxxN6thrust23THRUST_200600_302600_NS4plusIxEEEEZZNS1_33reduce_by_key_impl_wrapped_configILNS1_25lookback_scan_determinismE0ES3_S9_NS6_6detail15normal_iteratorINS6_10device_ptrIxEEEESG_SG_SG_PmS8_22is_equal_div_10_reduceIxEEE10hipError_tPvRmT2_T3_mT4_T5_T6_T7_T8_P12ihipStream_tbENKUlT_T0_E_clISt17integral_constantIbLb0EES10_IbLb1EEEEDaSW_SX_EUlSW_E_NS1_11comp_targetILNS1_3genE5ELNS1_11target_archE942ELNS1_3gpuE9ELNS1_3repE0EEENS1_30default_config_static_selectorELNS0_4arch9wavefront6targetE0EEEvT1_
	.globl	_ZN7rocprim17ROCPRIM_400000_NS6detail17trampoline_kernelINS0_14default_configENS1_29reduce_by_key_config_selectorIxxN6thrust23THRUST_200600_302600_NS4plusIxEEEEZZNS1_33reduce_by_key_impl_wrapped_configILNS1_25lookback_scan_determinismE0ES3_S9_NS6_6detail15normal_iteratorINS6_10device_ptrIxEEEESG_SG_SG_PmS8_22is_equal_div_10_reduceIxEEE10hipError_tPvRmT2_T3_mT4_T5_T6_T7_T8_P12ihipStream_tbENKUlT_T0_E_clISt17integral_constantIbLb0EES10_IbLb1EEEEDaSW_SX_EUlSW_E_NS1_11comp_targetILNS1_3genE5ELNS1_11target_archE942ELNS1_3gpuE9ELNS1_3repE0EEENS1_30default_config_static_selectorELNS0_4arch9wavefront6targetE0EEEvT1_
	.p2align	8
	.type	_ZN7rocprim17ROCPRIM_400000_NS6detail17trampoline_kernelINS0_14default_configENS1_29reduce_by_key_config_selectorIxxN6thrust23THRUST_200600_302600_NS4plusIxEEEEZZNS1_33reduce_by_key_impl_wrapped_configILNS1_25lookback_scan_determinismE0ES3_S9_NS6_6detail15normal_iteratorINS6_10device_ptrIxEEEESG_SG_SG_PmS8_22is_equal_div_10_reduceIxEEE10hipError_tPvRmT2_T3_mT4_T5_T6_T7_T8_P12ihipStream_tbENKUlT_T0_E_clISt17integral_constantIbLb0EES10_IbLb1EEEEDaSW_SX_EUlSW_E_NS1_11comp_targetILNS1_3genE5ELNS1_11target_archE942ELNS1_3gpuE9ELNS1_3repE0EEENS1_30default_config_static_selectorELNS0_4arch9wavefront6targetE0EEEvT1_,@function
_ZN7rocprim17ROCPRIM_400000_NS6detail17trampoline_kernelINS0_14default_configENS1_29reduce_by_key_config_selectorIxxN6thrust23THRUST_200600_302600_NS4plusIxEEEEZZNS1_33reduce_by_key_impl_wrapped_configILNS1_25lookback_scan_determinismE0ES3_S9_NS6_6detail15normal_iteratorINS6_10device_ptrIxEEEESG_SG_SG_PmS8_22is_equal_div_10_reduceIxEEE10hipError_tPvRmT2_T3_mT4_T5_T6_T7_T8_P12ihipStream_tbENKUlT_T0_E_clISt17integral_constantIbLb0EES10_IbLb1EEEEDaSW_SX_EUlSW_E_NS1_11comp_targetILNS1_3genE5ELNS1_11target_archE942ELNS1_3gpuE9ELNS1_3repE0EEENS1_30default_config_static_selectorELNS0_4arch9wavefront6targetE0EEEvT1_: ; @_ZN7rocprim17ROCPRIM_400000_NS6detail17trampoline_kernelINS0_14default_configENS1_29reduce_by_key_config_selectorIxxN6thrust23THRUST_200600_302600_NS4plusIxEEEEZZNS1_33reduce_by_key_impl_wrapped_configILNS1_25lookback_scan_determinismE0ES3_S9_NS6_6detail15normal_iteratorINS6_10device_ptrIxEEEESG_SG_SG_PmS8_22is_equal_div_10_reduceIxEEE10hipError_tPvRmT2_T3_mT4_T5_T6_T7_T8_P12ihipStream_tbENKUlT_T0_E_clISt17integral_constantIbLb0EES10_IbLb1EEEEDaSW_SX_EUlSW_E_NS1_11comp_targetILNS1_3genE5ELNS1_11target_archE942ELNS1_3gpuE9ELNS1_3repE0EEENS1_30default_config_static_selectorELNS0_4arch9wavefront6targetE0EEEvT1_
; %bb.0:
	.section	.rodata,"a",@progbits
	.p2align	6, 0x0
	.amdhsa_kernel _ZN7rocprim17ROCPRIM_400000_NS6detail17trampoline_kernelINS0_14default_configENS1_29reduce_by_key_config_selectorIxxN6thrust23THRUST_200600_302600_NS4plusIxEEEEZZNS1_33reduce_by_key_impl_wrapped_configILNS1_25lookback_scan_determinismE0ES3_S9_NS6_6detail15normal_iteratorINS6_10device_ptrIxEEEESG_SG_SG_PmS8_22is_equal_div_10_reduceIxEEE10hipError_tPvRmT2_T3_mT4_T5_T6_T7_T8_P12ihipStream_tbENKUlT_T0_E_clISt17integral_constantIbLb0EES10_IbLb1EEEEDaSW_SX_EUlSW_E_NS1_11comp_targetILNS1_3genE5ELNS1_11target_archE942ELNS1_3gpuE9ELNS1_3repE0EEENS1_30default_config_static_selectorELNS0_4arch9wavefront6targetE0EEEvT1_
		.amdhsa_group_segment_fixed_size 0
		.amdhsa_private_segment_fixed_size 0
		.amdhsa_kernarg_size 136
		.amdhsa_user_sgpr_count 15
		.amdhsa_user_sgpr_dispatch_ptr 0
		.amdhsa_user_sgpr_queue_ptr 0
		.amdhsa_user_sgpr_kernarg_segment_ptr 1
		.amdhsa_user_sgpr_dispatch_id 0
		.amdhsa_user_sgpr_private_segment_size 0
		.amdhsa_wavefront_size32 1
		.amdhsa_uses_dynamic_stack 0
		.amdhsa_enable_private_segment 0
		.amdhsa_system_sgpr_workgroup_id_x 1
		.amdhsa_system_sgpr_workgroup_id_y 0
		.amdhsa_system_sgpr_workgroup_id_z 0
		.amdhsa_system_sgpr_workgroup_info 0
		.amdhsa_system_vgpr_workitem_id 0
		.amdhsa_next_free_vgpr 1
		.amdhsa_next_free_sgpr 1
		.amdhsa_reserve_vcc 0
		.amdhsa_float_round_mode_32 0
		.amdhsa_float_round_mode_16_64 0
		.amdhsa_float_denorm_mode_32 3
		.amdhsa_float_denorm_mode_16_64 3
		.amdhsa_dx10_clamp 1
		.amdhsa_ieee_mode 1
		.amdhsa_fp16_overflow 0
		.amdhsa_workgroup_processor_mode 1
		.amdhsa_memory_ordered 1
		.amdhsa_forward_progress 0
		.amdhsa_shared_vgpr_count 0
		.amdhsa_exception_fp_ieee_invalid_op 0
		.amdhsa_exception_fp_denorm_src 0
		.amdhsa_exception_fp_ieee_div_zero 0
		.amdhsa_exception_fp_ieee_overflow 0
		.amdhsa_exception_fp_ieee_underflow 0
		.amdhsa_exception_fp_ieee_inexact 0
		.amdhsa_exception_int_div_zero 0
	.end_amdhsa_kernel
	.section	.text._ZN7rocprim17ROCPRIM_400000_NS6detail17trampoline_kernelINS0_14default_configENS1_29reduce_by_key_config_selectorIxxN6thrust23THRUST_200600_302600_NS4plusIxEEEEZZNS1_33reduce_by_key_impl_wrapped_configILNS1_25lookback_scan_determinismE0ES3_S9_NS6_6detail15normal_iteratorINS6_10device_ptrIxEEEESG_SG_SG_PmS8_22is_equal_div_10_reduceIxEEE10hipError_tPvRmT2_T3_mT4_T5_T6_T7_T8_P12ihipStream_tbENKUlT_T0_E_clISt17integral_constantIbLb0EES10_IbLb1EEEEDaSW_SX_EUlSW_E_NS1_11comp_targetILNS1_3genE5ELNS1_11target_archE942ELNS1_3gpuE9ELNS1_3repE0EEENS1_30default_config_static_selectorELNS0_4arch9wavefront6targetE0EEEvT1_,"axG",@progbits,_ZN7rocprim17ROCPRIM_400000_NS6detail17trampoline_kernelINS0_14default_configENS1_29reduce_by_key_config_selectorIxxN6thrust23THRUST_200600_302600_NS4plusIxEEEEZZNS1_33reduce_by_key_impl_wrapped_configILNS1_25lookback_scan_determinismE0ES3_S9_NS6_6detail15normal_iteratorINS6_10device_ptrIxEEEESG_SG_SG_PmS8_22is_equal_div_10_reduceIxEEE10hipError_tPvRmT2_T3_mT4_T5_T6_T7_T8_P12ihipStream_tbENKUlT_T0_E_clISt17integral_constantIbLb0EES10_IbLb1EEEEDaSW_SX_EUlSW_E_NS1_11comp_targetILNS1_3genE5ELNS1_11target_archE942ELNS1_3gpuE9ELNS1_3repE0EEENS1_30default_config_static_selectorELNS0_4arch9wavefront6targetE0EEEvT1_,comdat
.Lfunc_end536:
	.size	_ZN7rocprim17ROCPRIM_400000_NS6detail17trampoline_kernelINS0_14default_configENS1_29reduce_by_key_config_selectorIxxN6thrust23THRUST_200600_302600_NS4plusIxEEEEZZNS1_33reduce_by_key_impl_wrapped_configILNS1_25lookback_scan_determinismE0ES3_S9_NS6_6detail15normal_iteratorINS6_10device_ptrIxEEEESG_SG_SG_PmS8_22is_equal_div_10_reduceIxEEE10hipError_tPvRmT2_T3_mT4_T5_T6_T7_T8_P12ihipStream_tbENKUlT_T0_E_clISt17integral_constantIbLb0EES10_IbLb1EEEEDaSW_SX_EUlSW_E_NS1_11comp_targetILNS1_3genE5ELNS1_11target_archE942ELNS1_3gpuE9ELNS1_3repE0EEENS1_30default_config_static_selectorELNS0_4arch9wavefront6targetE0EEEvT1_, .Lfunc_end536-_ZN7rocprim17ROCPRIM_400000_NS6detail17trampoline_kernelINS0_14default_configENS1_29reduce_by_key_config_selectorIxxN6thrust23THRUST_200600_302600_NS4plusIxEEEEZZNS1_33reduce_by_key_impl_wrapped_configILNS1_25lookback_scan_determinismE0ES3_S9_NS6_6detail15normal_iteratorINS6_10device_ptrIxEEEESG_SG_SG_PmS8_22is_equal_div_10_reduceIxEEE10hipError_tPvRmT2_T3_mT4_T5_T6_T7_T8_P12ihipStream_tbENKUlT_T0_E_clISt17integral_constantIbLb0EES10_IbLb1EEEEDaSW_SX_EUlSW_E_NS1_11comp_targetILNS1_3genE5ELNS1_11target_archE942ELNS1_3gpuE9ELNS1_3repE0EEENS1_30default_config_static_selectorELNS0_4arch9wavefront6targetE0EEEvT1_
                                        ; -- End function
	.section	.AMDGPU.csdata,"",@progbits
; Kernel info:
; codeLenInByte = 0
; NumSgprs: 0
; NumVgprs: 0
; ScratchSize: 0
; MemoryBound: 0
; FloatMode: 240
; IeeeMode: 1
; LDSByteSize: 0 bytes/workgroup (compile time only)
; SGPRBlocks: 0
; VGPRBlocks: 0
; NumSGPRsForWavesPerEU: 1
; NumVGPRsForWavesPerEU: 1
; Occupancy: 16
; WaveLimiterHint : 0
; COMPUTE_PGM_RSRC2:SCRATCH_EN: 0
; COMPUTE_PGM_RSRC2:USER_SGPR: 15
; COMPUTE_PGM_RSRC2:TRAP_HANDLER: 0
; COMPUTE_PGM_RSRC2:TGID_X_EN: 1
; COMPUTE_PGM_RSRC2:TGID_Y_EN: 0
; COMPUTE_PGM_RSRC2:TGID_Z_EN: 0
; COMPUTE_PGM_RSRC2:TIDIG_COMP_CNT: 0
	.section	.text._ZN7rocprim17ROCPRIM_400000_NS6detail17trampoline_kernelINS0_14default_configENS1_29reduce_by_key_config_selectorIxxN6thrust23THRUST_200600_302600_NS4plusIxEEEEZZNS1_33reduce_by_key_impl_wrapped_configILNS1_25lookback_scan_determinismE0ES3_S9_NS6_6detail15normal_iteratorINS6_10device_ptrIxEEEESG_SG_SG_PmS8_22is_equal_div_10_reduceIxEEE10hipError_tPvRmT2_T3_mT4_T5_T6_T7_T8_P12ihipStream_tbENKUlT_T0_E_clISt17integral_constantIbLb0EES10_IbLb1EEEEDaSW_SX_EUlSW_E_NS1_11comp_targetILNS1_3genE4ELNS1_11target_archE910ELNS1_3gpuE8ELNS1_3repE0EEENS1_30default_config_static_selectorELNS0_4arch9wavefront6targetE0EEEvT1_,"axG",@progbits,_ZN7rocprim17ROCPRIM_400000_NS6detail17trampoline_kernelINS0_14default_configENS1_29reduce_by_key_config_selectorIxxN6thrust23THRUST_200600_302600_NS4plusIxEEEEZZNS1_33reduce_by_key_impl_wrapped_configILNS1_25lookback_scan_determinismE0ES3_S9_NS6_6detail15normal_iteratorINS6_10device_ptrIxEEEESG_SG_SG_PmS8_22is_equal_div_10_reduceIxEEE10hipError_tPvRmT2_T3_mT4_T5_T6_T7_T8_P12ihipStream_tbENKUlT_T0_E_clISt17integral_constantIbLb0EES10_IbLb1EEEEDaSW_SX_EUlSW_E_NS1_11comp_targetILNS1_3genE4ELNS1_11target_archE910ELNS1_3gpuE8ELNS1_3repE0EEENS1_30default_config_static_selectorELNS0_4arch9wavefront6targetE0EEEvT1_,comdat
	.protected	_ZN7rocprim17ROCPRIM_400000_NS6detail17trampoline_kernelINS0_14default_configENS1_29reduce_by_key_config_selectorIxxN6thrust23THRUST_200600_302600_NS4plusIxEEEEZZNS1_33reduce_by_key_impl_wrapped_configILNS1_25lookback_scan_determinismE0ES3_S9_NS6_6detail15normal_iteratorINS6_10device_ptrIxEEEESG_SG_SG_PmS8_22is_equal_div_10_reduceIxEEE10hipError_tPvRmT2_T3_mT4_T5_T6_T7_T8_P12ihipStream_tbENKUlT_T0_E_clISt17integral_constantIbLb0EES10_IbLb1EEEEDaSW_SX_EUlSW_E_NS1_11comp_targetILNS1_3genE4ELNS1_11target_archE910ELNS1_3gpuE8ELNS1_3repE0EEENS1_30default_config_static_selectorELNS0_4arch9wavefront6targetE0EEEvT1_ ; -- Begin function _ZN7rocprim17ROCPRIM_400000_NS6detail17trampoline_kernelINS0_14default_configENS1_29reduce_by_key_config_selectorIxxN6thrust23THRUST_200600_302600_NS4plusIxEEEEZZNS1_33reduce_by_key_impl_wrapped_configILNS1_25lookback_scan_determinismE0ES3_S9_NS6_6detail15normal_iteratorINS6_10device_ptrIxEEEESG_SG_SG_PmS8_22is_equal_div_10_reduceIxEEE10hipError_tPvRmT2_T3_mT4_T5_T6_T7_T8_P12ihipStream_tbENKUlT_T0_E_clISt17integral_constantIbLb0EES10_IbLb1EEEEDaSW_SX_EUlSW_E_NS1_11comp_targetILNS1_3genE4ELNS1_11target_archE910ELNS1_3gpuE8ELNS1_3repE0EEENS1_30default_config_static_selectorELNS0_4arch9wavefront6targetE0EEEvT1_
	.globl	_ZN7rocprim17ROCPRIM_400000_NS6detail17trampoline_kernelINS0_14default_configENS1_29reduce_by_key_config_selectorIxxN6thrust23THRUST_200600_302600_NS4plusIxEEEEZZNS1_33reduce_by_key_impl_wrapped_configILNS1_25lookback_scan_determinismE0ES3_S9_NS6_6detail15normal_iteratorINS6_10device_ptrIxEEEESG_SG_SG_PmS8_22is_equal_div_10_reduceIxEEE10hipError_tPvRmT2_T3_mT4_T5_T6_T7_T8_P12ihipStream_tbENKUlT_T0_E_clISt17integral_constantIbLb0EES10_IbLb1EEEEDaSW_SX_EUlSW_E_NS1_11comp_targetILNS1_3genE4ELNS1_11target_archE910ELNS1_3gpuE8ELNS1_3repE0EEENS1_30default_config_static_selectorELNS0_4arch9wavefront6targetE0EEEvT1_
	.p2align	8
	.type	_ZN7rocprim17ROCPRIM_400000_NS6detail17trampoline_kernelINS0_14default_configENS1_29reduce_by_key_config_selectorIxxN6thrust23THRUST_200600_302600_NS4plusIxEEEEZZNS1_33reduce_by_key_impl_wrapped_configILNS1_25lookback_scan_determinismE0ES3_S9_NS6_6detail15normal_iteratorINS6_10device_ptrIxEEEESG_SG_SG_PmS8_22is_equal_div_10_reduceIxEEE10hipError_tPvRmT2_T3_mT4_T5_T6_T7_T8_P12ihipStream_tbENKUlT_T0_E_clISt17integral_constantIbLb0EES10_IbLb1EEEEDaSW_SX_EUlSW_E_NS1_11comp_targetILNS1_3genE4ELNS1_11target_archE910ELNS1_3gpuE8ELNS1_3repE0EEENS1_30default_config_static_selectorELNS0_4arch9wavefront6targetE0EEEvT1_,@function
_ZN7rocprim17ROCPRIM_400000_NS6detail17trampoline_kernelINS0_14default_configENS1_29reduce_by_key_config_selectorIxxN6thrust23THRUST_200600_302600_NS4plusIxEEEEZZNS1_33reduce_by_key_impl_wrapped_configILNS1_25lookback_scan_determinismE0ES3_S9_NS6_6detail15normal_iteratorINS6_10device_ptrIxEEEESG_SG_SG_PmS8_22is_equal_div_10_reduceIxEEE10hipError_tPvRmT2_T3_mT4_T5_T6_T7_T8_P12ihipStream_tbENKUlT_T0_E_clISt17integral_constantIbLb0EES10_IbLb1EEEEDaSW_SX_EUlSW_E_NS1_11comp_targetILNS1_3genE4ELNS1_11target_archE910ELNS1_3gpuE8ELNS1_3repE0EEENS1_30default_config_static_selectorELNS0_4arch9wavefront6targetE0EEEvT1_: ; @_ZN7rocprim17ROCPRIM_400000_NS6detail17trampoline_kernelINS0_14default_configENS1_29reduce_by_key_config_selectorIxxN6thrust23THRUST_200600_302600_NS4plusIxEEEEZZNS1_33reduce_by_key_impl_wrapped_configILNS1_25lookback_scan_determinismE0ES3_S9_NS6_6detail15normal_iteratorINS6_10device_ptrIxEEEESG_SG_SG_PmS8_22is_equal_div_10_reduceIxEEE10hipError_tPvRmT2_T3_mT4_T5_T6_T7_T8_P12ihipStream_tbENKUlT_T0_E_clISt17integral_constantIbLb0EES10_IbLb1EEEEDaSW_SX_EUlSW_E_NS1_11comp_targetILNS1_3genE4ELNS1_11target_archE910ELNS1_3gpuE8ELNS1_3repE0EEENS1_30default_config_static_selectorELNS0_4arch9wavefront6targetE0EEEvT1_
; %bb.0:
	.section	.rodata,"a",@progbits
	.p2align	6, 0x0
	.amdhsa_kernel _ZN7rocprim17ROCPRIM_400000_NS6detail17trampoline_kernelINS0_14default_configENS1_29reduce_by_key_config_selectorIxxN6thrust23THRUST_200600_302600_NS4plusIxEEEEZZNS1_33reduce_by_key_impl_wrapped_configILNS1_25lookback_scan_determinismE0ES3_S9_NS6_6detail15normal_iteratorINS6_10device_ptrIxEEEESG_SG_SG_PmS8_22is_equal_div_10_reduceIxEEE10hipError_tPvRmT2_T3_mT4_T5_T6_T7_T8_P12ihipStream_tbENKUlT_T0_E_clISt17integral_constantIbLb0EES10_IbLb1EEEEDaSW_SX_EUlSW_E_NS1_11comp_targetILNS1_3genE4ELNS1_11target_archE910ELNS1_3gpuE8ELNS1_3repE0EEENS1_30default_config_static_selectorELNS0_4arch9wavefront6targetE0EEEvT1_
		.amdhsa_group_segment_fixed_size 0
		.amdhsa_private_segment_fixed_size 0
		.amdhsa_kernarg_size 136
		.amdhsa_user_sgpr_count 15
		.amdhsa_user_sgpr_dispatch_ptr 0
		.amdhsa_user_sgpr_queue_ptr 0
		.amdhsa_user_sgpr_kernarg_segment_ptr 1
		.amdhsa_user_sgpr_dispatch_id 0
		.amdhsa_user_sgpr_private_segment_size 0
		.amdhsa_wavefront_size32 1
		.amdhsa_uses_dynamic_stack 0
		.amdhsa_enable_private_segment 0
		.amdhsa_system_sgpr_workgroup_id_x 1
		.amdhsa_system_sgpr_workgroup_id_y 0
		.amdhsa_system_sgpr_workgroup_id_z 0
		.amdhsa_system_sgpr_workgroup_info 0
		.amdhsa_system_vgpr_workitem_id 0
		.amdhsa_next_free_vgpr 1
		.amdhsa_next_free_sgpr 1
		.amdhsa_reserve_vcc 0
		.amdhsa_float_round_mode_32 0
		.amdhsa_float_round_mode_16_64 0
		.amdhsa_float_denorm_mode_32 3
		.amdhsa_float_denorm_mode_16_64 3
		.amdhsa_dx10_clamp 1
		.amdhsa_ieee_mode 1
		.amdhsa_fp16_overflow 0
		.amdhsa_workgroup_processor_mode 1
		.amdhsa_memory_ordered 1
		.amdhsa_forward_progress 0
		.amdhsa_shared_vgpr_count 0
		.amdhsa_exception_fp_ieee_invalid_op 0
		.amdhsa_exception_fp_denorm_src 0
		.amdhsa_exception_fp_ieee_div_zero 0
		.amdhsa_exception_fp_ieee_overflow 0
		.amdhsa_exception_fp_ieee_underflow 0
		.amdhsa_exception_fp_ieee_inexact 0
		.amdhsa_exception_int_div_zero 0
	.end_amdhsa_kernel
	.section	.text._ZN7rocprim17ROCPRIM_400000_NS6detail17trampoline_kernelINS0_14default_configENS1_29reduce_by_key_config_selectorIxxN6thrust23THRUST_200600_302600_NS4plusIxEEEEZZNS1_33reduce_by_key_impl_wrapped_configILNS1_25lookback_scan_determinismE0ES3_S9_NS6_6detail15normal_iteratorINS6_10device_ptrIxEEEESG_SG_SG_PmS8_22is_equal_div_10_reduceIxEEE10hipError_tPvRmT2_T3_mT4_T5_T6_T7_T8_P12ihipStream_tbENKUlT_T0_E_clISt17integral_constantIbLb0EES10_IbLb1EEEEDaSW_SX_EUlSW_E_NS1_11comp_targetILNS1_3genE4ELNS1_11target_archE910ELNS1_3gpuE8ELNS1_3repE0EEENS1_30default_config_static_selectorELNS0_4arch9wavefront6targetE0EEEvT1_,"axG",@progbits,_ZN7rocprim17ROCPRIM_400000_NS6detail17trampoline_kernelINS0_14default_configENS1_29reduce_by_key_config_selectorIxxN6thrust23THRUST_200600_302600_NS4plusIxEEEEZZNS1_33reduce_by_key_impl_wrapped_configILNS1_25lookback_scan_determinismE0ES3_S9_NS6_6detail15normal_iteratorINS6_10device_ptrIxEEEESG_SG_SG_PmS8_22is_equal_div_10_reduceIxEEE10hipError_tPvRmT2_T3_mT4_T5_T6_T7_T8_P12ihipStream_tbENKUlT_T0_E_clISt17integral_constantIbLb0EES10_IbLb1EEEEDaSW_SX_EUlSW_E_NS1_11comp_targetILNS1_3genE4ELNS1_11target_archE910ELNS1_3gpuE8ELNS1_3repE0EEENS1_30default_config_static_selectorELNS0_4arch9wavefront6targetE0EEEvT1_,comdat
.Lfunc_end537:
	.size	_ZN7rocprim17ROCPRIM_400000_NS6detail17trampoline_kernelINS0_14default_configENS1_29reduce_by_key_config_selectorIxxN6thrust23THRUST_200600_302600_NS4plusIxEEEEZZNS1_33reduce_by_key_impl_wrapped_configILNS1_25lookback_scan_determinismE0ES3_S9_NS6_6detail15normal_iteratorINS6_10device_ptrIxEEEESG_SG_SG_PmS8_22is_equal_div_10_reduceIxEEE10hipError_tPvRmT2_T3_mT4_T5_T6_T7_T8_P12ihipStream_tbENKUlT_T0_E_clISt17integral_constantIbLb0EES10_IbLb1EEEEDaSW_SX_EUlSW_E_NS1_11comp_targetILNS1_3genE4ELNS1_11target_archE910ELNS1_3gpuE8ELNS1_3repE0EEENS1_30default_config_static_selectorELNS0_4arch9wavefront6targetE0EEEvT1_, .Lfunc_end537-_ZN7rocprim17ROCPRIM_400000_NS6detail17trampoline_kernelINS0_14default_configENS1_29reduce_by_key_config_selectorIxxN6thrust23THRUST_200600_302600_NS4plusIxEEEEZZNS1_33reduce_by_key_impl_wrapped_configILNS1_25lookback_scan_determinismE0ES3_S9_NS6_6detail15normal_iteratorINS6_10device_ptrIxEEEESG_SG_SG_PmS8_22is_equal_div_10_reduceIxEEE10hipError_tPvRmT2_T3_mT4_T5_T6_T7_T8_P12ihipStream_tbENKUlT_T0_E_clISt17integral_constantIbLb0EES10_IbLb1EEEEDaSW_SX_EUlSW_E_NS1_11comp_targetILNS1_3genE4ELNS1_11target_archE910ELNS1_3gpuE8ELNS1_3repE0EEENS1_30default_config_static_selectorELNS0_4arch9wavefront6targetE0EEEvT1_
                                        ; -- End function
	.section	.AMDGPU.csdata,"",@progbits
; Kernel info:
; codeLenInByte = 0
; NumSgprs: 0
; NumVgprs: 0
; ScratchSize: 0
; MemoryBound: 0
; FloatMode: 240
; IeeeMode: 1
; LDSByteSize: 0 bytes/workgroup (compile time only)
; SGPRBlocks: 0
; VGPRBlocks: 0
; NumSGPRsForWavesPerEU: 1
; NumVGPRsForWavesPerEU: 1
; Occupancy: 16
; WaveLimiterHint : 0
; COMPUTE_PGM_RSRC2:SCRATCH_EN: 0
; COMPUTE_PGM_RSRC2:USER_SGPR: 15
; COMPUTE_PGM_RSRC2:TRAP_HANDLER: 0
; COMPUTE_PGM_RSRC2:TGID_X_EN: 1
; COMPUTE_PGM_RSRC2:TGID_Y_EN: 0
; COMPUTE_PGM_RSRC2:TGID_Z_EN: 0
; COMPUTE_PGM_RSRC2:TIDIG_COMP_CNT: 0
	.section	.text._ZN7rocprim17ROCPRIM_400000_NS6detail17trampoline_kernelINS0_14default_configENS1_29reduce_by_key_config_selectorIxxN6thrust23THRUST_200600_302600_NS4plusIxEEEEZZNS1_33reduce_by_key_impl_wrapped_configILNS1_25lookback_scan_determinismE0ES3_S9_NS6_6detail15normal_iteratorINS6_10device_ptrIxEEEESG_SG_SG_PmS8_22is_equal_div_10_reduceIxEEE10hipError_tPvRmT2_T3_mT4_T5_T6_T7_T8_P12ihipStream_tbENKUlT_T0_E_clISt17integral_constantIbLb0EES10_IbLb1EEEEDaSW_SX_EUlSW_E_NS1_11comp_targetILNS1_3genE3ELNS1_11target_archE908ELNS1_3gpuE7ELNS1_3repE0EEENS1_30default_config_static_selectorELNS0_4arch9wavefront6targetE0EEEvT1_,"axG",@progbits,_ZN7rocprim17ROCPRIM_400000_NS6detail17trampoline_kernelINS0_14default_configENS1_29reduce_by_key_config_selectorIxxN6thrust23THRUST_200600_302600_NS4plusIxEEEEZZNS1_33reduce_by_key_impl_wrapped_configILNS1_25lookback_scan_determinismE0ES3_S9_NS6_6detail15normal_iteratorINS6_10device_ptrIxEEEESG_SG_SG_PmS8_22is_equal_div_10_reduceIxEEE10hipError_tPvRmT2_T3_mT4_T5_T6_T7_T8_P12ihipStream_tbENKUlT_T0_E_clISt17integral_constantIbLb0EES10_IbLb1EEEEDaSW_SX_EUlSW_E_NS1_11comp_targetILNS1_3genE3ELNS1_11target_archE908ELNS1_3gpuE7ELNS1_3repE0EEENS1_30default_config_static_selectorELNS0_4arch9wavefront6targetE0EEEvT1_,comdat
	.protected	_ZN7rocprim17ROCPRIM_400000_NS6detail17trampoline_kernelINS0_14default_configENS1_29reduce_by_key_config_selectorIxxN6thrust23THRUST_200600_302600_NS4plusIxEEEEZZNS1_33reduce_by_key_impl_wrapped_configILNS1_25lookback_scan_determinismE0ES3_S9_NS6_6detail15normal_iteratorINS6_10device_ptrIxEEEESG_SG_SG_PmS8_22is_equal_div_10_reduceIxEEE10hipError_tPvRmT2_T3_mT4_T5_T6_T7_T8_P12ihipStream_tbENKUlT_T0_E_clISt17integral_constantIbLb0EES10_IbLb1EEEEDaSW_SX_EUlSW_E_NS1_11comp_targetILNS1_3genE3ELNS1_11target_archE908ELNS1_3gpuE7ELNS1_3repE0EEENS1_30default_config_static_selectorELNS0_4arch9wavefront6targetE0EEEvT1_ ; -- Begin function _ZN7rocprim17ROCPRIM_400000_NS6detail17trampoline_kernelINS0_14default_configENS1_29reduce_by_key_config_selectorIxxN6thrust23THRUST_200600_302600_NS4plusIxEEEEZZNS1_33reduce_by_key_impl_wrapped_configILNS1_25lookback_scan_determinismE0ES3_S9_NS6_6detail15normal_iteratorINS6_10device_ptrIxEEEESG_SG_SG_PmS8_22is_equal_div_10_reduceIxEEE10hipError_tPvRmT2_T3_mT4_T5_T6_T7_T8_P12ihipStream_tbENKUlT_T0_E_clISt17integral_constantIbLb0EES10_IbLb1EEEEDaSW_SX_EUlSW_E_NS1_11comp_targetILNS1_3genE3ELNS1_11target_archE908ELNS1_3gpuE7ELNS1_3repE0EEENS1_30default_config_static_selectorELNS0_4arch9wavefront6targetE0EEEvT1_
	.globl	_ZN7rocprim17ROCPRIM_400000_NS6detail17trampoline_kernelINS0_14default_configENS1_29reduce_by_key_config_selectorIxxN6thrust23THRUST_200600_302600_NS4plusIxEEEEZZNS1_33reduce_by_key_impl_wrapped_configILNS1_25lookback_scan_determinismE0ES3_S9_NS6_6detail15normal_iteratorINS6_10device_ptrIxEEEESG_SG_SG_PmS8_22is_equal_div_10_reduceIxEEE10hipError_tPvRmT2_T3_mT4_T5_T6_T7_T8_P12ihipStream_tbENKUlT_T0_E_clISt17integral_constantIbLb0EES10_IbLb1EEEEDaSW_SX_EUlSW_E_NS1_11comp_targetILNS1_3genE3ELNS1_11target_archE908ELNS1_3gpuE7ELNS1_3repE0EEENS1_30default_config_static_selectorELNS0_4arch9wavefront6targetE0EEEvT1_
	.p2align	8
	.type	_ZN7rocprim17ROCPRIM_400000_NS6detail17trampoline_kernelINS0_14default_configENS1_29reduce_by_key_config_selectorIxxN6thrust23THRUST_200600_302600_NS4plusIxEEEEZZNS1_33reduce_by_key_impl_wrapped_configILNS1_25lookback_scan_determinismE0ES3_S9_NS6_6detail15normal_iteratorINS6_10device_ptrIxEEEESG_SG_SG_PmS8_22is_equal_div_10_reduceIxEEE10hipError_tPvRmT2_T3_mT4_T5_T6_T7_T8_P12ihipStream_tbENKUlT_T0_E_clISt17integral_constantIbLb0EES10_IbLb1EEEEDaSW_SX_EUlSW_E_NS1_11comp_targetILNS1_3genE3ELNS1_11target_archE908ELNS1_3gpuE7ELNS1_3repE0EEENS1_30default_config_static_selectorELNS0_4arch9wavefront6targetE0EEEvT1_,@function
_ZN7rocprim17ROCPRIM_400000_NS6detail17trampoline_kernelINS0_14default_configENS1_29reduce_by_key_config_selectorIxxN6thrust23THRUST_200600_302600_NS4plusIxEEEEZZNS1_33reduce_by_key_impl_wrapped_configILNS1_25lookback_scan_determinismE0ES3_S9_NS6_6detail15normal_iteratorINS6_10device_ptrIxEEEESG_SG_SG_PmS8_22is_equal_div_10_reduceIxEEE10hipError_tPvRmT2_T3_mT4_T5_T6_T7_T8_P12ihipStream_tbENKUlT_T0_E_clISt17integral_constantIbLb0EES10_IbLb1EEEEDaSW_SX_EUlSW_E_NS1_11comp_targetILNS1_3genE3ELNS1_11target_archE908ELNS1_3gpuE7ELNS1_3repE0EEENS1_30default_config_static_selectorELNS0_4arch9wavefront6targetE0EEEvT1_: ; @_ZN7rocprim17ROCPRIM_400000_NS6detail17trampoline_kernelINS0_14default_configENS1_29reduce_by_key_config_selectorIxxN6thrust23THRUST_200600_302600_NS4plusIxEEEEZZNS1_33reduce_by_key_impl_wrapped_configILNS1_25lookback_scan_determinismE0ES3_S9_NS6_6detail15normal_iteratorINS6_10device_ptrIxEEEESG_SG_SG_PmS8_22is_equal_div_10_reduceIxEEE10hipError_tPvRmT2_T3_mT4_T5_T6_T7_T8_P12ihipStream_tbENKUlT_T0_E_clISt17integral_constantIbLb0EES10_IbLb1EEEEDaSW_SX_EUlSW_E_NS1_11comp_targetILNS1_3genE3ELNS1_11target_archE908ELNS1_3gpuE7ELNS1_3repE0EEENS1_30default_config_static_selectorELNS0_4arch9wavefront6targetE0EEEvT1_
; %bb.0:
	.section	.rodata,"a",@progbits
	.p2align	6, 0x0
	.amdhsa_kernel _ZN7rocprim17ROCPRIM_400000_NS6detail17trampoline_kernelINS0_14default_configENS1_29reduce_by_key_config_selectorIxxN6thrust23THRUST_200600_302600_NS4plusIxEEEEZZNS1_33reduce_by_key_impl_wrapped_configILNS1_25lookback_scan_determinismE0ES3_S9_NS6_6detail15normal_iteratorINS6_10device_ptrIxEEEESG_SG_SG_PmS8_22is_equal_div_10_reduceIxEEE10hipError_tPvRmT2_T3_mT4_T5_T6_T7_T8_P12ihipStream_tbENKUlT_T0_E_clISt17integral_constantIbLb0EES10_IbLb1EEEEDaSW_SX_EUlSW_E_NS1_11comp_targetILNS1_3genE3ELNS1_11target_archE908ELNS1_3gpuE7ELNS1_3repE0EEENS1_30default_config_static_selectorELNS0_4arch9wavefront6targetE0EEEvT1_
		.amdhsa_group_segment_fixed_size 0
		.amdhsa_private_segment_fixed_size 0
		.amdhsa_kernarg_size 136
		.amdhsa_user_sgpr_count 15
		.amdhsa_user_sgpr_dispatch_ptr 0
		.amdhsa_user_sgpr_queue_ptr 0
		.amdhsa_user_sgpr_kernarg_segment_ptr 1
		.amdhsa_user_sgpr_dispatch_id 0
		.amdhsa_user_sgpr_private_segment_size 0
		.amdhsa_wavefront_size32 1
		.amdhsa_uses_dynamic_stack 0
		.amdhsa_enable_private_segment 0
		.amdhsa_system_sgpr_workgroup_id_x 1
		.amdhsa_system_sgpr_workgroup_id_y 0
		.amdhsa_system_sgpr_workgroup_id_z 0
		.amdhsa_system_sgpr_workgroup_info 0
		.amdhsa_system_vgpr_workitem_id 0
		.amdhsa_next_free_vgpr 1
		.amdhsa_next_free_sgpr 1
		.amdhsa_reserve_vcc 0
		.amdhsa_float_round_mode_32 0
		.amdhsa_float_round_mode_16_64 0
		.amdhsa_float_denorm_mode_32 3
		.amdhsa_float_denorm_mode_16_64 3
		.amdhsa_dx10_clamp 1
		.amdhsa_ieee_mode 1
		.amdhsa_fp16_overflow 0
		.amdhsa_workgroup_processor_mode 1
		.amdhsa_memory_ordered 1
		.amdhsa_forward_progress 0
		.amdhsa_shared_vgpr_count 0
		.amdhsa_exception_fp_ieee_invalid_op 0
		.amdhsa_exception_fp_denorm_src 0
		.amdhsa_exception_fp_ieee_div_zero 0
		.amdhsa_exception_fp_ieee_overflow 0
		.amdhsa_exception_fp_ieee_underflow 0
		.amdhsa_exception_fp_ieee_inexact 0
		.amdhsa_exception_int_div_zero 0
	.end_amdhsa_kernel
	.section	.text._ZN7rocprim17ROCPRIM_400000_NS6detail17trampoline_kernelINS0_14default_configENS1_29reduce_by_key_config_selectorIxxN6thrust23THRUST_200600_302600_NS4plusIxEEEEZZNS1_33reduce_by_key_impl_wrapped_configILNS1_25lookback_scan_determinismE0ES3_S9_NS6_6detail15normal_iteratorINS6_10device_ptrIxEEEESG_SG_SG_PmS8_22is_equal_div_10_reduceIxEEE10hipError_tPvRmT2_T3_mT4_T5_T6_T7_T8_P12ihipStream_tbENKUlT_T0_E_clISt17integral_constantIbLb0EES10_IbLb1EEEEDaSW_SX_EUlSW_E_NS1_11comp_targetILNS1_3genE3ELNS1_11target_archE908ELNS1_3gpuE7ELNS1_3repE0EEENS1_30default_config_static_selectorELNS0_4arch9wavefront6targetE0EEEvT1_,"axG",@progbits,_ZN7rocprim17ROCPRIM_400000_NS6detail17trampoline_kernelINS0_14default_configENS1_29reduce_by_key_config_selectorIxxN6thrust23THRUST_200600_302600_NS4plusIxEEEEZZNS1_33reduce_by_key_impl_wrapped_configILNS1_25lookback_scan_determinismE0ES3_S9_NS6_6detail15normal_iteratorINS6_10device_ptrIxEEEESG_SG_SG_PmS8_22is_equal_div_10_reduceIxEEE10hipError_tPvRmT2_T3_mT4_T5_T6_T7_T8_P12ihipStream_tbENKUlT_T0_E_clISt17integral_constantIbLb0EES10_IbLb1EEEEDaSW_SX_EUlSW_E_NS1_11comp_targetILNS1_3genE3ELNS1_11target_archE908ELNS1_3gpuE7ELNS1_3repE0EEENS1_30default_config_static_selectorELNS0_4arch9wavefront6targetE0EEEvT1_,comdat
.Lfunc_end538:
	.size	_ZN7rocprim17ROCPRIM_400000_NS6detail17trampoline_kernelINS0_14default_configENS1_29reduce_by_key_config_selectorIxxN6thrust23THRUST_200600_302600_NS4plusIxEEEEZZNS1_33reduce_by_key_impl_wrapped_configILNS1_25lookback_scan_determinismE0ES3_S9_NS6_6detail15normal_iteratorINS6_10device_ptrIxEEEESG_SG_SG_PmS8_22is_equal_div_10_reduceIxEEE10hipError_tPvRmT2_T3_mT4_T5_T6_T7_T8_P12ihipStream_tbENKUlT_T0_E_clISt17integral_constantIbLb0EES10_IbLb1EEEEDaSW_SX_EUlSW_E_NS1_11comp_targetILNS1_3genE3ELNS1_11target_archE908ELNS1_3gpuE7ELNS1_3repE0EEENS1_30default_config_static_selectorELNS0_4arch9wavefront6targetE0EEEvT1_, .Lfunc_end538-_ZN7rocprim17ROCPRIM_400000_NS6detail17trampoline_kernelINS0_14default_configENS1_29reduce_by_key_config_selectorIxxN6thrust23THRUST_200600_302600_NS4plusIxEEEEZZNS1_33reduce_by_key_impl_wrapped_configILNS1_25lookback_scan_determinismE0ES3_S9_NS6_6detail15normal_iteratorINS6_10device_ptrIxEEEESG_SG_SG_PmS8_22is_equal_div_10_reduceIxEEE10hipError_tPvRmT2_T3_mT4_T5_T6_T7_T8_P12ihipStream_tbENKUlT_T0_E_clISt17integral_constantIbLb0EES10_IbLb1EEEEDaSW_SX_EUlSW_E_NS1_11comp_targetILNS1_3genE3ELNS1_11target_archE908ELNS1_3gpuE7ELNS1_3repE0EEENS1_30default_config_static_selectorELNS0_4arch9wavefront6targetE0EEEvT1_
                                        ; -- End function
	.section	.AMDGPU.csdata,"",@progbits
; Kernel info:
; codeLenInByte = 0
; NumSgprs: 0
; NumVgprs: 0
; ScratchSize: 0
; MemoryBound: 0
; FloatMode: 240
; IeeeMode: 1
; LDSByteSize: 0 bytes/workgroup (compile time only)
; SGPRBlocks: 0
; VGPRBlocks: 0
; NumSGPRsForWavesPerEU: 1
; NumVGPRsForWavesPerEU: 1
; Occupancy: 16
; WaveLimiterHint : 0
; COMPUTE_PGM_RSRC2:SCRATCH_EN: 0
; COMPUTE_PGM_RSRC2:USER_SGPR: 15
; COMPUTE_PGM_RSRC2:TRAP_HANDLER: 0
; COMPUTE_PGM_RSRC2:TGID_X_EN: 1
; COMPUTE_PGM_RSRC2:TGID_Y_EN: 0
; COMPUTE_PGM_RSRC2:TGID_Z_EN: 0
; COMPUTE_PGM_RSRC2:TIDIG_COMP_CNT: 0
	.section	.text._ZN7rocprim17ROCPRIM_400000_NS6detail17trampoline_kernelINS0_14default_configENS1_29reduce_by_key_config_selectorIxxN6thrust23THRUST_200600_302600_NS4plusIxEEEEZZNS1_33reduce_by_key_impl_wrapped_configILNS1_25lookback_scan_determinismE0ES3_S9_NS6_6detail15normal_iteratorINS6_10device_ptrIxEEEESG_SG_SG_PmS8_22is_equal_div_10_reduceIxEEE10hipError_tPvRmT2_T3_mT4_T5_T6_T7_T8_P12ihipStream_tbENKUlT_T0_E_clISt17integral_constantIbLb0EES10_IbLb1EEEEDaSW_SX_EUlSW_E_NS1_11comp_targetILNS1_3genE2ELNS1_11target_archE906ELNS1_3gpuE6ELNS1_3repE0EEENS1_30default_config_static_selectorELNS0_4arch9wavefront6targetE0EEEvT1_,"axG",@progbits,_ZN7rocprim17ROCPRIM_400000_NS6detail17trampoline_kernelINS0_14default_configENS1_29reduce_by_key_config_selectorIxxN6thrust23THRUST_200600_302600_NS4plusIxEEEEZZNS1_33reduce_by_key_impl_wrapped_configILNS1_25lookback_scan_determinismE0ES3_S9_NS6_6detail15normal_iteratorINS6_10device_ptrIxEEEESG_SG_SG_PmS8_22is_equal_div_10_reduceIxEEE10hipError_tPvRmT2_T3_mT4_T5_T6_T7_T8_P12ihipStream_tbENKUlT_T0_E_clISt17integral_constantIbLb0EES10_IbLb1EEEEDaSW_SX_EUlSW_E_NS1_11comp_targetILNS1_3genE2ELNS1_11target_archE906ELNS1_3gpuE6ELNS1_3repE0EEENS1_30default_config_static_selectorELNS0_4arch9wavefront6targetE0EEEvT1_,comdat
	.protected	_ZN7rocprim17ROCPRIM_400000_NS6detail17trampoline_kernelINS0_14default_configENS1_29reduce_by_key_config_selectorIxxN6thrust23THRUST_200600_302600_NS4plusIxEEEEZZNS1_33reduce_by_key_impl_wrapped_configILNS1_25lookback_scan_determinismE0ES3_S9_NS6_6detail15normal_iteratorINS6_10device_ptrIxEEEESG_SG_SG_PmS8_22is_equal_div_10_reduceIxEEE10hipError_tPvRmT2_T3_mT4_T5_T6_T7_T8_P12ihipStream_tbENKUlT_T0_E_clISt17integral_constantIbLb0EES10_IbLb1EEEEDaSW_SX_EUlSW_E_NS1_11comp_targetILNS1_3genE2ELNS1_11target_archE906ELNS1_3gpuE6ELNS1_3repE0EEENS1_30default_config_static_selectorELNS0_4arch9wavefront6targetE0EEEvT1_ ; -- Begin function _ZN7rocprim17ROCPRIM_400000_NS6detail17trampoline_kernelINS0_14default_configENS1_29reduce_by_key_config_selectorIxxN6thrust23THRUST_200600_302600_NS4plusIxEEEEZZNS1_33reduce_by_key_impl_wrapped_configILNS1_25lookback_scan_determinismE0ES3_S9_NS6_6detail15normal_iteratorINS6_10device_ptrIxEEEESG_SG_SG_PmS8_22is_equal_div_10_reduceIxEEE10hipError_tPvRmT2_T3_mT4_T5_T6_T7_T8_P12ihipStream_tbENKUlT_T0_E_clISt17integral_constantIbLb0EES10_IbLb1EEEEDaSW_SX_EUlSW_E_NS1_11comp_targetILNS1_3genE2ELNS1_11target_archE906ELNS1_3gpuE6ELNS1_3repE0EEENS1_30default_config_static_selectorELNS0_4arch9wavefront6targetE0EEEvT1_
	.globl	_ZN7rocprim17ROCPRIM_400000_NS6detail17trampoline_kernelINS0_14default_configENS1_29reduce_by_key_config_selectorIxxN6thrust23THRUST_200600_302600_NS4plusIxEEEEZZNS1_33reduce_by_key_impl_wrapped_configILNS1_25lookback_scan_determinismE0ES3_S9_NS6_6detail15normal_iteratorINS6_10device_ptrIxEEEESG_SG_SG_PmS8_22is_equal_div_10_reduceIxEEE10hipError_tPvRmT2_T3_mT4_T5_T6_T7_T8_P12ihipStream_tbENKUlT_T0_E_clISt17integral_constantIbLb0EES10_IbLb1EEEEDaSW_SX_EUlSW_E_NS1_11comp_targetILNS1_3genE2ELNS1_11target_archE906ELNS1_3gpuE6ELNS1_3repE0EEENS1_30default_config_static_selectorELNS0_4arch9wavefront6targetE0EEEvT1_
	.p2align	8
	.type	_ZN7rocprim17ROCPRIM_400000_NS6detail17trampoline_kernelINS0_14default_configENS1_29reduce_by_key_config_selectorIxxN6thrust23THRUST_200600_302600_NS4plusIxEEEEZZNS1_33reduce_by_key_impl_wrapped_configILNS1_25lookback_scan_determinismE0ES3_S9_NS6_6detail15normal_iteratorINS6_10device_ptrIxEEEESG_SG_SG_PmS8_22is_equal_div_10_reduceIxEEE10hipError_tPvRmT2_T3_mT4_T5_T6_T7_T8_P12ihipStream_tbENKUlT_T0_E_clISt17integral_constantIbLb0EES10_IbLb1EEEEDaSW_SX_EUlSW_E_NS1_11comp_targetILNS1_3genE2ELNS1_11target_archE906ELNS1_3gpuE6ELNS1_3repE0EEENS1_30default_config_static_selectorELNS0_4arch9wavefront6targetE0EEEvT1_,@function
_ZN7rocprim17ROCPRIM_400000_NS6detail17trampoline_kernelINS0_14default_configENS1_29reduce_by_key_config_selectorIxxN6thrust23THRUST_200600_302600_NS4plusIxEEEEZZNS1_33reduce_by_key_impl_wrapped_configILNS1_25lookback_scan_determinismE0ES3_S9_NS6_6detail15normal_iteratorINS6_10device_ptrIxEEEESG_SG_SG_PmS8_22is_equal_div_10_reduceIxEEE10hipError_tPvRmT2_T3_mT4_T5_T6_T7_T8_P12ihipStream_tbENKUlT_T0_E_clISt17integral_constantIbLb0EES10_IbLb1EEEEDaSW_SX_EUlSW_E_NS1_11comp_targetILNS1_3genE2ELNS1_11target_archE906ELNS1_3gpuE6ELNS1_3repE0EEENS1_30default_config_static_selectorELNS0_4arch9wavefront6targetE0EEEvT1_: ; @_ZN7rocprim17ROCPRIM_400000_NS6detail17trampoline_kernelINS0_14default_configENS1_29reduce_by_key_config_selectorIxxN6thrust23THRUST_200600_302600_NS4plusIxEEEEZZNS1_33reduce_by_key_impl_wrapped_configILNS1_25lookback_scan_determinismE0ES3_S9_NS6_6detail15normal_iteratorINS6_10device_ptrIxEEEESG_SG_SG_PmS8_22is_equal_div_10_reduceIxEEE10hipError_tPvRmT2_T3_mT4_T5_T6_T7_T8_P12ihipStream_tbENKUlT_T0_E_clISt17integral_constantIbLb0EES10_IbLb1EEEEDaSW_SX_EUlSW_E_NS1_11comp_targetILNS1_3genE2ELNS1_11target_archE906ELNS1_3gpuE6ELNS1_3repE0EEENS1_30default_config_static_selectorELNS0_4arch9wavefront6targetE0EEEvT1_
; %bb.0:
	.section	.rodata,"a",@progbits
	.p2align	6, 0x0
	.amdhsa_kernel _ZN7rocprim17ROCPRIM_400000_NS6detail17trampoline_kernelINS0_14default_configENS1_29reduce_by_key_config_selectorIxxN6thrust23THRUST_200600_302600_NS4plusIxEEEEZZNS1_33reduce_by_key_impl_wrapped_configILNS1_25lookback_scan_determinismE0ES3_S9_NS6_6detail15normal_iteratorINS6_10device_ptrIxEEEESG_SG_SG_PmS8_22is_equal_div_10_reduceIxEEE10hipError_tPvRmT2_T3_mT4_T5_T6_T7_T8_P12ihipStream_tbENKUlT_T0_E_clISt17integral_constantIbLb0EES10_IbLb1EEEEDaSW_SX_EUlSW_E_NS1_11comp_targetILNS1_3genE2ELNS1_11target_archE906ELNS1_3gpuE6ELNS1_3repE0EEENS1_30default_config_static_selectorELNS0_4arch9wavefront6targetE0EEEvT1_
		.amdhsa_group_segment_fixed_size 0
		.amdhsa_private_segment_fixed_size 0
		.amdhsa_kernarg_size 136
		.amdhsa_user_sgpr_count 15
		.amdhsa_user_sgpr_dispatch_ptr 0
		.amdhsa_user_sgpr_queue_ptr 0
		.amdhsa_user_sgpr_kernarg_segment_ptr 1
		.amdhsa_user_sgpr_dispatch_id 0
		.amdhsa_user_sgpr_private_segment_size 0
		.amdhsa_wavefront_size32 1
		.amdhsa_uses_dynamic_stack 0
		.amdhsa_enable_private_segment 0
		.amdhsa_system_sgpr_workgroup_id_x 1
		.amdhsa_system_sgpr_workgroup_id_y 0
		.amdhsa_system_sgpr_workgroup_id_z 0
		.amdhsa_system_sgpr_workgroup_info 0
		.amdhsa_system_vgpr_workitem_id 0
		.amdhsa_next_free_vgpr 1
		.amdhsa_next_free_sgpr 1
		.amdhsa_reserve_vcc 0
		.amdhsa_float_round_mode_32 0
		.amdhsa_float_round_mode_16_64 0
		.amdhsa_float_denorm_mode_32 3
		.amdhsa_float_denorm_mode_16_64 3
		.amdhsa_dx10_clamp 1
		.amdhsa_ieee_mode 1
		.amdhsa_fp16_overflow 0
		.amdhsa_workgroup_processor_mode 1
		.amdhsa_memory_ordered 1
		.amdhsa_forward_progress 0
		.amdhsa_shared_vgpr_count 0
		.amdhsa_exception_fp_ieee_invalid_op 0
		.amdhsa_exception_fp_denorm_src 0
		.amdhsa_exception_fp_ieee_div_zero 0
		.amdhsa_exception_fp_ieee_overflow 0
		.amdhsa_exception_fp_ieee_underflow 0
		.amdhsa_exception_fp_ieee_inexact 0
		.amdhsa_exception_int_div_zero 0
	.end_amdhsa_kernel
	.section	.text._ZN7rocprim17ROCPRIM_400000_NS6detail17trampoline_kernelINS0_14default_configENS1_29reduce_by_key_config_selectorIxxN6thrust23THRUST_200600_302600_NS4plusIxEEEEZZNS1_33reduce_by_key_impl_wrapped_configILNS1_25lookback_scan_determinismE0ES3_S9_NS6_6detail15normal_iteratorINS6_10device_ptrIxEEEESG_SG_SG_PmS8_22is_equal_div_10_reduceIxEEE10hipError_tPvRmT2_T3_mT4_T5_T6_T7_T8_P12ihipStream_tbENKUlT_T0_E_clISt17integral_constantIbLb0EES10_IbLb1EEEEDaSW_SX_EUlSW_E_NS1_11comp_targetILNS1_3genE2ELNS1_11target_archE906ELNS1_3gpuE6ELNS1_3repE0EEENS1_30default_config_static_selectorELNS0_4arch9wavefront6targetE0EEEvT1_,"axG",@progbits,_ZN7rocprim17ROCPRIM_400000_NS6detail17trampoline_kernelINS0_14default_configENS1_29reduce_by_key_config_selectorIxxN6thrust23THRUST_200600_302600_NS4plusIxEEEEZZNS1_33reduce_by_key_impl_wrapped_configILNS1_25lookback_scan_determinismE0ES3_S9_NS6_6detail15normal_iteratorINS6_10device_ptrIxEEEESG_SG_SG_PmS8_22is_equal_div_10_reduceIxEEE10hipError_tPvRmT2_T3_mT4_T5_T6_T7_T8_P12ihipStream_tbENKUlT_T0_E_clISt17integral_constantIbLb0EES10_IbLb1EEEEDaSW_SX_EUlSW_E_NS1_11comp_targetILNS1_3genE2ELNS1_11target_archE906ELNS1_3gpuE6ELNS1_3repE0EEENS1_30default_config_static_selectorELNS0_4arch9wavefront6targetE0EEEvT1_,comdat
.Lfunc_end539:
	.size	_ZN7rocprim17ROCPRIM_400000_NS6detail17trampoline_kernelINS0_14default_configENS1_29reduce_by_key_config_selectorIxxN6thrust23THRUST_200600_302600_NS4plusIxEEEEZZNS1_33reduce_by_key_impl_wrapped_configILNS1_25lookback_scan_determinismE0ES3_S9_NS6_6detail15normal_iteratorINS6_10device_ptrIxEEEESG_SG_SG_PmS8_22is_equal_div_10_reduceIxEEE10hipError_tPvRmT2_T3_mT4_T5_T6_T7_T8_P12ihipStream_tbENKUlT_T0_E_clISt17integral_constantIbLb0EES10_IbLb1EEEEDaSW_SX_EUlSW_E_NS1_11comp_targetILNS1_3genE2ELNS1_11target_archE906ELNS1_3gpuE6ELNS1_3repE0EEENS1_30default_config_static_selectorELNS0_4arch9wavefront6targetE0EEEvT1_, .Lfunc_end539-_ZN7rocprim17ROCPRIM_400000_NS6detail17trampoline_kernelINS0_14default_configENS1_29reduce_by_key_config_selectorIxxN6thrust23THRUST_200600_302600_NS4plusIxEEEEZZNS1_33reduce_by_key_impl_wrapped_configILNS1_25lookback_scan_determinismE0ES3_S9_NS6_6detail15normal_iteratorINS6_10device_ptrIxEEEESG_SG_SG_PmS8_22is_equal_div_10_reduceIxEEE10hipError_tPvRmT2_T3_mT4_T5_T6_T7_T8_P12ihipStream_tbENKUlT_T0_E_clISt17integral_constantIbLb0EES10_IbLb1EEEEDaSW_SX_EUlSW_E_NS1_11comp_targetILNS1_3genE2ELNS1_11target_archE906ELNS1_3gpuE6ELNS1_3repE0EEENS1_30default_config_static_selectorELNS0_4arch9wavefront6targetE0EEEvT1_
                                        ; -- End function
	.section	.AMDGPU.csdata,"",@progbits
; Kernel info:
; codeLenInByte = 0
; NumSgprs: 0
; NumVgprs: 0
; ScratchSize: 0
; MemoryBound: 0
; FloatMode: 240
; IeeeMode: 1
; LDSByteSize: 0 bytes/workgroup (compile time only)
; SGPRBlocks: 0
; VGPRBlocks: 0
; NumSGPRsForWavesPerEU: 1
; NumVGPRsForWavesPerEU: 1
; Occupancy: 16
; WaveLimiterHint : 0
; COMPUTE_PGM_RSRC2:SCRATCH_EN: 0
; COMPUTE_PGM_RSRC2:USER_SGPR: 15
; COMPUTE_PGM_RSRC2:TRAP_HANDLER: 0
; COMPUTE_PGM_RSRC2:TGID_X_EN: 1
; COMPUTE_PGM_RSRC2:TGID_Y_EN: 0
; COMPUTE_PGM_RSRC2:TGID_Z_EN: 0
; COMPUTE_PGM_RSRC2:TIDIG_COMP_CNT: 0
	.section	.text._ZN7rocprim17ROCPRIM_400000_NS6detail17trampoline_kernelINS0_14default_configENS1_29reduce_by_key_config_selectorIxxN6thrust23THRUST_200600_302600_NS4plusIxEEEEZZNS1_33reduce_by_key_impl_wrapped_configILNS1_25lookback_scan_determinismE0ES3_S9_NS6_6detail15normal_iteratorINS6_10device_ptrIxEEEESG_SG_SG_PmS8_22is_equal_div_10_reduceIxEEE10hipError_tPvRmT2_T3_mT4_T5_T6_T7_T8_P12ihipStream_tbENKUlT_T0_E_clISt17integral_constantIbLb0EES10_IbLb1EEEEDaSW_SX_EUlSW_E_NS1_11comp_targetILNS1_3genE10ELNS1_11target_archE1201ELNS1_3gpuE5ELNS1_3repE0EEENS1_30default_config_static_selectorELNS0_4arch9wavefront6targetE0EEEvT1_,"axG",@progbits,_ZN7rocprim17ROCPRIM_400000_NS6detail17trampoline_kernelINS0_14default_configENS1_29reduce_by_key_config_selectorIxxN6thrust23THRUST_200600_302600_NS4plusIxEEEEZZNS1_33reduce_by_key_impl_wrapped_configILNS1_25lookback_scan_determinismE0ES3_S9_NS6_6detail15normal_iteratorINS6_10device_ptrIxEEEESG_SG_SG_PmS8_22is_equal_div_10_reduceIxEEE10hipError_tPvRmT2_T3_mT4_T5_T6_T7_T8_P12ihipStream_tbENKUlT_T0_E_clISt17integral_constantIbLb0EES10_IbLb1EEEEDaSW_SX_EUlSW_E_NS1_11comp_targetILNS1_3genE10ELNS1_11target_archE1201ELNS1_3gpuE5ELNS1_3repE0EEENS1_30default_config_static_selectorELNS0_4arch9wavefront6targetE0EEEvT1_,comdat
	.protected	_ZN7rocprim17ROCPRIM_400000_NS6detail17trampoline_kernelINS0_14default_configENS1_29reduce_by_key_config_selectorIxxN6thrust23THRUST_200600_302600_NS4plusIxEEEEZZNS1_33reduce_by_key_impl_wrapped_configILNS1_25lookback_scan_determinismE0ES3_S9_NS6_6detail15normal_iteratorINS6_10device_ptrIxEEEESG_SG_SG_PmS8_22is_equal_div_10_reduceIxEEE10hipError_tPvRmT2_T3_mT4_T5_T6_T7_T8_P12ihipStream_tbENKUlT_T0_E_clISt17integral_constantIbLb0EES10_IbLb1EEEEDaSW_SX_EUlSW_E_NS1_11comp_targetILNS1_3genE10ELNS1_11target_archE1201ELNS1_3gpuE5ELNS1_3repE0EEENS1_30default_config_static_selectorELNS0_4arch9wavefront6targetE0EEEvT1_ ; -- Begin function _ZN7rocprim17ROCPRIM_400000_NS6detail17trampoline_kernelINS0_14default_configENS1_29reduce_by_key_config_selectorIxxN6thrust23THRUST_200600_302600_NS4plusIxEEEEZZNS1_33reduce_by_key_impl_wrapped_configILNS1_25lookback_scan_determinismE0ES3_S9_NS6_6detail15normal_iteratorINS6_10device_ptrIxEEEESG_SG_SG_PmS8_22is_equal_div_10_reduceIxEEE10hipError_tPvRmT2_T3_mT4_T5_T6_T7_T8_P12ihipStream_tbENKUlT_T0_E_clISt17integral_constantIbLb0EES10_IbLb1EEEEDaSW_SX_EUlSW_E_NS1_11comp_targetILNS1_3genE10ELNS1_11target_archE1201ELNS1_3gpuE5ELNS1_3repE0EEENS1_30default_config_static_selectorELNS0_4arch9wavefront6targetE0EEEvT1_
	.globl	_ZN7rocprim17ROCPRIM_400000_NS6detail17trampoline_kernelINS0_14default_configENS1_29reduce_by_key_config_selectorIxxN6thrust23THRUST_200600_302600_NS4plusIxEEEEZZNS1_33reduce_by_key_impl_wrapped_configILNS1_25lookback_scan_determinismE0ES3_S9_NS6_6detail15normal_iteratorINS6_10device_ptrIxEEEESG_SG_SG_PmS8_22is_equal_div_10_reduceIxEEE10hipError_tPvRmT2_T3_mT4_T5_T6_T7_T8_P12ihipStream_tbENKUlT_T0_E_clISt17integral_constantIbLb0EES10_IbLb1EEEEDaSW_SX_EUlSW_E_NS1_11comp_targetILNS1_3genE10ELNS1_11target_archE1201ELNS1_3gpuE5ELNS1_3repE0EEENS1_30default_config_static_selectorELNS0_4arch9wavefront6targetE0EEEvT1_
	.p2align	8
	.type	_ZN7rocprim17ROCPRIM_400000_NS6detail17trampoline_kernelINS0_14default_configENS1_29reduce_by_key_config_selectorIxxN6thrust23THRUST_200600_302600_NS4plusIxEEEEZZNS1_33reduce_by_key_impl_wrapped_configILNS1_25lookback_scan_determinismE0ES3_S9_NS6_6detail15normal_iteratorINS6_10device_ptrIxEEEESG_SG_SG_PmS8_22is_equal_div_10_reduceIxEEE10hipError_tPvRmT2_T3_mT4_T5_T6_T7_T8_P12ihipStream_tbENKUlT_T0_E_clISt17integral_constantIbLb0EES10_IbLb1EEEEDaSW_SX_EUlSW_E_NS1_11comp_targetILNS1_3genE10ELNS1_11target_archE1201ELNS1_3gpuE5ELNS1_3repE0EEENS1_30default_config_static_selectorELNS0_4arch9wavefront6targetE0EEEvT1_,@function
_ZN7rocprim17ROCPRIM_400000_NS6detail17trampoline_kernelINS0_14default_configENS1_29reduce_by_key_config_selectorIxxN6thrust23THRUST_200600_302600_NS4plusIxEEEEZZNS1_33reduce_by_key_impl_wrapped_configILNS1_25lookback_scan_determinismE0ES3_S9_NS6_6detail15normal_iteratorINS6_10device_ptrIxEEEESG_SG_SG_PmS8_22is_equal_div_10_reduceIxEEE10hipError_tPvRmT2_T3_mT4_T5_T6_T7_T8_P12ihipStream_tbENKUlT_T0_E_clISt17integral_constantIbLb0EES10_IbLb1EEEEDaSW_SX_EUlSW_E_NS1_11comp_targetILNS1_3genE10ELNS1_11target_archE1201ELNS1_3gpuE5ELNS1_3repE0EEENS1_30default_config_static_selectorELNS0_4arch9wavefront6targetE0EEEvT1_: ; @_ZN7rocprim17ROCPRIM_400000_NS6detail17trampoline_kernelINS0_14default_configENS1_29reduce_by_key_config_selectorIxxN6thrust23THRUST_200600_302600_NS4plusIxEEEEZZNS1_33reduce_by_key_impl_wrapped_configILNS1_25lookback_scan_determinismE0ES3_S9_NS6_6detail15normal_iteratorINS6_10device_ptrIxEEEESG_SG_SG_PmS8_22is_equal_div_10_reduceIxEEE10hipError_tPvRmT2_T3_mT4_T5_T6_T7_T8_P12ihipStream_tbENKUlT_T0_E_clISt17integral_constantIbLb0EES10_IbLb1EEEEDaSW_SX_EUlSW_E_NS1_11comp_targetILNS1_3genE10ELNS1_11target_archE1201ELNS1_3gpuE5ELNS1_3repE0EEENS1_30default_config_static_selectorELNS0_4arch9wavefront6targetE0EEEvT1_
; %bb.0:
	.section	.rodata,"a",@progbits
	.p2align	6, 0x0
	.amdhsa_kernel _ZN7rocprim17ROCPRIM_400000_NS6detail17trampoline_kernelINS0_14default_configENS1_29reduce_by_key_config_selectorIxxN6thrust23THRUST_200600_302600_NS4plusIxEEEEZZNS1_33reduce_by_key_impl_wrapped_configILNS1_25lookback_scan_determinismE0ES3_S9_NS6_6detail15normal_iteratorINS6_10device_ptrIxEEEESG_SG_SG_PmS8_22is_equal_div_10_reduceIxEEE10hipError_tPvRmT2_T3_mT4_T5_T6_T7_T8_P12ihipStream_tbENKUlT_T0_E_clISt17integral_constantIbLb0EES10_IbLb1EEEEDaSW_SX_EUlSW_E_NS1_11comp_targetILNS1_3genE10ELNS1_11target_archE1201ELNS1_3gpuE5ELNS1_3repE0EEENS1_30default_config_static_selectorELNS0_4arch9wavefront6targetE0EEEvT1_
		.amdhsa_group_segment_fixed_size 0
		.amdhsa_private_segment_fixed_size 0
		.amdhsa_kernarg_size 136
		.amdhsa_user_sgpr_count 15
		.amdhsa_user_sgpr_dispatch_ptr 0
		.amdhsa_user_sgpr_queue_ptr 0
		.amdhsa_user_sgpr_kernarg_segment_ptr 1
		.amdhsa_user_sgpr_dispatch_id 0
		.amdhsa_user_sgpr_private_segment_size 0
		.amdhsa_wavefront_size32 1
		.amdhsa_uses_dynamic_stack 0
		.amdhsa_enable_private_segment 0
		.amdhsa_system_sgpr_workgroup_id_x 1
		.amdhsa_system_sgpr_workgroup_id_y 0
		.amdhsa_system_sgpr_workgroup_id_z 0
		.amdhsa_system_sgpr_workgroup_info 0
		.amdhsa_system_vgpr_workitem_id 0
		.amdhsa_next_free_vgpr 1
		.amdhsa_next_free_sgpr 1
		.amdhsa_reserve_vcc 0
		.amdhsa_float_round_mode_32 0
		.amdhsa_float_round_mode_16_64 0
		.amdhsa_float_denorm_mode_32 3
		.amdhsa_float_denorm_mode_16_64 3
		.amdhsa_dx10_clamp 1
		.amdhsa_ieee_mode 1
		.amdhsa_fp16_overflow 0
		.amdhsa_workgroup_processor_mode 1
		.amdhsa_memory_ordered 1
		.amdhsa_forward_progress 0
		.amdhsa_shared_vgpr_count 0
		.amdhsa_exception_fp_ieee_invalid_op 0
		.amdhsa_exception_fp_denorm_src 0
		.amdhsa_exception_fp_ieee_div_zero 0
		.amdhsa_exception_fp_ieee_overflow 0
		.amdhsa_exception_fp_ieee_underflow 0
		.amdhsa_exception_fp_ieee_inexact 0
		.amdhsa_exception_int_div_zero 0
	.end_amdhsa_kernel
	.section	.text._ZN7rocprim17ROCPRIM_400000_NS6detail17trampoline_kernelINS0_14default_configENS1_29reduce_by_key_config_selectorIxxN6thrust23THRUST_200600_302600_NS4plusIxEEEEZZNS1_33reduce_by_key_impl_wrapped_configILNS1_25lookback_scan_determinismE0ES3_S9_NS6_6detail15normal_iteratorINS6_10device_ptrIxEEEESG_SG_SG_PmS8_22is_equal_div_10_reduceIxEEE10hipError_tPvRmT2_T3_mT4_T5_T6_T7_T8_P12ihipStream_tbENKUlT_T0_E_clISt17integral_constantIbLb0EES10_IbLb1EEEEDaSW_SX_EUlSW_E_NS1_11comp_targetILNS1_3genE10ELNS1_11target_archE1201ELNS1_3gpuE5ELNS1_3repE0EEENS1_30default_config_static_selectorELNS0_4arch9wavefront6targetE0EEEvT1_,"axG",@progbits,_ZN7rocprim17ROCPRIM_400000_NS6detail17trampoline_kernelINS0_14default_configENS1_29reduce_by_key_config_selectorIxxN6thrust23THRUST_200600_302600_NS4plusIxEEEEZZNS1_33reduce_by_key_impl_wrapped_configILNS1_25lookback_scan_determinismE0ES3_S9_NS6_6detail15normal_iteratorINS6_10device_ptrIxEEEESG_SG_SG_PmS8_22is_equal_div_10_reduceIxEEE10hipError_tPvRmT2_T3_mT4_T5_T6_T7_T8_P12ihipStream_tbENKUlT_T0_E_clISt17integral_constantIbLb0EES10_IbLb1EEEEDaSW_SX_EUlSW_E_NS1_11comp_targetILNS1_3genE10ELNS1_11target_archE1201ELNS1_3gpuE5ELNS1_3repE0EEENS1_30default_config_static_selectorELNS0_4arch9wavefront6targetE0EEEvT1_,comdat
.Lfunc_end540:
	.size	_ZN7rocprim17ROCPRIM_400000_NS6detail17trampoline_kernelINS0_14default_configENS1_29reduce_by_key_config_selectorIxxN6thrust23THRUST_200600_302600_NS4plusIxEEEEZZNS1_33reduce_by_key_impl_wrapped_configILNS1_25lookback_scan_determinismE0ES3_S9_NS6_6detail15normal_iteratorINS6_10device_ptrIxEEEESG_SG_SG_PmS8_22is_equal_div_10_reduceIxEEE10hipError_tPvRmT2_T3_mT4_T5_T6_T7_T8_P12ihipStream_tbENKUlT_T0_E_clISt17integral_constantIbLb0EES10_IbLb1EEEEDaSW_SX_EUlSW_E_NS1_11comp_targetILNS1_3genE10ELNS1_11target_archE1201ELNS1_3gpuE5ELNS1_3repE0EEENS1_30default_config_static_selectorELNS0_4arch9wavefront6targetE0EEEvT1_, .Lfunc_end540-_ZN7rocprim17ROCPRIM_400000_NS6detail17trampoline_kernelINS0_14default_configENS1_29reduce_by_key_config_selectorIxxN6thrust23THRUST_200600_302600_NS4plusIxEEEEZZNS1_33reduce_by_key_impl_wrapped_configILNS1_25lookback_scan_determinismE0ES3_S9_NS6_6detail15normal_iteratorINS6_10device_ptrIxEEEESG_SG_SG_PmS8_22is_equal_div_10_reduceIxEEE10hipError_tPvRmT2_T3_mT4_T5_T6_T7_T8_P12ihipStream_tbENKUlT_T0_E_clISt17integral_constantIbLb0EES10_IbLb1EEEEDaSW_SX_EUlSW_E_NS1_11comp_targetILNS1_3genE10ELNS1_11target_archE1201ELNS1_3gpuE5ELNS1_3repE0EEENS1_30default_config_static_selectorELNS0_4arch9wavefront6targetE0EEEvT1_
                                        ; -- End function
	.section	.AMDGPU.csdata,"",@progbits
; Kernel info:
; codeLenInByte = 0
; NumSgprs: 0
; NumVgprs: 0
; ScratchSize: 0
; MemoryBound: 0
; FloatMode: 240
; IeeeMode: 1
; LDSByteSize: 0 bytes/workgroup (compile time only)
; SGPRBlocks: 0
; VGPRBlocks: 0
; NumSGPRsForWavesPerEU: 1
; NumVGPRsForWavesPerEU: 1
; Occupancy: 16
; WaveLimiterHint : 0
; COMPUTE_PGM_RSRC2:SCRATCH_EN: 0
; COMPUTE_PGM_RSRC2:USER_SGPR: 15
; COMPUTE_PGM_RSRC2:TRAP_HANDLER: 0
; COMPUTE_PGM_RSRC2:TGID_X_EN: 1
; COMPUTE_PGM_RSRC2:TGID_Y_EN: 0
; COMPUTE_PGM_RSRC2:TGID_Z_EN: 0
; COMPUTE_PGM_RSRC2:TIDIG_COMP_CNT: 0
	.section	.text._ZN7rocprim17ROCPRIM_400000_NS6detail17trampoline_kernelINS0_14default_configENS1_29reduce_by_key_config_selectorIxxN6thrust23THRUST_200600_302600_NS4plusIxEEEEZZNS1_33reduce_by_key_impl_wrapped_configILNS1_25lookback_scan_determinismE0ES3_S9_NS6_6detail15normal_iteratorINS6_10device_ptrIxEEEESG_SG_SG_PmS8_22is_equal_div_10_reduceIxEEE10hipError_tPvRmT2_T3_mT4_T5_T6_T7_T8_P12ihipStream_tbENKUlT_T0_E_clISt17integral_constantIbLb0EES10_IbLb1EEEEDaSW_SX_EUlSW_E_NS1_11comp_targetILNS1_3genE10ELNS1_11target_archE1200ELNS1_3gpuE4ELNS1_3repE0EEENS1_30default_config_static_selectorELNS0_4arch9wavefront6targetE0EEEvT1_,"axG",@progbits,_ZN7rocprim17ROCPRIM_400000_NS6detail17trampoline_kernelINS0_14default_configENS1_29reduce_by_key_config_selectorIxxN6thrust23THRUST_200600_302600_NS4plusIxEEEEZZNS1_33reduce_by_key_impl_wrapped_configILNS1_25lookback_scan_determinismE0ES3_S9_NS6_6detail15normal_iteratorINS6_10device_ptrIxEEEESG_SG_SG_PmS8_22is_equal_div_10_reduceIxEEE10hipError_tPvRmT2_T3_mT4_T5_T6_T7_T8_P12ihipStream_tbENKUlT_T0_E_clISt17integral_constantIbLb0EES10_IbLb1EEEEDaSW_SX_EUlSW_E_NS1_11comp_targetILNS1_3genE10ELNS1_11target_archE1200ELNS1_3gpuE4ELNS1_3repE0EEENS1_30default_config_static_selectorELNS0_4arch9wavefront6targetE0EEEvT1_,comdat
	.protected	_ZN7rocprim17ROCPRIM_400000_NS6detail17trampoline_kernelINS0_14default_configENS1_29reduce_by_key_config_selectorIxxN6thrust23THRUST_200600_302600_NS4plusIxEEEEZZNS1_33reduce_by_key_impl_wrapped_configILNS1_25lookback_scan_determinismE0ES3_S9_NS6_6detail15normal_iteratorINS6_10device_ptrIxEEEESG_SG_SG_PmS8_22is_equal_div_10_reduceIxEEE10hipError_tPvRmT2_T3_mT4_T5_T6_T7_T8_P12ihipStream_tbENKUlT_T0_E_clISt17integral_constantIbLb0EES10_IbLb1EEEEDaSW_SX_EUlSW_E_NS1_11comp_targetILNS1_3genE10ELNS1_11target_archE1200ELNS1_3gpuE4ELNS1_3repE0EEENS1_30default_config_static_selectorELNS0_4arch9wavefront6targetE0EEEvT1_ ; -- Begin function _ZN7rocprim17ROCPRIM_400000_NS6detail17trampoline_kernelINS0_14default_configENS1_29reduce_by_key_config_selectorIxxN6thrust23THRUST_200600_302600_NS4plusIxEEEEZZNS1_33reduce_by_key_impl_wrapped_configILNS1_25lookback_scan_determinismE0ES3_S9_NS6_6detail15normal_iteratorINS6_10device_ptrIxEEEESG_SG_SG_PmS8_22is_equal_div_10_reduceIxEEE10hipError_tPvRmT2_T3_mT4_T5_T6_T7_T8_P12ihipStream_tbENKUlT_T0_E_clISt17integral_constantIbLb0EES10_IbLb1EEEEDaSW_SX_EUlSW_E_NS1_11comp_targetILNS1_3genE10ELNS1_11target_archE1200ELNS1_3gpuE4ELNS1_3repE0EEENS1_30default_config_static_selectorELNS0_4arch9wavefront6targetE0EEEvT1_
	.globl	_ZN7rocprim17ROCPRIM_400000_NS6detail17trampoline_kernelINS0_14default_configENS1_29reduce_by_key_config_selectorIxxN6thrust23THRUST_200600_302600_NS4plusIxEEEEZZNS1_33reduce_by_key_impl_wrapped_configILNS1_25lookback_scan_determinismE0ES3_S9_NS6_6detail15normal_iteratorINS6_10device_ptrIxEEEESG_SG_SG_PmS8_22is_equal_div_10_reduceIxEEE10hipError_tPvRmT2_T3_mT4_T5_T6_T7_T8_P12ihipStream_tbENKUlT_T0_E_clISt17integral_constantIbLb0EES10_IbLb1EEEEDaSW_SX_EUlSW_E_NS1_11comp_targetILNS1_3genE10ELNS1_11target_archE1200ELNS1_3gpuE4ELNS1_3repE0EEENS1_30default_config_static_selectorELNS0_4arch9wavefront6targetE0EEEvT1_
	.p2align	8
	.type	_ZN7rocprim17ROCPRIM_400000_NS6detail17trampoline_kernelINS0_14default_configENS1_29reduce_by_key_config_selectorIxxN6thrust23THRUST_200600_302600_NS4plusIxEEEEZZNS1_33reduce_by_key_impl_wrapped_configILNS1_25lookback_scan_determinismE0ES3_S9_NS6_6detail15normal_iteratorINS6_10device_ptrIxEEEESG_SG_SG_PmS8_22is_equal_div_10_reduceIxEEE10hipError_tPvRmT2_T3_mT4_T5_T6_T7_T8_P12ihipStream_tbENKUlT_T0_E_clISt17integral_constantIbLb0EES10_IbLb1EEEEDaSW_SX_EUlSW_E_NS1_11comp_targetILNS1_3genE10ELNS1_11target_archE1200ELNS1_3gpuE4ELNS1_3repE0EEENS1_30default_config_static_selectorELNS0_4arch9wavefront6targetE0EEEvT1_,@function
_ZN7rocprim17ROCPRIM_400000_NS6detail17trampoline_kernelINS0_14default_configENS1_29reduce_by_key_config_selectorIxxN6thrust23THRUST_200600_302600_NS4plusIxEEEEZZNS1_33reduce_by_key_impl_wrapped_configILNS1_25lookback_scan_determinismE0ES3_S9_NS6_6detail15normal_iteratorINS6_10device_ptrIxEEEESG_SG_SG_PmS8_22is_equal_div_10_reduceIxEEE10hipError_tPvRmT2_T3_mT4_T5_T6_T7_T8_P12ihipStream_tbENKUlT_T0_E_clISt17integral_constantIbLb0EES10_IbLb1EEEEDaSW_SX_EUlSW_E_NS1_11comp_targetILNS1_3genE10ELNS1_11target_archE1200ELNS1_3gpuE4ELNS1_3repE0EEENS1_30default_config_static_selectorELNS0_4arch9wavefront6targetE0EEEvT1_: ; @_ZN7rocprim17ROCPRIM_400000_NS6detail17trampoline_kernelINS0_14default_configENS1_29reduce_by_key_config_selectorIxxN6thrust23THRUST_200600_302600_NS4plusIxEEEEZZNS1_33reduce_by_key_impl_wrapped_configILNS1_25lookback_scan_determinismE0ES3_S9_NS6_6detail15normal_iteratorINS6_10device_ptrIxEEEESG_SG_SG_PmS8_22is_equal_div_10_reduceIxEEE10hipError_tPvRmT2_T3_mT4_T5_T6_T7_T8_P12ihipStream_tbENKUlT_T0_E_clISt17integral_constantIbLb0EES10_IbLb1EEEEDaSW_SX_EUlSW_E_NS1_11comp_targetILNS1_3genE10ELNS1_11target_archE1200ELNS1_3gpuE4ELNS1_3repE0EEENS1_30default_config_static_selectorELNS0_4arch9wavefront6targetE0EEEvT1_
; %bb.0:
	.section	.rodata,"a",@progbits
	.p2align	6, 0x0
	.amdhsa_kernel _ZN7rocprim17ROCPRIM_400000_NS6detail17trampoline_kernelINS0_14default_configENS1_29reduce_by_key_config_selectorIxxN6thrust23THRUST_200600_302600_NS4plusIxEEEEZZNS1_33reduce_by_key_impl_wrapped_configILNS1_25lookback_scan_determinismE0ES3_S9_NS6_6detail15normal_iteratorINS6_10device_ptrIxEEEESG_SG_SG_PmS8_22is_equal_div_10_reduceIxEEE10hipError_tPvRmT2_T3_mT4_T5_T6_T7_T8_P12ihipStream_tbENKUlT_T0_E_clISt17integral_constantIbLb0EES10_IbLb1EEEEDaSW_SX_EUlSW_E_NS1_11comp_targetILNS1_3genE10ELNS1_11target_archE1200ELNS1_3gpuE4ELNS1_3repE0EEENS1_30default_config_static_selectorELNS0_4arch9wavefront6targetE0EEEvT1_
		.amdhsa_group_segment_fixed_size 0
		.amdhsa_private_segment_fixed_size 0
		.amdhsa_kernarg_size 136
		.amdhsa_user_sgpr_count 15
		.amdhsa_user_sgpr_dispatch_ptr 0
		.amdhsa_user_sgpr_queue_ptr 0
		.amdhsa_user_sgpr_kernarg_segment_ptr 1
		.amdhsa_user_sgpr_dispatch_id 0
		.amdhsa_user_sgpr_private_segment_size 0
		.amdhsa_wavefront_size32 1
		.amdhsa_uses_dynamic_stack 0
		.amdhsa_enable_private_segment 0
		.amdhsa_system_sgpr_workgroup_id_x 1
		.amdhsa_system_sgpr_workgroup_id_y 0
		.amdhsa_system_sgpr_workgroup_id_z 0
		.amdhsa_system_sgpr_workgroup_info 0
		.amdhsa_system_vgpr_workitem_id 0
		.amdhsa_next_free_vgpr 1
		.amdhsa_next_free_sgpr 1
		.amdhsa_reserve_vcc 0
		.amdhsa_float_round_mode_32 0
		.amdhsa_float_round_mode_16_64 0
		.amdhsa_float_denorm_mode_32 3
		.amdhsa_float_denorm_mode_16_64 3
		.amdhsa_dx10_clamp 1
		.amdhsa_ieee_mode 1
		.amdhsa_fp16_overflow 0
		.amdhsa_workgroup_processor_mode 1
		.amdhsa_memory_ordered 1
		.amdhsa_forward_progress 0
		.amdhsa_shared_vgpr_count 0
		.amdhsa_exception_fp_ieee_invalid_op 0
		.amdhsa_exception_fp_denorm_src 0
		.amdhsa_exception_fp_ieee_div_zero 0
		.amdhsa_exception_fp_ieee_overflow 0
		.amdhsa_exception_fp_ieee_underflow 0
		.amdhsa_exception_fp_ieee_inexact 0
		.amdhsa_exception_int_div_zero 0
	.end_amdhsa_kernel
	.section	.text._ZN7rocprim17ROCPRIM_400000_NS6detail17trampoline_kernelINS0_14default_configENS1_29reduce_by_key_config_selectorIxxN6thrust23THRUST_200600_302600_NS4plusIxEEEEZZNS1_33reduce_by_key_impl_wrapped_configILNS1_25lookback_scan_determinismE0ES3_S9_NS6_6detail15normal_iteratorINS6_10device_ptrIxEEEESG_SG_SG_PmS8_22is_equal_div_10_reduceIxEEE10hipError_tPvRmT2_T3_mT4_T5_T6_T7_T8_P12ihipStream_tbENKUlT_T0_E_clISt17integral_constantIbLb0EES10_IbLb1EEEEDaSW_SX_EUlSW_E_NS1_11comp_targetILNS1_3genE10ELNS1_11target_archE1200ELNS1_3gpuE4ELNS1_3repE0EEENS1_30default_config_static_selectorELNS0_4arch9wavefront6targetE0EEEvT1_,"axG",@progbits,_ZN7rocprim17ROCPRIM_400000_NS6detail17trampoline_kernelINS0_14default_configENS1_29reduce_by_key_config_selectorIxxN6thrust23THRUST_200600_302600_NS4plusIxEEEEZZNS1_33reduce_by_key_impl_wrapped_configILNS1_25lookback_scan_determinismE0ES3_S9_NS6_6detail15normal_iteratorINS6_10device_ptrIxEEEESG_SG_SG_PmS8_22is_equal_div_10_reduceIxEEE10hipError_tPvRmT2_T3_mT4_T5_T6_T7_T8_P12ihipStream_tbENKUlT_T0_E_clISt17integral_constantIbLb0EES10_IbLb1EEEEDaSW_SX_EUlSW_E_NS1_11comp_targetILNS1_3genE10ELNS1_11target_archE1200ELNS1_3gpuE4ELNS1_3repE0EEENS1_30default_config_static_selectorELNS0_4arch9wavefront6targetE0EEEvT1_,comdat
.Lfunc_end541:
	.size	_ZN7rocprim17ROCPRIM_400000_NS6detail17trampoline_kernelINS0_14default_configENS1_29reduce_by_key_config_selectorIxxN6thrust23THRUST_200600_302600_NS4plusIxEEEEZZNS1_33reduce_by_key_impl_wrapped_configILNS1_25lookback_scan_determinismE0ES3_S9_NS6_6detail15normal_iteratorINS6_10device_ptrIxEEEESG_SG_SG_PmS8_22is_equal_div_10_reduceIxEEE10hipError_tPvRmT2_T3_mT4_T5_T6_T7_T8_P12ihipStream_tbENKUlT_T0_E_clISt17integral_constantIbLb0EES10_IbLb1EEEEDaSW_SX_EUlSW_E_NS1_11comp_targetILNS1_3genE10ELNS1_11target_archE1200ELNS1_3gpuE4ELNS1_3repE0EEENS1_30default_config_static_selectorELNS0_4arch9wavefront6targetE0EEEvT1_, .Lfunc_end541-_ZN7rocprim17ROCPRIM_400000_NS6detail17trampoline_kernelINS0_14default_configENS1_29reduce_by_key_config_selectorIxxN6thrust23THRUST_200600_302600_NS4plusIxEEEEZZNS1_33reduce_by_key_impl_wrapped_configILNS1_25lookback_scan_determinismE0ES3_S9_NS6_6detail15normal_iteratorINS6_10device_ptrIxEEEESG_SG_SG_PmS8_22is_equal_div_10_reduceIxEEE10hipError_tPvRmT2_T3_mT4_T5_T6_T7_T8_P12ihipStream_tbENKUlT_T0_E_clISt17integral_constantIbLb0EES10_IbLb1EEEEDaSW_SX_EUlSW_E_NS1_11comp_targetILNS1_3genE10ELNS1_11target_archE1200ELNS1_3gpuE4ELNS1_3repE0EEENS1_30default_config_static_selectorELNS0_4arch9wavefront6targetE0EEEvT1_
                                        ; -- End function
	.section	.AMDGPU.csdata,"",@progbits
; Kernel info:
; codeLenInByte = 0
; NumSgprs: 0
; NumVgprs: 0
; ScratchSize: 0
; MemoryBound: 0
; FloatMode: 240
; IeeeMode: 1
; LDSByteSize: 0 bytes/workgroup (compile time only)
; SGPRBlocks: 0
; VGPRBlocks: 0
; NumSGPRsForWavesPerEU: 1
; NumVGPRsForWavesPerEU: 1
; Occupancy: 16
; WaveLimiterHint : 0
; COMPUTE_PGM_RSRC2:SCRATCH_EN: 0
; COMPUTE_PGM_RSRC2:USER_SGPR: 15
; COMPUTE_PGM_RSRC2:TRAP_HANDLER: 0
; COMPUTE_PGM_RSRC2:TGID_X_EN: 1
; COMPUTE_PGM_RSRC2:TGID_Y_EN: 0
; COMPUTE_PGM_RSRC2:TGID_Z_EN: 0
; COMPUTE_PGM_RSRC2:TIDIG_COMP_CNT: 0
	.section	.text._ZN7rocprim17ROCPRIM_400000_NS6detail17trampoline_kernelINS0_14default_configENS1_29reduce_by_key_config_selectorIxxN6thrust23THRUST_200600_302600_NS4plusIxEEEEZZNS1_33reduce_by_key_impl_wrapped_configILNS1_25lookback_scan_determinismE0ES3_S9_NS6_6detail15normal_iteratorINS6_10device_ptrIxEEEESG_SG_SG_PmS8_22is_equal_div_10_reduceIxEEE10hipError_tPvRmT2_T3_mT4_T5_T6_T7_T8_P12ihipStream_tbENKUlT_T0_E_clISt17integral_constantIbLb0EES10_IbLb1EEEEDaSW_SX_EUlSW_E_NS1_11comp_targetILNS1_3genE9ELNS1_11target_archE1100ELNS1_3gpuE3ELNS1_3repE0EEENS1_30default_config_static_selectorELNS0_4arch9wavefront6targetE0EEEvT1_,"axG",@progbits,_ZN7rocprim17ROCPRIM_400000_NS6detail17trampoline_kernelINS0_14default_configENS1_29reduce_by_key_config_selectorIxxN6thrust23THRUST_200600_302600_NS4plusIxEEEEZZNS1_33reduce_by_key_impl_wrapped_configILNS1_25lookback_scan_determinismE0ES3_S9_NS6_6detail15normal_iteratorINS6_10device_ptrIxEEEESG_SG_SG_PmS8_22is_equal_div_10_reduceIxEEE10hipError_tPvRmT2_T3_mT4_T5_T6_T7_T8_P12ihipStream_tbENKUlT_T0_E_clISt17integral_constantIbLb0EES10_IbLb1EEEEDaSW_SX_EUlSW_E_NS1_11comp_targetILNS1_3genE9ELNS1_11target_archE1100ELNS1_3gpuE3ELNS1_3repE0EEENS1_30default_config_static_selectorELNS0_4arch9wavefront6targetE0EEEvT1_,comdat
	.protected	_ZN7rocprim17ROCPRIM_400000_NS6detail17trampoline_kernelINS0_14default_configENS1_29reduce_by_key_config_selectorIxxN6thrust23THRUST_200600_302600_NS4plusIxEEEEZZNS1_33reduce_by_key_impl_wrapped_configILNS1_25lookback_scan_determinismE0ES3_S9_NS6_6detail15normal_iteratorINS6_10device_ptrIxEEEESG_SG_SG_PmS8_22is_equal_div_10_reduceIxEEE10hipError_tPvRmT2_T3_mT4_T5_T6_T7_T8_P12ihipStream_tbENKUlT_T0_E_clISt17integral_constantIbLb0EES10_IbLb1EEEEDaSW_SX_EUlSW_E_NS1_11comp_targetILNS1_3genE9ELNS1_11target_archE1100ELNS1_3gpuE3ELNS1_3repE0EEENS1_30default_config_static_selectorELNS0_4arch9wavefront6targetE0EEEvT1_ ; -- Begin function _ZN7rocprim17ROCPRIM_400000_NS6detail17trampoline_kernelINS0_14default_configENS1_29reduce_by_key_config_selectorIxxN6thrust23THRUST_200600_302600_NS4plusIxEEEEZZNS1_33reduce_by_key_impl_wrapped_configILNS1_25lookback_scan_determinismE0ES3_S9_NS6_6detail15normal_iteratorINS6_10device_ptrIxEEEESG_SG_SG_PmS8_22is_equal_div_10_reduceIxEEE10hipError_tPvRmT2_T3_mT4_T5_T6_T7_T8_P12ihipStream_tbENKUlT_T0_E_clISt17integral_constantIbLb0EES10_IbLb1EEEEDaSW_SX_EUlSW_E_NS1_11comp_targetILNS1_3genE9ELNS1_11target_archE1100ELNS1_3gpuE3ELNS1_3repE0EEENS1_30default_config_static_selectorELNS0_4arch9wavefront6targetE0EEEvT1_
	.globl	_ZN7rocprim17ROCPRIM_400000_NS6detail17trampoline_kernelINS0_14default_configENS1_29reduce_by_key_config_selectorIxxN6thrust23THRUST_200600_302600_NS4plusIxEEEEZZNS1_33reduce_by_key_impl_wrapped_configILNS1_25lookback_scan_determinismE0ES3_S9_NS6_6detail15normal_iteratorINS6_10device_ptrIxEEEESG_SG_SG_PmS8_22is_equal_div_10_reduceIxEEE10hipError_tPvRmT2_T3_mT4_T5_T6_T7_T8_P12ihipStream_tbENKUlT_T0_E_clISt17integral_constantIbLb0EES10_IbLb1EEEEDaSW_SX_EUlSW_E_NS1_11comp_targetILNS1_3genE9ELNS1_11target_archE1100ELNS1_3gpuE3ELNS1_3repE0EEENS1_30default_config_static_selectorELNS0_4arch9wavefront6targetE0EEEvT1_
	.p2align	8
	.type	_ZN7rocprim17ROCPRIM_400000_NS6detail17trampoline_kernelINS0_14default_configENS1_29reduce_by_key_config_selectorIxxN6thrust23THRUST_200600_302600_NS4plusIxEEEEZZNS1_33reduce_by_key_impl_wrapped_configILNS1_25lookback_scan_determinismE0ES3_S9_NS6_6detail15normal_iteratorINS6_10device_ptrIxEEEESG_SG_SG_PmS8_22is_equal_div_10_reduceIxEEE10hipError_tPvRmT2_T3_mT4_T5_T6_T7_T8_P12ihipStream_tbENKUlT_T0_E_clISt17integral_constantIbLb0EES10_IbLb1EEEEDaSW_SX_EUlSW_E_NS1_11comp_targetILNS1_3genE9ELNS1_11target_archE1100ELNS1_3gpuE3ELNS1_3repE0EEENS1_30default_config_static_selectorELNS0_4arch9wavefront6targetE0EEEvT1_,@function
_ZN7rocprim17ROCPRIM_400000_NS6detail17trampoline_kernelINS0_14default_configENS1_29reduce_by_key_config_selectorIxxN6thrust23THRUST_200600_302600_NS4plusIxEEEEZZNS1_33reduce_by_key_impl_wrapped_configILNS1_25lookback_scan_determinismE0ES3_S9_NS6_6detail15normal_iteratorINS6_10device_ptrIxEEEESG_SG_SG_PmS8_22is_equal_div_10_reduceIxEEE10hipError_tPvRmT2_T3_mT4_T5_T6_T7_T8_P12ihipStream_tbENKUlT_T0_E_clISt17integral_constantIbLb0EES10_IbLb1EEEEDaSW_SX_EUlSW_E_NS1_11comp_targetILNS1_3genE9ELNS1_11target_archE1100ELNS1_3gpuE3ELNS1_3repE0EEENS1_30default_config_static_selectorELNS0_4arch9wavefront6targetE0EEEvT1_: ; @_ZN7rocprim17ROCPRIM_400000_NS6detail17trampoline_kernelINS0_14default_configENS1_29reduce_by_key_config_selectorIxxN6thrust23THRUST_200600_302600_NS4plusIxEEEEZZNS1_33reduce_by_key_impl_wrapped_configILNS1_25lookback_scan_determinismE0ES3_S9_NS6_6detail15normal_iteratorINS6_10device_ptrIxEEEESG_SG_SG_PmS8_22is_equal_div_10_reduceIxEEE10hipError_tPvRmT2_T3_mT4_T5_T6_T7_T8_P12ihipStream_tbENKUlT_T0_E_clISt17integral_constantIbLb0EES10_IbLb1EEEEDaSW_SX_EUlSW_E_NS1_11comp_targetILNS1_3genE9ELNS1_11target_archE1100ELNS1_3gpuE3ELNS1_3repE0EEENS1_30default_config_static_selectorELNS0_4arch9wavefront6targetE0EEEvT1_
; %bb.0:
	s_clause 0x2
	s_load_b256 s[12:19], s[0:1], 0x0
	s_load_b128 s[20:23], s[0:1], 0x20
	s_load_b64 s[24:25], s[0:1], 0x78
	v_cmp_ne_u32_e64 s3, 0, v0
	v_cmp_eq_u32_e64 s2, 0, v0
	s_delay_alu instid0(VALU_DEP_1)
	s_and_saveexec_b32 s4, s2
	s_cbranch_execz .LBB542_4
; %bb.1:
	s_mov_b32 s6, exec_lo
	s_mov_b32 s5, exec_lo
	v_mbcnt_lo_u32_b32 v1, s6, 0
                                        ; implicit-def: $vgpr2
	s_delay_alu instid0(VALU_DEP_1)
	v_cmpx_eq_u32_e32 0, v1
	s_cbranch_execz .LBB542_3
; %bb.2:
	s_load_b64 s[8:9], s[0:1], 0x80
	s_bcnt1_i32_b32 s6, s6
	s_delay_alu instid0(SALU_CYCLE_1)
	v_dual_mov_b32 v2, 0 :: v_dual_mov_b32 v3, s6
	s_waitcnt lgkmcnt(0)
	global_atomic_add_u32 v2, v2, v3, s[8:9] glc
.LBB542_3:
	s_or_b32 exec_lo, exec_lo, s5
	s_waitcnt vmcnt(0)
	v_readfirstlane_b32 s5, v2
	s_delay_alu instid0(VALU_DEP_1)
	v_dual_mov_b32 v2, 0 :: v_dual_add_nc_u32 v1, s5, v1
	ds_store_b32 v2, v1
.LBB542_4:
	s_or_b32 exec_lo, exec_lo, s4
	v_mov_b32_e32 v2, 0
	s_waitcnt lgkmcnt(0)
	s_barrier
	buffer_gl0_inv
	s_load_b512 s[36:51], s[0:1], 0x38
	ds_load_b32 v1, v2
	s_lshl_b64 s[4:5], s[14:15], 3
	s_mov_b32 s0, 0
	s_add_u32 s9, s12, s4
	s_addc_u32 s10, s13, s5
	s_add_u32 s11, s16, s4
	s_addc_u32 s12, s17, s5
	s_waitcnt lgkmcnt(0)
	s_barrier
	buffer_gl0_inv
	s_mul_i32 s1, s44, s43
	v_readfirstlane_b32 s30, v1
	v_mul_lo_u32 v1, 0xf00, v1
	s_mul_hi_u32 s6, s44, s42
	s_mul_i32 s7, s45, s42
	s_add_i32 s1, s6, s1
	s_mul_i32 s8, s44, s42
	s_add_i32 s1, s1, s7
	s_add_u32 s26, s8, s30
	s_addc_u32 s27, s1, 0
	v_lshlrev_b64 v[1:2], 3, v[1:2]
	s_add_u32 s4, s46, -1
	s_addc_u32 s5, s47, -1
	s_mul_i32 s28, s4, 0xfffff100
	s_cmp_eq_u64 s[26:27], s[4:5]
	s_delay_alu instid0(VALU_DEP_1)
	v_add_co_u32 v71, vcc_lo, s9, v1
	v_add_co_ci_u32_e32 v75, vcc_lo, s10, v2, vcc_lo
	v_add_co_u32 v61, vcc_lo, s11, v1
	v_add_co_ci_u32_e32 v62, vcc_lo, s12, v2, vcc_lo
	s_cselect_b32 s17, -1, 0
	s_cmp_lg_u64 s[26:27], s[4:5]
	s_cselect_b32 s31, -1, 0
	s_and_b32 vcc_lo, exec_lo, s17
	s_cbranch_vccnz .LBB542_6
; %bb.5:
	v_lshlrev_b32_e32 v64, 3, v0
	s_delay_alu instid0(VALU_DEP_1) | instskip(SKIP_2) | instid1(VALU_DEP_3)
	v_add_co_u32 v1, vcc_lo, v71, v64
	v_add_co_ci_u32_e32 v2, vcc_lo, 0, v75, vcc_lo
	v_mad_u32_u24 v63, 0x70, v0, v64
	v_add_co_u32 v3, vcc_lo, 0x1000, v1
	s_delay_alu instid0(VALU_DEP_3)
	v_add_co_ci_u32_e32 v4, vcc_lo, 0, v2, vcc_lo
	v_add_co_u32 v5, vcc_lo, 0x2000, v1
	v_add_co_ci_u32_e32 v6, vcc_lo, 0, v2, vcc_lo
	v_add_co_u32 v7, vcc_lo, 0x3000, v1
	v_add_co_ci_u32_e32 v8, vcc_lo, 0, v2, vcc_lo
	v_add_co_u32 v19, vcc_lo, 0x4000, v1
	v_add_co_ci_u32_e32 v20, vcc_lo, 0, v2, vcc_lo
	v_add_co_u32 v21, vcc_lo, 0x5000, v1
	v_add_co_ci_u32_e32 v22, vcc_lo, 0, v2, vcc_lo
	v_add_co_u32 v23, vcc_lo, 0x6000, v1
	v_add_co_ci_u32_e32 v24, vcc_lo, 0, v2, vcc_lo
	s_clause 0x7
	flat_load_b64 v[9:10], v[1:2]
	flat_load_b64 v[11:12], v[1:2] offset:2048
	flat_load_b64 v[13:14], v[3:4]
	flat_load_b64 v[3:4], v[3:4] offset:2048
	;; [unrolled: 2-line block ×4, first 2 shown]
	v_add_co_u32 v1, vcc_lo, 0x7000, v1
	v_add_co_ci_u32_e32 v2, vcc_lo, 0, v2, vcc_lo
	s_clause 0x6
	flat_load_b64 v[25:26], v[19:20]
	flat_load_b64 v[19:20], v[19:20] offset:2048
	flat_load_b64 v[27:28], v[21:22]
	flat_load_b64 v[21:22], v[21:22] offset:2048
	;; [unrolled: 2-line block ×3, first 2 shown]
	flat_load_b64 v[1:2], v[1:2]
	v_add_co_u32 v31, vcc_lo, v61, v64
	v_add_co_ci_u32_e32 v32, vcc_lo, 0, v62, vcc_lo
	s_waitcnt vmcnt(13) lgkmcnt(13)
	ds_store_2addr_stride64_b64 v64, v[9:10], v[11:12] offset1:4
	s_waitcnt vmcnt(11) lgkmcnt(12)
	ds_store_2addr_stride64_b64 v64, v[13:14], v[3:4] offset0:8 offset1:12
	s_waitcnt vmcnt(9) lgkmcnt(11)
	ds_store_2addr_stride64_b64 v64, v[15:16], v[5:6] offset0:16 offset1:20
	;; [unrolled: 2-line block ×6, first 2 shown]
	s_waitcnt vmcnt(0) lgkmcnt(7)
	ds_store_b64 v64, v[1:2] offset:28672
	v_add_co_u32 v33, vcc_lo, 0x1000, v31
	v_add_co_ci_u32_e32 v34, vcc_lo, 0, v32, vcc_lo
	v_add_co_u32 v35, vcc_lo, 0x2000, v31
	v_add_co_ci_u32_e32 v36, vcc_lo, 0, v32, vcc_lo
	;; [unrolled: 2-line block ×7, first 2 shown]
	s_waitcnt lgkmcnt(0)
	s_barrier
	buffer_gl0_inv
	ds_load_2addr_b64 v[25:28], v63 offset1:1
	ds_load_2addr_b64 v[21:24], v63 offset0:2 offset1:3
	ds_load_2addr_b64 v[17:20], v63 offset0:4 offset1:5
	;; [unrolled: 1-line block ×6, first 2 shown]
	ds_load_b64 v[57:58], v63 offset:112
	s_waitcnt lgkmcnt(0)
	s_barrier
	buffer_gl0_inv
	s_clause 0xe
	flat_load_b64 v[29:30], v[31:32]
	flat_load_b64 v[31:32], v[31:32] offset:2048
	flat_load_b64 v[47:48], v[33:34]
	flat_load_b64 v[33:34], v[33:34] offset:2048
	;; [unrolled: 2-line block ×7, first 2 shown]
	flat_load_b64 v[45:46], v[45:46]
	s_waitcnt vmcnt(13) lgkmcnt(13)
	ds_store_2addr_stride64_b64 v64, v[29:30], v[31:32] offset1:4
	s_waitcnt vmcnt(11) lgkmcnt(12)
	ds_store_2addr_stride64_b64 v64, v[47:48], v[33:34] offset0:8 offset1:12
	s_waitcnt vmcnt(9) lgkmcnt(11)
	ds_store_2addr_stride64_b64 v64, v[49:50], v[35:36] offset0:16 offset1:20
	;; [unrolled: 2-line block ×6, first 2 shown]
	s_waitcnt vmcnt(0) lgkmcnt(7)
	ds_store_b64 v64, v[45:46] offset:28672
	s_waitcnt lgkmcnt(0)
	s_barrier
	s_and_not1_b32 vcc_lo, exec_lo, s0
	s_add_i32 s28, s28, s48
	s_cbranch_vccz .LBB542_7
	s_branch .LBB542_54
.LBB542_6:
                                        ; implicit-def: $vgpr63
                                        ; implicit-def: $vgpr25_vgpr26
                                        ; implicit-def: $vgpr21_vgpr22
                                        ; implicit-def: $vgpr17_vgpr18
                                        ; implicit-def: $vgpr13_vgpr14
                                        ; implicit-def: $vgpr9_vgpr10
                                        ; implicit-def: $vgpr5_vgpr6
                                        ; implicit-def: $vgpr1_vgpr2
                                        ; implicit-def: $vgpr57_vgpr58
	s_add_i32 s28, s28, s48
.LBB542_7:
	s_delay_alu instid0(SALU_CYCLE_1)
	v_cmp_gt_u32_e32 vcc_lo, s28, v0
                                        ; implicit-def: $vgpr1_vgpr2
	s_and_saveexec_b32 s1, vcc_lo
	s_cbranch_execz .LBB542_9
; %bb.8:
	v_lshlrev_b32_e32 v1, 3, v0
	s_delay_alu instid0(VALU_DEP_1) | instskip(NEXT) | instid1(VALU_DEP_1)
	v_add_co_u32 v1, s0, v71, v1
	v_add_co_ci_u32_e64 v2, s0, 0, v75, s0
	flat_load_b64 v[1:2], v[1:2]
.LBB542_9:
	s_or_b32 exec_lo, exec_lo, s1
	v_or_b32_e32 v3, 0x100, v0
	s_delay_alu instid0(VALU_DEP_1) | instskip(NEXT) | instid1(VALU_DEP_1)
	v_cmp_gt_u32_e64 s0, s28, v3
                                        ; implicit-def: $vgpr3_vgpr4
	s_and_saveexec_b32 s4, s0
	s_cbranch_execz .LBB542_11
; %bb.10:
	v_lshlrev_b32_e32 v3, 3, v0
	s_delay_alu instid0(VALU_DEP_1) | instskip(NEXT) | instid1(VALU_DEP_1)
	v_add_co_u32 v3, s1, v71, v3
	v_add_co_ci_u32_e64 v4, s1, 0, v75, s1
	flat_load_b64 v[3:4], v[3:4] offset:2048
.LBB542_11:
	s_or_b32 exec_lo, exec_lo, s4
	v_or_b32_e32 v5, 0x200, v0
	s_delay_alu instid0(VALU_DEP_1) | instskip(SKIP_1) | instid1(VALU_DEP_2)
	v_cmp_gt_u32_e64 s1, s28, v5
	v_lshlrev_b32_e32 v35, 3, v5
                                        ; implicit-def: $vgpr5_vgpr6
	s_and_saveexec_b32 s5, s1
	s_cbranch_execz .LBB542_13
; %bb.12:
	s_delay_alu instid0(VALU_DEP_1) | instskip(NEXT) | instid1(VALU_DEP_1)
	v_add_co_u32 v5, s4, v71, v35
	v_add_co_ci_u32_e64 v6, s4, 0, v75, s4
	flat_load_b64 v[5:6], v[5:6]
.LBB542_13:
	s_or_b32 exec_lo, exec_lo, s5
	v_or_b32_e32 v7, 0x300, v0
	s_delay_alu instid0(VALU_DEP_1) | instskip(SKIP_1) | instid1(VALU_DEP_2)
	v_cmp_gt_u32_e64 s4, s28, v7
	v_lshlrev_b32_e32 v37, 3, v7
                                        ; implicit-def: $vgpr7_vgpr8
	s_and_saveexec_b32 s6, s4
	s_cbranch_execz .LBB542_15
; %bb.14:
	s_delay_alu instid0(VALU_DEP_1) | instskip(NEXT) | instid1(VALU_DEP_1)
	v_add_co_u32 v7, s5, v71, v37
	v_add_co_ci_u32_e64 v8, s5, 0, v75, s5
	flat_load_b64 v[7:8], v[7:8]
.LBB542_15:
	s_or_b32 exec_lo, exec_lo, s6
	v_or_b32_e32 v9, 0x400, v0
	s_delay_alu instid0(VALU_DEP_1) | instskip(SKIP_1) | instid1(VALU_DEP_2)
	v_cmp_gt_u32_e64 s5, s28, v9
	v_lshlrev_b32_e32 v39, 3, v9
                                        ; implicit-def: $vgpr9_vgpr10
	s_and_saveexec_b32 s7, s5
	s_cbranch_execz .LBB542_17
; %bb.16:
	s_delay_alu instid0(VALU_DEP_1) | instskip(NEXT) | instid1(VALU_DEP_1)
	v_add_co_u32 v9, s6, v71, v39
	v_add_co_ci_u32_e64 v10, s6, 0, v75, s6
	flat_load_b64 v[9:10], v[9:10]
.LBB542_17:
	s_or_b32 exec_lo, exec_lo, s7
	v_or_b32_e32 v11, 0x500, v0
	s_delay_alu instid0(VALU_DEP_1) | instskip(SKIP_1) | instid1(VALU_DEP_2)
	v_cmp_gt_u32_e64 s6, s28, v11
	v_lshlrev_b32_e32 v41, 3, v11
                                        ; implicit-def: $vgpr11_vgpr12
	s_and_saveexec_b32 s8, s6
	s_cbranch_execz .LBB542_19
; %bb.18:
	s_delay_alu instid0(VALU_DEP_1) | instskip(NEXT) | instid1(VALU_DEP_1)
	v_add_co_u32 v11, s7, v71, v41
	v_add_co_ci_u32_e64 v12, s7, 0, v75, s7
	flat_load_b64 v[11:12], v[11:12]
.LBB542_19:
	s_or_b32 exec_lo, exec_lo, s8
	v_or_b32_e32 v13, 0x600, v0
	s_delay_alu instid0(VALU_DEP_1) | instskip(SKIP_1) | instid1(VALU_DEP_2)
	v_cmp_gt_u32_e64 s7, s28, v13
	v_lshlrev_b32_e32 v43, 3, v13
                                        ; implicit-def: $vgpr13_vgpr14
	s_and_saveexec_b32 s9, s7
	s_cbranch_execz .LBB542_21
; %bb.20:
	s_delay_alu instid0(VALU_DEP_1) | instskip(NEXT) | instid1(VALU_DEP_1)
	v_add_co_u32 v13, s8, v71, v43
	v_add_co_ci_u32_e64 v14, s8, 0, v75, s8
	flat_load_b64 v[13:14], v[13:14]
.LBB542_21:
	s_or_b32 exec_lo, exec_lo, s9
	v_or_b32_e32 v15, 0x700, v0
	s_delay_alu instid0(VALU_DEP_1) | instskip(SKIP_1) | instid1(VALU_DEP_2)
	v_cmp_gt_u32_e64 s8, s28, v15
	v_lshlrev_b32_e32 v45, 3, v15
                                        ; implicit-def: $vgpr15_vgpr16
	s_and_saveexec_b32 s10, s8
	s_cbranch_execz .LBB542_23
; %bb.22:
	s_delay_alu instid0(VALU_DEP_1) | instskip(NEXT) | instid1(VALU_DEP_1)
	v_add_co_u32 v15, s9, v71, v45
	v_add_co_ci_u32_e64 v16, s9, 0, v75, s9
	flat_load_b64 v[15:16], v[15:16]
.LBB542_23:
	s_or_b32 exec_lo, exec_lo, s10
	v_or_b32_e32 v17, 0x800, v0
	s_delay_alu instid0(VALU_DEP_1) | instskip(SKIP_1) | instid1(VALU_DEP_2)
	v_cmp_gt_u32_e64 s9, s28, v17
	v_lshlrev_b32_e32 v47, 3, v17
                                        ; implicit-def: $vgpr17_vgpr18
	s_and_saveexec_b32 s11, s9
	s_cbranch_execz .LBB542_25
; %bb.24:
	s_delay_alu instid0(VALU_DEP_1) | instskip(NEXT) | instid1(VALU_DEP_1)
	v_add_co_u32 v17, s10, v71, v47
	v_add_co_ci_u32_e64 v18, s10, 0, v75, s10
	flat_load_b64 v[17:18], v[17:18]
.LBB542_25:
	s_or_b32 exec_lo, exec_lo, s11
	v_or_b32_e32 v19, 0x900, v0
	s_delay_alu instid0(VALU_DEP_1) | instskip(SKIP_1) | instid1(VALU_DEP_2)
	v_cmp_gt_u32_e64 s10, s28, v19
	v_lshlrev_b32_e32 v49, 3, v19
                                        ; implicit-def: $vgpr19_vgpr20
	s_and_saveexec_b32 s12, s10
	s_cbranch_execz .LBB542_27
; %bb.26:
	s_delay_alu instid0(VALU_DEP_1) | instskip(NEXT) | instid1(VALU_DEP_1)
	v_add_co_u32 v19, s11, v71, v49
	v_add_co_ci_u32_e64 v20, s11, 0, v75, s11
	flat_load_b64 v[19:20], v[19:20]
.LBB542_27:
	s_or_b32 exec_lo, exec_lo, s12
	v_or_b32_e32 v21, 0xa00, v0
	s_delay_alu instid0(VALU_DEP_1) | instskip(SKIP_1) | instid1(VALU_DEP_2)
	v_cmp_gt_u32_e64 s11, s28, v21
	v_lshlrev_b32_e32 v51, 3, v21
                                        ; implicit-def: $vgpr21_vgpr22
	s_and_saveexec_b32 s13, s11
	s_cbranch_execz .LBB542_29
; %bb.28:
	s_delay_alu instid0(VALU_DEP_1) | instskip(NEXT) | instid1(VALU_DEP_1)
	v_add_co_u32 v21, s12, v71, v51
	v_add_co_ci_u32_e64 v22, s12, 0, v75, s12
	flat_load_b64 v[21:22], v[21:22]
.LBB542_29:
	s_or_b32 exec_lo, exec_lo, s13
	v_or_b32_e32 v23, 0xb00, v0
	s_delay_alu instid0(VALU_DEP_1) | instskip(SKIP_1) | instid1(VALU_DEP_2)
	v_cmp_gt_u32_e64 s12, s28, v23
	v_lshlrev_b32_e32 v53, 3, v23
                                        ; implicit-def: $vgpr23_vgpr24
	s_and_saveexec_b32 s14, s12
	s_cbranch_execz .LBB542_31
; %bb.30:
	s_delay_alu instid0(VALU_DEP_1) | instskip(NEXT) | instid1(VALU_DEP_1)
	v_add_co_u32 v23, s13, v71, v53
	v_add_co_ci_u32_e64 v24, s13, 0, v75, s13
	flat_load_b64 v[23:24], v[23:24]
.LBB542_31:
	s_or_b32 exec_lo, exec_lo, s14
	v_or_b32_e32 v25, 0xc00, v0
	s_delay_alu instid0(VALU_DEP_1) | instskip(SKIP_1) | instid1(VALU_DEP_2)
	v_cmp_gt_u32_e64 s13, s28, v25
	v_lshlrev_b32_e32 v55, 3, v25
                                        ; implicit-def: $vgpr25_vgpr26
	s_and_saveexec_b32 s15, s13
	s_cbranch_execz .LBB542_33
; %bb.32:
	s_delay_alu instid0(VALU_DEP_1) | instskip(NEXT) | instid1(VALU_DEP_1)
	v_add_co_u32 v25, s14, v71, v55
	v_add_co_ci_u32_e64 v26, s14, 0, v75, s14
	flat_load_b64 v[25:26], v[25:26]
.LBB542_33:
	s_or_b32 exec_lo, exec_lo, s15
	v_or_b32_e32 v27, 0xd00, v0
	s_delay_alu instid0(VALU_DEP_1) | instskip(SKIP_1) | instid1(VALU_DEP_2)
	v_cmp_gt_u32_e64 s14, s28, v27
	v_lshlrev_b32_e32 v59, 3, v27
                                        ; implicit-def: $vgpr27_vgpr28
	s_and_saveexec_b32 s16, s14
	s_cbranch_execz .LBB542_35
; %bb.34:
	s_delay_alu instid0(VALU_DEP_1) | instskip(NEXT) | instid1(VALU_DEP_1)
	v_add_co_u32 v27, s15, v71, v59
	v_add_co_ci_u32_e64 v28, s15, 0, v75, s15
	flat_load_b64 v[27:28], v[27:28]
.LBB542_35:
	s_or_b32 exec_lo, exec_lo, s16
	v_or_b32_e32 v29, 0xe00, v0
	s_delay_alu instid0(VALU_DEP_1) | instskip(SKIP_1) | instid1(VALU_DEP_2)
	v_cmp_gt_u32_e64 s15, s28, v29
	v_lshlrev_b32_e32 v65, 3, v29
                                        ; implicit-def: $vgpr29_vgpr30
	s_and_saveexec_b32 s29, s15
	s_cbranch_execz .LBB542_37
; %bb.36:
	s_delay_alu instid0(VALU_DEP_1) | instskip(NEXT) | instid1(VALU_DEP_1)
	v_add_co_u32 v29, s16, v71, v65
	v_add_co_ci_u32_e64 v30, s16, 0, v75, s16
	flat_load_b64 v[29:30], v[29:30]
.LBB542_37:
	s_or_b32 exec_lo, exec_lo, s29
	v_lshlrev_b32_e32 v64, 3, v0
	s_waitcnt vmcnt(0) lgkmcnt(0)
	ds_store_2addr_stride64_b64 v64, v[1:2], v[3:4] offset1:4
	ds_store_2addr_stride64_b64 v64, v[5:6], v[7:8] offset0:8 offset1:12
	ds_store_2addr_stride64_b64 v64, v[9:10], v[11:12] offset0:16 offset1:20
	;; [unrolled: 1-line block ×6, first 2 shown]
	v_mad_u32_u24 v63, 0x70, v0, v64
	ds_store_b64 v64, v[29:30] offset:28672
	s_waitcnt lgkmcnt(0)
	s_barrier
	buffer_gl0_inv
	ds_load_2addr_b64 v[25:28], v63 offset1:1
	ds_load_2addr_b64 v[21:24], v63 offset0:2 offset1:3
	ds_load_2addr_b64 v[17:20], v63 offset0:4 offset1:5
	;; [unrolled: 1-line block ×6, first 2 shown]
	ds_load_b64 v[57:58], v63 offset:112
	s_waitcnt lgkmcnt(0)
	s_barrier
	buffer_gl0_inv
                                        ; implicit-def: $vgpr29_vgpr30
	s_and_saveexec_b32 s16, vcc_lo
	s_cbranch_execnz .LBB542_61
; %bb.38:
	s_or_b32 exec_lo, exec_lo, s16
                                        ; implicit-def: $vgpr31_vgpr32
	s_and_saveexec_b32 s16, s0
	s_cbranch_execnz .LBB542_62
.LBB542_39:
	s_or_b32 exec_lo, exec_lo, s16
                                        ; implicit-def: $vgpr33_vgpr34
	s_and_saveexec_b32 s0, s1
	s_cbranch_execnz .LBB542_63
.LBB542_40:
	s_or_b32 exec_lo, exec_lo, s0
                                        ; implicit-def: $vgpr35_vgpr36
	s_and_saveexec_b32 s0, s4
	s_cbranch_execnz .LBB542_64
.LBB542_41:
	s_or_b32 exec_lo, exec_lo, s0
                                        ; implicit-def: $vgpr37_vgpr38
	s_and_saveexec_b32 s0, s5
	s_cbranch_execnz .LBB542_65
.LBB542_42:
	s_or_b32 exec_lo, exec_lo, s0
                                        ; implicit-def: $vgpr39_vgpr40
	s_and_saveexec_b32 s0, s6
	s_cbranch_execnz .LBB542_66
.LBB542_43:
	s_or_b32 exec_lo, exec_lo, s0
                                        ; implicit-def: $vgpr41_vgpr42
	s_and_saveexec_b32 s0, s7
	s_cbranch_execnz .LBB542_67
.LBB542_44:
	s_or_b32 exec_lo, exec_lo, s0
                                        ; implicit-def: $vgpr43_vgpr44
	s_and_saveexec_b32 s0, s8
	s_cbranch_execnz .LBB542_68
.LBB542_45:
	s_or_b32 exec_lo, exec_lo, s0
                                        ; implicit-def: $vgpr45_vgpr46
	s_and_saveexec_b32 s0, s9
	s_cbranch_execnz .LBB542_69
.LBB542_46:
	s_or_b32 exec_lo, exec_lo, s0
                                        ; implicit-def: $vgpr47_vgpr48
	s_and_saveexec_b32 s0, s10
	s_cbranch_execnz .LBB542_70
.LBB542_47:
	s_or_b32 exec_lo, exec_lo, s0
                                        ; implicit-def: $vgpr49_vgpr50
	s_and_saveexec_b32 s0, s11
	s_cbranch_execnz .LBB542_71
.LBB542_48:
	s_or_b32 exec_lo, exec_lo, s0
                                        ; implicit-def: $vgpr51_vgpr52
	s_and_saveexec_b32 s0, s12
	s_cbranch_execnz .LBB542_72
.LBB542_49:
	s_or_b32 exec_lo, exec_lo, s0
                                        ; implicit-def: $vgpr53_vgpr54
	s_and_saveexec_b32 s0, s13
	s_cbranch_execnz .LBB542_73
.LBB542_50:
	s_or_b32 exec_lo, exec_lo, s0
                                        ; implicit-def: $vgpr55_vgpr56
	s_and_saveexec_b32 s0, s14
	s_cbranch_execnz .LBB542_74
.LBB542_51:
	s_or_b32 exec_lo, exec_lo, s0
                                        ; implicit-def: $vgpr59_vgpr60
	s_and_saveexec_b32 s0, s15
	s_cbranch_execz .LBB542_53
.LBB542_52:
	v_add_co_u32 v59, vcc_lo, v61, v65
	v_add_co_ci_u32_e32 v60, vcc_lo, 0, v62, vcc_lo
	flat_load_b64 v[59:60], v[59:60]
.LBB542_53:
	s_or_b32 exec_lo, exec_lo, s0
	s_waitcnt vmcnt(0) lgkmcnt(0)
	ds_store_2addr_stride64_b64 v64, v[29:30], v[31:32] offset1:4
	ds_store_2addr_stride64_b64 v64, v[33:34], v[35:36] offset0:8 offset1:12
	ds_store_2addr_stride64_b64 v64, v[37:38], v[39:40] offset0:16 offset1:20
	;; [unrolled: 1-line block ×6, first 2 shown]
	ds_store_b64 v64, v[59:60] offset:28672
	s_waitcnt lgkmcnt(0)
	s_barrier
.LBB542_54:
	buffer_gl0_inv
	ds_load_2addr_b64 v[53:56], v63 offset1:1
	ds_load_2addr_b64 v[49:52], v63 offset0:2 offset1:3
	ds_load_2addr_b64 v[45:48], v63 offset0:4 offset1:5
	;; [unrolled: 1-line block ×6, first 2 shown]
	ds_load_b64 v[73:74], v63 offset:112
	s_cmp_eq_u64 s[26:27], 0
	s_waitcnt lgkmcnt(0)
	s_cselect_b32 s29, -1, 0
	s_cmp_lg_u64 s[26:27], 0
	s_barrier
	s_cselect_b32 s16, -1, 0
	s_and_b32 vcc_lo, exec_lo, s31
	buffer_gl0_inv
	s_cbranch_vccz .LBB542_60
; %bb.55:
	s_and_b32 vcc_lo, exec_lo, s16
	s_cbranch_vccz .LBB542_75
; %bb.56:
	v_add_co_u32 v59, vcc_lo, -8, v71
	v_add_co_ci_u32_e32 v60, vcc_lo, -1, v75, vcc_lo
	v_mul_hi_i32 v61, 0x66666667, v57
	v_mul_hi_i32 v62, 0x66666667, v1
	;; [unrolled: 1-line block ×3, first 2 shown]
	flat_load_b64 v[59:60], v[59:60]
	s_waitcnt vmcnt(0) lgkmcnt(0)
	v_mul_hi_i32 v60, 0x66666667, v3
	v_mul_hi_i32 v68, 0x66666667, v5
	;; [unrolled: 1-line block ×3, first 2 shown]
	s_mov_b32 s15, -1
	v_lshrrev_b32_e32 v65, 31, v61
	v_ashrrev_i32_e32 v61, 2, v61
	v_lshrrev_b32_e32 v66, 31, v62
	v_ashrrev_i32_e32 v62, 2, v62
	;; [unrolled: 2-line block ×3, first 2 shown]
	v_add_nc_u32_e32 v61, v61, v65
	v_lshrrev_b32_e32 v65, 31, v67
	v_add_nc_u32_e32 v62, v62, v66
	v_ashrrev_i32_e32 v66, 2, v67
	v_add_nc_u32_e32 v63, v64, v63
	v_mul_hi_i32 v64, 0x66666667, v11
	v_lshrrev_b32_e32 v67, 31, v68
	v_ashrrev_i32_e32 v68, 2, v68
	v_lshlrev_b32_e32 v60, 3, v0
	v_cmp_ne_u32_e32 vcc_lo, v63, v61
	v_add_nc_u32_e32 v61, v66, v65
	v_cmp_ne_u32_e64 s0, v62, v63
	v_add_nc_u32_e32 v63, v68, v67
	v_lshrrev_b32_e32 v70, 31, v64
	v_ashrrev_i32_e32 v64, 2, v64
	v_mul_hi_i32 v66, 0x66666667, v15
	v_mul_hi_i32 v68, 0x66666667, v13
	v_cmp_ne_u32_e64 s1, v61, v62
	v_mul_hi_i32 v62, 0x66666667, v19
	v_add_nc_u32_e32 v64, v64, v70
	v_lshrrev_b32_e32 v65, 31, v69
	v_ashrrev_i32_e32 v67, 2, v69
	v_cmp_ne_u32_e64 s4, v63, v61
	ds_store_b64 v60, v[57:58]
	v_cmp_ne_u32_e64 s5, v64, v63
	v_lshrrev_b32_e32 v63, 31, v66
	v_add_nc_u32_e32 v61, v67, v65
	v_ashrrev_i32_e32 v65, 2, v66
	v_lshrrev_b32_e32 v66, 31, v68
	v_ashrrev_i32_e32 v67, 2, v68
	v_lshrrev_b32_e32 v68, 31, v62
	v_ashrrev_i32_e32 v62, 2, v62
	v_add_nc_u32_e32 v63, v65, v63
	v_cmp_ne_u32_e64 s6, v61, v64
	v_add_nc_u32_e32 v64, v67, v66
	v_mul_hi_i32 v65, 0x66666667, v17
	v_add_nc_u32_e32 v62, v62, v68
	v_cmp_ne_u32_e64 s7, v63, v61
	v_mul_hi_i32 v61, 0x66666667, v23
	v_cmp_ne_u32_e64 s8, v64, v63
	v_mul_hi_i32 v63, 0x66666667, v21
	;; [unrolled: 2-line block ×3, first 2 shown]
	v_mul_hi_i32 v67, 0x66666667, v25
	v_lshrrev_b32_e32 v66, 31, v65
	v_ashrrev_i32_e32 v65, 2, v65
	v_lshrrev_b32_e32 v68, 31, v61
	v_ashrrev_i32_e32 v61, 2, v61
	;; [unrolled: 2-line block ×5, first 2 shown]
	v_add_nc_u32_e32 v65, v65, v66
	v_add_nc_u32_e32 v61, v61, v68
	;; [unrolled: 1-line block ×5, first 2 shown]
	v_cmp_ne_u32_e64 s14, v65, v62
	v_cmp_ne_u32_e64 s10, v61, v65
	;; [unrolled: 1-line block ×5, first 2 shown]
	s_waitcnt lgkmcnt(0)
	s_barrier
	buffer_gl0_inv
	s_and_saveexec_b32 s31, s3
	s_cbranch_execz .LBB542_58
; %bb.57:
	v_add_nc_u32_e32 v59, -8, v60
	ds_load_b64 v[59:60], v59
.LBB542_58:
	s_or_b32 exec_lo, exec_lo, s31
	s_waitcnt lgkmcnt(0)
	v_mul_hi_i32 v59, 0x66666667, v59
	v_cndmask_b32_e64 v111, 0, 1, vcc_lo
	v_cndmask_b32_e64 v76, 0, 1, s0
	v_cndmask_b32_e64 v112, 0, 1, s1
	;; [unrolled: 1-line block ×6, first 2 shown]
	v_lshrrev_b32_e32 v64, 31, v59
	v_ashrrev_i32_e32 v59, 2, v59
	v_cndmask_b32_e64 v66, 0, 1, s8
	v_cndmask_b32_e64 v65, 0, 1, s9
	;; [unrolled: 1-line block ×4, first 2 shown]
	v_add_nc_u32_e32 v59, v59, v64
	v_cndmask_b32_e64 v70, 0, 1, s11
	v_cndmask_b32_e64 v69, 0, 1, s12
	;; [unrolled: 1-line block ×3, first 2 shown]
	s_delay_alu instid0(VALU_DEP_4)
	v_cmp_ne_u32_e64 s4, v59, v63
.LBB542_59:
                                        ; implicit-def: $sgpr0
	s_branch .LBB542_79
.LBB542_60:
	s_mov_b32 s15, 0
                                        ; implicit-def: $sgpr4
                                        ; implicit-def: $vgpr111
                                        ; implicit-def: $vgpr76
                                        ; implicit-def: $vgpr112
                                        ; implicit-def: $vgpr60
                                        ; implicit-def: $vgpr113
                                        ; implicit-def: $vgpr62
                                        ; implicit-def: $vgpr61
                                        ; implicit-def: $vgpr66
                                        ; implicit-def: $vgpr65
                                        ; implicit-def: $vgpr68
                                        ; implicit-def: $vgpr67
                                        ; implicit-def: $vgpr70
                                        ; implicit-def: $vgpr69
                                        ; implicit-def: $vgpr72
                                        ; implicit-def: $vgpr64
                                        ; implicit-def: $sgpr0
	s_cbranch_execnz .LBB542_80
	s_branch .LBB542_115
.LBB542_61:
	v_add_co_u32 v29, vcc_lo, v61, v64
	v_add_co_ci_u32_e32 v30, vcc_lo, 0, v62, vcc_lo
	flat_load_b64 v[29:30], v[29:30]
	s_or_b32 exec_lo, exec_lo, s16
                                        ; implicit-def: $vgpr31_vgpr32
	s_and_saveexec_b32 s16, s0
	s_cbranch_execz .LBB542_39
.LBB542_62:
	v_add_co_u32 v31, vcc_lo, v61, v64
	v_add_co_ci_u32_e32 v32, vcc_lo, 0, v62, vcc_lo
	flat_load_b64 v[31:32], v[31:32] offset:2048
	s_or_b32 exec_lo, exec_lo, s16
                                        ; implicit-def: $vgpr33_vgpr34
	s_and_saveexec_b32 s0, s1
	s_cbranch_execz .LBB542_40
.LBB542_63:
	v_add_co_u32 v33, vcc_lo, v61, v35
	v_add_co_ci_u32_e32 v34, vcc_lo, 0, v62, vcc_lo
	flat_load_b64 v[33:34], v[33:34]
	s_or_b32 exec_lo, exec_lo, s0
                                        ; implicit-def: $vgpr35_vgpr36
	s_and_saveexec_b32 s0, s4
	s_cbranch_execz .LBB542_41
.LBB542_64:
	v_add_co_u32 v35, vcc_lo, v61, v37
	v_add_co_ci_u32_e32 v36, vcc_lo, 0, v62, vcc_lo
	flat_load_b64 v[35:36], v[35:36]
	s_or_b32 exec_lo, exec_lo, s0
                                        ; implicit-def: $vgpr37_vgpr38
	s_and_saveexec_b32 s0, s5
	s_cbranch_execz .LBB542_42
.LBB542_65:
	v_add_co_u32 v37, vcc_lo, v61, v39
	v_add_co_ci_u32_e32 v38, vcc_lo, 0, v62, vcc_lo
	flat_load_b64 v[37:38], v[37:38]
	s_or_b32 exec_lo, exec_lo, s0
                                        ; implicit-def: $vgpr39_vgpr40
	s_and_saveexec_b32 s0, s6
	s_cbranch_execz .LBB542_43
.LBB542_66:
	v_add_co_u32 v39, vcc_lo, v61, v41
	v_add_co_ci_u32_e32 v40, vcc_lo, 0, v62, vcc_lo
	flat_load_b64 v[39:40], v[39:40]
	s_or_b32 exec_lo, exec_lo, s0
                                        ; implicit-def: $vgpr41_vgpr42
	s_and_saveexec_b32 s0, s7
	s_cbranch_execz .LBB542_44
.LBB542_67:
	v_add_co_u32 v41, vcc_lo, v61, v43
	v_add_co_ci_u32_e32 v42, vcc_lo, 0, v62, vcc_lo
	flat_load_b64 v[41:42], v[41:42]
	s_or_b32 exec_lo, exec_lo, s0
                                        ; implicit-def: $vgpr43_vgpr44
	s_and_saveexec_b32 s0, s8
	s_cbranch_execz .LBB542_45
.LBB542_68:
	v_add_co_u32 v43, vcc_lo, v61, v45
	v_add_co_ci_u32_e32 v44, vcc_lo, 0, v62, vcc_lo
	flat_load_b64 v[43:44], v[43:44]
	s_or_b32 exec_lo, exec_lo, s0
                                        ; implicit-def: $vgpr45_vgpr46
	s_and_saveexec_b32 s0, s9
	s_cbranch_execz .LBB542_46
.LBB542_69:
	v_add_co_u32 v45, vcc_lo, v61, v47
	v_add_co_ci_u32_e32 v46, vcc_lo, 0, v62, vcc_lo
	flat_load_b64 v[45:46], v[45:46]
	s_or_b32 exec_lo, exec_lo, s0
                                        ; implicit-def: $vgpr47_vgpr48
	s_and_saveexec_b32 s0, s10
	s_cbranch_execz .LBB542_47
.LBB542_70:
	v_add_co_u32 v47, vcc_lo, v61, v49
	v_add_co_ci_u32_e32 v48, vcc_lo, 0, v62, vcc_lo
	flat_load_b64 v[47:48], v[47:48]
	s_or_b32 exec_lo, exec_lo, s0
                                        ; implicit-def: $vgpr49_vgpr50
	s_and_saveexec_b32 s0, s11
	s_cbranch_execz .LBB542_48
.LBB542_71:
	v_add_co_u32 v49, vcc_lo, v61, v51
	v_add_co_ci_u32_e32 v50, vcc_lo, 0, v62, vcc_lo
	flat_load_b64 v[49:50], v[49:50]
	s_or_b32 exec_lo, exec_lo, s0
                                        ; implicit-def: $vgpr51_vgpr52
	s_and_saveexec_b32 s0, s12
	s_cbranch_execz .LBB542_49
.LBB542_72:
	v_add_co_u32 v51, vcc_lo, v61, v53
	v_add_co_ci_u32_e32 v52, vcc_lo, 0, v62, vcc_lo
	flat_load_b64 v[51:52], v[51:52]
	s_or_b32 exec_lo, exec_lo, s0
                                        ; implicit-def: $vgpr53_vgpr54
	s_and_saveexec_b32 s0, s13
	s_cbranch_execz .LBB542_50
.LBB542_73:
	v_add_co_u32 v53, vcc_lo, v61, v55
	v_add_co_ci_u32_e32 v54, vcc_lo, 0, v62, vcc_lo
	flat_load_b64 v[53:54], v[53:54]
	s_or_b32 exec_lo, exec_lo, s0
                                        ; implicit-def: $vgpr55_vgpr56
	s_and_saveexec_b32 s0, s14
	s_cbranch_execz .LBB542_51
.LBB542_74:
	v_add_co_u32 v55, vcc_lo, v61, v59
	v_add_co_ci_u32_e32 v56, vcc_lo, 0, v62, vcc_lo
	flat_load_b64 v[55:56], v[55:56]
	s_or_b32 exec_lo, exec_lo, s0
                                        ; implicit-def: $vgpr59_vgpr60
	s_and_saveexec_b32 s0, s15
	s_cbranch_execnz .LBB542_52
	s_branch .LBB542_53
.LBB542_75:
	s_mov_b32 s15, 0
                                        ; implicit-def: $sgpr4
                                        ; implicit-def: $vgpr111
                                        ; implicit-def: $vgpr76
                                        ; implicit-def: $vgpr112
                                        ; implicit-def: $vgpr60
                                        ; implicit-def: $vgpr113
                                        ; implicit-def: $vgpr62
                                        ; implicit-def: $vgpr61
                                        ; implicit-def: $vgpr66
                                        ; implicit-def: $vgpr65
                                        ; implicit-def: $vgpr68
                                        ; implicit-def: $vgpr67
                                        ; implicit-def: $vgpr70
                                        ; implicit-def: $vgpr69
                                        ; implicit-def: $vgpr72
	s_cbranch_execz .LBB542_59
; %bb.76:
	v_mul_hi_i32 v59, 0x66666667, v3
	v_mul_hi_i32 v60, 0x66666667, v57
	;; [unrolled: 1-line block ×8, first 2 shown]
	v_lshrrev_b32_e32 v64, 31, v59
	v_ashrrev_i32_e32 v65, 2, v59
	v_lshrrev_b32_e32 v66, 31, v60
	v_ashrrev_i32_e32 v60, 2, v60
	;; [unrolled: 2-line block ×3, first 2 shown]
	v_add_nc_u32_e32 v64, v65, v64
	v_lshrrev_b32_e32 v65, 31, v62
	v_add_nc_u32_e32 v60, v60, v66
	v_ashrrev_i32_e32 v62, 2, v62
	v_add_nc_u32_e32 v61, v61, v67
	v_mul_hi_i32 v67, 0x66666667, v11
	v_lshrrev_b32_e32 v66, 31, v63
	v_cmp_ne_u32_e32 vcc_lo, v64, v60
	v_ashrrev_i32_e32 v63, 2, v63
	v_add_nc_u32_e32 v60, v62, v65
	v_lshrrev_b32_e32 v65, 31, v68
	v_lshrrev_b32_e32 v78, 31, v70
	v_cndmask_b32_e64 v111, 0, 1, vcc_lo
	v_cmp_ne_u32_e32 vcc_lo, v61, v64
	v_add_nc_u32_e32 v62, v63, v66
	v_lshrrev_b32_e32 v63, 31, v67
	v_ashrrev_i32_e32 v64, 2, v67
	v_ashrrev_i32_e32 v66, 2, v68
	v_cndmask_b32_e64 v76, 0, 1, vcc_lo
	v_cmp_ne_u32_e32 vcc_lo, v60, v61
	v_mul_hi_i32 v67, 0x66666667, v15
	v_mul_hi_i32 v68, 0x66666667, v13
	v_add_nc_u32_e32 v61, v64, v63
	v_add_nc_u32_e32 v63, v66, v65
	v_cndmask_b32_e64 v112, 0, 1, vcc_lo
	v_cmp_ne_u32_e32 vcc_lo, v62, v60
	v_ashrrev_i32_e32 v70, 2, v70
	v_lshlrev_b32_e32 v59, 3, v0
	v_lshrrev_b32_e32 v64, 31, v67
	v_ashrrev_i32_e32 v65, 2, v67
	v_lshrrev_b32_e32 v66, 31, v68
	v_ashrrev_i32_e32 v67, 2, v68
	v_mul_hi_i32 v68, 0x66666667, v19
	v_cndmask_b32_e64 v60, 0, 1, vcc_lo
	v_cmp_ne_u32_e32 vcc_lo, v61, v62
	v_add_nc_u32_e32 v64, v65, v64
	v_add_nc_u32_e32 v65, v67, v66
	ds_store_b64 v59, v[57:58]
	s_waitcnt lgkmcnt(0)
	v_cndmask_b32_e64 v113, 0, 1, vcc_lo
	v_cmp_ne_u32_e32 vcc_lo, v63, v61
	v_lshrrev_b32_e32 v66, 31, v68
	v_ashrrev_i32_e32 v67, 2, v68
	v_lshrrev_b32_e32 v68, 31, v69
	v_ashrrev_i32_e32 v69, 2, v69
	v_cndmask_b32_e64 v62, 0, 1, vcc_lo
	v_cmp_ne_u32_e32 vcc_lo, v64, v63
	v_add_nc_u32_e32 v63, v67, v66
	v_mul_hi_i32 v67, 0x66666667, v23
	s_barrier
	buffer_gl0_inv
	v_cndmask_b32_e64 v61, 0, 1, vcc_lo
	v_cmp_ne_u32_e32 vcc_lo, v65, v64
	v_add_nc_u32_e32 v64, v69, v68
	v_mul_hi_i32 v69, 0x66666667, v21
                                        ; implicit-def: $sgpr4
	v_lshrrev_b32_e32 v72, 31, v67
	v_cndmask_b32_e64 v66, 0, 1, vcc_lo
	v_cmp_ne_u32_e32 vcc_lo, v63, v65
	v_ashrrev_i32_e32 v67, 2, v67
	v_lshrrev_b32_e32 v77, 31, v69
	v_cndmask_b32_e64 v65, 0, 1, vcc_lo
	v_cmp_ne_u32_e32 vcc_lo, v64, v63
	v_ashrrev_i32_e32 v69, 2, v69
	v_add_nc_u32_e32 v72, v67, v72
	v_mul_hi_i32 v63, 0x66666667, v25
	v_cndmask_b32_e64 v68, 0, 1, vcc_lo
	s_delay_alu instid0(VALU_DEP_4) | instskip(NEXT) | instid1(VALU_DEP_4)
	v_add_nc_u32_e32 v69, v69, v77
	v_cmp_ne_u32_e32 vcc_lo, v72, v64
	v_add_nc_u32_e32 v77, v70, v78
	v_lshrrev_b32_e32 v79, 31, v63
	v_ashrrev_i32_e32 v63, 2, v63
	v_cndmask_b32_e64 v67, 0, 1, vcc_lo
	v_cmp_ne_u32_e32 vcc_lo, v69, v72
	s_delay_alu instid0(VALU_DEP_3) | instskip(SKIP_3) | instid1(VALU_DEP_4)
	v_add_nc_u32_e32 v63, v63, v79
	v_cndmask_b32_e64 v70, 0, 1, vcc_lo
	v_cmp_ne_u32_e32 vcc_lo, v77, v69
	v_cndmask_b32_e64 v69, 0, 1, vcc_lo
	v_cmp_ne_u32_e32 vcc_lo, v63, v77
	v_cndmask_b32_e64 v72, 0, 1, vcc_lo
	s_and_saveexec_b32 s0, s3
	s_delay_alu instid0(SALU_CYCLE_1)
	s_xor_b32 s0, exec_lo, s0
	s_cbranch_execz .LBB542_78
; %bb.77:
	v_add_nc_u32_e32 v59, -8, v59
	s_or_b32 s15, s15, exec_lo
	ds_load_b32 v59, v59
	s_waitcnt lgkmcnt(0)
	v_mul_hi_i32 v59, 0x66666667, v59
	s_delay_alu instid0(VALU_DEP_1) | instskip(SKIP_1) | instid1(VALU_DEP_1)
	v_lshrrev_b32_e32 v64, 31, v59
	v_ashrrev_i32_e32 v59, 2, v59
	v_add_nc_u32_e32 v59, v59, v64
	s_delay_alu instid0(VALU_DEP_1)
	v_cmp_ne_u32_e32 vcc_lo, v59, v63
	s_and_b32 s4, vcc_lo, exec_lo
.LBB542_78:
	s_or_b32 exec_lo, exec_lo, s0
	s_mov_b32 s0, 1
.LBB542_79:
	v_mov_b32_e32 v64, v76
	s_branch .LBB542_115
.LBB542_80:
	s_mul_hi_u32 s0, s26, 0xfffff100
	s_mul_i32 s1, s27, 0xfffff100
	s_sub_i32 s0, s0, s26
	s_mul_i32 s4, s26, 0xfffff100
	v_mul_u32_u24_e32 v77, 15, v0
	v_mad_u32_u24 v63, v0, 15, 14
	s_add_i32 s1, s0, s1
	s_add_u32 s0, s4, s48
	s_addc_u32 s1, s1, s49
	s_and_b32 vcc_lo, exec_lo, s16
	s_cbranch_vccz .LBB542_248
; %bb.81:
	v_add_co_u32 v59, vcc_lo, -8, v71
	v_add_co_ci_u32_e32 v60, vcc_lo, -1, v75, vcc_lo
	v_dual_mov_b32 v76, 0 :: v_dual_mov_b32 v111, 0
	v_lshlrev_b32_e32 v78, 3, v0
	flat_load_b64 v[79:80], v[59:60]
	s_mov_b32 s4, exec_lo
	v_mov_b32_e32 v64, v76
	ds_store_b64 v78, v[57:58]
	v_cmpx_gt_u64_e64 s[0:1], v[63:64]
; %bb.82:
	v_mul_hi_i32 v59, 0x66666667, v3
	v_mul_hi_i32 v60, 0x66666667, v57
	s_delay_alu instid0(VALU_DEP_2) | instskip(SKIP_1) | instid1(VALU_DEP_3)
	v_lshrrev_b32_e32 v61, 31, v59
	v_ashrrev_i32_e32 v59, 2, v59
	v_lshrrev_b32_e32 v62, 31, v60
	v_ashrrev_i32_e32 v60, 2, v60
	s_delay_alu instid0(VALU_DEP_3) | instskip(NEXT) | instid1(VALU_DEP_2)
	v_add_nc_u32_e32 v59, v59, v61
	v_add_nc_u32_e32 v60, v60, v62
	s_delay_alu instid0(VALU_DEP_1)
	v_cmp_ne_u32_e32 vcc_lo, v59, v60
	v_cndmask_b32_e64 v111, 0, 1, vcc_lo
; %bb.83:
	s_or_b32 exec_lo, exec_lo, s4
	v_add_nc_u32_e32 v75, 13, v77
	s_mov_b32 s4, exec_lo
	s_delay_alu instid0(VALU_DEP_1)
	v_cmpx_gt_u64_e64 s[0:1], v[75:76]
; %bb.84:
	v_mul_hi_i32 v59, 0x66666667, v1
	v_mul_hi_i32 v60, 0x66666667, v3
	s_delay_alu instid0(VALU_DEP_2) | instskip(SKIP_1) | instid1(VALU_DEP_3)
	v_lshrrev_b32_e32 v61, 31, v59
	v_ashrrev_i32_e32 v59, 2, v59
	v_lshrrev_b32_e32 v62, 31, v60
	v_ashrrev_i32_e32 v60, 2, v60
	s_delay_alu instid0(VALU_DEP_3) | instskip(NEXT) | instid1(VALU_DEP_2)
	v_add_nc_u32_e32 v59, v59, v61
	v_add_nc_u32_e32 v60, v60, v62
	s_delay_alu instid0(VALU_DEP_1)
	v_cmp_ne_u32_e32 vcc_lo, v59, v60
	v_cndmask_b32_e64 v76, 0, 1, vcc_lo
; %bb.85:
	s_or_b32 exec_lo, exec_lo, s4
	v_dual_mov_b32 v60, 0 :: v_dual_add_nc_u32 v59, 12, v77
	v_mov_b32_e32 v112, 0
	s_mov_b32 s4, exec_lo
	s_delay_alu instid0(VALU_DEP_2)
	v_cmpx_gt_u64_e64 s[0:1], v[59:60]
; %bb.86:
	v_mul_hi_i32 v59, 0x66666667, v7
	v_mul_hi_i32 v61, 0x66666667, v1
	s_delay_alu instid0(VALU_DEP_2) | instskip(SKIP_1) | instid1(VALU_DEP_3)
	v_lshrrev_b32_e32 v62, 31, v59
	v_ashrrev_i32_e32 v59, 2, v59
	v_lshrrev_b32_e32 v64, 31, v61
	v_ashrrev_i32_e32 v61, 2, v61
	s_delay_alu instid0(VALU_DEP_3) | instskip(NEXT) | instid1(VALU_DEP_2)
	v_add_nc_u32_e32 v59, v59, v62
	v_add_nc_u32_e32 v61, v61, v64
	s_delay_alu instid0(VALU_DEP_1)
	v_cmp_ne_u32_e32 vcc_lo, v59, v61
	v_cndmask_b32_e64 v112, 0, 1, vcc_lo
; %bb.87:
	s_or_b32 exec_lo, exec_lo, s4
	v_add_nc_u32_e32 v59, 11, v77
	s_mov_b32 s4, exec_lo
	s_delay_alu instid0(VALU_DEP_1)
	v_cmpx_gt_u64_e64 s[0:1], v[59:60]
; %bb.88:
	v_mul_hi_i32 v59, 0x66666667, v5
	v_mul_hi_i32 v60, 0x66666667, v7
	s_delay_alu instid0(VALU_DEP_2) | instskip(SKIP_1) | instid1(VALU_DEP_3)
	v_lshrrev_b32_e32 v61, 31, v59
	v_ashrrev_i32_e32 v59, 2, v59
	v_lshrrev_b32_e32 v62, 31, v60
	v_ashrrev_i32_e32 v60, 2, v60
	s_delay_alu instid0(VALU_DEP_3) | instskip(NEXT) | instid1(VALU_DEP_2)
	v_add_nc_u32_e32 v59, v59, v61
	v_add_nc_u32_e32 v60, v60, v62
	s_delay_alu instid0(VALU_DEP_1)
	v_cmp_ne_u32_e32 vcc_lo, v59, v60
	v_cndmask_b32_e64 v60, 0, 1, vcc_lo
; %bb.89:
	s_or_b32 exec_lo, exec_lo, s4
	v_dual_mov_b32 v62, 0 :: v_dual_add_nc_u32 v61, 10, v77
	v_mov_b32_e32 v113, 0
	s_mov_b32 s4, exec_lo
	s_delay_alu instid0(VALU_DEP_2)
	;; [unrolled: 41-line block ×6, first 2 shown]
	v_cmpx_gt_u64_e64 s[0:1], v[71:72]
; %bb.106:
	v_mul_hi_i32 v59, 0x66666667, v27
	v_mul_hi_i32 v64, 0x66666667, v21
	s_delay_alu instid0(VALU_DEP_2) | instskip(SKIP_1) | instid1(VALU_DEP_3)
	v_lshrrev_b32_e32 v69, 31, v59
	v_ashrrev_i32_e32 v59, 2, v59
	v_lshrrev_b32_e32 v71, 31, v64
	v_ashrrev_i32_e32 v64, 2, v64
	s_delay_alu instid0(VALU_DEP_3) | instskip(NEXT) | instid1(VALU_DEP_2)
	v_add_nc_u32_e32 v59, v59, v69
	v_add_nc_u32_e32 v64, v64, v71
	s_delay_alu instid0(VALU_DEP_1)
	v_cmp_ne_u32_e32 vcc_lo, v59, v64
	v_cndmask_b32_e64 v69, 0, 1, vcc_lo
; %bb.107:
	s_or_b32 exec_lo, exec_lo, s4
	v_add_nc_u32_e32 v71, 1, v77
	s_mov_b32 s4, exec_lo
	s_delay_alu instid0(VALU_DEP_1)
	v_cmpx_gt_u64_e64 s[0:1], v[71:72]
; %bb.108:
	v_mul_hi_i32 v59, 0x66666667, v25
	v_mul_hi_i32 v64, 0x66666667, v27
	s_delay_alu instid0(VALU_DEP_2) | instskip(SKIP_1) | instid1(VALU_DEP_3)
	v_lshrrev_b32_e32 v71, 31, v59
	v_ashrrev_i32_e32 v59, 2, v59
	v_lshrrev_b32_e32 v72, 31, v64
	v_ashrrev_i32_e32 v64, 2, v64
	s_delay_alu instid0(VALU_DEP_3) | instskip(NEXT) | instid1(VALU_DEP_2)
	v_add_nc_u32_e32 v59, v59, v71
	v_add_nc_u32_e32 v64, v64, v72
	s_delay_alu instid0(VALU_DEP_1)
	v_cmp_ne_u32_e32 vcc_lo, v59, v64
	v_cndmask_b32_e64 v72, 0, 1, vcc_lo
; %bb.109:
	s_or_b32 exec_lo, exec_lo, s4
	s_waitcnt vmcnt(0) lgkmcnt(0)
	s_barrier
	buffer_gl0_inv
	s_and_saveexec_b32 s4, s3
	s_cbranch_execz .LBB542_111
; %bb.110:
	v_add_nc_u32_e32 v59, -8, v78
	ds_load_b64 v[79:80], v59
.LBB542_111:
	s_or_b32 exec_lo, exec_lo, s4
	v_mov_b32_e32 v78, 0
	s_mov_b32 s5, 0
	s_mov_b32 s4, 0
	s_mov_b32 s6, exec_lo
	s_delay_alu instid0(VALU_DEP_1)
	v_cmpx_gt_u64_e64 s[0:1], v[77:78]
	s_cbranch_execz .LBB542_113
; %bb.112:
	s_waitcnt lgkmcnt(0)
	v_mul_hi_i32 v59, 0x66666667, v79
	v_mul_hi_i32 v64, 0x66666667, v25
	s_delay_alu instid0(VALU_DEP_2) | instskip(SKIP_1) | instid1(VALU_DEP_3)
	v_lshrrev_b32_e32 v71, 31, v59
	v_ashrrev_i32_e32 v59, 2, v59
	v_lshrrev_b32_e32 v75, 31, v64
	v_ashrrev_i32_e32 v64, 2, v64
	s_delay_alu instid0(VALU_DEP_3) | instskip(NEXT) | instid1(VALU_DEP_2)
	v_add_nc_u32_e32 v59, v59, v71
	v_add_nc_u32_e32 v64, v64, v75
	s_delay_alu instid0(VALU_DEP_1)
	v_cmp_ne_u32_e32 vcc_lo, v59, v64
	s_and_b32 s4, vcc_lo, exec_lo
.LBB542_113:
	s_or_b32 exec_lo, exec_lo, s6
	s_mov_b32 s15, -1
	s_and_b32 vcc_lo, exec_lo, s5
	s_cbranch_vccnz .LBB542_249
.LBB542_114:
                                        ; implicit-def: $vgpr64
                                        ; implicit-def: $sgpr0
.LBB542_115:
	v_mov_b32_e32 v63, s0
	s_and_saveexec_b32 s0, s15
.LBB542_116:
	v_cndmask_b32_e64 v63, 0, 1, s4
	v_mov_b32_e32 v64, v76
.LBB542_117:
	s_or_b32 exec_lo, exec_lo, s0
	s_delay_alu instid0(VALU_DEP_1)
	v_add3_u32 v59, v72, v63, v69
	v_dual_mov_b32 v107, v53 :: v_dual_mov_b32 v108, v54
	v_cmp_eq_u32_e64 s13, 0, v72
	v_cmp_eq_u32_e64 s12, 0, v69
	;; [unrolled: 1-line block ×3, first 2 shown]
	v_add3_u32 v115, v59, v70, v67
	v_cmp_eq_u32_e64 s10, 0, v67
	v_cmp_eq_u32_e64 s9, 0, v68
	;; [unrolled: 1-line block ×10, first 2 shown]
	v_cmp_eq_u32_e32 vcc_lo, 0, v111
	v_mbcnt_lo_u32_b32 v114, -1, 0
	s_cmp_eq_u64 s[42:43], 0
	s_cselect_b32 s15, -1, 0
	s_cmp_lg_u32 s30, 0
	s_cbranch_scc0 .LBB542_180
; %bb.118:
	v_cndmask_b32_e64 v59, 0, v53, s13
	v_cndmask_b32_e64 v71, 0, v54, s13
	v_add3_u32 v75, v115, v68, v65
	s_delay_alu instid0(VALU_DEP_3) | instskip(NEXT) | instid1(VALU_DEP_1)
	v_add_co_u32 v59, s14, v59, v55
	v_add_co_ci_u32_e64 v71, s14, v71, v56, s14
	s_delay_alu instid0(VALU_DEP_3) | instskip(NEXT) | instid1(VALU_DEP_3)
	v_add3_u32 v75, v75, v66, v61
	v_cndmask_b32_e64 v59, 0, v59, s12
	s_delay_alu instid0(VALU_DEP_3) | instskip(NEXT) | instid1(VALU_DEP_3)
	v_cndmask_b32_e64 v71, 0, v71, s12
	v_add3_u32 v75, v75, v62, v113
	s_delay_alu instid0(VALU_DEP_3) | instskip(NEXT) | instid1(VALU_DEP_1)
	v_add_co_u32 v59, s14, v59, v49
	v_add_co_ci_u32_e64 v71, s14, v71, v50, s14
	s_delay_alu instid0(VALU_DEP_3) | instskip(NEXT) | instid1(VALU_DEP_3)
	v_add3_u32 v75, v75, v60, v112
	v_cndmask_b32_e64 v59, 0, v59, s11
	s_delay_alu instid0(VALU_DEP_3) | instskip(NEXT) | instid1(VALU_DEP_2)
	v_cndmask_b32_e64 v71, 0, v71, s11
	v_add_co_u32 v59, s14, v59, v51
	s_delay_alu instid0(VALU_DEP_1) | instskip(NEXT) | instid1(VALU_DEP_2)
	v_add_co_ci_u32_e64 v71, s14, v71, v52, s14
	v_cndmask_b32_e64 v59, 0, v59, s10
	s_delay_alu instid0(VALU_DEP_2) | instskip(NEXT) | instid1(VALU_DEP_2)
	v_cndmask_b32_e64 v71, 0, v71, s10
	v_add_co_u32 v59, s14, v59, v45
	s_delay_alu instid0(VALU_DEP_1) | instskip(NEXT) | instid1(VALU_DEP_2)
	v_add_co_ci_u32_e64 v71, s14, v71, v46, s14
	v_cndmask_b32_e64 v59, 0, v59, s9
	s_delay_alu instid0(VALU_DEP_2) | instskip(NEXT) | instid1(VALU_DEP_2)
	;; [unrolled: 6-line block ×10, first 2 shown]
	v_cndmask_b32_e64 v71, 0, v71, s0
	v_add_co_u32 v59, s14, v59, v31
	s_delay_alu instid0(VALU_DEP_1) | instskip(SKIP_1) | instid1(VALU_DEP_2)
	v_add_co_ci_u32_e64 v71, s14, v71, v32, s14
	s_mov_b32 s14, exec_lo
	v_cndmask_b32_e32 v59, 0, v59, vcc_lo
	s_delay_alu instid0(VALU_DEP_2) | instskip(SKIP_1) | instid1(VALU_DEP_3)
	v_cndmask_b32_e32 v76, 0, v71, vcc_lo
	v_add3_u32 v71, v75, v64, v111
	v_add_co_u32 v77, vcc_lo, v59, v73
	v_and_b32_e32 v59, 15, v114
	s_delay_alu instid0(VALU_DEP_4) | instskip(NEXT) | instid1(VALU_DEP_4)
	v_add_co_ci_u32_e32 v78, vcc_lo, v76, v74, vcc_lo
	v_mov_b32_dpp v75, v71 row_shr:1 row_mask:0xf bank_mask:0xf
	s_delay_alu instid0(VALU_DEP_4) | instskip(SKIP_1) | instid1(VALU_DEP_3)
	v_mov_b32_dpp v76, v77 row_shr:1 row_mask:0xf bank_mask:0xf
	s_waitcnt lgkmcnt(0)
	v_mov_b32_dpp v79, v78 row_shr:1 row_mask:0xf bank_mask:0xf
	v_cmpx_ne_u32_e32 0, v59
; %bb.119:
	v_cmp_eq_u32_e32 vcc_lo, 0, v71
	v_add_nc_u32_e32 v71, v75, v71
	s_delay_alu instid0(VALU_DEP_4) | instskip(NEXT) | instid1(VALU_DEP_1)
	v_dual_cndmask_b32 v79, 0, v79 :: v_dual_cndmask_b32 v76, 0, v76
	v_add_co_u32 v77, vcc_lo, v76, v77
	s_delay_alu instid0(VALU_DEP_2)
	v_add_co_ci_u32_e32 v78, vcc_lo, v79, v78, vcc_lo
; %bb.120:
	s_or_b32 exec_lo, exec_lo, s14
	v_mov_b32_dpp v75, v71 row_shr:2 row_mask:0xf bank_mask:0xf
	s_delay_alu instid0(VALU_DEP_3) | instskip(NEXT) | instid1(VALU_DEP_3)
	v_mov_b32_dpp v76, v77 row_shr:2 row_mask:0xf bank_mask:0xf
	v_mov_b32_dpp v79, v78 row_shr:2 row_mask:0xf bank_mask:0xf
	s_mov_b32 s14, exec_lo
	v_cmpx_lt_u32_e32 1, v59
; %bb.121:
	v_cmp_eq_u32_e32 vcc_lo, 0, v71
	v_add_nc_u32_e32 v71, v75, v71
	v_dual_cndmask_b32 v79, 0, v79 :: v_dual_cndmask_b32 v76, 0, v76
	s_delay_alu instid0(VALU_DEP_1) | instskip(NEXT) | instid1(VALU_DEP_2)
	v_add_co_u32 v77, vcc_lo, v76, v77
	v_add_co_ci_u32_e32 v78, vcc_lo, v79, v78, vcc_lo
; %bb.122:
	s_or_b32 exec_lo, exec_lo, s14
	v_mov_b32_dpp v75, v71 row_shr:4 row_mask:0xf bank_mask:0xf
	s_delay_alu instid0(VALU_DEP_3) | instskip(NEXT) | instid1(VALU_DEP_3)
	v_mov_b32_dpp v76, v77 row_shr:4 row_mask:0xf bank_mask:0xf
	v_mov_b32_dpp v79, v78 row_shr:4 row_mask:0xf bank_mask:0xf
	s_mov_b32 s14, exec_lo
	v_cmpx_lt_u32_e32 3, v59
; %bb.123:
	v_cmp_eq_u32_e32 vcc_lo, 0, v71
	v_add_nc_u32_e32 v71, v75, v71
	v_dual_cndmask_b32 v79, 0, v79 :: v_dual_cndmask_b32 v76, 0, v76
	s_delay_alu instid0(VALU_DEP_1) | instskip(NEXT) | instid1(VALU_DEP_2)
	v_add_co_u32 v77, vcc_lo, v76, v77
	;; [unrolled: 15-line block ×3, first 2 shown]
	v_add_co_ci_u32_e32 v78, vcc_lo, v59, v78, vcc_lo
; %bb.126:
	s_or_b32 exec_lo, exec_lo, s14
	ds_swizzle_b32 v59, v71 offset:swizzle(BROADCAST,32,15)
	ds_swizzle_b32 v75, v77 offset:swizzle(BROADCAST,32,15)
	;; [unrolled: 1-line block ×3, first 2 shown]
	v_and_b32_e32 v79, 16, v114
	s_mov_b32 s14, exec_lo
	s_delay_alu instid0(VALU_DEP_1)
	v_cmpx_ne_u32_e32 0, v79
	s_cbranch_execz .LBB542_128
; %bb.127:
	v_cmp_eq_u32_e32 vcc_lo, 0, v71
	s_waitcnt lgkmcnt(0)
	v_dual_cndmask_b32 v76, 0, v76 :: v_dual_add_nc_u32 v71, v59, v71
	v_cndmask_b32_e32 v75, 0, v75, vcc_lo
	s_delay_alu instid0(VALU_DEP_1) | instskip(NEXT) | instid1(VALU_DEP_3)
	v_add_co_u32 v77, vcc_lo, v75, v77
	v_add_co_ci_u32_e32 v78, vcc_lo, v76, v78, vcc_lo
.LBB542_128:
	s_or_b32 exec_lo, exec_lo, s14
	s_waitcnt lgkmcnt(1)
	v_lshrrev_b32_e32 v75, 5, v0
	v_or_b32_e32 v59, 31, v0
	s_mov_b32 s14, exec_lo
	s_delay_alu instid0(VALU_DEP_2) | instskip(NEXT) | instid1(VALU_DEP_2)
	v_lshlrev_b32_e32 v79, 4, v75
	v_cmpx_eq_u32_e64 v59, v0
	s_cbranch_execz .LBB542_130
; %bb.129:
	ds_store_b32 v79, v71 offset:4128
	ds_store_b64 v79, v[77:78] offset:4136
.LBB542_130:
	s_or_b32 exec_lo, exec_lo, s14
	s_delay_alu instid0(SALU_CYCLE_1)
	s_mov_b32 s14, exec_lo
	s_waitcnt lgkmcnt(0)
	s_barrier
	buffer_gl0_inv
	v_cmpx_gt_u32_e32 8, v0
	s_cbranch_execz .LBB542_138
; %bb.131:
	v_lshlrev_b32_e32 v59, 4, v0
	v_and_b32_e32 v81, 7, v114
	s_mov_b32 s16, exec_lo
	ds_load_b32 v80, v59 offset:4128
	ds_load_b64 v[75:76], v59 offset:4136
	s_waitcnt lgkmcnt(1)
	v_mov_b32_dpp v82, v80 row_shr:1 row_mask:0xf bank_mask:0xf
	s_waitcnt lgkmcnt(0)
	v_mov_b32_dpp v83, v75 row_shr:1 row_mask:0xf bank_mask:0xf
	v_mov_b32_dpp v84, v76 row_shr:1 row_mask:0xf bank_mask:0xf
	v_cmpx_ne_u32_e32 0, v81
; %bb.132:
	v_cmp_eq_u32_e32 vcc_lo, 0, v80
	v_add_nc_u32_e32 v80, v82, v80
	s_delay_alu instid0(VALU_DEP_4) | instskip(NEXT) | instid1(VALU_DEP_1)
	v_dual_cndmask_b32 v84, 0, v84 :: v_dual_cndmask_b32 v83, 0, v83
	v_add_co_u32 v75, vcc_lo, v83, v75
	s_delay_alu instid0(VALU_DEP_2)
	v_add_co_ci_u32_e32 v76, vcc_lo, v84, v76, vcc_lo
; %bb.133:
	s_or_b32 exec_lo, exec_lo, s16
	v_mov_b32_dpp v82, v80 row_shr:2 row_mask:0xf bank_mask:0xf
	s_delay_alu instid0(VALU_DEP_3) | instskip(NEXT) | instid1(VALU_DEP_3)
	v_mov_b32_dpp v83, v75 row_shr:2 row_mask:0xf bank_mask:0xf
	v_mov_b32_dpp v84, v76 row_shr:2 row_mask:0xf bank_mask:0xf
	s_mov_b32 s16, exec_lo
	v_cmpx_lt_u32_e32 1, v81
; %bb.134:
	v_cmp_eq_u32_e32 vcc_lo, 0, v80
	v_add_nc_u32_e32 v80, v82, v80
	v_dual_cndmask_b32 v84, 0, v84 :: v_dual_cndmask_b32 v83, 0, v83
	s_delay_alu instid0(VALU_DEP_1) | instskip(NEXT) | instid1(VALU_DEP_2)
	v_add_co_u32 v75, vcc_lo, v83, v75
	v_add_co_ci_u32_e32 v76, vcc_lo, v84, v76, vcc_lo
; %bb.135:
	s_or_b32 exec_lo, exec_lo, s16
	v_mov_b32_dpp v82, v80 row_shr:4 row_mask:0xf bank_mask:0xf
	s_delay_alu instid0(VALU_DEP_3) | instskip(NEXT) | instid1(VALU_DEP_3)
	v_mov_b32_dpp v83, v75 row_shr:4 row_mask:0xf bank_mask:0xf
	v_mov_b32_dpp v84, v76 row_shr:4 row_mask:0xf bank_mask:0xf
	s_mov_b32 s16, exec_lo
	v_cmpx_lt_u32_e32 3, v81
; %bb.136:
	v_cmp_eq_u32_e32 vcc_lo, 0, v80
	v_dual_cndmask_b32 v83, 0, v83 :: v_dual_add_nc_u32 v80, v82, v80
	v_cndmask_b32_e32 v81, 0, v84, vcc_lo
	s_delay_alu instid0(VALU_DEP_2) | instskip(NEXT) | instid1(VALU_DEP_2)
	v_add_co_u32 v75, vcc_lo, v83, v75
	v_add_co_ci_u32_e32 v76, vcc_lo, v81, v76, vcc_lo
; %bb.137:
	s_or_b32 exec_lo, exec_lo, s16
	ds_store_b32 v59, v80 offset:4128
	ds_store_b64 v59, v[75:76] offset:4136
.LBB542_138:
	s_or_b32 exec_lo, exec_lo, s14
	v_mov_b32_e32 v75, 0
	v_cmp_gt_u32_e32 vcc_lo, 32, v0
	v_dual_mov_b32 v76, 0 :: v_dual_mov_b32 v59, 0
	s_mov_b32 s16, exec_lo
	s_waitcnt lgkmcnt(0)
	s_barrier
	buffer_gl0_inv
	v_cmpx_lt_u32_e32 31, v0
	s_cbranch_execz .LBB542_140
; %bb.139:
	ds_load_b64 v[75:76], v79 offset:4120
	ds_load_b32 v59, v79 offset:4112
	v_cmp_eq_u32_e64 s14, 0, v71
	s_waitcnt lgkmcnt(1)
	s_delay_alu instid0(VALU_DEP_1) | instskip(SKIP_3) | instid1(VALU_DEP_3)
	v_cndmask_b32_e64 v80, 0, v75, s14
	v_cndmask_b32_e64 v79, 0, v76, s14
	s_waitcnt lgkmcnt(0)
	v_add_nc_u32_e32 v71, v59, v71
	v_add_co_u32 v77, s14, v80, v77
	s_delay_alu instid0(VALU_DEP_1)
	v_add_co_ci_u32_e64 v78, s14, v79, v78, s14
.LBB542_140:
	s_or_b32 exec_lo, exec_lo, s16
	v_add_nc_u32_e32 v79, -1, v114
	s_delay_alu instid0(VALU_DEP_1) | instskip(NEXT) | instid1(VALU_DEP_1)
	v_cmp_gt_i32_e64 s14, 0, v79
	v_cndmask_b32_e64 v79, v79, v114, s14
	v_cmp_eq_u32_e64 s14, 0, v114
	s_delay_alu instid0(VALU_DEP_2)
	v_lshlrev_b32_e32 v79, 2, v79
	ds_bpermute_b32 v86, v79, v71
	ds_bpermute_b32 v85, v79, v77
	;; [unrolled: 1-line block ×3, first 2 shown]
	s_and_saveexec_b32 s16, vcc_lo
	s_cbranch_execz .LBB542_179
; %bb.141:
	v_mov_b32_e32 v81, 0
	ds_load_b32 v87, v81 offset:4240
	ds_load_b64 v[77:78], v81 offset:4248
	s_and_saveexec_b32 s26, s14
	s_cbranch_execz .LBB542_143
; %bb.142:
	s_add_i32 s34, s30, 32
	s_mov_b32 s35, 0
	v_dual_mov_b32 v79, s34 :: v_dual_mov_b32 v80, 1
	s_lshl_b64 s[42:43], s[34:35], 4
	s_delay_alu instid0(SALU_CYCLE_1)
	s_add_u32 s34, s36, s42
	s_addc_u32 s35, s37, s43
	s_waitcnt lgkmcnt(1)
	global_store_b32 v81, v87, s[34:35]
	s_waitcnt lgkmcnt(0)
	global_store_b64 v81, v[77:78], s[34:35] offset:8
	s_waitcnt_vscnt null, 0x0
	buffer_gl1_inv
	buffer_gl0_inv
	global_store_b8 v79, v80, s[40:41]
.LBB542_143:
	s_or_b32 exec_lo, exec_lo, s26
	v_xad_u32 v79, v114, -1, s30
	s_mov_b32 s27, 0
	s_mov_b32 s26, exec_lo
	s_delay_alu instid0(VALU_DEP_1)
	v_add_nc_u32_e32 v80, 32, v79
	global_load_u8 v88, v80, s[40:41] glc
	s_waitcnt vmcnt(0)
	v_cmpx_eq_u16_e32 0, v88
	s_cbranch_execz .LBB542_147
; %bb.144:
	v_add_co_u32 v82, s31, s40, v80
	s_delay_alu instid0(VALU_DEP_1)
	v_add_co_ci_u32_e64 v83, null, s41, 0, s31
.LBB542_145:                            ; =>This Inner Loop Header: Depth=1
	global_load_u8 v88, v[82:83], off glc
	s_waitcnt vmcnt(0)
	v_cmp_ne_u16_e32 vcc_lo, 0, v88
	s_or_b32 s27, vcc_lo, s27
	s_delay_alu instid0(SALU_CYCLE_1)
	s_and_not1_b32 exec_lo, exec_lo, s27
	s_cbranch_execnz .LBB542_145
; %bb.146:
	s_or_b32 exec_lo, exec_lo, s27
.LBB542_147:
	s_delay_alu instid0(SALU_CYCLE_1)
	s_or_b32 exec_lo, exec_lo, s26
	v_dual_mov_b32 v82, s37 :: v_dual_mov_b32 v83, s36
	v_cmp_eq_u16_e32 vcc_lo, 1, v88
	v_lshlrev_b64 v[80:81], 4, v[80:81]
	s_waitcnt lgkmcnt(0)
	s_waitcnt_vscnt null, 0x0
	buffer_gl1_inv
	buffer_gl0_inv
	v_lshlrev_b32_e64 v90, v114, -1
	s_mov_b32 s26, exec_lo
	v_cndmask_b32_e32 v83, s38, v83, vcc_lo
	v_cndmask_b32_e32 v82, s39, v82, vcc_lo
	s_delay_alu instid0(VALU_DEP_2) | instskip(NEXT) | instid1(VALU_DEP_2)
	v_add_co_u32 v80, vcc_lo, v83, v80
	v_add_co_ci_u32_e32 v81, vcc_lo, v82, v81, vcc_lo
	v_cmp_ne_u32_e32 vcc_lo, 31, v114
	s_clause 0x1
	global_load_b32 v100, v[80:81], off
	global_load_b64 v[83:84], v[80:81], off offset:8
	v_add_co_ci_u32_e32 v80, vcc_lo, 0, v114, vcc_lo
	v_cmp_eq_u16_e32 vcc_lo, 2, v88
	s_delay_alu instid0(VALU_DEP_2) | instskip(SKIP_1) | instid1(VALU_DEP_1)
	v_lshlrev_b32_e32 v89, 2, v80
	v_and_or_b32 v80, vcc_lo, v90, 0x80000000
	v_ctz_i32_b32_e32 v80, v80
	s_waitcnt vmcnt(1)
	ds_bpermute_b32 v81, v89, v100
	s_waitcnt vmcnt(0)
	ds_bpermute_b32 v82, v89, v83
	ds_bpermute_b32 v91, v89, v84
	v_cmpx_lt_u32_e64 v114, v80
	s_cbranch_execz .LBB542_149
; %bb.148:
	v_cmp_eq_u32_e32 vcc_lo, 0, v100
	s_waitcnt lgkmcnt(0)
	v_dual_cndmask_b32 v91, 0, v91 :: v_dual_add_nc_u32 v100, v81, v100
	v_cndmask_b32_e32 v82, 0, v82, vcc_lo
	s_delay_alu instid0(VALU_DEP_1) | instskip(NEXT) | instid1(VALU_DEP_3)
	v_add_co_u32 v83, vcc_lo, v82, v83
	v_add_co_ci_u32_e32 v84, vcc_lo, v91, v84, vcc_lo
.LBB542_149:
	s_or_b32 exec_lo, exec_lo, s26
	v_cmp_gt_u32_e32 vcc_lo, 30, v114
	v_add_nc_u32_e32 v92, 2, v114
	s_mov_b32 s26, exec_lo
	s_waitcnt lgkmcnt(2)
	v_cndmask_b32_e64 v81, 0, 1, vcc_lo
	s_delay_alu instid0(VALU_DEP_1) | instskip(SKIP_1) | instid1(VALU_DEP_1)
	v_lshlrev_b32_e32 v81, 1, v81
	s_waitcnt lgkmcnt(0)
	v_add_lshl_u32 v91, v81, v114, 2
	ds_bpermute_b32 v81, v91, v100
	ds_bpermute_b32 v82, v91, v83
	ds_bpermute_b32 v93, v91, v84
	v_cmpx_le_u32_e64 v92, v80
	s_cbranch_execz .LBB542_151
; %bb.150:
	v_cmp_eq_u32_e32 vcc_lo, 0, v100
	s_waitcnt lgkmcnt(0)
	v_dual_cndmask_b32 v93, 0, v93 :: v_dual_add_nc_u32 v100, v81, v100
	v_cndmask_b32_e32 v82, 0, v82, vcc_lo
	s_delay_alu instid0(VALU_DEP_1) | instskip(NEXT) | instid1(VALU_DEP_3)
	v_add_co_u32 v83, vcc_lo, v82, v83
	v_add_co_ci_u32_e32 v84, vcc_lo, v93, v84, vcc_lo
.LBB542_151:
	s_or_b32 exec_lo, exec_lo, s26
	v_cmp_gt_u32_e32 vcc_lo, 28, v114
	v_add_nc_u32_e32 v94, 4, v114
	s_mov_b32 s26, exec_lo
	s_waitcnt lgkmcnt(2)
	v_cndmask_b32_e64 v81, 0, 1, vcc_lo
	s_delay_alu instid0(VALU_DEP_1) | instskip(SKIP_1) | instid1(VALU_DEP_1)
	v_lshlrev_b32_e32 v81, 2, v81
	s_waitcnt lgkmcnt(0)
	v_add_lshl_u32 v93, v81, v114, 2
	ds_bpermute_b32 v81, v93, v100
	ds_bpermute_b32 v82, v93, v83
	ds_bpermute_b32 v95, v93, v84
	v_cmpx_le_u32_e64 v94, v80
	;; [unrolled: 24-line block ×3, first 2 shown]
	s_cbranch_execz .LBB542_155
; %bb.154:
	v_cmp_eq_u32_e32 vcc_lo, 0, v100
	s_waitcnt lgkmcnt(0)
	v_dual_cndmask_b32 v97, 0, v97 :: v_dual_add_nc_u32 v100, v81, v100
	v_cndmask_b32_e32 v82, 0, v82, vcc_lo
	s_delay_alu instid0(VALU_DEP_1) | instskip(NEXT) | instid1(VALU_DEP_3)
	v_add_co_u32 v83, vcc_lo, v82, v83
	v_add_co_ci_u32_e32 v84, vcc_lo, v97, v84, vcc_lo
.LBB542_155:
	s_or_b32 exec_lo, exec_lo, s26
	v_cmp_gt_u32_e32 vcc_lo, 16, v114
	v_add_nc_u32_e32 v99, 16, v114
	s_mov_b32 s26, exec_lo
	s_waitcnt lgkmcnt(2)
	v_cndmask_b32_e64 v81, 0, 1, vcc_lo
	s_delay_alu instid0(VALU_DEP_1) | instskip(NEXT) | instid1(VALU_DEP_1)
	v_lshlrev_b32_e32 v81, 4, v81
	v_add_lshl_u32 v98, v81, v114, 2
	ds_bpermute_b32 v81, v98, v100
	s_waitcnt lgkmcnt(2)
	ds_bpermute_b32 v82, v98, v83
	s_waitcnt lgkmcnt(2)
	ds_bpermute_b32 v97, v98, v84
	v_cmpx_le_u32_e64 v99, v80
	s_cbranch_execz .LBB542_157
; %bb.156:
	v_cmp_eq_u32_e32 vcc_lo, 0, v100
	s_waitcnt lgkmcnt(2)
	v_add_nc_u32_e32 v100, v81, v100
	s_waitcnt lgkmcnt(1)
	v_cndmask_b32_e32 v82, 0, v82, vcc_lo
	s_waitcnt lgkmcnt(0)
	v_cndmask_b32_e32 v80, 0, v97, vcc_lo
	s_delay_alu instid0(VALU_DEP_2) | instskip(NEXT) | instid1(VALU_DEP_2)
	v_add_co_u32 v83, vcc_lo, v82, v83
	v_add_co_ci_u32_e32 v84, vcc_lo, v80, v84, vcc_lo
.LBB542_157:
	s_or_b32 exec_lo, exec_lo, s26
	v_mov_b32_e32 v80, 0
	s_branch .LBB542_159
.LBB542_158:                            ;   in Loop: Header=BB542_159 Depth=1
	s_or_b32 exec_lo, exec_lo, s26
	v_cmp_eq_u32_e32 vcc_lo, 0, v97
	v_subrev_nc_u32_e32 v79, 32, v79
	v_add_nc_u32_e32 v100, v100, v97
	v_dual_cndmask_b32 v84, 0, v84 :: v_dual_cndmask_b32 v83, 0, v83
	s_delay_alu instid0(VALU_DEP_1) | instskip(NEXT) | instid1(VALU_DEP_2)
	v_add_co_u32 v83, vcc_lo, v83, v81
	v_add_co_ci_u32_e32 v84, vcc_lo, v84, v82, vcc_lo
.LBB542_159:                            ; =>This Loop Header: Depth=1
                                        ;     Child Loop BB542_162 Depth 2
	s_waitcnt lgkmcnt(2)
	v_and_b32_e32 v81, 0xff, v88
	s_waitcnt lgkmcnt(0)
	v_mov_b32_e32 v97, v100
	s_delay_alu instid0(VALU_DEP_2) | instskip(SKIP_2) | instid1(VALU_DEP_1)
	v_cmp_ne_u16_e32 vcc_lo, 2, v81
	v_cndmask_b32_e64 v81, 0, 1, vcc_lo
	;;#ASMSTART
	;;#ASMEND
	v_cmp_ne_u32_e32 vcc_lo, 0, v81
	v_dual_mov_b32 v81, v83 :: v_dual_mov_b32 v82, v84
	s_cmp_lg_u32 vcc_lo, exec_lo
	s_cbranch_scc1 .LBB542_174
; %bb.160:                              ;   in Loop: Header=BB542_159 Depth=1
	global_load_u8 v88, v79, s[40:41] glc
	s_mov_b32 s26, exec_lo
	s_waitcnt vmcnt(0)
	v_cmpx_eq_u16_e32 0, v88
	s_cbranch_execz .LBB542_164
; %bb.161:                              ;   in Loop: Header=BB542_159 Depth=1
	v_add_co_u32 v83, s27, s40, v79
	s_delay_alu instid0(VALU_DEP_1)
	v_add_co_ci_u32_e64 v84, null, s41, 0, s27
	s_mov_b32 s27, 0
.LBB542_162:                            ;   Parent Loop BB542_159 Depth=1
                                        ; =>  This Inner Loop Header: Depth=2
	global_load_u8 v88, v[83:84], off glc
	s_waitcnt vmcnt(0)
	v_cmp_ne_u16_e32 vcc_lo, 0, v88
	s_or_b32 s27, vcc_lo, s27
	s_delay_alu instid0(SALU_CYCLE_1)
	s_and_not1_b32 exec_lo, exec_lo, s27
	s_cbranch_execnz .LBB542_162
; %bb.163:                              ;   in Loop: Header=BB542_159 Depth=1
	s_or_b32 exec_lo, exec_lo, s27
.LBB542_164:                            ;   in Loop: Header=BB542_159 Depth=1
	s_delay_alu instid0(SALU_CYCLE_1)
	s_or_b32 exec_lo, exec_lo, s26
	v_dual_mov_b32 v100, s37 :: v_dual_mov_b32 v101, s36
	v_cmp_eq_u16_e32 vcc_lo, 1, v88
	v_lshlrev_b64 v[83:84], 4, v[79:80]
	buffer_gl1_inv
	buffer_gl0_inv
	s_mov_b32 s26, exec_lo
	v_cndmask_b32_e32 v101, s38, v101, vcc_lo
	v_cndmask_b32_e32 v100, s39, v100, vcc_lo
	s_delay_alu instid0(VALU_DEP_2) | instskip(NEXT) | instid1(VALU_DEP_2)
	v_add_co_u32 v83, vcc_lo, v101, v83
	v_add_co_ci_u32_e32 v84, vcc_lo, v100, v84, vcc_lo
	v_cmp_eq_u16_e32 vcc_lo, 2, v88
	s_clause 0x1
	global_load_b32 v100, v[83:84], off
	global_load_b64 v[83:84], v[83:84], off offset:8
	v_and_or_b32 v101, vcc_lo, v90, 0x80000000
	s_delay_alu instid0(VALU_DEP_1)
	v_ctz_i32_b32_e32 v101, v101
	s_waitcnt vmcnt(1)
	ds_bpermute_b32 v102, v89, v100
	s_waitcnt vmcnt(0)
	ds_bpermute_b32 v103, v89, v83
	ds_bpermute_b32 v104, v89, v84
	v_cmpx_lt_u32_e64 v114, v101
	s_cbranch_execz .LBB542_166
; %bb.165:                              ;   in Loop: Header=BB542_159 Depth=1
	v_cmp_eq_u32_e32 vcc_lo, 0, v100
	s_waitcnt lgkmcnt(2)
	v_add_nc_u32_e32 v100, v102, v100
	s_waitcnt lgkmcnt(0)
	v_dual_cndmask_b32 v104, 0, v104 :: v_dual_cndmask_b32 v103, 0, v103
	s_delay_alu instid0(VALU_DEP_1) | instskip(NEXT) | instid1(VALU_DEP_2)
	v_add_co_u32 v83, vcc_lo, v103, v83
	v_add_co_ci_u32_e32 v84, vcc_lo, v104, v84, vcc_lo
.LBB542_166:                            ;   in Loop: Header=BB542_159 Depth=1
	s_or_b32 exec_lo, exec_lo, s26
	s_waitcnt lgkmcnt(2)
	ds_bpermute_b32 v102, v91, v100
	s_waitcnt lgkmcnt(2)
	ds_bpermute_b32 v103, v91, v83
	s_waitcnt lgkmcnt(2)
	ds_bpermute_b32 v104, v91, v84
	s_mov_b32 s26, exec_lo
	v_cmpx_le_u32_e64 v92, v101
	s_cbranch_execz .LBB542_168
; %bb.167:                              ;   in Loop: Header=BB542_159 Depth=1
	v_cmp_eq_u32_e32 vcc_lo, 0, v100
	s_waitcnt lgkmcnt(2)
	v_add_nc_u32_e32 v100, v102, v100
	s_waitcnt lgkmcnt(0)
	v_dual_cndmask_b32 v104, 0, v104 :: v_dual_cndmask_b32 v103, 0, v103
	s_delay_alu instid0(VALU_DEP_1) | instskip(NEXT) | instid1(VALU_DEP_2)
	v_add_co_u32 v83, vcc_lo, v103, v83
	v_add_co_ci_u32_e32 v84, vcc_lo, v104, v84, vcc_lo
.LBB542_168:                            ;   in Loop: Header=BB542_159 Depth=1
	s_or_b32 exec_lo, exec_lo, s26
	s_waitcnt lgkmcnt(2)
	ds_bpermute_b32 v102, v93, v100
	s_waitcnt lgkmcnt(2)
	ds_bpermute_b32 v103, v93, v83
	s_waitcnt lgkmcnt(2)
	ds_bpermute_b32 v104, v93, v84
	s_mov_b32 s26, exec_lo
	v_cmpx_le_u32_e64 v94, v101
	;; [unrolled: 20-line block ×4, first 2 shown]
	s_cbranch_execz .LBB542_158
; %bb.173:                              ;   in Loop: Header=BB542_159 Depth=1
	v_cmp_eq_u32_e32 vcc_lo, 0, v100
	s_waitcnt lgkmcnt(1)
	v_dual_cndmask_b32 v103, 0, v103 :: v_dual_add_nc_u32 v100, v102, v100
	s_waitcnt lgkmcnt(0)
	v_cndmask_b32_e32 v101, 0, v104, vcc_lo
	s_delay_alu instid0(VALU_DEP_2) | instskip(NEXT) | instid1(VALU_DEP_2)
	v_add_co_u32 v83, vcc_lo, v103, v83
	v_add_co_ci_u32_e32 v84, vcc_lo, v101, v84, vcc_lo
	s_branch .LBB542_158
.LBB542_174:                            ;   in Loop: Header=BB542_159 Depth=1
                                        ; implicit-def: $vgpr83_vgpr84
                                        ; implicit-def: $vgpr100
                                        ; implicit-def: $vgpr88
	s_cbranch_execz .LBB542_159
; %bb.175:
	s_and_saveexec_b32 s26, s14
	s_cbranch_execz .LBB542_177
; %bb.176:
	v_cmp_eq_u32_e32 vcc_lo, 0, v87
	s_mov_b32 s31, 0
	s_add_i32 s30, s30, 32
	v_dual_mov_b32 v84, 0 :: v_dual_add_nc_u32 v83, v97, v87
	v_dual_cndmask_b32 v80, 0, v82 :: v_dual_cndmask_b32 v79, 0, v81
	s_lshl_b64 s[34:35], s[30:31], 4
	v_dual_mov_b32 v88, s30 :: v_dual_mov_b32 v89, 2
	s_add_u32 s34, s38, s34
	s_delay_alu instid0(VALU_DEP_2)
	v_add_co_u32 v79, vcc_lo, v79, v77
	v_add_co_ci_u32_e32 v80, vcc_lo, v80, v78, vcc_lo
	s_addc_u32 s35, s39, s35
	s_clause 0x1
	global_store_b32 v84, v83, s[34:35]
	global_store_b64 v84, v[79:80], s[34:35] offset:8
	s_waitcnt lgkmcnt(0)
	s_waitcnt_vscnt null, 0x0
	buffer_gl1_inv
	buffer_gl0_inv
	global_store_b8 v88, v89, s[40:41]
	ds_store_b32 v84, v87 offset:4096
	ds_store_b64 v84, v[77:78] offset:4104
	ds_store_b32 v84, v97 offset:4112
	ds_store_b64 v84, v[81:82] offset:4120
.LBB542_177:
	s_or_b32 exec_lo, exec_lo, s26
	s_delay_alu instid0(SALU_CYCLE_1)
	s_and_b32 exec_lo, exec_lo, s2
	s_cbranch_execz .LBB542_179
; %bb.178:
	v_mov_b32_e32 v77, 0
	ds_store_b32 v77, v97 offset:4240
	ds_store_b64 v77, v[81:82] offset:4248
.LBB542_179:
	s_or_b32 exec_lo, exec_lo, s16
	v_mov_b32_e32 v105, 0
	s_waitcnt lgkmcnt(0)
	s_waitcnt_vscnt null, 0x0
	s_barrier
	buffer_gl0_inv
	v_cndmask_b32_e64 v106, v86, v59, s14
	ds_load_b64 v[77:78], v105 offset:4248
	v_cndmask_b32_e64 v59, v85, v75, s14
	v_cndmask_b32_e64 v71, v71, v76, s14
	v_cmp_eq_u32_e32 vcc_lo, 0, v106
	v_cndmask_b32_e64 v109, v106, 0, s2
	s_waitcnt lgkmcnt(0)
	v_cndmask_b32_e32 v79, 0, v77, vcc_lo
	v_cndmask_b32_e32 v75, 0, v78, vcc_lo
	s_delay_alu instid0(VALU_DEP_2) | instskip(NEXT) | instid1(VALU_DEP_2)
	v_add_co_u32 v59, vcc_lo, v79, v59
	v_add_co_ci_u32_e32 v71, vcc_lo, v75, v71, vcc_lo
	v_cmp_eq_u32_e32 vcc_lo, 0, v63
	s_delay_alu instid0(VALU_DEP_3) | instskip(NEXT) | instid1(VALU_DEP_3)
	v_cndmask_b32_e64 v91, v59, v77, s2
	v_cndmask_b32_e64 v92, v71, v78, s2
	ds_load_b32 v78, v105 offset:4240
	s_waitcnt lgkmcnt(0)
	v_cndmask_b32_e32 v71, 0, v91, vcc_lo
	s_barrier
	v_cndmask_b32_e32 v59, 0, v92, vcc_lo
	buffer_gl0_inv
	ds_load_b64 v[116:117], v105 offset:4104
	v_add_co_u32 v87, vcc_lo, v71, v53
	v_add_co_ci_u32_e32 v88, vcc_lo, v59, v54, vcc_lo
	s_delay_alu instid0(VALU_DEP_2) | instskip(NEXT) | instid1(VALU_DEP_2)
	v_cndmask_b32_e64 v59, 0, v87, s13
	v_cndmask_b32_e64 v71, 0, v88, s13
	s_delay_alu instid0(VALU_DEP_2) | instskip(NEXT) | instid1(VALU_DEP_2)
	v_add_co_u32 v93, vcc_lo, v59, v55
	v_add_co_ci_u32_e32 v94, vcc_lo, v71, v56, vcc_lo
	s_delay_alu instid0(VALU_DEP_2) | instskip(NEXT) | instid1(VALU_DEP_2)
	v_cndmask_b32_e64 v59, 0, v93, s12
	v_cndmask_b32_e64 v71, 0, v94, s12
	s_delay_alu instid0(VALU_DEP_2) | instskip(NEXT) | instid1(VALU_DEP_2)
	;; [unrolled: 6-line block ×9, first 2 shown]
	v_add_co_u32 v85, vcc_lo, v59, v39
	v_add_co_ci_u32_e32 v86, vcc_lo, v71, v40, vcc_lo
	ds_load_b32 v59, v105 offset:4096
	v_cndmask_b32_e64 v71, 0, v85, s4
	v_cndmask_b32_e64 v75, 0, v86, s4
	s_delay_alu instid0(VALU_DEP_2) | instskip(NEXT) | instid1(VALU_DEP_2)
	v_add_co_u32 v101, vcc_lo, v71, v33
	v_add_co_ci_u32_e32 v102, vcc_lo, v75, v34, vcc_lo
	ds_load_b64 v[75:76], v105 offset:4120
	v_cndmask_b32_e64 v71, 0, v101, s3
	v_cndmask_b32_e64 v77, 0, v102, s3
	s_delay_alu instid0(VALU_DEP_2) | instskip(NEXT) | instid1(VALU_DEP_2)
	v_add_co_u32 v103, vcc_lo, v71, v35
	v_add_co_ci_u32_e32 v104, vcc_lo, v77, v36, vcc_lo
	ds_load_b32 v77, v105 offset:4112
	v_cndmask_b32_e64 v71, 0, v103, s1
	s_waitcnt lgkmcnt(2)
	v_cmp_eq_u32_e32 vcc_lo, 0, v59
	v_cndmask_b32_e64 v106, 0, v104, s1
	s_delay_alu instid0(VALU_DEP_3) | instskip(NEXT) | instid1(VALU_DEP_1)
	v_add_co_u32 v105, s1, v71, v29
	v_add_co_ci_u32_e64 v106, s1, v106, v30, s1
	s_waitcnt lgkmcnt(1)
	v_dual_cndmask_b32 v75, 0, v75 :: v_dual_cndmask_b32 v76, 0, v76
	v_add_nc_u32_e32 v71, v78, v109
	s_delay_alu instid0(VALU_DEP_3) | instskip(SKIP_1) | instid1(VALU_DEP_4)
	v_cndmask_b32_e64 v110, 0, v106, s0
	v_cndmask_b32_e64 v109, 0, v105, s0
	v_add_co_u32 v75, vcc_lo, v75, v116
	v_add_co_ci_u32_e32 v76, vcc_lo, v76, v117, vcc_lo
	s_branch .LBB542_208
.LBB542_180:
                                        ; implicit-def: $vgpr59
                                        ; implicit-def: $vgpr75_vgpr76
                                        ; implicit-def: $vgpr77
                                        ; implicit-def: $vgpr91_vgpr92
                                        ; implicit-def: $vgpr87_vgpr88
                                        ; implicit-def: $vgpr93_vgpr94
                                        ; implicit-def: $vgpr97_vgpr98
                                        ; implicit-def: $vgpr79_vgpr80
                                        ; implicit-def: $vgpr83_vgpr84
                                        ; implicit-def: $vgpr89_vgpr90
                                        ; implicit-def: $vgpr95_vgpr96
                                        ; implicit-def: $vgpr99_vgpr100
                                        ; implicit-def: $vgpr81_vgpr82
                                        ; implicit-def: $vgpr85_vgpr86
                                        ; implicit-def: $vgpr101_vgpr102
                                        ; implicit-def: $vgpr103_vgpr104
                                        ; implicit-def: $vgpr105_vgpr106
                                        ; implicit-def: $vgpr109_vgpr110
                                        ; implicit-def: $vgpr71
	s_cbranch_execz .LBB542_208
; %bb.181:
	s_and_b32 s0, s15, exec_lo
	s_cselect_b32 s1, 0, s25
	s_cselect_b32 s0, 0, s24
	s_delay_alu instid0(SALU_CYCLE_1)
	s_cmp_eq_u64 s[0:1], 0
	s_cbranch_scc1 .LBB542_183
; %bb.182:
	v_mov_b32_e32 v59, 0
	global_load_b64 v[107:108], v59, s[0:1]
.LBB542_183:
	v_cmp_eq_u32_e64 s12, 0, v72
	v_cmp_eq_u32_e64 s11, 0, v69
	;; [unrolled: 1-line block ×5, first 2 shown]
	v_cndmask_b32_e64 v71, 0, v53, s12
	v_cndmask_b32_e64 v59, 0, v54, s12
	v_cmp_eq_u32_e64 s7, 0, v65
	v_cmp_eq_u32_e64 s6, 0, v66
	;; [unrolled: 1-line block ×3, first 2 shown]
	v_add_co_u32 v71, vcc_lo, v71, v55
	v_add_co_ci_u32_e32 v59, vcc_lo, v59, v56, vcc_lo
	v_cmp_eq_u32_e64 s4, 0, v62
	s_delay_alu instid0(VALU_DEP_3) | instskip(SKIP_1) | instid1(VALU_DEP_4)
	v_cndmask_b32_e64 v71, 0, v71, s11
	v_cmp_eq_u32_e64 s3, 0, v113
	v_cndmask_b32_e64 v59, 0, v59, s11
	v_cmp_eq_u32_e64 s1, 0, v112
	v_add3_u32 v75, v115, v68, v65
	v_add_co_u32 v71, vcc_lo, v71, v49
	s_delay_alu instid0(VALU_DEP_4) | instskip(NEXT) | instid1(VALU_DEP_3)
	v_add_co_ci_u32_e32 v59, vcc_lo, v59, v50, vcc_lo
	v_add3_u32 v75, v75, v66, v61
	s_delay_alu instid0(VALU_DEP_3) | instskip(SKIP_1) | instid1(VALU_DEP_3)
	v_cndmask_b32_e64 v71, 0, v71, s10
	s_mov_b32 s14, exec_lo
	v_cndmask_b32_e64 v59, 0, v59, s10
	s_delay_alu instid0(VALU_DEP_3) | instskip(NEXT) | instid1(VALU_DEP_3)
	v_add3_u32 v75, v75, v62, v113
	v_add_co_u32 v71, vcc_lo, v71, v51
	s_delay_alu instid0(VALU_DEP_3) | instskip(NEXT) | instid1(VALU_DEP_3)
	v_add_co_ci_u32_e32 v59, vcc_lo, v59, v52, vcc_lo
	v_add3_u32 v75, v75, v60, v112
	s_delay_alu instid0(VALU_DEP_3) | instskip(NEXT) | instid1(VALU_DEP_3)
	v_cndmask_b32_e64 v71, 0, v71, s9
	v_cndmask_b32_e64 v59, 0, v59, s9
	s_delay_alu instid0(VALU_DEP_2) | instskip(NEXT) | instid1(VALU_DEP_2)
	v_add_co_u32 v71, vcc_lo, v71, v45
	v_add_co_ci_u32_e32 v59, vcc_lo, v59, v46, vcc_lo
	s_delay_alu instid0(VALU_DEP_2) | instskip(NEXT) | instid1(VALU_DEP_2)
	v_cndmask_b32_e64 v71, 0, v71, s8
	v_cndmask_b32_e64 v59, 0, v59, s8
	s_delay_alu instid0(VALU_DEP_2) | instskip(NEXT) | instid1(VALU_DEP_2)
	v_add_co_u32 v71, vcc_lo, v71, v47
	v_add_co_ci_u32_e32 v59, vcc_lo, v59, v48, vcc_lo
	s_delay_alu instid0(VALU_DEP_2) | instskip(NEXT) | instid1(VALU_DEP_2)
	;; [unrolled: 6-line block ×6, first 2 shown]
	v_cndmask_b32_e64 v71, 0, v71, s3
	v_cndmask_b32_e64 v59, 0, v59, s3
	s_delay_alu instid0(VALU_DEP_2) | instskip(NEXT) | instid1(VALU_DEP_2)
	v_add_co_u32 v71, vcc_lo, v71, v33
	v_add_co_ci_u32_e32 v59, vcc_lo, v59, v34, vcc_lo
	v_cmp_eq_u32_e32 vcc_lo, 0, v60
	s_delay_alu instid0(VALU_DEP_3) | instskip(NEXT) | instid1(VALU_DEP_3)
	v_cndmask_b32_e32 v71, 0, v71, vcc_lo
	v_cndmask_b32_e32 v59, 0, v59, vcc_lo
	s_delay_alu instid0(VALU_DEP_2) | instskip(NEXT) | instid1(VALU_DEP_1)
	v_add_co_u32 v71, s0, v71, v35
	v_add_co_ci_u32_e64 v59, s0, v59, v36, s0
	s_delay_alu instid0(VALU_DEP_2) | instskip(NEXT) | instid1(VALU_DEP_2)
	v_cndmask_b32_e64 v71, 0, v71, s1
	v_cndmask_b32_e64 v59, 0, v59, s1
	s_delay_alu instid0(VALU_DEP_2) | instskip(NEXT) | instid1(VALU_DEP_1)
	v_add_co_u32 v71, s0, v71, v29
	v_add_co_ci_u32_e64 v59, s0, v59, v30, s0
	v_cmp_eq_u32_e64 s0, 0, v64
	s_delay_alu instid0(VALU_DEP_1) | instskip(NEXT) | instid1(VALU_DEP_3)
	v_cndmask_b32_e64 v71, 0, v71, s0
	v_cndmask_b32_e64 v59, 0, v59, s0
	s_delay_alu instid0(VALU_DEP_2) | instskip(NEXT) | instid1(VALU_DEP_1)
	v_add_co_u32 v71, s13, v71, v31
	v_add_co_ci_u32_e64 v59, s13, v59, v32, s13
	v_cmp_eq_u32_e64 s13, 0, v111
	s_delay_alu instid0(VALU_DEP_1) | instskip(NEXT) | instid1(VALU_DEP_3)
	v_cndmask_b32_e64 v71, 0, v71, s13
	v_cndmask_b32_e64 v76, 0, v59, s13
	v_add3_u32 v59, v75, v64, v111
	s_delay_alu instid0(VALU_DEP_3) | instskip(NEXT) | instid1(VALU_DEP_1)
	v_add_co_u32 v73, s13, v71, v73
	v_add_co_ci_u32_e64 v74, s13, v76, v74, s13
	v_and_b32_e32 v71, 15, v114
	s_delay_alu instid0(VALU_DEP_4) | instskip(NEXT) | instid1(VALU_DEP_4)
	v_mov_b32_dpp v75, v59 row_shr:1 row_mask:0xf bank_mask:0xf
	v_mov_b32_dpp v76, v73 row_shr:1 row_mask:0xf bank_mask:0xf
	s_waitcnt lgkmcnt(0)
	v_mov_b32_dpp v77, v74 row_shr:1 row_mask:0xf bank_mask:0xf
	v_cmpx_ne_u32_e32 0, v71
; %bb.184:
	v_cmp_eq_u32_e64 s13, 0, v59
	v_add_nc_u32_e32 v59, v75, v59
	s_delay_alu instid0(VALU_DEP_2) | instskip(SKIP_1) | instid1(VALU_DEP_2)
	v_cndmask_b32_e64 v76, 0, v76, s13
	v_cndmask_b32_e64 v77, 0, v77, s13
	v_add_co_u32 v73, s13, v76, v73
	s_delay_alu instid0(VALU_DEP_1)
	v_add_co_ci_u32_e64 v74, s13, v77, v74, s13
; %bb.185:
	s_or_b32 exec_lo, exec_lo, s14
	v_mov_b32_dpp v75, v59 row_shr:2 row_mask:0xf bank_mask:0xf
	s_delay_alu instid0(VALU_DEP_3) | instskip(NEXT) | instid1(VALU_DEP_3)
	v_mov_b32_dpp v76, v73 row_shr:2 row_mask:0xf bank_mask:0xf
	v_mov_b32_dpp v77, v74 row_shr:2 row_mask:0xf bank_mask:0xf
	s_mov_b32 s14, exec_lo
	v_cmpx_lt_u32_e32 1, v71
; %bb.186:
	v_cmp_eq_u32_e64 s13, 0, v59
	v_add_nc_u32_e32 v59, v75, v59
	s_delay_alu instid0(VALU_DEP_2) | instskip(SKIP_1) | instid1(VALU_DEP_2)
	v_cndmask_b32_e64 v76, 0, v76, s13
	v_cndmask_b32_e64 v77, 0, v77, s13
	v_add_co_u32 v73, s13, v76, v73
	s_delay_alu instid0(VALU_DEP_1)
	v_add_co_ci_u32_e64 v74, s13, v77, v74, s13
; %bb.187:
	s_or_b32 exec_lo, exec_lo, s14
	v_mov_b32_dpp v75, v59 row_shr:4 row_mask:0xf bank_mask:0xf
	s_delay_alu instid0(VALU_DEP_3) | instskip(NEXT) | instid1(VALU_DEP_3)
	v_mov_b32_dpp v76, v73 row_shr:4 row_mask:0xf bank_mask:0xf
	v_mov_b32_dpp v77, v74 row_shr:4 row_mask:0xf bank_mask:0xf
	s_mov_b32 s14, exec_lo
	v_cmpx_lt_u32_e32 3, v71
	;; [unrolled: 17-line block ×3, first 2 shown]
; %bb.190:
	v_cmp_eq_u32_e64 s13, 0, v59
	v_add_nc_u32_e32 v59, v75, v59
	s_delay_alu instid0(VALU_DEP_2) | instskip(SKIP_1) | instid1(VALU_DEP_2)
	v_cndmask_b32_e64 v76, 0, v76, s13
	v_cndmask_b32_e64 v71, 0, v77, s13
	v_add_co_u32 v73, s13, v76, v73
	s_delay_alu instid0(VALU_DEP_1)
	v_add_co_ci_u32_e64 v74, s13, v71, v74, s13
; %bb.191:
	s_or_b32 exec_lo, exec_lo, s14
	ds_swizzle_b32 v71, v59 offset:swizzle(BROADCAST,32,15)
	ds_swizzle_b32 v75, v73 offset:swizzle(BROADCAST,32,15)
	;; [unrolled: 1-line block ×3, first 2 shown]
	v_and_b32_e32 v77, 16, v114
	s_mov_b32 s14, exec_lo
	s_delay_alu instid0(VALU_DEP_1)
	v_cmpx_ne_u32_e32 0, v77
	s_cbranch_execz .LBB542_193
; %bb.192:
	v_cmp_eq_u32_e64 s13, 0, v59
	s_waitcnt lgkmcnt(2)
	v_add_nc_u32_e32 v59, v71, v59
	s_waitcnt lgkmcnt(1)
	s_delay_alu instid0(VALU_DEP_2) | instskip(SKIP_2) | instid1(VALU_DEP_2)
	v_cndmask_b32_e64 v75, 0, v75, s13
	s_waitcnt lgkmcnt(0)
	v_cndmask_b32_e64 v76, 0, v76, s13
	v_add_co_u32 v73, s13, v75, v73
	s_delay_alu instid0(VALU_DEP_1)
	v_add_co_ci_u32_e64 v74, s13, v76, v74, s13
.LBB542_193:
	s_or_b32 exec_lo, exec_lo, s14
	s_waitcnt lgkmcnt(2)
	v_or_b32_e32 v71, 31, v0
	s_waitcnt lgkmcnt(1)
	v_lshrrev_b32_e32 v75, 5, v0
	s_delay_alu instid0(VALU_DEP_2) | instskip(NEXT) | instid1(VALU_DEP_2)
	v_cmp_eq_u32_e64 s13, v71, v0
	v_lshlrev_b32_e32 v71, 4, v75
	s_delay_alu instid0(VALU_DEP_2)
	s_and_saveexec_b32 s14, s13
	s_cbranch_execz .LBB542_195
; %bb.194:
	ds_store_b32 v71, v59 offset:4128
	ds_store_b64 v71, v[73:74] offset:4136
.LBB542_195:
	s_or_b32 exec_lo, exec_lo, s14
	s_delay_alu instid0(SALU_CYCLE_1)
	s_mov_b32 s14, exec_lo
	s_waitcnt vmcnt(0) lgkmcnt(0)
	s_barrier
	buffer_gl0_inv
	v_cmpx_gt_u32_e32 8, v0
	s_cbranch_execz .LBB542_203
; %bb.196:
	v_lshlrev_b32_e32 v77, 4, v0
	v_and_b32_e32 v79, 7, v114
	s_mov_b32 s16, exec_lo
	ds_load_b32 v78, v77 offset:4128
	ds_load_b64 v[75:76], v77 offset:4136
	s_waitcnt lgkmcnt(1)
	v_mov_b32_dpp v80, v78 row_shr:1 row_mask:0xf bank_mask:0xf
	s_waitcnt lgkmcnt(0)
	v_mov_b32_dpp v81, v75 row_shr:1 row_mask:0xf bank_mask:0xf
	v_mov_b32_dpp v82, v76 row_shr:1 row_mask:0xf bank_mask:0xf
	v_cmpx_ne_u32_e32 0, v79
; %bb.197:
	v_cmp_eq_u32_e64 s13, 0, v78
	v_add_nc_u32_e32 v78, v80, v78
	s_delay_alu instid0(VALU_DEP_2) | instskip(SKIP_1) | instid1(VALU_DEP_2)
	v_cndmask_b32_e64 v81, 0, v81, s13
	v_cndmask_b32_e64 v82, 0, v82, s13
	v_add_co_u32 v75, s13, v81, v75
	s_delay_alu instid0(VALU_DEP_1)
	v_add_co_ci_u32_e64 v76, s13, v82, v76, s13
; %bb.198:
	s_or_b32 exec_lo, exec_lo, s16
	v_mov_b32_dpp v80, v78 row_shr:2 row_mask:0xf bank_mask:0xf
	s_delay_alu instid0(VALU_DEP_3) | instskip(NEXT) | instid1(VALU_DEP_3)
	v_mov_b32_dpp v81, v75 row_shr:2 row_mask:0xf bank_mask:0xf
	v_mov_b32_dpp v82, v76 row_shr:2 row_mask:0xf bank_mask:0xf
	s_mov_b32 s16, exec_lo
	v_cmpx_lt_u32_e32 1, v79
; %bb.199:
	v_cmp_eq_u32_e64 s13, 0, v78
	v_add_nc_u32_e32 v78, v80, v78
	s_delay_alu instid0(VALU_DEP_2) | instskip(SKIP_1) | instid1(VALU_DEP_2)
	v_cndmask_b32_e64 v81, 0, v81, s13
	v_cndmask_b32_e64 v82, 0, v82, s13
	v_add_co_u32 v75, s13, v81, v75
	s_delay_alu instid0(VALU_DEP_1)
	v_add_co_ci_u32_e64 v76, s13, v82, v76, s13
; %bb.200:
	s_or_b32 exec_lo, exec_lo, s16
	v_mov_b32_dpp v80, v78 row_shr:4 row_mask:0xf bank_mask:0xf
	s_delay_alu instid0(VALU_DEP_3) | instskip(NEXT) | instid1(VALU_DEP_3)
	v_mov_b32_dpp v81, v75 row_shr:4 row_mask:0xf bank_mask:0xf
	v_mov_b32_dpp v82, v76 row_shr:4 row_mask:0xf bank_mask:0xf
	s_mov_b32 s16, exec_lo
	v_cmpx_lt_u32_e32 3, v79
; %bb.201:
	v_cmp_eq_u32_e64 s13, 0, v78
	v_add_nc_u32_e32 v78, v80, v78
	s_delay_alu instid0(VALU_DEP_2) | instskip(SKIP_1) | instid1(VALU_DEP_2)
	v_cndmask_b32_e64 v81, 0, v81, s13
	v_cndmask_b32_e64 v79, 0, v82, s13
	v_add_co_u32 v75, s13, v81, v75
	s_delay_alu instid0(VALU_DEP_1)
	v_add_co_ci_u32_e64 v76, s13, v79, v76, s13
; %bb.202:
	s_or_b32 exec_lo, exec_lo, s16
	ds_store_b32 v77, v78 offset:4128
	ds_store_b64 v77, v[75:76] offset:4136
.LBB542_203:
	s_or_b32 exec_lo, exec_lo, s14
	v_dual_mov_b32 v77, 0 :: v_dual_mov_b32 v78, 0
	v_dual_mov_b32 v75, v107 :: v_dual_mov_b32 v76, v108
	s_mov_b32 s14, exec_lo
	s_waitcnt lgkmcnt(0)
	s_barrier
	buffer_gl0_inv
	v_cmpx_lt_u32_e32 31, v0
	s_cbranch_execz .LBB542_205
; %bb.204:
	ds_load_b32 v78, v71 offset:4112
	ds_load_b64 v[75:76], v71 offset:4120
	s_waitcnt lgkmcnt(1)
	v_cmp_eq_u32_e64 s13, 0, v78
	s_delay_alu instid0(VALU_DEP_1) | instskip(SKIP_2) | instid1(VALU_DEP_2)
	v_cndmask_b32_e64 v79, 0, v107, s13
	v_cndmask_b32_e64 v71, 0, v108, s13
	s_waitcnt lgkmcnt(0)
	v_add_co_u32 v75, s13, v79, v75
	s_delay_alu instid0(VALU_DEP_1)
	v_add_co_ci_u32_e64 v76, s13, v71, v76, s13
.LBB542_205:
	s_or_b32 exec_lo, exec_lo, s14
	v_add_nc_u32_e32 v71, -1, v114
	v_cmp_eq_u32_e64 s13, 0, v59
	v_add_nc_u32_e32 v59, v78, v59
	s_delay_alu instid0(VALU_DEP_3) | instskip(NEXT) | instid1(VALU_DEP_3)
	v_cmp_gt_i32_e64 s14, 0, v71
	v_cndmask_b32_e64 v80, 0, v75, s13
	v_cndmask_b32_e64 v79, 0, v76, s13
	s_delay_alu instid0(VALU_DEP_3) | instskip(NEXT) | instid1(VALU_DEP_3)
	v_cndmask_b32_e64 v71, v71, v114, s14
	v_add_co_u32 v73, s13, v80, v73
	s_delay_alu instid0(VALU_DEP_1) | instskip(NEXT) | instid1(VALU_DEP_3)
	v_add_co_ci_u32_e64 v74, s13, v79, v74, s13
	v_lshlrev_b32_e32 v71, 2, v71
	v_cmp_eq_u32_e64 s13, 0, v114
	ds_bpermute_b32 v73, v71, v73
	ds_bpermute_b32 v74, v71, v74
	;; [unrolled: 1-line block ×3, first 2 shown]
	s_waitcnt lgkmcnt(2)
	v_cndmask_b32_e64 v91, v73, v75, s13
	s_waitcnt lgkmcnt(1)
	v_cndmask_b32_e64 v92, v74, v76, s13
	;; [unrolled: 2-line block ×3, first 2 shown]
	v_cmp_eq_u32_e64 s13, 0, v63
	v_cndmask_b32_e64 v59, v91, v107, s2
	v_cndmask_b32_e64 v73, v92, v108, s2
	s_delay_alu instid0(VALU_DEP_2) | instskip(NEXT) | instid1(VALU_DEP_2)
	v_cndmask_b32_e64 v59, 0, v59, s13
	v_cndmask_b32_e64 v73, 0, v73, s13
	s_delay_alu instid0(VALU_DEP_2) | instskip(NEXT) | instid1(VALU_DEP_1)
	v_add_co_u32 v87, s13, v59, v53
	v_add_co_ci_u32_e64 v88, s13, v73, v54, s13
	ds_load_b32 v59, v77 offset:4240
	v_cndmask_b32_e64 v53, 0, v87, s12
	v_cndmask_b32_e64 v54, 0, v88, s12
	s_delay_alu instid0(VALU_DEP_2) | instskip(NEXT) | instid1(VALU_DEP_1)
	v_add_co_u32 v93, s12, v53, v55
	v_add_co_ci_u32_e64 v94, s12, v54, v56, s12
	s_delay_alu instid0(VALU_DEP_2) | instskip(NEXT) | instid1(VALU_DEP_2)
	v_cndmask_b32_e64 v53, 0, v93, s11
	v_cndmask_b32_e64 v54, 0, v94, s11
	s_delay_alu instid0(VALU_DEP_2) | instskip(NEXT) | instid1(VALU_DEP_1)
	v_add_co_u32 v97, s11, v53, v49
	v_add_co_ci_u32_e64 v98, s11, v54, v50, s11
	s_delay_alu instid0(VALU_DEP_2) | instskip(NEXT) | instid1(VALU_DEP_2)
	;; [unrolled: 6-line block ×9, first 2 shown]
	v_cndmask_b32_e64 v37, 0, v85, s3
	v_cndmask_b32_e64 v38, 0, v86, s3
	s_delay_alu instid0(VALU_DEP_2) | instskip(NEXT) | instid1(VALU_DEP_1)
	v_add_co_u32 v101, s3, v37, v33
	v_add_co_ci_u32_e64 v102, s3, v38, v34, s3
	ds_load_b64 v[33:34], v77 offset:4248
	v_dual_cndmask_b32 v37, 0, v101 :: v_dual_cndmask_b32 v38, 0, v102
	s_delay_alu instid0(VALU_DEP_1) | instskip(NEXT) | instid1(VALU_DEP_2)
	v_add_co_u32 v103, vcc_lo, v37, v35
	v_add_co_ci_u32_e32 v104, vcc_lo, v38, v36, vcc_lo
	s_waitcnt lgkmcnt(1)
	v_cmp_eq_u32_e32 vcc_lo, 0, v59
	s_delay_alu instid0(VALU_DEP_3) | instskip(NEXT) | instid1(VALU_DEP_3)
	v_cndmask_b32_e64 v35, 0, v103, s1
	v_cndmask_b32_e64 v36, 0, v104, s1
	s_delay_alu instid0(VALU_DEP_2) | instskip(NEXT) | instid1(VALU_DEP_1)
	v_add_co_u32 v105, s1, v35, v29
	v_add_co_ci_u32_e64 v106, s1, v36, v30, s1
	v_dual_cndmask_b32 v30, 0, v107 :: v_dual_cndmask_b32 v29, 0, v108
	s_delay_alu instid0(VALU_DEP_3) | instskip(NEXT) | instid1(VALU_DEP_3)
	v_cndmask_b32_e64 v109, 0, v105, s0
	v_cndmask_b32_e64 v110, 0, v106, s0
	s_waitcnt lgkmcnt(0)
	s_delay_alu instid0(VALU_DEP_3)
	v_add_co_u32 v75, vcc_lo, v30, v33
	v_add_co_ci_u32_e32 v76, vcc_lo, v29, v34, vcc_lo
	s_and_saveexec_b32 s0, s2
	s_cbranch_execz .LBB542_207
; %bb.206:
	v_mov_b32_e32 v91, v107
	v_dual_mov_b32 v71, 0 :: v_dual_mov_b32 v92, v108
	v_mov_b32_e32 v29, 2
	s_clause 0x1
	global_store_b32 v71, v59, s[38:39] offset:512
	global_store_b64 v71, v[75:76], s[38:39] offset:520
	s_waitcnt_vscnt null, 0x0
	buffer_gl1_inv
	buffer_gl0_inv
	global_store_b8 v71, v29, s[40:41] offset:32
.LBB542_207:
	s_or_b32 exec_lo, exec_lo, s0
	v_mov_b32_e32 v77, 0
.LBB542_208:
	v_mov_b32_e32 v29, 0
	s_and_b32 s0, s15, exec_lo
	v_mov_b32_e32 v30, 0
	s_cselect_b32 s1, 0, s51
	s_cselect_b32 s0, 0, s50
	s_waitcnt lgkmcnt(0)
	s_waitcnt_vscnt null, 0x0
	s_cmp_eq_u64 s[0:1], 0
	s_barrier
	buffer_gl0_inv
	s_cbranch_scc1 .LBB542_210
; %bb.209:
	v_mov_b32_e32 v29, 0
	global_load_b64 v[29:30], v29, s[0:1]
.LBB542_210:
	v_cmp_eq_u32_e32 vcc_lo, 0, v63
	v_add_nc_u32_e32 v48, v71, v63
	v_cmp_ne_u32_e64 s13, 0, v63
	v_cmp_ne_u32_e64 s12, 0, v72
	;; [unrolled: 1-line block ×3, first 2 shown]
	v_cndmask_b32_e64 v33, 1, 2, vcc_lo
	v_cmp_eq_u32_e32 vcc_lo, 0, v72
	v_add_nc_u32_e32 v50, v48, v72
	v_cmp_ne_u32_e64 s9, 0, v70
	v_cmp_ne_u32_e64 s15, 0, v67
	;; [unrolled: 1-line block ×3, first 2 shown]
	v_cndmask_b32_e64 v34, 1, 2, vcc_lo
	v_cmp_eq_u32_e32 vcc_lo, 0, v69
	v_add_nc_u32_e32 v49, v50, v69
	v_cmp_ne_u32_e64 s11, 0, v65
	s_delay_alu instid0(VALU_DEP_4)
	v_dual_mov_b32 v78, 0 :: v_dual_and_b32 v33, v34, v33
	v_cndmask_b32_e64 v35, 1, 2, vcc_lo
	v_cmp_eq_u32_e32 vcc_lo, 0, v70
	v_add_nc_u32_e32 v47, v49, v70
	v_cmp_ne_u32_e64 s8, 0, v66
	v_cmp_ne_u32_e64 s7, 0, v61
	v_and_b32_e32 v35, v33, v35
	v_cndmask_b32_e64 v36, 1, 2, vcc_lo
	v_cmp_eq_u32_e32 vcc_lo, 0, v67
	v_add_nc_u32_e32 v46, v47, v67
	s_waitcnt vmcnt(0)
	v_lshlrev_b64 v[33:34], 3, v[29:30]
	v_cmp_ne_u32_e64 s6, 0, v62
	v_and_b32_e32 v35, v35, v36
	v_cndmask_b32_e64 v37, 1, 2, vcc_lo
	v_cmp_eq_u32_e32 vcc_lo, 0, v68
	v_add_nc_u32_e32 v45, v46, v68
	v_cmp_ne_u32_e64 s5, 0, v113
	v_cmp_ne_u32_e64 s4, 0, v60
	v_and_b32_e32 v35, v35, v37
	v_cndmask_b32_e64 v36, 1, 2, vcc_lo
	v_cmp_eq_u32_e32 vcc_lo, 0, v65
	v_add_nc_u32_e32 v44, v45, v65
	v_cmp_ne_u32_e64 s3, 0, v112
	;; [unrolled: 6-line block ×3, first 2 shown]
	s_delay_alu instid0(VALU_DEP_4) | instskip(SKIP_3) | instid1(VALU_DEP_3)
	v_and_b32_e32 v35, v35, v37
	v_cndmask_b32_e64 v36, 1, 2, vcc_lo
	v_cmp_eq_u32_e32 vcc_lo, 0, v61
	v_add_nc_u32_e32 v42, v43, v61
	v_and_b32_e32 v35, v35, v36
	v_cndmask_b32_e64 v37, 1, 2, vcc_lo
	v_cmp_eq_u32_e32 vcc_lo, 0, v62
	s_delay_alu instid0(VALU_DEP_4) | instskip(NEXT) | instid1(VALU_DEP_3)
	v_add_nc_u32_e32 v41, v42, v62
	v_and_b32_e32 v35, v35, v37
	v_cndmask_b32_e64 v36, 1, 2, vcc_lo
	v_cmp_eq_u32_e32 vcc_lo, 0, v113
	s_delay_alu instid0(VALU_DEP_4) | instskip(NEXT) | instid1(VALU_DEP_3)
	v_add_nc_u32_e32 v40, v41, v113
	v_and_b32_e32 v39, v35, v36
	v_cndmask_b32_e64 v37, 1, 2, vcc_lo
	v_cmp_eq_u32_e32 vcc_lo, 0, v60
	v_lshlrev_b64 v[35:36], 3, v[77:78]
	s_delay_alu instid0(VALU_DEP_3) | instskip(SKIP_3) | instid1(VALU_DEP_3)
	v_and_b32_e32 v37, v39, v37
	v_cndmask_b32_e64 v38, 1, 2, vcc_lo
	v_cmp_eq_u32_e32 vcc_lo, 0, v112
	v_add_nc_u32_e32 v39, v40, v60
	v_and_b32_e32 v54, v37, v38
	v_cndmask_b32_e64 v53, 1, 2, vcc_lo
	v_add_co_u32 v51, vcc_lo, s18, v33
	v_add_co_ci_u32_e32 v52, vcc_lo, s19, v34, vcc_lo
	s_delay_alu instid0(VALU_DEP_3) | instskip(NEXT) | instid1(VALU_DEP_3)
	v_and_b32_e32 v53, v54, v53
	v_add_co_u32 v51, vcc_lo, v51, v35
	s_delay_alu instid0(VALU_DEP_3)
	v_add_co_ci_u32_e32 v52, vcc_lo, v52, v36, vcc_lo
	v_cmp_eq_u32_e32 vcc_lo, 0, v64
	v_add_nc_u32_e32 v38, v39, v112
	s_mov_b32 s18, -1
	v_cndmask_b32_e64 v54, 1, 2, vcc_lo
	v_cmp_eq_u32_e32 vcc_lo, 0, v111
	s_delay_alu instid0(VALU_DEP_3) | instskip(NEXT) | instid1(VALU_DEP_3)
	v_add_nc_u32_e32 v37, v38, v64
	v_and_b32_e32 v53, v53, v54
	v_cndmask_b32_e64 v54, 1, 2, vcc_lo
	v_cmp_gt_u32_e32 vcc_lo, 0x100, v59
	s_delay_alu instid0(VALU_DEP_2) | instskip(NEXT) | instid1(VALU_DEP_1)
	v_and_b32_e32 v53, v53, v54
	v_cmp_gt_i16_e64 s16, 2, v53
	s_cbranch_vccz .LBB542_217
; %bb.211:
	s_delay_alu instid0(VALU_DEP_1)
	s_and_saveexec_b32 s18, s16
	s_cbranch_execz .LBB542_216
; %bb.212:
	s_mov_b32 s19, 0
	s_mov_b32 s16, exec_lo
	v_cmpx_ne_u16_e32 1, v53
	s_xor_b32 s16, exec_lo, s16
	s_cbranch_execnz .LBB542_282
; %bb.213:
	s_and_not1_saveexec_b32 s16, s16
	s_cbranch_execnz .LBB542_298
.LBB542_214:
	s_or_b32 exec_lo, exec_lo, s16
	s_delay_alu instid0(SALU_CYCLE_1)
	s_and_b32 exec_lo, exec_lo, s19
	s_cbranch_execz .LBB542_216
.LBB542_215:
	v_sub_nc_u32_e32 v54, v37, v77
	v_mov_b32_e32 v55, 0
	s_delay_alu instid0(VALU_DEP_1) | instskip(NEXT) | instid1(VALU_DEP_1)
	v_lshlrev_b64 v[54:55], 3, v[54:55]
	v_add_co_u32 v54, vcc_lo, v51, v54
	s_delay_alu instid0(VALU_DEP_2)
	v_add_co_ci_u32_e32 v55, vcc_lo, v52, v55, vcc_lo
	global_store_b64 v[54:55], v[57:58], off
.LBB542_216:
	s_or_b32 exec_lo, exec_lo, s18
	s_mov_b32 s18, 0
.LBB542_217:
	s_delay_alu instid0(SALU_CYCLE_1)
	s_and_b32 vcc_lo, exec_lo, s18
	s_cbranch_vccz .LBB542_227
; %bb.218:
	s_mov_b32 s16, exec_lo
	v_cmpx_gt_i16_e32 2, v53
	s_cbranch_execz .LBB542_223
; %bb.219:
	s_mov_b32 s19, 0
	s_mov_b32 s18, exec_lo
	v_cmpx_ne_u16_e32 1, v53
	s_xor_b32 s18, exec_lo, s18
	s_cbranch_execnz .LBB542_299
; %bb.220:
	s_and_not1_saveexec_b32 s0, s18
	s_cbranch_execnz .LBB542_315
.LBB542_221:
	s_or_b32 exec_lo, exec_lo, s0
	s_delay_alu instid0(SALU_CYCLE_1)
	s_and_b32 exec_lo, exec_lo, s19
	s_cbranch_execz .LBB542_223
.LBB542_222:
	v_sub_nc_u32_e32 v1, v37, v77
	s_delay_alu instid0(VALU_DEP_1)
	v_lshlrev_b32_e32 v1, 3, v1
	ds_store_b64 v1, v[57:58]
.LBB542_223:
	s_or_b32 exec_lo, exec_lo, s16
	s_delay_alu instid0(SALU_CYCLE_1)
	s_mov_b32 s1, exec_lo
	s_waitcnt lgkmcnt(0)
	s_waitcnt_vscnt null, 0x0
	s_barrier
	buffer_gl0_inv
	v_cmpx_lt_u32_e64 v0, v59
	s_cbranch_execz .LBB542_226
; %bb.224:
	v_dual_mov_b32 v2, 0 :: v_dual_lshlrev_b32 v3, 3, v0
	v_mov_b32_e32 v1, v0
	s_mov_b32 s3, 0
	.p2align	6
.LBB542_225:                            ; =>This Inner Loop Header: Depth=1
	ds_load_b64 v[4:5], v3
	v_lshlrev_b64 v[6:7], 3, v[1:2]
	v_add_nc_u32_e32 v1, 0x100, v1
	v_add_nc_u32_e32 v3, 0x800, v3
	s_delay_alu instid0(VALU_DEP_2) | instskip(NEXT) | instid1(VALU_DEP_4)
	v_cmp_ge_u32_e32 vcc_lo, v1, v59
	v_add_co_u32 v6, s0, v51, v6
	s_delay_alu instid0(VALU_DEP_1)
	v_add_co_ci_u32_e64 v7, s0, v52, v7, s0
	s_or_b32 s3, vcc_lo, s3
	s_waitcnt lgkmcnt(0)
	global_store_b64 v[6:7], v[4:5], off
	s_and_not1_b32 exec_lo, exec_lo, s3
	s_cbranch_execnz .LBB542_225
.LBB542_226:
	s_or_b32 exec_lo, exec_lo, s1
.LBB542_227:
	s_cmpk_lg_i32 s28, 0xf00
	v_cndmask_b32_e64 v8, 0, 1, s29
	s_cselect_b32 s0, -1, 0
	v_mad_i32_i24 v5, v0, -15, s28
	s_and_b32 s0, s0, s17
	v_add_co_u32 v1, vcc_lo, v109, v31
	v_cndmask_b32_e64 v4, 0, 1, s0
	s_mul_hi_u32 s0, s28, 0x88888889
	s_and_b32 s1, s2, s29
	s_lshr_b32 s0, s0, 3
	v_add_co_ci_u32_e32 v2, vcc_lo, v110, v32, vcc_lo
	v_sub_nc_u32_e32 v3, v59, v8
	v_cndmask_b32_e64 v6, v63, 0, s1
	v_cmp_eq_u32_e32 vcc_lo, s0, v0
	v_cmp_ne_u32_e64 s0, 0, v5
	s_mov_b32 s16, -1
	s_waitcnt_vscnt null, 0x0
	s_barrier
	s_and_b32 vcc_lo, vcc_lo, s17
	v_add_nc_u32_e32 v3, v3, v4
	v_cndmask_b32_e64 v4, 1, v6, s0
	v_cmp_ne_u32_e64 s0, 1, v5
	buffer_gl0_inv
	v_cndmask_b32_e64 v7, 1, v72, s0
	v_cmp_ne_u32_e64 s0, 14, v5
	s_delay_alu instid0(VALU_DEP_1) | instskip(SKIP_1) | instid1(VALU_DEP_2)
	v_cndmask_b32_e64 v9, 1, v111, s0
	v_cmp_ne_u32_e64 s0, 2, v5
	v_dual_cndmask_b32 v12, v111, v9 :: v_dual_cndmask_b32 v9, v6, v4
	s_delay_alu instid0(VALU_DEP_2) | instskip(SKIP_1) | instid1(VALU_DEP_3)
	v_cndmask_b32_e64 v10, 1, v69, s0
	v_cmp_ne_u32_e64 s0, 3, v5
	v_cmp_ne_u32_e64 s14, 0, v9
	s_delay_alu instid0(VALU_DEP_3) | instskip(NEXT) | instid1(VALU_DEP_3)
	v_cndmask_b32_e32 v10, v69, v10, vcc_lo
	v_cndmask_b32_e64 v11, 1, v70, s0
	v_cmp_ne_u32_e64 s0, 4, v5
	s_delay_alu instid0(VALU_DEP_3) | instskip(NEXT) | instid1(VALU_DEP_2)
	v_cmp_ne_u32_e64 s12, 0, v10
	v_cndmask_b32_e64 v4, 1, v67, s0
	v_cmp_ne_u32_e64 s0, 5, v5
	s_delay_alu instid0(VALU_DEP_2) | instskip(NEXT) | instid1(VALU_DEP_2)
	v_dual_cndmask_b32 v13, v72, v7 :: v_dual_cndmask_b32 v18, v67, v4
	v_cndmask_b32_e64 v6, 1, v68, s0
	v_cmp_eq_u32_e64 s0, 0, v9
	s_delay_alu instid0(VALU_DEP_3) | instskip(NEXT) | instid1(VALU_DEP_4)
	v_cmp_ne_u32_e64 s13, 0, v13
	v_cmp_ne_u32_e64 s10, 0, v18
	s_delay_alu instid0(VALU_DEP_4) | instskip(NEXT) | instid1(VALU_DEP_4)
	v_cndmask_b32_e32 v19, v68, v6, vcc_lo
	v_cndmask_b32_e64 v7, 1, 2, s0
	v_cmp_eq_u32_e64 s0, 0, v13
	s_delay_alu instid0(VALU_DEP_1) | instskip(SKIP_1) | instid1(VALU_DEP_2)
	v_cndmask_b32_e64 v14, 1, 2, s0
	v_cmp_ne_u32_e64 s0, 6, v5
	v_and_b32_e32 v7, v14, v7
	s_delay_alu instid0(VALU_DEP_2) | instskip(SKIP_1) | instid1(VALU_DEP_2)
	v_cndmask_b32_e64 v15, 1, v65, s0
	v_cmp_eq_u32_e64 s0, 0, v10
	v_cndmask_b32_e32 v15, v65, v15, vcc_lo
	s_delay_alu instid0(VALU_DEP_2) | instskip(SKIP_1) | instid1(VALU_DEP_1)
	v_cndmask_b32_e64 v14, 1, 2, s0
	v_cmp_ne_u32_e64 s0, 7, v5
	v_cndmask_b32_e64 v16, 1, v66, s0
	v_cmp_ne_u32_e64 s0, 8, v5
	s_delay_alu instid0(VALU_DEP_2) | instskip(SKIP_1) | instid1(VALU_DEP_3)
	v_dual_cndmask_b32 v16, v66, v16 :: v_dual_and_b32 v7, v7, v14
	v_cndmask_b32_e32 v11, v70, v11, vcc_lo
	v_cndmask_b32_e64 v17, 1, v61, s0
	s_delay_alu instid0(VALU_DEP_3) | instskip(NEXT) | instid1(VALU_DEP_3)
	v_cmp_ne_u32_e64 s7, 0, v16
	v_cmp_eq_u32_e64 s0, 0, v11
	s_delay_alu instid0(VALU_DEP_3) | instskip(NEXT) | instid1(VALU_DEP_2)
	v_cndmask_b32_e32 v17, v61, v17, vcc_lo
	v_cndmask_b32_e64 v14, 1, 2, s0
	v_cmp_ne_u32_e64 s0, 9, v5
	s_delay_alu instid0(VALU_DEP_3) | instskip(NEXT) | instid1(VALU_DEP_3)
	v_cmp_ne_u32_e64 s6, 0, v17
	v_and_b32_e32 v6, v7, v14
	s_delay_alu instid0(VALU_DEP_3) | instskip(SKIP_2) | instid1(VALU_DEP_3)
	v_cndmask_b32_e64 v4, 1, v62, s0
	v_cmp_eq_u32_e64 s0, 0, v18
	v_cmp_ne_u32_e64 s11, 0, v11
	v_cndmask_b32_e32 v23, v62, v4, vcc_lo
	s_delay_alu instid0(VALU_DEP_3) | instskip(SKIP_1) | instid1(VALU_DEP_3)
	v_cndmask_b32_e64 v7, 1, 2, s0
	v_cmp_ne_u32_e64 s0, 10, v5
	v_cmp_ne_u32_e64 s5, 0, v23
	s_delay_alu instid0(VALU_DEP_3) | instskip(NEXT) | instid1(VALU_DEP_3)
	v_and_b32_e32 v6, v6, v7
	v_cndmask_b32_e64 v14, 1, v113, s0
	v_cmp_ne_u32_e64 s0, 12, v5
	v_cmp_ne_u32_e64 s9, 0, v19
	s_delay_alu instid0(VALU_DEP_3) | instskip(NEXT) | instid1(VALU_DEP_3)
	v_cndmask_b32_e32 v14, v113, v14, vcc_lo
	v_cndmask_b32_e64 v20, 1, v112, s0
	v_cmp_eq_u32_e64 s0, 0, v19
	s_delay_alu instid0(VALU_DEP_3) | instskip(NEXT) | instid1(VALU_DEP_3)
	v_cmp_ne_u32_e64 s4, 0, v14
	v_cndmask_b32_e32 v20, v112, v20, vcc_lo
	s_delay_alu instid0(VALU_DEP_3) | instskip(SKIP_1) | instid1(VALU_DEP_3)
	v_cndmask_b32_e64 v7, 1, 2, s0
	v_cmp_ne_u32_e64 s0, 13, v5
	v_cmp_ne_u32_e64 s2, 0, v20
	s_delay_alu instid0(VALU_DEP_2) | instskip(SKIP_1) | instid1(VALU_DEP_2)
	v_cndmask_b32_e64 v21, 1, v64, s0
	v_cmp_eq_u32_e64 s0, 0, v15
	v_dual_cndmask_b32 v21, v64, v21 :: v_dual_and_b32 v6, v6, v7
	s_delay_alu instid0(VALU_DEP_2) | instskip(SKIP_1) | instid1(VALU_DEP_3)
	v_cndmask_b32_e64 v7, 1, 2, s0
	v_cmp_ne_u32_e64 s0, 11, v5
	v_cmp_ne_u32_e64 s1, 0, v21
	s_delay_alu instid0(VALU_DEP_3) | instskip(NEXT) | instid1(VALU_DEP_3)
	v_and_b32_e32 v6, v6, v7
	v_cndmask_b32_e64 v5, 1, v60, s0
	v_cmp_eq_u32_e64 s0, 0, v16
	s_delay_alu instid0(VALU_DEP_2) | instskip(NEXT) | instid1(VALU_DEP_2)
	v_cndmask_b32_e32 v22, v60, v5, vcc_lo
	v_cndmask_b32_e64 v7, 1, 2, s0
	v_cmp_eq_u32_e32 vcc_lo, 0, v17
	v_cmp_ne_u32_e64 s8, 0, v15
	v_cmp_ne_u32_e64 s0, 0, v12
	;; [unrolled: 1-line block ×3, first 2 shown]
	v_and_b32_e32 v4, v6, v7
	v_cndmask_b32_e64 v5, 1, 2, vcc_lo
	v_add_co_u32 v6, vcc_lo, s20, v33
	v_add_co_ci_u32_e32 v7, vcc_lo, s21, v34, vcc_lo
	v_cmp_eq_u32_e32 vcc_lo, 0, v23
	s_delay_alu instid0(VALU_DEP_4)
	v_and_b32_e32 v24, v4, v5
	v_cndmask_b32_e64 v25, 1, 2, vcc_lo
	v_add_co_u32 v4, vcc_lo, v6, v35
	v_add_co_ci_u32_e32 v5, vcc_lo, v7, v36, vcc_lo
	v_lshlrev_b32_e32 v6, 3, v8
	v_cmp_eq_u32_e32 vcc_lo, 0, v14
	v_and_b32_e32 v7, v24, v25
	v_add_nc_u32_e32 v8, v77, v8
	v_cndmask_b32_e64 v24, 1, 2, vcc_lo
	v_add_co_u32 v6, vcc_lo, v6, v4
	v_add_co_ci_u32_e32 v25, vcc_lo, 0, v5, vcc_lo
	v_cmp_eq_u32_e32 vcc_lo, 0, v22
	s_delay_alu instid0(VALU_DEP_4) | instskip(SKIP_4) | instid1(VALU_DEP_4)
	v_and_b32_e32 v24, v7, v24
	v_cndmask_b32_e64 v26, 1, 2, vcc_lo
	v_add_co_u32 v6, vcc_lo, v6, -8
	v_add_co_ci_u32_e32 v7, vcc_lo, -1, v25, vcc_lo
	v_cmp_eq_u32_e32 vcc_lo, 0, v20
	v_and_b32_e32 v24, v24, v26
	v_cndmask_b32_e64 v25, 1, 2, vcc_lo
	v_cmp_eq_u32_e32 vcc_lo, 0, v21
	s_delay_alu instid0(VALU_DEP_2) | instskip(SKIP_2) | instid1(VALU_DEP_2)
	v_and_b32_e32 v9, v24, v25
	v_cndmask_b32_e64 v10, 1, 2, vcc_lo
	v_cmp_eq_u32_e32 vcc_lo, 0, v12
	v_and_b32_e32 v9, v9, v10
	v_cndmask_b32_e64 v10, 1, 2, vcc_lo
	v_cmp_gt_u32_e32 vcc_lo, 0x100, v3
	s_delay_alu instid0(VALU_DEP_2) | instskip(NEXT) | instid1(VALU_DEP_1)
	v_and_b32_e32 v9, v9, v10
	v_cmp_gt_i16_e64 s15, 2, v9
	s_cbranch_vccnz .LBB542_231
; %bb.228:
	s_and_b32 vcc_lo, exec_lo, s16
	s_cbranch_vccnz .LBB542_237
.LBB542_229:
	v_cmp_eq_u32_e32 vcc_lo, 0xff, v0
	s_and_b32 s0, vcc_lo, s17
	s_delay_alu instid0(SALU_CYCLE_1)
	s_and_saveexec_b32 s1, s0
	s_cbranch_execnz .LBB542_246
.LBB542_230:
	s_nop 0
	s_sendmsg sendmsg(MSG_DEALLOC_VGPRS)
	s_endpgm
.LBB542_231:
	s_delay_alu instid0(VALU_DEP_1)
	s_and_saveexec_b32 s16, s15
	s_cbranch_execz .LBB542_236
; %bb.232:
	s_mov_b32 s18, 0
	s_mov_b32 s15, exec_lo
	v_cmpx_ne_u16_e32 1, v9
	s_xor_b32 s15, exec_lo, s15
	s_cbranch_execnz .LBB542_316
; %bb.233:
	s_and_not1_saveexec_b32 s15, s15
	s_cbranch_execnz .LBB542_332
.LBB542_234:
	s_or_b32 exec_lo, exec_lo, s15
	s_delay_alu instid0(SALU_CYCLE_1)
	s_and_b32 exec_lo, exec_lo, s18
	s_cbranch_execz .LBB542_236
.LBB542_235:
	v_sub_nc_u32_e32 v10, v37, v8
	v_mov_b32_e32 v11, 0
	s_delay_alu instid0(VALU_DEP_1) | instskip(NEXT) | instid1(VALU_DEP_1)
	v_lshlrev_b64 v[10:11], 3, v[10:11]
	v_add_co_u32 v10, vcc_lo, v6, v10
	s_delay_alu instid0(VALU_DEP_2)
	v_add_co_ci_u32_e32 v11, vcc_lo, v7, v11, vcc_lo
	global_store_b64 v[10:11], v[1:2], off
.LBB542_236:
	s_or_b32 exec_lo, exec_lo, s16
	s_branch .LBB542_229
.LBB542_237:
	s_mov_b32 s15, exec_lo
	v_cmpx_gt_i16_e32 2, v9
	s_cbranch_execz .LBB542_242
; %bb.238:
	s_mov_b32 s18, 0
	s_mov_b32 s16, exec_lo
	v_cmpx_ne_u16_e32 1, v9
	s_xor_b32 s16, exec_lo, s16
	s_cbranch_execnz .LBB542_333
; %bb.239:
	s_and_not1_saveexec_b32 s0, s16
	s_cbranch_execnz .LBB542_349
.LBB542_240:
	s_or_b32 exec_lo, exec_lo, s0
	s_delay_alu instid0(SALU_CYCLE_1)
	s_and_b32 exec_lo, exec_lo, s18
	s_cbranch_execz .LBB542_242
.LBB542_241:
	v_sub_nc_u32_e32 v8, v37, v8
	s_delay_alu instid0(VALU_DEP_1)
	v_lshlrev_b32_e32 v8, 3, v8
	ds_store_b64 v8, v[1:2]
.LBB542_242:
	s_or_b32 exec_lo, exec_lo, s15
	s_delay_alu instid0(SALU_CYCLE_1)
	s_mov_b32 s1, exec_lo
	s_waitcnt lgkmcnt(0)
	s_waitcnt_vscnt null, 0x0
	s_barrier
	buffer_gl0_inv
	v_cmpx_lt_u32_e64 v0, v3
	s_cbranch_execz .LBB542_245
; %bb.243:
	v_dual_mov_b32 v1, v0 :: v_dual_lshlrev_b32 v8, 3, v0
	v_mov_b32_e32 v2, 0
	s_mov_b32 s2, 0
	.p2align	6
.LBB542_244:                            ; =>This Inner Loop Header: Depth=1
	ds_load_b64 v[9:10], v8
	v_lshlrev_b64 v[11:12], 3, v[1:2]
	v_add_nc_u32_e32 v1, 0x100, v1
	v_add_nc_u32_e32 v8, 0x800, v8
	s_delay_alu instid0(VALU_DEP_2) | instskip(NEXT) | instid1(VALU_DEP_4)
	v_cmp_ge_u32_e32 vcc_lo, v1, v3
	v_add_co_u32 v11, s0, v6, v11
	s_delay_alu instid0(VALU_DEP_1)
	v_add_co_ci_u32_e64 v12, s0, v7, v12, s0
	s_or_b32 s2, vcc_lo, s2
	s_waitcnt lgkmcnt(0)
	global_store_b64 v[11:12], v[9:10], off
	s_and_not1_b32 exec_lo, exec_lo, s2
	s_cbranch_execnz .LBB542_244
.LBB542_245:
	s_or_b32 exec_lo, exec_lo, s1
	v_cmp_eq_u32_e32 vcc_lo, 0xff, v0
	s_and_b32 s0, vcc_lo, s17
	s_delay_alu instid0(SALU_CYCLE_1)
	s_and_saveexec_b32 s1, s0
	s_cbranch_execz .LBB542_230
.LBB542_246:
	v_add_co_u32 v0, s0, v59, v77
	s_delay_alu instid0(VALU_DEP_1) | instskip(SKIP_1) | instid1(VALU_DEP_3)
	v_add_co_ci_u32_e64 v1, null, 0, 0, s0
	v_mov_b32_e32 v60, 0
	v_add_co_u32 v0, vcc_lo, v0, v29
	s_delay_alu instid0(VALU_DEP_3)
	v_add_co_ci_u32_e32 v1, vcc_lo, v1, v30, vcc_lo
	s_cmpk_lg_i32 s28, 0xf00
	global_store_b64 v60, v[0:1], s[22:23]
	s_cbranch_scc1 .LBB542_230
; %bb.247:
	v_lshlrev_b64 v[0:1], 3, v[59:60]
	s_delay_alu instid0(VALU_DEP_1) | instskip(NEXT) | instid1(VALU_DEP_2)
	v_add_co_u32 v0, vcc_lo, v4, v0
	v_add_co_ci_u32_e32 v1, vcc_lo, v5, v1, vcc_lo
	global_store_b64 v[0:1], v[75:76], off offset:-8
	s_nop 0
	s_sendmsg sendmsg(MSG_DEALLOC_VGPRS)
	s_endpgm
.LBB542_248:
                                        ; implicit-def: $sgpr4
                                        ; implicit-def: $vgpr111
                                        ; implicit-def: $vgpr76
                                        ; implicit-def: $vgpr112
                                        ; implicit-def: $vgpr60
                                        ; implicit-def: $vgpr113
                                        ; implicit-def: $vgpr62
                                        ; implicit-def: $vgpr61
                                        ; implicit-def: $vgpr66
                                        ; implicit-def: $vgpr65
                                        ; implicit-def: $vgpr68
                                        ; implicit-def: $vgpr67
                                        ; implicit-def: $vgpr70
                                        ; implicit-def: $vgpr69
                                        ; implicit-def: $vgpr72
	s_cbranch_execz .LBB542_114
.LBB542_249:
	v_dual_mov_b32 v64, 0 :: v_dual_lshlrev_b32 v75, 3, v0
	v_mov_b32_e32 v111, 0
	s_mov_b32 s4, exec_lo
	ds_store_b64 v75, v[57:58]
	v_cmpx_gt_u64_e64 s[0:1], v[63:64]
; %bb.250:
	v_mul_hi_i32 v59, 0x66666667, v3
	v_mul_hi_i32 v60, 0x66666667, v57
	s_delay_alu instid0(VALU_DEP_2) | instskip(SKIP_1) | instid1(VALU_DEP_3)
	v_lshrrev_b32_e32 v61, 31, v59
	v_ashrrev_i32_e32 v59, 2, v59
	v_lshrrev_b32_e32 v62, 31, v60
	v_ashrrev_i32_e32 v60, 2, v60
	s_delay_alu instid0(VALU_DEP_3) | instskip(NEXT) | instid1(VALU_DEP_2)
	v_add_nc_u32_e32 v59, v59, v61
	v_add_nc_u32_e32 v60, v60, v62
	s_delay_alu instid0(VALU_DEP_1)
	v_cmp_ne_u32_e32 vcc_lo, v59, v60
	v_cndmask_b32_e64 v111, 0, 1, vcc_lo
; %bb.251:
	s_or_b32 exec_lo, exec_lo, s4
	v_add_nc_u32_e32 v63, 13, v77
	s_mov_b32 s4, exec_lo
	s_delay_alu instid0(VALU_DEP_1)
	v_cmpx_gt_u64_e64 s[0:1], v[63:64]
; %bb.252:
	v_mul_hi_i32 v59, 0x66666667, v1
	v_mul_hi_i32 v60, 0x66666667, v3
	s_delay_alu instid0(VALU_DEP_2) | instskip(SKIP_1) | instid1(VALU_DEP_3)
	v_lshrrev_b32_e32 v61, 31, v59
	v_ashrrev_i32_e32 v59, 2, v59
	v_lshrrev_b32_e32 v62, 31, v60
	v_ashrrev_i32_e32 v60, 2, v60
	s_delay_alu instid0(VALU_DEP_3) | instskip(NEXT) | instid1(VALU_DEP_2)
	v_add_nc_u32_e32 v59, v59, v61
	v_add_nc_u32_e32 v60, v60, v62
	s_delay_alu instid0(VALU_DEP_1)
	v_cmp_ne_u32_e32 vcc_lo, v59, v60
	v_cndmask_b32_e64 v64, 0, 1, vcc_lo
; %bb.253:
	s_or_b32 exec_lo, exec_lo, s4
	v_dual_mov_b32 v60, 0 :: v_dual_add_nc_u32 v59, 12, v77
	v_mov_b32_e32 v112, 0
	s_mov_b32 s4, exec_lo
	s_delay_alu instid0(VALU_DEP_2)
	v_cmpx_gt_u64_e64 s[0:1], v[59:60]
; %bb.254:
	v_mul_hi_i32 v59, 0x66666667, v7
	v_mul_hi_i32 v61, 0x66666667, v1
	s_delay_alu instid0(VALU_DEP_2) | instskip(SKIP_1) | instid1(VALU_DEP_3)
	v_lshrrev_b32_e32 v62, 31, v59
	v_ashrrev_i32_e32 v59, 2, v59
	v_lshrrev_b32_e32 v63, 31, v61
	v_ashrrev_i32_e32 v61, 2, v61
	s_delay_alu instid0(VALU_DEP_3) | instskip(NEXT) | instid1(VALU_DEP_2)
	v_add_nc_u32_e32 v59, v59, v62
	v_add_nc_u32_e32 v61, v61, v63
	s_delay_alu instid0(VALU_DEP_1)
	v_cmp_ne_u32_e32 vcc_lo, v59, v61
	v_cndmask_b32_e64 v112, 0, 1, vcc_lo
; %bb.255:
	s_or_b32 exec_lo, exec_lo, s4
	v_add_nc_u32_e32 v59, 11, v77
	s_mov_b32 s4, exec_lo
	s_delay_alu instid0(VALU_DEP_1)
	v_cmpx_gt_u64_e64 s[0:1], v[59:60]
; %bb.256:
	v_mul_hi_i32 v59, 0x66666667, v5
	v_mul_hi_i32 v60, 0x66666667, v7
	s_delay_alu instid0(VALU_DEP_2) | instskip(SKIP_1) | instid1(VALU_DEP_3)
	v_lshrrev_b32_e32 v61, 31, v59
	v_ashrrev_i32_e32 v59, 2, v59
	v_lshrrev_b32_e32 v62, 31, v60
	v_ashrrev_i32_e32 v60, 2, v60
	s_delay_alu instid0(VALU_DEP_3) | instskip(NEXT) | instid1(VALU_DEP_2)
	v_add_nc_u32_e32 v59, v59, v61
	v_add_nc_u32_e32 v60, v60, v62
	s_delay_alu instid0(VALU_DEP_1)
	v_cmp_ne_u32_e32 vcc_lo, v59, v60
	v_cndmask_b32_e64 v60, 0, 1, vcc_lo
; %bb.257:
	s_or_b32 exec_lo, exec_lo, s4
	v_dual_mov_b32 v62, 0 :: v_dual_add_nc_u32 v61, 10, v77
	v_mov_b32_e32 v113, 0
	s_mov_b32 s4, exec_lo
	s_delay_alu instid0(VALU_DEP_2)
	;; [unrolled: 41-line block ×6, first 2 shown]
	v_cmpx_gt_u64_e64 s[0:1], v[71:72]
; %bb.274:
	v_mul_hi_i32 v59, 0x66666667, v27
	v_mul_hi_i32 v63, 0x66666667, v21
	s_delay_alu instid0(VALU_DEP_2) | instskip(SKIP_1) | instid1(VALU_DEP_3)
	v_lshrrev_b32_e32 v69, 31, v59
	v_ashrrev_i32_e32 v59, 2, v59
	v_lshrrev_b32_e32 v71, 31, v63
	v_ashrrev_i32_e32 v63, 2, v63
	s_delay_alu instid0(VALU_DEP_3) | instskip(NEXT) | instid1(VALU_DEP_2)
	v_add_nc_u32_e32 v59, v59, v69
	v_add_nc_u32_e32 v63, v63, v71
	s_delay_alu instid0(VALU_DEP_1)
	v_cmp_ne_u32_e32 vcc_lo, v59, v63
	v_cndmask_b32_e64 v69, 0, 1, vcc_lo
; %bb.275:
	s_or_b32 exec_lo, exec_lo, s4
	v_add_nc_u32_e32 v71, 1, v77
	s_mov_b32 s4, exec_lo
	s_delay_alu instid0(VALU_DEP_1)
	v_cmpx_gt_u64_e64 s[0:1], v[71:72]
; %bb.276:
	v_mul_hi_i32 v59, 0x66666667, v25
	v_mul_hi_i32 v63, 0x66666667, v27
	s_delay_alu instid0(VALU_DEP_2) | instskip(SKIP_1) | instid1(VALU_DEP_3)
	v_lshrrev_b32_e32 v71, 31, v59
	v_ashrrev_i32_e32 v59, 2, v59
	v_lshrrev_b32_e32 v72, 31, v63
	v_ashrrev_i32_e32 v63, 2, v63
	s_delay_alu instid0(VALU_DEP_3) | instskip(NEXT) | instid1(VALU_DEP_2)
	v_add_nc_u32_e32 v59, v59, v71
	v_add_nc_u32_e32 v63, v63, v72
	s_delay_alu instid0(VALU_DEP_1)
	v_cmp_ne_u32_e32 vcc_lo, v59, v63
	v_cndmask_b32_e64 v72, 0, 1, vcc_lo
; %bb.277:
	s_or_b32 exec_lo, exec_lo, s4
	s_waitcnt lgkmcnt(0)
	s_barrier
	buffer_gl0_inv
                                        ; implicit-def: $sgpr4
	s_and_saveexec_b32 s5, s3
	s_cbranch_execz .LBB542_281
; %bb.278:
	v_mov_b32_e32 v78, 0
	s_delay_alu instid0(VALU_DEP_1)
	v_cmp_gt_u64_e32 vcc_lo, s[0:1], v[77:78]
	s_mov_b32 s1, 0
	s_and_saveexec_b32 s0, vcc_lo
	s_cbranch_execz .LBB542_280
; %bb.279:
	v_add_nc_u32_e32 v59, -8, v75
	v_mul_hi_i32 v63, 0x66666667, v25
	ds_load_b32 v59, v59
	v_lshrrev_b32_e32 v71, 31, v63
	v_ashrrev_i32_e32 v63, 2, v63
	s_delay_alu instid0(VALU_DEP_1) | instskip(SKIP_2) | instid1(VALU_DEP_1)
	v_add_nc_u32_e32 v63, v63, v71
	s_waitcnt lgkmcnt(0)
	v_mul_hi_i32 v59, 0x66666667, v59
	v_lshrrev_b32_e32 v75, 31, v59
	v_ashrrev_i32_e32 v59, 2, v59
	s_delay_alu instid0(VALU_DEP_1) | instskip(NEXT) | instid1(VALU_DEP_1)
	v_add_nc_u32_e32 v59, v59, v75
	v_cmp_ne_u32_e32 vcc_lo, v59, v63
	s_and_b32 s1, vcc_lo, exec_lo
.LBB542_280:
	s_or_b32 exec_lo, exec_lo, s0
	s_delay_alu instid0(SALU_CYCLE_1)
	s_and_b32 s4, s1, exec_lo
	s_or_b32 s15, s15, exec_lo
.LBB542_281:
	s_or_b32 exec_lo, exec_lo, s5
	v_mov_b32_e32 v76, v64
	s_mov_b32 s0, 1
	s_delay_alu instid0(SALU_CYCLE_1)
	v_mov_b32_e32 v63, s0
	s_and_saveexec_b32 s0, s15
	s_cbranch_execnz .LBB542_116
	s_branch .LBB542_117
.LBB542_282:
	s_and_saveexec_b32 s19, s13
	s_cbranch_execnz .LBB542_350
; %bb.283:
	s_or_b32 exec_lo, exec_lo, s19
	s_and_saveexec_b32 s19, s12
	s_cbranch_execnz .LBB542_351
.LBB542_284:
	s_or_b32 exec_lo, exec_lo, s19
	s_and_saveexec_b32 s19, s10
	s_cbranch_execnz .LBB542_352
.LBB542_285:
	s_or_b32 exec_lo, exec_lo, s19
	s_and_saveexec_b32 s19, s9
	s_cbranch_execnz .LBB542_353
.LBB542_286:
	s_or_b32 exec_lo, exec_lo, s19
	s_and_saveexec_b32 s19, s15
	s_cbranch_execnz .LBB542_354
.LBB542_287:
	s_or_b32 exec_lo, exec_lo, s19
	s_and_saveexec_b32 s19, s14
	s_cbranch_execnz .LBB542_355
.LBB542_288:
	s_or_b32 exec_lo, exec_lo, s19
	s_and_saveexec_b32 s19, s11
	s_cbranch_execnz .LBB542_356
.LBB542_289:
	s_or_b32 exec_lo, exec_lo, s19
	s_and_saveexec_b32 s19, s8
	s_cbranch_execnz .LBB542_357
.LBB542_290:
	s_or_b32 exec_lo, exec_lo, s19
	s_and_saveexec_b32 s19, s7
	s_cbranch_execnz .LBB542_358
.LBB542_291:
	s_or_b32 exec_lo, exec_lo, s19
	s_and_saveexec_b32 s19, s6
	s_cbranch_execnz .LBB542_359
.LBB542_292:
	s_or_b32 exec_lo, exec_lo, s19
	s_and_saveexec_b32 s19, s5
	s_cbranch_execnz .LBB542_360
.LBB542_293:
	s_or_b32 exec_lo, exec_lo, s19
	s_and_saveexec_b32 s19, s4
	s_cbranch_execnz .LBB542_361
.LBB542_294:
	s_or_b32 exec_lo, exec_lo, s19
	s_and_saveexec_b32 s19, s3
	s_cbranch_execnz .LBB542_362
.LBB542_295:
	s_or_b32 exec_lo, exec_lo, s19
	s_and_saveexec_b32 s19, s1
	s_cbranch_execz .LBB542_297
.LBB542_296:
	v_sub_nc_u32_e32 v54, v38, v77
	v_mov_b32_e32 v55, 0
	s_delay_alu instid0(VALU_DEP_1) | instskip(NEXT) | instid1(VALU_DEP_1)
	v_lshlrev_b64 v[54:55], 3, v[54:55]
	v_add_co_u32 v54, vcc_lo, v51, v54
	s_delay_alu instid0(VALU_DEP_2)
	v_add_co_ci_u32_e32 v55, vcc_lo, v52, v55, vcc_lo
	global_store_b64 v[54:55], v[3:4], off
.LBB542_297:
	s_or_b32 exec_lo, exec_lo, s19
	s_delay_alu instid0(SALU_CYCLE_1)
	s_and_b32 s19, s0, exec_lo
	s_and_not1_saveexec_b32 s16, s16
	s_cbranch_execz .LBB542_214
.LBB542_298:
	v_sub_nc_u32_e32 v54, v71, v77
	v_mov_b32_e32 v55, 0
	s_or_b32 s19, s19, exec_lo
	s_delay_alu instid0(VALU_DEP_1) | instskip(SKIP_1) | instid1(VALU_DEP_1)
	v_lshlrev_b64 v[73:74], 3, v[54:55]
	v_sub_nc_u32_e32 v54, v48, v77
	v_lshlrev_b64 v[107:108], 3, v[54:55]
	v_sub_nc_u32_e32 v54, v50, v77
	s_delay_alu instid0(VALU_DEP_4) | instskip(SKIP_1) | instid1(VALU_DEP_3)
	v_add_co_u32 v73, vcc_lo, v51, v73
	v_add_co_ci_u32_e32 v74, vcc_lo, v52, v74, vcc_lo
	v_lshlrev_b64 v[114:115], 3, v[54:55]
	v_sub_nc_u32_e32 v54, v49, v77
	v_add_co_u32 v107, vcc_lo, v51, v107
	v_add_co_ci_u32_e32 v108, vcc_lo, v52, v108, vcc_lo
	global_store_b64 v[73:74], v[25:26], off
	v_lshlrev_b64 v[73:74], 3, v[54:55]
	v_sub_nc_u32_e32 v54, v47, v77
	global_store_b64 v[107:108], v[27:28], off
	v_add_co_u32 v107, vcc_lo, v51, v114
	v_add_co_ci_u32_e32 v108, vcc_lo, v52, v115, vcc_lo
	v_lshlrev_b64 v[114:115], 3, v[54:55]
	v_sub_nc_u32_e32 v54, v46, v77
	v_add_co_u32 v73, vcc_lo, v51, v73
	v_add_co_ci_u32_e32 v74, vcc_lo, v52, v74, vcc_lo
	s_delay_alu instid0(VALU_DEP_3) | instskip(SKIP_3) | instid1(VALU_DEP_3)
	v_lshlrev_b64 v[116:117], 3, v[54:55]
	v_sub_nc_u32_e32 v54, v45, v77
	v_add_co_u32 v114, vcc_lo, v51, v114
	v_add_co_ci_u32_e32 v115, vcc_lo, v52, v115, vcc_lo
	v_lshlrev_b64 v[118:119], 3, v[54:55]
	v_sub_nc_u32_e32 v54, v44, v77
	v_add_co_u32 v116, vcc_lo, v51, v116
	v_add_co_ci_u32_e32 v117, vcc_lo, v52, v117, vcc_lo
	s_clause 0x3
	global_store_b64 v[107:108], v[21:22], off
	global_store_b64 v[73:74], v[23:24], off
	;; [unrolled: 1-line block ×4, first 2 shown]
	v_lshlrev_b64 v[73:74], 3, v[54:55]
	v_sub_nc_u32_e32 v54, v43, v77
	v_add_co_u32 v107, vcc_lo, v51, v118
	v_add_co_ci_u32_e32 v108, vcc_lo, v52, v119, vcc_lo
	s_delay_alu instid0(VALU_DEP_3) | instskip(SKIP_3) | instid1(VALU_DEP_3)
	v_lshlrev_b64 v[114:115], 3, v[54:55]
	v_sub_nc_u32_e32 v54, v42, v77
	v_add_co_u32 v73, vcc_lo, v51, v73
	v_add_co_ci_u32_e32 v74, vcc_lo, v52, v74, vcc_lo
	v_lshlrev_b64 v[116:117], 3, v[54:55]
	v_sub_nc_u32_e32 v54, v41, v77
	v_add_co_u32 v114, vcc_lo, v51, v114
	v_add_co_ci_u32_e32 v115, vcc_lo, v52, v115, vcc_lo
	s_delay_alu instid0(VALU_DEP_3)
	v_lshlrev_b64 v[118:119], 3, v[54:55]
	v_sub_nc_u32_e32 v54, v40, v77
	v_add_co_u32 v116, vcc_lo, v51, v116
	v_add_co_ci_u32_e32 v117, vcc_lo, v52, v117, vcc_lo
	s_clause 0x3
	global_store_b64 v[107:108], v[13:14], off
	global_store_b64 v[73:74], v[15:16], off
	;; [unrolled: 1-line block ×4, first 2 shown]
	v_lshlrev_b64 v[73:74], 3, v[54:55]
	v_sub_nc_u32_e32 v54, v39, v77
	v_add_co_u32 v107, vcc_lo, v51, v118
	v_add_co_ci_u32_e32 v108, vcc_lo, v52, v119, vcc_lo
	s_delay_alu instid0(VALU_DEP_3) | instskip(SKIP_3) | instid1(VALU_DEP_3)
	v_lshlrev_b64 v[114:115], 3, v[54:55]
	v_sub_nc_u32_e32 v54, v38, v77
	v_add_co_u32 v73, vcc_lo, v51, v73
	v_add_co_ci_u32_e32 v74, vcc_lo, v52, v74, vcc_lo
	v_lshlrev_b64 v[54:55], 3, v[54:55]
	v_add_co_u32 v114, vcc_lo, v51, v114
	v_add_co_ci_u32_e32 v115, vcc_lo, v52, v115, vcc_lo
	s_clause 0x2
	global_store_b64 v[107:108], v[5:6], off
	global_store_b64 v[73:74], v[7:8], off
	;; [unrolled: 1-line block ×3, first 2 shown]
	v_add_co_u32 v54, vcc_lo, v51, v54
	v_add_co_ci_u32_e32 v55, vcc_lo, v52, v55, vcc_lo
	global_store_b64 v[54:55], v[3:4], off
	s_or_b32 exec_lo, exec_lo, s16
	s_delay_alu instid0(SALU_CYCLE_1)
	s_and_b32 exec_lo, exec_lo, s19
	s_cbranch_execnz .LBB542_215
	s_branch .LBB542_216
.LBB542_299:
	s_and_saveexec_b32 s19, s13
	s_cbranch_execnz .LBB542_363
; %bb.300:
	s_or_b32 exec_lo, exec_lo, s19
	s_and_saveexec_b32 s13, s12
	s_cbranch_execnz .LBB542_364
.LBB542_301:
	s_or_b32 exec_lo, exec_lo, s13
	s_and_saveexec_b32 s12, s10
	s_cbranch_execnz .LBB542_365
.LBB542_302:
	s_or_b32 exec_lo, exec_lo, s12
	s_and_saveexec_b32 s10, s9
	s_cbranch_execnz .LBB542_366
.LBB542_303:
	s_or_b32 exec_lo, exec_lo, s10
	s_and_saveexec_b32 s9, s15
	s_cbranch_execnz .LBB542_367
.LBB542_304:
	s_or_b32 exec_lo, exec_lo, s9
	s_and_saveexec_b32 s9, s14
	s_cbranch_execnz .LBB542_368
.LBB542_305:
	s_or_b32 exec_lo, exec_lo, s9
	s_and_saveexec_b32 s9, s11
	s_cbranch_execnz .LBB542_369
.LBB542_306:
	s_or_b32 exec_lo, exec_lo, s9
	s_and_saveexec_b32 s9, s8
	s_cbranch_execnz .LBB542_370
.LBB542_307:
	s_or_b32 exec_lo, exec_lo, s9
	s_and_saveexec_b32 s8, s7
	s_cbranch_execnz .LBB542_371
.LBB542_308:
	s_or_b32 exec_lo, exec_lo, s8
	s_and_saveexec_b32 s7, s6
	s_cbranch_execnz .LBB542_372
.LBB542_309:
	s_or_b32 exec_lo, exec_lo, s7
	s_and_saveexec_b32 s6, s5
	s_cbranch_execnz .LBB542_373
.LBB542_310:
	s_or_b32 exec_lo, exec_lo, s6
	s_and_saveexec_b32 s5, s4
	s_cbranch_execnz .LBB542_374
.LBB542_311:
	s_or_b32 exec_lo, exec_lo, s5
	s_and_saveexec_b32 s4, s3
	s_cbranch_execnz .LBB542_375
.LBB542_312:
	s_or_b32 exec_lo, exec_lo, s4
	s_and_saveexec_b32 s3, s1
	s_cbranch_execz .LBB542_314
.LBB542_313:
	v_sub_nc_u32_e32 v1, v38, v77
	s_delay_alu instid0(VALU_DEP_1)
	v_lshlrev_b32_e32 v1, 3, v1
	ds_store_b64 v1, v[3:4]
.LBB542_314:
	s_or_b32 exec_lo, exec_lo, s3
	s_delay_alu instid0(SALU_CYCLE_1)
	s_and_b32 s19, s0, exec_lo
                                        ; implicit-def: $vgpr25_vgpr26
                                        ; implicit-def: $vgpr21_vgpr22
                                        ; implicit-def: $vgpr17_vgpr18
                                        ; implicit-def: $vgpr13_vgpr14
                                        ; implicit-def: $vgpr9_vgpr10
                                        ; implicit-def: $vgpr5_vgpr6
                                        ; implicit-def: $vgpr1_vgpr2
	s_and_not1_saveexec_b32 s0, s18
	s_cbranch_execz .LBB542_221
.LBB542_315:
	v_sub_nc_u32_e32 v53, v71, v77
	v_sub_nc_u32_e32 v54, v48, v77
	;; [unrolled: 1-line block ×4, first 2 shown]
	s_or_b32 s19, s19, exec_lo
	v_lshlrev_b32_e32 v53, 3, v53
	v_lshlrev_b32_e32 v54, 3, v54
	;; [unrolled: 1-line block ×4, first 2 shown]
	ds_store_b64 v53, v[25:26]
	ds_store_b64 v54, v[27:28]
	;; [unrolled: 1-line block ×3, first 2 shown]
	v_sub_nc_u32_e32 v21, v47, v77
	v_sub_nc_u32_e32 v22, v46, v77
	ds_store_b64 v56, v[23:24]
	v_sub_nc_u32_e32 v23, v45, v77
	v_sub_nc_u32_e32 v24, v44, v77
	v_lshlrev_b32_e32 v21, 3, v21
	v_sub_nc_u32_e32 v25, v43, v77
	v_lshlrev_b32_e32 v22, 3, v22
	v_lshlrev_b32_e32 v23, 3, v23
	;; [unrolled: 1-line block ×3, first 2 shown]
	ds_store_b64 v21, v[17:18]
	v_lshlrev_b32_e32 v17, 3, v25
	ds_store_b64 v22, v[19:20]
	ds_store_b64 v23, v[13:14]
	;; [unrolled: 1-line block ×3, first 2 shown]
	v_sub_nc_u32_e32 v13, v42, v77
	v_sub_nc_u32_e32 v15, v38, v77
	v_sub_nc_u32_e32 v14, v39, v77
	ds_store_b64 v17, v[9:10]
	v_sub_nc_u32_e32 v9, v41, v77
	v_lshlrev_b32_e32 v13, 3, v13
	v_sub_nc_u32_e32 v10, v40, v77
	v_lshlrev_b32_e32 v14, 3, v14
	s_delay_alu instid0(VALU_DEP_4)
	v_lshlrev_b32_e32 v9, 3, v9
	ds_store_b64 v13, v[11:12]
	v_lshlrev_b32_e32 v11, 3, v15
	v_lshlrev_b32_e32 v10, 3, v10
	ds_store_b64 v9, v[5:6]
	ds_store_b64 v10, v[7:8]
	;; [unrolled: 1-line block ×4, first 2 shown]
	s_or_b32 exec_lo, exec_lo, s0
	s_delay_alu instid0(SALU_CYCLE_1)
	s_and_b32 exec_lo, exec_lo, s19
	s_cbranch_execnz .LBB542_222
	s_branch .LBB542_223
.LBB542_316:
	s_and_saveexec_b32 s18, s14
	s_cbranch_execnz .LBB542_376
; %bb.317:
	s_or_b32 exec_lo, exec_lo, s18
	s_and_saveexec_b32 s18, s13
	s_cbranch_execnz .LBB542_377
.LBB542_318:
	s_or_b32 exec_lo, exec_lo, s18
	s_and_saveexec_b32 s18, s12
	s_cbranch_execnz .LBB542_378
.LBB542_319:
	s_or_b32 exec_lo, exec_lo, s18
	s_and_saveexec_b32 s18, s11
	s_cbranch_execnz .LBB542_379
.LBB542_320:
	s_or_b32 exec_lo, exec_lo, s18
	s_and_saveexec_b32 s18, s10
	s_cbranch_execnz .LBB542_380
.LBB542_321:
	s_or_b32 exec_lo, exec_lo, s18
	s_and_saveexec_b32 s18, s9
	s_cbranch_execnz .LBB542_381
.LBB542_322:
	s_or_b32 exec_lo, exec_lo, s18
	s_and_saveexec_b32 s18, s8
	s_cbranch_execnz .LBB542_382
.LBB542_323:
	s_or_b32 exec_lo, exec_lo, s18
	s_and_saveexec_b32 s18, s7
	s_cbranch_execnz .LBB542_383
.LBB542_324:
	s_or_b32 exec_lo, exec_lo, s18
	s_and_saveexec_b32 s18, s6
	s_cbranch_execnz .LBB542_384
.LBB542_325:
	s_or_b32 exec_lo, exec_lo, s18
	s_and_saveexec_b32 s18, s5
	s_cbranch_execnz .LBB542_385
.LBB542_326:
	s_or_b32 exec_lo, exec_lo, s18
	s_and_saveexec_b32 s18, s4
	s_cbranch_execnz .LBB542_386
.LBB542_327:
	s_or_b32 exec_lo, exec_lo, s18
	s_and_saveexec_b32 s18, s3
	s_cbranch_execnz .LBB542_387
.LBB542_328:
	s_or_b32 exec_lo, exec_lo, s18
	s_and_saveexec_b32 s18, s2
	s_cbranch_execnz .LBB542_388
.LBB542_329:
	s_or_b32 exec_lo, exec_lo, s18
	s_and_saveexec_b32 s18, s1
	s_cbranch_execz .LBB542_331
.LBB542_330:
	v_sub_nc_u32_e32 v10, v38, v8
	v_mov_b32_e32 v11, 0
	s_delay_alu instid0(VALU_DEP_1) | instskip(NEXT) | instid1(VALU_DEP_1)
	v_lshlrev_b64 v[10:11], 3, v[10:11]
	v_add_co_u32 v10, vcc_lo, v6, v10
	s_delay_alu instid0(VALU_DEP_2)
	v_add_co_ci_u32_e32 v11, vcc_lo, v7, v11, vcc_lo
	global_store_b64 v[10:11], v[105:106], off
.LBB542_331:
	s_or_b32 exec_lo, exec_lo, s18
	s_delay_alu instid0(SALU_CYCLE_1)
	s_and_b32 s18, s0, exec_lo
	s_and_not1_saveexec_b32 s15, s15
	s_cbranch_execz .LBB542_234
.LBB542_332:
	v_sub_nc_u32_e32 v10, v71, v8
	v_mov_b32_e32 v11, 0
	s_or_b32 s18, s18, exec_lo
	s_delay_alu instid0(VALU_DEP_1) | instskip(SKIP_1) | instid1(VALU_DEP_1)
	v_lshlrev_b64 v[12:13], 3, v[10:11]
	v_sub_nc_u32_e32 v10, v48, v8
	v_lshlrev_b64 v[14:15], 3, v[10:11]
	v_sub_nc_u32_e32 v10, v50, v8
	s_delay_alu instid0(VALU_DEP_4) | instskip(SKIP_1) | instid1(VALU_DEP_3)
	v_add_co_u32 v12, vcc_lo, v6, v12
	v_add_co_ci_u32_e32 v13, vcc_lo, v7, v13, vcc_lo
	v_lshlrev_b64 v[16:17], 3, v[10:11]
	v_sub_nc_u32_e32 v10, v49, v8
	v_add_co_u32 v14, vcc_lo, v6, v14
	v_add_co_ci_u32_e32 v15, vcc_lo, v7, v15, vcc_lo
	global_store_b64 v[12:13], v[91:92], off
	v_lshlrev_b64 v[12:13], 3, v[10:11]
	v_sub_nc_u32_e32 v10, v47, v8
	global_store_b64 v[14:15], v[87:88], off
	v_add_co_u32 v14, vcc_lo, v6, v16
	v_add_co_ci_u32_e32 v15, vcc_lo, v7, v17, vcc_lo
	v_lshlrev_b64 v[16:17], 3, v[10:11]
	v_sub_nc_u32_e32 v10, v46, v8
	v_add_co_u32 v12, vcc_lo, v6, v12
	v_add_co_ci_u32_e32 v13, vcc_lo, v7, v13, vcc_lo
	s_delay_alu instid0(VALU_DEP_3) | instskip(SKIP_3) | instid1(VALU_DEP_3)
	v_lshlrev_b64 v[18:19], 3, v[10:11]
	v_sub_nc_u32_e32 v10, v45, v8
	v_add_co_u32 v16, vcc_lo, v6, v16
	v_add_co_ci_u32_e32 v17, vcc_lo, v7, v17, vcc_lo
	v_lshlrev_b64 v[20:21], 3, v[10:11]
	v_sub_nc_u32_e32 v10, v44, v8
	v_add_co_u32 v18, vcc_lo, v6, v18
	v_add_co_ci_u32_e32 v19, vcc_lo, v7, v19, vcc_lo
	s_clause 0x3
	global_store_b64 v[14:15], v[93:94], off
	global_store_b64 v[12:13], v[97:98], off
	;; [unrolled: 1-line block ×4, first 2 shown]
	v_lshlrev_b64 v[12:13], 3, v[10:11]
	v_sub_nc_u32_e32 v10, v43, v8
	v_add_co_u32 v14, vcc_lo, v6, v20
	v_add_co_ci_u32_e32 v15, vcc_lo, v7, v21, vcc_lo
	s_delay_alu instid0(VALU_DEP_3) | instskip(SKIP_3) | instid1(VALU_DEP_3)
	v_lshlrev_b64 v[16:17], 3, v[10:11]
	v_sub_nc_u32_e32 v10, v42, v8
	v_add_co_u32 v12, vcc_lo, v6, v12
	v_add_co_ci_u32_e32 v13, vcc_lo, v7, v13, vcc_lo
	v_lshlrev_b64 v[18:19], 3, v[10:11]
	v_sub_nc_u32_e32 v10, v41, v8
	v_add_co_u32 v16, vcc_lo, v6, v16
	v_add_co_ci_u32_e32 v17, vcc_lo, v7, v17, vcc_lo
	s_delay_alu instid0(VALU_DEP_3)
	v_lshlrev_b64 v[20:21], 3, v[10:11]
	v_sub_nc_u32_e32 v10, v40, v8
	v_add_co_u32 v18, vcc_lo, v6, v18
	v_add_co_ci_u32_e32 v19, vcc_lo, v7, v19, vcc_lo
	s_clause 0x3
	global_store_b64 v[14:15], v[89:90], off
	global_store_b64 v[12:13], v[95:96], off
	;; [unrolled: 1-line block ×4, first 2 shown]
	v_lshlrev_b64 v[12:13], 3, v[10:11]
	v_sub_nc_u32_e32 v10, v39, v8
	v_add_co_u32 v14, vcc_lo, v6, v20
	v_add_co_ci_u32_e32 v15, vcc_lo, v7, v21, vcc_lo
	s_delay_alu instid0(VALU_DEP_3) | instskip(SKIP_3) | instid1(VALU_DEP_3)
	v_lshlrev_b64 v[16:17], 3, v[10:11]
	v_sub_nc_u32_e32 v10, v38, v8
	v_add_co_u32 v12, vcc_lo, v6, v12
	v_add_co_ci_u32_e32 v13, vcc_lo, v7, v13, vcc_lo
	v_lshlrev_b64 v[10:11], 3, v[10:11]
	v_add_co_u32 v16, vcc_lo, v6, v16
	v_add_co_ci_u32_e32 v17, vcc_lo, v7, v17, vcc_lo
	s_clause 0x2
	global_store_b64 v[14:15], v[85:86], off
	global_store_b64 v[12:13], v[101:102], off
	;; [unrolled: 1-line block ×3, first 2 shown]
	v_add_co_u32 v10, vcc_lo, v6, v10
	v_add_co_ci_u32_e32 v11, vcc_lo, v7, v11, vcc_lo
	global_store_b64 v[10:11], v[105:106], off
	s_or_b32 exec_lo, exec_lo, s15
	s_delay_alu instid0(SALU_CYCLE_1)
	s_and_b32 exec_lo, exec_lo, s18
	s_cbranch_execnz .LBB542_235
	s_branch .LBB542_236
.LBB542_333:
	s_and_saveexec_b32 s18, s14
	s_cbranch_execnz .LBB542_389
; %bb.334:
	s_or_b32 exec_lo, exec_lo, s18
	s_and_saveexec_b32 s14, s13
	s_cbranch_execnz .LBB542_390
.LBB542_335:
	s_or_b32 exec_lo, exec_lo, s14
	s_and_saveexec_b32 s13, s12
	s_cbranch_execnz .LBB542_391
.LBB542_336:
	s_or_b32 exec_lo, exec_lo, s13
	s_and_saveexec_b32 s12, s11
	s_cbranch_execnz .LBB542_392
.LBB542_337:
	s_or_b32 exec_lo, exec_lo, s12
	s_and_saveexec_b32 s11, s10
	s_cbranch_execnz .LBB542_393
.LBB542_338:
	s_or_b32 exec_lo, exec_lo, s11
	s_and_saveexec_b32 s10, s9
	s_cbranch_execnz .LBB542_394
.LBB542_339:
	s_or_b32 exec_lo, exec_lo, s10
	s_and_saveexec_b32 s9, s8
	s_cbranch_execnz .LBB542_395
.LBB542_340:
	s_or_b32 exec_lo, exec_lo, s9
	s_and_saveexec_b32 s8, s7
	s_cbranch_execnz .LBB542_396
.LBB542_341:
	s_or_b32 exec_lo, exec_lo, s8
	s_and_saveexec_b32 s7, s6
	s_cbranch_execnz .LBB542_397
.LBB542_342:
	s_or_b32 exec_lo, exec_lo, s7
	s_and_saveexec_b32 s6, s5
	s_cbranch_execnz .LBB542_398
.LBB542_343:
	s_or_b32 exec_lo, exec_lo, s6
	s_and_saveexec_b32 s5, s4
	s_cbranch_execnz .LBB542_399
.LBB542_344:
	s_or_b32 exec_lo, exec_lo, s5
	s_and_saveexec_b32 s4, s3
	s_cbranch_execnz .LBB542_400
.LBB542_345:
	s_or_b32 exec_lo, exec_lo, s4
	s_and_saveexec_b32 s3, s2
	s_cbranch_execnz .LBB542_401
.LBB542_346:
	s_or_b32 exec_lo, exec_lo, s3
	s_and_saveexec_b32 s2, s1
	s_cbranch_execz .LBB542_348
.LBB542_347:
	v_sub_nc_u32_e32 v9, v38, v8
	s_delay_alu instid0(VALU_DEP_1)
	v_lshlrev_b32_e32 v9, 3, v9
	ds_store_b64 v9, v[105:106]
.LBB542_348:
	s_or_b32 exec_lo, exec_lo, s2
	s_delay_alu instid0(SALU_CYCLE_1)
	s_and_b32 s18, s0, exec_lo
                                        ; implicit-def: $vgpr91_vgpr92
                                        ; implicit-def: $vgpr87_vgpr88
                                        ; implicit-def: $vgpr93_vgpr94
                                        ; implicit-def: $vgpr97_vgpr98
                                        ; implicit-def: $vgpr79_vgpr80
                                        ; implicit-def: $vgpr83_vgpr84
                                        ; implicit-def: $vgpr89_vgpr90
                                        ; implicit-def: $vgpr95_vgpr96
                                        ; implicit-def: $vgpr99_vgpr100
                                        ; implicit-def: $vgpr81_vgpr82
                                        ; implicit-def: $vgpr85_vgpr86
                                        ; implicit-def: $vgpr101_vgpr102
                                        ; implicit-def: $vgpr103_vgpr104
                                        ; implicit-def: $vgpr105_vgpr106
                                        ; implicit-def: $vgpr71
                                        ; implicit-def: $vgpr48
                                        ; implicit-def: $vgpr50
                                        ; implicit-def: $vgpr49
                                        ; implicit-def: $vgpr47
                                        ; implicit-def: $vgpr46
                                        ; implicit-def: $vgpr45
                                        ; implicit-def: $vgpr44
                                        ; implicit-def: $vgpr43
                                        ; implicit-def: $vgpr42
                                        ; implicit-def: $vgpr41
                                        ; implicit-def: $vgpr40
                                        ; implicit-def: $vgpr39
                                        ; implicit-def: $vgpr38
	s_and_not1_saveexec_b32 s0, s16
	s_cbranch_execz .LBB542_240
.LBB542_349:
	v_sub_nc_u32_e32 v9, v71, v8
	v_sub_nc_u32_e32 v10, v48, v8
	;; [unrolled: 1-line block ×5, first 2 shown]
	v_lshlrev_b32_e32 v9, 3, v9
	v_lshlrev_b32_e32 v10, 3, v10
	;; [unrolled: 1-line block ×4, first 2 shown]
	s_or_b32 s18, s18, exec_lo
	ds_store_b64 v9, v[91:92]
	ds_store_b64 v10, v[87:88]
	;; [unrolled: 1-line block ×3, first 2 shown]
	v_sub_nc_u32_e32 v9, v47, v8
	v_sub_nc_u32_e32 v10, v46, v8
	;; [unrolled: 1-line block ×3, first 2 shown]
	ds_store_b64 v12, v[97:98]
	v_sub_nc_u32_e32 v12, v44, v8
	v_lshlrev_b32_e32 v9, 3, v9
	v_lshlrev_b32_e32 v10, 3, v10
	;; [unrolled: 1-line block ×3, first 2 shown]
	s_delay_alu instid0(VALU_DEP_4)
	v_lshlrev_b32_e32 v12, 3, v12
	ds_store_b64 v9, v[79:80]
	v_lshlrev_b32_e32 v9, 3, v13
	ds_store_b64 v10, v[83:84]
	ds_store_b64 v11, v[89:90]
	;; [unrolled: 1-line block ×3, first 2 shown]
	v_sub_nc_u32_e32 v10, v42, v8
	v_sub_nc_u32_e32 v13, v38, v8
	v_sub_nc_u32_e32 v11, v40, v8
	ds_store_b64 v9, v[99:100]
	v_sub_nc_u32_e32 v9, v41, v8
	v_lshlrev_b32_e32 v10, 3, v10
	v_sub_nc_u32_e32 v12, v39, v8
	v_lshlrev_b32_e32 v11, 3, v11
	s_delay_alu instid0(VALU_DEP_4)
	v_lshlrev_b32_e32 v9, 3, v9
	ds_store_b64 v10, v[81:82]
	v_lshlrev_b32_e32 v10, 3, v13
	v_lshlrev_b32_e32 v12, 3, v12
	ds_store_b64 v9, v[85:86]
	ds_store_b64 v11, v[101:102]
	;; [unrolled: 1-line block ×4, first 2 shown]
	s_or_b32 exec_lo, exec_lo, s0
	s_delay_alu instid0(SALU_CYCLE_1)
	s_and_b32 exec_lo, exec_lo, s18
	s_cbranch_execnz .LBB542_241
	s_branch .LBB542_242
.LBB542_350:
	v_sub_nc_u32_e32 v54, v71, v77
	v_mov_b32_e32 v55, 0
	s_delay_alu instid0(VALU_DEP_1) | instskip(NEXT) | instid1(VALU_DEP_1)
	v_lshlrev_b64 v[54:55], 3, v[54:55]
	v_add_co_u32 v54, vcc_lo, v51, v54
	s_delay_alu instid0(VALU_DEP_2)
	v_add_co_ci_u32_e32 v55, vcc_lo, v52, v55, vcc_lo
	global_store_b64 v[54:55], v[25:26], off
	s_or_b32 exec_lo, exec_lo, s19
	s_and_saveexec_b32 s19, s12
	s_cbranch_execz .LBB542_284
.LBB542_351:
	v_sub_nc_u32_e32 v54, v48, v77
	v_mov_b32_e32 v55, 0
	s_delay_alu instid0(VALU_DEP_1) | instskip(NEXT) | instid1(VALU_DEP_1)
	v_lshlrev_b64 v[54:55], 3, v[54:55]
	v_add_co_u32 v54, vcc_lo, v51, v54
	s_delay_alu instid0(VALU_DEP_2)
	v_add_co_ci_u32_e32 v55, vcc_lo, v52, v55, vcc_lo
	global_store_b64 v[54:55], v[27:28], off
	s_or_b32 exec_lo, exec_lo, s19
	s_and_saveexec_b32 s19, s10
	s_cbranch_execz .LBB542_285
.LBB542_352:
	v_sub_nc_u32_e32 v54, v50, v77
	v_mov_b32_e32 v55, 0
	s_delay_alu instid0(VALU_DEP_1) | instskip(NEXT) | instid1(VALU_DEP_1)
	v_lshlrev_b64 v[54:55], 3, v[54:55]
	v_add_co_u32 v54, vcc_lo, v51, v54
	s_delay_alu instid0(VALU_DEP_2)
	v_add_co_ci_u32_e32 v55, vcc_lo, v52, v55, vcc_lo
	global_store_b64 v[54:55], v[21:22], off
	s_or_b32 exec_lo, exec_lo, s19
	s_and_saveexec_b32 s19, s9
	s_cbranch_execz .LBB542_286
.LBB542_353:
	v_sub_nc_u32_e32 v54, v49, v77
	v_mov_b32_e32 v55, 0
	s_delay_alu instid0(VALU_DEP_1) | instskip(NEXT) | instid1(VALU_DEP_1)
	v_lshlrev_b64 v[54:55], 3, v[54:55]
	v_add_co_u32 v54, vcc_lo, v51, v54
	s_delay_alu instid0(VALU_DEP_2)
	v_add_co_ci_u32_e32 v55, vcc_lo, v52, v55, vcc_lo
	global_store_b64 v[54:55], v[23:24], off
	s_or_b32 exec_lo, exec_lo, s19
	s_and_saveexec_b32 s19, s15
	s_cbranch_execz .LBB542_287
.LBB542_354:
	v_sub_nc_u32_e32 v54, v47, v77
	v_mov_b32_e32 v55, 0
	s_delay_alu instid0(VALU_DEP_1) | instskip(NEXT) | instid1(VALU_DEP_1)
	v_lshlrev_b64 v[54:55], 3, v[54:55]
	v_add_co_u32 v54, vcc_lo, v51, v54
	s_delay_alu instid0(VALU_DEP_2)
	v_add_co_ci_u32_e32 v55, vcc_lo, v52, v55, vcc_lo
	global_store_b64 v[54:55], v[17:18], off
	s_or_b32 exec_lo, exec_lo, s19
	s_and_saveexec_b32 s19, s14
	s_cbranch_execz .LBB542_288
.LBB542_355:
	v_sub_nc_u32_e32 v54, v46, v77
	v_mov_b32_e32 v55, 0
	s_delay_alu instid0(VALU_DEP_1) | instskip(NEXT) | instid1(VALU_DEP_1)
	v_lshlrev_b64 v[54:55], 3, v[54:55]
	v_add_co_u32 v54, vcc_lo, v51, v54
	s_delay_alu instid0(VALU_DEP_2)
	v_add_co_ci_u32_e32 v55, vcc_lo, v52, v55, vcc_lo
	global_store_b64 v[54:55], v[19:20], off
	s_or_b32 exec_lo, exec_lo, s19
	s_and_saveexec_b32 s19, s11
	s_cbranch_execz .LBB542_289
.LBB542_356:
	v_sub_nc_u32_e32 v54, v45, v77
	v_mov_b32_e32 v55, 0
	s_delay_alu instid0(VALU_DEP_1) | instskip(NEXT) | instid1(VALU_DEP_1)
	v_lshlrev_b64 v[54:55], 3, v[54:55]
	v_add_co_u32 v54, vcc_lo, v51, v54
	s_delay_alu instid0(VALU_DEP_2)
	v_add_co_ci_u32_e32 v55, vcc_lo, v52, v55, vcc_lo
	global_store_b64 v[54:55], v[13:14], off
	s_or_b32 exec_lo, exec_lo, s19
	s_and_saveexec_b32 s19, s8
	s_cbranch_execz .LBB542_290
.LBB542_357:
	v_sub_nc_u32_e32 v54, v44, v77
	v_mov_b32_e32 v55, 0
	s_delay_alu instid0(VALU_DEP_1) | instskip(NEXT) | instid1(VALU_DEP_1)
	v_lshlrev_b64 v[54:55], 3, v[54:55]
	v_add_co_u32 v54, vcc_lo, v51, v54
	s_delay_alu instid0(VALU_DEP_2)
	v_add_co_ci_u32_e32 v55, vcc_lo, v52, v55, vcc_lo
	global_store_b64 v[54:55], v[15:16], off
	s_or_b32 exec_lo, exec_lo, s19
	s_and_saveexec_b32 s19, s7
	s_cbranch_execz .LBB542_291
.LBB542_358:
	v_sub_nc_u32_e32 v54, v43, v77
	v_mov_b32_e32 v55, 0
	s_delay_alu instid0(VALU_DEP_1) | instskip(NEXT) | instid1(VALU_DEP_1)
	v_lshlrev_b64 v[54:55], 3, v[54:55]
	v_add_co_u32 v54, vcc_lo, v51, v54
	s_delay_alu instid0(VALU_DEP_2)
	v_add_co_ci_u32_e32 v55, vcc_lo, v52, v55, vcc_lo
	global_store_b64 v[54:55], v[9:10], off
	s_or_b32 exec_lo, exec_lo, s19
	s_and_saveexec_b32 s19, s6
	s_cbranch_execz .LBB542_292
.LBB542_359:
	v_sub_nc_u32_e32 v54, v42, v77
	v_mov_b32_e32 v55, 0
	s_delay_alu instid0(VALU_DEP_1) | instskip(NEXT) | instid1(VALU_DEP_1)
	v_lshlrev_b64 v[54:55], 3, v[54:55]
	v_add_co_u32 v54, vcc_lo, v51, v54
	s_delay_alu instid0(VALU_DEP_2)
	v_add_co_ci_u32_e32 v55, vcc_lo, v52, v55, vcc_lo
	global_store_b64 v[54:55], v[11:12], off
	s_or_b32 exec_lo, exec_lo, s19
	s_and_saveexec_b32 s19, s5
	s_cbranch_execz .LBB542_293
.LBB542_360:
	v_sub_nc_u32_e32 v54, v41, v77
	v_mov_b32_e32 v55, 0
	s_delay_alu instid0(VALU_DEP_1) | instskip(NEXT) | instid1(VALU_DEP_1)
	v_lshlrev_b64 v[54:55], 3, v[54:55]
	v_add_co_u32 v54, vcc_lo, v51, v54
	s_delay_alu instid0(VALU_DEP_2)
	v_add_co_ci_u32_e32 v55, vcc_lo, v52, v55, vcc_lo
	global_store_b64 v[54:55], v[5:6], off
	s_or_b32 exec_lo, exec_lo, s19
	s_and_saveexec_b32 s19, s4
	s_cbranch_execz .LBB542_294
.LBB542_361:
	v_sub_nc_u32_e32 v54, v40, v77
	v_mov_b32_e32 v55, 0
	s_delay_alu instid0(VALU_DEP_1) | instskip(NEXT) | instid1(VALU_DEP_1)
	v_lshlrev_b64 v[54:55], 3, v[54:55]
	v_add_co_u32 v54, vcc_lo, v51, v54
	s_delay_alu instid0(VALU_DEP_2)
	v_add_co_ci_u32_e32 v55, vcc_lo, v52, v55, vcc_lo
	global_store_b64 v[54:55], v[7:8], off
	s_or_b32 exec_lo, exec_lo, s19
	s_and_saveexec_b32 s19, s3
	s_cbranch_execz .LBB542_295
.LBB542_362:
	v_sub_nc_u32_e32 v54, v39, v77
	v_mov_b32_e32 v55, 0
	s_delay_alu instid0(VALU_DEP_1) | instskip(NEXT) | instid1(VALU_DEP_1)
	v_lshlrev_b64 v[54:55], 3, v[54:55]
	v_add_co_u32 v54, vcc_lo, v51, v54
	s_delay_alu instid0(VALU_DEP_2)
	v_add_co_ci_u32_e32 v55, vcc_lo, v52, v55, vcc_lo
	global_store_b64 v[54:55], v[1:2], off
	s_or_b32 exec_lo, exec_lo, s19
	s_and_saveexec_b32 s19, s1
	s_cbranch_execnz .LBB542_296
	s_branch .LBB542_297
.LBB542_363:
	v_sub_nc_u32_e32 v53, v71, v77
	s_delay_alu instid0(VALU_DEP_1)
	v_lshlrev_b32_e32 v53, 3, v53
	ds_store_b64 v53, v[25:26]
	s_or_b32 exec_lo, exec_lo, s19
	s_and_saveexec_b32 s13, s12
	s_cbranch_execz .LBB542_301
.LBB542_364:
	v_sub_nc_u32_e32 v25, v48, v77
	s_delay_alu instid0(VALU_DEP_1)
	v_lshlrev_b32_e32 v25, 3, v25
	ds_store_b64 v25, v[27:28]
	s_or_b32 exec_lo, exec_lo, s13
	s_and_saveexec_b32 s12, s10
	s_cbranch_execz .LBB542_302
.LBB542_365:
	v_sub_nc_u32_e32 v25, v50, v77
	s_delay_alu instid0(VALU_DEP_1)
	v_lshlrev_b32_e32 v25, 3, v25
	ds_store_b64 v25, v[21:22]
	s_or_b32 exec_lo, exec_lo, s12
	s_and_saveexec_b32 s10, s9
	s_cbranch_execz .LBB542_303
.LBB542_366:
	v_sub_nc_u32_e32 v21, v49, v77
	s_delay_alu instid0(VALU_DEP_1)
	v_lshlrev_b32_e32 v21, 3, v21
	ds_store_b64 v21, v[23:24]
	s_or_b32 exec_lo, exec_lo, s10
	s_and_saveexec_b32 s9, s15
	s_cbranch_execz .LBB542_304
.LBB542_367:
	v_sub_nc_u32_e32 v21, v47, v77
	s_delay_alu instid0(VALU_DEP_1)
	v_lshlrev_b32_e32 v21, 3, v21
	ds_store_b64 v21, v[17:18]
	s_or_b32 exec_lo, exec_lo, s9
	s_and_saveexec_b32 s9, s14
	s_cbranch_execz .LBB542_305
.LBB542_368:
	v_sub_nc_u32_e32 v17, v46, v77
	s_delay_alu instid0(VALU_DEP_1)
	v_lshlrev_b32_e32 v17, 3, v17
	ds_store_b64 v17, v[19:20]
	s_or_b32 exec_lo, exec_lo, s9
	s_and_saveexec_b32 s9, s11
	s_cbranch_execz .LBB542_306
.LBB542_369:
	v_sub_nc_u32_e32 v17, v45, v77
	s_delay_alu instid0(VALU_DEP_1)
	v_lshlrev_b32_e32 v17, 3, v17
	ds_store_b64 v17, v[13:14]
	s_or_b32 exec_lo, exec_lo, s9
	s_and_saveexec_b32 s9, s8
	s_cbranch_execz .LBB542_307
.LBB542_370:
	v_sub_nc_u32_e32 v13, v44, v77
	s_delay_alu instid0(VALU_DEP_1)
	v_lshlrev_b32_e32 v13, 3, v13
	ds_store_b64 v13, v[15:16]
	s_or_b32 exec_lo, exec_lo, s9
	s_and_saveexec_b32 s8, s7
	s_cbranch_execz .LBB542_308
.LBB542_371:
	v_sub_nc_u32_e32 v13, v43, v77
	s_delay_alu instid0(VALU_DEP_1)
	v_lshlrev_b32_e32 v13, 3, v13
	ds_store_b64 v13, v[9:10]
	s_or_b32 exec_lo, exec_lo, s8
	s_and_saveexec_b32 s7, s6
	s_cbranch_execz .LBB542_309
.LBB542_372:
	v_sub_nc_u32_e32 v9, v42, v77
	s_delay_alu instid0(VALU_DEP_1)
	v_lshlrev_b32_e32 v9, 3, v9
	ds_store_b64 v9, v[11:12]
	s_or_b32 exec_lo, exec_lo, s7
	s_and_saveexec_b32 s6, s5
	s_cbranch_execz .LBB542_310
.LBB542_373:
	v_sub_nc_u32_e32 v9, v41, v77
	s_delay_alu instid0(VALU_DEP_1)
	v_lshlrev_b32_e32 v9, 3, v9
	ds_store_b64 v9, v[5:6]
	s_or_b32 exec_lo, exec_lo, s6
	s_and_saveexec_b32 s5, s4
	s_cbranch_execz .LBB542_311
.LBB542_374:
	v_sub_nc_u32_e32 v5, v40, v77
	s_delay_alu instid0(VALU_DEP_1)
	v_lshlrev_b32_e32 v5, 3, v5
	ds_store_b64 v5, v[7:8]
	s_or_b32 exec_lo, exec_lo, s5
	s_and_saveexec_b32 s4, s3
	s_cbranch_execz .LBB542_312
.LBB542_375:
	v_sub_nc_u32_e32 v5, v39, v77
	s_delay_alu instid0(VALU_DEP_1)
	v_lshlrev_b32_e32 v5, 3, v5
	ds_store_b64 v5, v[1:2]
	s_or_b32 exec_lo, exec_lo, s4
	s_and_saveexec_b32 s3, s1
	s_cbranch_execnz .LBB542_313
	s_branch .LBB542_314
.LBB542_376:
	v_sub_nc_u32_e32 v10, v71, v8
	v_mov_b32_e32 v11, 0
	s_delay_alu instid0(VALU_DEP_1) | instskip(NEXT) | instid1(VALU_DEP_1)
	v_lshlrev_b64 v[10:11], 3, v[10:11]
	v_add_co_u32 v10, vcc_lo, v6, v10
	s_delay_alu instid0(VALU_DEP_2)
	v_add_co_ci_u32_e32 v11, vcc_lo, v7, v11, vcc_lo
	global_store_b64 v[10:11], v[91:92], off
	s_or_b32 exec_lo, exec_lo, s18
	s_and_saveexec_b32 s18, s13
	s_cbranch_execz .LBB542_318
.LBB542_377:
	v_sub_nc_u32_e32 v10, v48, v8
	v_mov_b32_e32 v11, 0
	s_delay_alu instid0(VALU_DEP_1) | instskip(NEXT) | instid1(VALU_DEP_1)
	v_lshlrev_b64 v[10:11], 3, v[10:11]
	v_add_co_u32 v10, vcc_lo, v6, v10
	s_delay_alu instid0(VALU_DEP_2)
	v_add_co_ci_u32_e32 v11, vcc_lo, v7, v11, vcc_lo
	global_store_b64 v[10:11], v[87:88], off
	s_or_b32 exec_lo, exec_lo, s18
	s_and_saveexec_b32 s18, s12
	s_cbranch_execz .LBB542_319
.LBB542_378:
	v_sub_nc_u32_e32 v10, v50, v8
	v_mov_b32_e32 v11, 0
	s_delay_alu instid0(VALU_DEP_1) | instskip(NEXT) | instid1(VALU_DEP_1)
	v_lshlrev_b64 v[10:11], 3, v[10:11]
	v_add_co_u32 v10, vcc_lo, v6, v10
	s_delay_alu instid0(VALU_DEP_2)
	v_add_co_ci_u32_e32 v11, vcc_lo, v7, v11, vcc_lo
	global_store_b64 v[10:11], v[93:94], off
	s_or_b32 exec_lo, exec_lo, s18
	s_and_saveexec_b32 s18, s11
	s_cbranch_execz .LBB542_320
.LBB542_379:
	v_sub_nc_u32_e32 v10, v49, v8
	v_mov_b32_e32 v11, 0
	s_delay_alu instid0(VALU_DEP_1) | instskip(NEXT) | instid1(VALU_DEP_1)
	v_lshlrev_b64 v[10:11], 3, v[10:11]
	v_add_co_u32 v10, vcc_lo, v6, v10
	s_delay_alu instid0(VALU_DEP_2)
	v_add_co_ci_u32_e32 v11, vcc_lo, v7, v11, vcc_lo
	global_store_b64 v[10:11], v[97:98], off
	s_or_b32 exec_lo, exec_lo, s18
	s_and_saveexec_b32 s18, s10
	s_cbranch_execz .LBB542_321
.LBB542_380:
	v_sub_nc_u32_e32 v10, v47, v8
	v_mov_b32_e32 v11, 0
	s_delay_alu instid0(VALU_DEP_1) | instskip(NEXT) | instid1(VALU_DEP_1)
	v_lshlrev_b64 v[10:11], 3, v[10:11]
	v_add_co_u32 v10, vcc_lo, v6, v10
	s_delay_alu instid0(VALU_DEP_2)
	v_add_co_ci_u32_e32 v11, vcc_lo, v7, v11, vcc_lo
	global_store_b64 v[10:11], v[79:80], off
	s_or_b32 exec_lo, exec_lo, s18
	s_and_saveexec_b32 s18, s9
	s_cbranch_execz .LBB542_322
.LBB542_381:
	v_sub_nc_u32_e32 v10, v46, v8
	v_mov_b32_e32 v11, 0
	s_delay_alu instid0(VALU_DEP_1) | instskip(NEXT) | instid1(VALU_DEP_1)
	v_lshlrev_b64 v[10:11], 3, v[10:11]
	v_add_co_u32 v10, vcc_lo, v6, v10
	s_delay_alu instid0(VALU_DEP_2)
	v_add_co_ci_u32_e32 v11, vcc_lo, v7, v11, vcc_lo
	global_store_b64 v[10:11], v[83:84], off
	s_or_b32 exec_lo, exec_lo, s18
	s_and_saveexec_b32 s18, s8
	s_cbranch_execz .LBB542_323
.LBB542_382:
	v_sub_nc_u32_e32 v10, v45, v8
	v_mov_b32_e32 v11, 0
	s_delay_alu instid0(VALU_DEP_1) | instskip(NEXT) | instid1(VALU_DEP_1)
	v_lshlrev_b64 v[10:11], 3, v[10:11]
	v_add_co_u32 v10, vcc_lo, v6, v10
	s_delay_alu instid0(VALU_DEP_2)
	v_add_co_ci_u32_e32 v11, vcc_lo, v7, v11, vcc_lo
	global_store_b64 v[10:11], v[89:90], off
	s_or_b32 exec_lo, exec_lo, s18
	s_and_saveexec_b32 s18, s7
	s_cbranch_execz .LBB542_324
.LBB542_383:
	v_sub_nc_u32_e32 v10, v44, v8
	v_mov_b32_e32 v11, 0
	s_delay_alu instid0(VALU_DEP_1) | instskip(NEXT) | instid1(VALU_DEP_1)
	v_lshlrev_b64 v[10:11], 3, v[10:11]
	v_add_co_u32 v10, vcc_lo, v6, v10
	s_delay_alu instid0(VALU_DEP_2)
	v_add_co_ci_u32_e32 v11, vcc_lo, v7, v11, vcc_lo
	global_store_b64 v[10:11], v[95:96], off
	s_or_b32 exec_lo, exec_lo, s18
	s_and_saveexec_b32 s18, s6
	s_cbranch_execz .LBB542_325
.LBB542_384:
	v_sub_nc_u32_e32 v10, v43, v8
	v_mov_b32_e32 v11, 0
	s_delay_alu instid0(VALU_DEP_1) | instskip(NEXT) | instid1(VALU_DEP_1)
	v_lshlrev_b64 v[10:11], 3, v[10:11]
	v_add_co_u32 v10, vcc_lo, v6, v10
	s_delay_alu instid0(VALU_DEP_2)
	v_add_co_ci_u32_e32 v11, vcc_lo, v7, v11, vcc_lo
	global_store_b64 v[10:11], v[99:100], off
	s_or_b32 exec_lo, exec_lo, s18
	s_and_saveexec_b32 s18, s5
	s_cbranch_execz .LBB542_326
.LBB542_385:
	v_sub_nc_u32_e32 v10, v42, v8
	v_mov_b32_e32 v11, 0
	s_delay_alu instid0(VALU_DEP_1) | instskip(NEXT) | instid1(VALU_DEP_1)
	v_lshlrev_b64 v[10:11], 3, v[10:11]
	v_add_co_u32 v10, vcc_lo, v6, v10
	s_delay_alu instid0(VALU_DEP_2)
	v_add_co_ci_u32_e32 v11, vcc_lo, v7, v11, vcc_lo
	global_store_b64 v[10:11], v[81:82], off
	s_or_b32 exec_lo, exec_lo, s18
	s_and_saveexec_b32 s18, s4
	s_cbranch_execz .LBB542_327
.LBB542_386:
	v_sub_nc_u32_e32 v10, v41, v8
	v_mov_b32_e32 v11, 0
	s_delay_alu instid0(VALU_DEP_1) | instskip(NEXT) | instid1(VALU_DEP_1)
	v_lshlrev_b64 v[10:11], 3, v[10:11]
	v_add_co_u32 v10, vcc_lo, v6, v10
	s_delay_alu instid0(VALU_DEP_2)
	v_add_co_ci_u32_e32 v11, vcc_lo, v7, v11, vcc_lo
	global_store_b64 v[10:11], v[85:86], off
	s_or_b32 exec_lo, exec_lo, s18
	s_and_saveexec_b32 s18, s3
	s_cbranch_execz .LBB542_328
.LBB542_387:
	v_sub_nc_u32_e32 v10, v40, v8
	v_mov_b32_e32 v11, 0
	s_delay_alu instid0(VALU_DEP_1) | instskip(NEXT) | instid1(VALU_DEP_1)
	v_lshlrev_b64 v[10:11], 3, v[10:11]
	v_add_co_u32 v10, vcc_lo, v6, v10
	s_delay_alu instid0(VALU_DEP_2)
	v_add_co_ci_u32_e32 v11, vcc_lo, v7, v11, vcc_lo
	global_store_b64 v[10:11], v[101:102], off
	s_or_b32 exec_lo, exec_lo, s18
	s_and_saveexec_b32 s18, s2
	s_cbranch_execz .LBB542_329
.LBB542_388:
	v_sub_nc_u32_e32 v10, v39, v8
	v_mov_b32_e32 v11, 0
	s_delay_alu instid0(VALU_DEP_1) | instskip(NEXT) | instid1(VALU_DEP_1)
	v_lshlrev_b64 v[10:11], 3, v[10:11]
	v_add_co_u32 v10, vcc_lo, v6, v10
	s_delay_alu instid0(VALU_DEP_2)
	v_add_co_ci_u32_e32 v11, vcc_lo, v7, v11, vcc_lo
	global_store_b64 v[10:11], v[103:104], off
	s_or_b32 exec_lo, exec_lo, s18
	s_and_saveexec_b32 s18, s1
	s_cbranch_execnz .LBB542_330
	s_branch .LBB542_331
.LBB542_389:
	v_sub_nc_u32_e32 v9, v71, v8
	s_delay_alu instid0(VALU_DEP_1)
	v_lshlrev_b32_e32 v9, 3, v9
	ds_store_b64 v9, v[91:92]
	s_or_b32 exec_lo, exec_lo, s18
	s_and_saveexec_b32 s14, s13
	s_cbranch_execz .LBB542_335
.LBB542_390:
	v_sub_nc_u32_e32 v9, v48, v8
	s_delay_alu instid0(VALU_DEP_1)
	v_lshlrev_b32_e32 v9, 3, v9
	ds_store_b64 v9, v[87:88]
	s_or_b32 exec_lo, exec_lo, s14
	s_and_saveexec_b32 s13, s12
	s_cbranch_execz .LBB542_336
.LBB542_391:
	v_sub_nc_u32_e32 v9, v50, v8
	s_delay_alu instid0(VALU_DEP_1)
	v_lshlrev_b32_e32 v9, 3, v9
	ds_store_b64 v9, v[93:94]
	s_or_b32 exec_lo, exec_lo, s13
	s_and_saveexec_b32 s12, s11
	s_cbranch_execz .LBB542_337
.LBB542_392:
	v_sub_nc_u32_e32 v9, v49, v8
	s_delay_alu instid0(VALU_DEP_1)
	v_lshlrev_b32_e32 v9, 3, v9
	ds_store_b64 v9, v[97:98]
	s_or_b32 exec_lo, exec_lo, s12
	s_and_saveexec_b32 s11, s10
	s_cbranch_execz .LBB542_338
.LBB542_393:
	v_sub_nc_u32_e32 v9, v47, v8
	s_delay_alu instid0(VALU_DEP_1)
	v_lshlrev_b32_e32 v9, 3, v9
	ds_store_b64 v9, v[79:80]
	s_or_b32 exec_lo, exec_lo, s11
	s_and_saveexec_b32 s10, s9
	s_cbranch_execz .LBB542_339
.LBB542_394:
	v_sub_nc_u32_e32 v9, v46, v8
	s_delay_alu instid0(VALU_DEP_1)
	v_lshlrev_b32_e32 v9, 3, v9
	ds_store_b64 v9, v[83:84]
	s_or_b32 exec_lo, exec_lo, s10
	s_and_saveexec_b32 s9, s8
	s_cbranch_execz .LBB542_340
.LBB542_395:
	v_sub_nc_u32_e32 v9, v45, v8
	s_delay_alu instid0(VALU_DEP_1)
	v_lshlrev_b32_e32 v9, 3, v9
	ds_store_b64 v9, v[89:90]
	s_or_b32 exec_lo, exec_lo, s9
	s_and_saveexec_b32 s8, s7
	s_cbranch_execz .LBB542_341
.LBB542_396:
	v_sub_nc_u32_e32 v9, v44, v8
	s_delay_alu instid0(VALU_DEP_1)
	v_lshlrev_b32_e32 v9, 3, v9
	ds_store_b64 v9, v[95:96]
	s_or_b32 exec_lo, exec_lo, s8
	s_and_saveexec_b32 s7, s6
	s_cbranch_execz .LBB542_342
.LBB542_397:
	v_sub_nc_u32_e32 v9, v43, v8
	s_delay_alu instid0(VALU_DEP_1)
	v_lshlrev_b32_e32 v9, 3, v9
	ds_store_b64 v9, v[99:100]
	s_or_b32 exec_lo, exec_lo, s7
	s_and_saveexec_b32 s6, s5
	s_cbranch_execz .LBB542_343
.LBB542_398:
	v_sub_nc_u32_e32 v9, v42, v8
	s_delay_alu instid0(VALU_DEP_1)
	v_lshlrev_b32_e32 v9, 3, v9
	ds_store_b64 v9, v[81:82]
	s_or_b32 exec_lo, exec_lo, s6
	s_and_saveexec_b32 s5, s4
	s_cbranch_execz .LBB542_344
.LBB542_399:
	v_sub_nc_u32_e32 v9, v41, v8
	s_delay_alu instid0(VALU_DEP_1)
	v_lshlrev_b32_e32 v9, 3, v9
	ds_store_b64 v9, v[85:86]
	s_or_b32 exec_lo, exec_lo, s5
	s_and_saveexec_b32 s4, s3
	s_cbranch_execz .LBB542_345
.LBB542_400:
	v_sub_nc_u32_e32 v9, v40, v8
	s_delay_alu instid0(VALU_DEP_1)
	v_lshlrev_b32_e32 v9, 3, v9
	ds_store_b64 v9, v[101:102]
	s_or_b32 exec_lo, exec_lo, s4
	s_and_saveexec_b32 s3, s2
	s_cbranch_execz .LBB542_346
.LBB542_401:
	v_sub_nc_u32_e32 v9, v39, v8
	s_delay_alu instid0(VALU_DEP_1)
	v_lshlrev_b32_e32 v9, 3, v9
	ds_store_b64 v9, v[103:104]
	s_or_b32 exec_lo, exec_lo, s3
	s_and_saveexec_b32 s2, s1
	s_cbranch_execnz .LBB542_347
	s_branch .LBB542_348
	.section	.rodata,"a",@progbits
	.p2align	6, 0x0
	.amdhsa_kernel _ZN7rocprim17ROCPRIM_400000_NS6detail17trampoline_kernelINS0_14default_configENS1_29reduce_by_key_config_selectorIxxN6thrust23THRUST_200600_302600_NS4plusIxEEEEZZNS1_33reduce_by_key_impl_wrapped_configILNS1_25lookback_scan_determinismE0ES3_S9_NS6_6detail15normal_iteratorINS6_10device_ptrIxEEEESG_SG_SG_PmS8_22is_equal_div_10_reduceIxEEE10hipError_tPvRmT2_T3_mT4_T5_T6_T7_T8_P12ihipStream_tbENKUlT_T0_E_clISt17integral_constantIbLb0EES10_IbLb1EEEEDaSW_SX_EUlSW_E_NS1_11comp_targetILNS1_3genE9ELNS1_11target_archE1100ELNS1_3gpuE3ELNS1_3repE0EEENS1_30default_config_static_selectorELNS0_4arch9wavefront6targetE0EEEvT1_
		.amdhsa_group_segment_fixed_size 30720
		.amdhsa_private_segment_fixed_size 0
		.amdhsa_kernarg_size 136
		.amdhsa_user_sgpr_count 15
		.amdhsa_user_sgpr_dispatch_ptr 0
		.amdhsa_user_sgpr_queue_ptr 0
		.amdhsa_user_sgpr_kernarg_segment_ptr 1
		.amdhsa_user_sgpr_dispatch_id 0
		.amdhsa_user_sgpr_private_segment_size 0
		.amdhsa_wavefront_size32 1
		.amdhsa_uses_dynamic_stack 0
		.amdhsa_enable_private_segment 0
		.amdhsa_system_sgpr_workgroup_id_x 1
		.amdhsa_system_sgpr_workgroup_id_y 0
		.amdhsa_system_sgpr_workgroup_id_z 0
		.amdhsa_system_sgpr_workgroup_info 0
		.amdhsa_system_vgpr_workitem_id 0
		.amdhsa_next_free_vgpr 120
		.amdhsa_next_free_sgpr 52
		.amdhsa_reserve_vcc 1
		.amdhsa_float_round_mode_32 0
		.amdhsa_float_round_mode_16_64 0
		.amdhsa_float_denorm_mode_32 3
		.amdhsa_float_denorm_mode_16_64 3
		.amdhsa_dx10_clamp 1
		.amdhsa_ieee_mode 1
		.amdhsa_fp16_overflow 0
		.amdhsa_workgroup_processor_mode 1
		.amdhsa_memory_ordered 1
		.amdhsa_forward_progress 0
		.amdhsa_shared_vgpr_count 0
		.amdhsa_exception_fp_ieee_invalid_op 0
		.amdhsa_exception_fp_denorm_src 0
		.amdhsa_exception_fp_ieee_div_zero 0
		.amdhsa_exception_fp_ieee_overflow 0
		.amdhsa_exception_fp_ieee_underflow 0
		.amdhsa_exception_fp_ieee_inexact 0
		.amdhsa_exception_int_div_zero 0
	.end_amdhsa_kernel
	.section	.text._ZN7rocprim17ROCPRIM_400000_NS6detail17trampoline_kernelINS0_14default_configENS1_29reduce_by_key_config_selectorIxxN6thrust23THRUST_200600_302600_NS4plusIxEEEEZZNS1_33reduce_by_key_impl_wrapped_configILNS1_25lookback_scan_determinismE0ES3_S9_NS6_6detail15normal_iteratorINS6_10device_ptrIxEEEESG_SG_SG_PmS8_22is_equal_div_10_reduceIxEEE10hipError_tPvRmT2_T3_mT4_T5_T6_T7_T8_P12ihipStream_tbENKUlT_T0_E_clISt17integral_constantIbLb0EES10_IbLb1EEEEDaSW_SX_EUlSW_E_NS1_11comp_targetILNS1_3genE9ELNS1_11target_archE1100ELNS1_3gpuE3ELNS1_3repE0EEENS1_30default_config_static_selectorELNS0_4arch9wavefront6targetE0EEEvT1_,"axG",@progbits,_ZN7rocprim17ROCPRIM_400000_NS6detail17trampoline_kernelINS0_14default_configENS1_29reduce_by_key_config_selectorIxxN6thrust23THRUST_200600_302600_NS4plusIxEEEEZZNS1_33reduce_by_key_impl_wrapped_configILNS1_25lookback_scan_determinismE0ES3_S9_NS6_6detail15normal_iteratorINS6_10device_ptrIxEEEESG_SG_SG_PmS8_22is_equal_div_10_reduceIxEEE10hipError_tPvRmT2_T3_mT4_T5_T6_T7_T8_P12ihipStream_tbENKUlT_T0_E_clISt17integral_constantIbLb0EES10_IbLb1EEEEDaSW_SX_EUlSW_E_NS1_11comp_targetILNS1_3genE9ELNS1_11target_archE1100ELNS1_3gpuE3ELNS1_3repE0EEENS1_30default_config_static_selectorELNS0_4arch9wavefront6targetE0EEEvT1_,comdat
.Lfunc_end542:
	.size	_ZN7rocprim17ROCPRIM_400000_NS6detail17trampoline_kernelINS0_14default_configENS1_29reduce_by_key_config_selectorIxxN6thrust23THRUST_200600_302600_NS4plusIxEEEEZZNS1_33reduce_by_key_impl_wrapped_configILNS1_25lookback_scan_determinismE0ES3_S9_NS6_6detail15normal_iteratorINS6_10device_ptrIxEEEESG_SG_SG_PmS8_22is_equal_div_10_reduceIxEEE10hipError_tPvRmT2_T3_mT4_T5_T6_T7_T8_P12ihipStream_tbENKUlT_T0_E_clISt17integral_constantIbLb0EES10_IbLb1EEEEDaSW_SX_EUlSW_E_NS1_11comp_targetILNS1_3genE9ELNS1_11target_archE1100ELNS1_3gpuE3ELNS1_3repE0EEENS1_30default_config_static_selectorELNS0_4arch9wavefront6targetE0EEEvT1_, .Lfunc_end542-_ZN7rocprim17ROCPRIM_400000_NS6detail17trampoline_kernelINS0_14default_configENS1_29reduce_by_key_config_selectorIxxN6thrust23THRUST_200600_302600_NS4plusIxEEEEZZNS1_33reduce_by_key_impl_wrapped_configILNS1_25lookback_scan_determinismE0ES3_S9_NS6_6detail15normal_iteratorINS6_10device_ptrIxEEEESG_SG_SG_PmS8_22is_equal_div_10_reduceIxEEE10hipError_tPvRmT2_T3_mT4_T5_T6_T7_T8_P12ihipStream_tbENKUlT_T0_E_clISt17integral_constantIbLb0EES10_IbLb1EEEEDaSW_SX_EUlSW_E_NS1_11comp_targetILNS1_3genE9ELNS1_11target_archE1100ELNS1_3gpuE3ELNS1_3repE0EEENS1_30default_config_static_selectorELNS0_4arch9wavefront6targetE0EEEvT1_
                                        ; -- End function
	.section	.AMDGPU.csdata,"",@progbits
; Kernel info:
; codeLenInByte = 21744
; NumSgprs: 54
; NumVgprs: 120
; ScratchSize: 0
; MemoryBound: 0
; FloatMode: 240
; IeeeMode: 1
; LDSByteSize: 30720 bytes/workgroup (compile time only)
; SGPRBlocks: 6
; VGPRBlocks: 14
; NumSGPRsForWavesPerEU: 54
; NumVGPRsForWavesPerEU: 120
; Occupancy: 8
; WaveLimiterHint : 1
; COMPUTE_PGM_RSRC2:SCRATCH_EN: 0
; COMPUTE_PGM_RSRC2:USER_SGPR: 15
; COMPUTE_PGM_RSRC2:TRAP_HANDLER: 0
; COMPUTE_PGM_RSRC2:TGID_X_EN: 1
; COMPUTE_PGM_RSRC2:TGID_Y_EN: 0
; COMPUTE_PGM_RSRC2:TGID_Z_EN: 0
; COMPUTE_PGM_RSRC2:TIDIG_COMP_CNT: 0
	.section	.text._ZN7rocprim17ROCPRIM_400000_NS6detail17trampoline_kernelINS0_14default_configENS1_29reduce_by_key_config_selectorIxxN6thrust23THRUST_200600_302600_NS4plusIxEEEEZZNS1_33reduce_by_key_impl_wrapped_configILNS1_25lookback_scan_determinismE0ES3_S9_NS6_6detail15normal_iteratorINS6_10device_ptrIxEEEESG_SG_SG_PmS8_22is_equal_div_10_reduceIxEEE10hipError_tPvRmT2_T3_mT4_T5_T6_T7_T8_P12ihipStream_tbENKUlT_T0_E_clISt17integral_constantIbLb0EES10_IbLb1EEEEDaSW_SX_EUlSW_E_NS1_11comp_targetILNS1_3genE8ELNS1_11target_archE1030ELNS1_3gpuE2ELNS1_3repE0EEENS1_30default_config_static_selectorELNS0_4arch9wavefront6targetE0EEEvT1_,"axG",@progbits,_ZN7rocprim17ROCPRIM_400000_NS6detail17trampoline_kernelINS0_14default_configENS1_29reduce_by_key_config_selectorIxxN6thrust23THRUST_200600_302600_NS4plusIxEEEEZZNS1_33reduce_by_key_impl_wrapped_configILNS1_25lookback_scan_determinismE0ES3_S9_NS6_6detail15normal_iteratorINS6_10device_ptrIxEEEESG_SG_SG_PmS8_22is_equal_div_10_reduceIxEEE10hipError_tPvRmT2_T3_mT4_T5_T6_T7_T8_P12ihipStream_tbENKUlT_T0_E_clISt17integral_constantIbLb0EES10_IbLb1EEEEDaSW_SX_EUlSW_E_NS1_11comp_targetILNS1_3genE8ELNS1_11target_archE1030ELNS1_3gpuE2ELNS1_3repE0EEENS1_30default_config_static_selectorELNS0_4arch9wavefront6targetE0EEEvT1_,comdat
	.protected	_ZN7rocprim17ROCPRIM_400000_NS6detail17trampoline_kernelINS0_14default_configENS1_29reduce_by_key_config_selectorIxxN6thrust23THRUST_200600_302600_NS4plusIxEEEEZZNS1_33reduce_by_key_impl_wrapped_configILNS1_25lookback_scan_determinismE0ES3_S9_NS6_6detail15normal_iteratorINS6_10device_ptrIxEEEESG_SG_SG_PmS8_22is_equal_div_10_reduceIxEEE10hipError_tPvRmT2_T3_mT4_T5_T6_T7_T8_P12ihipStream_tbENKUlT_T0_E_clISt17integral_constantIbLb0EES10_IbLb1EEEEDaSW_SX_EUlSW_E_NS1_11comp_targetILNS1_3genE8ELNS1_11target_archE1030ELNS1_3gpuE2ELNS1_3repE0EEENS1_30default_config_static_selectorELNS0_4arch9wavefront6targetE0EEEvT1_ ; -- Begin function _ZN7rocprim17ROCPRIM_400000_NS6detail17trampoline_kernelINS0_14default_configENS1_29reduce_by_key_config_selectorIxxN6thrust23THRUST_200600_302600_NS4plusIxEEEEZZNS1_33reduce_by_key_impl_wrapped_configILNS1_25lookback_scan_determinismE0ES3_S9_NS6_6detail15normal_iteratorINS6_10device_ptrIxEEEESG_SG_SG_PmS8_22is_equal_div_10_reduceIxEEE10hipError_tPvRmT2_T3_mT4_T5_T6_T7_T8_P12ihipStream_tbENKUlT_T0_E_clISt17integral_constantIbLb0EES10_IbLb1EEEEDaSW_SX_EUlSW_E_NS1_11comp_targetILNS1_3genE8ELNS1_11target_archE1030ELNS1_3gpuE2ELNS1_3repE0EEENS1_30default_config_static_selectorELNS0_4arch9wavefront6targetE0EEEvT1_
	.globl	_ZN7rocprim17ROCPRIM_400000_NS6detail17trampoline_kernelINS0_14default_configENS1_29reduce_by_key_config_selectorIxxN6thrust23THRUST_200600_302600_NS4plusIxEEEEZZNS1_33reduce_by_key_impl_wrapped_configILNS1_25lookback_scan_determinismE0ES3_S9_NS6_6detail15normal_iteratorINS6_10device_ptrIxEEEESG_SG_SG_PmS8_22is_equal_div_10_reduceIxEEE10hipError_tPvRmT2_T3_mT4_T5_T6_T7_T8_P12ihipStream_tbENKUlT_T0_E_clISt17integral_constantIbLb0EES10_IbLb1EEEEDaSW_SX_EUlSW_E_NS1_11comp_targetILNS1_3genE8ELNS1_11target_archE1030ELNS1_3gpuE2ELNS1_3repE0EEENS1_30default_config_static_selectorELNS0_4arch9wavefront6targetE0EEEvT1_
	.p2align	8
	.type	_ZN7rocprim17ROCPRIM_400000_NS6detail17trampoline_kernelINS0_14default_configENS1_29reduce_by_key_config_selectorIxxN6thrust23THRUST_200600_302600_NS4plusIxEEEEZZNS1_33reduce_by_key_impl_wrapped_configILNS1_25lookback_scan_determinismE0ES3_S9_NS6_6detail15normal_iteratorINS6_10device_ptrIxEEEESG_SG_SG_PmS8_22is_equal_div_10_reduceIxEEE10hipError_tPvRmT2_T3_mT4_T5_T6_T7_T8_P12ihipStream_tbENKUlT_T0_E_clISt17integral_constantIbLb0EES10_IbLb1EEEEDaSW_SX_EUlSW_E_NS1_11comp_targetILNS1_3genE8ELNS1_11target_archE1030ELNS1_3gpuE2ELNS1_3repE0EEENS1_30default_config_static_selectorELNS0_4arch9wavefront6targetE0EEEvT1_,@function
_ZN7rocprim17ROCPRIM_400000_NS6detail17trampoline_kernelINS0_14default_configENS1_29reduce_by_key_config_selectorIxxN6thrust23THRUST_200600_302600_NS4plusIxEEEEZZNS1_33reduce_by_key_impl_wrapped_configILNS1_25lookback_scan_determinismE0ES3_S9_NS6_6detail15normal_iteratorINS6_10device_ptrIxEEEESG_SG_SG_PmS8_22is_equal_div_10_reduceIxEEE10hipError_tPvRmT2_T3_mT4_T5_T6_T7_T8_P12ihipStream_tbENKUlT_T0_E_clISt17integral_constantIbLb0EES10_IbLb1EEEEDaSW_SX_EUlSW_E_NS1_11comp_targetILNS1_3genE8ELNS1_11target_archE1030ELNS1_3gpuE2ELNS1_3repE0EEENS1_30default_config_static_selectorELNS0_4arch9wavefront6targetE0EEEvT1_: ; @_ZN7rocprim17ROCPRIM_400000_NS6detail17trampoline_kernelINS0_14default_configENS1_29reduce_by_key_config_selectorIxxN6thrust23THRUST_200600_302600_NS4plusIxEEEEZZNS1_33reduce_by_key_impl_wrapped_configILNS1_25lookback_scan_determinismE0ES3_S9_NS6_6detail15normal_iteratorINS6_10device_ptrIxEEEESG_SG_SG_PmS8_22is_equal_div_10_reduceIxEEE10hipError_tPvRmT2_T3_mT4_T5_T6_T7_T8_P12ihipStream_tbENKUlT_T0_E_clISt17integral_constantIbLb0EES10_IbLb1EEEEDaSW_SX_EUlSW_E_NS1_11comp_targetILNS1_3genE8ELNS1_11target_archE1030ELNS1_3gpuE2ELNS1_3repE0EEENS1_30default_config_static_selectorELNS0_4arch9wavefront6targetE0EEEvT1_
; %bb.0:
	.section	.rodata,"a",@progbits
	.p2align	6, 0x0
	.amdhsa_kernel _ZN7rocprim17ROCPRIM_400000_NS6detail17trampoline_kernelINS0_14default_configENS1_29reduce_by_key_config_selectorIxxN6thrust23THRUST_200600_302600_NS4plusIxEEEEZZNS1_33reduce_by_key_impl_wrapped_configILNS1_25lookback_scan_determinismE0ES3_S9_NS6_6detail15normal_iteratorINS6_10device_ptrIxEEEESG_SG_SG_PmS8_22is_equal_div_10_reduceIxEEE10hipError_tPvRmT2_T3_mT4_T5_T6_T7_T8_P12ihipStream_tbENKUlT_T0_E_clISt17integral_constantIbLb0EES10_IbLb1EEEEDaSW_SX_EUlSW_E_NS1_11comp_targetILNS1_3genE8ELNS1_11target_archE1030ELNS1_3gpuE2ELNS1_3repE0EEENS1_30default_config_static_selectorELNS0_4arch9wavefront6targetE0EEEvT1_
		.amdhsa_group_segment_fixed_size 0
		.amdhsa_private_segment_fixed_size 0
		.amdhsa_kernarg_size 136
		.amdhsa_user_sgpr_count 15
		.amdhsa_user_sgpr_dispatch_ptr 0
		.amdhsa_user_sgpr_queue_ptr 0
		.amdhsa_user_sgpr_kernarg_segment_ptr 1
		.amdhsa_user_sgpr_dispatch_id 0
		.amdhsa_user_sgpr_private_segment_size 0
		.amdhsa_wavefront_size32 1
		.amdhsa_uses_dynamic_stack 0
		.amdhsa_enable_private_segment 0
		.amdhsa_system_sgpr_workgroup_id_x 1
		.amdhsa_system_sgpr_workgroup_id_y 0
		.amdhsa_system_sgpr_workgroup_id_z 0
		.amdhsa_system_sgpr_workgroup_info 0
		.amdhsa_system_vgpr_workitem_id 0
		.amdhsa_next_free_vgpr 1
		.amdhsa_next_free_sgpr 1
		.amdhsa_reserve_vcc 0
		.amdhsa_float_round_mode_32 0
		.amdhsa_float_round_mode_16_64 0
		.amdhsa_float_denorm_mode_32 3
		.amdhsa_float_denorm_mode_16_64 3
		.amdhsa_dx10_clamp 1
		.amdhsa_ieee_mode 1
		.amdhsa_fp16_overflow 0
		.amdhsa_workgroup_processor_mode 1
		.amdhsa_memory_ordered 1
		.amdhsa_forward_progress 0
		.amdhsa_shared_vgpr_count 0
		.amdhsa_exception_fp_ieee_invalid_op 0
		.amdhsa_exception_fp_denorm_src 0
		.amdhsa_exception_fp_ieee_div_zero 0
		.amdhsa_exception_fp_ieee_overflow 0
		.amdhsa_exception_fp_ieee_underflow 0
		.amdhsa_exception_fp_ieee_inexact 0
		.amdhsa_exception_int_div_zero 0
	.end_amdhsa_kernel
	.section	.text._ZN7rocprim17ROCPRIM_400000_NS6detail17trampoline_kernelINS0_14default_configENS1_29reduce_by_key_config_selectorIxxN6thrust23THRUST_200600_302600_NS4plusIxEEEEZZNS1_33reduce_by_key_impl_wrapped_configILNS1_25lookback_scan_determinismE0ES3_S9_NS6_6detail15normal_iteratorINS6_10device_ptrIxEEEESG_SG_SG_PmS8_22is_equal_div_10_reduceIxEEE10hipError_tPvRmT2_T3_mT4_T5_T6_T7_T8_P12ihipStream_tbENKUlT_T0_E_clISt17integral_constantIbLb0EES10_IbLb1EEEEDaSW_SX_EUlSW_E_NS1_11comp_targetILNS1_3genE8ELNS1_11target_archE1030ELNS1_3gpuE2ELNS1_3repE0EEENS1_30default_config_static_selectorELNS0_4arch9wavefront6targetE0EEEvT1_,"axG",@progbits,_ZN7rocprim17ROCPRIM_400000_NS6detail17trampoline_kernelINS0_14default_configENS1_29reduce_by_key_config_selectorIxxN6thrust23THRUST_200600_302600_NS4plusIxEEEEZZNS1_33reduce_by_key_impl_wrapped_configILNS1_25lookback_scan_determinismE0ES3_S9_NS6_6detail15normal_iteratorINS6_10device_ptrIxEEEESG_SG_SG_PmS8_22is_equal_div_10_reduceIxEEE10hipError_tPvRmT2_T3_mT4_T5_T6_T7_T8_P12ihipStream_tbENKUlT_T0_E_clISt17integral_constantIbLb0EES10_IbLb1EEEEDaSW_SX_EUlSW_E_NS1_11comp_targetILNS1_3genE8ELNS1_11target_archE1030ELNS1_3gpuE2ELNS1_3repE0EEENS1_30default_config_static_selectorELNS0_4arch9wavefront6targetE0EEEvT1_,comdat
.Lfunc_end543:
	.size	_ZN7rocprim17ROCPRIM_400000_NS6detail17trampoline_kernelINS0_14default_configENS1_29reduce_by_key_config_selectorIxxN6thrust23THRUST_200600_302600_NS4plusIxEEEEZZNS1_33reduce_by_key_impl_wrapped_configILNS1_25lookback_scan_determinismE0ES3_S9_NS6_6detail15normal_iteratorINS6_10device_ptrIxEEEESG_SG_SG_PmS8_22is_equal_div_10_reduceIxEEE10hipError_tPvRmT2_T3_mT4_T5_T6_T7_T8_P12ihipStream_tbENKUlT_T0_E_clISt17integral_constantIbLb0EES10_IbLb1EEEEDaSW_SX_EUlSW_E_NS1_11comp_targetILNS1_3genE8ELNS1_11target_archE1030ELNS1_3gpuE2ELNS1_3repE0EEENS1_30default_config_static_selectorELNS0_4arch9wavefront6targetE0EEEvT1_, .Lfunc_end543-_ZN7rocprim17ROCPRIM_400000_NS6detail17trampoline_kernelINS0_14default_configENS1_29reduce_by_key_config_selectorIxxN6thrust23THRUST_200600_302600_NS4plusIxEEEEZZNS1_33reduce_by_key_impl_wrapped_configILNS1_25lookback_scan_determinismE0ES3_S9_NS6_6detail15normal_iteratorINS6_10device_ptrIxEEEESG_SG_SG_PmS8_22is_equal_div_10_reduceIxEEE10hipError_tPvRmT2_T3_mT4_T5_T6_T7_T8_P12ihipStream_tbENKUlT_T0_E_clISt17integral_constantIbLb0EES10_IbLb1EEEEDaSW_SX_EUlSW_E_NS1_11comp_targetILNS1_3genE8ELNS1_11target_archE1030ELNS1_3gpuE2ELNS1_3repE0EEENS1_30default_config_static_selectorELNS0_4arch9wavefront6targetE0EEEvT1_
                                        ; -- End function
	.section	.AMDGPU.csdata,"",@progbits
; Kernel info:
; codeLenInByte = 0
; NumSgprs: 0
; NumVgprs: 0
; ScratchSize: 0
; MemoryBound: 0
; FloatMode: 240
; IeeeMode: 1
; LDSByteSize: 0 bytes/workgroup (compile time only)
; SGPRBlocks: 0
; VGPRBlocks: 0
; NumSGPRsForWavesPerEU: 1
; NumVGPRsForWavesPerEU: 1
; Occupancy: 16
; WaveLimiterHint : 0
; COMPUTE_PGM_RSRC2:SCRATCH_EN: 0
; COMPUTE_PGM_RSRC2:USER_SGPR: 15
; COMPUTE_PGM_RSRC2:TRAP_HANDLER: 0
; COMPUTE_PGM_RSRC2:TGID_X_EN: 1
; COMPUTE_PGM_RSRC2:TGID_Y_EN: 0
; COMPUTE_PGM_RSRC2:TGID_Z_EN: 0
; COMPUTE_PGM_RSRC2:TIDIG_COMP_CNT: 0
	.section	.text._ZN7rocprim17ROCPRIM_400000_NS6detail25reduce_by_key_init_kernelINS1_19lookback_scan_stateINS0_5tupleIJjiEEELb0ELb1EEEiNS1_16block_id_wrapperIjLb0EEEEEvT_jbjPmPT0_T1_,"axG",@progbits,_ZN7rocprim17ROCPRIM_400000_NS6detail25reduce_by_key_init_kernelINS1_19lookback_scan_stateINS0_5tupleIJjiEEELb0ELb1EEEiNS1_16block_id_wrapperIjLb0EEEEEvT_jbjPmPT0_T1_,comdat
	.protected	_ZN7rocprim17ROCPRIM_400000_NS6detail25reduce_by_key_init_kernelINS1_19lookback_scan_stateINS0_5tupleIJjiEEELb0ELb1EEEiNS1_16block_id_wrapperIjLb0EEEEEvT_jbjPmPT0_T1_ ; -- Begin function _ZN7rocprim17ROCPRIM_400000_NS6detail25reduce_by_key_init_kernelINS1_19lookback_scan_stateINS0_5tupleIJjiEEELb0ELb1EEEiNS1_16block_id_wrapperIjLb0EEEEEvT_jbjPmPT0_T1_
	.globl	_ZN7rocprim17ROCPRIM_400000_NS6detail25reduce_by_key_init_kernelINS1_19lookback_scan_stateINS0_5tupleIJjiEEELb0ELb1EEEiNS1_16block_id_wrapperIjLb0EEEEEvT_jbjPmPT0_T1_
	.p2align	8
	.type	_ZN7rocprim17ROCPRIM_400000_NS6detail25reduce_by_key_init_kernelINS1_19lookback_scan_stateINS0_5tupleIJjiEEELb0ELb1EEEiNS1_16block_id_wrapperIjLb0EEEEEvT_jbjPmPT0_T1_,@function
_ZN7rocprim17ROCPRIM_400000_NS6detail25reduce_by_key_init_kernelINS1_19lookback_scan_stateINS0_5tupleIJjiEEELb0ELb1EEEiNS1_16block_id_wrapperIjLb0EEEEEvT_jbjPmPT0_T1_: ; @_ZN7rocprim17ROCPRIM_400000_NS6detail25reduce_by_key_init_kernelINS1_19lookback_scan_stateINS0_5tupleIJjiEEELb0ELb1EEEiNS1_16block_id_wrapperIjLb0EEEEEvT_jbjPmPT0_T1_
; %bb.0:
	s_clause 0x2
	s_load_b32 s2, s[0:1], 0x3c
	s_load_b256 s[4:11], s[0:1], 0x8
	s_load_b64 s[0:1], s[0:1], 0x0
	s_waitcnt lgkmcnt(0)
	s_and_b32 s2, s2, 0xffff
	s_delay_alu instid0(SALU_CYCLE_1) | instskip(SKIP_1) | instid1(SALU_CYCLE_1)
	v_mad_u64_u32 v[1:2], null, s15, s2, v[0:1]
	s_and_b32 s2, s5, 1
	s_cmp_eq_u32 s2, 0
	s_mov_b32 s2, -1
	s_cbranch_scc1 .LBB544_7
; %bb.1:
	s_and_not1_b32 vcc_lo, exec_lo, s2
	s_cbranch_vccz .LBB544_14
.LBB544_2:
	s_mov_b32 s2, exec_lo
	v_cmpx_gt_u32_e64 s4, v1
	s_cbranch_execz .LBB544_4
.LBB544_3:
	v_dual_mov_b32 v3, 0 :: v_dual_add_nc_u32 v2, 32, v1
	s_delay_alu instid0(VALU_DEP_1) | instskip(SKIP_2) | instid1(VALU_DEP_3)
	v_lshlrev_b64 v[5:6], 4, v[2:3]
	v_mov_b32_e32 v2, v3
	v_mov_b32_e32 v4, v3
	v_add_co_u32 v7, vcc_lo, s0, v5
	s_delay_alu instid0(VALU_DEP_4)
	v_add_co_ci_u32_e32 v8, vcc_lo, s1, v6, vcc_lo
	v_mov_b32_e32 v5, v3
	global_store_b128 v[7:8], v[2:5], off
.LBB544_4:
	s_or_b32 exec_lo, exec_lo, s2
	s_delay_alu instid0(SALU_CYCLE_1)
	s_mov_b32 s2, exec_lo
	v_cmpx_gt_u32_e32 32, v1
	s_cbranch_execz .LBB544_6
; %bb.5:
	v_dual_mov_b32 v2, 0 :: v_dual_mov_b32 v3, 0xff
	s_delay_alu instid0(VALU_DEP_1) | instskip(SKIP_1) | instid1(VALU_DEP_2)
	v_lshlrev_b64 v[4:5], 4, v[1:2]
	v_mov_b32_e32 v1, v2
	v_add_co_u32 v6, vcc_lo, s0, v4
	s_delay_alu instid0(VALU_DEP_3)
	v_add_co_ci_u32_e32 v7, vcc_lo, s1, v5, vcc_lo
	v_mov_b32_e32 v4, v2
	global_store_b128 v[6:7], v[1:4], off
.LBB544_6:
	s_nop 0
	s_sendmsg sendmsg(MSG_DEALLOC_VGPRS)
	s_endpgm
.LBB544_7:
	s_cmp_lt_u32 s6, s4
	s_mov_b32 s5, exec_lo
	s_cselect_b32 s2, s6, 0
	s_delay_alu instid0(SALU_CYCLE_1)
	v_cmpx_eq_u32_e64 s2, v1
	s_cbranch_execz .LBB544_13
; %bb.8:
	s_add_i32 s2, s6, 32
	s_mov_b32 s3, 0
	v_mov_b32_e32 v6, 0
	s_lshl_b64 s[6:7], s[2:3], 4
	s_mov_b32 s2, exec_lo
	s_add_u32 s6, s0, s6
	s_addc_u32 s7, s1, s7
	s_delay_alu instid0(SALU_CYCLE_1) | instskip(SKIP_2) | instid1(VALU_DEP_1)
	v_dual_mov_b32 v2, s6 :: v_dual_mov_b32 v3, s7
	;;#ASMSTART
	global_load_dwordx4 v[2:5], v[2:3] off glc	
s_waitcnt vmcnt(0)
	;;#ASMEND
	v_and_b32_e32 v5, 0xff, v4
	v_cmpx_eq_u64_e32 0, v[5:6]
	s_cbranch_execz .LBB544_12
; %bb.9:
	v_dual_mov_b32 v8, s7 :: v_dual_mov_b32 v7, s6
.LBB544_10:                             ; =>This Inner Loop Header: Depth=1
	;;#ASMSTART
	global_load_dwordx4 v[2:5], v[7:8] off glc	
s_waitcnt vmcnt(0)
	;;#ASMEND
	v_and_b32_e32 v5, 0xff, v4
	s_delay_alu instid0(VALU_DEP_1) | instskip(SKIP_1) | instid1(SALU_CYCLE_1)
	v_cmp_ne_u64_e32 vcc_lo, 0, v[5:6]
	s_or_b32 s3, vcc_lo, s3
	s_and_not1_b32 exec_lo, exec_lo, s3
	s_cbranch_execnz .LBB544_10
; %bb.11:
	s_or_b32 exec_lo, exec_lo, s3
.LBB544_12:
	s_delay_alu instid0(SALU_CYCLE_1)
	s_or_b32 exec_lo, exec_lo, s2
	v_mov_b32_e32 v0, 0
	global_load_b64 v[4:5], v0, s[8:9]
	s_waitcnt vmcnt(0)
	v_add_co_u32 v4, vcc_lo, v4, v2
	v_add_co_ci_u32_e32 v5, vcc_lo, 0, v5, vcc_lo
	s_clause 0x1
	global_store_b64 v0, v[4:5], s[8:9]
	global_store_b32 v0, v3, s[10:11]
.LBB544_13:
	s_or_b32 exec_lo, exec_lo, s5
	s_cbranch_execnz .LBB544_2
.LBB544_14:
	s_delay_alu instid0(VALU_DEP_1) | instskip(SKIP_2) | instid1(SALU_CYCLE_1)
	v_cmp_eq_u32_e32 vcc_lo, 0, v1
	s_cmp_lg_u64 s[8:9], 0
	s_cselect_b32 s2, -1, 0
	s_and_b32 s3, s2, vcc_lo
	s_delay_alu instid0(SALU_CYCLE_1)
	s_and_saveexec_b32 s2, s3
	s_cbranch_execz .LBB544_16
; %bb.15:
	v_mov_b32_e32 v2, 0
	s_delay_alu instid0(VALU_DEP_1)
	v_mov_b32_e32 v3, v2
	global_store_b64 v2, v[2:3], s[8:9]
.LBB544_16:
	s_or_b32 exec_lo, exec_lo, s2
	s_delay_alu instid0(SALU_CYCLE_1)
	s_mov_b32 s2, exec_lo
	v_cmpx_gt_u32_e64 s4, v1
	s_cbranch_execnz .LBB544_3
	s_branch .LBB544_4
	.section	.rodata,"a",@progbits
	.p2align	6, 0x0
	.amdhsa_kernel _ZN7rocprim17ROCPRIM_400000_NS6detail25reduce_by_key_init_kernelINS1_19lookback_scan_stateINS0_5tupleIJjiEEELb0ELb1EEEiNS1_16block_id_wrapperIjLb0EEEEEvT_jbjPmPT0_T1_
		.amdhsa_group_segment_fixed_size 0
		.amdhsa_private_segment_fixed_size 0
		.amdhsa_kernarg_size 304
		.amdhsa_user_sgpr_count 15
		.amdhsa_user_sgpr_dispatch_ptr 0
		.amdhsa_user_sgpr_queue_ptr 0
		.amdhsa_user_sgpr_kernarg_segment_ptr 1
		.amdhsa_user_sgpr_dispatch_id 0
		.amdhsa_user_sgpr_private_segment_size 0
		.amdhsa_wavefront_size32 1
		.amdhsa_uses_dynamic_stack 0
		.amdhsa_enable_private_segment 0
		.amdhsa_system_sgpr_workgroup_id_x 1
		.amdhsa_system_sgpr_workgroup_id_y 0
		.amdhsa_system_sgpr_workgroup_id_z 0
		.amdhsa_system_sgpr_workgroup_info 0
		.amdhsa_system_vgpr_workitem_id 0
		.amdhsa_next_free_vgpr 9
		.amdhsa_next_free_sgpr 16
		.amdhsa_reserve_vcc 1
		.amdhsa_float_round_mode_32 0
		.amdhsa_float_round_mode_16_64 0
		.amdhsa_float_denorm_mode_32 3
		.amdhsa_float_denorm_mode_16_64 3
		.amdhsa_dx10_clamp 1
		.amdhsa_ieee_mode 1
		.amdhsa_fp16_overflow 0
		.amdhsa_workgroup_processor_mode 1
		.amdhsa_memory_ordered 1
		.amdhsa_forward_progress 0
		.amdhsa_shared_vgpr_count 0
		.amdhsa_exception_fp_ieee_invalid_op 0
		.amdhsa_exception_fp_denorm_src 0
		.amdhsa_exception_fp_ieee_div_zero 0
		.amdhsa_exception_fp_ieee_overflow 0
		.amdhsa_exception_fp_ieee_underflow 0
		.amdhsa_exception_fp_ieee_inexact 0
		.amdhsa_exception_int_div_zero 0
	.end_amdhsa_kernel
	.section	.text._ZN7rocprim17ROCPRIM_400000_NS6detail25reduce_by_key_init_kernelINS1_19lookback_scan_stateINS0_5tupleIJjiEEELb0ELb1EEEiNS1_16block_id_wrapperIjLb0EEEEEvT_jbjPmPT0_T1_,"axG",@progbits,_ZN7rocprim17ROCPRIM_400000_NS6detail25reduce_by_key_init_kernelINS1_19lookback_scan_stateINS0_5tupleIJjiEEELb0ELb1EEEiNS1_16block_id_wrapperIjLb0EEEEEvT_jbjPmPT0_T1_,comdat
.Lfunc_end544:
	.size	_ZN7rocprim17ROCPRIM_400000_NS6detail25reduce_by_key_init_kernelINS1_19lookback_scan_stateINS0_5tupleIJjiEEELb0ELb1EEEiNS1_16block_id_wrapperIjLb0EEEEEvT_jbjPmPT0_T1_, .Lfunc_end544-_ZN7rocprim17ROCPRIM_400000_NS6detail25reduce_by_key_init_kernelINS1_19lookback_scan_stateINS0_5tupleIJjiEEELb0ELb1EEEiNS1_16block_id_wrapperIjLb0EEEEEvT_jbjPmPT0_T1_
                                        ; -- End function
	.section	.AMDGPU.csdata,"",@progbits
; Kernel info:
; codeLenInByte = 584
; NumSgprs: 18
; NumVgprs: 9
; ScratchSize: 0
; MemoryBound: 0
; FloatMode: 240
; IeeeMode: 1
; LDSByteSize: 0 bytes/workgroup (compile time only)
; SGPRBlocks: 2
; VGPRBlocks: 1
; NumSGPRsForWavesPerEU: 18
; NumVGPRsForWavesPerEU: 9
; Occupancy: 16
; WaveLimiterHint : 0
; COMPUTE_PGM_RSRC2:SCRATCH_EN: 0
; COMPUTE_PGM_RSRC2:USER_SGPR: 15
; COMPUTE_PGM_RSRC2:TRAP_HANDLER: 0
; COMPUTE_PGM_RSRC2:TGID_X_EN: 1
; COMPUTE_PGM_RSRC2:TGID_Y_EN: 0
; COMPUTE_PGM_RSRC2:TGID_Z_EN: 0
; COMPUTE_PGM_RSRC2:TIDIG_COMP_CNT: 0
	.section	.text._ZN7rocprim17ROCPRIM_400000_NS6detail17trampoline_kernelINS0_14default_configENS1_29reduce_by_key_config_selectorIiiN6thrust23THRUST_200600_302600_NS4plusIiEEEEZZNS1_33reduce_by_key_impl_wrapped_configILNS1_25lookback_scan_determinismE0ES3_S9_NS6_6detail15normal_iteratorINS6_10device_ptrIiEEEESG_SG_SG_PmS8_NS6_8equal_toIiEEEE10hipError_tPvRmT2_T3_mT4_T5_T6_T7_T8_P12ihipStream_tbENKUlT_T0_E_clISt17integral_constantIbLb0EES11_EEDaSW_SX_EUlSW_E_NS1_11comp_targetILNS1_3genE0ELNS1_11target_archE4294967295ELNS1_3gpuE0ELNS1_3repE0EEENS1_30default_config_static_selectorELNS0_4arch9wavefront6targetE0EEEvT1_,"axG",@progbits,_ZN7rocprim17ROCPRIM_400000_NS6detail17trampoline_kernelINS0_14default_configENS1_29reduce_by_key_config_selectorIiiN6thrust23THRUST_200600_302600_NS4plusIiEEEEZZNS1_33reduce_by_key_impl_wrapped_configILNS1_25lookback_scan_determinismE0ES3_S9_NS6_6detail15normal_iteratorINS6_10device_ptrIiEEEESG_SG_SG_PmS8_NS6_8equal_toIiEEEE10hipError_tPvRmT2_T3_mT4_T5_T6_T7_T8_P12ihipStream_tbENKUlT_T0_E_clISt17integral_constantIbLb0EES11_EEDaSW_SX_EUlSW_E_NS1_11comp_targetILNS1_3genE0ELNS1_11target_archE4294967295ELNS1_3gpuE0ELNS1_3repE0EEENS1_30default_config_static_selectorELNS0_4arch9wavefront6targetE0EEEvT1_,comdat
	.protected	_ZN7rocprim17ROCPRIM_400000_NS6detail17trampoline_kernelINS0_14default_configENS1_29reduce_by_key_config_selectorIiiN6thrust23THRUST_200600_302600_NS4plusIiEEEEZZNS1_33reduce_by_key_impl_wrapped_configILNS1_25lookback_scan_determinismE0ES3_S9_NS6_6detail15normal_iteratorINS6_10device_ptrIiEEEESG_SG_SG_PmS8_NS6_8equal_toIiEEEE10hipError_tPvRmT2_T3_mT4_T5_T6_T7_T8_P12ihipStream_tbENKUlT_T0_E_clISt17integral_constantIbLb0EES11_EEDaSW_SX_EUlSW_E_NS1_11comp_targetILNS1_3genE0ELNS1_11target_archE4294967295ELNS1_3gpuE0ELNS1_3repE0EEENS1_30default_config_static_selectorELNS0_4arch9wavefront6targetE0EEEvT1_ ; -- Begin function _ZN7rocprim17ROCPRIM_400000_NS6detail17trampoline_kernelINS0_14default_configENS1_29reduce_by_key_config_selectorIiiN6thrust23THRUST_200600_302600_NS4plusIiEEEEZZNS1_33reduce_by_key_impl_wrapped_configILNS1_25lookback_scan_determinismE0ES3_S9_NS6_6detail15normal_iteratorINS6_10device_ptrIiEEEESG_SG_SG_PmS8_NS6_8equal_toIiEEEE10hipError_tPvRmT2_T3_mT4_T5_T6_T7_T8_P12ihipStream_tbENKUlT_T0_E_clISt17integral_constantIbLb0EES11_EEDaSW_SX_EUlSW_E_NS1_11comp_targetILNS1_3genE0ELNS1_11target_archE4294967295ELNS1_3gpuE0ELNS1_3repE0EEENS1_30default_config_static_selectorELNS0_4arch9wavefront6targetE0EEEvT1_
	.globl	_ZN7rocprim17ROCPRIM_400000_NS6detail17trampoline_kernelINS0_14default_configENS1_29reduce_by_key_config_selectorIiiN6thrust23THRUST_200600_302600_NS4plusIiEEEEZZNS1_33reduce_by_key_impl_wrapped_configILNS1_25lookback_scan_determinismE0ES3_S9_NS6_6detail15normal_iteratorINS6_10device_ptrIiEEEESG_SG_SG_PmS8_NS6_8equal_toIiEEEE10hipError_tPvRmT2_T3_mT4_T5_T6_T7_T8_P12ihipStream_tbENKUlT_T0_E_clISt17integral_constantIbLb0EES11_EEDaSW_SX_EUlSW_E_NS1_11comp_targetILNS1_3genE0ELNS1_11target_archE4294967295ELNS1_3gpuE0ELNS1_3repE0EEENS1_30default_config_static_selectorELNS0_4arch9wavefront6targetE0EEEvT1_
	.p2align	8
	.type	_ZN7rocprim17ROCPRIM_400000_NS6detail17trampoline_kernelINS0_14default_configENS1_29reduce_by_key_config_selectorIiiN6thrust23THRUST_200600_302600_NS4plusIiEEEEZZNS1_33reduce_by_key_impl_wrapped_configILNS1_25lookback_scan_determinismE0ES3_S9_NS6_6detail15normal_iteratorINS6_10device_ptrIiEEEESG_SG_SG_PmS8_NS6_8equal_toIiEEEE10hipError_tPvRmT2_T3_mT4_T5_T6_T7_T8_P12ihipStream_tbENKUlT_T0_E_clISt17integral_constantIbLb0EES11_EEDaSW_SX_EUlSW_E_NS1_11comp_targetILNS1_3genE0ELNS1_11target_archE4294967295ELNS1_3gpuE0ELNS1_3repE0EEENS1_30default_config_static_selectorELNS0_4arch9wavefront6targetE0EEEvT1_,@function
_ZN7rocprim17ROCPRIM_400000_NS6detail17trampoline_kernelINS0_14default_configENS1_29reduce_by_key_config_selectorIiiN6thrust23THRUST_200600_302600_NS4plusIiEEEEZZNS1_33reduce_by_key_impl_wrapped_configILNS1_25lookback_scan_determinismE0ES3_S9_NS6_6detail15normal_iteratorINS6_10device_ptrIiEEEESG_SG_SG_PmS8_NS6_8equal_toIiEEEE10hipError_tPvRmT2_T3_mT4_T5_T6_T7_T8_P12ihipStream_tbENKUlT_T0_E_clISt17integral_constantIbLb0EES11_EEDaSW_SX_EUlSW_E_NS1_11comp_targetILNS1_3genE0ELNS1_11target_archE4294967295ELNS1_3gpuE0ELNS1_3repE0EEENS1_30default_config_static_selectorELNS0_4arch9wavefront6targetE0EEEvT1_: ; @_ZN7rocprim17ROCPRIM_400000_NS6detail17trampoline_kernelINS0_14default_configENS1_29reduce_by_key_config_selectorIiiN6thrust23THRUST_200600_302600_NS4plusIiEEEEZZNS1_33reduce_by_key_impl_wrapped_configILNS1_25lookback_scan_determinismE0ES3_S9_NS6_6detail15normal_iteratorINS6_10device_ptrIiEEEESG_SG_SG_PmS8_NS6_8equal_toIiEEEE10hipError_tPvRmT2_T3_mT4_T5_T6_T7_T8_P12ihipStream_tbENKUlT_T0_E_clISt17integral_constantIbLb0EES11_EEDaSW_SX_EUlSW_E_NS1_11comp_targetILNS1_3genE0ELNS1_11target_archE4294967295ELNS1_3gpuE0ELNS1_3repE0EEENS1_30default_config_static_selectorELNS0_4arch9wavefront6targetE0EEEvT1_
; %bb.0:
	.section	.rodata,"a",@progbits
	.p2align	6, 0x0
	.amdhsa_kernel _ZN7rocprim17ROCPRIM_400000_NS6detail17trampoline_kernelINS0_14default_configENS1_29reduce_by_key_config_selectorIiiN6thrust23THRUST_200600_302600_NS4plusIiEEEEZZNS1_33reduce_by_key_impl_wrapped_configILNS1_25lookback_scan_determinismE0ES3_S9_NS6_6detail15normal_iteratorINS6_10device_ptrIiEEEESG_SG_SG_PmS8_NS6_8equal_toIiEEEE10hipError_tPvRmT2_T3_mT4_T5_T6_T7_T8_P12ihipStream_tbENKUlT_T0_E_clISt17integral_constantIbLb0EES11_EEDaSW_SX_EUlSW_E_NS1_11comp_targetILNS1_3genE0ELNS1_11target_archE4294967295ELNS1_3gpuE0ELNS1_3repE0EEENS1_30default_config_static_selectorELNS0_4arch9wavefront6targetE0EEEvT1_
		.amdhsa_group_segment_fixed_size 0
		.amdhsa_private_segment_fixed_size 0
		.amdhsa_kernarg_size 120
		.amdhsa_user_sgpr_count 15
		.amdhsa_user_sgpr_dispatch_ptr 0
		.amdhsa_user_sgpr_queue_ptr 0
		.amdhsa_user_sgpr_kernarg_segment_ptr 1
		.amdhsa_user_sgpr_dispatch_id 0
		.amdhsa_user_sgpr_private_segment_size 0
		.amdhsa_wavefront_size32 1
		.amdhsa_uses_dynamic_stack 0
		.amdhsa_enable_private_segment 0
		.amdhsa_system_sgpr_workgroup_id_x 1
		.amdhsa_system_sgpr_workgroup_id_y 0
		.amdhsa_system_sgpr_workgroup_id_z 0
		.amdhsa_system_sgpr_workgroup_info 0
		.amdhsa_system_vgpr_workitem_id 0
		.amdhsa_next_free_vgpr 1
		.amdhsa_next_free_sgpr 1
		.amdhsa_reserve_vcc 0
		.amdhsa_float_round_mode_32 0
		.amdhsa_float_round_mode_16_64 0
		.amdhsa_float_denorm_mode_32 3
		.amdhsa_float_denorm_mode_16_64 3
		.amdhsa_dx10_clamp 1
		.amdhsa_ieee_mode 1
		.amdhsa_fp16_overflow 0
		.amdhsa_workgroup_processor_mode 1
		.amdhsa_memory_ordered 1
		.amdhsa_forward_progress 0
		.amdhsa_shared_vgpr_count 0
		.amdhsa_exception_fp_ieee_invalid_op 0
		.amdhsa_exception_fp_denorm_src 0
		.amdhsa_exception_fp_ieee_div_zero 0
		.amdhsa_exception_fp_ieee_overflow 0
		.amdhsa_exception_fp_ieee_underflow 0
		.amdhsa_exception_fp_ieee_inexact 0
		.amdhsa_exception_int_div_zero 0
	.end_amdhsa_kernel
	.section	.text._ZN7rocprim17ROCPRIM_400000_NS6detail17trampoline_kernelINS0_14default_configENS1_29reduce_by_key_config_selectorIiiN6thrust23THRUST_200600_302600_NS4plusIiEEEEZZNS1_33reduce_by_key_impl_wrapped_configILNS1_25lookback_scan_determinismE0ES3_S9_NS6_6detail15normal_iteratorINS6_10device_ptrIiEEEESG_SG_SG_PmS8_NS6_8equal_toIiEEEE10hipError_tPvRmT2_T3_mT4_T5_T6_T7_T8_P12ihipStream_tbENKUlT_T0_E_clISt17integral_constantIbLb0EES11_EEDaSW_SX_EUlSW_E_NS1_11comp_targetILNS1_3genE0ELNS1_11target_archE4294967295ELNS1_3gpuE0ELNS1_3repE0EEENS1_30default_config_static_selectorELNS0_4arch9wavefront6targetE0EEEvT1_,"axG",@progbits,_ZN7rocprim17ROCPRIM_400000_NS6detail17trampoline_kernelINS0_14default_configENS1_29reduce_by_key_config_selectorIiiN6thrust23THRUST_200600_302600_NS4plusIiEEEEZZNS1_33reduce_by_key_impl_wrapped_configILNS1_25lookback_scan_determinismE0ES3_S9_NS6_6detail15normal_iteratorINS6_10device_ptrIiEEEESG_SG_SG_PmS8_NS6_8equal_toIiEEEE10hipError_tPvRmT2_T3_mT4_T5_T6_T7_T8_P12ihipStream_tbENKUlT_T0_E_clISt17integral_constantIbLb0EES11_EEDaSW_SX_EUlSW_E_NS1_11comp_targetILNS1_3genE0ELNS1_11target_archE4294967295ELNS1_3gpuE0ELNS1_3repE0EEENS1_30default_config_static_selectorELNS0_4arch9wavefront6targetE0EEEvT1_,comdat
.Lfunc_end545:
	.size	_ZN7rocprim17ROCPRIM_400000_NS6detail17trampoline_kernelINS0_14default_configENS1_29reduce_by_key_config_selectorIiiN6thrust23THRUST_200600_302600_NS4plusIiEEEEZZNS1_33reduce_by_key_impl_wrapped_configILNS1_25lookback_scan_determinismE0ES3_S9_NS6_6detail15normal_iteratorINS6_10device_ptrIiEEEESG_SG_SG_PmS8_NS6_8equal_toIiEEEE10hipError_tPvRmT2_T3_mT4_T5_T6_T7_T8_P12ihipStream_tbENKUlT_T0_E_clISt17integral_constantIbLb0EES11_EEDaSW_SX_EUlSW_E_NS1_11comp_targetILNS1_3genE0ELNS1_11target_archE4294967295ELNS1_3gpuE0ELNS1_3repE0EEENS1_30default_config_static_selectorELNS0_4arch9wavefront6targetE0EEEvT1_, .Lfunc_end545-_ZN7rocprim17ROCPRIM_400000_NS6detail17trampoline_kernelINS0_14default_configENS1_29reduce_by_key_config_selectorIiiN6thrust23THRUST_200600_302600_NS4plusIiEEEEZZNS1_33reduce_by_key_impl_wrapped_configILNS1_25lookback_scan_determinismE0ES3_S9_NS6_6detail15normal_iteratorINS6_10device_ptrIiEEEESG_SG_SG_PmS8_NS6_8equal_toIiEEEE10hipError_tPvRmT2_T3_mT4_T5_T6_T7_T8_P12ihipStream_tbENKUlT_T0_E_clISt17integral_constantIbLb0EES11_EEDaSW_SX_EUlSW_E_NS1_11comp_targetILNS1_3genE0ELNS1_11target_archE4294967295ELNS1_3gpuE0ELNS1_3repE0EEENS1_30default_config_static_selectorELNS0_4arch9wavefront6targetE0EEEvT1_
                                        ; -- End function
	.section	.AMDGPU.csdata,"",@progbits
; Kernel info:
; codeLenInByte = 0
; NumSgprs: 0
; NumVgprs: 0
; ScratchSize: 0
; MemoryBound: 0
; FloatMode: 240
; IeeeMode: 1
; LDSByteSize: 0 bytes/workgroup (compile time only)
; SGPRBlocks: 0
; VGPRBlocks: 0
; NumSGPRsForWavesPerEU: 1
; NumVGPRsForWavesPerEU: 1
; Occupancy: 16
; WaveLimiterHint : 0
; COMPUTE_PGM_RSRC2:SCRATCH_EN: 0
; COMPUTE_PGM_RSRC2:USER_SGPR: 15
; COMPUTE_PGM_RSRC2:TRAP_HANDLER: 0
; COMPUTE_PGM_RSRC2:TGID_X_EN: 1
; COMPUTE_PGM_RSRC2:TGID_Y_EN: 0
; COMPUTE_PGM_RSRC2:TGID_Z_EN: 0
; COMPUTE_PGM_RSRC2:TIDIG_COMP_CNT: 0
	.section	.text._ZN7rocprim17ROCPRIM_400000_NS6detail17trampoline_kernelINS0_14default_configENS1_29reduce_by_key_config_selectorIiiN6thrust23THRUST_200600_302600_NS4plusIiEEEEZZNS1_33reduce_by_key_impl_wrapped_configILNS1_25lookback_scan_determinismE0ES3_S9_NS6_6detail15normal_iteratorINS6_10device_ptrIiEEEESG_SG_SG_PmS8_NS6_8equal_toIiEEEE10hipError_tPvRmT2_T3_mT4_T5_T6_T7_T8_P12ihipStream_tbENKUlT_T0_E_clISt17integral_constantIbLb0EES11_EEDaSW_SX_EUlSW_E_NS1_11comp_targetILNS1_3genE5ELNS1_11target_archE942ELNS1_3gpuE9ELNS1_3repE0EEENS1_30default_config_static_selectorELNS0_4arch9wavefront6targetE0EEEvT1_,"axG",@progbits,_ZN7rocprim17ROCPRIM_400000_NS6detail17trampoline_kernelINS0_14default_configENS1_29reduce_by_key_config_selectorIiiN6thrust23THRUST_200600_302600_NS4plusIiEEEEZZNS1_33reduce_by_key_impl_wrapped_configILNS1_25lookback_scan_determinismE0ES3_S9_NS6_6detail15normal_iteratorINS6_10device_ptrIiEEEESG_SG_SG_PmS8_NS6_8equal_toIiEEEE10hipError_tPvRmT2_T3_mT4_T5_T6_T7_T8_P12ihipStream_tbENKUlT_T0_E_clISt17integral_constantIbLb0EES11_EEDaSW_SX_EUlSW_E_NS1_11comp_targetILNS1_3genE5ELNS1_11target_archE942ELNS1_3gpuE9ELNS1_3repE0EEENS1_30default_config_static_selectorELNS0_4arch9wavefront6targetE0EEEvT1_,comdat
	.protected	_ZN7rocprim17ROCPRIM_400000_NS6detail17trampoline_kernelINS0_14default_configENS1_29reduce_by_key_config_selectorIiiN6thrust23THRUST_200600_302600_NS4plusIiEEEEZZNS1_33reduce_by_key_impl_wrapped_configILNS1_25lookback_scan_determinismE0ES3_S9_NS6_6detail15normal_iteratorINS6_10device_ptrIiEEEESG_SG_SG_PmS8_NS6_8equal_toIiEEEE10hipError_tPvRmT2_T3_mT4_T5_T6_T7_T8_P12ihipStream_tbENKUlT_T0_E_clISt17integral_constantIbLb0EES11_EEDaSW_SX_EUlSW_E_NS1_11comp_targetILNS1_3genE5ELNS1_11target_archE942ELNS1_3gpuE9ELNS1_3repE0EEENS1_30default_config_static_selectorELNS0_4arch9wavefront6targetE0EEEvT1_ ; -- Begin function _ZN7rocprim17ROCPRIM_400000_NS6detail17trampoline_kernelINS0_14default_configENS1_29reduce_by_key_config_selectorIiiN6thrust23THRUST_200600_302600_NS4plusIiEEEEZZNS1_33reduce_by_key_impl_wrapped_configILNS1_25lookback_scan_determinismE0ES3_S9_NS6_6detail15normal_iteratorINS6_10device_ptrIiEEEESG_SG_SG_PmS8_NS6_8equal_toIiEEEE10hipError_tPvRmT2_T3_mT4_T5_T6_T7_T8_P12ihipStream_tbENKUlT_T0_E_clISt17integral_constantIbLb0EES11_EEDaSW_SX_EUlSW_E_NS1_11comp_targetILNS1_3genE5ELNS1_11target_archE942ELNS1_3gpuE9ELNS1_3repE0EEENS1_30default_config_static_selectorELNS0_4arch9wavefront6targetE0EEEvT1_
	.globl	_ZN7rocprim17ROCPRIM_400000_NS6detail17trampoline_kernelINS0_14default_configENS1_29reduce_by_key_config_selectorIiiN6thrust23THRUST_200600_302600_NS4plusIiEEEEZZNS1_33reduce_by_key_impl_wrapped_configILNS1_25lookback_scan_determinismE0ES3_S9_NS6_6detail15normal_iteratorINS6_10device_ptrIiEEEESG_SG_SG_PmS8_NS6_8equal_toIiEEEE10hipError_tPvRmT2_T3_mT4_T5_T6_T7_T8_P12ihipStream_tbENKUlT_T0_E_clISt17integral_constantIbLb0EES11_EEDaSW_SX_EUlSW_E_NS1_11comp_targetILNS1_3genE5ELNS1_11target_archE942ELNS1_3gpuE9ELNS1_3repE0EEENS1_30default_config_static_selectorELNS0_4arch9wavefront6targetE0EEEvT1_
	.p2align	8
	.type	_ZN7rocprim17ROCPRIM_400000_NS6detail17trampoline_kernelINS0_14default_configENS1_29reduce_by_key_config_selectorIiiN6thrust23THRUST_200600_302600_NS4plusIiEEEEZZNS1_33reduce_by_key_impl_wrapped_configILNS1_25lookback_scan_determinismE0ES3_S9_NS6_6detail15normal_iteratorINS6_10device_ptrIiEEEESG_SG_SG_PmS8_NS6_8equal_toIiEEEE10hipError_tPvRmT2_T3_mT4_T5_T6_T7_T8_P12ihipStream_tbENKUlT_T0_E_clISt17integral_constantIbLb0EES11_EEDaSW_SX_EUlSW_E_NS1_11comp_targetILNS1_3genE5ELNS1_11target_archE942ELNS1_3gpuE9ELNS1_3repE0EEENS1_30default_config_static_selectorELNS0_4arch9wavefront6targetE0EEEvT1_,@function
_ZN7rocprim17ROCPRIM_400000_NS6detail17trampoline_kernelINS0_14default_configENS1_29reduce_by_key_config_selectorIiiN6thrust23THRUST_200600_302600_NS4plusIiEEEEZZNS1_33reduce_by_key_impl_wrapped_configILNS1_25lookback_scan_determinismE0ES3_S9_NS6_6detail15normal_iteratorINS6_10device_ptrIiEEEESG_SG_SG_PmS8_NS6_8equal_toIiEEEE10hipError_tPvRmT2_T3_mT4_T5_T6_T7_T8_P12ihipStream_tbENKUlT_T0_E_clISt17integral_constantIbLb0EES11_EEDaSW_SX_EUlSW_E_NS1_11comp_targetILNS1_3genE5ELNS1_11target_archE942ELNS1_3gpuE9ELNS1_3repE0EEENS1_30default_config_static_selectorELNS0_4arch9wavefront6targetE0EEEvT1_: ; @_ZN7rocprim17ROCPRIM_400000_NS6detail17trampoline_kernelINS0_14default_configENS1_29reduce_by_key_config_selectorIiiN6thrust23THRUST_200600_302600_NS4plusIiEEEEZZNS1_33reduce_by_key_impl_wrapped_configILNS1_25lookback_scan_determinismE0ES3_S9_NS6_6detail15normal_iteratorINS6_10device_ptrIiEEEESG_SG_SG_PmS8_NS6_8equal_toIiEEEE10hipError_tPvRmT2_T3_mT4_T5_T6_T7_T8_P12ihipStream_tbENKUlT_T0_E_clISt17integral_constantIbLb0EES11_EEDaSW_SX_EUlSW_E_NS1_11comp_targetILNS1_3genE5ELNS1_11target_archE942ELNS1_3gpuE9ELNS1_3repE0EEENS1_30default_config_static_selectorELNS0_4arch9wavefront6targetE0EEEvT1_
; %bb.0:
	.section	.rodata,"a",@progbits
	.p2align	6, 0x0
	.amdhsa_kernel _ZN7rocprim17ROCPRIM_400000_NS6detail17trampoline_kernelINS0_14default_configENS1_29reduce_by_key_config_selectorIiiN6thrust23THRUST_200600_302600_NS4plusIiEEEEZZNS1_33reduce_by_key_impl_wrapped_configILNS1_25lookback_scan_determinismE0ES3_S9_NS6_6detail15normal_iteratorINS6_10device_ptrIiEEEESG_SG_SG_PmS8_NS6_8equal_toIiEEEE10hipError_tPvRmT2_T3_mT4_T5_T6_T7_T8_P12ihipStream_tbENKUlT_T0_E_clISt17integral_constantIbLb0EES11_EEDaSW_SX_EUlSW_E_NS1_11comp_targetILNS1_3genE5ELNS1_11target_archE942ELNS1_3gpuE9ELNS1_3repE0EEENS1_30default_config_static_selectorELNS0_4arch9wavefront6targetE0EEEvT1_
		.amdhsa_group_segment_fixed_size 0
		.amdhsa_private_segment_fixed_size 0
		.amdhsa_kernarg_size 120
		.amdhsa_user_sgpr_count 15
		.amdhsa_user_sgpr_dispatch_ptr 0
		.amdhsa_user_sgpr_queue_ptr 0
		.amdhsa_user_sgpr_kernarg_segment_ptr 1
		.amdhsa_user_sgpr_dispatch_id 0
		.amdhsa_user_sgpr_private_segment_size 0
		.amdhsa_wavefront_size32 1
		.amdhsa_uses_dynamic_stack 0
		.amdhsa_enable_private_segment 0
		.amdhsa_system_sgpr_workgroup_id_x 1
		.amdhsa_system_sgpr_workgroup_id_y 0
		.amdhsa_system_sgpr_workgroup_id_z 0
		.amdhsa_system_sgpr_workgroup_info 0
		.amdhsa_system_vgpr_workitem_id 0
		.amdhsa_next_free_vgpr 1
		.amdhsa_next_free_sgpr 1
		.amdhsa_reserve_vcc 0
		.amdhsa_float_round_mode_32 0
		.amdhsa_float_round_mode_16_64 0
		.amdhsa_float_denorm_mode_32 3
		.amdhsa_float_denorm_mode_16_64 3
		.amdhsa_dx10_clamp 1
		.amdhsa_ieee_mode 1
		.amdhsa_fp16_overflow 0
		.amdhsa_workgroup_processor_mode 1
		.amdhsa_memory_ordered 1
		.amdhsa_forward_progress 0
		.amdhsa_shared_vgpr_count 0
		.amdhsa_exception_fp_ieee_invalid_op 0
		.amdhsa_exception_fp_denorm_src 0
		.amdhsa_exception_fp_ieee_div_zero 0
		.amdhsa_exception_fp_ieee_overflow 0
		.amdhsa_exception_fp_ieee_underflow 0
		.amdhsa_exception_fp_ieee_inexact 0
		.amdhsa_exception_int_div_zero 0
	.end_amdhsa_kernel
	.section	.text._ZN7rocprim17ROCPRIM_400000_NS6detail17trampoline_kernelINS0_14default_configENS1_29reduce_by_key_config_selectorIiiN6thrust23THRUST_200600_302600_NS4plusIiEEEEZZNS1_33reduce_by_key_impl_wrapped_configILNS1_25lookback_scan_determinismE0ES3_S9_NS6_6detail15normal_iteratorINS6_10device_ptrIiEEEESG_SG_SG_PmS8_NS6_8equal_toIiEEEE10hipError_tPvRmT2_T3_mT4_T5_T6_T7_T8_P12ihipStream_tbENKUlT_T0_E_clISt17integral_constantIbLb0EES11_EEDaSW_SX_EUlSW_E_NS1_11comp_targetILNS1_3genE5ELNS1_11target_archE942ELNS1_3gpuE9ELNS1_3repE0EEENS1_30default_config_static_selectorELNS0_4arch9wavefront6targetE0EEEvT1_,"axG",@progbits,_ZN7rocprim17ROCPRIM_400000_NS6detail17trampoline_kernelINS0_14default_configENS1_29reduce_by_key_config_selectorIiiN6thrust23THRUST_200600_302600_NS4plusIiEEEEZZNS1_33reduce_by_key_impl_wrapped_configILNS1_25lookback_scan_determinismE0ES3_S9_NS6_6detail15normal_iteratorINS6_10device_ptrIiEEEESG_SG_SG_PmS8_NS6_8equal_toIiEEEE10hipError_tPvRmT2_T3_mT4_T5_T6_T7_T8_P12ihipStream_tbENKUlT_T0_E_clISt17integral_constantIbLb0EES11_EEDaSW_SX_EUlSW_E_NS1_11comp_targetILNS1_3genE5ELNS1_11target_archE942ELNS1_3gpuE9ELNS1_3repE0EEENS1_30default_config_static_selectorELNS0_4arch9wavefront6targetE0EEEvT1_,comdat
.Lfunc_end546:
	.size	_ZN7rocprim17ROCPRIM_400000_NS6detail17trampoline_kernelINS0_14default_configENS1_29reduce_by_key_config_selectorIiiN6thrust23THRUST_200600_302600_NS4plusIiEEEEZZNS1_33reduce_by_key_impl_wrapped_configILNS1_25lookback_scan_determinismE0ES3_S9_NS6_6detail15normal_iteratorINS6_10device_ptrIiEEEESG_SG_SG_PmS8_NS6_8equal_toIiEEEE10hipError_tPvRmT2_T3_mT4_T5_T6_T7_T8_P12ihipStream_tbENKUlT_T0_E_clISt17integral_constantIbLb0EES11_EEDaSW_SX_EUlSW_E_NS1_11comp_targetILNS1_3genE5ELNS1_11target_archE942ELNS1_3gpuE9ELNS1_3repE0EEENS1_30default_config_static_selectorELNS0_4arch9wavefront6targetE0EEEvT1_, .Lfunc_end546-_ZN7rocprim17ROCPRIM_400000_NS6detail17trampoline_kernelINS0_14default_configENS1_29reduce_by_key_config_selectorIiiN6thrust23THRUST_200600_302600_NS4plusIiEEEEZZNS1_33reduce_by_key_impl_wrapped_configILNS1_25lookback_scan_determinismE0ES3_S9_NS6_6detail15normal_iteratorINS6_10device_ptrIiEEEESG_SG_SG_PmS8_NS6_8equal_toIiEEEE10hipError_tPvRmT2_T3_mT4_T5_T6_T7_T8_P12ihipStream_tbENKUlT_T0_E_clISt17integral_constantIbLb0EES11_EEDaSW_SX_EUlSW_E_NS1_11comp_targetILNS1_3genE5ELNS1_11target_archE942ELNS1_3gpuE9ELNS1_3repE0EEENS1_30default_config_static_selectorELNS0_4arch9wavefront6targetE0EEEvT1_
                                        ; -- End function
	.section	.AMDGPU.csdata,"",@progbits
; Kernel info:
; codeLenInByte = 0
; NumSgprs: 0
; NumVgprs: 0
; ScratchSize: 0
; MemoryBound: 0
; FloatMode: 240
; IeeeMode: 1
; LDSByteSize: 0 bytes/workgroup (compile time only)
; SGPRBlocks: 0
; VGPRBlocks: 0
; NumSGPRsForWavesPerEU: 1
; NumVGPRsForWavesPerEU: 1
; Occupancy: 16
; WaveLimiterHint : 0
; COMPUTE_PGM_RSRC2:SCRATCH_EN: 0
; COMPUTE_PGM_RSRC2:USER_SGPR: 15
; COMPUTE_PGM_RSRC2:TRAP_HANDLER: 0
; COMPUTE_PGM_RSRC2:TGID_X_EN: 1
; COMPUTE_PGM_RSRC2:TGID_Y_EN: 0
; COMPUTE_PGM_RSRC2:TGID_Z_EN: 0
; COMPUTE_PGM_RSRC2:TIDIG_COMP_CNT: 0
	.section	.text._ZN7rocprim17ROCPRIM_400000_NS6detail17trampoline_kernelINS0_14default_configENS1_29reduce_by_key_config_selectorIiiN6thrust23THRUST_200600_302600_NS4plusIiEEEEZZNS1_33reduce_by_key_impl_wrapped_configILNS1_25lookback_scan_determinismE0ES3_S9_NS6_6detail15normal_iteratorINS6_10device_ptrIiEEEESG_SG_SG_PmS8_NS6_8equal_toIiEEEE10hipError_tPvRmT2_T3_mT4_T5_T6_T7_T8_P12ihipStream_tbENKUlT_T0_E_clISt17integral_constantIbLb0EES11_EEDaSW_SX_EUlSW_E_NS1_11comp_targetILNS1_3genE4ELNS1_11target_archE910ELNS1_3gpuE8ELNS1_3repE0EEENS1_30default_config_static_selectorELNS0_4arch9wavefront6targetE0EEEvT1_,"axG",@progbits,_ZN7rocprim17ROCPRIM_400000_NS6detail17trampoline_kernelINS0_14default_configENS1_29reduce_by_key_config_selectorIiiN6thrust23THRUST_200600_302600_NS4plusIiEEEEZZNS1_33reduce_by_key_impl_wrapped_configILNS1_25lookback_scan_determinismE0ES3_S9_NS6_6detail15normal_iteratorINS6_10device_ptrIiEEEESG_SG_SG_PmS8_NS6_8equal_toIiEEEE10hipError_tPvRmT2_T3_mT4_T5_T6_T7_T8_P12ihipStream_tbENKUlT_T0_E_clISt17integral_constantIbLb0EES11_EEDaSW_SX_EUlSW_E_NS1_11comp_targetILNS1_3genE4ELNS1_11target_archE910ELNS1_3gpuE8ELNS1_3repE0EEENS1_30default_config_static_selectorELNS0_4arch9wavefront6targetE0EEEvT1_,comdat
	.protected	_ZN7rocprim17ROCPRIM_400000_NS6detail17trampoline_kernelINS0_14default_configENS1_29reduce_by_key_config_selectorIiiN6thrust23THRUST_200600_302600_NS4plusIiEEEEZZNS1_33reduce_by_key_impl_wrapped_configILNS1_25lookback_scan_determinismE0ES3_S9_NS6_6detail15normal_iteratorINS6_10device_ptrIiEEEESG_SG_SG_PmS8_NS6_8equal_toIiEEEE10hipError_tPvRmT2_T3_mT4_T5_T6_T7_T8_P12ihipStream_tbENKUlT_T0_E_clISt17integral_constantIbLb0EES11_EEDaSW_SX_EUlSW_E_NS1_11comp_targetILNS1_3genE4ELNS1_11target_archE910ELNS1_3gpuE8ELNS1_3repE0EEENS1_30default_config_static_selectorELNS0_4arch9wavefront6targetE0EEEvT1_ ; -- Begin function _ZN7rocprim17ROCPRIM_400000_NS6detail17trampoline_kernelINS0_14default_configENS1_29reduce_by_key_config_selectorIiiN6thrust23THRUST_200600_302600_NS4plusIiEEEEZZNS1_33reduce_by_key_impl_wrapped_configILNS1_25lookback_scan_determinismE0ES3_S9_NS6_6detail15normal_iteratorINS6_10device_ptrIiEEEESG_SG_SG_PmS8_NS6_8equal_toIiEEEE10hipError_tPvRmT2_T3_mT4_T5_T6_T7_T8_P12ihipStream_tbENKUlT_T0_E_clISt17integral_constantIbLb0EES11_EEDaSW_SX_EUlSW_E_NS1_11comp_targetILNS1_3genE4ELNS1_11target_archE910ELNS1_3gpuE8ELNS1_3repE0EEENS1_30default_config_static_selectorELNS0_4arch9wavefront6targetE0EEEvT1_
	.globl	_ZN7rocprim17ROCPRIM_400000_NS6detail17trampoline_kernelINS0_14default_configENS1_29reduce_by_key_config_selectorIiiN6thrust23THRUST_200600_302600_NS4plusIiEEEEZZNS1_33reduce_by_key_impl_wrapped_configILNS1_25lookback_scan_determinismE0ES3_S9_NS6_6detail15normal_iteratorINS6_10device_ptrIiEEEESG_SG_SG_PmS8_NS6_8equal_toIiEEEE10hipError_tPvRmT2_T3_mT4_T5_T6_T7_T8_P12ihipStream_tbENKUlT_T0_E_clISt17integral_constantIbLb0EES11_EEDaSW_SX_EUlSW_E_NS1_11comp_targetILNS1_3genE4ELNS1_11target_archE910ELNS1_3gpuE8ELNS1_3repE0EEENS1_30default_config_static_selectorELNS0_4arch9wavefront6targetE0EEEvT1_
	.p2align	8
	.type	_ZN7rocprim17ROCPRIM_400000_NS6detail17trampoline_kernelINS0_14default_configENS1_29reduce_by_key_config_selectorIiiN6thrust23THRUST_200600_302600_NS4plusIiEEEEZZNS1_33reduce_by_key_impl_wrapped_configILNS1_25lookback_scan_determinismE0ES3_S9_NS6_6detail15normal_iteratorINS6_10device_ptrIiEEEESG_SG_SG_PmS8_NS6_8equal_toIiEEEE10hipError_tPvRmT2_T3_mT4_T5_T6_T7_T8_P12ihipStream_tbENKUlT_T0_E_clISt17integral_constantIbLb0EES11_EEDaSW_SX_EUlSW_E_NS1_11comp_targetILNS1_3genE4ELNS1_11target_archE910ELNS1_3gpuE8ELNS1_3repE0EEENS1_30default_config_static_selectorELNS0_4arch9wavefront6targetE0EEEvT1_,@function
_ZN7rocprim17ROCPRIM_400000_NS6detail17trampoline_kernelINS0_14default_configENS1_29reduce_by_key_config_selectorIiiN6thrust23THRUST_200600_302600_NS4plusIiEEEEZZNS1_33reduce_by_key_impl_wrapped_configILNS1_25lookback_scan_determinismE0ES3_S9_NS6_6detail15normal_iteratorINS6_10device_ptrIiEEEESG_SG_SG_PmS8_NS6_8equal_toIiEEEE10hipError_tPvRmT2_T3_mT4_T5_T6_T7_T8_P12ihipStream_tbENKUlT_T0_E_clISt17integral_constantIbLb0EES11_EEDaSW_SX_EUlSW_E_NS1_11comp_targetILNS1_3genE4ELNS1_11target_archE910ELNS1_3gpuE8ELNS1_3repE0EEENS1_30default_config_static_selectorELNS0_4arch9wavefront6targetE0EEEvT1_: ; @_ZN7rocprim17ROCPRIM_400000_NS6detail17trampoline_kernelINS0_14default_configENS1_29reduce_by_key_config_selectorIiiN6thrust23THRUST_200600_302600_NS4plusIiEEEEZZNS1_33reduce_by_key_impl_wrapped_configILNS1_25lookback_scan_determinismE0ES3_S9_NS6_6detail15normal_iteratorINS6_10device_ptrIiEEEESG_SG_SG_PmS8_NS6_8equal_toIiEEEE10hipError_tPvRmT2_T3_mT4_T5_T6_T7_T8_P12ihipStream_tbENKUlT_T0_E_clISt17integral_constantIbLb0EES11_EEDaSW_SX_EUlSW_E_NS1_11comp_targetILNS1_3genE4ELNS1_11target_archE910ELNS1_3gpuE8ELNS1_3repE0EEENS1_30default_config_static_selectorELNS0_4arch9wavefront6targetE0EEEvT1_
; %bb.0:
	.section	.rodata,"a",@progbits
	.p2align	6, 0x0
	.amdhsa_kernel _ZN7rocprim17ROCPRIM_400000_NS6detail17trampoline_kernelINS0_14default_configENS1_29reduce_by_key_config_selectorIiiN6thrust23THRUST_200600_302600_NS4plusIiEEEEZZNS1_33reduce_by_key_impl_wrapped_configILNS1_25lookback_scan_determinismE0ES3_S9_NS6_6detail15normal_iteratorINS6_10device_ptrIiEEEESG_SG_SG_PmS8_NS6_8equal_toIiEEEE10hipError_tPvRmT2_T3_mT4_T5_T6_T7_T8_P12ihipStream_tbENKUlT_T0_E_clISt17integral_constantIbLb0EES11_EEDaSW_SX_EUlSW_E_NS1_11comp_targetILNS1_3genE4ELNS1_11target_archE910ELNS1_3gpuE8ELNS1_3repE0EEENS1_30default_config_static_selectorELNS0_4arch9wavefront6targetE0EEEvT1_
		.amdhsa_group_segment_fixed_size 0
		.amdhsa_private_segment_fixed_size 0
		.amdhsa_kernarg_size 120
		.amdhsa_user_sgpr_count 15
		.amdhsa_user_sgpr_dispatch_ptr 0
		.amdhsa_user_sgpr_queue_ptr 0
		.amdhsa_user_sgpr_kernarg_segment_ptr 1
		.amdhsa_user_sgpr_dispatch_id 0
		.amdhsa_user_sgpr_private_segment_size 0
		.amdhsa_wavefront_size32 1
		.amdhsa_uses_dynamic_stack 0
		.amdhsa_enable_private_segment 0
		.amdhsa_system_sgpr_workgroup_id_x 1
		.amdhsa_system_sgpr_workgroup_id_y 0
		.amdhsa_system_sgpr_workgroup_id_z 0
		.amdhsa_system_sgpr_workgroup_info 0
		.amdhsa_system_vgpr_workitem_id 0
		.amdhsa_next_free_vgpr 1
		.amdhsa_next_free_sgpr 1
		.amdhsa_reserve_vcc 0
		.amdhsa_float_round_mode_32 0
		.amdhsa_float_round_mode_16_64 0
		.amdhsa_float_denorm_mode_32 3
		.amdhsa_float_denorm_mode_16_64 3
		.amdhsa_dx10_clamp 1
		.amdhsa_ieee_mode 1
		.amdhsa_fp16_overflow 0
		.amdhsa_workgroup_processor_mode 1
		.amdhsa_memory_ordered 1
		.amdhsa_forward_progress 0
		.amdhsa_shared_vgpr_count 0
		.amdhsa_exception_fp_ieee_invalid_op 0
		.amdhsa_exception_fp_denorm_src 0
		.amdhsa_exception_fp_ieee_div_zero 0
		.amdhsa_exception_fp_ieee_overflow 0
		.amdhsa_exception_fp_ieee_underflow 0
		.amdhsa_exception_fp_ieee_inexact 0
		.amdhsa_exception_int_div_zero 0
	.end_amdhsa_kernel
	.section	.text._ZN7rocprim17ROCPRIM_400000_NS6detail17trampoline_kernelINS0_14default_configENS1_29reduce_by_key_config_selectorIiiN6thrust23THRUST_200600_302600_NS4plusIiEEEEZZNS1_33reduce_by_key_impl_wrapped_configILNS1_25lookback_scan_determinismE0ES3_S9_NS6_6detail15normal_iteratorINS6_10device_ptrIiEEEESG_SG_SG_PmS8_NS6_8equal_toIiEEEE10hipError_tPvRmT2_T3_mT4_T5_T6_T7_T8_P12ihipStream_tbENKUlT_T0_E_clISt17integral_constantIbLb0EES11_EEDaSW_SX_EUlSW_E_NS1_11comp_targetILNS1_3genE4ELNS1_11target_archE910ELNS1_3gpuE8ELNS1_3repE0EEENS1_30default_config_static_selectorELNS0_4arch9wavefront6targetE0EEEvT1_,"axG",@progbits,_ZN7rocprim17ROCPRIM_400000_NS6detail17trampoline_kernelINS0_14default_configENS1_29reduce_by_key_config_selectorIiiN6thrust23THRUST_200600_302600_NS4plusIiEEEEZZNS1_33reduce_by_key_impl_wrapped_configILNS1_25lookback_scan_determinismE0ES3_S9_NS6_6detail15normal_iteratorINS6_10device_ptrIiEEEESG_SG_SG_PmS8_NS6_8equal_toIiEEEE10hipError_tPvRmT2_T3_mT4_T5_T6_T7_T8_P12ihipStream_tbENKUlT_T0_E_clISt17integral_constantIbLb0EES11_EEDaSW_SX_EUlSW_E_NS1_11comp_targetILNS1_3genE4ELNS1_11target_archE910ELNS1_3gpuE8ELNS1_3repE0EEENS1_30default_config_static_selectorELNS0_4arch9wavefront6targetE0EEEvT1_,comdat
.Lfunc_end547:
	.size	_ZN7rocprim17ROCPRIM_400000_NS6detail17trampoline_kernelINS0_14default_configENS1_29reduce_by_key_config_selectorIiiN6thrust23THRUST_200600_302600_NS4plusIiEEEEZZNS1_33reduce_by_key_impl_wrapped_configILNS1_25lookback_scan_determinismE0ES3_S9_NS6_6detail15normal_iteratorINS6_10device_ptrIiEEEESG_SG_SG_PmS8_NS6_8equal_toIiEEEE10hipError_tPvRmT2_T3_mT4_T5_T6_T7_T8_P12ihipStream_tbENKUlT_T0_E_clISt17integral_constantIbLb0EES11_EEDaSW_SX_EUlSW_E_NS1_11comp_targetILNS1_3genE4ELNS1_11target_archE910ELNS1_3gpuE8ELNS1_3repE0EEENS1_30default_config_static_selectorELNS0_4arch9wavefront6targetE0EEEvT1_, .Lfunc_end547-_ZN7rocprim17ROCPRIM_400000_NS6detail17trampoline_kernelINS0_14default_configENS1_29reduce_by_key_config_selectorIiiN6thrust23THRUST_200600_302600_NS4plusIiEEEEZZNS1_33reduce_by_key_impl_wrapped_configILNS1_25lookback_scan_determinismE0ES3_S9_NS6_6detail15normal_iteratorINS6_10device_ptrIiEEEESG_SG_SG_PmS8_NS6_8equal_toIiEEEE10hipError_tPvRmT2_T3_mT4_T5_T6_T7_T8_P12ihipStream_tbENKUlT_T0_E_clISt17integral_constantIbLb0EES11_EEDaSW_SX_EUlSW_E_NS1_11comp_targetILNS1_3genE4ELNS1_11target_archE910ELNS1_3gpuE8ELNS1_3repE0EEENS1_30default_config_static_selectorELNS0_4arch9wavefront6targetE0EEEvT1_
                                        ; -- End function
	.section	.AMDGPU.csdata,"",@progbits
; Kernel info:
; codeLenInByte = 0
; NumSgprs: 0
; NumVgprs: 0
; ScratchSize: 0
; MemoryBound: 0
; FloatMode: 240
; IeeeMode: 1
; LDSByteSize: 0 bytes/workgroup (compile time only)
; SGPRBlocks: 0
; VGPRBlocks: 0
; NumSGPRsForWavesPerEU: 1
; NumVGPRsForWavesPerEU: 1
; Occupancy: 16
; WaveLimiterHint : 0
; COMPUTE_PGM_RSRC2:SCRATCH_EN: 0
; COMPUTE_PGM_RSRC2:USER_SGPR: 15
; COMPUTE_PGM_RSRC2:TRAP_HANDLER: 0
; COMPUTE_PGM_RSRC2:TGID_X_EN: 1
; COMPUTE_PGM_RSRC2:TGID_Y_EN: 0
; COMPUTE_PGM_RSRC2:TGID_Z_EN: 0
; COMPUTE_PGM_RSRC2:TIDIG_COMP_CNT: 0
	.section	.text._ZN7rocprim17ROCPRIM_400000_NS6detail17trampoline_kernelINS0_14default_configENS1_29reduce_by_key_config_selectorIiiN6thrust23THRUST_200600_302600_NS4plusIiEEEEZZNS1_33reduce_by_key_impl_wrapped_configILNS1_25lookback_scan_determinismE0ES3_S9_NS6_6detail15normal_iteratorINS6_10device_ptrIiEEEESG_SG_SG_PmS8_NS6_8equal_toIiEEEE10hipError_tPvRmT2_T3_mT4_T5_T6_T7_T8_P12ihipStream_tbENKUlT_T0_E_clISt17integral_constantIbLb0EES11_EEDaSW_SX_EUlSW_E_NS1_11comp_targetILNS1_3genE3ELNS1_11target_archE908ELNS1_3gpuE7ELNS1_3repE0EEENS1_30default_config_static_selectorELNS0_4arch9wavefront6targetE0EEEvT1_,"axG",@progbits,_ZN7rocprim17ROCPRIM_400000_NS6detail17trampoline_kernelINS0_14default_configENS1_29reduce_by_key_config_selectorIiiN6thrust23THRUST_200600_302600_NS4plusIiEEEEZZNS1_33reduce_by_key_impl_wrapped_configILNS1_25lookback_scan_determinismE0ES3_S9_NS6_6detail15normal_iteratorINS6_10device_ptrIiEEEESG_SG_SG_PmS8_NS6_8equal_toIiEEEE10hipError_tPvRmT2_T3_mT4_T5_T6_T7_T8_P12ihipStream_tbENKUlT_T0_E_clISt17integral_constantIbLb0EES11_EEDaSW_SX_EUlSW_E_NS1_11comp_targetILNS1_3genE3ELNS1_11target_archE908ELNS1_3gpuE7ELNS1_3repE0EEENS1_30default_config_static_selectorELNS0_4arch9wavefront6targetE0EEEvT1_,comdat
	.protected	_ZN7rocprim17ROCPRIM_400000_NS6detail17trampoline_kernelINS0_14default_configENS1_29reduce_by_key_config_selectorIiiN6thrust23THRUST_200600_302600_NS4plusIiEEEEZZNS1_33reduce_by_key_impl_wrapped_configILNS1_25lookback_scan_determinismE0ES3_S9_NS6_6detail15normal_iteratorINS6_10device_ptrIiEEEESG_SG_SG_PmS8_NS6_8equal_toIiEEEE10hipError_tPvRmT2_T3_mT4_T5_T6_T7_T8_P12ihipStream_tbENKUlT_T0_E_clISt17integral_constantIbLb0EES11_EEDaSW_SX_EUlSW_E_NS1_11comp_targetILNS1_3genE3ELNS1_11target_archE908ELNS1_3gpuE7ELNS1_3repE0EEENS1_30default_config_static_selectorELNS0_4arch9wavefront6targetE0EEEvT1_ ; -- Begin function _ZN7rocprim17ROCPRIM_400000_NS6detail17trampoline_kernelINS0_14default_configENS1_29reduce_by_key_config_selectorIiiN6thrust23THRUST_200600_302600_NS4plusIiEEEEZZNS1_33reduce_by_key_impl_wrapped_configILNS1_25lookback_scan_determinismE0ES3_S9_NS6_6detail15normal_iteratorINS6_10device_ptrIiEEEESG_SG_SG_PmS8_NS6_8equal_toIiEEEE10hipError_tPvRmT2_T3_mT4_T5_T6_T7_T8_P12ihipStream_tbENKUlT_T0_E_clISt17integral_constantIbLb0EES11_EEDaSW_SX_EUlSW_E_NS1_11comp_targetILNS1_3genE3ELNS1_11target_archE908ELNS1_3gpuE7ELNS1_3repE0EEENS1_30default_config_static_selectorELNS0_4arch9wavefront6targetE0EEEvT1_
	.globl	_ZN7rocprim17ROCPRIM_400000_NS6detail17trampoline_kernelINS0_14default_configENS1_29reduce_by_key_config_selectorIiiN6thrust23THRUST_200600_302600_NS4plusIiEEEEZZNS1_33reduce_by_key_impl_wrapped_configILNS1_25lookback_scan_determinismE0ES3_S9_NS6_6detail15normal_iteratorINS6_10device_ptrIiEEEESG_SG_SG_PmS8_NS6_8equal_toIiEEEE10hipError_tPvRmT2_T3_mT4_T5_T6_T7_T8_P12ihipStream_tbENKUlT_T0_E_clISt17integral_constantIbLb0EES11_EEDaSW_SX_EUlSW_E_NS1_11comp_targetILNS1_3genE3ELNS1_11target_archE908ELNS1_3gpuE7ELNS1_3repE0EEENS1_30default_config_static_selectorELNS0_4arch9wavefront6targetE0EEEvT1_
	.p2align	8
	.type	_ZN7rocprim17ROCPRIM_400000_NS6detail17trampoline_kernelINS0_14default_configENS1_29reduce_by_key_config_selectorIiiN6thrust23THRUST_200600_302600_NS4plusIiEEEEZZNS1_33reduce_by_key_impl_wrapped_configILNS1_25lookback_scan_determinismE0ES3_S9_NS6_6detail15normal_iteratorINS6_10device_ptrIiEEEESG_SG_SG_PmS8_NS6_8equal_toIiEEEE10hipError_tPvRmT2_T3_mT4_T5_T6_T7_T8_P12ihipStream_tbENKUlT_T0_E_clISt17integral_constantIbLb0EES11_EEDaSW_SX_EUlSW_E_NS1_11comp_targetILNS1_3genE3ELNS1_11target_archE908ELNS1_3gpuE7ELNS1_3repE0EEENS1_30default_config_static_selectorELNS0_4arch9wavefront6targetE0EEEvT1_,@function
_ZN7rocprim17ROCPRIM_400000_NS6detail17trampoline_kernelINS0_14default_configENS1_29reduce_by_key_config_selectorIiiN6thrust23THRUST_200600_302600_NS4plusIiEEEEZZNS1_33reduce_by_key_impl_wrapped_configILNS1_25lookback_scan_determinismE0ES3_S9_NS6_6detail15normal_iteratorINS6_10device_ptrIiEEEESG_SG_SG_PmS8_NS6_8equal_toIiEEEE10hipError_tPvRmT2_T3_mT4_T5_T6_T7_T8_P12ihipStream_tbENKUlT_T0_E_clISt17integral_constantIbLb0EES11_EEDaSW_SX_EUlSW_E_NS1_11comp_targetILNS1_3genE3ELNS1_11target_archE908ELNS1_3gpuE7ELNS1_3repE0EEENS1_30default_config_static_selectorELNS0_4arch9wavefront6targetE0EEEvT1_: ; @_ZN7rocprim17ROCPRIM_400000_NS6detail17trampoline_kernelINS0_14default_configENS1_29reduce_by_key_config_selectorIiiN6thrust23THRUST_200600_302600_NS4plusIiEEEEZZNS1_33reduce_by_key_impl_wrapped_configILNS1_25lookback_scan_determinismE0ES3_S9_NS6_6detail15normal_iteratorINS6_10device_ptrIiEEEESG_SG_SG_PmS8_NS6_8equal_toIiEEEE10hipError_tPvRmT2_T3_mT4_T5_T6_T7_T8_P12ihipStream_tbENKUlT_T0_E_clISt17integral_constantIbLb0EES11_EEDaSW_SX_EUlSW_E_NS1_11comp_targetILNS1_3genE3ELNS1_11target_archE908ELNS1_3gpuE7ELNS1_3repE0EEENS1_30default_config_static_selectorELNS0_4arch9wavefront6targetE0EEEvT1_
; %bb.0:
	.section	.rodata,"a",@progbits
	.p2align	6, 0x0
	.amdhsa_kernel _ZN7rocprim17ROCPRIM_400000_NS6detail17trampoline_kernelINS0_14default_configENS1_29reduce_by_key_config_selectorIiiN6thrust23THRUST_200600_302600_NS4plusIiEEEEZZNS1_33reduce_by_key_impl_wrapped_configILNS1_25lookback_scan_determinismE0ES3_S9_NS6_6detail15normal_iteratorINS6_10device_ptrIiEEEESG_SG_SG_PmS8_NS6_8equal_toIiEEEE10hipError_tPvRmT2_T3_mT4_T5_T6_T7_T8_P12ihipStream_tbENKUlT_T0_E_clISt17integral_constantIbLb0EES11_EEDaSW_SX_EUlSW_E_NS1_11comp_targetILNS1_3genE3ELNS1_11target_archE908ELNS1_3gpuE7ELNS1_3repE0EEENS1_30default_config_static_selectorELNS0_4arch9wavefront6targetE0EEEvT1_
		.amdhsa_group_segment_fixed_size 0
		.amdhsa_private_segment_fixed_size 0
		.amdhsa_kernarg_size 120
		.amdhsa_user_sgpr_count 15
		.amdhsa_user_sgpr_dispatch_ptr 0
		.amdhsa_user_sgpr_queue_ptr 0
		.amdhsa_user_sgpr_kernarg_segment_ptr 1
		.amdhsa_user_sgpr_dispatch_id 0
		.amdhsa_user_sgpr_private_segment_size 0
		.amdhsa_wavefront_size32 1
		.amdhsa_uses_dynamic_stack 0
		.amdhsa_enable_private_segment 0
		.amdhsa_system_sgpr_workgroup_id_x 1
		.amdhsa_system_sgpr_workgroup_id_y 0
		.amdhsa_system_sgpr_workgroup_id_z 0
		.amdhsa_system_sgpr_workgroup_info 0
		.amdhsa_system_vgpr_workitem_id 0
		.amdhsa_next_free_vgpr 1
		.amdhsa_next_free_sgpr 1
		.amdhsa_reserve_vcc 0
		.amdhsa_float_round_mode_32 0
		.amdhsa_float_round_mode_16_64 0
		.amdhsa_float_denorm_mode_32 3
		.amdhsa_float_denorm_mode_16_64 3
		.amdhsa_dx10_clamp 1
		.amdhsa_ieee_mode 1
		.amdhsa_fp16_overflow 0
		.amdhsa_workgroup_processor_mode 1
		.amdhsa_memory_ordered 1
		.amdhsa_forward_progress 0
		.amdhsa_shared_vgpr_count 0
		.amdhsa_exception_fp_ieee_invalid_op 0
		.amdhsa_exception_fp_denorm_src 0
		.amdhsa_exception_fp_ieee_div_zero 0
		.amdhsa_exception_fp_ieee_overflow 0
		.amdhsa_exception_fp_ieee_underflow 0
		.amdhsa_exception_fp_ieee_inexact 0
		.amdhsa_exception_int_div_zero 0
	.end_amdhsa_kernel
	.section	.text._ZN7rocprim17ROCPRIM_400000_NS6detail17trampoline_kernelINS0_14default_configENS1_29reduce_by_key_config_selectorIiiN6thrust23THRUST_200600_302600_NS4plusIiEEEEZZNS1_33reduce_by_key_impl_wrapped_configILNS1_25lookback_scan_determinismE0ES3_S9_NS6_6detail15normal_iteratorINS6_10device_ptrIiEEEESG_SG_SG_PmS8_NS6_8equal_toIiEEEE10hipError_tPvRmT2_T3_mT4_T5_T6_T7_T8_P12ihipStream_tbENKUlT_T0_E_clISt17integral_constantIbLb0EES11_EEDaSW_SX_EUlSW_E_NS1_11comp_targetILNS1_3genE3ELNS1_11target_archE908ELNS1_3gpuE7ELNS1_3repE0EEENS1_30default_config_static_selectorELNS0_4arch9wavefront6targetE0EEEvT1_,"axG",@progbits,_ZN7rocprim17ROCPRIM_400000_NS6detail17trampoline_kernelINS0_14default_configENS1_29reduce_by_key_config_selectorIiiN6thrust23THRUST_200600_302600_NS4plusIiEEEEZZNS1_33reduce_by_key_impl_wrapped_configILNS1_25lookback_scan_determinismE0ES3_S9_NS6_6detail15normal_iteratorINS6_10device_ptrIiEEEESG_SG_SG_PmS8_NS6_8equal_toIiEEEE10hipError_tPvRmT2_T3_mT4_T5_T6_T7_T8_P12ihipStream_tbENKUlT_T0_E_clISt17integral_constantIbLb0EES11_EEDaSW_SX_EUlSW_E_NS1_11comp_targetILNS1_3genE3ELNS1_11target_archE908ELNS1_3gpuE7ELNS1_3repE0EEENS1_30default_config_static_selectorELNS0_4arch9wavefront6targetE0EEEvT1_,comdat
.Lfunc_end548:
	.size	_ZN7rocprim17ROCPRIM_400000_NS6detail17trampoline_kernelINS0_14default_configENS1_29reduce_by_key_config_selectorIiiN6thrust23THRUST_200600_302600_NS4plusIiEEEEZZNS1_33reduce_by_key_impl_wrapped_configILNS1_25lookback_scan_determinismE0ES3_S9_NS6_6detail15normal_iteratorINS6_10device_ptrIiEEEESG_SG_SG_PmS8_NS6_8equal_toIiEEEE10hipError_tPvRmT2_T3_mT4_T5_T6_T7_T8_P12ihipStream_tbENKUlT_T0_E_clISt17integral_constantIbLb0EES11_EEDaSW_SX_EUlSW_E_NS1_11comp_targetILNS1_3genE3ELNS1_11target_archE908ELNS1_3gpuE7ELNS1_3repE0EEENS1_30default_config_static_selectorELNS0_4arch9wavefront6targetE0EEEvT1_, .Lfunc_end548-_ZN7rocprim17ROCPRIM_400000_NS6detail17trampoline_kernelINS0_14default_configENS1_29reduce_by_key_config_selectorIiiN6thrust23THRUST_200600_302600_NS4plusIiEEEEZZNS1_33reduce_by_key_impl_wrapped_configILNS1_25lookback_scan_determinismE0ES3_S9_NS6_6detail15normal_iteratorINS6_10device_ptrIiEEEESG_SG_SG_PmS8_NS6_8equal_toIiEEEE10hipError_tPvRmT2_T3_mT4_T5_T6_T7_T8_P12ihipStream_tbENKUlT_T0_E_clISt17integral_constantIbLb0EES11_EEDaSW_SX_EUlSW_E_NS1_11comp_targetILNS1_3genE3ELNS1_11target_archE908ELNS1_3gpuE7ELNS1_3repE0EEENS1_30default_config_static_selectorELNS0_4arch9wavefront6targetE0EEEvT1_
                                        ; -- End function
	.section	.AMDGPU.csdata,"",@progbits
; Kernel info:
; codeLenInByte = 0
; NumSgprs: 0
; NumVgprs: 0
; ScratchSize: 0
; MemoryBound: 0
; FloatMode: 240
; IeeeMode: 1
; LDSByteSize: 0 bytes/workgroup (compile time only)
; SGPRBlocks: 0
; VGPRBlocks: 0
; NumSGPRsForWavesPerEU: 1
; NumVGPRsForWavesPerEU: 1
; Occupancy: 16
; WaveLimiterHint : 0
; COMPUTE_PGM_RSRC2:SCRATCH_EN: 0
; COMPUTE_PGM_RSRC2:USER_SGPR: 15
; COMPUTE_PGM_RSRC2:TRAP_HANDLER: 0
; COMPUTE_PGM_RSRC2:TGID_X_EN: 1
; COMPUTE_PGM_RSRC2:TGID_Y_EN: 0
; COMPUTE_PGM_RSRC2:TGID_Z_EN: 0
; COMPUTE_PGM_RSRC2:TIDIG_COMP_CNT: 0
	.section	.text._ZN7rocprim17ROCPRIM_400000_NS6detail17trampoline_kernelINS0_14default_configENS1_29reduce_by_key_config_selectorIiiN6thrust23THRUST_200600_302600_NS4plusIiEEEEZZNS1_33reduce_by_key_impl_wrapped_configILNS1_25lookback_scan_determinismE0ES3_S9_NS6_6detail15normal_iteratorINS6_10device_ptrIiEEEESG_SG_SG_PmS8_NS6_8equal_toIiEEEE10hipError_tPvRmT2_T3_mT4_T5_T6_T7_T8_P12ihipStream_tbENKUlT_T0_E_clISt17integral_constantIbLb0EES11_EEDaSW_SX_EUlSW_E_NS1_11comp_targetILNS1_3genE2ELNS1_11target_archE906ELNS1_3gpuE6ELNS1_3repE0EEENS1_30default_config_static_selectorELNS0_4arch9wavefront6targetE0EEEvT1_,"axG",@progbits,_ZN7rocprim17ROCPRIM_400000_NS6detail17trampoline_kernelINS0_14default_configENS1_29reduce_by_key_config_selectorIiiN6thrust23THRUST_200600_302600_NS4plusIiEEEEZZNS1_33reduce_by_key_impl_wrapped_configILNS1_25lookback_scan_determinismE0ES3_S9_NS6_6detail15normal_iteratorINS6_10device_ptrIiEEEESG_SG_SG_PmS8_NS6_8equal_toIiEEEE10hipError_tPvRmT2_T3_mT4_T5_T6_T7_T8_P12ihipStream_tbENKUlT_T0_E_clISt17integral_constantIbLb0EES11_EEDaSW_SX_EUlSW_E_NS1_11comp_targetILNS1_3genE2ELNS1_11target_archE906ELNS1_3gpuE6ELNS1_3repE0EEENS1_30default_config_static_selectorELNS0_4arch9wavefront6targetE0EEEvT1_,comdat
	.protected	_ZN7rocprim17ROCPRIM_400000_NS6detail17trampoline_kernelINS0_14default_configENS1_29reduce_by_key_config_selectorIiiN6thrust23THRUST_200600_302600_NS4plusIiEEEEZZNS1_33reduce_by_key_impl_wrapped_configILNS1_25lookback_scan_determinismE0ES3_S9_NS6_6detail15normal_iteratorINS6_10device_ptrIiEEEESG_SG_SG_PmS8_NS6_8equal_toIiEEEE10hipError_tPvRmT2_T3_mT4_T5_T6_T7_T8_P12ihipStream_tbENKUlT_T0_E_clISt17integral_constantIbLb0EES11_EEDaSW_SX_EUlSW_E_NS1_11comp_targetILNS1_3genE2ELNS1_11target_archE906ELNS1_3gpuE6ELNS1_3repE0EEENS1_30default_config_static_selectorELNS0_4arch9wavefront6targetE0EEEvT1_ ; -- Begin function _ZN7rocprim17ROCPRIM_400000_NS6detail17trampoline_kernelINS0_14default_configENS1_29reduce_by_key_config_selectorIiiN6thrust23THRUST_200600_302600_NS4plusIiEEEEZZNS1_33reduce_by_key_impl_wrapped_configILNS1_25lookback_scan_determinismE0ES3_S9_NS6_6detail15normal_iteratorINS6_10device_ptrIiEEEESG_SG_SG_PmS8_NS6_8equal_toIiEEEE10hipError_tPvRmT2_T3_mT4_T5_T6_T7_T8_P12ihipStream_tbENKUlT_T0_E_clISt17integral_constantIbLb0EES11_EEDaSW_SX_EUlSW_E_NS1_11comp_targetILNS1_3genE2ELNS1_11target_archE906ELNS1_3gpuE6ELNS1_3repE0EEENS1_30default_config_static_selectorELNS0_4arch9wavefront6targetE0EEEvT1_
	.globl	_ZN7rocprim17ROCPRIM_400000_NS6detail17trampoline_kernelINS0_14default_configENS1_29reduce_by_key_config_selectorIiiN6thrust23THRUST_200600_302600_NS4plusIiEEEEZZNS1_33reduce_by_key_impl_wrapped_configILNS1_25lookback_scan_determinismE0ES3_S9_NS6_6detail15normal_iteratorINS6_10device_ptrIiEEEESG_SG_SG_PmS8_NS6_8equal_toIiEEEE10hipError_tPvRmT2_T3_mT4_T5_T6_T7_T8_P12ihipStream_tbENKUlT_T0_E_clISt17integral_constantIbLb0EES11_EEDaSW_SX_EUlSW_E_NS1_11comp_targetILNS1_3genE2ELNS1_11target_archE906ELNS1_3gpuE6ELNS1_3repE0EEENS1_30default_config_static_selectorELNS0_4arch9wavefront6targetE0EEEvT1_
	.p2align	8
	.type	_ZN7rocprim17ROCPRIM_400000_NS6detail17trampoline_kernelINS0_14default_configENS1_29reduce_by_key_config_selectorIiiN6thrust23THRUST_200600_302600_NS4plusIiEEEEZZNS1_33reduce_by_key_impl_wrapped_configILNS1_25lookback_scan_determinismE0ES3_S9_NS6_6detail15normal_iteratorINS6_10device_ptrIiEEEESG_SG_SG_PmS8_NS6_8equal_toIiEEEE10hipError_tPvRmT2_T3_mT4_T5_T6_T7_T8_P12ihipStream_tbENKUlT_T0_E_clISt17integral_constantIbLb0EES11_EEDaSW_SX_EUlSW_E_NS1_11comp_targetILNS1_3genE2ELNS1_11target_archE906ELNS1_3gpuE6ELNS1_3repE0EEENS1_30default_config_static_selectorELNS0_4arch9wavefront6targetE0EEEvT1_,@function
_ZN7rocprim17ROCPRIM_400000_NS6detail17trampoline_kernelINS0_14default_configENS1_29reduce_by_key_config_selectorIiiN6thrust23THRUST_200600_302600_NS4plusIiEEEEZZNS1_33reduce_by_key_impl_wrapped_configILNS1_25lookback_scan_determinismE0ES3_S9_NS6_6detail15normal_iteratorINS6_10device_ptrIiEEEESG_SG_SG_PmS8_NS6_8equal_toIiEEEE10hipError_tPvRmT2_T3_mT4_T5_T6_T7_T8_P12ihipStream_tbENKUlT_T0_E_clISt17integral_constantIbLb0EES11_EEDaSW_SX_EUlSW_E_NS1_11comp_targetILNS1_3genE2ELNS1_11target_archE906ELNS1_3gpuE6ELNS1_3repE0EEENS1_30default_config_static_selectorELNS0_4arch9wavefront6targetE0EEEvT1_: ; @_ZN7rocprim17ROCPRIM_400000_NS6detail17trampoline_kernelINS0_14default_configENS1_29reduce_by_key_config_selectorIiiN6thrust23THRUST_200600_302600_NS4plusIiEEEEZZNS1_33reduce_by_key_impl_wrapped_configILNS1_25lookback_scan_determinismE0ES3_S9_NS6_6detail15normal_iteratorINS6_10device_ptrIiEEEESG_SG_SG_PmS8_NS6_8equal_toIiEEEE10hipError_tPvRmT2_T3_mT4_T5_T6_T7_T8_P12ihipStream_tbENKUlT_T0_E_clISt17integral_constantIbLb0EES11_EEDaSW_SX_EUlSW_E_NS1_11comp_targetILNS1_3genE2ELNS1_11target_archE906ELNS1_3gpuE6ELNS1_3repE0EEENS1_30default_config_static_selectorELNS0_4arch9wavefront6targetE0EEEvT1_
; %bb.0:
	.section	.rodata,"a",@progbits
	.p2align	6, 0x0
	.amdhsa_kernel _ZN7rocprim17ROCPRIM_400000_NS6detail17trampoline_kernelINS0_14default_configENS1_29reduce_by_key_config_selectorIiiN6thrust23THRUST_200600_302600_NS4plusIiEEEEZZNS1_33reduce_by_key_impl_wrapped_configILNS1_25lookback_scan_determinismE0ES3_S9_NS6_6detail15normal_iteratorINS6_10device_ptrIiEEEESG_SG_SG_PmS8_NS6_8equal_toIiEEEE10hipError_tPvRmT2_T3_mT4_T5_T6_T7_T8_P12ihipStream_tbENKUlT_T0_E_clISt17integral_constantIbLb0EES11_EEDaSW_SX_EUlSW_E_NS1_11comp_targetILNS1_3genE2ELNS1_11target_archE906ELNS1_3gpuE6ELNS1_3repE0EEENS1_30default_config_static_selectorELNS0_4arch9wavefront6targetE0EEEvT1_
		.amdhsa_group_segment_fixed_size 0
		.amdhsa_private_segment_fixed_size 0
		.amdhsa_kernarg_size 120
		.amdhsa_user_sgpr_count 15
		.amdhsa_user_sgpr_dispatch_ptr 0
		.amdhsa_user_sgpr_queue_ptr 0
		.amdhsa_user_sgpr_kernarg_segment_ptr 1
		.amdhsa_user_sgpr_dispatch_id 0
		.amdhsa_user_sgpr_private_segment_size 0
		.amdhsa_wavefront_size32 1
		.amdhsa_uses_dynamic_stack 0
		.amdhsa_enable_private_segment 0
		.amdhsa_system_sgpr_workgroup_id_x 1
		.amdhsa_system_sgpr_workgroup_id_y 0
		.amdhsa_system_sgpr_workgroup_id_z 0
		.amdhsa_system_sgpr_workgroup_info 0
		.amdhsa_system_vgpr_workitem_id 0
		.amdhsa_next_free_vgpr 1
		.amdhsa_next_free_sgpr 1
		.amdhsa_reserve_vcc 0
		.amdhsa_float_round_mode_32 0
		.amdhsa_float_round_mode_16_64 0
		.amdhsa_float_denorm_mode_32 3
		.amdhsa_float_denorm_mode_16_64 3
		.amdhsa_dx10_clamp 1
		.amdhsa_ieee_mode 1
		.amdhsa_fp16_overflow 0
		.amdhsa_workgroup_processor_mode 1
		.amdhsa_memory_ordered 1
		.amdhsa_forward_progress 0
		.amdhsa_shared_vgpr_count 0
		.amdhsa_exception_fp_ieee_invalid_op 0
		.amdhsa_exception_fp_denorm_src 0
		.amdhsa_exception_fp_ieee_div_zero 0
		.amdhsa_exception_fp_ieee_overflow 0
		.amdhsa_exception_fp_ieee_underflow 0
		.amdhsa_exception_fp_ieee_inexact 0
		.amdhsa_exception_int_div_zero 0
	.end_amdhsa_kernel
	.section	.text._ZN7rocprim17ROCPRIM_400000_NS6detail17trampoline_kernelINS0_14default_configENS1_29reduce_by_key_config_selectorIiiN6thrust23THRUST_200600_302600_NS4plusIiEEEEZZNS1_33reduce_by_key_impl_wrapped_configILNS1_25lookback_scan_determinismE0ES3_S9_NS6_6detail15normal_iteratorINS6_10device_ptrIiEEEESG_SG_SG_PmS8_NS6_8equal_toIiEEEE10hipError_tPvRmT2_T3_mT4_T5_T6_T7_T8_P12ihipStream_tbENKUlT_T0_E_clISt17integral_constantIbLb0EES11_EEDaSW_SX_EUlSW_E_NS1_11comp_targetILNS1_3genE2ELNS1_11target_archE906ELNS1_3gpuE6ELNS1_3repE0EEENS1_30default_config_static_selectorELNS0_4arch9wavefront6targetE0EEEvT1_,"axG",@progbits,_ZN7rocprim17ROCPRIM_400000_NS6detail17trampoline_kernelINS0_14default_configENS1_29reduce_by_key_config_selectorIiiN6thrust23THRUST_200600_302600_NS4plusIiEEEEZZNS1_33reduce_by_key_impl_wrapped_configILNS1_25lookback_scan_determinismE0ES3_S9_NS6_6detail15normal_iteratorINS6_10device_ptrIiEEEESG_SG_SG_PmS8_NS6_8equal_toIiEEEE10hipError_tPvRmT2_T3_mT4_T5_T6_T7_T8_P12ihipStream_tbENKUlT_T0_E_clISt17integral_constantIbLb0EES11_EEDaSW_SX_EUlSW_E_NS1_11comp_targetILNS1_3genE2ELNS1_11target_archE906ELNS1_3gpuE6ELNS1_3repE0EEENS1_30default_config_static_selectorELNS0_4arch9wavefront6targetE0EEEvT1_,comdat
.Lfunc_end549:
	.size	_ZN7rocprim17ROCPRIM_400000_NS6detail17trampoline_kernelINS0_14default_configENS1_29reduce_by_key_config_selectorIiiN6thrust23THRUST_200600_302600_NS4plusIiEEEEZZNS1_33reduce_by_key_impl_wrapped_configILNS1_25lookback_scan_determinismE0ES3_S9_NS6_6detail15normal_iteratorINS6_10device_ptrIiEEEESG_SG_SG_PmS8_NS6_8equal_toIiEEEE10hipError_tPvRmT2_T3_mT4_T5_T6_T7_T8_P12ihipStream_tbENKUlT_T0_E_clISt17integral_constantIbLb0EES11_EEDaSW_SX_EUlSW_E_NS1_11comp_targetILNS1_3genE2ELNS1_11target_archE906ELNS1_3gpuE6ELNS1_3repE0EEENS1_30default_config_static_selectorELNS0_4arch9wavefront6targetE0EEEvT1_, .Lfunc_end549-_ZN7rocprim17ROCPRIM_400000_NS6detail17trampoline_kernelINS0_14default_configENS1_29reduce_by_key_config_selectorIiiN6thrust23THRUST_200600_302600_NS4plusIiEEEEZZNS1_33reduce_by_key_impl_wrapped_configILNS1_25lookback_scan_determinismE0ES3_S9_NS6_6detail15normal_iteratorINS6_10device_ptrIiEEEESG_SG_SG_PmS8_NS6_8equal_toIiEEEE10hipError_tPvRmT2_T3_mT4_T5_T6_T7_T8_P12ihipStream_tbENKUlT_T0_E_clISt17integral_constantIbLb0EES11_EEDaSW_SX_EUlSW_E_NS1_11comp_targetILNS1_3genE2ELNS1_11target_archE906ELNS1_3gpuE6ELNS1_3repE0EEENS1_30default_config_static_selectorELNS0_4arch9wavefront6targetE0EEEvT1_
                                        ; -- End function
	.section	.AMDGPU.csdata,"",@progbits
; Kernel info:
; codeLenInByte = 0
; NumSgprs: 0
; NumVgprs: 0
; ScratchSize: 0
; MemoryBound: 0
; FloatMode: 240
; IeeeMode: 1
; LDSByteSize: 0 bytes/workgroup (compile time only)
; SGPRBlocks: 0
; VGPRBlocks: 0
; NumSGPRsForWavesPerEU: 1
; NumVGPRsForWavesPerEU: 1
; Occupancy: 16
; WaveLimiterHint : 0
; COMPUTE_PGM_RSRC2:SCRATCH_EN: 0
; COMPUTE_PGM_RSRC2:USER_SGPR: 15
; COMPUTE_PGM_RSRC2:TRAP_HANDLER: 0
; COMPUTE_PGM_RSRC2:TGID_X_EN: 1
; COMPUTE_PGM_RSRC2:TGID_Y_EN: 0
; COMPUTE_PGM_RSRC2:TGID_Z_EN: 0
; COMPUTE_PGM_RSRC2:TIDIG_COMP_CNT: 0
	.section	.text._ZN7rocprim17ROCPRIM_400000_NS6detail17trampoline_kernelINS0_14default_configENS1_29reduce_by_key_config_selectorIiiN6thrust23THRUST_200600_302600_NS4plusIiEEEEZZNS1_33reduce_by_key_impl_wrapped_configILNS1_25lookback_scan_determinismE0ES3_S9_NS6_6detail15normal_iteratorINS6_10device_ptrIiEEEESG_SG_SG_PmS8_NS6_8equal_toIiEEEE10hipError_tPvRmT2_T3_mT4_T5_T6_T7_T8_P12ihipStream_tbENKUlT_T0_E_clISt17integral_constantIbLb0EES11_EEDaSW_SX_EUlSW_E_NS1_11comp_targetILNS1_3genE10ELNS1_11target_archE1201ELNS1_3gpuE5ELNS1_3repE0EEENS1_30default_config_static_selectorELNS0_4arch9wavefront6targetE0EEEvT1_,"axG",@progbits,_ZN7rocprim17ROCPRIM_400000_NS6detail17trampoline_kernelINS0_14default_configENS1_29reduce_by_key_config_selectorIiiN6thrust23THRUST_200600_302600_NS4plusIiEEEEZZNS1_33reduce_by_key_impl_wrapped_configILNS1_25lookback_scan_determinismE0ES3_S9_NS6_6detail15normal_iteratorINS6_10device_ptrIiEEEESG_SG_SG_PmS8_NS6_8equal_toIiEEEE10hipError_tPvRmT2_T3_mT4_T5_T6_T7_T8_P12ihipStream_tbENKUlT_T0_E_clISt17integral_constantIbLb0EES11_EEDaSW_SX_EUlSW_E_NS1_11comp_targetILNS1_3genE10ELNS1_11target_archE1201ELNS1_3gpuE5ELNS1_3repE0EEENS1_30default_config_static_selectorELNS0_4arch9wavefront6targetE0EEEvT1_,comdat
	.protected	_ZN7rocprim17ROCPRIM_400000_NS6detail17trampoline_kernelINS0_14default_configENS1_29reduce_by_key_config_selectorIiiN6thrust23THRUST_200600_302600_NS4plusIiEEEEZZNS1_33reduce_by_key_impl_wrapped_configILNS1_25lookback_scan_determinismE0ES3_S9_NS6_6detail15normal_iteratorINS6_10device_ptrIiEEEESG_SG_SG_PmS8_NS6_8equal_toIiEEEE10hipError_tPvRmT2_T3_mT4_T5_T6_T7_T8_P12ihipStream_tbENKUlT_T0_E_clISt17integral_constantIbLb0EES11_EEDaSW_SX_EUlSW_E_NS1_11comp_targetILNS1_3genE10ELNS1_11target_archE1201ELNS1_3gpuE5ELNS1_3repE0EEENS1_30default_config_static_selectorELNS0_4arch9wavefront6targetE0EEEvT1_ ; -- Begin function _ZN7rocprim17ROCPRIM_400000_NS6detail17trampoline_kernelINS0_14default_configENS1_29reduce_by_key_config_selectorIiiN6thrust23THRUST_200600_302600_NS4plusIiEEEEZZNS1_33reduce_by_key_impl_wrapped_configILNS1_25lookback_scan_determinismE0ES3_S9_NS6_6detail15normal_iteratorINS6_10device_ptrIiEEEESG_SG_SG_PmS8_NS6_8equal_toIiEEEE10hipError_tPvRmT2_T3_mT4_T5_T6_T7_T8_P12ihipStream_tbENKUlT_T0_E_clISt17integral_constantIbLb0EES11_EEDaSW_SX_EUlSW_E_NS1_11comp_targetILNS1_3genE10ELNS1_11target_archE1201ELNS1_3gpuE5ELNS1_3repE0EEENS1_30default_config_static_selectorELNS0_4arch9wavefront6targetE0EEEvT1_
	.globl	_ZN7rocprim17ROCPRIM_400000_NS6detail17trampoline_kernelINS0_14default_configENS1_29reduce_by_key_config_selectorIiiN6thrust23THRUST_200600_302600_NS4plusIiEEEEZZNS1_33reduce_by_key_impl_wrapped_configILNS1_25lookback_scan_determinismE0ES3_S9_NS6_6detail15normal_iteratorINS6_10device_ptrIiEEEESG_SG_SG_PmS8_NS6_8equal_toIiEEEE10hipError_tPvRmT2_T3_mT4_T5_T6_T7_T8_P12ihipStream_tbENKUlT_T0_E_clISt17integral_constantIbLb0EES11_EEDaSW_SX_EUlSW_E_NS1_11comp_targetILNS1_3genE10ELNS1_11target_archE1201ELNS1_3gpuE5ELNS1_3repE0EEENS1_30default_config_static_selectorELNS0_4arch9wavefront6targetE0EEEvT1_
	.p2align	8
	.type	_ZN7rocprim17ROCPRIM_400000_NS6detail17trampoline_kernelINS0_14default_configENS1_29reduce_by_key_config_selectorIiiN6thrust23THRUST_200600_302600_NS4plusIiEEEEZZNS1_33reduce_by_key_impl_wrapped_configILNS1_25lookback_scan_determinismE0ES3_S9_NS6_6detail15normal_iteratorINS6_10device_ptrIiEEEESG_SG_SG_PmS8_NS6_8equal_toIiEEEE10hipError_tPvRmT2_T3_mT4_T5_T6_T7_T8_P12ihipStream_tbENKUlT_T0_E_clISt17integral_constantIbLb0EES11_EEDaSW_SX_EUlSW_E_NS1_11comp_targetILNS1_3genE10ELNS1_11target_archE1201ELNS1_3gpuE5ELNS1_3repE0EEENS1_30default_config_static_selectorELNS0_4arch9wavefront6targetE0EEEvT1_,@function
_ZN7rocprim17ROCPRIM_400000_NS6detail17trampoline_kernelINS0_14default_configENS1_29reduce_by_key_config_selectorIiiN6thrust23THRUST_200600_302600_NS4plusIiEEEEZZNS1_33reduce_by_key_impl_wrapped_configILNS1_25lookback_scan_determinismE0ES3_S9_NS6_6detail15normal_iteratorINS6_10device_ptrIiEEEESG_SG_SG_PmS8_NS6_8equal_toIiEEEE10hipError_tPvRmT2_T3_mT4_T5_T6_T7_T8_P12ihipStream_tbENKUlT_T0_E_clISt17integral_constantIbLb0EES11_EEDaSW_SX_EUlSW_E_NS1_11comp_targetILNS1_3genE10ELNS1_11target_archE1201ELNS1_3gpuE5ELNS1_3repE0EEENS1_30default_config_static_selectorELNS0_4arch9wavefront6targetE0EEEvT1_: ; @_ZN7rocprim17ROCPRIM_400000_NS6detail17trampoline_kernelINS0_14default_configENS1_29reduce_by_key_config_selectorIiiN6thrust23THRUST_200600_302600_NS4plusIiEEEEZZNS1_33reduce_by_key_impl_wrapped_configILNS1_25lookback_scan_determinismE0ES3_S9_NS6_6detail15normal_iteratorINS6_10device_ptrIiEEEESG_SG_SG_PmS8_NS6_8equal_toIiEEEE10hipError_tPvRmT2_T3_mT4_T5_T6_T7_T8_P12ihipStream_tbENKUlT_T0_E_clISt17integral_constantIbLb0EES11_EEDaSW_SX_EUlSW_E_NS1_11comp_targetILNS1_3genE10ELNS1_11target_archE1201ELNS1_3gpuE5ELNS1_3repE0EEENS1_30default_config_static_selectorELNS0_4arch9wavefront6targetE0EEEvT1_
; %bb.0:
	.section	.rodata,"a",@progbits
	.p2align	6, 0x0
	.amdhsa_kernel _ZN7rocprim17ROCPRIM_400000_NS6detail17trampoline_kernelINS0_14default_configENS1_29reduce_by_key_config_selectorIiiN6thrust23THRUST_200600_302600_NS4plusIiEEEEZZNS1_33reduce_by_key_impl_wrapped_configILNS1_25lookback_scan_determinismE0ES3_S9_NS6_6detail15normal_iteratorINS6_10device_ptrIiEEEESG_SG_SG_PmS8_NS6_8equal_toIiEEEE10hipError_tPvRmT2_T3_mT4_T5_T6_T7_T8_P12ihipStream_tbENKUlT_T0_E_clISt17integral_constantIbLb0EES11_EEDaSW_SX_EUlSW_E_NS1_11comp_targetILNS1_3genE10ELNS1_11target_archE1201ELNS1_3gpuE5ELNS1_3repE0EEENS1_30default_config_static_selectorELNS0_4arch9wavefront6targetE0EEEvT1_
		.amdhsa_group_segment_fixed_size 0
		.amdhsa_private_segment_fixed_size 0
		.amdhsa_kernarg_size 120
		.amdhsa_user_sgpr_count 15
		.amdhsa_user_sgpr_dispatch_ptr 0
		.amdhsa_user_sgpr_queue_ptr 0
		.amdhsa_user_sgpr_kernarg_segment_ptr 1
		.amdhsa_user_sgpr_dispatch_id 0
		.amdhsa_user_sgpr_private_segment_size 0
		.amdhsa_wavefront_size32 1
		.amdhsa_uses_dynamic_stack 0
		.amdhsa_enable_private_segment 0
		.amdhsa_system_sgpr_workgroup_id_x 1
		.amdhsa_system_sgpr_workgroup_id_y 0
		.amdhsa_system_sgpr_workgroup_id_z 0
		.amdhsa_system_sgpr_workgroup_info 0
		.amdhsa_system_vgpr_workitem_id 0
		.amdhsa_next_free_vgpr 1
		.amdhsa_next_free_sgpr 1
		.amdhsa_reserve_vcc 0
		.amdhsa_float_round_mode_32 0
		.amdhsa_float_round_mode_16_64 0
		.amdhsa_float_denorm_mode_32 3
		.amdhsa_float_denorm_mode_16_64 3
		.amdhsa_dx10_clamp 1
		.amdhsa_ieee_mode 1
		.amdhsa_fp16_overflow 0
		.amdhsa_workgroup_processor_mode 1
		.amdhsa_memory_ordered 1
		.amdhsa_forward_progress 0
		.amdhsa_shared_vgpr_count 0
		.amdhsa_exception_fp_ieee_invalid_op 0
		.amdhsa_exception_fp_denorm_src 0
		.amdhsa_exception_fp_ieee_div_zero 0
		.amdhsa_exception_fp_ieee_overflow 0
		.amdhsa_exception_fp_ieee_underflow 0
		.amdhsa_exception_fp_ieee_inexact 0
		.amdhsa_exception_int_div_zero 0
	.end_amdhsa_kernel
	.section	.text._ZN7rocprim17ROCPRIM_400000_NS6detail17trampoline_kernelINS0_14default_configENS1_29reduce_by_key_config_selectorIiiN6thrust23THRUST_200600_302600_NS4plusIiEEEEZZNS1_33reduce_by_key_impl_wrapped_configILNS1_25lookback_scan_determinismE0ES3_S9_NS6_6detail15normal_iteratorINS6_10device_ptrIiEEEESG_SG_SG_PmS8_NS6_8equal_toIiEEEE10hipError_tPvRmT2_T3_mT4_T5_T6_T7_T8_P12ihipStream_tbENKUlT_T0_E_clISt17integral_constantIbLb0EES11_EEDaSW_SX_EUlSW_E_NS1_11comp_targetILNS1_3genE10ELNS1_11target_archE1201ELNS1_3gpuE5ELNS1_3repE0EEENS1_30default_config_static_selectorELNS0_4arch9wavefront6targetE0EEEvT1_,"axG",@progbits,_ZN7rocprim17ROCPRIM_400000_NS6detail17trampoline_kernelINS0_14default_configENS1_29reduce_by_key_config_selectorIiiN6thrust23THRUST_200600_302600_NS4plusIiEEEEZZNS1_33reduce_by_key_impl_wrapped_configILNS1_25lookback_scan_determinismE0ES3_S9_NS6_6detail15normal_iteratorINS6_10device_ptrIiEEEESG_SG_SG_PmS8_NS6_8equal_toIiEEEE10hipError_tPvRmT2_T3_mT4_T5_T6_T7_T8_P12ihipStream_tbENKUlT_T0_E_clISt17integral_constantIbLb0EES11_EEDaSW_SX_EUlSW_E_NS1_11comp_targetILNS1_3genE10ELNS1_11target_archE1201ELNS1_3gpuE5ELNS1_3repE0EEENS1_30default_config_static_selectorELNS0_4arch9wavefront6targetE0EEEvT1_,comdat
.Lfunc_end550:
	.size	_ZN7rocprim17ROCPRIM_400000_NS6detail17trampoline_kernelINS0_14default_configENS1_29reduce_by_key_config_selectorIiiN6thrust23THRUST_200600_302600_NS4plusIiEEEEZZNS1_33reduce_by_key_impl_wrapped_configILNS1_25lookback_scan_determinismE0ES3_S9_NS6_6detail15normal_iteratorINS6_10device_ptrIiEEEESG_SG_SG_PmS8_NS6_8equal_toIiEEEE10hipError_tPvRmT2_T3_mT4_T5_T6_T7_T8_P12ihipStream_tbENKUlT_T0_E_clISt17integral_constantIbLb0EES11_EEDaSW_SX_EUlSW_E_NS1_11comp_targetILNS1_3genE10ELNS1_11target_archE1201ELNS1_3gpuE5ELNS1_3repE0EEENS1_30default_config_static_selectorELNS0_4arch9wavefront6targetE0EEEvT1_, .Lfunc_end550-_ZN7rocprim17ROCPRIM_400000_NS6detail17trampoline_kernelINS0_14default_configENS1_29reduce_by_key_config_selectorIiiN6thrust23THRUST_200600_302600_NS4plusIiEEEEZZNS1_33reduce_by_key_impl_wrapped_configILNS1_25lookback_scan_determinismE0ES3_S9_NS6_6detail15normal_iteratorINS6_10device_ptrIiEEEESG_SG_SG_PmS8_NS6_8equal_toIiEEEE10hipError_tPvRmT2_T3_mT4_T5_T6_T7_T8_P12ihipStream_tbENKUlT_T0_E_clISt17integral_constantIbLb0EES11_EEDaSW_SX_EUlSW_E_NS1_11comp_targetILNS1_3genE10ELNS1_11target_archE1201ELNS1_3gpuE5ELNS1_3repE0EEENS1_30default_config_static_selectorELNS0_4arch9wavefront6targetE0EEEvT1_
                                        ; -- End function
	.section	.AMDGPU.csdata,"",@progbits
; Kernel info:
; codeLenInByte = 0
; NumSgprs: 0
; NumVgprs: 0
; ScratchSize: 0
; MemoryBound: 0
; FloatMode: 240
; IeeeMode: 1
; LDSByteSize: 0 bytes/workgroup (compile time only)
; SGPRBlocks: 0
; VGPRBlocks: 0
; NumSGPRsForWavesPerEU: 1
; NumVGPRsForWavesPerEU: 1
; Occupancy: 16
; WaveLimiterHint : 0
; COMPUTE_PGM_RSRC2:SCRATCH_EN: 0
; COMPUTE_PGM_RSRC2:USER_SGPR: 15
; COMPUTE_PGM_RSRC2:TRAP_HANDLER: 0
; COMPUTE_PGM_RSRC2:TGID_X_EN: 1
; COMPUTE_PGM_RSRC2:TGID_Y_EN: 0
; COMPUTE_PGM_RSRC2:TGID_Z_EN: 0
; COMPUTE_PGM_RSRC2:TIDIG_COMP_CNT: 0
	.section	.text._ZN7rocprim17ROCPRIM_400000_NS6detail17trampoline_kernelINS0_14default_configENS1_29reduce_by_key_config_selectorIiiN6thrust23THRUST_200600_302600_NS4plusIiEEEEZZNS1_33reduce_by_key_impl_wrapped_configILNS1_25lookback_scan_determinismE0ES3_S9_NS6_6detail15normal_iteratorINS6_10device_ptrIiEEEESG_SG_SG_PmS8_NS6_8equal_toIiEEEE10hipError_tPvRmT2_T3_mT4_T5_T6_T7_T8_P12ihipStream_tbENKUlT_T0_E_clISt17integral_constantIbLb0EES11_EEDaSW_SX_EUlSW_E_NS1_11comp_targetILNS1_3genE10ELNS1_11target_archE1200ELNS1_3gpuE4ELNS1_3repE0EEENS1_30default_config_static_selectorELNS0_4arch9wavefront6targetE0EEEvT1_,"axG",@progbits,_ZN7rocprim17ROCPRIM_400000_NS6detail17trampoline_kernelINS0_14default_configENS1_29reduce_by_key_config_selectorIiiN6thrust23THRUST_200600_302600_NS4plusIiEEEEZZNS1_33reduce_by_key_impl_wrapped_configILNS1_25lookback_scan_determinismE0ES3_S9_NS6_6detail15normal_iteratorINS6_10device_ptrIiEEEESG_SG_SG_PmS8_NS6_8equal_toIiEEEE10hipError_tPvRmT2_T3_mT4_T5_T6_T7_T8_P12ihipStream_tbENKUlT_T0_E_clISt17integral_constantIbLb0EES11_EEDaSW_SX_EUlSW_E_NS1_11comp_targetILNS1_3genE10ELNS1_11target_archE1200ELNS1_3gpuE4ELNS1_3repE0EEENS1_30default_config_static_selectorELNS0_4arch9wavefront6targetE0EEEvT1_,comdat
	.protected	_ZN7rocprim17ROCPRIM_400000_NS6detail17trampoline_kernelINS0_14default_configENS1_29reduce_by_key_config_selectorIiiN6thrust23THRUST_200600_302600_NS4plusIiEEEEZZNS1_33reduce_by_key_impl_wrapped_configILNS1_25lookback_scan_determinismE0ES3_S9_NS6_6detail15normal_iteratorINS6_10device_ptrIiEEEESG_SG_SG_PmS8_NS6_8equal_toIiEEEE10hipError_tPvRmT2_T3_mT4_T5_T6_T7_T8_P12ihipStream_tbENKUlT_T0_E_clISt17integral_constantIbLb0EES11_EEDaSW_SX_EUlSW_E_NS1_11comp_targetILNS1_3genE10ELNS1_11target_archE1200ELNS1_3gpuE4ELNS1_3repE0EEENS1_30default_config_static_selectorELNS0_4arch9wavefront6targetE0EEEvT1_ ; -- Begin function _ZN7rocprim17ROCPRIM_400000_NS6detail17trampoline_kernelINS0_14default_configENS1_29reduce_by_key_config_selectorIiiN6thrust23THRUST_200600_302600_NS4plusIiEEEEZZNS1_33reduce_by_key_impl_wrapped_configILNS1_25lookback_scan_determinismE0ES3_S9_NS6_6detail15normal_iteratorINS6_10device_ptrIiEEEESG_SG_SG_PmS8_NS6_8equal_toIiEEEE10hipError_tPvRmT2_T3_mT4_T5_T6_T7_T8_P12ihipStream_tbENKUlT_T0_E_clISt17integral_constantIbLb0EES11_EEDaSW_SX_EUlSW_E_NS1_11comp_targetILNS1_3genE10ELNS1_11target_archE1200ELNS1_3gpuE4ELNS1_3repE0EEENS1_30default_config_static_selectorELNS0_4arch9wavefront6targetE0EEEvT1_
	.globl	_ZN7rocprim17ROCPRIM_400000_NS6detail17trampoline_kernelINS0_14default_configENS1_29reduce_by_key_config_selectorIiiN6thrust23THRUST_200600_302600_NS4plusIiEEEEZZNS1_33reduce_by_key_impl_wrapped_configILNS1_25lookback_scan_determinismE0ES3_S9_NS6_6detail15normal_iteratorINS6_10device_ptrIiEEEESG_SG_SG_PmS8_NS6_8equal_toIiEEEE10hipError_tPvRmT2_T3_mT4_T5_T6_T7_T8_P12ihipStream_tbENKUlT_T0_E_clISt17integral_constantIbLb0EES11_EEDaSW_SX_EUlSW_E_NS1_11comp_targetILNS1_3genE10ELNS1_11target_archE1200ELNS1_3gpuE4ELNS1_3repE0EEENS1_30default_config_static_selectorELNS0_4arch9wavefront6targetE0EEEvT1_
	.p2align	8
	.type	_ZN7rocprim17ROCPRIM_400000_NS6detail17trampoline_kernelINS0_14default_configENS1_29reduce_by_key_config_selectorIiiN6thrust23THRUST_200600_302600_NS4plusIiEEEEZZNS1_33reduce_by_key_impl_wrapped_configILNS1_25lookback_scan_determinismE0ES3_S9_NS6_6detail15normal_iteratorINS6_10device_ptrIiEEEESG_SG_SG_PmS8_NS6_8equal_toIiEEEE10hipError_tPvRmT2_T3_mT4_T5_T6_T7_T8_P12ihipStream_tbENKUlT_T0_E_clISt17integral_constantIbLb0EES11_EEDaSW_SX_EUlSW_E_NS1_11comp_targetILNS1_3genE10ELNS1_11target_archE1200ELNS1_3gpuE4ELNS1_3repE0EEENS1_30default_config_static_selectorELNS0_4arch9wavefront6targetE0EEEvT1_,@function
_ZN7rocprim17ROCPRIM_400000_NS6detail17trampoline_kernelINS0_14default_configENS1_29reduce_by_key_config_selectorIiiN6thrust23THRUST_200600_302600_NS4plusIiEEEEZZNS1_33reduce_by_key_impl_wrapped_configILNS1_25lookback_scan_determinismE0ES3_S9_NS6_6detail15normal_iteratorINS6_10device_ptrIiEEEESG_SG_SG_PmS8_NS6_8equal_toIiEEEE10hipError_tPvRmT2_T3_mT4_T5_T6_T7_T8_P12ihipStream_tbENKUlT_T0_E_clISt17integral_constantIbLb0EES11_EEDaSW_SX_EUlSW_E_NS1_11comp_targetILNS1_3genE10ELNS1_11target_archE1200ELNS1_3gpuE4ELNS1_3repE0EEENS1_30default_config_static_selectorELNS0_4arch9wavefront6targetE0EEEvT1_: ; @_ZN7rocprim17ROCPRIM_400000_NS6detail17trampoline_kernelINS0_14default_configENS1_29reduce_by_key_config_selectorIiiN6thrust23THRUST_200600_302600_NS4plusIiEEEEZZNS1_33reduce_by_key_impl_wrapped_configILNS1_25lookback_scan_determinismE0ES3_S9_NS6_6detail15normal_iteratorINS6_10device_ptrIiEEEESG_SG_SG_PmS8_NS6_8equal_toIiEEEE10hipError_tPvRmT2_T3_mT4_T5_T6_T7_T8_P12ihipStream_tbENKUlT_T0_E_clISt17integral_constantIbLb0EES11_EEDaSW_SX_EUlSW_E_NS1_11comp_targetILNS1_3genE10ELNS1_11target_archE1200ELNS1_3gpuE4ELNS1_3repE0EEENS1_30default_config_static_selectorELNS0_4arch9wavefront6targetE0EEEvT1_
; %bb.0:
	.section	.rodata,"a",@progbits
	.p2align	6, 0x0
	.amdhsa_kernel _ZN7rocprim17ROCPRIM_400000_NS6detail17trampoline_kernelINS0_14default_configENS1_29reduce_by_key_config_selectorIiiN6thrust23THRUST_200600_302600_NS4plusIiEEEEZZNS1_33reduce_by_key_impl_wrapped_configILNS1_25lookback_scan_determinismE0ES3_S9_NS6_6detail15normal_iteratorINS6_10device_ptrIiEEEESG_SG_SG_PmS8_NS6_8equal_toIiEEEE10hipError_tPvRmT2_T3_mT4_T5_T6_T7_T8_P12ihipStream_tbENKUlT_T0_E_clISt17integral_constantIbLb0EES11_EEDaSW_SX_EUlSW_E_NS1_11comp_targetILNS1_3genE10ELNS1_11target_archE1200ELNS1_3gpuE4ELNS1_3repE0EEENS1_30default_config_static_selectorELNS0_4arch9wavefront6targetE0EEEvT1_
		.amdhsa_group_segment_fixed_size 0
		.amdhsa_private_segment_fixed_size 0
		.amdhsa_kernarg_size 120
		.amdhsa_user_sgpr_count 15
		.amdhsa_user_sgpr_dispatch_ptr 0
		.amdhsa_user_sgpr_queue_ptr 0
		.amdhsa_user_sgpr_kernarg_segment_ptr 1
		.amdhsa_user_sgpr_dispatch_id 0
		.amdhsa_user_sgpr_private_segment_size 0
		.amdhsa_wavefront_size32 1
		.amdhsa_uses_dynamic_stack 0
		.amdhsa_enable_private_segment 0
		.amdhsa_system_sgpr_workgroup_id_x 1
		.amdhsa_system_sgpr_workgroup_id_y 0
		.amdhsa_system_sgpr_workgroup_id_z 0
		.amdhsa_system_sgpr_workgroup_info 0
		.amdhsa_system_vgpr_workitem_id 0
		.amdhsa_next_free_vgpr 1
		.amdhsa_next_free_sgpr 1
		.amdhsa_reserve_vcc 0
		.amdhsa_float_round_mode_32 0
		.amdhsa_float_round_mode_16_64 0
		.amdhsa_float_denorm_mode_32 3
		.amdhsa_float_denorm_mode_16_64 3
		.amdhsa_dx10_clamp 1
		.amdhsa_ieee_mode 1
		.amdhsa_fp16_overflow 0
		.amdhsa_workgroup_processor_mode 1
		.amdhsa_memory_ordered 1
		.amdhsa_forward_progress 0
		.amdhsa_shared_vgpr_count 0
		.amdhsa_exception_fp_ieee_invalid_op 0
		.amdhsa_exception_fp_denorm_src 0
		.amdhsa_exception_fp_ieee_div_zero 0
		.amdhsa_exception_fp_ieee_overflow 0
		.amdhsa_exception_fp_ieee_underflow 0
		.amdhsa_exception_fp_ieee_inexact 0
		.amdhsa_exception_int_div_zero 0
	.end_amdhsa_kernel
	.section	.text._ZN7rocprim17ROCPRIM_400000_NS6detail17trampoline_kernelINS0_14default_configENS1_29reduce_by_key_config_selectorIiiN6thrust23THRUST_200600_302600_NS4plusIiEEEEZZNS1_33reduce_by_key_impl_wrapped_configILNS1_25lookback_scan_determinismE0ES3_S9_NS6_6detail15normal_iteratorINS6_10device_ptrIiEEEESG_SG_SG_PmS8_NS6_8equal_toIiEEEE10hipError_tPvRmT2_T3_mT4_T5_T6_T7_T8_P12ihipStream_tbENKUlT_T0_E_clISt17integral_constantIbLb0EES11_EEDaSW_SX_EUlSW_E_NS1_11comp_targetILNS1_3genE10ELNS1_11target_archE1200ELNS1_3gpuE4ELNS1_3repE0EEENS1_30default_config_static_selectorELNS0_4arch9wavefront6targetE0EEEvT1_,"axG",@progbits,_ZN7rocprim17ROCPRIM_400000_NS6detail17trampoline_kernelINS0_14default_configENS1_29reduce_by_key_config_selectorIiiN6thrust23THRUST_200600_302600_NS4plusIiEEEEZZNS1_33reduce_by_key_impl_wrapped_configILNS1_25lookback_scan_determinismE0ES3_S9_NS6_6detail15normal_iteratorINS6_10device_ptrIiEEEESG_SG_SG_PmS8_NS6_8equal_toIiEEEE10hipError_tPvRmT2_T3_mT4_T5_T6_T7_T8_P12ihipStream_tbENKUlT_T0_E_clISt17integral_constantIbLb0EES11_EEDaSW_SX_EUlSW_E_NS1_11comp_targetILNS1_3genE10ELNS1_11target_archE1200ELNS1_3gpuE4ELNS1_3repE0EEENS1_30default_config_static_selectorELNS0_4arch9wavefront6targetE0EEEvT1_,comdat
.Lfunc_end551:
	.size	_ZN7rocprim17ROCPRIM_400000_NS6detail17trampoline_kernelINS0_14default_configENS1_29reduce_by_key_config_selectorIiiN6thrust23THRUST_200600_302600_NS4plusIiEEEEZZNS1_33reduce_by_key_impl_wrapped_configILNS1_25lookback_scan_determinismE0ES3_S9_NS6_6detail15normal_iteratorINS6_10device_ptrIiEEEESG_SG_SG_PmS8_NS6_8equal_toIiEEEE10hipError_tPvRmT2_T3_mT4_T5_T6_T7_T8_P12ihipStream_tbENKUlT_T0_E_clISt17integral_constantIbLb0EES11_EEDaSW_SX_EUlSW_E_NS1_11comp_targetILNS1_3genE10ELNS1_11target_archE1200ELNS1_3gpuE4ELNS1_3repE0EEENS1_30default_config_static_selectorELNS0_4arch9wavefront6targetE0EEEvT1_, .Lfunc_end551-_ZN7rocprim17ROCPRIM_400000_NS6detail17trampoline_kernelINS0_14default_configENS1_29reduce_by_key_config_selectorIiiN6thrust23THRUST_200600_302600_NS4plusIiEEEEZZNS1_33reduce_by_key_impl_wrapped_configILNS1_25lookback_scan_determinismE0ES3_S9_NS6_6detail15normal_iteratorINS6_10device_ptrIiEEEESG_SG_SG_PmS8_NS6_8equal_toIiEEEE10hipError_tPvRmT2_T3_mT4_T5_T6_T7_T8_P12ihipStream_tbENKUlT_T0_E_clISt17integral_constantIbLb0EES11_EEDaSW_SX_EUlSW_E_NS1_11comp_targetILNS1_3genE10ELNS1_11target_archE1200ELNS1_3gpuE4ELNS1_3repE0EEENS1_30default_config_static_selectorELNS0_4arch9wavefront6targetE0EEEvT1_
                                        ; -- End function
	.section	.AMDGPU.csdata,"",@progbits
; Kernel info:
; codeLenInByte = 0
; NumSgprs: 0
; NumVgprs: 0
; ScratchSize: 0
; MemoryBound: 0
; FloatMode: 240
; IeeeMode: 1
; LDSByteSize: 0 bytes/workgroup (compile time only)
; SGPRBlocks: 0
; VGPRBlocks: 0
; NumSGPRsForWavesPerEU: 1
; NumVGPRsForWavesPerEU: 1
; Occupancy: 16
; WaveLimiterHint : 0
; COMPUTE_PGM_RSRC2:SCRATCH_EN: 0
; COMPUTE_PGM_RSRC2:USER_SGPR: 15
; COMPUTE_PGM_RSRC2:TRAP_HANDLER: 0
; COMPUTE_PGM_RSRC2:TGID_X_EN: 1
; COMPUTE_PGM_RSRC2:TGID_Y_EN: 0
; COMPUTE_PGM_RSRC2:TGID_Z_EN: 0
; COMPUTE_PGM_RSRC2:TIDIG_COMP_CNT: 0
	.section	.text._ZN7rocprim17ROCPRIM_400000_NS6detail17trampoline_kernelINS0_14default_configENS1_29reduce_by_key_config_selectorIiiN6thrust23THRUST_200600_302600_NS4plusIiEEEEZZNS1_33reduce_by_key_impl_wrapped_configILNS1_25lookback_scan_determinismE0ES3_S9_NS6_6detail15normal_iteratorINS6_10device_ptrIiEEEESG_SG_SG_PmS8_NS6_8equal_toIiEEEE10hipError_tPvRmT2_T3_mT4_T5_T6_T7_T8_P12ihipStream_tbENKUlT_T0_E_clISt17integral_constantIbLb0EES11_EEDaSW_SX_EUlSW_E_NS1_11comp_targetILNS1_3genE9ELNS1_11target_archE1100ELNS1_3gpuE3ELNS1_3repE0EEENS1_30default_config_static_selectorELNS0_4arch9wavefront6targetE0EEEvT1_,"axG",@progbits,_ZN7rocprim17ROCPRIM_400000_NS6detail17trampoline_kernelINS0_14default_configENS1_29reduce_by_key_config_selectorIiiN6thrust23THRUST_200600_302600_NS4plusIiEEEEZZNS1_33reduce_by_key_impl_wrapped_configILNS1_25lookback_scan_determinismE0ES3_S9_NS6_6detail15normal_iteratorINS6_10device_ptrIiEEEESG_SG_SG_PmS8_NS6_8equal_toIiEEEE10hipError_tPvRmT2_T3_mT4_T5_T6_T7_T8_P12ihipStream_tbENKUlT_T0_E_clISt17integral_constantIbLb0EES11_EEDaSW_SX_EUlSW_E_NS1_11comp_targetILNS1_3genE9ELNS1_11target_archE1100ELNS1_3gpuE3ELNS1_3repE0EEENS1_30default_config_static_selectorELNS0_4arch9wavefront6targetE0EEEvT1_,comdat
	.protected	_ZN7rocprim17ROCPRIM_400000_NS6detail17trampoline_kernelINS0_14default_configENS1_29reduce_by_key_config_selectorIiiN6thrust23THRUST_200600_302600_NS4plusIiEEEEZZNS1_33reduce_by_key_impl_wrapped_configILNS1_25lookback_scan_determinismE0ES3_S9_NS6_6detail15normal_iteratorINS6_10device_ptrIiEEEESG_SG_SG_PmS8_NS6_8equal_toIiEEEE10hipError_tPvRmT2_T3_mT4_T5_T6_T7_T8_P12ihipStream_tbENKUlT_T0_E_clISt17integral_constantIbLb0EES11_EEDaSW_SX_EUlSW_E_NS1_11comp_targetILNS1_3genE9ELNS1_11target_archE1100ELNS1_3gpuE3ELNS1_3repE0EEENS1_30default_config_static_selectorELNS0_4arch9wavefront6targetE0EEEvT1_ ; -- Begin function _ZN7rocprim17ROCPRIM_400000_NS6detail17trampoline_kernelINS0_14default_configENS1_29reduce_by_key_config_selectorIiiN6thrust23THRUST_200600_302600_NS4plusIiEEEEZZNS1_33reduce_by_key_impl_wrapped_configILNS1_25lookback_scan_determinismE0ES3_S9_NS6_6detail15normal_iteratorINS6_10device_ptrIiEEEESG_SG_SG_PmS8_NS6_8equal_toIiEEEE10hipError_tPvRmT2_T3_mT4_T5_T6_T7_T8_P12ihipStream_tbENKUlT_T0_E_clISt17integral_constantIbLb0EES11_EEDaSW_SX_EUlSW_E_NS1_11comp_targetILNS1_3genE9ELNS1_11target_archE1100ELNS1_3gpuE3ELNS1_3repE0EEENS1_30default_config_static_selectorELNS0_4arch9wavefront6targetE0EEEvT1_
	.globl	_ZN7rocprim17ROCPRIM_400000_NS6detail17trampoline_kernelINS0_14default_configENS1_29reduce_by_key_config_selectorIiiN6thrust23THRUST_200600_302600_NS4plusIiEEEEZZNS1_33reduce_by_key_impl_wrapped_configILNS1_25lookback_scan_determinismE0ES3_S9_NS6_6detail15normal_iteratorINS6_10device_ptrIiEEEESG_SG_SG_PmS8_NS6_8equal_toIiEEEE10hipError_tPvRmT2_T3_mT4_T5_T6_T7_T8_P12ihipStream_tbENKUlT_T0_E_clISt17integral_constantIbLb0EES11_EEDaSW_SX_EUlSW_E_NS1_11comp_targetILNS1_3genE9ELNS1_11target_archE1100ELNS1_3gpuE3ELNS1_3repE0EEENS1_30default_config_static_selectorELNS0_4arch9wavefront6targetE0EEEvT1_
	.p2align	8
	.type	_ZN7rocprim17ROCPRIM_400000_NS6detail17trampoline_kernelINS0_14default_configENS1_29reduce_by_key_config_selectorIiiN6thrust23THRUST_200600_302600_NS4plusIiEEEEZZNS1_33reduce_by_key_impl_wrapped_configILNS1_25lookback_scan_determinismE0ES3_S9_NS6_6detail15normal_iteratorINS6_10device_ptrIiEEEESG_SG_SG_PmS8_NS6_8equal_toIiEEEE10hipError_tPvRmT2_T3_mT4_T5_T6_T7_T8_P12ihipStream_tbENKUlT_T0_E_clISt17integral_constantIbLb0EES11_EEDaSW_SX_EUlSW_E_NS1_11comp_targetILNS1_3genE9ELNS1_11target_archE1100ELNS1_3gpuE3ELNS1_3repE0EEENS1_30default_config_static_selectorELNS0_4arch9wavefront6targetE0EEEvT1_,@function
_ZN7rocprim17ROCPRIM_400000_NS6detail17trampoline_kernelINS0_14default_configENS1_29reduce_by_key_config_selectorIiiN6thrust23THRUST_200600_302600_NS4plusIiEEEEZZNS1_33reduce_by_key_impl_wrapped_configILNS1_25lookback_scan_determinismE0ES3_S9_NS6_6detail15normal_iteratorINS6_10device_ptrIiEEEESG_SG_SG_PmS8_NS6_8equal_toIiEEEE10hipError_tPvRmT2_T3_mT4_T5_T6_T7_T8_P12ihipStream_tbENKUlT_T0_E_clISt17integral_constantIbLb0EES11_EEDaSW_SX_EUlSW_E_NS1_11comp_targetILNS1_3genE9ELNS1_11target_archE1100ELNS1_3gpuE3ELNS1_3repE0EEENS1_30default_config_static_selectorELNS0_4arch9wavefront6targetE0EEEvT1_: ; @_ZN7rocprim17ROCPRIM_400000_NS6detail17trampoline_kernelINS0_14default_configENS1_29reduce_by_key_config_selectorIiiN6thrust23THRUST_200600_302600_NS4plusIiEEEEZZNS1_33reduce_by_key_impl_wrapped_configILNS1_25lookback_scan_determinismE0ES3_S9_NS6_6detail15normal_iteratorINS6_10device_ptrIiEEEESG_SG_SG_PmS8_NS6_8equal_toIiEEEE10hipError_tPvRmT2_T3_mT4_T5_T6_T7_T8_P12ihipStream_tbENKUlT_T0_E_clISt17integral_constantIbLb0EES11_EEDaSW_SX_EUlSW_E_NS1_11comp_targetILNS1_3genE9ELNS1_11target_archE1100ELNS1_3gpuE3ELNS1_3repE0EEENS1_30default_config_static_selectorELNS0_4arch9wavefront6targetE0EEEvT1_
; %bb.0:
	s_clause 0x4
	s_load_b256 s[16:23], s[0:1], 0x0
	s_load_b256 s[24:31], s[0:1], 0x38
	s_load_b128 s[36:39], s[0:1], 0x20
	s_load_b64 s[34:35], s[0:1], 0x68
	s_load_b128 s[40:43], s[0:1], 0x58
	s_mov_b32 s3, 0
	s_mul_i32 s2, s15, 0xf00
	s_waitcnt lgkmcnt(0)
	s_lshl_b64 s[0:1], s[18:19], 2
	s_mul_i32 s4, s28, s27
	s_add_u32 s8, s16, s0
	s_mul_hi_u32 s5, s28, s26
	s_addc_u32 s9, s17, s1
	s_add_u32 s10, s20, s0
	s_mul_i32 s6, s29, s26
	s_addc_u32 s11, s21, s1
	s_add_i32 s4, s5, s4
	s_lshl_b64 s[0:1], s[2:3], 2
	s_add_i32 s4, s4, s6
	s_add_u32 s33, s8, s0
	s_addc_u32 s29, s9, s1
	s_mul_i32 s7, s28, s26
	s_add_u32 s18, s10, s0
	s_addc_u32 s19, s11, s1
	s_add_u32 s16, s7, s15
	s_addc_u32 s17, s4, 0
	s_add_u32 s0, s30, -1
	s_addc_u32 s1, s31, -1
	s_mul_i32 s21, s0, 0xfffff100
	s_cmp_eq_u64 s[16:17], s[0:1]
	s_cselect_b32 s20, -1, 0
	s_cmp_lg_u64 s[16:17], s[0:1]
	s_cselect_b32 s14, -1, 0
	s_and_b32 vcc_lo, exec_lo, s20
	s_cbranch_vccnz .LBB552_2
; %bb.1:
	v_lshlrev_b32_e32 v8, 2, v0
	s_delay_alu instid0(VALU_DEP_1) | instskip(NEXT) | instid1(VALU_DEP_1)
	v_add_co_u32 v1, s0, s33, v8
	v_add_co_ci_u32_e64 v2, null, s29, 0, s0
	s_delay_alu instid0(VALU_DEP_2) | instskip(NEXT) | instid1(VALU_DEP_2)
	v_add_co_u32 v3, vcc_lo, 0x1000, v1
	v_add_co_ci_u32_e32 v4, vcc_lo, 0, v2, vcc_lo
	s_clause 0x7
	flat_load_b32 v9, v[1:2]
	flat_load_b32 v10, v[1:2] offset:1024
	flat_load_b32 v11, v[1:2] offset:2048
	;; [unrolled: 1-line block ×3, first 2 shown]
	flat_load_b32 v13, v[3:4]
	flat_load_b32 v14, v[3:4] offset:1024
	flat_load_b32 v15, v[3:4] offset:2048
	;; [unrolled: 1-line block ×3, first 2 shown]
	v_add_co_u32 v3, vcc_lo, 0x2000, v1
	v_add_co_ci_u32_e32 v4, vcc_lo, 0, v2, vcc_lo
	v_add_co_u32 v1, vcc_lo, 0x3000, v1
	v_add_co_ci_u32_e32 v2, vcc_lo, 0, v2, vcc_lo
	s_clause 0x6
	flat_load_b32 v17, v[3:4]
	flat_load_b32 v18, v[3:4] offset:1024
	flat_load_b32 v19, v[3:4] offset:2048
	;; [unrolled: 1-line block ×3, first 2 shown]
	flat_load_b32 v21, v[1:2]
	flat_load_b32 v22, v[1:2] offset:1024
	flat_load_b32 v25, v[1:2] offset:2048
	v_add_co_u32 v2, s0, s18, v8
	s_delay_alu instid0(VALU_DEP_1) | instskip(SKIP_1) | instid1(VALU_DEP_3)
	v_add_co_ci_u32_e64 v3, null, s19, 0, s0
	v_mad_u32_u24 v1, v0, 56, v8
	v_add_co_u32 v4, vcc_lo, 0x1000, v2
	s_delay_alu instid0(VALU_DEP_3)
	v_add_co_ci_u32_e32 v5, vcc_lo, 0, v3, vcc_lo
	v_add_co_u32 v6, vcc_lo, 0x2000, v2
	v_add_co_ci_u32_e32 v7, vcc_lo, 0, v3, vcc_lo
	v_add_co_u32 v23, vcc_lo, 0x3000, v2
	v_add_co_ci_u32_e32 v24, vcc_lo, 0, v3, vcc_lo
	s_waitcnt vmcnt(13) lgkmcnt(13)
	ds_store_2addr_stride64_b32 v8, v9, v10 offset1:4
	s_waitcnt vmcnt(11) lgkmcnt(12)
	ds_store_2addr_stride64_b32 v8, v11, v12 offset0:8 offset1:12
	s_waitcnt vmcnt(9) lgkmcnt(11)
	ds_store_2addr_stride64_b32 v8, v13, v14 offset0:16 offset1:20
	;; [unrolled: 2-line block ×6, first 2 shown]
	s_waitcnt vmcnt(0) lgkmcnt(7)
	ds_store_b32 v8, v25 offset:14336
	s_waitcnt lgkmcnt(0)
	s_barrier
	buffer_gl0_inv
	ds_load_2addr_b32 v[21:22], v1 offset1:1
	ds_load_2addr_b32 v[19:20], v1 offset0:2 offset1:3
	ds_load_2addr_b32 v[17:18], v1 offset0:4 offset1:5
	;; [unrolled: 1-line block ×6, first 2 shown]
	ds_load_b32 v63, v1 offset:56
	s_waitcnt lgkmcnt(0)
	s_barrier
	buffer_gl0_inv
	s_clause 0xe
	flat_load_b32 v25, v[2:3]
	flat_load_b32 v26, v[2:3] offset:1024
	flat_load_b32 v27, v[2:3] offset:2048
	flat_load_b32 v2, v[2:3] offset:3072
	flat_load_b32 v3, v[4:5]
	flat_load_b32 v28, v[4:5] offset:1024
	flat_load_b32 v29, v[4:5] offset:2048
	flat_load_b32 v4, v[4:5] offset:3072
	;; [unrolled: 4-line block ×3, first 2 shown]
	flat_load_b32 v7, v[23:24]
	flat_load_b32 v32, v[23:24] offset:1024
	flat_load_b32 v23, v[23:24] offset:2048
	s_waitcnt vmcnt(13) lgkmcnt(13)
	ds_store_2addr_stride64_b32 v8, v25, v26 offset1:4
	s_waitcnt vmcnt(11) lgkmcnt(12)
	ds_store_2addr_stride64_b32 v8, v27, v2 offset0:8 offset1:12
	s_waitcnt vmcnt(9) lgkmcnt(11)
	ds_store_2addr_stride64_b32 v8, v3, v28 offset0:16 offset1:20
	;; [unrolled: 2-line block ×6, first 2 shown]
	s_waitcnt vmcnt(0) lgkmcnt(7)
	ds_store_b32 v8, v23 offset:14336
	s_waitcnt lgkmcnt(0)
	s_barrier
	s_and_not1_b32 vcc_lo, exec_lo, s3
	s_add_i32 s21, s21, s40
	s_cbranch_vccz .LBB552_3
	s_branch .LBB552_50
.LBB552_2:
                                        ; implicit-def: $vgpr1
                                        ; implicit-def: $vgpr21
                                        ; implicit-def: $vgpr19
                                        ; implicit-def: $vgpr17
                                        ; implicit-def: $vgpr15
                                        ; implicit-def: $vgpr13
                                        ; implicit-def: $vgpr11
                                        ; implicit-def: $vgpr9
                                        ; implicit-def: $vgpr63
	s_add_i32 s21, s21, s40
.LBB552_3:
	s_delay_alu instid0(SALU_CYCLE_1)
	v_cmp_gt_u32_e32 vcc_lo, s21, v0
                                        ; implicit-def: $vgpr1
	s_and_saveexec_b32 s0, vcc_lo
	s_cbranch_execz .LBB552_5
; %bb.4:
	v_lshlrev_b32_e32 v1, 2, v0
	s_delay_alu instid0(VALU_DEP_1) | instskip(NEXT) | instid1(VALU_DEP_1)
	v_add_co_u32 v1, s1, s33, v1
	v_add_co_ci_u32_e64 v2, null, s29, 0, s1
	flat_load_b32 v1, v[1:2]
.LBB552_5:
	s_or_b32 exec_lo, exec_lo, s0
	v_or_b32_e32 v2, 0x100, v0
                                        ; implicit-def: $vgpr9
	s_delay_alu instid0(VALU_DEP_1) | instskip(NEXT) | instid1(VALU_DEP_1)
	v_cmp_gt_u32_e64 s0, s21, v2
	s_and_saveexec_b32 s1, s0
	s_cbranch_execz .LBB552_7
; %bb.6:
	v_lshlrev_b32_e32 v2, 2, v0
	s_delay_alu instid0(VALU_DEP_1) | instskip(NEXT) | instid1(VALU_DEP_1)
	v_add_co_u32 v2, s2, s33, v2
	v_add_co_ci_u32_e64 v3, null, s29, 0, s2
	flat_load_b32 v9, v[2:3] offset:1024
.LBB552_7:
	s_or_b32 exec_lo, exec_lo, s1
	v_or_b32_e32 v2, 0x200, v0
                                        ; implicit-def: $vgpr10
	s_delay_alu instid0(VALU_DEP_1) | instskip(NEXT) | instid1(VALU_DEP_1)
	v_cmp_gt_u32_e64 s1, s21, v2
	s_and_saveexec_b32 s2, s1
	s_cbranch_execz .LBB552_9
; %bb.8:
	v_lshlrev_b32_e32 v2, 2, v0
	s_delay_alu instid0(VALU_DEP_1) | instskip(NEXT) | instid1(VALU_DEP_1)
	v_add_co_u32 v2, s3, s33, v2
	v_add_co_ci_u32_e64 v3, null, s29, 0, s3
	flat_load_b32 v10, v[2:3] offset:2048
.LBB552_9:
	s_or_b32 exec_lo, exec_lo, s2
	v_or_b32_e32 v2, 0x300, v0
                                        ; implicit-def: $vgpr11
	s_delay_alu instid0(VALU_DEP_1) | instskip(NEXT) | instid1(VALU_DEP_1)
	v_cmp_gt_u32_e64 s2, s21, v2
	s_and_saveexec_b32 s3, s2
	s_cbranch_execz .LBB552_11
; %bb.10:
	v_lshlrev_b32_e32 v2, 2, v0
	s_delay_alu instid0(VALU_DEP_1) | instskip(NEXT) | instid1(VALU_DEP_1)
	v_add_co_u32 v2, s4, s33, v2
	v_add_co_ci_u32_e64 v3, null, s29, 0, s4
	flat_load_b32 v11, v[2:3] offset:3072
.LBB552_11:
	s_or_b32 exec_lo, exec_lo, s3
	v_or_b32_e32 v2, 0x400, v0
                                        ; implicit-def: $vgpr12
	s_delay_alu instid0(VALU_DEP_1) | instskip(SKIP_1) | instid1(VALU_DEP_2)
	v_cmp_gt_u32_e64 s3, s21, v2
	v_lshlrev_b32_e32 v2, 2, v2
	s_and_saveexec_b32 s4, s3
	s_cbranch_execz .LBB552_13
; %bb.12:
	s_delay_alu instid0(VALU_DEP_1) | instskip(NEXT) | instid1(VALU_DEP_1)
	v_add_co_u32 v3, s5, s33, v2
	v_add_co_ci_u32_e64 v4, null, s29, 0, s5
	flat_load_b32 v12, v[3:4]
.LBB552_13:
	s_or_b32 exec_lo, exec_lo, s4
	v_or_b32_e32 v3, 0x500, v0
                                        ; implicit-def: $vgpr13
	s_delay_alu instid0(VALU_DEP_1) | instskip(SKIP_1) | instid1(VALU_DEP_2)
	v_cmp_gt_u32_e64 s4, s21, v3
	v_lshlrev_b32_e32 v3, 2, v3
	s_and_saveexec_b32 s5, s4
	s_cbranch_execz .LBB552_15
; %bb.14:
	s_delay_alu instid0(VALU_DEP_1) | instskip(NEXT) | instid1(VALU_DEP_1)
	v_add_co_u32 v4, s6, s33, v3
	v_add_co_ci_u32_e64 v5, null, s29, 0, s6
	flat_load_b32 v13, v[4:5]
.LBB552_15:
	s_or_b32 exec_lo, exec_lo, s5
	v_or_b32_e32 v4, 0x600, v0
                                        ; implicit-def: $vgpr14
	s_delay_alu instid0(VALU_DEP_1) | instskip(SKIP_1) | instid1(VALU_DEP_2)
	v_cmp_gt_u32_e64 s5, s21, v4
	v_lshlrev_b32_e32 v4, 2, v4
	s_and_saveexec_b32 s6, s5
	s_cbranch_execz .LBB552_17
; %bb.16:
	s_delay_alu instid0(VALU_DEP_1) | instskip(NEXT) | instid1(VALU_DEP_1)
	v_add_co_u32 v5, s7, s33, v4
	v_add_co_ci_u32_e64 v6, null, s29, 0, s7
	flat_load_b32 v14, v[5:6]
.LBB552_17:
	s_or_b32 exec_lo, exec_lo, s6
	v_or_b32_e32 v5, 0x700, v0
                                        ; implicit-def: $vgpr15
	s_delay_alu instid0(VALU_DEP_1) | instskip(SKIP_1) | instid1(VALU_DEP_2)
	v_cmp_gt_u32_e64 s6, s21, v5
	v_lshlrev_b32_e32 v5, 2, v5
	s_and_saveexec_b32 s7, s6
	s_cbranch_execz .LBB552_19
; %bb.18:
	s_delay_alu instid0(VALU_DEP_1) | instskip(NEXT) | instid1(VALU_DEP_1)
	v_add_co_u32 v6, s8, s33, v5
	v_add_co_ci_u32_e64 v7, null, s29, 0, s8
	flat_load_b32 v15, v[6:7]
.LBB552_19:
	s_or_b32 exec_lo, exec_lo, s7
	v_or_b32_e32 v6, 0x800, v0
                                        ; implicit-def: $vgpr16
	s_delay_alu instid0(VALU_DEP_1) | instskip(SKIP_1) | instid1(VALU_DEP_2)
	v_cmp_gt_u32_e64 s7, s21, v6
	v_lshlrev_b32_e32 v6, 2, v6
	s_and_saveexec_b32 s8, s7
	s_cbranch_execz .LBB552_21
; %bb.20:
	s_delay_alu instid0(VALU_DEP_1) | instskip(NEXT) | instid1(VALU_DEP_1)
	v_add_co_u32 v7, s9, s33, v6
	v_add_co_ci_u32_e64 v8, null, s29, 0, s9
	flat_load_b32 v16, v[7:8]
.LBB552_21:
	s_or_b32 exec_lo, exec_lo, s8
	v_or_b32_e32 v7, 0x900, v0
                                        ; implicit-def: $vgpr17
	s_delay_alu instid0(VALU_DEP_1) | instskip(SKIP_1) | instid1(VALU_DEP_2)
	v_cmp_gt_u32_e64 s8, s21, v7
	v_lshlrev_b32_e32 v7, 2, v7
	s_and_saveexec_b32 s9, s8
	s_cbranch_execz .LBB552_23
; %bb.22:
	s_delay_alu instid0(VALU_DEP_1) | instskip(NEXT) | instid1(VALU_DEP_1)
	v_add_co_u32 v17, s10, s33, v7
	v_add_co_ci_u32_e64 v18, null, s29, 0, s10
	flat_load_b32 v17, v[17:18]
.LBB552_23:
	s_or_b32 exec_lo, exec_lo, s9
	v_or_b32_e32 v8, 0xa00, v0
                                        ; implicit-def: $vgpr18
	s_delay_alu instid0(VALU_DEP_1) | instskip(SKIP_1) | instid1(VALU_DEP_2)
	v_cmp_gt_u32_e64 s9, s21, v8
	v_lshlrev_b32_e32 v23, 2, v8
	s_and_saveexec_b32 s10, s9
	s_cbranch_execz .LBB552_25
; %bb.24:
	s_delay_alu instid0(VALU_DEP_1) | instskip(NEXT) | instid1(VALU_DEP_1)
	v_add_co_u32 v18, s11, s33, v23
	v_add_co_ci_u32_e64 v19, null, s29, 0, s11
	flat_load_b32 v18, v[18:19]
.LBB552_25:
	s_or_b32 exec_lo, exec_lo, s10
	v_or_b32_e32 v8, 0xb00, v0
                                        ; implicit-def: $vgpr19
	s_delay_alu instid0(VALU_DEP_1) | instskip(SKIP_1) | instid1(VALU_DEP_2)
	v_cmp_gt_u32_e64 s10, s21, v8
	v_lshlrev_b32_e32 v24, 2, v8
	s_and_saveexec_b32 s11, s10
	s_cbranch_execz .LBB552_27
; %bb.26:
	s_delay_alu instid0(VALU_DEP_1) | instskip(NEXT) | instid1(VALU_DEP_1)
	v_add_co_u32 v19, s12, s33, v24
	v_add_co_ci_u32_e64 v20, null, s29, 0, s12
	flat_load_b32 v19, v[19:20]
.LBB552_27:
	s_or_b32 exec_lo, exec_lo, s11
	v_or_b32_e32 v8, 0xc00, v0
                                        ; implicit-def: $vgpr20
	s_delay_alu instid0(VALU_DEP_1) | instskip(SKIP_1) | instid1(VALU_DEP_2)
	v_cmp_gt_u32_e64 s11, s21, v8
	v_lshlrev_b32_e32 v25, 2, v8
	s_and_saveexec_b32 s12, s11
	s_cbranch_execz .LBB552_29
; %bb.28:
	s_delay_alu instid0(VALU_DEP_1) | instskip(NEXT) | instid1(VALU_DEP_1)
	v_add_co_u32 v20, s13, s33, v25
	v_add_co_ci_u32_e64 v21, null, s29, 0, s13
	flat_load_b32 v20, v[20:21]
.LBB552_29:
	s_or_b32 exec_lo, exec_lo, s12
	v_or_b32_e32 v8, 0xd00, v0
                                        ; implicit-def: $vgpr21
	s_delay_alu instid0(VALU_DEP_1) | instskip(SKIP_1) | instid1(VALU_DEP_2)
	v_cmp_gt_u32_e64 s12, s21, v8
	v_lshlrev_b32_e32 v26, 2, v8
	s_and_saveexec_b32 s13, s12
	s_cbranch_execz .LBB552_31
; %bb.30:
	s_delay_alu instid0(VALU_DEP_1) | instskip(NEXT) | instid1(VALU_DEP_1)
	v_add_co_u32 v21, s28, s33, v26
	v_add_co_ci_u32_e64 v22, null, s29, 0, s28
	flat_load_b32 v21, v[21:22]
.LBB552_31:
	s_or_b32 exec_lo, exec_lo, s13
	v_or_b32_e32 v8, 0xe00, v0
                                        ; implicit-def: $vgpr22
	s_delay_alu instid0(VALU_DEP_1) | instskip(SKIP_1) | instid1(VALU_DEP_2)
	v_cmp_gt_u32_e64 s13, s21, v8
	v_lshlrev_b32_e32 v27, 2, v8
	s_and_saveexec_b32 s28, s13
	s_cbranch_execz .LBB552_33
; %bb.32:
	s_delay_alu instid0(VALU_DEP_1) | instskip(NEXT) | instid1(VALU_DEP_1)
	v_add_co_u32 v28, s30, s33, v27
	v_add_co_ci_u32_e64 v29, null, s29, 0, s30
	flat_load_b32 v22, v[28:29]
.LBB552_33:
	s_or_b32 exec_lo, exec_lo, s28
	v_lshlrev_b32_e32 v8, 2, v0
                                        ; implicit-def: $vgpr28
	s_waitcnt vmcnt(0) lgkmcnt(0)
	ds_store_2addr_stride64_b32 v8, v1, v9 offset1:4
	ds_store_2addr_stride64_b32 v8, v10, v11 offset0:8 offset1:12
	ds_store_2addr_stride64_b32 v8, v12, v13 offset0:16 offset1:20
	;; [unrolled: 1-line block ×6, first 2 shown]
	v_mad_u32_u24 v1, v0, 56, v8
	ds_store_b32 v8, v22 offset:14336
	s_waitcnt lgkmcnt(0)
	s_barrier
	buffer_gl0_inv
	ds_load_2addr_b32 v[21:22], v1 offset1:1
	ds_load_2addr_b32 v[19:20], v1 offset0:2 offset1:3
	ds_load_2addr_b32 v[17:18], v1 offset0:4 offset1:5
	;; [unrolled: 1-line block ×6, first 2 shown]
	ds_load_b32 v63, v1 offset:56
	s_waitcnt lgkmcnt(0)
	s_barrier
	buffer_gl0_inv
	s_and_saveexec_b32 s28, vcc_lo
	s_cbranch_execnz .LBB552_57
; %bb.34:
	s_or_b32 exec_lo, exec_lo, s28
                                        ; implicit-def: $vgpr29
	s_and_saveexec_b32 s28, s0
	s_cbranch_execnz .LBB552_58
.LBB552_35:
	s_or_b32 exec_lo, exec_lo, s28
                                        ; implicit-def: $vgpr30
	s_and_saveexec_b32 s0, s1
	s_cbranch_execnz .LBB552_59
.LBB552_36:
	s_or_b32 exec_lo, exec_lo, s0
                                        ; implicit-def: $vgpr31
	s_and_saveexec_b32 s0, s2
	s_cbranch_execnz .LBB552_60
.LBB552_37:
	s_or_b32 exec_lo, exec_lo, s0
                                        ; implicit-def: $vgpr32
	s_and_saveexec_b32 s0, s3
	s_cbranch_execnz .LBB552_61
.LBB552_38:
	s_or_b32 exec_lo, exec_lo, s0
                                        ; implicit-def: $vgpr2
	s_and_saveexec_b32 s0, s4
	s_cbranch_execnz .LBB552_62
.LBB552_39:
	s_or_b32 exec_lo, exec_lo, s0
                                        ; implicit-def: $vgpr3
	s_and_saveexec_b32 s0, s5
	s_cbranch_execnz .LBB552_63
.LBB552_40:
	s_or_b32 exec_lo, exec_lo, s0
                                        ; implicit-def: $vgpr4
	s_and_saveexec_b32 s0, s6
	s_cbranch_execnz .LBB552_64
.LBB552_41:
	s_or_b32 exec_lo, exec_lo, s0
                                        ; implicit-def: $vgpr5
	s_and_saveexec_b32 s0, s7
	s_cbranch_execnz .LBB552_65
.LBB552_42:
	s_or_b32 exec_lo, exec_lo, s0
                                        ; implicit-def: $vgpr6
	s_and_saveexec_b32 s0, s8
	s_cbranch_execnz .LBB552_66
.LBB552_43:
	s_or_b32 exec_lo, exec_lo, s0
                                        ; implicit-def: $vgpr7
	s_and_saveexec_b32 s0, s9
	s_cbranch_execnz .LBB552_67
.LBB552_44:
	s_or_b32 exec_lo, exec_lo, s0
                                        ; implicit-def: $vgpr23
	s_and_saveexec_b32 s0, s10
	s_cbranch_execnz .LBB552_68
.LBB552_45:
	s_or_b32 exec_lo, exec_lo, s0
                                        ; implicit-def: $vgpr24
	s_and_saveexec_b32 s0, s11
	s_cbranch_execnz .LBB552_69
.LBB552_46:
	s_or_b32 exec_lo, exec_lo, s0
                                        ; implicit-def: $vgpr25
	s_and_saveexec_b32 s0, s12
	s_cbranch_execnz .LBB552_70
.LBB552_47:
	s_or_b32 exec_lo, exec_lo, s0
                                        ; implicit-def: $vgpr26
	s_and_saveexec_b32 s0, s13
	s_cbranch_execz .LBB552_49
.LBB552_48:
	v_add_co_u32 v26, s1, s18, v27
	s_delay_alu instid0(VALU_DEP_1)
	v_add_co_ci_u32_e64 v27, null, s19, 0, s1
	flat_load_b32 v26, v[26:27]
.LBB552_49:
	s_or_b32 exec_lo, exec_lo, s0
	s_waitcnt vmcnt(0) lgkmcnt(0)
	ds_store_2addr_stride64_b32 v8, v28, v29 offset1:4
	ds_store_2addr_stride64_b32 v8, v30, v31 offset0:8 offset1:12
	ds_store_2addr_stride64_b32 v8, v32, v2 offset0:16 offset1:20
	;; [unrolled: 1-line block ×6, first 2 shown]
	ds_store_b32 v8, v26 offset:14336
	s_waitcnt lgkmcnt(0)
	s_barrier
.LBB552_50:
	buffer_gl0_inv
	ds_load_2addr_b32 v[35:36], v1 offset1:1
	ds_load_2addr_b32 v[33:34], v1 offset0:2 offset1:3
	ds_load_2addr_b32 v[31:32], v1 offset0:4 offset1:5
	;; [unrolled: 1-line block ×6, first 2 shown]
	ds_load_b32 v79, v1 offset:56
	s_cmp_eq_u64 s[16:17], 0
	s_waitcnt lgkmcnt(0)
	s_cselect_b32 s28, -1, 0
	s_cmp_lg_u64 s[16:17], 0
	s_barrier
	s_cselect_b32 s31, -1, 0
	s_and_b32 vcc_lo, exec_lo, s14
	buffer_gl0_inv
	s_cbranch_vccz .LBB552_56
; %bb.51:
	s_and_b32 vcc_lo, exec_lo, s31
	s_cbranch_vccz .LBB552_71
; %bb.52:
	v_add_co_u32 v1, s0, -4, s33
	s_delay_alu instid0(VALU_DEP_1)
	v_add_co_ci_u32_e64 v2, null, -1, s29, s0
	v_cmp_ne_u32_e32 vcc_lo, v10, v63
	v_cmp_ne_u32_e64 s0, v9, v10
	v_cmp_ne_u32_e64 s1, v12, v9
	flat_load_b32 v1, v[1:2]
	v_lshlrev_b32_e32 v2, 2, v0
	v_cmp_ne_u32_e64 s2, v11, v12
	v_cmp_ne_u32_e64 s3, v14, v11
	;; [unrolled: 1-line block ×11, first 2 shown]
	s_mov_b32 s30, -1
	s_mov_b32 s14, 0
	s_mov_b32 s18, exec_lo
	ds_store_b32 v2, v63
	s_waitcnt vmcnt(0) lgkmcnt(0)
	s_barrier
	buffer_gl0_inv
	v_cmpx_ne_u32_e32 0, v0
	s_cbranch_execz .LBB552_54
; %bb.53:
	v_add_nc_u32_e32 v1, -4, v2
	ds_load_b32 v1, v1
.LBB552_54:
	s_or_b32 exec_lo, exec_lo, s18
	v_cndmask_b32_e64 v69, 0, 1, vcc_lo
	v_cndmask_b32_e64 v64, 0, 1, s0
	v_cndmask_b32_e64 v65, 0, 1, s1
	;; [unrolled: 1-line block ×13, first 2 shown]
	s_waitcnt lgkmcnt(0)
	v_cmp_ne_u32_e64 s0, v1, v21
	s_and_b32 vcc_lo, exec_lo, s14
	s_cbranch_vccnz .LBB552_72
.LBB552_55:
                                        ; implicit-def: $sgpr1
	s_branch .LBB552_83
.LBB552_56:
	s_mov_b32 s30, 0
                                        ; implicit-def: $sgpr0
                                        ; implicit-def: $vgpr69
                                        ; implicit-def: $vgpr64
                                        ; implicit-def: $vgpr65
                                        ; implicit-def: $vgpr66
                                        ; implicit-def: $vgpr67
                                        ; implicit-def: $vgpr68
                                        ; implicit-def: $vgpr70
                                        ; implicit-def: $vgpr71
                                        ; implicit-def: $vgpr72
                                        ; implicit-def: $vgpr73
                                        ; implicit-def: $vgpr74
                                        ; implicit-def: $vgpr75
                                        ; implicit-def: $vgpr76
                                        ; implicit-def: $vgpr77
                                        ; implicit-def: $sgpr1
	s_cbranch_execnz .LBB552_75
	s_branch .LBB552_83
.LBB552_57:
	v_add_co_u32 v28, s30, s18, v8
	s_delay_alu instid0(VALU_DEP_1)
	v_add_co_ci_u32_e64 v29, null, s19, 0, s30
	flat_load_b32 v28, v[28:29]
	s_or_b32 exec_lo, exec_lo, s28
                                        ; implicit-def: $vgpr29
	s_and_saveexec_b32 s28, s0
	s_cbranch_execz .LBB552_35
.LBB552_58:
	v_add_co_u32 v29, s0, s18, v8
	s_delay_alu instid0(VALU_DEP_1)
	v_add_co_ci_u32_e64 v30, null, s19, 0, s0
	flat_load_b32 v29, v[29:30] offset:1024
	s_or_b32 exec_lo, exec_lo, s28
                                        ; implicit-def: $vgpr30
	s_and_saveexec_b32 s0, s1
	s_cbranch_execz .LBB552_36
.LBB552_59:
	v_add_co_u32 v30, s1, s18, v8
	s_delay_alu instid0(VALU_DEP_1)
	v_add_co_ci_u32_e64 v31, null, s19, 0, s1
	flat_load_b32 v30, v[30:31] offset:2048
	s_or_b32 exec_lo, exec_lo, s0
                                        ; implicit-def: $vgpr31
	s_and_saveexec_b32 s0, s2
	s_cbranch_execz .LBB552_37
.LBB552_60:
	v_add_co_u32 v31, s1, s18, v8
	s_delay_alu instid0(VALU_DEP_1)
	v_add_co_ci_u32_e64 v32, null, s19, 0, s1
	flat_load_b32 v31, v[31:32] offset:3072
	s_or_b32 exec_lo, exec_lo, s0
                                        ; implicit-def: $vgpr32
	s_and_saveexec_b32 s0, s3
	s_cbranch_execz .LBB552_38
.LBB552_61:
	v_add_co_u32 v32, s1, s18, v2
	s_delay_alu instid0(VALU_DEP_1)
	v_add_co_ci_u32_e64 v33, null, s19, 0, s1
	flat_load_b32 v32, v[32:33]
	s_or_b32 exec_lo, exec_lo, s0
                                        ; implicit-def: $vgpr2
	s_and_saveexec_b32 s0, s4
	s_cbranch_execz .LBB552_39
.LBB552_62:
	v_add_co_u32 v2, s1, s18, v3
	s_delay_alu instid0(VALU_DEP_1)
	v_add_co_ci_u32_e64 v3, null, s19, 0, s1
	flat_load_b32 v2, v[2:3]
	s_or_b32 exec_lo, exec_lo, s0
                                        ; implicit-def: $vgpr3
	s_and_saveexec_b32 s0, s5
	s_cbranch_execz .LBB552_40
.LBB552_63:
	v_add_co_u32 v3, s1, s18, v4
	s_delay_alu instid0(VALU_DEP_1)
	v_add_co_ci_u32_e64 v4, null, s19, 0, s1
	flat_load_b32 v3, v[3:4]
	s_or_b32 exec_lo, exec_lo, s0
                                        ; implicit-def: $vgpr4
	s_and_saveexec_b32 s0, s6
	s_cbranch_execz .LBB552_41
.LBB552_64:
	v_add_co_u32 v4, s1, s18, v5
	s_delay_alu instid0(VALU_DEP_1)
	v_add_co_ci_u32_e64 v5, null, s19, 0, s1
	flat_load_b32 v4, v[4:5]
	s_or_b32 exec_lo, exec_lo, s0
                                        ; implicit-def: $vgpr5
	s_and_saveexec_b32 s0, s7
	s_cbranch_execz .LBB552_42
.LBB552_65:
	v_add_co_u32 v5, s1, s18, v6
	s_delay_alu instid0(VALU_DEP_1)
	v_add_co_ci_u32_e64 v6, null, s19, 0, s1
	flat_load_b32 v5, v[5:6]
	s_or_b32 exec_lo, exec_lo, s0
                                        ; implicit-def: $vgpr6
	s_and_saveexec_b32 s0, s8
	s_cbranch_execz .LBB552_43
.LBB552_66:
	v_add_co_u32 v6, s1, s18, v7
	s_delay_alu instid0(VALU_DEP_1)
	v_add_co_ci_u32_e64 v7, null, s19, 0, s1
	flat_load_b32 v6, v[6:7]
	s_or_b32 exec_lo, exec_lo, s0
                                        ; implicit-def: $vgpr7
	s_and_saveexec_b32 s0, s9
	s_cbranch_execz .LBB552_44
.LBB552_67:
	v_add_co_u32 v33, s1, s18, v23
	s_delay_alu instid0(VALU_DEP_1)
	v_add_co_ci_u32_e64 v34, null, s19, 0, s1
	flat_load_b32 v7, v[33:34]
	s_or_b32 exec_lo, exec_lo, s0
                                        ; implicit-def: $vgpr23
	s_and_saveexec_b32 s0, s10
	s_cbranch_execz .LBB552_45
.LBB552_68:
	v_add_co_u32 v23, s1, s18, v24
	s_delay_alu instid0(VALU_DEP_1)
	v_add_co_ci_u32_e64 v24, null, s19, 0, s1
	flat_load_b32 v23, v[23:24]
	s_or_b32 exec_lo, exec_lo, s0
                                        ; implicit-def: $vgpr24
	s_and_saveexec_b32 s0, s11
	s_cbranch_execz .LBB552_46
.LBB552_69:
	v_add_co_u32 v24, s1, s18, v25
	s_delay_alu instid0(VALU_DEP_1)
	v_add_co_ci_u32_e64 v25, null, s19, 0, s1
	flat_load_b32 v24, v[24:25]
	s_or_b32 exec_lo, exec_lo, s0
                                        ; implicit-def: $vgpr25
	s_and_saveexec_b32 s0, s12
	s_cbranch_execz .LBB552_47
.LBB552_70:
	v_add_co_u32 v25, s1, s18, v26
	s_delay_alu instid0(VALU_DEP_1)
	v_add_co_ci_u32_e64 v26, null, s19, 0, s1
	flat_load_b32 v25, v[25:26]
	s_or_b32 exec_lo, exec_lo, s0
                                        ; implicit-def: $vgpr26
	s_and_saveexec_b32 s0, s13
	s_cbranch_execnz .LBB552_48
	s_branch .LBB552_49
.LBB552_71:
	s_mov_b32 s30, 0
                                        ; implicit-def: $sgpr0
                                        ; implicit-def: $vgpr69
                                        ; implicit-def: $vgpr64
                                        ; implicit-def: $vgpr65
                                        ; implicit-def: $vgpr66
                                        ; implicit-def: $vgpr67
                                        ; implicit-def: $vgpr68
                                        ; implicit-def: $vgpr70
                                        ; implicit-def: $vgpr71
                                        ; implicit-def: $vgpr72
                                        ; implicit-def: $vgpr73
                                        ; implicit-def: $vgpr74
                                        ; implicit-def: $vgpr75
                                        ; implicit-def: $vgpr76
                                        ; implicit-def: $vgpr77
	s_cbranch_execz .LBB552_55
.LBB552_72:
	v_cmp_ne_u32_e32 vcc_lo, v10, v63
	v_lshlrev_b32_e32 v1, 2, v0
	s_mov_b32 s1, exec_lo
                                        ; implicit-def: $sgpr0
	v_cndmask_b32_e64 v69, 0, 1, vcc_lo
	v_cmp_ne_u32_e32 vcc_lo, v9, v10
	ds_store_b32 v1, v63
	s_waitcnt lgkmcnt(0)
	s_barrier
	buffer_gl0_inv
	v_cndmask_b32_e64 v64, 0, 1, vcc_lo
	v_cmp_ne_u32_e32 vcc_lo, v12, v9
	v_cndmask_b32_e64 v65, 0, 1, vcc_lo
	v_cmp_ne_u32_e32 vcc_lo, v11, v12
	;; [unrolled: 2-line block ×12, first 2 shown]
	v_cndmask_b32_e64 v77, 0, 1, vcc_lo
	v_cmpx_ne_u32_e32 0, v0
	s_xor_b32 s1, exec_lo, s1
	s_cbranch_execz .LBB552_74
; %bb.73:
	v_add_nc_u32_e32 v1, -4, v1
	s_or_b32 s30, s30, exec_lo
	ds_load_b32 v1, v1
	s_waitcnt lgkmcnt(0)
	v_cmp_ne_u32_e32 vcc_lo, v1, v21
	s_and_b32 s0, vcc_lo, exec_lo
.LBB552_74:
	s_or_b32 exec_lo, exec_lo, s1
	s_mov_b32 s1, 1
	s_branch .LBB552_83
.LBB552_75:
	s_mul_hi_u32 s0, s16, 0xfffff100
	s_mul_i32 s1, s17, 0xfffff100
	s_sub_i32 s0, s0, s16
	s_mul_i32 s2, s16, 0xfffff100
	s_add_i32 s0, s0, s1
	s_add_u32 s18, s2, s40
	s_addc_u32 s19, s0, s41
	v_cmp_ne_u32_e64 s13, v10, v63
	v_cmp_ne_u32_e64 s14, v9, v10
	;; [unrolled: 1-line block ×14, first 2 shown]
	v_mad_u32_u24 v1, v0, 15, 14
	v_mad_u32_u24 v55, v0, 15, 13
	;; [unrolled: 1-line block ×14, first 2 shown]
	v_cmp_ne_u32_e64 s6, 0, v0
	s_and_b32 vcc_lo, exec_lo, s31
	s_cbranch_vccz .LBB552_80
; %bb.76:
	v_add_co_u32 v56, s16, -4, s33
	s_delay_alu instid0(VALU_DEP_1)
	v_add_co_ci_u32_e64 v57, null, -1, s29, s16
	v_mov_b32_e32 v2, 0
	s_mov_b32 s30, -1
	s_mov_b32 s17, 0
	flat_load_b32 v58, v[56:57]
	v_lshlrev_b32_e32 v57, 2, v0
	v_cmp_gt_u64_e32 vcc_lo, s[18:19], v[1:2]
	v_mov_b32_e32 v56, v2
	v_mov_b32_e32 v54, v2
	;; [unrolled: 1-line block ×5, first 2 shown]
	v_cmp_gt_u64_e64 s16, s[18:19], v[55:56]
	s_and_b32 s29, vcc_lo, s13
	v_cmp_gt_u64_e32 vcc_lo, s[18:19], v[53:54]
	v_mov_b32_e32 v46, v2
	v_mov_b32_e32 v44, v2
	v_cmp_gt_u64_e64 s13, s[18:19], v[51:52]
	s_and_b32 s31, s16, s14
	v_mov_b32_e32 v42, v2
	s_and_b32 s33, vcc_lo, s12
	v_cmp_gt_u64_e32 vcc_lo, s[18:19], v[49:50]
	v_cmp_gt_u64_e64 s12, s[18:19], v[47:48]
	v_cmp_gt_u64_e64 s14, s[18:19], v[45:46]
	v_cmp_gt_u64_e64 s16, s[18:19], v[43:44]
	v_mov_b32_e32 v40, v2
	v_mov_b32_e32 v38, v2
	;; [unrolled: 1-line block ×5, first 2 shown]
	s_and_b32 s13, s13, s11
	s_and_b32 s40, vcc_lo, s7
	s_and_b32 s12, s12, s8
	s_and_b32 s14, s14, s9
	;; [unrolled: 1-line block ×3, first 2 shown]
	v_cmp_gt_u64_e32 vcc_lo, s[18:19], v[41:42]
	v_cmp_gt_u64_e64 s7, s[18:19], v[39:40]
	v_cmp_gt_u64_e64 s8, s[18:19], v[37:38]
	;; [unrolled: 1-line block ×5, first 2 shown]
	v_mul_u32_u24_e32 v56, 15, v0
	s_and_b32 s0, vcc_lo, s0
	s_and_b32 s7, s7, s1
	s_and_b32 s8, s8, s2
	;; [unrolled: 1-line block ×5, first 2 shown]
	ds_store_b32 v57, v63
	s_waitcnt vmcnt(0) lgkmcnt(0)
	s_barrier
	buffer_gl0_inv
	s_and_saveexec_b32 s4, s6
	s_cbranch_execz .LBB552_78
; %bb.77:
	v_add_nc_u32_e32 v4, -4, v57
	ds_load_b32 v58, v4
.LBB552_78:
	s_or_b32 exec_lo, exec_lo, s4
	v_mov_b32_e32 v57, v2
	v_cndmask_b32_e64 v72, 0, 1, s0
	s_waitcnt lgkmcnt(0)
	v_cmp_ne_u32_e64 s0, v58, v21
	v_cndmask_b32_e64 v69, 0, 1, s29
	v_cndmask_b32_e64 v64, 0, 1, s31
	v_cmp_gt_u64_e32 vcc_lo, s[18:19], v[56:57]
	v_cndmask_b32_e64 v65, 0, 1, s33
	v_cndmask_b32_e64 v66, 0, 1, s13
	;; [unrolled: 1-line block ×11, first 2 shown]
	s_and_b32 s0, vcc_lo, s0
	s_and_b32 vcc_lo, exec_lo, s17
	s_cbranch_vccnz .LBB552_81
.LBB552_79:
                                        ; implicit-def: $sgpr1
	v_mov_b32_e32 v78, s1
	s_and_saveexec_b32 s1, s30
	s_cbranch_execnz .LBB552_84
	s_branch .LBB552_85
.LBB552_80:
                                        ; implicit-def: $sgpr0
                                        ; implicit-def: $vgpr69
                                        ; implicit-def: $vgpr64
                                        ; implicit-def: $vgpr65
                                        ; implicit-def: $vgpr66
                                        ; implicit-def: $vgpr67
                                        ; implicit-def: $vgpr68
                                        ; implicit-def: $vgpr70
                                        ; implicit-def: $vgpr71
                                        ; implicit-def: $vgpr72
                                        ; implicit-def: $vgpr73
                                        ; implicit-def: $vgpr74
                                        ; implicit-def: $vgpr75
                                        ; implicit-def: $vgpr76
                                        ; implicit-def: $vgpr77
	s_cbranch_execz .LBB552_79
.LBB552_81:
	v_dual_mov_b32 v2, 0 :: v_dual_lshlrev_b32 v57, 2, v0
	v_cmp_ne_u32_e64 s1, v12, v9
	v_cmp_ne_u32_e32 vcc_lo, v10, v63
	v_cmp_ne_u32_e64 s0, v9, v10
	s_delay_alu instid0(VALU_DEP_4)
	v_mov_b32_e32 v54, v2
	v_mov_b32_e32 v56, v2
	v_cmp_gt_u64_e64 s2, s[18:19], v[1:2]
	v_mov_b32_e32 v50, v2
	v_mov_b32_e32 v52, v2
	v_cmp_gt_u64_e64 s4, s[18:19], v[53:54]
	v_cmp_gt_u64_e64 s3, s[18:19], v[55:56]
	v_mov_b32_e32 v48, v2
	s_and_b32 s2, s2, vcc_lo
	v_cmp_gt_u64_e32 vcc_lo, s[18:19], v[51:52]
	v_cndmask_b32_e64 v69, 0, 1, s2
	s_and_b32 s1, s4, s1
	s_and_b32 s0, s3, s0
	v_cndmask_b32_e64 v65, 0, 1, s1
	v_cmp_gt_u64_e64 s1, s[18:19], v[49:50]
	v_cmp_ne_u32_e64 s2, v14, v11
	v_cndmask_b32_e64 v64, 0, 1, s0
	v_cmp_ne_u32_e64 s0, v11, v12
	v_mov_b32_e32 v46, v2
	v_mov_b32_e32 v44, v2
	s_and_b32 s1, s1, s2
	v_cmp_ne_u32_e64 s2, v16, v13
	s_and_b32 s0, vcc_lo, s0
	v_cmp_gt_u64_e32 vcc_lo, s[18:19], v[47:48]
	v_cndmask_b32_e64 v67, 0, 1, s1
	v_cmp_gt_u64_e64 s1, s[18:19], v[45:46]
	v_cndmask_b32_e64 v66, 0, 1, s0
	v_cmp_ne_u32_e64 s0, v13, v14
	v_mov_b32_e32 v42, v2
	v_mov_b32_e32 v40, v2
	v_mov_b32_e32 v38, v2
	s_and_b32 s1, s1, s2
	s_and_b32 s0, vcc_lo, s0
	v_cmp_gt_u64_e32 vcc_lo, s[18:19], v[43:44]
	v_cndmask_b32_e64 v68, 0, 1, s0
	v_cmp_ne_u32_e64 s0, v15, v16
	v_cndmask_b32_e64 v70, 0, 1, s1
	v_cmp_gt_u64_e64 s1, s[18:19], v[41:42]
	v_cmp_ne_u32_e64 s2, v18, v15
	v_mov_b32_e32 v8, v2
	s_and_b32 s0, vcc_lo, s0
	v_cmp_gt_u64_e32 vcc_lo, s[18:19], v[39:40]
	v_cndmask_b32_e64 v71, 0, 1, s0
	s_and_b32 s1, s1, s2
	v_cmp_ne_u32_e64 s0, v17, v18
	v_cndmask_b32_e64 v72, 0, 1, s1
	v_cmp_gt_u64_e64 s1, s[18:19], v[37:38]
	v_cmp_ne_u32_e64 s2, v20, v17
	v_mov_b32_e32 v6, v2
	s_and_b32 s0, vcc_lo, s0
	v_mov_b32_e32 v4, v2
	v_cndmask_b32_e64 v73, 0, 1, s0
	s_and_b32 s0, s1, s2
	v_cmp_gt_u64_e32 vcc_lo, s[18:19], v[7:8]
	v_cndmask_b32_e64 v74, 0, 1, s0
	v_cmp_ne_u32_e64 s0, v19, v20
	v_cmp_gt_u64_e64 s1, s[18:19], v[5:6]
	v_cmp_ne_u32_e64 s2, v22, v19
	v_cmp_gt_u64_e64 s3, s[18:19], v[3:4]
	v_cmp_ne_u32_e64 s4, v21, v22
	s_and_b32 s0, vcc_lo, s0
	ds_store_b32 v57, v63
	v_cndmask_b32_e64 v75, 0, 1, s0
	s_and_b32 s0, s1, s2
	s_mov_b32 s1, 1
	v_cndmask_b32_e64 v76, 0, 1, s0
	s_and_b32 s0, s3, s4
	s_mov_b32 s2, exec_lo
	v_cndmask_b32_e64 v77, 0, 1, s0
	s_waitcnt lgkmcnt(0)
	s_barrier
	buffer_gl0_inv
                                        ; implicit-def: $sgpr0
	v_cmpx_ne_u32_e32 0, v0
	s_cbranch_execz .LBB552_163
; %bb.82:
	v_add_nc_u32_e32 v1, -4, v57
	s_or_b32 s30, s30, exec_lo
	ds_load_b32 v3, v1
	v_mul_u32_u24_e32 v1, 15, v0
	s_delay_alu instid0(VALU_DEP_1) | instskip(SKIP_2) | instid1(VALU_DEP_1)
	v_cmp_gt_u64_e32 vcc_lo, s[18:19], v[1:2]
	s_waitcnt lgkmcnt(0)
	v_cmp_ne_u32_e64 s0, v3, v21
	s_and_b32 s0, vcc_lo, s0
	s_delay_alu instid0(SALU_CYCLE_1)
	s_and_b32 s0, s0, exec_lo
	s_or_b32 exec_lo, exec_lo, s2
.LBB552_83:
	v_mov_b32_e32 v78, s1
	s_and_saveexec_b32 s1, s30
.LBB552_84:
	v_cndmask_b32_e64 v78, 0, 1, s0
.LBB552_85:
	s_or_b32 exec_lo, exec_lo, s1
	s_delay_alu instid0(VALU_DEP_1)
	v_add3_u32 v1, v77, v78, v76
	v_cmp_eq_u32_e64 s12, 0, v77
	v_cmp_eq_u32_e64 s11, 0, v76
	;; [unrolled: 1-line block ×4, first 2 shown]
	v_add3_u32 v84, v1, v75, v74
	v_cmp_eq_u32_e64 s8, 0, v73
	v_cmp_eq_u32_e64 s7, 0, v72
	;; [unrolled: 1-line block ×9, first 2 shown]
	v_cmp_eq_u32_e32 vcc_lo, 0, v69
	v_mbcnt_lo_u32_b32 v81, -1, 0
	v_lshrrev_b32_e32 v82, 5, v0
	v_or_b32_e32 v83, 31, v0
	s_cmp_eq_u64 s[26:27], 0
	s_cselect_b32 s16, -1, 0
	s_cmp_lg_u32 s15, 0
	s_cbranch_scc0 .LBB552_111
; %bb.86:
	v_cndmask_b32_e64 v1, 0, v35, s12
	v_add3_u32 v2, v84, v73, v72
	s_delay_alu instid0(VALU_DEP_2) | instskip(NEXT) | instid1(VALU_DEP_2)
	v_add_nc_u32_e32 v1, v1, v36
	v_add3_u32 v2, v2, v71, v70
	s_delay_alu instid0(VALU_DEP_2) | instskip(NEXT) | instid1(VALU_DEP_2)
	v_cndmask_b32_e64 v1, 0, v1, s11
	v_add3_u32 v2, v2, v68, v67
	s_delay_alu instid0(VALU_DEP_2) | instskip(NEXT) | instid1(VALU_DEP_2)
	v_add_nc_u32_e32 v1, v1, v33
	v_add3_u32 v2, v2, v66, v65
	s_delay_alu instid0(VALU_DEP_2) | instskip(NEXT) | instid1(VALU_DEP_2)
	v_cndmask_b32_e64 v1, 0, v1, s10
	v_add3_u32 v2, v2, v64, v69
	s_delay_alu instid0(VALU_DEP_2) | instskip(NEXT) | instid1(VALU_DEP_2)
	v_add_nc_u32_e32 v1, v1, v34
	v_mov_b32_dpp v5, v2 row_shr:1 row_mask:0xf bank_mask:0xf
	s_delay_alu instid0(VALU_DEP_2) | instskip(NEXT) | instid1(VALU_DEP_1)
	v_cndmask_b32_e64 v1, 0, v1, s9
	v_add_nc_u32_e32 v1, v1, v31
	s_delay_alu instid0(VALU_DEP_1) | instskip(NEXT) | instid1(VALU_DEP_1)
	v_cndmask_b32_e64 v1, 0, v1, s8
	v_add_nc_u32_e32 v1, v1, v32
	s_delay_alu instid0(VALU_DEP_1) | instskip(NEXT) | instid1(VALU_DEP_1)
	;; [unrolled: 3-line block ×9, first 2 shown]
	v_cndmask_b32_e64 v1, 0, v1, s0
	v_add_nc_u32_e32 v1, v1, v24
	s_delay_alu instid0(VALU_DEP_1) | instskip(SKIP_1) | instid1(VALU_DEP_2)
	v_cndmask_b32_e32 v1, 0, v1, vcc_lo
	v_cmp_eq_u32_e32 vcc_lo, 0, v2
	v_add_nc_u32_e32 v1, v1, v79
	s_delay_alu instid0(VALU_DEP_1) | instskip(NEXT) | instid1(VALU_DEP_1)
	v_mov_b32_dpp v3, v1 row_shr:1 row_mask:0xf bank_mask:0xf
	v_dual_cndmask_b32 v3, 0, v3 :: v_dual_and_b32 v4, 15, v81
	s_delay_alu instid0(VALU_DEP_1) | instskip(SKIP_2) | instid1(VALU_DEP_4)
	v_cmp_eq_u32_e32 vcc_lo, 0, v4
	v_cmp_lt_u32_e64 s13, 1, v4
	v_cndmask_b32_e64 v5, v5, 0, vcc_lo
	v_cndmask_b32_e64 v3, v3, 0, vcc_lo
	s_delay_alu instid0(VALU_DEP_2) | instskip(NEXT) | instid1(VALU_DEP_2)
	v_add_nc_u32_e32 v2, v5, v2
	v_add_nc_u32_e32 v1, v3, v1
	s_delay_alu instid0(VALU_DEP_2) | instskip(SKIP_1) | instid1(VALU_DEP_3)
	v_mov_b32_dpp v3, v2 row_shr:2 row_mask:0xf bank_mask:0xf
	v_cmp_eq_u32_e32 vcc_lo, 0, v2
	v_mov_b32_dpp v5, v1 row_shr:2 row_mask:0xf bank_mask:0xf
	s_delay_alu instid0(VALU_DEP_3) | instskip(SKIP_2) | instid1(VALU_DEP_2)
	v_cndmask_b32_e64 v3, 0, v3, s13
	s_and_b32 vcc_lo, s13, vcc_lo
	v_cmp_lt_u32_e64 s13, 3, v4
	v_dual_cndmask_b32 v5, 0, v5 :: v_dual_add_nc_u32 v2, v2, v3
	s_delay_alu instid0(VALU_DEP_1) | instskip(NEXT) | instid1(VALU_DEP_2)
	v_add_nc_u32_e32 v1, v5, v1
	v_mov_b32_dpp v3, v2 row_shr:4 row_mask:0xf bank_mask:0xf
	v_cmp_eq_u32_e32 vcc_lo, 0, v2
	s_delay_alu instid0(VALU_DEP_3) | instskip(NEXT) | instid1(VALU_DEP_3)
	v_mov_b32_dpp v5, v1 row_shr:4 row_mask:0xf bank_mask:0xf
	v_cndmask_b32_e64 v3, 0, v3, s13
	s_and_b32 vcc_lo, s13, vcc_lo
	v_cmp_lt_u32_e64 s13, 7, v4
	s_delay_alu instid0(VALU_DEP_2) | instskip(NEXT) | instid1(VALU_DEP_1)
	v_dual_cndmask_b32 v5, 0, v5 :: v_dual_add_nc_u32 v2, v3, v2
	v_add_nc_u32_e32 v1, v1, v5
	v_bfe_i32 v5, v81, 4, 1
	s_delay_alu instid0(VALU_DEP_3) | instskip(SKIP_1) | instid1(VALU_DEP_4)
	v_cmp_eq_u32_e32 vcc_lo, 0, v2
	v_mov_b32_dpp v3, v2 row_shr:8 row_mask:0xf bank_mask:0xf
	v_mov_b32_dpp v4, v1 row_shr:8 row_mask:0xf bank_mask:0xf
	s_and_b32 vcc_lo, s13, vcc_lo
	s_delay_alu instid0(VALU_DEP_2) | instskip(SKIP_1) | instid1(VALU_DEP_2)
	v_cndmask_b32_e64 v3, 0, v3, s13
	s_mov_b32 s13, exec_lo
	v_cndmask_b32_e32 v4, 0, v4, vcc_lo
	s_delay_alu instid0(VALU_DEP_1) | instskip(NEXT) | instid1(VALU_DEP_3)
	v_add_nc_u32_e32 v4, v4, v1
	v_add_nc_u32_e32 v1, v3, v2
	ds_swizzle_b32 v2, v4 offset:swizzle(BROADCAST,32,15)
	ds_swizzle_b32 v3, v1 offset:swizzle(BROADCAST,32,15)
	v_cmp_eq_u32_e32 vcc_lo, 0, v1
	s_waitcnt lgkmcnt(0)
	v_dual_cndmask_b32 v2, 0, v2 :: v_dual_and_b32 v3, v5, v3
	s_delay_alu instid0(VALU_DEP_1) | instskip(NEXT) | instid1(VALU_DEP_2)
	v_and_b32_e32 v2, v5, v2
	v_add_nc_u32_e32 v1, v3, v1
	v_lshlrev_b32_e32 v3, 3, v82
	s_delay_alu instid0(VALU_DEP_3)
	v_add_nc_u32_e32 v2, v2, v4
	v_cmpx_eq_u32_e64 v83, v0
	s_cbranch_execz .LBB552_88
; %bb.87:
	ds_store_b64 v3, v[1:2] offset:2064
.LBB552_88:
	s_or_b32 exec_lo, exec_lo, s13
	s_delay_alu instid0(SALU_CYCLE_1)
	s_mov_b32 s14, exec_lo
	s_waitcnt lgkmcnt(0)
	s_barrier
	buffer_gl0_inv
	v_cmpx_gt_u32_e32 8, v0
	s_cbranch_execz .LBB552_90
; %bb.89:
	v_lshlrev_b32_e32 v6, 3, v0
	v_and_b32_e32 v8, 7, v81
	ds_load_b64 v[4:5], v6 offset:2064
	v_cmp_lt_u32_e64 s13, 1, v8
	s_waitcnt lgkmcnt(0)
	v_mov_b32_dpp v7, v5 row_shr:1 row_mask:0xf bank_mask:0xf
	v_cmp_eq_u32_e32 vcc_lo, 0, v4
	v_mov_b32_dpp v37, v4 row_shr:1 row_mask:0xf bank_mask:0xf
	s_delay_alu instid0(VALU_DEP_3) | instskip(SKIP_1) | instid1(VALU_DEP_3)
	v_cndmask_b32_e32 v7, 0, v7, vcc_lo
	v_cmp_eq_u32_e32 vcc_lo, 0, v8
	v_cndmask_b32_e64 v37, v37, 0, vcc_lo
	s_delay_alu instid0(VALU_DEP_3) | instskip(NEXT) | instid1(VALU_DEP_2)
	v_cndmask_b32_e64 v7, v7, 0, vcc_lo
	v_add_nc_u32_e32 v4, v37, v4
	s_delay_alu instid0(VALU_DEP_2) | instskip(NEXT) | instid1(VALU_DEP_2)
	v_add_nc_u32_e32 v5, v7, v5
	v_cmp_eq_u32_e32 vcc_lo, 0, v4
	s_delay_alu instid0(VALU_DEP_2) | instskip(SKIP_1) | instid1(VALU_DEP_1)
	v_mov_b32_dpp v37, v5 row_shr:2 row_mask:0xf bank_mask:0xf
	s_and_b32 vcc_lo, s13, vcc_lo
	v_cndmask_b32_e32 v37, 0, v37, vcc_lo
	v_mov_b32_dpp v7, v4 row_shr:2 row_mask:0xf bank_mask:0xf
	s_delay_alu instid0(VALU_DEP_2) | instskip(NEXT) | instid1(VALU_DEP_2)
	v_add_nc_u32_e32 v5, v37, v5
	v_cndmask_b32_e64 v7, 0, v7, s13
	v_cmp_lt_u32_e64 s13, 3, v8
	s_delay_alu instid0(VALU_DEP_3) | instskip(NEXT) | instid1(VALU_DEP_3)
	v_mov_b32_dpp v8, v5 row_shr:4 row_mask:0xf bank_mask:0xf
	v_add_nc_u32_e32 v4, v7, v4
	s_delay_alu instid0(VALU_DEP_1) | instskip(SKIP_2) | instid1(VALU_DEP_1)
	v_cmp_eq_u32_e32 vcc_lo, 0, v4
	v_mov_b32_dpp v7, v4 row_shr:4 row_mask:0xf bank_mask:0xf
	s_and_b32 vcc_lo, s13, vcc_lo
	v_cndmask_b32_e64 v7, 0, v7, s13
	v_cndmask_b32_e32 v8, 0, v8, vcc_lo
	s_delay_alu instid0(VALU_DEP_2) | instskip(NEXT) | instid1(VALU_DEP_2)
	v_add_nc_u32_e32 v4, v7, v4
	v_add_nc_u32_e32 v5, v8, v5
	ds_store_b64 v6, v[4:5] offset:2064
.LBB552_90:
	s_or_b32 exec_lo, exec_lo, s14
	v_cmp_gt_u32_e32 vcc_lo, 32, v0
	v_dual_mov_b32 v37, 0 :: v_dual_mov_b32 v38, 0
	s_mov_b32 s14, exec_lo
	s_waitcnt lgkmcnt(0)
	s_barrier
	buffer_gl0_inv
	v_cmpx_lt_u32_e32 31, v0
	s_cbranch_execz .LBB552_92
; %bb.91:
	ds_load_b64 v[37:38], v3 offset:2056
	v_cmp_eq_u32_e64 s13, 0, v1
	s_waitcnt lgkmcnt(0)
	s_delay_alu instid0(VALU_DEP_1) | instskip(SKIP_1) | instid1(VALU_DEP_2)
	v_cndmask_b32_e64 v3, 0, v38, s13
	v_add_nc_u32_e32 v1, v37, v1
	v_add_nc_u32_e32 v2, v3, v2
.LBB552_92:
	s_or_b32 exec_lo, exec_lo, s14
	v_add_nc_u32_e32 v3, -1, v81
	s_delay_alu instid0(VALU_DEP_1) | instskip(NEXT) | instid1(VALU_DEP_1)
	v_cmp_gt_i32_e64 s13, 0, v3
	v_cndmask_b32_e64 v3, v3, v81, s13
	v_cmp_eq_u32_e64 s13, 0, v81
	s_delay_alu instid0(VALU_DEP_2)
	v_lshlrev_b32_e32 v3, 2, v3
	ds_bpermute_b32 v43, v3, v1
	ds_bpermute_b32 v44, v3, v2
	s_and_saveexec_b32 s17, vcc_lo
	s_cbranch_execz .LBB552_110
; %bb.93:
	v_mov_b32_e32 v4, 0
	ds_load_b64 v[1:2], v4 offset:2120
	s_waitcnt lgkmcnt(0)
	v_readfirstlane_b32 s18, v2
	s_and_saveexec_b32 s14, s13
	s_cbranch_execz .LBB552_95
; %bb.94:
	s_add_i32 s26, s15, 32
	s_mov_b32 s27, 0
	v_mov_b32_e32 v3, 1
	s_lshl_b64 s[30:31], s[26:27], 4
	s_mov_b32 s40, s27
	s_add_u32 s30, s24, s30
	s_addc_u32 s31, s25, s31
	s_and_b32 s41, s18, 0xff000000
	s_and_b32 s45, s18, 0xff0000
	s_mov_b32 s44, s27
	v_dual_mov_b32 v5, s30 :: v_dual_mov_b32 v6, s31
	s_or_b64 s[40:41], s[44:45], s[40:41]
	s_and_b32 s45, s18, 0xff00
	s_delay_alu instid0(SALU_CYCLE_1) | instskip(SKIP_1) | instid1(SALU_CYCLE_1)
	s_or_b64 s[40:41], s[40:41], s[44:45]
	s_and_b32 s45, s18, 0xff
	s_or_b64 s[26:27], s[40:41], s[44:45]
	s_delay_alu instid0(SALU_CYCLE_1)
	v_mov_b32_e32 v2, s27
	;;#ASMSTART
	global_store_dwordx4 v[5:6], v[1:4] off	
s_waitcnt vmcnt(0)
	;;#ASMEND
.LBB552_95:
	s_or_b32 exec_lo, exec_lo, s14
	v_xad_u32 v39, v81, -1, s15
	s_mov_b32 s19, 0
	s_mov_b32 s14, exec_lo
	s_delay_alu instid0(VALU_DEP_1) | instskip(NEXT) | instid1(VALU_DEP_1)
	v_add_nc_u32_e32 v3, 32, v39
	v_lshlrev_b64 v[2:3], 4, v[3:4]
	s_delay_alu instid0(VALU_DEP_1) | instskip(NEXT) | instid1(VALU_DEP_2)
	v_add_co_u32 v2, vcc_lo, s24, v2
	v_add_co_ci_u32_e32 v3, vcc_lo, s25, v3, vcc_lo
	;;#ASMSTART
	global_load_dwordx4 v[5:8], v[2:3] off glc	
s_waitcnt vmcnt(0)
	;;#ASMEND
	v_and_b32_e32 v4, 0xff, v6
	v_and_b32_e32 v8, 0xff00, v6
	;; [unrolled: 1-line block ×3, first 2 shown]
	v_or3_b32 v5, v5, 0, 0
	v_and_b32_e32 v6, 0xff000000, v6
	s_delay_alu instid0(VALU_DEP_4) | instskip(SKIP_1) | instid1(VALU_DEP_4)
	v_or3_b32 v4, 0, v4, v8
	v_and_b32_e32 v8, 0xff, v7
	v_or3_b32 v5, v5, 0, 0
	s_delay_alu instid0(VALU_DEP_3) | instskip(NEXT) | instid1(VALU_DEP_3)
	v_or3_b32 v6, v4, v40, v6
	v_cmpx_eq_u16_e32 0, v8
	s_cbranch_execz .LBB552_98
.LBB552_96:                             ; =>This Inner Loop Header: Depth=1
	;;#ASMSTART
	global_load_dwordx4 v[5:8], v[2:3] off glc	
s_waitcnt vmcnt(0)
	;;#ASMEND
	v_and_b32_e32 v4, 0xff, v7
	s_delay_alu instid0(VALU_DEP_1) | instskip(SKIP_1) | instid1(SALU_CYCLE_1)
	v_cmp_ne_u16_e32 vcc_lo, 0, v4
	s_or_b32 s19, vcc_lo, s19
	s_and_not1_b32 exec_lo, exec_lo, s19
	s_cbranch_execnz .LBB552_96
; %bb.97:
	s_or_b32 exec_lo, exec_lo, s19
.LBB552_98:
	s_delay_alu instid0(SALU_CYCLE_1)
	s_or_b32 exec_lo, exec_lo, s14
	v_cmp_ne_u32_e32 vcc_lo, 31, v81
	v_and_b32_e32 v3, 0xff, v7
	v_lshlrev_b32_e64 v45, v81, -1
	v_add_nc_u32_e32 v47, 2, v81
	v_add_nc_u32_e32 v49, 4, v81
	v_add_co_ci_u32_e32 v2, vcc_lo, 0, v81, vcc_lo
	v_cmp_eq_u16_e32 vcc_lo, 2, v3
	v_add_nc_u32_e32 v51, 8, v81
	v_add_nc_u32_e32 v53, 16, v81
	v_and_or_b32 v8, vcc_lo, v45, 0x80000000
	v_cmp_gt_u32_e32 vcc_lo, 30, v81
	s_delay_alu instid0(VALU_DEP_2) | instskip(SKIP_2) | instid1(VALU_DEP_3)
	v_ctz_i32_b32_e32 v8, v8
	v_cndmask_b32_e64 v40, 0, 1, vcc_lo
	v_cmp_eq_u32_e32 vcc_lo, 0, v5
	v_cmp_lt_u32_e64 s14, v81, v8
	s_delay_alu instid0(VALU_DEP_3) | instskip(NEXT) | instid1(VALU_DEP_2)
	v_lshlrev_b32_e32 v40, 1, v40
	s_and_b32 vcc_lo, s14, vcc_lo
	v_lshlrev_b32_e32 v2, 2, v2
	s_delay_alu instid0(VALU_DEP_2)
	v_add_lshl_u32 v46, v40, v81, 2
	ds_bpermute_b32 v3, v2, v6
	s_waitcnt lgkmcnt(0)
	v_cndmask_b32_e32 v3, 0, v3, vcc_lo
	ds_bpermute_b32 v4, v2, v5
	v_cmp_gt_u32_e32 vcc_lo, 28, v81
	v_add_nc_u32_e32 v3, v3, v6
	ds_bpermute_b32 v6, v46, v3
	s_waitcnt lgkmcnt(1)
	v_cndmask_b32_e64 v4, 0, v4, s14
	s_delay_alu instid0(VALU_DEP_1) | instskip(SKIP_1) | instid1(VALU_DEP_2)
	v_add_nc_u32_e32 v4, v4, v5
	v_cndmask_b32_e64 v5, 0, 1, vcc_lo
	v_cmp_eq_u32_e32 vcc_lo, 0, v4
	ds_bpermute_b32 v40, v46, v4
	s_waitcnt lgkmcnt(1)
	v_dual_cndmask_b32 v6, 0, v6 :: v_dual_lshlrev_b32 v5, 2, v5
	v_cmp_gt_u32_e32 vcc_lo, v47, v8
	s_delay_alu instid0(VALU_DEP_2) | instskip(NEXT) | instid1(VALU_DEP_3)
	v_add_lshl_u32 v48, v5, v81, 2
	v_cndmask_b32_e64 v6, v6, 0, vcc_lo
	s_delay_alu instid0(VALU_DEP_1) | instskip(SKIP_4) | instid1(VALU_DEP_2)
	v_add_nc_u32_e32 v3, v6, v3
	ds_bpermute_b32 v5, v48, v3
	s_waitcnt lgkmcnt(1)
	v_cndmask_b32_e64 v6, v40, 0, vcc_lo
	v_cmp_gt_u32_e32 vcc_lo, 24, v81
	v_add_nc_u32_e32 v4, v4, v6
	v_cndmask_b32_e64 v40, 0, 1, vcc_lo
	ds_bpermute_b32 v6, v48, v4
	v_cmp_eq_u32_e32 vcc_lo, 0, v4
	v_lshlrev_b32_e32 v40, 3, v40
	s_delay_alu instid0(VALU_DEP_1) | instskip(SKIP_3) | instid1(VALU_DEP_2)
	v_add_lshl_u32 v50, v40, v81, 2
	s_waitcnt lgkmcnt(1)
	v_cndmask_b32_e32 v5, 0, v5, vcc_lo
	v_cmp_gt_u32_e32 vcc_lo, v49, v8
	v_cndmask_b32_e64 v5, v5, 0, vcc_lo
	s_delay_alu instid0(VALU_DEP_1)
	v_add_nc_u32_e32 v3, v3, v5
	s_waitcnt lgkmcnt(0)
	v_cndmask_b32_e64 v6, v6, 0, vcc_lo
	v_cmp_gt_u32_e32 vcc_lo, 16, v81
	ds_bpermute_b32 v5, v50, v3
	v_add_nc_u32_e32 v4, v4, v6
	v_cndmask_b32_e64 v40, 0, 1, vcc_lo
	ds_bpermute_b32 v6, v50, v4
	v_cmp_eq_u32_e32 vcc_lo, 0, v4
	v_lshlrev_b32_e32 v40, 4, v40
	s_delay_alu instid0(VALU_DEP_1) | instskip(SKIP_3) | instid1(VALU_DEP_2)
	v_add_lshl_u32 v52, v40, v81, 2
	s_waitcnt lgkmcnt(1)
	v_dual_mov_b32 v40, 0 :: v_dual_cndmask_b32 v5, 0, v5
	v_cmp_gt_u32_e32 vcc_lo, v51, v8
	v_cndmask_b32_e64 v5, v5, 0, vcc_lo
	s_delay_alu instid0(VALU_DEP_1)
	v_add_nc_u32_e32 v3, v3, v5
	s_waitcnt lgkmcnt(0)
	v_cndmask_b32_e64 v5, v6, 0, vcc_lo
	ds_bpermute_b32 v6, v52, v3
	v_add_nc_u32_e32 v4, v4, v5
	ds_bpermute_b32 v5, v52, v4
	v_cmp_eq_u32_e32 vcc_lo, 0, v4
	s_waitcnt lgkmcnt(1)
	v_cndmask_b32_e32 v6, 0, v6, vcc_lo
	v_cmp_gt_u32_e32 vcc_lo, v53, v8
	s_delay_alu instid0(VALU_DEP_2) | instskip(SKIP_2) | instid1(VALU_DEP_2)
	v_cndmask_b32_e64 v6, v6, 0, vcc_lo
	s_waitcnt lgkmcnt(0)
	v_cndmask_b32_e64 v5, v5, 0, vcc_lo
	v_add_nc_u32_e32 v6, v6, v3
	s_delay_alu instid0(VALU_DEP_2)
	v_add_nc_u32_e32 v5, v5, v4
	s_branch .LBB552_100
.LBB552_99:                             ;   in Loop: Header=BB552_100 Depth=1
	s_or_b32 exec_lo, exec_lo, s14
	v_and_b32_e32 v8, 0xff, v7
	ds_bpermute_b32 v41, v2, v5
	v_subrev_nc_u32_e32 v39, 32, v39
	v_cmp_eq_u16_e32 vcc_lo, 2, v8
	ds_bpermute_b32 v8, v2, v6
	v_and_or_b32 v42, vcc_lo, v45, 0x80000000
	v_cmp_eq_u32_e32 vcc_lo, 0, v5
	s_delay_alu instid0(VALU_DEP_2) | instskip(NEXT) | instid1(VALU_DEP_1)
	v_ctz_i32_b32_e32 v42, v42
	v_cmp_lt_u32_e64 s14, v81, v42
	s_delay_alu instid0(VALU_DEP_1) | instskip(SKIP_4) | instid1(VALU_DEP_2)
	s_and_b32 vcc_lo, s14, vcc_lo
	s_waitcnt lgkmcnt(1)
	v_cndmask_b32_e64 v41, 0, v41, s14
	s_waitcnt lgkmcnt(0)
	v_cndmask_b32_e32 v8, 0, v8, vcc_lo
	v_add_nc_u32_e32 v5, v41, v5
	s_delay_alu instid0(VALU_DEP_2)
	v_add_nc_u32_e32 v6, v8, v6
	ds_bpermute_b32 v41, v46, v5
	ds_bpermute_b32 v8, v46, v6
	v_cmp_eq_u32_e32 vcc_lo, 0, v5
	s_waitcnt lgkmcnt(0)
	v_cndmask_b32_e32 v8, 0, v8, vcc_lo
	v_cmp_gt_u32_e32 vcc_lo, v47, v42
	v_cndmask_b32_e64 v41, v41, 0, vcc_lo
	s_delay_alu instid0(VALU_DEP_1) | instskip(NEXT) | instid1(VALU_DEP_4)
	v_add_nc_u32_e32 v5, v5, v41
	v_cndmask_b32_e64 v8, v8, 0, vcc_lo
	ds_bpermute_b32 v41, v48, v5
	v_add_nc_u32_e32 v6, v8, v6
	v_cmp_eq_u32_e32 vcc_lo, 0, v5
	ds_bpermute_b32 v8, v48, v6
	s_waitcnt lgkmcnt(0)
	v_cndmask_b32_e32 v8, 0, v8, vcc_lo
	v_cmp_gt_u32_e32 vcc_lo, v49, v42
	v_cndmask_b32_e64 v41, v41, 0, vcc_lo
	s_delay_alu instid0(VALU_DEP_1) | instskip(NEXT) | instid1(VALU_DEP_4)
	v_add_nc_u32_e32 v5, v5, v41
	v_cndmask_b32_e64 v8, v8, 0, vcc_lo
	ds_bpermute_b32 v41, v50, v5
	v_add_nc_u32_e32 v6, v6, v8
	v_cmp_eq_u32_e32 vcc_lo, 0, v5
	ds_bpermute_b32 v8, v50, v6
	s_waitcnt lgkmcnt(0)
	v_cndmask_b32_e32 v8, 0, v8, vcc_lo
	v_cmp_gt_u32_e32 vcc_lo, v51, v42
	v_cndmask_b32_e64 v41, v41, 0, vcc_lo
	s_delay_alu instid0(VALU_DEP_1) | instskip(NEXT) | instid1(VALU_DEP_4)
	v_add_nc_u32_e32 v5, v5, v41
	v_cndmask_b32_e64 v8, v8, 0, vcc_lo
	ds_bpermute_b32 v41, v52, v5
	v_add_nc_u32_e32 v6, v6, v8
	v_cmp_eq_u32_e32 vcc_lo, 0, v5
	ds_bpermute_b32 v8, v52, v6
	s_waitcnt lgkmcnt(0)
	v_cndmask_b32_e32 v8, 0, v8, vcc_lo
	v_cmp_gt_u32_e32 vcc_lo, v53, v42
	s_delay_alu instid0(VALU_DEP_2) | instskip(NEXT) | instid1(VALU_DEP_1)
	v_cndmask_b32_e64 v8, v8, 0, vcc_lo
	v_add_nc_u32_e32 v6, v8, v6
	v_cndmask_b32_e64 v8, v41, 0, vcc_lo
	v_cmp_eq_u32_e32 vcc_lo, 0, v3
	s_delay_alu instid0(VALU_DEP_2) | instskip(NEXT) | instid1(VALU_DEP_4)
	v_add3_u32 v5, v5, v3, v8
	v_cndmask_b32_e32 v6, 0, v6, vcc_lo
	s_delay_alu instid0(VALU_DEP_1)
	v_add_nc_u32_e32 v6, v6, v4
.LBB552_100:                            ; =>This Loop Header: Depth=1
                                        ;     Child Loop BB552_103 Depth 2
	s_delay_alu instid0(VALU_DEP_1) | instskip(NEXT) | instid1(VALU_DEP_1)
	v_dual_mov_b32 v4, v6 :: v_dual_and_b32 v3, 0xff, v7
	v_cmp_ne_u16_e32 vcc_lo, 2, v3
	v_cndmask_b32_e64 v3, 0, 1, vcc_lo
	;;#ASMSTART
	;;#ASMEND
	s_delay_alu instid0(VALU_DEP_1)
	v_cmp_ne_u32_e32 vcc_lo, 0, v3
	v_mov_b32_e32 v3, v5
	s_cmp_lg_u32 vcc_lo, exec_lo
	s_cbranch_scc1 .LBB552_105
; %bb.101:                              ;   in Loop: Header=BB552_100 Depth=1
	v_lshlrev_b64 v[5:6], 4, v[39:40]
	s_mov_b32 s14, exec_lo
	s_delay_alu instid0(VALU_DEP_1) | instskip(NEXT) | instid1(VALU_DEP_2)
	v_add_co_u32 v41, vcc_lo, s24, v5
	v_add_co_ci_u32_e32 v42, vcc_lo, s25, v6, vcc_lo
	;;#ASMSTART
	global_load_dwordx4 v[5:8], v[41:42] off glc	
s_waitcnt vmcnt(0)
	;;#ASMEND
	v_and_b32_e32 v8, 0xff, v6
	v_and_b32_e32 v54, 0xff00, v6
	;; [unrolled: 1-line block ×3, first 2 shown]
	v_or3_b32 v5, v5, 0, 0
	v_and_b32_e32 v6, 0xff000000, v6
	s_delay_alu instid0(VALU_DEP_4) | instskip(SKIP_1) | instid1(VALU_DEP_4)
	v_or3_b32 v8, 0, v8, v54
	v_and_b32_e32 v54, 0xff, v7
	v_or3_b32 v5, v5, 0, 0
	s_delay_alu instid0(VALU_DEP_3) | instskip(NEXT) | instid1(VALU_DEP_3)
	v_or3_b32 v6, v8, v55, v6
	v_cmpx_eq_u16_e32 0, v54
	s_cbranch_execz .LBB552_99
; %bb.102:                              ;   in Loop: Header=BB552_100 Depth=1
	s_mov_b32 s19, 0
.LBB552_103:                            ;   Parent Loop BB552_100 Depth=1
                                        ; =>  This Inner Loop Header: Depth=2
	;;#ASMSTART
	global_load_dwordx4 v[5:8], v[41:42] off glc	
s_waitcnt vmcnt(0)
	;;#ASMEND
	v_and_b32_e32 v8, 0xff, v7
	s_delay_alu instid0(VALU_DEP_1) | instskip(SKIP_1) | instid1(SALU_CYCLE_1)
	v_cmp_ne_u16_e32 vcc_lo, 0, v8
	s_or_b32 s19, vcc_lo, s19
	s_and_not1_b32 exec_lo, exec_lo, s19
	s_cbranch_execnz .LBB552_103
; %bb.104:                              ;   in Loop: Header=BB552_100 Depth=1
	s_or_b32 exec_lo, exec_lo, s19
	s_branch .LBB552_99
.LBB552_105:                            ;   in Loop: Header=BB552_100 Depth=1
                                        ; implicit-def: $vgpr6
                                        ; implicit-def: $vgpr5
                                        ; implicit-def: $vgpr7
	s_cbranch_execz .LBB552_100
; %bb.106:
	s_and_saveexec_b32 s14, s13
	s_cbranch_execz .LBB552_108
; %bb.107:
	v_cmp_eq_u32_e32 vcc_lo, 0, v1
	s_mov_b32 s27, 0
	s_add_i32 s26, s15, 32
	v_add_nc_u32_e32 v5, v3, v1
	s_lshl_b64 s[26:27], s[26:27], 4
	v_cndmask_b32_e32 v2, 0, v4, vcc_lo
	s_add_u32 s26, s24, s26
	s_addc_u32 s27, s25, s27
	v_mov_b32_e32 v8, 0
	s_delay_alu instid0(VALU_DEP_2) | instskip(NEXT) | instid1(VALU_DEP_1)
	v_add_nc_u32_e32 v2, s18, v2
	v_and_b32_e32 v6, 0xff000000, v2
	v_and_b32_e32 v7, 0xff0000, v2
	s_delay_alu instid0(VALU_DEP_1) | instskip(SKIP_3) | instid1(VALU_DEP_1)
	v_or_b32_e32 v6, v7, v6
	v_mov_b32_e32 v7, 2
	v_and_b32_e32 v39, 0xff00, v2
	v_and_b32_e32 v2, 0xff, v2
	v_or3_b32 v6, v6, v39, v2
	v_mov_b32_e32 v2, s18
	v_dual_mov_b32 v40, s27 :: v_dual_mov_b32 v39, s26
	;;#ASMSTART
	global_store_dwordx4 v[39:40], v[5:8] off	
s_waitcnt vmcnt(0)
	;;#ASMEND
	ds_store_b128 v8, v[1:4] offset:2048
.LBB552_108:
	s_or_b32 exec_lo, exec_lo, s14
	v_cmp_eq_u32_e32 vcc_lo, 0, v0
	s_and_b32 exec_lo, exec_lo, vcc_lo
	s_cbranch_execz .LBB552_110
; %bb.109:
	v_mov_b32_e32 v1, 0
	ds_store_b64 v1, v[3:4] offset:2120
.LBB552_110:
	s_or_b32 exec_lo, exec_lo, s17
	s_waitcnt lgkmcnt(1)
	v_cndmask_b32_e64 v4, v43, v37, s13
	s_waitcnt lgkmcnt(0)
	s_barrier
	buffer_gl0_inv
	v_cndmask_b32_e64 v5, v44, v38, s13
	v_cmp_eq_u32_e32 vcc_lo, 0, v4
	v_mov_b32_e32 v3, 0
	v_cmp_eq_u32_e64 s13, 0, v78
	ds_load_b64 v[1:2], v3 offset:2120
	s_waitcnt lgkmcnt(0)
	s_barrier
	buffer_gl0_inv
	v_cndmask_b32_e32 v6, 0, v2, vcc_lo
	v_cmp_eq_u32_e32 vcc_lo, 0, v0
	s_delay_alu instid0(VALU_DEP_2) | instskip(NEXT) | instid1(VALU_DEP_1)
	v_add_nc_u32_e32 v5, v6, v5
	v_cndmask_b32_e32 v54, v5, v2, vcc_lo
	s_delay_alu instid0(VALU_DEP_1) | instskip(NEXT) | instid1(VALU_DEP_1)
	v_cndmask_b32_e64 v2, 0, v54, s13
	v_add_nc_u32_e32 v60, v2, v35
	s_delay_alu instid0(VALU_DEP_1) | instskip(NEXT) | instid1(VALU_DEP_1)
	v_cndmask_b32_e64 v2, 0, v60, s12
	v_add_nc_u32_e32 v56, v2, v36
	;; [unrolled: 3-line block ×6, first 2 shown]
	v_cndmask_b32_e64 v2, v4, 0, vcc_lo
	s_delay_alu instid0(VALU_DEP_2) | instskip(NEXT) | instid1(VALU_DEP_2)
	v_cndmask_b32_e64 v4, 0, v40, s7
	v_add_nc_u32_e32 v53, v1, v2
	s_delay_alu instid0(VALU_DEP_2) | instskip(NEXT) | instid1(VALU_DEP_2)
	v_add_nc_u32_e32 v44, v4, v29
	v_add_nc_u32_e32 v59, v53, v78
	s_delay_alu instid0(VALU_DEP_2) | instskip(NEXT) | instid1(VALU_DEP_2)
	v_cndmask_b32_e64 v1, 0, v44, s6
	v_add_nc_u32_e32 v55, v59, v77
	s_delay_alu instid0(VALU_DEP_2) | instskip(NEXT) | instid1(VALU_DEP_2)
	v_add_nc_u32_e32 v48, v1, v30
	v_add_nc_u32_e32 v51, v55, v76
	;; [unrolled: 6-line block ×4, first 2 shown]
	s_delay_alu instid0(VALU_DEP_2) | instskip(NEXT) | instid1(VALU_DEP_2)
	v_cndmask_b32_e64 v1, 0, v8, s3
	v_add_nc_u32_e32 v47, v43, v71
	s_delay_alu instid0(VALU_DEP_2) | instskip(SKIP_3) | instid1(VALU_DEP_2)
	v_add_nc_u32_e32 v38, v1, v25
	ds_load_b128 v[1:4], v3 offset:2048
	v_add_nc_u32_e32 v5, v47, v70
	v_cndmask_b32_e64 v37, 0, v38, s2
	v_add_nc_u32_e32 v7, v5, v68
	s_delay_alu instid0(VALU_DEP_2) | instskip(NEXT) | instid1(VALU_DEP_2)
	v_add_nc_u32_e32 v62, v37, v26
	v_add_nc_u32_e32 v37, v7, v67
	s_delay_alu instid0(VALU_DEP_2) | instskip(NEXT) | instid1(VALU_DEP_2)
	v_cndmask_b32_e64 v49, 0, v62, s1
	v_add_nc_u32_e32 v61, v37, v66
	s_delay_alu instid0(VALU_DEP_2) | instskip(SKIP_2) | instid1(VALU_DEP_3)
	v_add_nc_u32_e32 v58, v49, v23
	s_waitcnt lgkmcnt(0)
	v_cmp_eq_u32_e32 vcc_lo, 0, v1
	v_add_nc_u32_e32 v57, v61, v65
	s_delay_alu instid0(VALU_DEP_3) | instskip(SKIP_1) | instid1(VALU_DEP_3)
	v_cndmask_b32_e64 v50, 0, v58, s0
	v_cndmask_b32_e32 v4, 0, v4, vcc_lo
	v_add_nc_u32_e32 v49, v57, v64
	s_delay_alu instid0(VALU_DEP_3) | instskip(NEXT) | instid1(VALU_DEP_3)
	v_add_nc_u32_e32 v50, v50, v24
	v_add_nc_u32_e32 v80, v4, v2
	s_branch .LBB552_123
.LBB552_111:
                                        ; implicit-def: $vgpr1
                                        ; implicit-def: $vgpr80
                                        ; implicit-def: $vgpr53_vgpr54
                                        ; implicit-def: $vgpr59_vgpr60
                                        ; implicit-def: $vgpr55_vgpr56
                                        ; implicit-def: $vgpr51_vgpr52
                                        ; implicit-def: $vgpr45_vgpr46
                                        ; implicit-def: $vgpr41_vgpr42
                                        ; implicit-def: $vgpr39_vgpr40
                                        ; implicit-def: $vgpr43_vgpr44
                                        ; implicit-def: $vgpr47_vgpr48
                                        ; implicit-def: $vgpr5_vgpr6
                                        ; implicit-def: $vgpr7_vgpr8
                                        ; implicit-def: $vgpr37_vgpr38
                                        ; implicit-def: $vgpr61_vgpr62
                                        ; implicit-def: $vgpr57_vgpr58
                                        ; implicit-def: $vgpr49_vgpr50
	s_cbranch_execz .LBB552_123
; %bb.112:
	s_and_b32 s0, s16, exec_lo
	v_mov_b32_e32 v49, v35
	s_cselect_b32 s1, 0, s35
	s_cselect_b32 s0, 0, s34
	s_delay_alu instid0(SALU_CYCLE_1)
	s_cmp_eq_u64 s[0:1], 0
	s_cbranch_scc1 .LBB552_114
; %bb.113:
	v_mov_b32_e32 v1, 0
	global_load_b32 v49, v1, s[0:1]
.LBB552_114:
	v_cmp_eq_u32_e64 s6, 0, v77
	v_cmp_eq_u32_e64 s7, 0, v76
	;; [unrolled: 1-line block ×5, first 2 shown]
	v_cndmask_b32_e64 v1, 0, v35, s6
	v_cmp_eq_u32_e64 s11, 0, v72
	v_cmp_eq_u32_e64 s5, 0, v71
	;; [unrolled: 1-line block ×4, first 2 shown]
	v_add_nc_u32_e32 v1, v1, v36
	v_cmp_eq_u32_e64 s2, 0, v67
	v_add3_u32 v2, v84, v73, v72
	v_cmp_eq_u32_e64 s1, 0, v66
	v_cmp_eq_u32_e32 vcc_lo, 0, v65
	v_cndmask_b32_e64 v1, 0, v1, s7
	v_cmp_eq_u32_e64 s0, 0, v64
	v_add3_u32 v2, v2, v71, v70
	v_cmp_eq_u32_e64 s12, 0, v69
	v_and_b32_e32 v4, 15, v81
	v_add_nc_u32_e32 v1, v1, v33
	s_delay_alu instid0(VALU_DEP_4) | instskip(NEXT) | instid1(VALU_DEP_3)
	v_add3_u32 v2, v2, v68, v67
	v_cmp_lt_u32_e64 s13, 1, v4
	s_delay_alu instid0(VALU_DEP_3) | instskip(NEXT) | instid1(VALU_DEP_3)
	v_cndmask_b32_e64 v1, 0, v1, s8
	v_add3_u32 v2, v2, v66, v65
	s_delay_alu instid0(VALU_DEP_2) | instskip(NEXT) | instid1(VALU_DEP_2)
	v_add_nc_u32_e32 v1, v1, v34
	v_add3_u32 v2, v2, v64, v69
	s_delay_alu instid0(VALU_DEP_2) | instskip(NEXT) | instid1(VALU_DEP_2)
	v_cndmask_b32_e64 v1, 0, v1, s9
	v_mov_b32_dpp v5, v2 row_shr:1 row_mask:0xf bank_mask:0xf
	s_delay_alu instid0(VALU_DEP_2) | instskip(NEXT) | instid1(VALU_DEP_1)
	v_add_nc_u32_e32 v1, v1, v31
	v_cndmask_b32_e64 v1, 0, v1, s10
	s_delay_alu instid0(VALU_DEP_1) | instskip(NEXT) | instid1(VALU_DEP_1)
	v_add_nc_u32_e32 v1, v1, v32
	v_cndmask_b32_e64 v1, 0, v1, s11
	s_delay_alu instid0(VALU_DEP_1) | instskip(NEXT) | instid1(VALU_DEP_1)
	;; [unrolled: 3-line block ×7, first 2 shown]
	v_add_nc_u32_e32 v1, v1, v26
	v_cndmask_b32_e32 v1, 0, v1, vcc_lo
	s_delay_alu instid0(VALU_DEP_1) | instskip(NEXT) | instid1(VALU_DEP_1)
	v_add_nc_u32_e32 v1, v1, v23
	v_cndmask_b32_e64 v1, 0, v1, s0
	s_delay_alu instid0(VALU_DEP_1) | instskip(NEXT) | instid1(VALU_DEP_1)
	v_add_nc_u32_e32 v1, v1, v24
	v_cndmask_b32_e64 v1, 0, v1, s12
	v_cmp_eq_u32_e64 s12, 0, v2
	s_delay_alu instid0(VALU_DEP_2) | instskip(NEXT) | instid1(VALU_DEP_1)
	v_add_nc_u32_e32 v1, v1, v79
	v_mov_b32_dpp v3, v1 row_shr:1 row_mask:0xf bank_mask:0xf
	s_delay_alu instid0(VALU_DEP_1) | instskip(SKIP_1) | instid1(VALU_DEP_1)
	v_cndmask_b32_e64 v3, 0, v3, s12
	v_cmp_eq_u32_e64 s12, 0, v4
	v_cndmask_b32_e64 v5, v5, 0, s12
	s_delay_alu instid0(VALU_DEP_3) | instskip(NEXT) | instid1(VALU_DEP_2)
	v_cndmask_b32_e64 v3, v3, 0, s12
	v_add_nc_u32_e32 v2, v5, v2
	s_delay_alu instid0(VALU_DEP_2) | instskip(NEXT) | instid1(VALU_DEP_2)
	v_add_nc_u32_e32 v1, v3, v1
	v_mov_b32_dpp v3, v2 row_shr:2 row_mask:0xf bank_mask:0xf
	v_cmp_eq_u32_e64 s12, 0, v2
	s_delay_alu instid0(VALU_DEP_3) | instskip(NEXT) | instid1(VALU_DEP_3)
	v_mov_b32_dpp v5, v1 row_shr:2 row_mask:0xf bank_mask:0xf
	v_cndmask_b32_e64 v3, 0, v3, s13
	s_delay_alu instid0(VALU_DEP_3) | instskip(SKIP_1) | instid1(VALU_DEP_3)
	s_and_b32 s12, s13, s12
	v_cmp_lt_u32_e64 s13, 3, v4
	v_cndmask_b32_e64 v5, 0, v5, s12
	s_delay_alu instid0(VALU_DEP_3) | instskip(NEXT) | instid1(VALU_DEP_2)
	v_add_nc_u32_e32 v2, v2, v3
	v_add_nc_u32_e32 v1, v5, v1
	s_delay_alu instid0(VALU_DEP_2) | instskip(SKIP_1) | instid1(VALU_DEP_3)
	v_mov_b32_dpp v3, v2 row_shr:4 row_mask:0xf bank_mask:0xf
	v_cmp_eq_u32_e64 s12, 0, v2
	v_mov_b32_dpp v5, v1 row_shr:4 row_mask:0xf bank_mask:0xf
	s_delay_alu instid0(VALU_DEP_3) | instskip(NEXT) | instid1(VALU_DEP_3)
	v_cndmask_b32_e64 v3, 0, v3, s13
	s_and_b32 s12, s13, s12
	v_cmp_lt_u32_e64 s13, 7, v4
	s_delay_alu instid0(VALU_DEP_3) | instskip(NEXT) | instid1(VALU_DEP_3)
	v_cndmask_b32_e64 v5, 0, v5, s12
	v_add_nc_u32_e32 v2, v3, v2
	s_delay_alu instid0(VALU_DEP_2) | instskip(SKIP_1) | instid1(VALU_DEP_3)
	v_add_nc_u32_e32 v1, v1, v5
	v_bfe_i32 v5, v81, 4, 1
	v_cmp_eq_u32_e64 s12, 0, v2
	v_mov_b32_dpp v3, v2 row_shr:8 row_mask:0xf bank_mask:0xf
	s_delay_alu instid0(VALU_DEP_4) | instskip(NEXT) | instid1(VALU_DEP_3)
	v_mov_b32_dpp v4, v1 row_shr:8 row_mask:0xf bank_mask:0xf
	s_and_b32 s12, s13, s12
	s_delay_alu instid0(VALU_DEP_2) | instskip(SKIP_1) | instid1(VALU_DEP_2)
	v_cndmask_b32_e64 v3, 0, v3, s13
	s_mov_b32 s13, exec_lo
	v_cndmask_b32_e64 v4, 0, v4, s12
	s_delay_alu instid0(VALU_DEP_1) | instskip(NEXT) | instid1(VALU_DEP_3)
	v_add_nc_u32_e32 v4, v4, v1
	v_add_nc_u32_e32 v1, v3, v2
	ds_swizzle_b32 v2, v4 offset:swizzle(BROADCAST,32,15)
	ds_swizzle_b32 v3, v1 offset:swizzle(BROADCAST,32,15)
	v_cmp_eq_u32_e64 s12, 0, v1
	s_waitcnt lgkmcnt(1)
	s_delay_alu instid0(VALU_DEP_1) | instskip(SKIP_2) | instid1(VALU_DEP_2)
	v_cndmask_b32_e64 v2, 0, v2, s12
	s_waitcnt lgkmcnt(0)
	v_and_b32_e32 v3, v5, v3
	v_and_b32_e32 v2, v5, v2
	s_delay_alu instid0(VALU_DEP_2) | instskip(NEXT) | instid1(VALU_DEP_2)
	v_add_nc_u32_e32 v1, v3, v1
	v_add_nc_u32_e32 v2, v2, v4
	v_lshlrev_b32_e32 v4, 3, v82
	v_cmpx_eq_u32_e64 v83, v0
	s_cbranch_execz .LBB552_116
; %bb.115:
	ds_store_b64 v4, v[1:2] offset:2064
.LBB552_116:
	s_or_b32 exec_lo, exec_lo, s13
	s_delay_alu instid0(SALU_CYCLE_1)
	s_mov_b32 s14, exec_lo
	s_waitcnt vmcnt(0) lgkmcnt(0)
	s_barrier
	buffer_gl0_inv
	v_cmpx_gt_u32_e32 8, v0
	s_cbranch_execz .LBB552_118
; %bb.117:
	v_lshlrev_b32_e32 v3, 3, v0
	v_and_b32_e32 v8, 7, v81
	ds_load_b64 v[5:6], v3 offset:2064
	v_cmp_lt_u32_e64 s13, 1, v8
	s_waitcnt lgkmcnt(0)
	v_mov_b32_dpp v7, v6 row_shr:1 row_mask:0xf bank_mask:0xf
	v_cmp_eq_u32_e64 s12, 0, v5
	v_mov_b32_dpp v37, v5 row_shr:1 row_mask:0xf bank_mask:0xf
	s_delay_alu instid0(VALU_DEP_2) | instskip(SKIP_1) | instid1(VALU_DEP_1)
	v_cndmask_b32_e64 v7, 0, v7, s12
	v_cmp_eq_u32_e64 s12, 0, v8
	v_cndmask_b32_e64 v37, v37, 0, s12
	s_delay_alu instid0(VALU_DEP_3) | instskip(NEXT) | instid1(VALU_DEP_2)
	v_cndmask_b32_e64 v7, v7, 0, s12
	v_add_nc_u32_e32 v5, v37, v5
	s_delay_alu instid0(VALU_DEP_2) | instskip(NEXT) | instid1(VALU_DEP_2)
	v_add_nc_u32_e32 v6, v7, v6
	v_mov_b32_dpp v7, v5 row_shr:2 row_mask:0xf bank_mask:0xf
	v_cmp_eq_u32_e64 s12, 0, v5
	s_delay_alu instid0(VALU_DEP_3) | instskip(NEXT) | instid1(VALU_DEP_3)
	v_mov_b32_dpp v37, v6 row_shr:2 row_mask:0xf bank_mask:0xf
	v_cndmask_b32_e64 v7, 0, v7, s13
	s_delay_alu instid0(VALU_DEP_3) | instskip(SKIP_1) | instid1(VALU_DEP_3)
	s_and_b32 s12, s13, s12
	v_cmp_lt_u32_e64 s13, 3, v8
	v_cndmask_b32_e64 v37, 0, v37, s12
	s_delay_alu instid0(VALU_DEP_3) | instskip(NEXT) | instid1(VALU_DEP_2)
	v_add_nc_u32_e32 v5, v7, v5
	v_add_nc_u32_e32 v6, v37, v6
	s_delay_alu instid0(VALU_DEP_2) | instskip(SKIP_1) | instid1(VALU_DEP_3)
	v_cmp_eq_u32_e64 s12, 0, v5
	v_mov_b32_dpp v7, v5 row_shr:4 row_mask:0xf bank_mask:0xf
	v_mov_b32_dpp v8, v6 row_shr:4 row_mask:0xf bank_mask:0xf
	s_delay_alu instid0(VALU_DEP_3) | instskip(NEXT) | instid1(VALU_DEP_2)
	s_and_b32 s12, s13, s12
	v_cndmask_b32_e64 v7, 0, v7, s13
	s_delay_alu instid0(VALU_DEP_2) | instskip(NEXT) | instid1(VALU_DEP_2)
	v_cndmask_b32_e64 v8, 0, v8, s12
	v_add_nc_u32_e32 v5, v7, v5
	s_delay_alu instid0(VALU_DEP_2)
	v_add_nc_u32_e32 v6, v8, v6
	ds_store_b64 v3, v[5:6] offset:2064
.LBB552_118:
	s_or_b32 exec_lo, exec_lo, s14
	v_mov_b32_e32 v7, 0
	v_mov_b32_e32 v3, 0
	v_mov_b32_e32 v5, v49
	s_mov_b32 s13, exec_lo
	s_waitcnt lgkmcnt(0)
	s_barrier
	buffer_gl0_inv
	v_cmpx_lt_u32_e32 31, v0
	s_cbranch_execz .LBB552_120
; %bb.119:
	ds_load_b64 v[3:4], v4 offset:2056
	s_waitcnt lgkmcnt(0)
	v_cmp_eq_u32_e64 s12, 0, v3
	s_delay_alu instid0(VALU_DEP_1) | instskip(NEXT) | instid1(VALU_DEP_1)
	v_cndmask_b32_e64 v5, 0, v49, s12
	v_add_nc_u32_e32 v5, v5, v4
.LBB552_120:
	s_or_b32 exec_lo, exec_lo, s13
	v_add_nc_u32_e32 v4, -1, v81
	v_cmp_eq_u32_e64 s13, 0, v78
	s_delay_alu instid0(VALU_DEP_2) | instskip(NEXT) | instid1(VALU_DEP_1)
	v_cmp_gt_i32_e64 s12, 0, v4
	v_cndmask_b32_e64 v4, v4, v81, s12
	v_cmp_eq_u32_e64 s12, 0, v1
	v_add_nc_u32_e32 v1, v3, v1
	s_delay_alu instid0(VALU_DEP_3) | instskip(NEXT) | instid1(VALU_DEP_3)
	v_lshlrev_b32_e32 v4, 2, v4
	v_cndmask_b32_e64 v6, 0, v5, s12
	v_cmp_eq_u32_e64 s12, 0, v81
	ds_bpermute_b32 v1, v4, v1
	v_add_nc_u32_e32 v2, v6, v2
	ds_bpermute_b32 v2, v4, v2
	s_waitcnt lgkmcnt(1)
	v_cndmask_b32_e64 v1, v1, v3, s12
	s_waitcnt lgkmcnt(0)
	v_cndmask_b32_e64 v2, v2, v5, s12
	v_cmp_eq_u32_e64 s12, 0, v0
	s_delay_alu instid0(VALU_DEP_1) | instskip(SKIP_1) | instid1(VALU_DEP_2)
	v_cndmask_b32_e64 v54, v2, v49, s12
	v_cndmask_b32_e64 v53, v1, 0, s12
	;; [unrolled: 1-line block ×3, first 2 shown]
	s_delay_alu instid0(VALU_DEP_1) | instskip(NEXT) | instid1(VALU_DEP_1)
	v_add_nc_u32_e32 v60, v2, v35
	v_cndmask_b32_e64 v2, 0, v60, s6
	s_delay_alu instid0(VALU_DEP_1) | instskip(NEXT) | instid1(VALU_DEP_1)
	v_add_nc_u32_e32 v56, v2, v36
	v_cndmask_b32_e64 v2, 0, v56, s7
	;; [unrolled: 3-line block ×10, first 2 shown]
	s_delay_alu instid0(VALU_DEP_1) | instskip(SKIP_2) | instid1(VALU_DEP_1)
	v_add_nc_u32_e32 v38, v1, v25
	ds_load_b64 v[1:2], v7 offset:2120
	v_cndmask_b32_e64 v3, 0, v38, s1
	v_add_nc_u32_e32 v62, v3, v26
	s_delay_alu instid0(VALU_DEP_1) | instskip(NEXT) | instid1(VALU_DEP_1)
	v_cndmask_b32_e32 v3, 0, v62, vcc_lo
	v_add_nc_u32_e32 v58, v3, v23
	s_waitcnt lgkmcnt(0)
	v_cmp_eq_u32_e32 vcc_lo, 0, v1
	v_add_nc_u32_e32 v59, v53, v78
	s_delay_alu instid0(VALU_DEP_3) | instskip(SKIP_1) | instid1(VALU_DEP_3)
	v_cndmask_b32_e64 v3, 0, v58, s0
	v_cndmask_b32_e32 v4, 0, v49, vcc_lo
	v_add_nc_u32_e32 v55, v59, v77
	s_delay_alu instid0(VALU_DEP_3) | instskip(NEXT) | instid1(VALU_DEP_3)
	v_add_nc_u32_e32 v50, v3, v24
	v_add_nc_u32_e32 v80, v4, v2
	s_delay_alu instid0(VALU_DEP_3) | instskip(NEXT) | instid1(VALU_DEP_1)
	v_add_nc_u32_e32 v51, v55, v76
	v_add_nc_u32_e32 v45, v51, v75
	s_delay_alu instid0(VALU_DEP_1) | instskip(NEXT) | instid1(VALU_DEP_1)
	v_add_nc_u32_e32 v41, v45, v74
	v_add_nc_u32_e32 v39, v41, v73
	s_delay_alu instid0(VALU_DEP_1) | instskip(NEXT) | instid1(VALU_DEP_1)
	;; [unrolled: 3-line block ×5, first 2 shown]
	v_add_nc_u32_e32 v57, v61, v65
	v_add_nc_u32_e32 v49, v57, v64
	s_and_saveexec_b32 s0, s12
	s_cbranch_execz .LBB552_122
; %bb.121:
	v_and_b32_e32 v2, 0xff000000, v80
	v_dual_mov_b32 v4, 0 :: v_dual_and_b32 v3, 0xff0000, v80
	s_add_u32 s2, s24, 0x200
	v_and_b32_e32 v23, 0xff00, v80
	s_addc_u32 s3, s25, 0
	v_and_b32_e32 v24, 0xff, v80
	v_or_b32_e32 v2, v3, v2
	v_mov_b32_e32 v3, 2
	s_delay_alu instid0(VALU_DEP_2)
	v_or3_b32 v2, v2, v23, v24
	v_dual_mov_b32 v24, s3 :: v_dual_mov_b32 v23, s2
	;;#ASMSTART
	global_store_dwordx4 v[23:24], v[1:4] off	
s_waitcnt vmcnt(0)
	;;#ASMEND
.LBB552_122:
	s_or_b32 exec_lo, exec_lo, s0
	v_mov_b32_e32 v3, 0
.LBB552_123:
	v_mov_b32_e32 v23, 0
	s_and_b32 s0, s16, exec_lo
	v_mov_b32_e32 v24, 0
	s_cselect_b32 s1, 0, s43
	s_cselect_b32 s0, 0, s42
	s_delay_alu instid0(SALU_CYCLE_1)
	s_cmp_eq_u64 s[0:1], 0
	s_barrier
	buffer_gl0_inv
	s_cbranch_scc1 .LBB552_125
; %bb.124:
	v_mov_b32_e32 v2, 0
	global_load_b64 v[23:24], v2, s[0:1]
.LBB552_125:
	v_cmp_eq_u32_e32 vcc_lo, 0, v78
	v_cmp_ne_u32_e64 s14, 0, v78
	v_cmp_ne_u32_e64 s13, 0, v77
	;; [unrolled: 1-line block ×4, first 2 shown]
	v_cndmask_b32_e64 v2, 1, 2, vcc_lo
	v_cmp_eq_u32_e32 vcc_lo, 0, v77
	v_cmp_ne_u32_e64 s10, 0, v74
	v_cmp_ne_u32_e64 s9, 0, v73
	;; [unrolled: 1-line block ×4, first 2 shown]
	v_cndmask_b32_e64 v4, 1, 2, vcc_lo
	v_cmp_eq_u32_e32 vcc_lo, 0, v76
	v_cmp_ne_u32_e64 s8, 0, v70
	v_cmp_ne_u32_e64 s6, 0, v68
	;; [unrolled: 1-line block ×3, first 2 shown]
	v_and_b32_e32 v2, v4, v2
	v_cndmask_b32_e64 v25, 1, 2, vcc_lo
	v_cmp_eq_u32_e32 vcc_lo, 0, v75
	v_cmp_ne_u32_e64 s3, 0, v66
	v_cmp_ne_u32_e64 s2, 0, v65
	;; [unrolled: 1-line block ×3, first 2 shown]
	v_and_b32_e32 v2, v2, v25
	v_cndmask_b32_e64 v4, 1, 2, vcc_lo
	v_cmp_eq_u32_e32 vcc_lo, 0, v74
	v_cmp_ne_u32_e64 s0, 0, v69
	s_mov_b32 s16, -1
	s_delay_alu instid0(VALU_DEP_3) | instskip(SKIP_2) | instid1(VALU_DEP_2)
	v_and_b32_e32 v2, v2, v4
	v_cndmask_b32_e64 v25, 1, 2, vcc_lo
	v_cmp_eq_u32_e32 vcc_lo, 0, v73
	v_and_b32_e32 v2, v2, v25
	v_cndmask_b32_e64 v4, 1, 2, vcc_lo
	v_cmp_eq_u32_e32 vcc_lo, 0, v72
	s_waitcnt vmcnt(0)
	v_lshlrev_b64 v[25:26], 2, v[23:24]
	s_delay_alu instid0(VALU_DEP_3) | instskip(SKIP_2) | instid1(VALU_DEP_2)
	v_and_b32_e32 v2, v2, v4
	v_cndmask_b32_e64 v27, 1, 2, vcc_lo
	v_cmp_eq_u32_e32 vcc_lo, 0, v71
	v_and_b32_e32 v2, v2, v27
	v_cndmask_b32_e64 v28, 1, 2, vcc_lo
	v_cmp_eq_u32_e32 vcc_lo, 0, v70
	s_delay_alu instid0(VALU_DEP_2) | instskip(SKIP_2) | instid1(VALU_DEP_2)
	v_and_b32_e32 v2, v2, v28
	v_cndmask_b32_e64 v27, 1, 2, vcc_lo
	v_cmp_eq_u32_e32 vcc_lo, 0, v68
	v_and_b32_e32 v2, v2, v27
	v_cndmask_b32_e64 v28, 1, 2, vcc_lo
	v_cmp_eq_u32_e32 vcc_lo, 0, v67
	s_delay_alu instid0(VALU_DEP_2) | instskip(SKIP_2) | instid1(VALU_DEP_2)
	;; [unrolled: 7-line block ×3, first 2 shown]
	v_and_b32_e32 v2, v2, v29
	v_cndmask_b32_e64 v30, 1, 2, vcc_lo
	v_cmp_eq_u32_e32 vcc_lo, 0, v64
	v_and_b32_e32 v30, v2, v30
	v_cndmask_b32_e64 v31, 1, 2, vcc_lo
	v_mov_b32_e32 v4, 0
	s_delay_alu instid0(VALU_DEP_1) | instskip(SKIP_2) | instid1(VALU_DEP_2)
	v_lshlrev_b64 v[27:28], 2, v[3:4]
	v_add_co_u32 v4, vcc_lo, s22, v25
	v_add_co_ci_u32_e32 v29, vcc_lo, s23, v26, vcc_lo
	v_add_co_u32 v2, vcc_lo, v4, v27
	s_delay_alu instid0(VALU_DEP_2) | instskip(SKIP_4) | instid1(VALU_DEP_2)
	v_add_co_ci_u32_e32 v4, vcc_lo, v29, v28, vcc_lo
	v_and_b32_e32 v29, v30, v31
	v_cmp_eq_u32_e32 vcc_lo, 0, v69
	v_cndmask_b32_e64 v30, 1, 2, vcc_lo
	v_cmp_gt_u32_e32 vcc_lo, 0x100, v1
	v_and_b32_e32 v29, v29, v30
	s_delay_alu instid0(VALU_DEP_1)
	v_cmp_gt_i16_e64 s15, 2, v29
	s_cbranch_vccz .LBB552_132
; %bb.126:
	s_delay_alu instid0(VALU_DEP_1)
	s_and_saveexec_b32 s16, s15
	s_cbranch_execz .LBB552_131
; %bb.127:
	s_mov_b32 s17, 0
	s_mov_b32 s15, exec_lo
	v_cmpx_ne_u16_e32 1, v29
	s_xor_b32 s15, exec_lo, s15
	s_cbranch_execnz .LBB552_164
; %bb.128:
	s_and_not1_saveexec_b32 s15, s15
	s_cbranch_execnz .LBB552_180
.LBB552_129:
	s_or_b32 exec_lo, exec_lo, s15
	s_delay_alu instid0(SALU_CYCLE_1)
	s_and_b32 exec_lo, exec_lo, s17
	s_cbranch_execz .LBB552_131
.LBB552_130:
	v_sub_nc_u32_e32 v30, v49, v3
	v_mov_b32_e32 v31, 0
	s_delay_alu instid0(VALU_DEP_1) | instskip(NEXT) | instid1(VALU_DEP_1)
	v_lshlrev_b64 v[30:31], 2, v[30:31]
	v_add_co_u32 v30, vcc_lo, v2, v30
	s_delay_alu instid0(VALU_DEP_2)
	v_add_co_ci_u32_e32 v31, vcc_lo, v4, v31, vcc_lo
	global_store_b32 v[30:31], v63, off
.LBB552_131:
	s_or_b32 exec_lo, exec_lo, s16
	s_mov_b32 s16, 0
.LBB552_132:
	s_delay_alu instid0(SALU_CYCLE_1)
	s_and_b32 vcc_lo, exec_lo, s16
	s_cbranch_vccz .LBB552_142
; %bb.133:
	s_mov_b32 s15, exec_lo
	v_cmpx_gt_i16_e32 2, v29
	s_cbranch_execz .LBB552_138
; %bb.134:
	s_mov_b32 s17, 0
	s_mov_b32 s16, exec_lo
	v_cmpx_ne_u16_e32 1, v29
	s_xor_b32 s16, exec_lo, s16
	s_cbranch_execnz .LBB552_181
; %bb.135:
	s_and_not1_saveexec_b32 s0, s16
	s_cbranch_execnz .LBB552_197
.LBB552_136:
	s_or_b32 exec_lo, exec_lo, s0
	s_delay_alu instid0(SALU_CYCLE_1)
	s_and_b32 exec_lo, exec_lo, s17
	s_cbranch_execz .LBB552_138
.LBB552_137:
	v_sub_nc_u32_e32 v9, v49, v3
	s_delay_alu instid0(VALU_DEP_1)
	v_lshlrev_b32_e32 v9, 2, v9
	ds_store_b32 v9, v63
.LBB552_138:
	s_or_b32 exec_lo, exec_lo, s15
	s_delay_alu instid0(SALU_CYCLE_1)
	s_mov_b32 s1, exec_lo
	s_waitcnt lgkmcnt(0)
	s_waitcnt_vscnt null, 0x0
	s_barrier
	buffer_gl0_inv
	v_cmpx_lt_u32_e64 v0, v1
	s_cbranch_execz .LBB552_141
; %bb.139:
	v_dual_mov_b32 v10, 0 :: v_dual_lshlrev_b32 v11, 2, v0
	v_mov_b32_e32 v9, v0
	s_mov_b32 s2, 0
	.p2align	6
.LBB552_140:                            ; =>This Inner Loop Header: Depth=1
	ds_load_b32 v14, v11
	v_lshlrev_b64 v[12:13], 2, v[9:10]
	v_add_nc_u32_e32 v9, 0x100, v9
	v_add_nc_u32_e32 v11, 0x400, v11
	s_delay_alu instid0(VALU_DEP_2) | instskip(NEXT) | instid1(VALU_DEP_4)
	v_cmp_ge_u32_e32 vcc_lo, v9, v1
	v_add_co_u32 v12, s0, v2, v12
	s_delay_alu instid0(VALU_DEP_1)
	v_add_co_ci_u32_e64 v13, s0, v4, v13, s0
	s_or_b32 s2, vcc_lo, s2
	s_waitcnt lgkmcnt(0)
	global_store_b32 v[12:13], v14, off
	s_and_not1_b32 exec_lo, exec_lo, s2
	s_cbranch_execnz .LBB552_140
.LBB552_141:
	s_or_b32 exec_lo, exec_lo, s1
.LBB552_142:
	s_cmpk_lg_i32 s21, 0xf00
	v_cmp_eq_u32_e32 vcc_lo, 0, v0
	s_cselect_b32 s0, -1, 0
	v_cndmask_b32_e64 v4, 0, 1, s28
	s_and_b32 s0, s20, s0
	v_mad_i32_i24 v10, v0, -15, s21
	v_cndmask_b32_e64 v9, 0, 1, s0
	s_mul_hi_u32 s0, s21, 0x88888889
	s_and_b32 s1, vcc_lo, s28
	s_lshr_b32 s0, s0, 3
	v_sub_nc_u32_e32 v2, v1, v4
	v_cndmask_b32_e64 v11, v78, 0, s1
	v_cmp_eq_u32_e32 vcc_lo, s0, v0
	v_cmp_ne_u32_e64 s0, 0, v10
	s_mov_b32 s16, -1
	s_waitcnt_vscnt null, 0x0
	s_barrier
	s_and_b32 vcc_lo, s20, vcc_lo
	v_add_nc_u32_e32 v2, v2, v9
	v_cndmask_b32_e64 v9, 1, v11, s0
	v_cmp_ne_u32_e64 s0, 1, v10
	buffer_gl0_inv
	v_cndmask_b32_e64 v12, 1, v77, s0
	v_cmp_ne_u32_e64 s0, 14, v10
	s_delay_alu instid0(VALU_DEP_2) | instskip(NEXT) | instid1(VALU_DEP_2)
	v_cndmask_b32_e32 v17, v77, v12, vcc_lo
	v_cndmask_b32_e64 v13, 1, v69, s0
	v_cmp_ne_u32_e64 s0, 2, v10
	s_delay_alu instid0(VALU_DEP_3) | instskip(NEXT) | instid1(VALU_DEP_2)
	v_cmp_ne_u32_e64 s13, 0, v17
	v_cndmask_b32_e64 v14, 1, v76, s0
	v_cmp_ne_u32_e64 s0, 3, v10
	s_delay_alu instid0(VALU_DEP_2) | instskip(NEXT) | instid1(VALU_DEP_2)
	v_cndmask_b32_e32 v14, v76, v14, vcc_lo
	v_cndmask_b32_e64 v15, 1, v75, s0
	v_cmp_ne_u32_e64 s0, 4, v10
	v_cndmask_b32_e32 v16, v69, v13, vcc_lo
	v_cndmask_b32_e32 v13, v11, v9, vcc_lo
	v_cmp_ne_u32_e64 s12, 0, v14
	v_cndmask_b32_e32 v15, v75, v15, vcc_lo
	v_cndmask_b32_e64 v9, 1, v74, s0
	v_cmp_ne_u32_e64 s0, 5, v10
	v_cmp_ne_u32_e64 s14, 0, v13
	s_delay_alu instid0(VALU_DEP_4) | instskip(NEXT) | instid1(VALU_DEP_3)
	v_cmp_ne_u32_e64 s11, 0, v15
	v_cndmask_b32_e64 v11, 1, v73, s0
	v_cmp_eq_u32_e64 s0, 0, v13
	s_delay_alu instid0(VALU_DEP_2) | instskip(NEXT) | instid1(VALU_DEP_2)
	v_cndmask_b32_e32 v29, v73, v11, vcc_lo
	v_cndmask_b32_e64 v12, 1, 2, s0
	v_cmp_eq_u32_e64 s0, 0, v17
	s_delay_alu instid0(VALU_DEP_3) | instskip(NEXT) | instid1(VALU_DEP_2)
	v_cmp_ne_u32_e64 s9, 0, v29
	v_cndmask_b32_e64 v18, 1, 2, s0
	v_cmp_ne_u32_e64 s0, 6, v10
	s_delay_alu instid0(VALU_DEP_2) | instskip(NEXT) | instid1(VALU_DEP_2)
	v_and_b32_e32 v12, v18, v12
	v_cndmask_b32_e64 v19, 1, v72, s0
	v_cmp_eq_u32_e64 s0, 0, v14
	s_delay_alu instid0(VALU_DEP_1) | instskip(SKIP_1) | instid1(VALU_DEP_1)
	v_cndmask_b32_e64 v18, 1, 2, s0
	v_cmp_ne_u32_e64 s0, 7, v10
	v_cndmask_b32_e64 v20, 1, v71, s0
	v_cmp_ne_u32_e64 s0, 8, v10
	s_delay_alu instid0(VALU_DEP_2) | instskip(NEXT) | instid1(VALU_DEP_2)
	v_dual_cndmask_b32 v19, v72, v19 :: v_dual_cndmask_b32 v20, v71, v20
	v_cndmask_b32_e64 v21, 1, v70, s0
	v_cmp_eq_u32_e64 s0, 0, v15
	v_and_b32_e32 v12, v12, v18
	s_delay_alu instid0(VALU_DEP_4)
	v_cmp_ne_u32_e64 s8, 0, v19
	v_cmp_ne_u32_e64 s7, 0, v20
	v_cndmask_b32_e32 v21, v70, v21, vcc_lo
	v_cndmask_b32_e64 v18, 1, 2, s0
	v_cndmask_b32_e32 v22, v74, v9, vcc_lo
	v_cmp_ne_u32_e64 s0, 9, v10
	s_delay_alu instid0(VALU_DEP_4) | instskip(NEXT) | instid1(VALU_DEP_4)
	v_cmp_ne_u32_e64 s6, 0, v21
	v_and_b32_e32 v11, v12, v18
	s_delay_alu instid0(VALU_DEP_4) | instskip(NEXT) | instid1(VALU_DEP_4)
	v_cmp_ne_u32_e64 s10, 0, v22
	v_cndmask_b32_e64 v9, 1, v68, s0
	v_cmp_eq_u32_e64 s0, 0, v22
	s_delay_alu instid0(VALU_DEP_2) | instskip(NEXT) | instid1(VALU_DEP_2)
	v_cndmask_b32_e32 v33, v68, v9, vcc_lo
	v_cndmask_b32_e64 v12, 1, 2, s0
	v_cmp_ne_u32_e64 s0, 10, v10
	s_delay_alu instid0(VALU_DEP_1) | instskip(SKIP_1) | instid1(VALU_DEP_2)
	v_cndmask_b32_e64 v18, 1, v67, s0
	v_cmp_ne_u32_e64 s0, 12, v10
	v_cndmask_b32_e32 v18, v67, v18, vcc_lo
	s_delay_alu instid0(VALU_DEP_2) | instskip(SKIP_2) | instid1(VALU_DEP_4)
	v_cndmask_b32_e64 v30, 1, v65, s0
	v_cmp_eq_u32_e64 s0, 0, v29
	v_and_b32_e32 v11, v11, v12
	v_cmp_ne_u32_e64 s4, 0, v18
	s_delay_alu instid0(VALU_DEP_4) | instskip(NEXT) | instid1(VALU_DEP_4)
	v_cndmask_b32_e32 v30, v65, v30, vcc_lo
	v_cndmask_b32_e64 v12, 1, 2, s0
	v_cmp_ne_u32_e64 s0, 13, v10
	s_delay_alu instid0(VALU_DEP_3) | instskip(NEXT) | instid1(VALU_DEP_3)
	v_cmp_ne_u32_e64 s2, 0, v30
	v_and_b32_e32 v11, v11, v12
	s_delay_alu instid0(VALU_DEP_3) | instskip(SKIP_1) | instid1(VALU_DEP_2)
	v_cndmask_b32_e64 v31, 1, v64, s0
	v_cmp_eq_u32_e64 s0, 0, v19
	v_cndmask_b32_e32 v31, v64, v31, vcc_lo
	s_delay_alu instid0(VALU_DEP_2) | instskip(SKIP_1) | instid1(VALU_DEP_3)
	v_cndmask_b32_e64 v12, 1, 2, s0
	v_cmp_ne_u32_e64 s0, 11, v10
	v_cmp_ne_u32_e64 s1, 0, v31
	s_delay_alu instid0(VALU_DEP_2) | instskip(SKIP_1) | instid1(VALU_DEP_2)
	v_cndmask_b32_e64 v10, 1, v66, s0
	v_cmp_eq_u32_e64 s0, 0, v20
	v_dual_cndmask_b32 v32, v66, v10 :: v_dual_and_b32 v11, v11, v12
	s_delay_alu instid0(VALU_DEP_2) | instskip(SKIP_2) | instid1(VALU_DEP_4)
	v_cndmask_b32_e64 v12, 1, 2, s0
	v_cmp_eq_u32_e32 vcc_lo, 0, v21
	v_cmp_ne_u32_e64 s0, 0, v16
	v_cmp_ne_u32_e64 s3, 0, v32
	s_delay_alu instid0(VALU_DEP_4) | instskip(SKIP_4) | instid1(VALU_DEP_4)
	v_and_b32_e32 v9, v11, v12
	v_cndmask_b32_e64 v10, 1, 2, vcc_lo
	v_add_co_u32 v11, vcc_lo, s36, v25
	v_add_co_ci_u32_e32 v12, vcc_lo, s37, v26, vcc_lo
	v_cmp_eq_u32_e32 vcc_lo, 0, v33
	v_and_b32_e32 v25, v9, v10
	v_cndmask_b32_e64 v26, 1, 2, vcc_lo
	v_add_co_u32 v9, vcc_lo, v11, v27
	v_add_co_ci_u32_e32 v10, vcc_lo, v12, v28, vcc_lo
	v_lshlrev_b32_e32 v11, 2, v4
	v_cmp_eq_u32_e32 vcc_lo, 0, v18
	v_and_b32_e32 v12, v25, v26
	v_add_nc_u32_e32 v4, v3, v4
	v_cmp_ne_u32_e64 s5, 0, v33
	v_cndmask_b32_e64 v25, 1, 2, vcc_lo
	v_add_co_u32 v11, vcc_lo, v11, v9
	v_add_co_ci_u32_e32 v26, vcc_lo, 0, v10, vcc_lo
	v_cmp_eq_u32_e32 vcc_lo, 0, v32
	s_delay_alu instid0(VALU_DEP_4) | instskip(SKIP_4) | instid1(VALU_DEP_4)
	v_and_b32_e32 v25, v12, v25
	v_cndmask_b32_e64 v27, 1, 2, vcc_lo
	v_add_co_u32 v11, vcc_lo, v11, -4
	v_add_co_ci_u32_e32 v12, vcc_lo, -1, v26, vcc_lo
	v_cmp_eq_u32_e32 vcc_lo, 0, v30
	v_and_b32_e32 v25, v25, v27
	v_cndmask_b32_e64 v26, 1, 2, vcc_lo
	v_cmp_eq_u32_e32 vcc_lo, 0, v31
	s_delay_alu instid0(VALU_DEP_2) | instskip(SKIP_2) | instid1(VALU_DEP_2)
	v_and_b32_e32 v13, v25, v26
	v_cndmask_b32_e64 v14, 1, 2, vcc_lo
	v_cmp_eq_u32_e32 vcc_lo, 0, v16
	v_and_b32_e32 v13, v13, v14
	v_cndmask_b32_e64 v14, 1, 2, vcc_lo
	v_cmp_gt_u32_e32 vcc_lo, 0x100, v2
	s_delay_alu instid0(VALU_DEP_2) | instskip(NEXT) | instid1(VALU_DEP_1)
	v_and_b32_e32 v13, v13, v14
	v_cmp_gt_i16_e64 s15, 2, v13
	s_cbranch_vccnz .LBB552_146
; %bb.143:
	s_and_b32 vcc_lo, exec_lo, s16
	s_cbranch_vccnz .LBB552_152
.LBB552_144:
	v_cmp_eq_u32_e32 vcc_lo, 0xff, v0
	s_and_b32 s0, vcc_lo, s20
	s_delay_alu instid0(SALU_CYCLE_1)
	s_and_saveexec_b32 s1, s0
	s_cbranch_execnz .LBB552_161
.LBB552_145:
	s_nop 0
	s_sendmsg sendmsg(MSG_DEALLOC_VGPRS)
	s_endpgm
.LBB552_146:
	s_delay_alu instid0(VALU_DEP_1)
	s_and_saveexec_b32 s16, s15
	s_cbranch_execz .LBB552_151
; %bb.147:
	s_mov_b32 s17, 0
	s_mov_b32 s15, exec_lo
	v_cmpx_ne_u16_e32 1, v13
	s_xor_b32 s15, exec_lo, s15
	s_cbranch_execnz .LBB552_198
; %bb.148:
	s_and_not1_saveexec_b32 s15, s15
	s_cbranch_execnz .LBB552_214
.LBB552_149:
	s_or_b32 exec_lo, exec_lo, s15
	s_delay_alu instid0(SALU_CYCLE_1)
	s_and_b32 exec_lo, exec_lo, s17
	s_cbranch_execz .LBB552_151
.LBB552_150:
	v_sub_nc_u32_e32 v14, v49, v4
	v_mov_b32_e32 v15, 0
	s_delay_alu instid0(VALU_DEP_1) | instskip(NEXT) | instid1(VALU_DEP_1)
	v_lshlrev_b64 v[14:15], 2, v[14:15]
	v_add_co_u32 v14, vcc_lo, v11, v14
	s_delay_alu instid0(VALU_DEP_2)
	v_add_co_ci_u32_e32 v15, vcc_lo, v12, v15, vcc_lo
	global_store_b32 v[14:15], v50, off
.LBB552_151:
	s_or_b32 exec_lo, exec_lo, s16
	s_branch .LBB552_144
.LBB552_152:
	s_mov_b32 s15, exec_lo
	v_cmpx_gt_i16_e32 2, v13
	s_cbranch_execz .LBB552_157
; %bb.153:
	s_mov_b32 s17, 0
	s_mov_b32 s16, exec_lo
	v_cmpx_ne_u16_e32 1, v13
	s_xor_b32 s16, exec_lo, s16
	s_cbranch_execnz .LBB552_215
; %bb.154:
	s_and_not1_saveexec_b32 s0, s16
	s_cbranch_execnz .LBB552_231
.LBB552_155:
	s_or_b32 exec_lo, exec_lo, s0
	s_delay_alu instid0(SALU_CYCLE_1)
	s_and_b32 exec_lo, exec_lo, s17
	s_cbranch_execz .LBB552_157
.LBB552_156:
	v_sub_nc_u32_e32 v4, v49, v4
	s_delay_alu instid0(VALU_DEP_1)
	v_lshlrev_b32_e32 v4, 2, v4
	ds_store_b32 v4, v50
.LBB552_157:
	s_or_b32 exec_lo, exec_lo, s15
	s_delay_alu instid0(SALU_CYCLE_1)
	s_mov_b32 s1, exec_lo
	s_waitcnt lgkmcnt(0)
	s_waitcnt_vscnt null, 0x0
	s_barrier
	buffer_gl0_inv
	v_cmpx_lt_u32_e64 v0, v2
	s_cbranch_execz .LBB552_160
; %bb.158:
	v_dual_mov_b32 v5, 0 :: v_dual_lshlrev_b32 v6, 2, v0
	v_mov_b32_e32 v4, v0
	s_mov_b32 s2, 0
	.p2align	6
.LBB552_159:                            ; =>This Inner Loop Header: Depth=1
	ds_load_b32 v13, v6
	v_lshlrev_b64 v[7:8], 2, v[4:5]
	v_add_nc_u32_e32 v4, 0x100, v4
	v_add_nc_u32_e32 v6, 0x400, v6
	s_delay_alu instid0(VALU_DEP_2) | instskip(NEXT) | instid1(VALU_DEP_4)
	v_cmp_ge_u32_e32 vcc_lo, v4, v2
	v_add_co_u32 v7, s0, v11, v7
	s_delay_alu instid0(VALU_DEP_1)
	v_add_co_ci_u32_e64 v8, s0, v12, v8, s0
	s_or_b32 s2, vcc_lo, s2
	s_waitcnt lgkmcnt(0)
	global_store_b32 v[7:8], v13, off
	s_and_not1_b32 exec_lo, exec_lo, s2
	s_cbranch_execnz .LBB552_159
.LBB552_160:
	s_or_b32 exec_lo, exec_lo, s1
	v_cmp_eq_u32_e32 vcc_lo, 0xff, v0
	s_and_b32 s0, vcc_lo, s20
	s_delay_alu instid0(SALU_CYCLE_1)
	s_and_saveexec_b32 s1, s0
	s_cbranch_execz .LBB552_145
.LBB552_161:
	v_add_co_u32 v0, s0, v1, v3
	s_delay_alu instid0(VALU_DEP_1) | instskip(SKIP_1) | instid1(VALU_DEP_3)
	v_add_co_ci_u32_e64 v4, null, 0, 0, s0
	v_mov_b32_e32 v2, 0
	v_add_co_u32 v3, vcc_lo, v0, v23
	s_delay_alu instid0(VALU_DEP_3)
	v_add_co_ci_u32_e32 v4, vcc_lo, v4, v24, vcc_lo
	s_cmpk_lg_i32 s21, 0xf00
	global_store_b64 v2, v[3:4], s[38:39]
	s_cbranch_scc1 .LBB552_145
; %bb.162:
	v_lshlrev_b64 v[0:1], 2, v[1:2]
	s_delay_alu instid0(VALU_DEP_1) | instskip(NEXT) | instid1(VALU_DEP_2)
	v_add_co_u32 v0, vcc_lo, v9, v0
	v_add_co_ci_u32_e32 v1, vcc_lo, v10, v1, vcc_lo
	global_store_b32 v[0:1], v80, off offset:-4
	s_nop 0
	s_sendmsg sendmsg(MSG_DEALLOC_VGPRS)
	s_endpgm
.LBB552_163:
	s_or_b32 exec_lo, exec_lo, s2
	v_mov_b32_e32 v78, s1
	s_and_saveexec_b32 s1, s30
	s_cbranch_execnz .LBB552_84
	s_branch .LBB552_85
.LBB552_164:
	s_and_saveexec_b32 s17, s14
	s_cbranch_execnz .LBB552_232
; %bb.165:
	s_or_b32 exec_lo, exec_lo, s17
	s_and_saveexec_b32 s17, s13
	s_cbranch_execnz .LBB552_233
.LBB552_166:
	s_or_b32 exec_lo, exec_lo, s17
	s_and_saveexec_b32 s17, s12
	s_cbranch_execnz .LBB552_234
.LBB552_167:
	s_or_b32 exec_lo, exec_lo, s17
	s_and_saveexec_b32 s17, s11
	s_cbranch_execnz .LBB552_235
.LBB552_168:
	s_or_b32 exec_lo, exec_lo, s17
	s_and_saveexec_b32 s17, s10
	s_cbranch_execnz .LBB552_236
.LBB552_169:
	s_or_b32 exec_lo, exec_lo, s17
	s_and_saveexec_b32 s17, s9
	s_cbranch_execnz .LBB552_237
.LBB552_170:
	s_or_b32 exec_lo, exec_lo, s17
	s_and_saveexec_b32 s17, s7
	s_cbranch_execnz .LBB552_238
.LBB552_171:
	s_or_b32 exec_lo, exec_lo, s17
	s_and_saveexec_b32 s17, s5
	s_cbranch_execnz .LBB552_239
.LBB552_172:
	s_or_b32 exec_lo, exec_lo, s17
	s_and_saveexec_b32 s17, s8
	s_cbranch_execnz .LBB552_240
.LBB552_173:
	s_or_b32 exec_lo, exec_lo, s17
	s_and_saveexec_b32 s17, s6
	s_cbranch_execnz .LBB552_241
.LBB552_174:
	s_or_b32 exec_lo, exec_lo, s17
	s_and_saveexec_b32 s17, s4
	s_cbranch_execnz .LBB552_242
.LBB552_175:
	s_or_b32 exec_lo, exec_lo, s17
	s_and_saveexec_b32 s17, s3
	s_cbranch_execnz .LBB552_243
.LBB552_176:
	s_or_b32 exec_lo, exec_lo, s17
	s_and_saveexec_b32 s17, s2
	s_cbranch_execnz .LBB552_244
.LBB552_177:
	s_or_b32 exec_lo, exec_lo, s17
	s_and_saveexec_b32 s17, s1
	s_cbranch_execz .LBB552_179
.LBB552_178:
	v_sub_nc_u32_e32 v30, v57, v3
	v_mov_b32_e32 v31, 0
	s_delay_alu instid0(VALU_DEP_1) | instskip(NEXT) | instid1(VALU_DEP_1)
	v_lshlrev_b64 v[30:31], 2, v[30:31]
	v_add_co_u32 v30, vcc_lo, v2, v30
	s_delay_alu instid0(VALU_DEP_2)
	v_add_co_ci_u32_e32 v31, vcc_lo, v4, v31, vcc_lo
	global_store_b32 v[30:31], v10, off
.LBB552_179:
	s_or_b32 exec_lo, exec_lo, s17
	s_delay_alu instid0(SALU_CYCLE_1)
	s_and_b32 s17, s0, exec_lo
	s_and_not1_saveexec_b32 s15, s15
	s_cbranch_execz .LBB552_129
.LBB552_180:
	v_sub_nc_u32_e32 v30, v53, v3
	v_mov_b32_e32 v31, 0
	s_or_b32 s17, s17, exec_lo
	s_delay_alu instid0(VALU_DEP_1) | instskip(SKIP_1) | instid1(VALU_DEP_1)
	v_lshlrev_b64 v[32:33], 2, v[30:31]
	v_sub_nc_u32_e32 v30, v59, v3
	v_lshlrev_b64 v[34:35], 2, v[30:31]
	v_sub_nc_u32_e32 v30, v55, v3
	s_delay_alu instid0(VALU_DEP_4) | instskip(SKIP_1) | instid1(VALU_DEP_3)
	v_add_co_u32 v32, vcc_lo, v2, v32
	v_add_co_ci_u32_e32 v33, vcc_lo, v4, v33, vcc_lo
	v_lshlrev_b64 v[81:82], 2, v[30:31]
	v_sub_nc_u32_e32 v30, v51, v3
	v_add_co_u32 v34, vcc_lo, v2, v34
	v_add_co_ci_u32_e32 v35, vcc_lo, v4, v35, vcc_lo
	global_store_b32 v[32:33], v21, off
	v_lshlrev_b64 v[32:33], 2, v[30:31]
	v_sub_nc_u32_e32 v30, v45, v3
	global_store_b32 v[34:35], v22, off
	v_add_co_u32 v34, vcc_lo, v2, v81
	v_add_co_ci_u32_e32 v35, vcc_lo, v4, v82, vcc_lo
	v_lshlrev_b64 v[81:82], 2, v[30:31]
	v_sub_nc_u32_e32 v30, v41, v3
	v_add_co_u32 v32, vcc_lo, v2, v32
	v_add_co_ci_u32_e32 v33, vcc_lo, v4, v33, vcc_lo
	s_delay_alu instid0(VALU_DEP_3) | instskip(SKIP_3) | instid1(VALU_DEP_3)
	v_lshlrev_b64 v[83:84], 2, v[30:31]
	v_sub_nc_u32_e32 v30, v39, v3
	v_add_co_u32 v81, vcc_lo, v2, v81
	v_add_co_ci_u32_e32 v82, vcc_lo, v4, v82, vcc_lo
	v_lshlrev_b64 v[85:86], 2, v[30:31]
	v_sub_nc_u32_e32 v30, v43, v3
	v_add_co_u32 v83, vcc_lo, v2, v83
	v_add_co_ci_u32_e32 v84, vcc_lo, v4, v84, vcc_lo
	s_clause 0x3
	global_store_b32 v[34:35], v19, off
	global_store_b32 v[32:33], v20, off
	;; [unrolled: 1-line block ×4, first 2 shown]
	v_lshlrev_b64 v[32:33], 2, v[30:31]
	v_sub_nc_u32_e32 v30, v47, v3
	v_add_co_u32 v34, vcc_lo, v2, v85
	v_add_co_ci_u32_e32 v35, vcc_lo, v4, v86, vcc_lo
	s_delay_alu instid0(VALU_DEP_3) | instskip(SKIP_3) | instid1(VALU_DEP_3)
	v_lshlrev_b64 v[81:82], 2, v[30:31]
	v_sub_nc_u32_e32 v30, v5, v3
	v_add_co_u32 v32, vcc_lo, v2, v32
	v_add_co_ci_u32_e32 v33, vcc_lo, v4, v33, vcc_lo
	v_lshlrev_b64 v[83:84], 2, v[30:31]
	v_sub_nc_u32_e32 v30, v7, v3
	v_add_co_u32 v81, vcc_lo, v2, v81
	v_add_co_ci_u32_e32 v82, vcc_lo, v4, v82, vcc_lo
	s_delay_alu instid0(VALU_DEP_3)
	v_lshlrev_b64 v[85:86], 2, v[30:31]
	v_sub_nc_u32_e32 v30, v37, v3
	v_add_co_u32 v83, vcc_lo, v2, v83
	v_add_co_ci_u32_e32 v84, vcc_lo, v4, v84, vcc_lo
	s_clause 0x3
	global_store_b32 v[34:35], v15, off
	global_store_b32 v[32:33], v16, off
	;; [unrolled: 1-line block ×4, first 2 shown]
	v_lshlrev_b64 v[32:33], 2, v[30:31]
	v_sub_nc_u32_e32 v30, v61, v3
	v_add_co_u32 v34, vcc_lo, v2, v85
	v_add_co_ci_u32_e32 v35, vcc_lo, v4, v86, vcc_lo
	s_delay_alu instid0(VALU_DEP_3) | instskip(SKIP_3) | instid1(VALU_DEP_3)
	v_lshlrev_b64 v[81:82], 2, v[30:31]
	v_sub_nc_u32_e32 v30, v57, v3
	v_add_co_u32 v32, vcc_lo, v2, v32
	v_add_co_ci_u32_e32 v33, vcc_lo, v4, v33, vcc_lo
	v_lshlrev_b64 v[30:31], 2, v[30:31]
	v_add_co_u32 v81, vcc_lo, v2, v81
	v_add_co_ci_u32_e32 v82, vcc_lo, v4, v82, vcc_lo
	s_clause 0x2
	global_store_b32 v[34:35], v11, off
	global_store_b32 v[32:33], v12, off
	;; [unrolled: 1-line block ×3, first 2 shown]
	v_add_co_u32 v30, vcc_lo, v2, v30
	v_add_co_ci_u32_e32 v31, vcc_lo, v4, v31, vcc_lo
	global_store_b32 v[30:31], v10, off
	s_or_b32 exec_lo, exec_lo, s15
	s_delay_alu instid0(SALU_CYCLE_1)
	s_and_b32 exec_lo, exec_lo, s17
	s_cbranch_execnz .LBB552_130
	s_branch .LBB552_131
.LBB552_181:
	s_and_saveexec_b32 s17, s14
	s_cbranch_execnz .LBB552_245
; %bb.182:
	s_or_b32 exec_lo, exec_lo, s17
	s_and_saveexec_b32 s14, s13
	s_cbranch_execnz .LBB552_246
.LBB552_183:
	s_or_b32 exec_lo, exec_lo, s14
	s_and_saveexec_b32 s13, s12
	s_cbranch_execnz .LBB552_247
.LBB552_184:
	s_or_b32 exec_lo, exec_lo, s13
	s_and_saveexec_b32 s12, s11
	s_cbranch_execnz .LBB552_248
.LBB552_185:
	s_or_b32 exec_lo, exec_lo, s12
	s_and_saveexec_b32 s11, s10
	s_cbranch_execnz .LBB552_249
.LBB552_186:
	s_or_b32 exec_lo, exec_lo, s11
	s_and_saveexec_b32 s10, s9
	s_cbranch_execnz .LBB552_250
.LBB552_187:
	s_or_b32 exec_lo, exec_lo, s10
	s_and_saveexec_b32 s9, s7
	s_cbranch_execnz .LBB552_251
.LBB552_188:
	s_or_b32 exec_lo, exec_lo, s9
	s_and_saveexec_b32 s7, s5
	s_cbranch_execnz .LBB552_252
.LBB552_189:
	s_or_b32 exec_lo, exec_lo, s7
	s_and_saveexec_b32 s5, s8
	s_cbranch_execnz .LBB552_253
.LBB552_190:
	s_or_b32 exec_lo, exec_lo, s5
	s_and_saveexec_b32 s5, s6
	s_cbranch_execnz .LBB552_254
.LBB552_191:
	s_or_b32 exec_lo, exec_lo, s5
	s_and_saveexec_b32 s5, s4
	s_cbranch_execnz .LBB552_255
.LBB552_192:
	s_or_b32 exec_lo, exec_lo, s5
	s_and_saveexec_b32 s4, s3
	s_cbranch_execnz .LBB552_256
.LBB552_193:
	s_or_b32 exec_lo, exec_lo, s4
	s_and_saveexec_b32 s3, s2
	s_cbranch_execnz .LBB552_257
.LBB552_194:
	s_or_b32 exec_lo, exec_lo, s3
	s_and_saveexec_b32 s2, s1
	s_cbranch_execz .LBB552_196
.LBB552_195:
	v_sub_nc_u32_e32 v9, v57, v3
	s_delay_alu instid0(VALU_DEP_1)
	v_lshlrev_b32_e32 v9, 2, v9
	ds_store_b32 v9, v10
.LBB552_196:
	s_or_b32 exec_lo, exec_lo, s2
	s_delay_alu instid0(SALU_CYCLE_1)
	s_and_b32 s17, s0, exec_lo
                                        ; implicit-def: $vgpr21
                                        ; implicit-def: $vgpr19
                                        ; implicit-def: $vgpr17
                                        ; implicit-def: $vgpr15
                                        ; implicit-def: $vgpr13
                                        ; implicit-def: $vgpr11
                                        ; implicit-def: $vgpr9
	s_and_not1_saveexec_b32 s0, s16
	s_cbranch_execz .LBB552_136
.LBB552_197:
	v_sub_nc_u32_e32 v29, v53, v3
	v_sub_nc_u32_e32 v32, v51, v3
	;; [unrolled: 1-line block ×4, first 2 shown]
	s_or_b32 s17, s17, exec_lo
	v_lshlrev_b32_e32 v29, 2, v29
	v_lshlrev_b32_e32 v32, 2, v32
	;; [unrolled: 1-line block ×4, first 2 shown]
	ds_store_b32 v29, v21
	ds_store_b32 v30, v22
	;; [unrolled: 1-line block ×3, first 2 shown]
	v_sub_nc_u32_e32 v19, v45, v3
	ds_store_b32 v32, v20
	v_sub_nc_u32_e32 v20, v41, v3
	v_sub_nc_u32_e32 v21, v39, v3
	;; [unrolled: 1-line block ×3, first 2 shown]
	v_lshlrev_b32_e32 v19, 2, v19
	v_sub_nc_u32_e32 v29, v47, v3
	v_lshlrev_b32_e32 v20, 2, v20
	v_lshlrev_b32_e32 v21, 2, v21
	;; [unrolled: 1-line block ×3, first 2 shown]
	ds_store_b32 v19, v17
	v_lshlrev_b32_e32 v17, 2, v29
	ds_store_b32 v20, v18
	ds_store_b32 v21, v15
	;; [unrolled: 1-line block ×3, first 2 shown]
	v_sub_nc_u32_e32 v15, v5, v3
	v_sub_nc_u32_e32 v18, v57, v3
	;; [unrolled: 1-line block ×3, first 2 shown]
	ds_store_b32 v17, v13
	v_sub_nc_u32_e32 v13, v7, v3
	v_lshlrev_b32_e32 v15, 2, v15
	v_sub_nc_u32_e32 v17, v61, v3
	v_lshlrev_b32_e32 v16, 2, v16
	s_delay_alu instid0(VALU_DEP_4)
	v_lshlrev_b32_e32 v13, 2, v13
	ds_store_b32 v15, v14
	v_lshlrev_b32_e32 v14, 2, v18
	v_lshlrev_b32_e32 v17, 2, v17
	ds_store_b32 v13, v11
	ds_store_b32 v16, v12
	;; [unrolled: 1-line block ×4, first 2 shown]
	s_or_b32 exec_lo, exec_lo, s0
	s_delay_alu instid0(SALU_CYCLE_1)
	s_and_b32 exec_lo, exec_lo, s17
	s_cbranch_execnz .LBB552_137
	s_branch .LBB552_138
.LBB552_198:
	s_and_saveexec_b32 s17, s14
	s_cbranch_execnz .LBB552_258
; %bb.199:
	s_or_b32 exec_lo, exec_lo, s17
	s_and_saveexec_b32 s17, s13
	s_cbranch_execnz .LBB552_259
.LBB552_200:
	s_or_b32 exec_lo, exec_lo, s17
	s_and_saveexec_b32 s17, s12
	s_cbranch_execnz .LBB552_260
.LBB552_201:
	s_or_b32 exec_lo, exec_lo, s17
	s_and_saveexec_b32 s17, s11
	s_cbranch_execnz .LBB552_261
.LBB552_202:
	s_or_b32 exec_lo, exec_lo, s17
	s_and_saveexec_b32 s17, s10
	s_cbranch_execnz .LBB552_262
.LBB552_203:
	s_or_b32 exec_lo, exec_lo, s17
	s_and_saveexec_b32 s17, s9
	s_cbranch_execnz .LBB552_263
.LBB552_204:
	s_or_b32 exec_lo, exec_lo, s17
	s_and_saveexec_b32 s17, s8
	s_cbranch_execnz .LBB552_264
.LBB552_205:
	s_or_b32 exec_lo, exec_lo, s17
	s_and_saveexec_b32 s17, s7
	s_cbranch_execnz .LBB552_265
.LBB552_206:
	s_or_b32 exec_lo, exec_lo, s17
	s_and_saveexec_b32 s17, s6
	s_cbranch_execnz .LBB552_266
.LBB552_207:
	s_or_b32 exec_lo, exec_lo, s17
	s_and_saveexec_b32 s17, s5
	s_cbranch_execnz .LBB552_267
.LBB552_208:
	s_or_b32 exec_lo, exec_lo, s17
	s_and_saveexec_b32 s17, s4
	s_cbranch_execnz .LBB552_268
.LBB552_209:
	s_or_b32 exec_lo, exec_lo, s17
	s_and_saveexec_b32 s17, s3
	s_cbranch_execnz .LBB552_269
.LBB552_210:
	s_or_b32 exec_lo, exec_lo, s17
	s_and_saveexec_b32 s17, s2
	s_cbranch_execnz .LBB552_270
.LBB552_211:
	s_or_b32 exec_lo, exec_lo, s17
	s_and_saveexec_b32 s17, s1
	s_cbranch_execz .LBB552_213
.LBB552_212:
	v_sub_nc_u32_e32 v14, v57, v4
	v_mov_b32_e32 v15, 0
	s_delay_alu instid0(VALU_DEP_1) | instskip(NEXT) | instid1(VALU_DEP_1)
	v_lshlrev_b64 v[14:15], 2, v[14:15]
	v_add_co_u32 v14, vcc_lo, v11, v14
	s_delay_alu instid0(VALU_DEP_2)
	v_add_co_ci_u32_e32 v15, vcc_lo, v12, v15, vcc_lo
	global_store_b32 v[14:15], v58, off
.LBB552_213:
	s_or_b32 exec_lo, exec_lo, s17
	s_delay_alu instid0(SALU_CYCLE_1)
	s_and_b32 s17, s0, exec_lo
	s_and_not1_saveexec_b32 s15, s15
	s_cbranch_execz .LBB552_149
.LBB552_214:
	v_sub_nc_u32_e32 v14, v53, v4
	v_mov_b32_e32 v15, 0
	s_or_b32 s17, s17, exec_lo
	s_delay_alu instid0(VALU_DEP_1) | instskip(SKIP_1) | instid1(VALU_DEP_1)
	v_lshlrev_b64 v[16:17], 2, v[14:15]
	v_sub_nc_u32_e32 v14, v59, v4
	v_lshlrev_b64 v[18:19], 2, v[14:15]
	v_sub_nc_u32_e32 v14, v55, v4
	s_delay_alu instid0(VALU_DEP_4) | instskip(SKIP_1) | instid1(VALU_DEP_3)
	v_add_co_u32 v16, vcc_lo, v11, v16
	v_add_co_ci_u32_e32 v17, vcc_lo, v12, v17, vcc_lo
	v_lshlrev_b64 v[20:21], 2, v[14:15]
	v_sub_nc_u32_e32 v14, v51, v4
	v_add_co_u32 v18, vcc_lo, v11, v18
	v_add_co_ci_u32_e32 v19, vcc_lo, v12, v19, vcc_lo
	global_store_b32 v[16:17], v54, off
	v_lshlrev_b64 v[16:17], 2, v[14:15]
	v_sub_nc_u32_e32 v14, v45, v4
	global_store_b32 v[18:19], v60, off
	v_add_co_u32 v18, vcc_lo, v11, v20
	v_add_co_ci_u32_e32 v19, vcc_lo, v12, v21, vcc_lo
	v_lshlrev_b64 v[20:21], 2, v[14:15]
	v_sub_nc_u32_e32 v14, v41, v4
	v_add_co_u32 v16, vcc_lo, v11, v16
	v_add_co_ci_u32_e32 v17, vcc_lo, v12, v17, vcc_lo
	s_delay_alu instid0(VALU_DEP_3) | instskip(SKIP_3) | instid1(VALU_DEP_3)
	v_lshlrev_b64 v[25:26], 2, v[14:15]
	v_sub_nc_u32_e32 v14, v39, v4
	v_add_co_u32 v20, vcc_lo, v11, v20
	v_add_co_ci_u32_e32 v21, vcc_lo, v12, v21, vcc_lo
	v_lshlrev_b64 v[27:28], 2, v[14:15]
	v_sub_nc_u32_e32 v14, v43, v4
	v_add_co_u32 v25, vcc_lo, v11, v25
	v_add_co_ci_u32_e32 v26, vcc_lo, v12, v26, vcc_lo
	s_clause 0x3
	global_store_b32 v[18:19], v56, off
	global_store_b32 v[16:17], v52, off
	global_store_b32 v[20:21], v46, off
	global_store_b32 v[25:26], v42, off
	v_lshlrev_b64 v[16:17], 2, v[14:15]
	v_sub_nc_u32_e32 v14, v47, v4
	v_add_co_u32 v18, vcc_lo, v11, v27
	v_add_co_ci_u32_e32 v19, vcc_lo, v12, v28, vcc_lo
	s_delay_alu instid0(VALU_DEP_3) | instskip(SKIP_3) | instid1(VALU_DEP_3)
	v_lshlrev_b64 v[20:21], 2, v[14:15]
	v_sub_nc_u32_e32 v14, v5, v4
	v_add_co_u32 v16, vcc_lo, v11, v16
	v_add_co_ci_u32_e32 v17, vcc_lo, v12, v17, vcc_lo
	v_lshlrev_b64 v[25:26], 2, v[14:15]
	v_sub_nc_u32_e32 v14, v7, v4
	v_add_co_u32 v20, vcc_lo, v11, v20
	v_add_co_ci_u32_e32 v21, vcc_lo, v12, v21, vcc_lo
	s_delay_alu instid0(VALU_DEP_3)
	v_lshlrev_b64 v[27:28], 2, v[14:15]
	v_sub_nc_u32_e32 v14, v37, v4
	v_add_co_u32 v25, vcc_lo, v11, v25
	v_add_co_ci_u32_e32 v26, vcc_lo, v12, v26, vcc_lo
	s_clause 0x3
	global_store_b32 v[18:19], v40, off
	global_store_b32 v[16:17], v44, off
	;; [unrolled: 1-line block ×4, first 2 shown]
	v_lshlrev_b64 v[16:17], 2, v[14:15]
	v_sub_nc_u32_e32 v14, v61, v4
	v_add_co_u32 v18, vcc_lo, v11, v27
	v_add_co_ci_u32_e32 v19, vcc_lo, v12, v28, vcc_lo
	s_delay_alu instid0(VALU_DEP_3) | instskip(SKIP_3) | instid1(VALU_DEP_3)
	v_lshlrev_b64 v[20:21], 2, v[14:15]
	v_sub_nc_u32_e32 v14, v57, v4
	v_add_co_u32 v16, vcc_lo, v11, v16
	v_add_co_ci_u32_e32 v17, vcc_lo, v12, v17, vcc_lo
	v_lshlrev_b64 v[14:15], 2, v[14:15]
	v_add_co_u32 v20, vcc_lo, v11, v20
	v_add_co_ci_u32_e32 v21, vcc_lo, v12, v21, vcc_lo
	s_clause 0x2
	global_store_b32 v[18:19], v8, off
	global_store_b32 v[16:17], v38, off
	;; [unrolled: 1-line block ×3, first 2 shown]
	v_add_co_u32 v14, vcc_lo, v11, v14
	v_add_co_ci_u32_e32 v15, vcc_lo, v12, v15, vcc_lo
	global_store_b32 v[14:15], v58, off
	s_or_b32 exec_lo, exec_lo, s15
	s_delay_alu instid0(SALU_CYCLE_1)
	s_and_b32 exec_lo, exec_lo, s17
	s_cbranch_execnz .LBB552_150
	s_branch .LBB552_151
.LBB552_215:
	s_and_saveexec_b32 s17, s14
	s_cbranch_execnz .LBB552_271
; %bb.216:
	s_or_b32 exec_lo, exec_lo, s17
	s_and_saveexec_b32 s14, s13
	s_cbranch_execnz .LBB552_272
.LBB552_217:
	s_or_b32 exec_lo, exec_lo, s14
	s_and_saveexec_b32 s13, s12
	s_cbranch_execnz .LBB552_273
.LBB552_218:
	s_or_b32 exec_lo, exec_lo, s13
	s_and_saveexec_b32 s12, s11
	s_cbranch_execnz .LBB552_274
.LBB552_219:
	s_or_b32 exec_lo, exec_lo, s12
	s_and_saveexec_b32 s11, s10
	s_cbranch_execnz .LBB552_275
.LBB552_220:
	s_or_b32 exec_lo, exec_lo, s11
	s_and_saveexec_b32 s10, s9
	s_cbranch_execnz .LBB552_276
.LBB552_221:
	s_or_b32 exec_lo, exec_lo, s10
	s_and_saveexec_b32 s9, s8
	s_cbranch_execnz .LBB552_277
.LBB552_222:
	s_or_b32 exec_lo, exec_lo, s9
	s_and_saveexec_b32 s8, s7
	s_cbranch_execnz .LBB552_278
.LBB552_223:
	s_or_b32 exec_lo, exec_lo, s8
	s_and_saveexec_b32 s7, s6
	s_cbranch_execnz .LBB552_279
.LBB552_224:
	s_or_b32 exec_lo, exec_lo, s7
	s_and_saveexec_b32 s6, s5
	s_cbranch_execnz .LBB552_280
.LBB552_225:
	s_or_b32 exec_lo, exec_lo, s6
	s_and_saveexec_b32 s5, s4
	s_cbranch_execnz .LBB552_281
.LBB552_226:
	s_or_b32 exec_lo, exec_lo, s5
	s_and_saveexec_b32 s4, s3
	s_cbranch_execnz .LBB552_282
.LBB552_227:
	s_or_b32 exec_lo, exec_lo, s4
	s_and_saveexec_b32 s3, s2
	s_cbranch_execnz .LBB552_283
.LBB552_228:
	s_or_b32 exec_lo, exec_lo, s3
	s_and_saveexec_b32 s2, s1
	s_cbranch_execz .LBB552_230
.LBB552_229:
	v_sub_nc_u32_e32 v5, v57, v4
	s_delay_alu instid0(VALU_DEP_1)
	v_lshlrev_b32_e32 v5, 2, v5
	ds_store_b32 v5, v58
.LBB552_230:
	s_or_b32 exec_lo, exec_lo, s2
	s_delay_alu instid0(SALU_CYCLE_1)
	s_and_b32 s17, s0, exec_lo
                                        ; implicit-def: $vgpr53_vgpr54
                                        ; implicit-def: $vgpr59_vgpr60
                                        ; implicit-def: $vgpr55_vgpr56
                                        ; implicit-def: $vgpr51_vgpr52
                                        ; implicit-def: $vgpr45_vgpr46
                                        ; implicit-def: $vgpr41_vgpr42
                                        ; implicit-def: $vgpr39_vgpr40
                                        ; implicit-def: $vgpr43_vgpr44
                                        ; implicit-def: $vgpr47_vgpr48
                                        ; implicit-def: $vgpr5_vgpr6
                                        ; implicit-def: $vgpr7_vgpr8
                                        ; implicit-def: $vgpr37_vgpr38
                                        ; implicit-def: $vgpr61_vgpr62
                                        ; implicit-def: $vgpr57_vgpr58
	s_and_not1_saveexec_b32 s0, s16
	s_cbranch_execz .LBB552_155
.LBB552_231:
	v_sub_nc_u32_e32 v13, v53, v4
	v_sub_nc_u32_e32 v14, v59, v4
	;; [unrolled: 1-line block ×5, first 2 shown]
	v_lshlrev_b32_e32 v13, 2, v13
	v_lshlrev_b32_e32 v14, 2, v14
	;; [unrolled: 1-line block ×4, first 2 shown]
	v_sub_nc_u32_e32 v5, v5, v4
	ds_store_b32 v13, v54
	ds_store_b32 v14, v60
	;; [unrolled: 1-line block ×3, first 2 shown]
	v_sub_nc_u32_e32 v13, v45, v4
	v_sub_nc_u32_e32 v14, v41, v4
	;; [unrolled: 1-line block ×3, first 2 shown]
	ds_store_b32 v16, v52
	v_sub_nc_u32_e32 v16, v43, v4
	v_lshlrev_b32_e32 v13, 2, v13
	v_lshlrev_b32_e32 v14, 2, v14
	;; [unrolled: 1-line block ×3, first 2 shown]
	v_sub_nc_u32_e32 v7, v7, v4
	v_lshlrev_b32_e32 v16, 2, v16
	ds_store_b32 v13, v46
	v_lshlrev_b32_e32 v13, 2, v17
	ds_store_b32 v14, v42
	ds_store_b32 v15, v40
	;; [unrolled: 1-line block ×3, first 2 shown]
	v_lshlrev_b32_e32 v5, 2, v5
	v_sub_nc_u32_e32 v15, v57, v4
	v_sub_nc_u32_e32 v14, v61, v4
	ds_store_b32 v13, v48
	v_sub_nc_u32_e32 v13, v37, v4
	v_lshlrev_b32_e32 v7, 2, v7
	ds_store_b32 v5, v6
	v_lshlrev_b32_e32 v5, 2, v15
	v_lshlrev_b32_e32 v14, 2, v14
	;; [unrolled: 1-line block ×3, first 2 shown]
	s_or_b32 s17, s17, exec_lo
	ds_store_b32 v7, v8
	ds_store_b32 v13, v38
	;; [unrolled: 1-line block ×4, first 2 shown]
	s_or_b32 exec_lo, exec_lo, s0
	s_delay_alu instid0(SALU_CYCLE_1)
	s_and_b32 exec_lo, exec_lo, s17
	s_cbranch_execnz .LBB552_156
	s_branch .LBB552_157
.LBB552_232:
	v_sub_nc_u32_e32 v30, v53, v3
	v_mov_b32_e32 v31, 0
	s_delay_alu instid0(VALU_DEP_1) | instskip(NEXT) | instid1(VALU_DEP_1)
	v_lshlrev_b64 v[30:31], 2, v[30:31]
	v_add_co_u32 v30, vcc_lo, v2, v30
	s_delay_alu instid0(VALU_DEP_2)
	v_add_co_ci_u32_e32 v31, vcc_lo, v4, v31, vcc_lo
	global_store_b32 v[30:31], v21, off
	s_or_b32 exec_lo, exec_lo, s17
	s_and_saveexec_b32 s17, s13
	s_cbranch_execz .LBB552_166
.LBB552_233:
	v_sub_nc_u32_e32 v30, v59, v3
	v_mov_b32_e32 v31, 0
	s_delay_alu instid0(VALU_DEP_1) | instskip(NEXT) | instid1(VALU_DEP_1)
	v_lshlrev_b64 v[30:31], 2, v[30:31]
	v_add_co_u32 v30, vcc_lo, v2, v30
	s_delay_alu instid0(VALU_DEP_2)
	v_add_co_ci_u32_e32 v31, vcc_lo, v4, v31, vcc_lo
	global_store_b32 v[30:31], v22, off
	s_or_b32 exec_lo, exec_lo, s17
	s_and_saveexec_b32 s17, s12
	s_cbranch_execz .LBB552_167
.LBB552_234:
	v_sub_nc_u32_e32 v30, v55, v3
	v_mov_b32_e32 v31, 0
	s_delay_alu instid0(VALU_DEP_1) | instskip(NEXT) | instid1(VALU_DEP_1)
	v_lshlrev_b64 v[30:31], 2, v[30:31]
	v_add_co_u32 v30, vcc_lo, v2, v30
	s_delay_alu instid0(VALU_DEP_2)
	v_add_co_ci_u32_e32 v31, vcc_lo, v4, v31, vcc_lo
	global_store_b32 v[30:31], v19, off
	s_or_b32 exec_lo, exec_lo, s17
	s_and_saveexec_b32 s17, s11
	s_cbranch_execz .LBB552_168
.LBB552_235:
	v_sub_nc_u32_e32 v30, v51, v3
	v_mov_b32_e32 v31, 0
	s_delay_alu instid0(VALU_DEP_1) | instskip(NEXT) | instid1(VALU_DEP_1)
	v_lshlrev_b64 v[30:31], 2, v[30:31]
	v_add_co_u32 v30, vcc_lo, v2, v30
	s_delay_alu instid0(VALU_DEP_2)
	v_add_co_ci_u32_e32 v31, vcc_lo, v4, v31, vcc_lo
	global_store_b32 v[30:31], v20, off
	s_or_b32 exec_lo, exec_lo, s17
	s_and_saveexec_b32 s17, s10
	s_cbranch_execz .LBB552_169
.LBB552_236:
	v_sub_nc_u32_e32 v30, v45, v3
	v_mov_b32_e32 v31, 0
	s_delay_alu instid0(VALU_DEP_1) | instskip(NEXT) | instid1(VALU_DEP_1)
	v_lshlrev_b64 v[30:31], 2, v[30:31]
	v_add_co_u32 v30, vcc_lo, v2, v30
	s_delay_alu instid0(VALU_DEP_2)
	v_add_co_ci_u32_e32 v31, vcc_lo, v4, v31, vcc_lo
	global_store_b32 v[30:31], v17, off
	s_or_b32 exec_lo, exec_lo, s17
	s_and_saveexec_b32 s17, s9
	s_cbranch_execz .LBB552_170
.LBB552_237:
	v_sub_nc_u32_e32 v30, v41, v3
	v_mov_b32_e32 v31, 0
	s_delay_alu instid0(VALU_DEP_1) | instskip(NEXT) | instid1(VALU_DEP_1)
	v_lshlrev_b64 v[30:31], 2, v[30:31]
	v_add_co_u32 v30, vcc_lo, v2, v30
	s_delay_alu instid0(VALU_DEP_2)
	v_add_co_ci_u32_e32 v31, vcc_lo, v4, v31, vcc_lo
	global_store_b32 v[30:31], v18, off
	s_or_b32 exec_lo, exec_lo, s17
	s_and_saveexec_b32 s17, s7
	s_cbranch_execz .LBB552_171
.LBB552_238:
	v_sub_nc_u32_e32 v30, v39, v3
	v_mov_b32_e32 v31, 0
	s_delay_alu instid0(VALU_DEP_1) | instskip(NEXT) | instid1(VALU_DEP_1)
	v_lshlrev_b64 v[30:31], 2, v[30:31]
	v_add_co_u32 v30, vcc_lo, v2, v30
	s_delay_alu instid0(VALU_DEP_2)
	v_add_co_ci_u32_e32 v31, vcc_lo, v4, v31, vcc_lo
	global_store_b32 v[30:31], v15, off
	s_or_b32 exec_lo, exec_lo, s17
	s_and_saveexec_b32 s17, s5
	s_cbranch_execz .LBB552_172
.LBB552_239:
	v_sub_nc_u32_e32 v30, v43, v3
	v_mov_b32_e32 v31, 0
	s_delay_alu instid0(VALU_DEP_1) | instskip(NEXT) | instid1(VALU_DEP_1)
	v_lshlrev_b64 v[30:31], 2, v[30:31]
	v_add_co_u32 v30, vcc_lo, v2, v30
	s_delay_alu instid0(VALU_DEP_2)
	v_add_co_ci_u32_e32 v31, vcc_lo, v4, v31, vcc_lo
	global_store_b32 v[30:31], v16, off
	s_or_b32 exec_lo, exec_lo, s17
	s_and_saveexec_b32 s17, s8
	s_cbranch_execz .LBB552_173
.LBB552_240:
	v_sub_nc_u32_e32 v30, v47, v3
	v_mov_b32_e32 v31, 0
	s_delay_alu instid0(VALU_DEP_1) | instskip(NEXT) | instid1(VALU_DEP_1)
	v_lshlrev_b64 v[30:31], 2, v[30:31]
	v_add_co_u32 v30, vcc_lo, v2, v30
	s_delay_alu instid0(VALU_DEP_2)
	v_add_co_ci_u32_e32 v31, vcc_lo, v4, v31, vcc_lo
	global_store_b32 v[30:31], v13, off
	s_or_b32 exec_lo, exec_lo, s17
	s_and_saveexec_b32 s17, s6
	s_cbranch_execz .LBB552_174
.LBB552_241:
	v_sub_nc_u32_e32 v30, v5, v3
	v_mov_b32_e32 v31, 0
	s_delay_alu instid0(VALU_DEP_1) | instskip(NEXT) | instid1(VALU_DEP_1)
	v_lshlrev_b64 v[30:31], 2, v[30:31]
	v_add_co_u32 v30, vcc_lo, v2, v30
	s_delay_alu instid0(VALU_DEP_2)
	v_add_co_ci_u32_e32 v31, vcc_lo, v4, v31, vcc_lo
	global_store_b32 v[30:31], v14, off
	s_or_b32 exec_lo, exec_lo, s17
	s_and_saveexec_b32 s17, s4
	s_cbranch_execz .LBB552_175
.LBB552_242:
	v_sub_nc_u32_e32 v30, v7, v3
	v_mov_b32_e32 v31, 0
	s_delay_alu instid0(VALU_DEP_1) | instskip(NEXT) | instid1(VALU_DEP_1)
	v_lshlrev_b64 v[30:31], 2, v[30:31]
	v_add_co_u32 v30, vcc_lo, v2, v30
	s_delay_alu instid0(VALU_DEP_2)
	v_add_co_ci_u32_e32 v31, vcc_lo, v4, v31, vcc_lo
	global_store_b32 v[30:31], v11, off
	s_or_b32 exec_lo, exec_lo, s17
	s_and_saveexec_b32 s17, s3
	s_cbranch_execz .LBB552_176
.LBB552_243:
	v_sub_nc_u32_e32 v30, v37, v3
	v_mov_b32_e32 v31, 0
	s_delay_alu instid0(VALU_DEP_1) | instskip(NEXT) | instid1(VALU_DEP_1)
	v_lshlrev_b64 v[30:31], 2, v[30:31]
	v_add_co_u32 v30, vcc_lo, v2, v30
	s_delay_alu instid0(VALU_DEP_2)
	v_add_co_ci_u32_e32 v31, vcc_lo, v4, v31, vcc_lo
	global_store_b32 v[30:31], v12, off
	s_or_b32 exec_lo, exec_lo, s17
	s_and_saveexec_b32 s17, s2
	s_cbranch_execz .LBB552_177
.LBB552_244:
	v_sub_nc_u32_e32 v30, v61, v3
	v_mov_b32_e32 v31, 0
	s_delay_alu instid0(VALU_DEP_1) | instskip(NEXT) | instid1(VALU_DEP_1)
	v_lshlrev_b64 v[30:31], 2, v[30:31]
	v_add_co_u32 v30, vcc_lo, v2, v30
	s_delay_alu instid0(VALU_DEP_2)
	v_add_co_ci_u32_e32 v31, vcc_lo, v4, v31, vcc_lo
	global_store_b32 v[30:31], v9, off
	s_or_b32 exec_lo, exec_lo, s17
	s_and_saveexec_b32 s17, s1
	s_cbranch_execnz .LBB552_178
	s_branch .LBB552_179
.LBB552_245:
	v_sub_nc_u32_e32 v29, v53, v3
	s_delay_alu instid0(VALU_DEP_1)
	v_lshlrev_b32_e32 v29, 2, v29
	ds_store_b32 v29, v21
	s_or_b32 exec_lo, exec_lo, s17
	s_and_saveexec_b32 s14, s13
	s_cbranch_execz .LBB552_183
.LBB552_246:
	v_sub_nc_u32_e32 v21, v59, v3
	s_delay_alu instid0(VALU_DEP_1)
	v_lshlrev_b32_e32 v21, 2, v21
	ds_store_b32 v21, v22
	s_or_b32 exec_lo, exec_lo, s14
	s_and_saveexec_b32 s13, s12
	s_cbranch_execz .LBB552_184
.LBB552_247:
	v_sub_nc_u32_e32 v21, v55, v3
	s_delay_alu instid0(VALU_DEP_1)
	v_lshlrev_b32_e32 v21, 2, v21
	ds_store_b32 v21, v19
	s_or_b32 exec_lo, exec_lo, s13
	s_and_saveexec_b32 s12, s11
	s_cbranch_execz .LBB552_185
.LBB552_248:
	v_sub_nc_u32_e32 v19, v51, v3
	s_delay_alu instid0(VALU_DEP_1)
	v_lshlrev_b32_e32 v19, 2, v19
	ds_store_b32 v19, v20
	s_or_b32 exec_lo, exec_lo, s12
	s_and_saveexec_b32 s11, s10
	s_cbranch_execz .LBB552_186
.LBB552_249:
	v_sub_nc_u32_e32 v19, v45, v3
	s_delay_alu instid0(VALU_DEP_1)
	v_lshlrev_b32_e32 v19, 2, v19
	ds_store_b32 v19, v17
	s_or_b32 exec_lo, exec_lo, s11
	s_and_saveexec_b32 s10, s9
	s_cbranch_execz .LBB552_187
.LBB552_250:
	v_sub_nc_u32_e32 v17, v41, v3
	s_delay_alu instid0(VALU_DEP_1)
	v_lshlrev_b32_e32 v17, 2, v17
	ds_store_b32 v17, v18
	s_or_b32 exec_lo, exec_lo, s10
	s_and_saveexec_b32 s9, s7
	s_cbranch_execz .LBB552_188
.LBB552_251:
	v_sub_nc_u32_e32 v17, v39, v3
	s_delay_alu instid0(VALU_DEP_1)
	v_lshlrev_b32_e32 v17, 2, v17
	ds_store_b32 v17, v15
	s_or_b32 exec_lo, exec_lo, s9
	s_and_saveexec_b32 s7, s5
	s_cbranch_execz .LBB552_189
.LBB552_252:
	v_sub_nc_u32_e32 v15, v43, v3
	s_delay_alu instid0(VALU_DEP_1)
	v_lshlrev_b32_e32 v15, 2, v15
	ds_store_b32 v15, v16
	s_or_b32 exec_lo, exec_lo, s7
	s_and_saveexec_b32 s5, s8
	s_cbranch_execz .LBB552_190
.LBB552_253:
	v_sub_nc_u32_e32 v15, v47, v3
	s_delay_alu instid0(VALU_DEP_1)
	v_lshlrev_b32_e32 v15, 2, v15
	ds_store_b32 v15, v13
	s_or_b32 exec_lo, exec_lo, s5
	s_and_saveexec_b32 s5, s6
	s_cbranch_execz .LBB552_191
.LBB552_254:
	v_sub_nc_u32_e32 v13, v5, v3
	s_delay_alu instid0(VALU_DEP_1)
	v_lshlrev_b32_e32 v13, 2, v13
	ds_store_b32 v13, v14
	s_or_b32 exec_lo, exec_lo, s5
	s_and_saveexec_b32 s5, s4
	s_cbranch_execz .LBB552_192
.LBB552_255:
	v_sub_nc_u32_e32 v13, v7, v3
	s_delay_alu instid0(VALU_DEP_1)
	v_lshlrev_b32_e32 v13, 2, v13
	ds_store_b32 v13, v11
	s_or_b32 exec_lo, exec_lo, s5
	s_and_saveexec_b32 s4, s3
	s_cbranch_execz .LBB552_193
.LBB552_256:
	v_sub_nc_u32_e32 v11, v37, v3
	s_delay_alu instid0(VALU_DEP_1)
	v_lshlrev_b32_e32 v11, 2, v11
	ds_store_b32 v11, v12
	s_or_b32 exec_lo, exec_lo, s4
	s_and_saveexec_b32 s3, s2
	s_cbranch_execz .LBB552_194
.LBB552_257:
	v_sub_nc_u32_e32 v11, v61, v3
	s_delay_alu instid0(VALU_DEP_1)
	v_lshlrev_b32_e32 v11, 2, v11
	ds_store_b32 v11, v9
	s_or_b32 exec_lo, exec_lo, s3
	s_and_saveexec_b32 s2, s1
	s_cbranch_execnz .LBB552_195
	s_branch .LBB552_196
.LBB552_258:
	v_sub_nc_u32_e32 v14, v53, v4
	v_mov_b32_e32 v15, 0
	s_delay_alu instid0(VALU_DEP_1) | instskip(NEXT) | instid1(VALU_DEP_1)
	v_lshlrev_b64 v[14:15], 2, v[14:15]
	v_add_co_u32 v14, vcc_lo, v11, v14
	s_delay_alu instid0(VALU_DEP_2)
	v_add_co_ci_u32_e32 v15, vcc_lo, v12, v15, vcc_lo
	global_store_b32 v[14:15], v54, off
	s_or_b32 exec_lo, exec_lo, s17
	s_and_saveexec_b32 s17, s13
	s_cbranch_execz .LBB552_200
.LBB552_259:
	v_sub_nc_u32_e32 v14, v59, v4
	v_mov_b32_e32 v15, 0
	s_delay_alu instid0(VALU_DEP_1) | instskip(NEXT) | instid1(VALU_DEP_1)
	v_lshlrev_b64 v[14:15], 2, v[14:15]
	v_add_co_u32 v14, vcc_lo, v11, v14
	s_delay_alu instid0(VALU_DEP_2)
	v_add_co_ci_u32_e32 v15, vcc_lo, v12, v15, vcc_lo
	global_store_b32 v[14:15], v60, off
	s_or_b32 exec_lo, exec_lo, s17
	s_and_saveexec_b32 s17, s12
	s_cbranch_execz .LBB552_201
.LBB552_260:
	v_sub_nc_u32_e32 v14, v55, v4
	v_mov_b32_e32 v15, 0
	s_delay_alu instid0(VALU_DEP_1) | instskip(NEXT) | instid1(VALU_DEP_1)
	v_lshlrev_b64 v[14:15], 2, v[14:15]
	v_add_co_u32 v14, vcc_lo, v11, v14
	s_delay_alu instid0(VALU_DEP_2)
	v_add_co_ci_u32_e32 v15, vcc_lo, v12, v15, vcc_lo
	global_store_b32 v[14:15], v56, off
	s_or_b32 exec_lo, exec_lo, s17
	s_and_saveexec_b32 s17, s11
	s_cbranch_execz .LBB552_202
.LBB552_261:
	v_sub_nc_u32_e32 v14, v51, v4
	v_mov_b32_e32 v15, 0
	s_delay_alu instid0(VALU_DEP_1) | instskip(NEXT) | instid1(VALU_DEP_1)
	v_lshlrev_b64 v[14:15], 2, v[14:15]
	v_add_co_u32 v14, vcc_lo, v11, v14
	s_delay_alu instid0(VALU_DEP_2)
	v_add_co_ci_u32_e32 v15, vcc_lo, v12, v15, vcc_lo
	global_store_b32 v[14:15], v52, off
	s_or_b32 exec_lo, exec_lo, s17
	s_and_saveexec_b32 s17, s10
	s_cbranch_execz .LBB552_203
.LBB552_262:
	v_sub_nc_u32_e32 v14, v45, v4
	v_mov_b32_e32 v15, 0
	s_delay_alu instid0(VALU_DEP_1) | instskip(NEXT) | instid1(VALU_DEP_1)
	v_lshlrev_b64 v[14:15], 2, v[14:15]
	v_add_co_u32 v14, vcc_lo, v11, v14
	s_delay_alu instid0(VALU_DEP_2)
	v_add_co_ci_u32_e32 v15, vcc_lo, v12, v15, vcc_lo
	global_store_b32 v[14:15], v46, off
	s_or_b32 exec_lo, exec_lo, s17
	s_and_saveexec_b32 s17, s9
	s_cbranch_execz .LBB552_204
.LBB552_263:
	v_sub_nc_u32_e32 v14, v41, v4
	v_mov_b32_e32 v15, 0
	s_delay_alu instid0(VALU_DEP_1) | instskip(NEXT) | instid1(VALU_DEP_1)
	v_lshlrev_b64 v[14:15], 2, v[14:15]
	v_add_co_u32 v14, vcc_lo, v11, v14
	s_delay_alu instid0(VALU_DEP_2)
	v_add_co_ci_u32_e32 v15, vcc_lo, v12, v15, vcc_lo
	global_store_b32 v[14:15], v42, off
	s_or_b32 exec_lo, exec_lo, s17
	s_and_saveexec_b32 s17, s8
	s_cbranch_execz .LBB552_205
.LBB552_264:
	v_sub_nc_u32_e32 v14, v39, v4
	v_mov_b32_e32 v15, 0
	s_delay_alu instid0(VALU_DEP_1) | instskip(NEXT) | instid1(VALU_DEP_1)
	v_lshlrev_b64 v[14:15], 2, v[14:15]
	v_add_co_u32 v14, vcc_lo, v11, v14
	s_delay_alu instid0(VALU_DEP_2)
	v_add_co_ci_u32_e32 v15, vcc_lo, v12, v15, vcc_lo
	global_store_b32 v[14:15], v40, off
	s_or_b32 exec_lo, exec_lo, s17
	s_and_saveexec_b32 s17, s7
	s_cbranch_execz .LBB552_206
.LBB552_265:
	v_sub_nc_u32_e32 v14, v43, v4
	v_mov_b32_e32 v15, 0
	s_delay_alu instid0(VALU_DEP_1) | instskip(NEXT) | instid1(VALU_DEP_1)
	v_lshlrev_b64 v[14:15], 2, v[14:15]
	v_add_co_u32 v14, vcc_lo, v11, v14
	s_delay_alu instid0(VALU_DEP_2)
	v_add_co_ci_u32_e32 v15, vcc_lo, v12, v15, vcc_lo
	global_store_b32 v[14:15], v44, off
	s_or_b32 exec_lo, exec_lo, s17
	s_and_saveexec_b32 s17, s6
	s_cbranch_execz .LBB552_207
.LBB552_266:
	v_sub_nc_u32_e32 v14, v47, v4
	v_mov_b32_e32 v15, 0
	s_delay_alu instid0(VALU_DEP_1) | instskip(NEXT) | instid1(VALU_DEP_1)
	v_lshlrev_b64 v[14:15], 2, v[14:15]
	v_add_co_u32 v14, vcc_lo, v11, v14
	s_delay_alu instid0(VALU_DEP_2)
	v_add_co_ci_u32_e32 v15, vcc_lo, v12, v15, vcc_lo
	global_store_b32 v[14:15], v48, off
	s_or_b32 exec_lo, exec_lo, s17
	s_and_saveexec_b32 s17, s5
	s_cbranch_execz .LBB552_208
.LBB552_267:
	v_sub_nc_u32_e32 v14, v5, v4
	v_mov_b32_e32 v15, 0
	s_delay_alu instid0(VALU_DEP_1) | instskip(NEXT) | instid1(VALU_DEP_1)
	v_lshlrev_b64 v[14:15], 2, v[14:15]
	v_add_co_u32 v14, vcc_lo, v11, v14
	s_delay_alu instid0(VALU_DEP_2)
	v_add_co_ci_u32_e32 v15, vcc_lo, v12, v15, vcc_lo
	global_store_b32 v[14:15], v6, off
	s_or_b32 exec_lo, exec_lo, s17
	s_and_saveexec_b32 s17, s4
	s_cbranch_execz .LBB552_209
.LBB552_268:
	v_sub_nc_u32_e32 v14, v7, v4
	v_mov_b32_e32 v15, 0
	s_delay_alu instid0(VALU_DEP_1) | instskip(NEXT) | instid1(VALU_DEP_1)
	v_lshlrev_b64 v[14:15], 2, v[14:15]
	v_add_co_u32 v14, vcc_lo, v11, v14
	s_delay_alu instid0(VALU_DEP_2)
	v_add_co_ci_u32_e32 v15, vcc_lo, v12, v15, vcc_lo
	global_store_b32 v[14:15], v8, off
	s_or_b32 exec_lo, exec_lo, s17
	s_and_saveexec_b32 s17, s3
	s_cbranch_execz .LBB552_210
.LBB552_269:
	v_sub_nc_u32_e32 v14, v37, v4
	v_mov_b32_e32 v15, 0
	s_delay_alu instid0(VALU_DEP_1) | instskip(NEXT) | instid1(VALU_DEP_1)
	v_lshlrev_b64 v[14:15], 2, v[14:15]
	v_add_co_u32 v14, vcc_lo, v11, v14
	s_delay_alu instid0(VALU_DEP_2)
	v_add_co_ci_u32_e32 v15, vcc_lo, v12, v15, vcc_lo
	global_store_b32 v[14:15], v38, off
	s_or_b32 exec_lo, exec_lo, s17
	s_and_saveexec_b32 s17, s2
	s_cbranch_execz .LBB552_211
.LBB552_270:
	v_sub_nc_u32_e32 v14, v61, v4
	v_mov_b32_e32 v15, 0
	s_delay_alu instid0(VALU_DEP_1) | instskip(NEXT) | instid1(VALU_DEP_1)
	v_lshlrev_b64 v[14:15], 2, v[14:15]
	v_add_co_u32 v14, vcc_lo, v11, v14
	s_delay_alu instid0(VALU_DEP_2)
	v_add_co_ci_u32_e32 v15, vcc_lo, v12, v15, vcc_lo
	global_store_b32 v[14:15], v62, off
	s_or_b32 exec_lo, exec_lo, s17
	s_and_saveexec_b32 s17, s1
	s_cbranch_execnz .LBB552_212
	s_branch .LBB552_213
.LBB552_271:
	v_sub_nc_u32_e32 v13, v53, v4
	s_delay_alu instid0(VALU_DEP_1)
	v_lshlrev_b32_e32 v13, 2, v13
	ds_store_b32 v13, v54
	s_or_b32 exec_lo, exec_lo, s17
	s_and_saveexec_b32 s14, s13
	s_cbranch_execz .LBB552_217
.LBB552_272:
	v_sub_nc_u32_e32 v13, v59, v4
	s_delay_alu instid0(VALU_DEP_1)
	v_lshlrev_b32_e32 v13, 2, v13
	ds_store_b32 v13, v60
	s_or_b32 exec_lo, exec_lo, s14
	s_and_saveexec_b32 s13, s12
	s_cbranch_execz .LBB552_218
.LBB552_273:
	v_sub_nc_u32_e32 v13, v55, v4
	s_delay_alu instid0(VALU_DEP_1)
	v_lshlrev_b32_e32 v13, 2, v13
	ds_store_b32 v13, v56
	s_or_b32 exec_lo, exec_lo, s13
	s_and_saveexec_b32 s12, s11
	s_cbranch_execz .LBB552_219
.LBB552_274:
	v_sub_nc_u32_e32 v13, v51, v4
	s_delay_alu instid0(VALU_DEP_1)
	v_lshlrev_b32_e32 v13, 2, v13
	ds_store_b32 v13, v52
	s_or_b32 exec_lo, exec_lo, s12
	s_and_saveexec_b32 s11, s10
	s_cbranch_execz .LBB552_220
.LBB552_275:
	v_sub_nc_u32_e32 v13, v45, v4
	s_delay_alu instid0(VALU_DEP_1)
	v_lshlrev_b32_e32 v13, 2, v13
	ds_store_b32 v13, v46
	s_or_b32 exec_lo, exec_lo, s11
	s_and_saveexec_b32 s10, s9
	s_cbranch_execz .LBB552_221
.LBB552_276:
	v_sub_nc_u32_e32 v13, v41, v4
	s_delay_alu instid0(VALU_DEP_1)
	v_lshlrev_b32_e32 v13, 2, v13
	ds_store_b32 v13, v42
	s_or_b32 exec_lo, exec_lo, s10
	s_and_saveexec_b32 s9, s8
	s_cbranch_execz .LBB552_222
.LBB552_277:
	v_sub_nc_u32_e32 v13, v39, v4
	s_delay_alu instid0(VALU_DEP_1)
	v_lshlrev_b32_e32 v13, 2, v13
	ds_store_b32 v13, v40
	s_or_b32 exec_lo, exec_lo, s9
	s_and_saveexec_b32 s8, s7
	s_cbranch_execz .LBB552_223
.LBB552_278:
	v_sub_nc_u32_e32 v13, v43, v4
	s_delay_alu instid0(VALU_DEP_1)
	v_lshlrev_b32_e32 v13, 2, v13
	ds_store_b32 v13, v44
	s_or_b32 exec_lo, exec_lo, s8
	s_and_saveexec_b32 s7, s6
	s_cbranch_execz .LBB552_224
.LBB552_279:
	v_sub_nc_u32_e32 v13, v47, v4
	s_delay_alu instid0(VALU_DEP_1)
	v_lshlrev_b32_e32 v13, 2, v13
	ds_store_b32 v13, v48
	s_or_b32 exec_lo, exec_lo, s7
	s_and_saveexec_b32 s6, s5
	s_cbranch_execz .LBB552_225
.LBB552_280:
	v_sub_nc_u32_e32 v5, v5, v4
	s_delay_alu instid0(VALU_DEP_1)
	v_lshlrev_b32_e32 v5, 2, v5
	ds_store_b32 v5, v6
	s_or_b32 exec_lo, exec_lo, s6
	s_and_saveexec_b32 s5, s4
	s_cbranch_execz .LBB552_226
.LBB552_281:
	v_sub_nc_u32_e32 v5, v7, v4
	s_delay_alu instid0(VALU_DEP_1)
	v_lshlrev_b32_e32 v5, 2, v5
	ds_store_b32 v5, v8
	s_or_b32 exec_lo, exec_lo, s5
	s_and_saveexec_b32 s4, s3
	s_cbranch_execz .LBB552_227
.LBB552_282:
	v_sub_nc_u32_e32 v5, v37, v4
	s_delay_alu instid0(VALU_DEP_1)
	v_lshlrev_b32_e32 v5, 2, v5
	ds_store_b32 v5, v38
	s_or_b32 exec_lo, exec_lo, s4
	s_and_saveexec_b32 s3, s2
	s_cbranch_execz .LBB552_228
.LBB552_283:
	v_sub_nc_u32_e32 v5, v61, v4
	s_delay_alu instid0(VALU_DEP_1)
	v_lshlrev_b32_e32 v5, 2, v5
	ds_store_b32 v5, v62
	s_or_b32 exec_lo, exec_lo, s3
	s_and_saveexec_b32 s2, s1
	s_cbranch_execnz .LBB552_229
	s_branch .LBB552_230
	.section	.rodata,"a",@progbits
	.p2align	6, 0x0
	.amdhsa_kernel _ZN7rocprim17ROCPRIM_400000_NS6detail17trampoline_kernelINS0_14default_configENS1_29reduce_by_key_config_selectorIiiN6thrust23THRUST_200600_302600_NS4plusIiEEEEZZNS1_33reduce_by_key_impl_wrapped_configILNS1_25lookback_scan_determinismE0ES3_S9_NS6_6detail15normal_iteratorINS6_10device_ptrIiEEEESG_SG_SG_PmS8_NS6_8equal_toIiEEEE10hipError_tPvRmT2_T3_mT4_T5_T6_T7_T8_P12ihipStream_tbENKUlT_T0_E_clISt17integral_constantIbLb0EES11_EEDaSW_SX_EUlSW_E_NS1_11comp_targetILNS1_3genE9ELNS1_11target_archE1100ELNS1_3gpuE3ELNS1_3repE0EEENS1_30default_config_static_selectorELNS0_4arch9wavefront6targetE0EEEvT1_
		.amdhsa_group_segment_fixed_size 15360
		.amdhsa_private_segment_fixed_size 0
		.amdhsa_kernarg_size 120
		.amdhsa_user_sgpr_count 15
		.amdhsa_user_sgpr_dispatch_ptr 0
		.amdhsa_user_sgpr_queue_ptr 0
		.amdhsa_user_sgpr_kernarg_segment_ptr 1
		.amdhsa_user_sgpr_dispatch_id 0
		.amdhsa_user_sgpr_private_segment_size 0
		.amdhsa_wavefront_size32 1
		.amdhsa_uses_dynamic_stack 0
		.amdhsa_enable_private_segment 0
		.amdhsa_system_sgpr_workgroup_id_x 1
		.amdhsa_system_sgpr_workgroup_id_y 0
		.amdhsa_system_sgpr_workgroup_id_z 0
		.amdhsa_system_sgpr_workgroup_info 0
		.amdhsa_system_vgpr_workitem_id 0
		.amdhsa_next_free_vgpr 87
		.amdhsa_next_free_sgpr 46
		.amdhsa_reserve_vcc 1
		.amdhsa_float_round_mode_32 0
		.amdhsa_float_round_mode_16_64 0
		.amdhsa_float_denorm_mode_32 3
		.amdhsa_float_denorm_mode_16_64 3
		.amdhsa_dx10_clamp 1
		.amdhsa_ieee_mode 1
		.amdhsa_fp16_overflow 0
		.amdhsa_workgroup_processor_mode 1
		.amdhsa_memory_ordered 1
		.amdhsa_forward_progress 0
		.amdhsa_shared_vgpr_count 0
		.amdhsa_exception_fp_ieee_invalid_op 0
		.amdhsa_exception_fp_denorm_src 0
		.amdhsa_exception_fp_ieee_div_zero 0
		.amdhsa_exception_fp_ieee_overflow 0
		.amdhsa_exception_fp_ieee_underflow 0
		.amdhsa_exception_fp_ieee_inexact 0
		.amdhsa_exception_int_div_zero 0
	.end_amdhsa_kernel
	.section	.text._ZN7rocprim17ROCPRIM_400000_NS6detail17trampoline_kernelINS0_14default_configENS1_29reduce_by_key_config_selectorIiiN6thrust23THRUST_200600_302600_NS4plusIiEEEEZZNS1_33reduce_by_key_impl_wrapped_configILNS1_25lookback_scan_determinismE0ES3_S9_NS6_6detail15normal_iteratorINS6_10device_ptrIiEEEESG_SG_SG_PmS8_NS6_8equal_toIiEEEE10hipError_tPvRmT2_T3_mT4_T5_T6_T7_T8_P12ihipStream_tbENKUlT_T0_E_clISt17integral_constantIbLb0EES11_EEDaSW_SX_EUlSW_E_NS1_11comp_targetILNS1_3genE9ELNS1_11target_archE1100ELNS1_3gpuE3ELNS1_3repE0EEENS1_30default_config_static_selectorELNS0_4arch9wavefront6targetE0EEEvT1_,"axG",@progbits,_ZN7rocprim17ROCPRIM_400000_NS6detail17trampoline_kernelINS0_14default_configENS1_29reduce_by_key_config_selectorIiiN6thrust23THRUST_200600_302600_NS4plusIiEEEEZZNS1_33reduce_by_key_impl_wrapped_configILNS1_25lookback_scan_determinismE0ES3_S9_NS6_6detail15normal_iteratorINS6_10device_ptrIiEEEESG_SG_SG_PmS8_NS6_8equal_toIiEEEE10hipError_tPvRmT2_T3_mT4_T5_T6_T7_T8_P12ihipStream_tbENKUlT_T0_E_clISt17integral_constantIbLb0EES11_EEDaSW_SX_EUlSW_E_NS1_11comp_targetILNS1_3genE9ELNS1_11target_archE1100ELNS1_3gpuE3ELNS1_3repE0EEENS1_30default_config_static_selectorELNS0_4arch9wavefront6targetE0EEEvT1_,comdat
.Lfunc_end552:
	.size	_ZN7rocprim17ROCPRIM_400000_NS6detail17trampoline_kernelINS0_14default_configENS1_29reduce_by_key_config_selectorIiiN6thrust23THRUST_200600_302600_NS4plusIiEEEEZZNS1_33reduce_by_key_impl_wrapped_configILNS1_25lookback_scan_determinismE0ES3_S9_NS6_6detail15normal_iteratorINS6_10device_ptrIiEEEESG_SG_SG_PmS8_NS6_8equal_toIiEEEE10hipError_tPvRmT2_T3_mT4_T5_T6_T7_T8_P12ihipStream_tbENKUlT_T0_E_clISt17integral_constantIbLb0EES11_EEDaSW_SX_EUlSW_E_NS1_11comp_targetILNS1_3genE9ELNS1_11target_archE1100ELNS1_3gpuE3ELNS1_3repE0EEENS1_30default_config_static_selectorELNS0_4arch9wavefront6targetE0EEEvT1_, .Lfunc_end552-_ZN7rocprim17ROCPRIM_400000_NS6detail17trampoline_kernelINS0_14default_configENS1_29reduce_by_key_config_selectorIiiN6thrust23THRUST_200600_302600_NS4plusIiEEEEZZNS1_33reduce_by_key_impl_wrapped_configILNS1_25lookback_scan_determinismE0ES3_S9_NS6_6detail15normal_iteratorINS6_10device_ptrIiEEEESG_SG_SG_PmS8_NS6_8equal_toIiEEEE10hipError_tPvRmT2_T3_mT4_T5_T6_T7_T8_P12ihipStream_tbENKUlT_T0_E_clISt17integral_constantIbLb0EES11_EEDaSW_SX_EUlSW_E_NS1_11comp_targetILNS1_3genE9ELNS1_11target_archE1100ELNS1_3gpuE3ELNS1_3repE0EEENS1_30default_config_static_selectorELNS0_4arch9wavefront6targetE0EEEvT1_
                                        ; -- End function
	.section	.AMDGPU.csdata,"",@progbits
; Kernel info:
; codeLenInByte = 17124
; NumSgprs: 48
; NumVgprs: 87
; ScratchSize: 0
; MemoryBound: 0
; FloatMode: 240
; IeeeMode: 1
; LDSByteSize: 15360 bytes/workgroup (compile time only)
; SGPRBlocks: 5
; VGPRBlocks: 10
; NumSGPRsForWavesPerEU: 48
; NumVGPRsForWavesPerEU: 87
; Occupancy: 16
; WaveLimiterHint : 1
; COMPUTE_PGM_RSRC2:SCRATCH_EN: 0
; COMPUTE_PGM_RSRC2:USER_SGPR: 15
; COMPUTE_PGM_RSRC2:TRAP_HANDLER: 0
; COMPUTE_PGM_RSRC2:TGID_X_EN: 1
; COMPUTE_PGM_RSRC2:TGID_Y_EN: 0
; COMPUTE_PGM_RSRC2:TGID_Z_EN: 0
; COMPUTE_PGM_RSRC2:TIDIG_COMP_CNT: 0
	.section	.text._ZN7rocprim17ROCPRIM_400000_NS6detail17trampoline_kernelINS0_14default_configENS1_29reduce_by_key_config_selectorIiiN6thrust23THRUST_200600_302600_NS4plusIiEEEEZZNS1_33reduce_by_key_impl_wrapped_configILNS1_25lookback_scan_determinismE0ES3_S9_NS6_6detail15normal_iteratorINS6_10device_ptrIiEEEESG_SG_SG_PmS8_NS6_8equal_toIiEEEE10hipError_tPvRmT2_T3_mT4_T5_T6_T7_T8_P12ihipStream_tbENKUlT_T0_E_clISt17integral_constantIbLb0EES11_EEDaSW_SX_EUlSW_E_NS1_11comp_targetILNS1_3genE8ELNS1_11target_archE1030ELNS1_3gpuE2ELNS1_3repE0EEENS1_30default_config_static_selectorELNS0_4arch9wavefront6targetE0EEEvT1_,"axG",@progbits,_ZN7rocprim17ROCPRIM_400000_NS6detail17trampoline_kernelINS0_14default_configENS1_29reduce_by_key_config_selectorIiiN6thrust23THRUST_200600_302600_NS4plusIiEEEEZZNS1_33reduce_by_key_impl_wrapped_configILNS1_25lookback_scan_determinismE0ES3_S9_NS6_6detail15normal_iteratorINS6_10device_ptrIiEEEESG_SG_SG_PmS8_NS6_8equal_toIiEEEE10hipError_tPvRmT2_T3_mT4_T5_T6_T7_T8_P12ihipStream_tbENKUlT_T0_E_clISt17integral_constantIbLb0EES11_EEDaSW_SX_EUlSW_E_NS1_11comp_targetILNS1_3genE8ELNS1_11target_archE1030ELNS1_3gpuE2ELNS1_3repE0EEENS1_30default_config_static_selectorELNS0_4arch9wavefront6targetE0EEEvT1_,comdat
	.protected	_ZN7rocprim17ROCPRIM_400000_NS6detail17trampoline_kernelINS0_14default_configENS1_29reduce_by_key_config_selectorIiiN6thrust23THRUST_200600_302600_NS4plusIiEEEEZZNS1_33reduce_by_key_impl_wrapped_configILNS1_25lookback_scan_determinismE0ES3_S9_NS6_6detail15normal_iteratorINS6_10device_ptrIiEEEESG_SG_SG_PmS8_NS6_8equal_toIiEEEE10hipError_tPvRmT2_T3_mT4_T5_T6_T7_T8_P12ihipStream_tbENKUlT_T0_E_clISt17integral_constantIbLb0EES11_EEDaSW_SX_EUlSW_E_NS1_11comp_targetILNS1_3genE8ELNS1_11target_archE1030ELNS1_3gpuE2ELNS1_3repE0EEENS1_30default_config_static_selectorELNS0_4arch9wavefront6targetE0EEEvT1_ ; -- Begin function _ZN7rocprim17ROCPRIM_400000_NS6detail17trampoline_kernelINS0_14default_configENS1_29reduce_by_key_config_selectorIiiN6thrust23THRUST_200600_302600_NS4plusIiEEEEZZNS1_33reduce_by_key_impl_wrapped_configILNS1_25lookback_scan_determinismE0ES3_S9_NS6_6detail15normal_iteratorINS6_10device_ptrIiEEEESG_SG_SG_PmS8_NS6_8equal_toIiEEEE10hipError_tPvRmT2_T3_mT4_T5_T6_T7_T8_P12ihipStream_tbENKUlT_T0_E_clISt17integral_constantIbLb0EES11_EEDaSW_SX_EUlSW_E_NS1_11comp_targetILNS1_3genE8ELNS1_11target_archE1030ELNS1_3gpuE2ELNS1_3repE0EEENS1_30default_config_static_selectorELNS0_4arch9wavefront6targetE0EEEvT1_
	.globl	_ZN7rocprim17ROCPRIM_400000_NS6detail17trampoline_kernelINS0_14default_configENS1_29reduce_by_key_config_selectorIiiN6thrust23THRUST_200600_302600_NS4plusIiEEEEZZNS1_33reduce_by_key_impl_wrapped_configILNS1_25lookback_scan_determinismE0ES3_S9_NS6_6detail15normal_iteratorINS6_10device_ptrIiEEEESG_SG_SG_PmS8_NS6_8equal_toIiEEEE10hipError_tPvRmT2_T3_mT4_T5_T6_T7_T8_P12ihipStream_tbENKUlT_T0_E_clISt17integral_constantIbLb0EES11_EEDaSW_SX_EUlSW_E_NS1_11comp_targetILNS1_3genE8ELNS1_11target_archE1030ELNS1_3gpuE2ELNS1_3repE0EEENS1_30default_config_static_selectorELNS0_4arch9wavefront6targetE0EEEvT1_
	.p2align	8
	.type	_ZN7rocprim17ROCPRIM_400000_NS6detail17trampoline_kernelINS0_14default_configENS1_29reduce_by_key_config_selectorIiiN6thrust23THRUST_200600_302600_NS4plusIiEEEEZZNS1_33reduce_by_key_impl_wrapped_configILNS1_25lookback_scan_determinismE0ES3_S9_NS6_6detail15normal_iteratorINS6_10device_ptrIiEEEESG_SG_SG_PmS8_NS6_8equal_toIiEEEE10hipError_tPvRmT2_T3_mT4_T5_T6_T7_T8_P12ihipStream_tbENKUlT_T0_E_clISt17integral_constantIbLb0EES11_EEDaSW_SX_EUlSW_E_NS1_11comp_targetILNS1_3genE8ELNS1_11target_archE1030ELNS1_3gpuE2ELNS1_3repE0EEENS1_30default_config_static_selectorELNS0_4arch9wavefront6targetE0EEEvT1_,@function
_ZN7rocprim17ROCPRIM_400000_NS6detail17trampoline_kernelINS0_14default_configENS1_29reduce_by_key_config_selectorIiiN6thrust23THRUST_200600_302600_NS4plusIiEEEEZZNS1_33reduce_by_key_impl_wrapped_configILNS1_25lookback_scan_determinismE0ES3_S9_NS6_6detail15normal_iteratorINS6_10device_ptrIiEEEESG_SG_SG_PmS8_NS6_8equal_toIiEEEE10hipError_tPvRmT2_T3_mT4_T5_T6_T7_T8_P12ihipStream_tbENKUlT_T0_E_clISt17integral_constantIbLb0EES11_EEDaSW_SX_EUlSW_E_NS1_11comp_targetILNS1_3genE8ELNS1_11target_archE1030ELNS1_3gpuE2ELNS1_3repE0EEENS1_30default_config_static_selectorELNS0_4arch9wavefront6targetE0EEEvT1_: ; @_ZN7rocprim17ROCPRIM_400000_NS6detail17trampoline_kernelINS0_14default_configENS1_29reduce_by_key_config_selectorIiiN6thrust23THRUST_200600_302600_NS4plusIiEEEEZZNS1_33reduce_by_key_impl_wrapped_configILNS1_25lookback_scan_determinismE0ES3_S9_NS6_6detail15normal_iteratorINS6_10device_ptrIiEEEESG_SG_SG_PmS8_NS6_8equal_toIiEEEE10hipError_tPvRmT2_T3_mT4_T5_T6_T7_T8_P12ihipStream_tbENKUlT_T0_E_clISt17integral_constantIbLb0EES11_EEDaSW_SX_EUlSW_E_NS1_11comp_targetILNS1_3genE8ELNS1_11target_archE1030ELNS1_3gpuE2ELNS1_3repE0EEENS1_30default_config_static_selectorELNS0_4arch9wavefront6targetE0EEEvT1_
; %bb.0:
	.section	.rodata,"a",@progbits
	.p2align	6, 0x0
	.amdhsa_kernel _ZN7rocprim17ROCPRIM_400000_NS6detail17trampoline_kernelINS0_14default_configENS1_29reduce_by_key_config_selectorIiiN6thrust23THRUST_200600_302600_NS4plusIiEEEEZZNS1_33reduce_by_key_impl_wrapped_configILNS1_25lookback_scan_determinismE0ES3_S9_NS6_6detail15normal_iteratorINS6_10device_ptrIiEEEESG_SG_SG_PmS8_NS6_8equal_toIiEEEE10hipError_tPvRmT2_T3_mT4_T5_T6_T7_T8_P12ihipStream_tbENKUlT_T0_E_clISt17integral_constantIbLb0EES11_EEDaSW_SX_EUlSW_E_NS1_11comp_targetILNS1_3genE8ELNS1_11target_archE1030ELNS1_3gpuE2ELNS1_3repE0EEENS1_30default_config_static_selectorELNS0_4arch9wavefront6targetE0EEEvT1_
		.amdhsa_group_segment_fixed_size 0
		.amdhsa_private_segment_fixed_size 0
		.amdhsa_kernarg_size 120
		.amdhsa_user_sgpr_count 15
		.amdhsa_user_sgpr_dispatch_ptr 0
		.amdhsa_user_sgpr_queue_ptr 0
		.amdhsa_user_sgpr_kernarg_segment_ptr 1
		.amdhsa_user_sgpr_dispatch_id 0
		.amdhsa_user_sgpr_private_segment_size 0
		.amdhsa_wavefront_size32 1
		.amdhsa_uses_dynamic_stack 0
		.amdhsa_enable_private_segment 0
		.amdhsa_system_sgpr_workgroup_id_x 1
		.amdhsa_system_sgpr_workgroup_id_y 0
		.amdhsa_system_sgpr_workgroup_id_z 0
		.amdhsa_system_sgpr_workgroup_info 0
		.amdhsa_system_vgpr_workitem_id 0
		.amdhsa_next_free_vgpr 1
		.amdhsa_next_free_sgpr 1
		.amdhsa_reserve_vcc 0
		.amdhsa_float_round_mode_32 0
		.amdhsa_float_round_mode_16_64 0
		.amdhsa_float_denorm_mode_32 3
		.amdhsa_float_denorm_mode_16_64 3
		.amdhsa_dx10_clamp 1
		.amdhsa_ieee_mode 1
		.amdhsa_fp16_overflow 0
		.amdhsa_workgroup_processor_mode 1
		.amdhsa_memory_ordered 1
		.amdhsa_forward_progress 0
		.amdhsa_shared_vgpr_count 0
		.amdhsa_exception_fp_ieee_invalid_op 0
		.amdhsa_exception_fp_denorm_src 0
		.amdhsa_exception_fp_ieee_div_zero 0
		.amdhsa_exception_fp_ieee_overflow 0
		.amdhsa_exception_fp_ieee_underflow 0
		.amdhsa_exception_fp_ieee_inexact 0
		.amdhsa_exception_int_div_zero 0
	.end_amdhsa_kernel
	.section	.text._ZN7rocprim17ROCPRIM_400000_NS6detail17trampoline_kernelINS0_14default_configENS1_29reduce_by_key_config_selectorIiiN6thrust23THRUST_200600_302600_NS4plusIiEEEEZZNS1_33reduce_by_key_impl_wrapped_configILNS1_25lookback_scan_determinismE0ES3_S9_NS6_6detail15normal_iteratorINS6_10device_ptrIiEEEESG_SG_SG_PmS8_NS6_8equal_toIiEEEE10hipError_tPvRmT2_T3_mT4_T5_T6_T7_T8_P12ihipStream_tbENKUlT_T0_E_clISt17integral_constantIbLb0EES11_EEDaSW_SX_EUlSW_E_NS1_11comp_targetILNS1_3genE8ELNS1_11target_archE1030ELNS1_3gpuE2ELNS1_3repE0EEENS1_30default_config_static_selectorELNS0_4arch9wavefront6targetE0EEEvT1_,"axG",@progbits,_ZN7rocprim17ROCPRIM_400000_NS6detail17trampoline_kernelINS0_14default_configENS1_29reduce_by_key_config_selectorIiiN6thrust23THRUST_200600_302600_NS4plusIiEEEEZZNS1_33reduce_by_key_impl_wrapped_configILNS1_25lookback_scan_determinismE0ES3_S9_NS6_6detail15normal_iteratorINS6_10device_ptrIiEEEESG_SG_SG_PmS8_NS6_8equal_toIiEEEE10hipError_tPvRmT2_T3_mT4_T5_T6_T7_T8_P12ihipStream_tbENKUlT_T0_E_clISt17integral_constantIbLb0EES11_EEDaSW_SX_EUlSW_E_NS1_11comp_targetILNS1_3genE8ELNS1_11target_archE1030ELNS1_3gpuE2ELNS1_3repE0EEENS1_30default_config_static_selectorELNS0_4arch9wavefront6targetE0EEEvT1_,comdat
.Lfunc_end553:
	.size	_ZN7rocprim17ROCPRIM_400000_NS6detail17trampoline_kernelINS0_14default_configENS1_29reduce_by_key_config_selectorIiiN6thrust23THRUST_200600_302600_NS4plusIiEEEEZZNS1_33reduce_by_key_impl_wrapped_configILNS1_25lookback_scan_determinismE0ES3_S9_NS6_6detail15normal_iteratorINS6_10device_ptrIiEEEESG_SG_SG_PmS8_NS6_8equal_toIiEEEE10hipError_tPvRmT2_T3_mT4_T5_T6_T7_T8_P12ihipStream_tbENKUlT_T0_E_clISt17integral_constantIbLb0EES11_EEDaSW_SX_EUlSW_E_NS1_11comp_targetILNS1_3genE8ELNS1_11target_archE1030ELNS1_3gpuE2ELNS1_3repE0EEENS1_30default_config_static_selectorELNS0_4arch9wavefront6targetE0EEEvT1_, .Lfunc_end553-_ZN7rocprim17ROCPRIM_400000_NS6detail17trampoline_kernelINS0_14default_configENS1_29reduce_by_key_config_selectorIiiN6thrust23THRUST_200600_302600_NS4plusIiEEEEZZNS1_33reduce_by_key_impl_wrapped_configILNS1_25lookback_scan_determinismE0ES3_S9_NS6_6detail15normal_iteratorINS6_10device_ptrIiEEEESG_SG_SG_PmS8_NS6_8equal_toIiEEEE10hipError_tPvRmT2_T3_mT4_T5_T6_T7_T8_P12ihipStream_tbENKUlT_T0_E_clISt17integral_constantIbLb0EES11_EEDaSW_SX_EUlSW_E_NS1_11comp_targetILNS1_3genE8ELNS1_11target_archE1030ELNS1_3gpuE2ELNS1_3repE0EEENS1_30default_config_static_selectorELNS0_4arch9wavefront6targetE0EEEvT1_
                                        ; -- End function
	.section	.AMDGPU.csdata,"",@progbits
; Kernel info:
; codeLenInByte = 0
; NumSgprs: 0
; NumVgprs: 0
; ScratchSize: 0
; MemoryBound: 0
; FloatMode: 240
; IeeeMode: 1
; LDSByteSize: 0 bytes/workgroup (compile time only)
; SGPRBlocks: 0
; VGPRBlocks: 0
; NumSGPRsForWavesPerEU: 1
; NumVGPRsForWavesPerEU: 1
; Occupancy: 16
; WaveLimiterHint : 0
; COMPUTE_PGM_RSRC2:SCRATCH_EN: 0
; COMPUTE_PGM_RSRC2:USER_SGPR: 15
; COMPUTE_PGM_RSRC2:TRAP_HANDLER: 0
; COMPUTE_PGM_RSRC2:TGID_X_EN: 1
; COMPUTE_PGM_RSRC2:TGID_Y_EN: 0
; COMPUTE_PGM_RSRC2:TGID_Z_EN: 0
; COMPUTE_PGM_RSRC2:TIDIG_COMP_CNT: 0
	.section	.text._ZN7rocprim17ROCPRIM_400000_NS6detail25reduce_by_key_init_kernelINS1_19lookback_scan_stateINS0_5tupleIJjiEEELb1ELb1EEEiNS1_16block_id_wrapperIjLb1EEEEEvT_jbjPmPT0_T1_,"axG",@progbits,_ZN7rocprim17ROCPRIM_400000_NS6detail25reduce_by_key_init_kernelINS1_19lookback_scan_stateINS0_5tupleIJjiEEELb1ELb1EEEiNS1_16block_id_wrapperIjLb1EEEEEvT_jbjPmPT0_T1_,comdat
	.protected	_ZN7rocprim17ROCPRIM_400000_NS6detail25reduce_by_key_init_kernelINS1_19lookback_scan_stateINS0_5tupleIJjiEEELb1ELb1EEEiNS1_16block_id_wrapperIjLb1EEEEEvT_jbjPmPT0_T1_ ; -- Begin function _ZN7rocprim17ROCPRIM_400000_NS6detail25reduce_by_key_init_kernelINS1_19lookback_scan_stateINS0_5tupleIJjiEEELb1ELb1EEEiNS1_16block_id_wrapperIjLb1EEEEEvT_jbjPmPT0_T1_
	.globl	_ZN7rocprim17ROCPRIM_400000_NS6detail25reduce_by_key_init_kernelINS1_19lookback_scan_stateINS0_5tupleIJjiEEELb1ELb1EEEiNS1_16block_id_wrapperIjLb1EEEEEvT_jbjPmPT0_T1_
	.p2align	8
	.type	_ZN7rocprim17ROCPRIM_400000_NS6detail25reduce_by_key_init_kernelINS1_19lookback_scan_stateINS0_5tupleIJjiEEELb1ELb1EEEiNS1_16block_id_wrapperIjLb1EEEEEvT_jbjPmPT0_T1_,@function
_ZN7rocprim17ROCPRIM_400000_NS6detail25reduce_by_key_init_kernelINS1_19lookback_scan_stateINS0_5tupleIJjiEEELb1ELb1EEEiNS1_16block_id_wrapperIjLb1EEEEEvT_jbjPmPT0_T1_: ; @_ZN7rocprim17ROCPRIM_400000_NS6detail25reduce_by_key_init_kernelINS1_19lookback_scan_stateINS0_5tupleIJjiEEELb1ELb1EEEiNS1_16block_id_wrapperIjLb1EEEEEvT_jbjPmPT0_T1_
; %bb.0:
	s_clause 0x3
	s_load_b32 s14, s[0:1], 0x3c
	s_load_b256 s[4:11], s[0:1], 0x8
	s_load_b64 s[12:13], s[0:1], 0x28
	s_load_b64 s[2:3], s[0:1], 0x0
	s_mov_b32 s1, -1
	s_waitcnt lgkmcnt(0)
	s_and_b32 s0, s14, 0xffff
	s_delay_alu instid0(SALU_CYCLE_1) | instskip(SKIP_1) | instid1(SALU_CYCLE_1)
	v_mad_u64_u32 v[1:2], null, s15, s0, v[0:1]
	s_and_b32 s0, s5, 1
	s_cmp_eq_u32 s0, 0
	s_cbranch_scc0 .LBB554_10
; %bb.1:
	s_cmp_lt_u32 s6, s4
	s_mov_b32 s5, exec_lo
	s_cselect_b32 s0, s6, 0
	s_delay_alu instid0(VALU_DEP_1) | instid1(SALU_CYCLE_1)
	v_cmpx_eq_u32_e64 s0, v1
	s_cbranch_execz .LBB554_9
; %bb.2:
	s_add_i32 s0, s6, 32
	s_mov_b32 s1, 0
	v_mov_b32_e32 v6, 0
	s_lshl_b64 s[6:7], s[0:1], 4
	s_mov_b32 s0, exec_lo
	s_add_u32 s6, s2, s6
	s_addc_u32 s7, s3, s7
	s_delay_alu instid0(SALU_CYCLE_1) | instskip(SKIP_2) | instid1(VALU_DEP_1)
	v_dual_mov_b32 v2, s6 :: v_dual_mov_b32 v3, s7
	;;#ASMSTART
	global_load_dwordx4 v[2:5], v[2:3] off glc	
s_waitcnt vmcnt(0)
	;;#ASMEND
	v_and_b32_e32 v5, 0xff, v4
	v_cmpx_eq_u64_e32 0, v[5:6]
	s_cbranch_execz .LBB554_8
; %bb.3:
	v_dual_mov_b32 v8, s7 :: v_dual_mov_b32 v7, s6
	s_mov_b32 s6, 1
	.p2align	6
.LBB554_4:                              ; =>This Loop Header: Depth=1
                                        ;     Child Loop BB554_5 Depth 2
	s_delay_alu instid0(SALU_CYCLE_1)
	s_max_u32 s7, s6, 1
.LBB554_5:                              ;   Parent Loop BB554_4 Depth=1
                                        ; =>  This Inner Loop Header: Depth=2
	s_delay_alu instid0(SALU_CYCLE_1)
	s_add_i32 s7, s7, -1
	s_sleep 1
	s_cmp_eq_u32 s7, 0
	s_cbranch_scc0 .LBB554_5
; %bb.6:                                ;   in Loop: Header=BB554_4 Depth=1
	;;#ASMSTART
	global_load_dwordx4 v[2:5], v[7:8] off glc	
s_waitcnt vmcnt(0)
	;;#ASMEND
	v_and_b32_e32 v5, 0xff, v4
	s_cmp_lt_u32 s6, 32
	s_cselect_b32 s7, -1, 0
	s_delay_alu instid0(SALU_CYCLE_1) | instskip(NEXT) | instid1(VALU_DEP_1)
	s_cmp_lg_u32 s7, 0
	v_cmp_ne_u64_e32 vcc_lo, 0, v[5:6]
	s_addc_u32 s6, s6, 0
	s_or_b32 s1, vcc_lo, s1
	s_delay_alu instid0(SALU_CYCLE_1)
	s_and_not1_b32 exec_lo, exec_lo, s1
	s_cbranch_execnz .LBB554_4
; %bb.7:
	s_or_b32 exec_lo, exec_lo, s1
.LBB554_8:
	s_delay_alu instid0(SALU_CYCLE_1)
	s_or_b32 exec_lo, exec_lo, s0
	v_mov_b32_e32 v0, 0
	global_load_b64 v[4:5], v0, s[8:9]
	s_waitcnt vmcnt(0)
	v_add_co_u32 v4, vcc_lo, v4, v2
	v_add_co_ci_u32_e32 v5, vcc_lo, 0, v5, vcc_lo
	s_clause 0x1
	global_store_b64 v0, v[4:5], s[8:9]
	global_store_b32 v0, v3, s[10:11]
.LBB554_9:
	s_or_b32 exec_lo, exec_lo, s5
	s_mov_b32 s1, 0
.LBB554_10:
	s_delay_alu instid0(VALU_DEP_1)
	v_cmp_eq_u32_e64 s0, 0, v1
	s_and_not1_b32 vcc_lo, exec_lo, s1
	s_cbranch_vccnz .LBB554_14
; %bb.11:
	s_cmp_lg_u64 s[8:9], 0
	s_cselect_b32 s1, -1, 0
	s_delay_alu instid0(SALU_CYCLE_1) | instskip(NEXT) | instid1(SALU_CYCLE_1)
	s_and_b32 s1, s1, s0
	s_and_saveexec_b32 s0, s1
	s_cbranch_execz .LBB554_13
; %bb.12:
	v_mov_b32_e32 v2, 0
	s_delay_alu instid0(VALU_DEP_1)
	v_mov_b32_e32 v3, v2
	global_store_b64 v2, v[2:3], s[8:9]
.LBB554_13:
	s_or_b32 exec_lo, exec_lo, s0
.LBB554_14:
	s_delay_alu instid0(SALU_CYCLE_1)
	s_mov_b32 s0, exec_lo
	v_cmpx_eq_u32_e32 0, v1
	s_cbranch_execz .LBB554_16
; %bb.15:
	v_mov_b32_e32 v0, 0
	global_store_b32 v0, v0, s[12:13]
.LBB554_16:
	s_or_b32 exec_lo, exec_lo, s0
	s_delay_alu instid0(SALU_CYCLE_1)
	s_mov_b32 s0, exec_lo
	v_cmpx_gt_u32_e64 s4, v1
	s_cbranch_execz .LBB554_18
; %bb.17:
	v_dual_mov_b32 v3, 0 :: v_dual_add_nc_u32 v2, 32, v1
	s_delay_alu instid0(VALU_DEP_1) | instskip(SKIP_2) | instid1(VALU_DEP_3)
	v_lshlrev_b64 v[5:6], 4, v[2:3]
	v_mov_b32_e32 v2, v3
	v_mov_b32_e32 v4, v3
	v_add_co_u32 v7, vcc_lo, s2, v5
	s_delay_alu instid0(VALU_DEP_4)
	v_add_co_ci_u32_e32 v8, vcc_lo, s3, v6, vcc_lo
	v_mov_b32_e32 v5, v3
	global_store_b128 v[7:8], v[2:5], off
.LBB554_18:
	s_or_b32 exec_lo, exec_lo, s0
	s_delay_alu instid0(SALU_CYCLE_1)
	s_mov_b32 s0, exec_lo
	v_cmpx_gt_u32_e32 32, v1
	s_cbranch_execz .LBB554_20
; %bb.19:
	v_dual_mov_b32 v2, 0 :: v_dual_mov_b32 v3, 0xff
	s_delay_alu instid0(VALU_DEP_1) | instskip(SKIP_1) | instid1(VALU_DEP_2)
	v_lshlrev_b64 v[4:5], 4, v[1:2]
	v_mov_b32_e32 v1, v2
	v_add_co_u32 v6, vcc_lo, s2, v4
	s_delay_alu instid0(VALU_DEP_3)
	v_add_co_ci_u32_e32 v7, vcc_lo, s3, v5, vcc_lo
	v_mov_b32_e32 v4, v2
	global_store_b128 v[6:7], v[1:4], off
.LBB554_20:
	s_nop 0
	s_sendmsg sendmsg(MSG_DEALLOC_VGPRS)
	s_endpgm
	.section	.rodata,"a",@progbits
	.p2align	6, 0x0
	.amdhsa_kernel _ZN7rocprim17ROCPRIM_400000_NS6detail25reduce_by_key_init_kernelINS1_19lookback_scan_stateINS0_5tupleIJjiEEELb1ELb1EEEiNS1_16block_id_wrapperIjLb1EEEEEvT_jbjPmPT0_T1_
		.amdhsa_group_segment_fixed_size 0
		.amdhsa_private_segment_fixed_size 0
		.amdhsa_kernarg_size 304
		.amdhsa_user_sgpr_count 15
		.amdhsa_user_sgpr_dispatch_ptr 0
		.amdhsa_user_sgpr_queue_ptr 0
		.amdhsa_user_sgpr_kernarg_segment_ptr 1
		.amdhsa_user_sgpr_dispatch_id 0
		.amdhsa_user_sgpr_private_segment_size 0
		.amdhsa_wavefront_size32 1
		.amdhsa_uses_dynamic_stack 0
		.amdhsa_enable_private_segment 0
		.amdhsa_system_sgpr_workgroup_id_x 1
		.amdhsa_system_sgpr_workgroup_id_y 0
		.amdhsa_system_sgpr_workgroup_id_z 0
		.amdhsa_system_sgpr_workgroup_info 0
		.amdhsa_system_vgpr_workitem_id 0
		.amdhsa_next_free_vgpr 9
		.amdhsa_next_free_sgpr 16
		.amdhsa_reserve_vcc 1
		.amdhsa_float_round_mode_32 0
		.amdhsa_float_round_mode_16_64 0
		.amdhsa_float_denorm_mode_32 3
		.amdhsa_float_denorm_mode_16_64 3
		.amdhsa_dx10_clamp 1
		.amdhsa_ieee_mode 1
		.amdhsa_fp16_overflow 0
		.amdhsa_workgroup_processor_mode 1
		.amdhsa_memory_ordered 1
		.amdhsa_forward_progress 0
		.amdhsa_shared_vgpr_count 0
		.amdhsa_exception_fp_ieee_invalid_op 0
		.amdhsa_exception_fp_denorm_src 0
		.amdhsa_exception_fp_ieee_div_zero 0
		.amdhsa_exception_fp_ieee_overflow 0
		.amdhsa_exception_fp_ieee_underflow 0
		.amdhsa_exception_fp_ieee_inexact 0
		.amdhsa_exception_int_div_zero 0
	.end_amdhsa_kernel
	.section	.text._ZN7rocprim17ROCPRIM_400000_NS6detail25reduce_by_key_init_kernelINS1_19lookback_scan_stateINS0_5tupleIJjiEEELb1ELb1EEEiNS1_16block_id_wrapperIjLb1EEEEEvT_jbjPmPT0_T1_,"axG",@progbits,_ZN7rocprim17ROCPRIM_400000_NS6detail25reduce_by_key_init_kernelINS1_19lookback_scan_stateINS0_5tupleIJjiEEELb1ELb1EEEiNS1_16block_id_wrapperIjLb1EEEEEvT_jbjPmPT0_T1_,comdat
.Lfunc_end554:
	.size	_ZN7rocprim17ROCPRIM_400000_NS6detail25reduce_by_key_init_kernelINS1_19lookback_scan_stateINS0_5tupleIJjiEEELb1ELb1EEEiNS1_16block_id_wrapperIjLb1EEEEEvT_jbjPmPT0_T1_, .Lfunc_end554-_ZN7rocprim17ROCPRIM_400000_NS6detail25reduce_by_key_init_kernelINS1_19lookback_scan_stateINS0_5tupleIJjiEEELb1ELb1EEEiNS1_16block_id_wrapperIjLb1EEEEEvT_jbjPmPT0_T1_
                                        ; -- End function
	.section	.AMDGPU.csdata,"",@progbits
; Kernel info:
; codeLenInByte = 660
; NumSgprs: 18
; NumVgprs: 9
; ScratchSize: 0
; MemoryBound: 0
; FloatMode: 240
; IeeeMode: 1
; LDSByteSize: 0 bytes/workgroup (compile time only)
; SGPRBlocks: 2
; VGPRBlocks: 1
; NumSGPRsForWavesPerEU: 18
; NumVGPRsForWavesPerEU: 9
; Occupancy: 16
; WaveLimiterHint : 0
; COMPUTE_PGM_RSRC2:SCRATCH_EN: 0
; COMPUTE_PGM_RSRC2:USER_SGPR: 15
; COMPUTE_PGM_RSRC2:TRAP_HANDLER: 0
; COMPUTE_PGM_RSRC2:TGID_X_EN: 1
; COMPUTE_PGM_RSRC2:TGID_Y_EN: 0
; COMPUTE_PGM_RSRC2:TGID_Z_EN: 0
; COMPUTE_PGM_RSRC2:TIDIG_COMP_CNT: 0
	.section	.text._ZN7rocprim17ROCPRIM_400000_NS6detail17trampoline_kernelINS0_14default_configENS1_29reduce_by_key_config_selectorIiiN6thrust23THRUST_200600_302600_NS4plusIiEEEEZZNS1_33reduce_by_key_impl_wrapped_configILNS1_25lookback_scan_determinismE0ES3_S9_NS6_6detail15normal_iteratorINS6_10device_ptrIiEEEESG_SG_SG_PmS8_NS6_8equal_toIiEEEE10hipError_tPvRmT2_T3_mT4_T5_T6_T7_T8_P12ihipStream_tbENKUlT_T0_E_clISt17integral_constantIbLb1EES11_EEDaSW_SX_EUlSW_E_NS1_11comp_targetILNS1_3genE0ELNS1_11target_archE4294967295ELNS1_3gpuE0ELNS1_3repE0EEENS1_30default_config_static_selectorELNS0_4arch9wavefront6targetE0EEEvT1_,"axG",@progbits,_ZN7rocprim17ROCPRIM_400000_NS6detail17trampoline_kernelINS0_14default_configENS1_29reduce_by_key_config_selectorIiiN6thrust23THRUST_200600_302600_NS4plusIiEEEEZZNS1_33reduce_by_key_impl_wrapped_configILNS1_25lookback_scan_determinismE0ES3_S9_NS6_6detail15normal_iteratorINS6_10device_ptrIiEEEESG_SG_SG_PmS8_NS6_8equal_toIiEEEE10hipError_tPvRmT2_T3_mT4_T5_T6_T7_T8_P12ihipStream_tbENKUlT_T0_E_clISt17integral_constantIbLb1EES11_EEDaSW_SX_EUlSW_E_NS1_11comp_targetILNS1_3genE0ELNS1_11target_archE4294967295ELNS1_3gpuE0ELNS1_3repE0EEENS1_30default_config_static_selectorELNS0_4arch9wavefront6targetE0EEEvT1_,comdat
	.protected	_ZN7rocprim17ROCPRIM_400000_NS6detail17trampoline_kernelINS0_14default_configENS1_29reduce_by_key_config_selectorIiiN6thrust23THRUST_200600_302600_NS4plusIiEEEEZZNS1_33reduce_by_key_impl_wrapped_configILNS1_25lookback_scan_determinismE0ES3_S9_NS6_6detail15normal_iteratorINS6_10device_ptrIiEEEESG_SG_SG_PmS8_NS6_8equal_toIiEEEE10hipError_tPvRmT2_T3_mT4_T5_T6_T7_T8_P12ihipStream_tbENKUlT_T0_E_clISt17integral_constantIbLb1EES11_EEDaSW_SX_EUlSW_E_NS1_11comp_targetILNS1_3genE0ELNS1_11target_archE4294967295ELNS1_3gpuE0ELNS1_3repE0EEENS1_30default_config_static_selectorELNS0_4arch9wavefront6targetE0EEEvT1_ ; -- Begin function _ZN7rocprim17ROCPRIM_400000_NS6detail17trampoline_kernelINS0_14default_configENS1_29reduce_by_key_config_selectorIiiN6thrust23THRUST_200600_302600_NS4plusIiEEEEZZNS1_33reduce_by_key_impl_wrapped_configILNS1_25lookback_scan_determinismE0ES3_S9_NS6_6detail15normal_iteratorINS6_10device_ptrIiEEEESG_SG_SG_PmS8_NS6_8equal_toIiEEEE10hipError_tPvRmT2_T3_mT4_T5_T6_T7_T8_P12ihipStream_tbENKUlT_T0_E_clISt17integral_constantIbLb1EES11_EEDaSW_SX_EUlSW_E_NS1_11comp_targetILNS1_3genE0ELNS1_11target_archE4294967295ELNS1_3gpuE0ELNS1_3repE0EEENS1_30default_config_static_selectorELNS0_4arch9wavefront6targetE0EEEvT1_
	.globl	_ZN7rocprim17ROCPRIM_400000_NS6detail17trampoline_kernelINS0_14default_configENS1_29reduce_by_key_config_selectorIiiN6thrust23THRUST_200600_302600_NS4plusIiEEEEZZNS1_33reduce_by_key_impl_wrapped_configILNS1_25lookback_scan_determinismE0ES3_S9_NS6_6detail15normal_iteratorINS6_10device_ptrIiEEEESG_SG_SG_PmS8_NS6_8equal_toIiEEEE10hipError_tPvRmT2_T3_mT4_T5_T6_T7_T8_P12ihipStream_tbENKUlT_T0_E_clISt17integral_constantIbLb1EES11_EEDaSW_SX_EUlSW_E_NS1_11comp_targetILNS1_3genE0ELNS1_11target_archE4294967295ELNS1_3gpuE0ELNS1_3repE0EEENS1_30default_config_static_selectorELNS0_4arch9wavefront6targetE0EEEvT1_
	.p2align	8
	.type	_ZN7rocprim17ROCPRIM_400000_NS6detail17trampoline_kernelINS0_14default_configENS1_29reduce_by_key_config_selectorIiiN6thrust23THRUST_200600_302600_NS4plusIiEEEEZZNS1_33reduce_by_key_impl_wrapped_configILNS1_25lookback_scan_determinismE0ES3_S9_NS6_6detail15normal_iteratorINS6_10device_ptrIiEEEESG_SG_SG_PmS8_NS6_8equal_toIiEEEE10hipError_tPvRmT2_T3_mT4_T5_T6_T7_T8_P12ihipStream_tbENKUlT_T0_E_clISt17integral_constantIbLb1EES11_EEDaSW_SX_EUlSW_E_NS1_11comp_targetILNS1_3genE0ELNS1_11target_archE4294967295ELNS1_3gpuE0ELNS1_3repE0EEENS1_30default_config_static_selectorELNS0_4arch9wavefront6targetE0EEEvT1_,@function
_ZN7rocprim17ROCPRIM_400000_NS6detail17trampoline_kernelINS0_14default_configENS1_29reduce_by_key_config_selectorIiiN6thrust23THRUST_200600_302600_NS4plusIiEEEEZZNS1_33reduce_by_key_impl_wrapped_configILNS1_25lookback_scan_determinismE0ES3_S9_NS6_6detail15normal_iteratorINS6_10device_ptrIiEEEESG_SG_SG_PmS8_NS6_8equal_toIiEEEE10hipError_tPvRmT2_T3_mT4_T5_T6_T7_T8_P12ihipStream_tbENKUlT_T0_E_clISt17integral_constantIbLb1EES11_EEDaSW_SX_EUlSW_E_NS1_11comp_targetILNS1_3genE0ELNS1_11target_archE4294967295ELNS1_3gpuE0ELNS1_3repE0EEENS1_30default_config_static_selectorELNS0_4arch9wavefront6targetE0EEEvT1_: ; @_ZN7rocprim17ROCPRIM_400000_NS6detail17trampoline_kernelINS0_14default_configENS1_29reduce_by_key_config_selectorIiiN6thrust23THRUST_200600_302600_NS4plusIiEEEEZZNS1_33reduce_by_key_impl_wrapped_configILNS1_25lookback_scan_determinismE0ES3_S9_NS6_6detail15normal_iteratorINS6_10device_ptrIiEEEESG_SG_SG_PmS8_NS6_8equal_toIiEEEE10hipError_tPvRmT2_T3_mT4_T5_T6_T7_T8_P12ihipStream_tbENKUlT_T0_E_clISt17integral_constantIbLb1EES11_EEDaSW_SX_EUlSW_E_NS1_11comp_targetILNS1_3genE0ELNS1_11target_archE4294967295ELNS1_3gpuE0ELNS1_3repE0EEENS1_30default_config_static_selectorELNS0_4arch9wavefront6targetE0EEEvT1_
; %bb.0:
	.section	.rodata,"a",@progbits
	.p2align	6, 0x0
	.amdhsa_kernel _ZN7rocprim17ROCPRIM_400000_NS6detail17trampoline_kernelINS0_14default_configENS1_29reduce_by_key_config_selectorIiiN6thrust23THRUST_200600_302600_NS4plusIiEEEEZZNS1_33reduce_by_key_impl_wrapped_configILNS1_25lookback_scan_determinismE0ES3_S9_NS6_6detail15normal_iteratorINS6_10device_ptrIiEEEESG_SG_SG_PmS8_NS6_8equal_toIiEEEE10hipError_tPvRmT2_T3_mT4_T5_T6_T7_T8_P12ihipStream_tbENKUlT_T0_E_clISt17integral_constantIbLb1EES11_EEDaSW_SX_EUlSW_E_NS1_11comp_targetILNS1_3genE0ELNS1_11target_archE4294967295ELNS1_3gpuE0ELNS1_3repE0EEENS1_30default_config_static_selectorELNS0_4arch9wavefront6targetE0EEEvT1_
		.amdhsa_group_segment_fixed_size 0
		.amdhsa_private_segment_fixed_size 0
		.amdhsa_kernarg_size 120
		.amdhsa_user_sgpr_count 15
		.amdhsa_user_sgpr_dispatch_ptr 0
		.amdhsa_user_sgpr_queue_ptr 0
		.amdhsa_user_sgpr_kernarg_segment_ptr 1
		.amdhsa_user_sgpr_dispatch_id 0
		.amdhsa_user_sgpr_private_segment_size 0
		.amdhsa_wavefront_size32 1
		.amdhsa_uses_dynamic_stack 0
		.amdhsa_enable_private_segment 0
		.amdhsa_system_sgpr_workgroup_id_x 1
		.amdhsa_system_sgpr_workgroup_id_y 0
		.amdhsa_system_sgpr_workgroup_id_z 0
		.amdhsa_system_sgpr_workgroup_info 0
		.amdhsa_system_vgpr_workitem_id 0
		.amdhsa_next_free_vgpr 1
		.amdhsa_next_free_sgpr 1
		.amdhsa_reserve_vcc 0
		.amdhsa_float_round_mode_32 0
		.amdhsa_float_round_mode_16_64 0
		.amdhsa_float_denorm_mode_32 3
		.amdhsa_float_denorm_mode_16_64 3
		.amdhsa_dx10_clamp 1
		.amdhsa_ieee_mode 1
		.amdhsa_fp16_overflow 0
		.amdhsa_workgroup_processor_mode 1
		.amdhsa_memory_ordered 1
		.amdhsa_forward_progress 0
		.amdhsa_shared_vgpr_count 0
		.amdhsa_exception_fp_ieee_invalid_op 0
		.amdhsa_exception_fp_denorm_src 0
		.amdhsa_exception_fp_ieee_div_zero 0
		.amdhsa_exception_fp_ieee_overflow 0
		.amdhsa_exception_fp_ieee_underflow 0
		.amdhsa_exception_fp_ieee_inexact 0
		.amdhsa_exception_int_div_zero 0
	.end_amdhsa_kernel
	.section	.text._ZN7rocprim17ROCPRIM_400000_NS6detail17trampoline_kernelINS0_14default_configENS1_29reduce_by_key_config_selectorIiiN6thrust23THRUST_200600_302600_NS4plusIiEEEEZZNS1_33reduce_by_key_impl_wrapped_configILNS1_25lookback_scan_determinismE0ES3_S9_NS6_6detail15normal_iteratorINS6_10device_ptrIiEEEESG_SG_SG_PmS8_NS6_8equal_toIiEEEE10hipError_tPvRmT2_T3_mT4_T5_T6_T7_T8_P12ihipStream_tbENKUlT_T0_E_clISt17integral_constantIbLb1EES11_EEDaSW_SX_EUlSW_E_NS1_11comp_targetILNS1_3genE0ELNS1_11target_archE4294967295ELNS1_3gpuE0ELNS1_3repE0EEENS1_30default_config_static_selectorELNS0_4arch9wavefront6targetE0EEEvT1_,"axG",@progbits,_ZN7rocprim17ROCPRIM_400000_NS6detail17trampoline_kernelINS0_14default_configENS1_29reduce_by_key_config_selectorIiiN6thrust23THRUST_200600_302600_NS4plusIiEEEEZZNS1_33reduce_by_key_impl_wrapped_configILNS1_25lookback_scan_determinismE0ES3_S9_NS6_6detail15normal_iteratorINS6_10device_ptrIiEEEESG_SG_SG_PmS8_NS6_8equal_toIiEEEE10hipError_tPvRmT2_T3_mT4_T5_T6_T7_T8_P12ihipStream_tbENKUlT_T0_E_clISt17integral_constantIbLb1EES11_EEDaSW_SX_EUlSW_E_NS1_11comp_targetILNS1_3genE0ELNS1_11target_archE4294967295ELNS1_3gpuE0ELNS1_3repE0EEENS1_30default_config_static_selectorELNS0_4arch9wavefront6targetE0EEEvT1_,comdat
.Lfunc_end555:
	.size	_ZN7rocprim17ROCPRIM_400000_NS6detail17trampoline_kernelINS0_14default_configENS1_29reduce_by_key_config_selectorIiiN6thrust23THRUST_200600_302600_NS4plusIiEEEEZZNS1_33reduce_by_key_impl_wrapped_configILNS1_25lookback_scan_determinismE0ES3_S9_NS6_6detail15normal_iteratorINS6_10device_ptrIiEEEESG_SG_SG_PmS8_NS6_8equal_toIiEEEE10hipError_tPvRmT2_T3_mT4_T5_T6_T7_T8_P12ihipStream_tbENKUlT_T0_E_clISt17integral_constantIbLb1EES11_EEDaSW_SX_EUlSW_E_NS1_11comp_targetILNS1_3genE0ELNS1_11target_archE4294967295ELNS1_3gpuE0ELNS1_3repE0EEENS1_30default_config_static_selectorELNS0_4arch9wavefront6targetE0EEEvT1_, .Lfunc_end555-_ZN7rocprim17ROCPRIM_400000_NS6detail17trampoline_kernelINS0_14default_configENS1_29reduce_by_key_config_selectorIiiN6thrust23THRUST_200600_302600_NS4plusIiEEEEZZNS1_33reduce_by_key_impl_wrapped_configILNS1_25lookback_scan_determinismE0ES3_S9_NS6_6detail15normal_iteratorINS6_10device_ptrIiEEEESG_SG_SG_PmS8_NS6_8equal_toIiEEEE10hipError_tPvRmT2_T3_mT4_T5_T6_T7_T8_P12ihipStream_tbENKUlT_T0_E_clISt17integral_constantIbLb1EES11_EEDaSW_SX_EUlSW_E_NS1_11comp_targetILNS1_3genE0ELNS1_11target_archE4294967295ELNS1_3gpuE0ELNS1_3repE0EEENS1_30default_config_static_selectorELNS0_4arch9wavefront6targetE0EEEvT1_
                                        ; -- End function
	.section	.AMDGPU.csdata,"",@progbits
; Kernel info:
; codeLenInByte = 0
; NumSgprs: 0
; NumVgprs: 0
; ScratchSize: 0
; MemoryBound: 0
; FloatMode: 240
; IeeeMode: 1
; LDSByteSize: 0 bytes/workgroup (compile time only)
; SGPRBlocks: 0
; VGPRBlocks: 0
; NumSGPRsForWavesPerEU: 1
; NumVGPRsForWavesPerEU: 1
; Occupancy: 16
; WaveLimiterHint : 0
; COMPUTE_PGM_RSRC2:SCRATCH_EN: 0
; COMPUTE_PGM_RSRC2:USER_SGPR: 15
; COMPUTE_PGM_RSRC2:TRAP_HANDLER: 0
; COMPUTE_PGM_RSRC2:TGID_X_EN: 1
; COMPUTE_PGM_RSRC2:TGID_Y_EN: 0
; COMPUTE_PGM_RSRC2:TGID_Z_EN: 0
; COMPUTE_PGM_RSRC2:TIDIG_COMP_CNT: 0
	.section	.text._ZN7rocprim17ROCPRIM_400000_NS6detail17trampoline_kernelINS0_14default_configENS1_29reduce_by_key_config_selectorIiiN6thrust23THRUST_200600_302600_NS4plusIiEEEEZZNS1_33reduce_by_key_impl_wrapped_configILNS1_25lookback_scan_determinismE0ES3_S9_NS6_6detail15normal_iteratorINS6_10device_ptrIiEEEESG_SG_SG_PmS8_NS6_8equal_toIiEEEE10hipError_tPvRmT2_T3_mT4_T5_T6_T7_T8_P12ihipStream_tbENKUlT_T0_E_clISt17integral_constantIbLb1EES11_EEDaSW_SX_EUlSW_E_NS1_11comp_targetILNS1_3genE5ELNS1_11target_archE942ELNS1_3gpuE9ELNS1_3repE0EEENS1_30default_config_static_selectorELNS0_4arch9wavefront6targetE0EEEvT1_,"axG",@progbits,_ZN7rocprim17ROCPRIM_400000_NS6detail17trampoline_kernelINS0_14default_configENS1_29reduce_by_key_config_selectorIiiN6thrust23THRUST_200600_302600_NS4plusIiEEEEZZNS1_33reduce_by_key_impl_wrapped_configILNS1_25lookback_scan_determinismE0ES3_S9_NS6_6detail15normal_iteratorINS6_10device_ptrIiEEEESG_SG_SG_PmS8_NS6_8equal_toIiEEEE10hipError_tPvRmT2_T3_mT4_T5_T6_T7_T8_P12ihipStream_tbENKUlT_T0_E_clISt17integral_constantIbLb1EES11_EEDaSW_SX_EUlSW_E_NS1_11comp_targetILNS1_3genE5ELNS1_11target_archE942ELNS1_3gpuE9ELNS1_3repE0EEENS1_30default_config_static_selectorELNS0_4arch9wavefront6targetE0EEEvT1_,comdat
	.protected	_ZN7rocprim17ROCPRIM_400000_NS6detail17trampoline_kernelINS0_14default_configENS1_29reduce_by_key_config_selectorIiiN6thrust23THRUST_200600_302600_NS4plusIiEEEEZZNS1_33reduce_by_key_impl_wrapped_configILNS1_25lookback_scan_determinismE0ES3_S9_NS6_6detail15normal_iteratorINS6_10device_ptrIiEEEESG_SG_SG_PmS8_NS6_8equal_toIiEEEE10hipError_tPvRmT2_T3_mT4_T5_T6_T7_T8_P12ihipStream_tbENKUlT_T0_E_clISt17integral_constantIbLb1EES11_EEDaSW_SX_EUlSW_E_NS1_11comp_targetILNS1_3genE5ELNS1_11target_archE942ELNS1_3gpuE9ELNS1_3repE0EEENS1_30default_config_static_selectorELNS0_4arch9wavefront6targetE0EEEvT1_ ; -- Begin function _ZN7rocprim17ROCPRIM_400000_NS6detail17trampoline_kernelINS0_14default_configENS1_29reduce_by_key_config_selectorIiiN6thrust23THRUST_200600_302600_NS4plusIiEEEEZZNS1_33reduce_by_key_impl_wrapped_configILNS1_25lookback_scan_determinismE0ES3_S9_NS6_6detail15normal_iteratorINS6_10device_ptrIiEEEESG_SG_SG_PmS8_NS6_8equal_toIiEEEE10hipError_tPvRmT2_T3_mT4_T5_T6_T7_T8_P12ihipStream_tbENKUlT_T0_E_clISt17integral_constantIbLb1EES11_EEDaSW_SX_EUlSW_E_NS1_11comp_targetILNS1_3genE5ELNS1_11target_archE942ELNS1_3gpuE9ELNS1_3repE0EEENS1_30default_config_static_selectorELNS0_4arch9wavefront6targetE0EEEvT1_
	.globl	_ZN7rocprim17ROCPRIM_400000_NS6detail17trampoline_kernelINS0_14default_configENS1_29reduce_by_key_config_selectorIiiN6thrust23THRUST_200600_302600_NS4plusIiEEEEZZNS1_33reduce_by_key_impl_wrapped_configILNS1_25lookback_scan_determinismE0ES3_S9_NS6_6detail15normal_iteratorINS6_10device_ptrIiEEEESG_SG_SG_PmS8_NS6_8equal_toIiEEEE10hipError_tPvRmT2_T3_mT4_T5_T6_T7_T8_P12ihipStream_tbENKUlT_T0_E_clISt17integral_constantIbLb1EES11_EEDaSW_SX_EUlSW_E_NS1_11comp_targetILNS1_3genE5ELNS1_11target_archE942ELNS1_3gpuE9ELNS1_3repE0EEENS1_30default_config_static_selectorELNS0_4arch9wavefront6targetE0EEEvT1_
	.p2align	8
	.type	_ZN7rocprim17ROCPRIM_400000_NS6detail17trampoline_kernelINS0_14default_configENS1_29reduce_by_key_config_selectorIiiN6thrust23THRUST_200600_302600_NS4plusIiEEEEZZNS1_33reduce_by_key_impl_wrapped_configILNS1_25lookback_scan_determinismE0ES3_S9_NS6_6detail15normal_iteratorINS6_10device_ptrIiEEEESG_SG_SG_PmS8_NS6_8equal_toIiEEEE10hipError_tPvRmT2_T3_mT4_T5_T6_T7_T8_P12ihipStream_tbENKUlT_T0_E_clISt17integral_constantIbLb1EES11_EEDaSW_SX_EUlSW_E_NS1_11comp_targetILNS1_3genE5ELNS1_11target_archE942ELNS1_3gpuE9ELNS1_3repE0EEENS1_30default_config_static_selectorELNS0_4arch9wavefront6targetE0EEEvT1_,@function
_ZN7rocprim17ROCPRIM_400000_NS6detail17trampoline_kernelINS0_14default_configENS1_29reduce_by_key_config_selectorIiiN6thrust23THRUST_200600_302600_NS4plusIiEEEEZZNS1_33reduce_by_key_impl_wrapped_configILNS1_25lookback_scan_determinismE0ES3_S9_NS6_6detail15normal_iteratorINS6_10device_ptrIiEEEESG_SG_SG_PmS8_NS6_8equal_toIiEEEE10hipError_tPvRmT2_T3_mT4_T5_T6_T7_T8_P12ihipStream_tbENKUlT_T0_E_clISt17integral_constantIbLb1EES11_EEDaSW_SX_EUlSW_E_NS1_11comp_targetILNS1_3genE5ELNS1_11target_archE942ELNS1_3gpuE9ELNS1_3repE0EEENS1_30default_config_static_selectorELNS0_4arch9wavefront6targetE0EEEvT1_: ; @_ZN7rocprim17ROCPRIM_400000_NS6detail17trampoline_kernelINS0_14default_configENS1_29reduce_by_key_config_selectorIiiN6thrust23THRUST_200600_302600_NS4plusIiEEEEZZNS1_33reduce_by_key_impl_wrapped_configILNS1_25lookback_scan_determinismE0ES3_S9_NS6_6detail15normal_iteratorINS6_10device_ptrIiEEEESG_SG_SG_PmS8_NS6_8equal_toIiEEEE10hipError_tPvRmT2_T3_mT4_T5_T6_T7_T8_P12ihipStream_tbENKUlT_T0_E_clISt17integral_constantIbLb1EES11_EEDaSW_SX_EUlSW_E_NS1_11comp_targetILNS1_3genE5ELNS1_11target_archE942ELNS1_3gpuE9ELNS1_3repE0EEENS1_30default_config_static_selectorELNS0_4arch9wavefront6targetE0EEEvT1_
; %bb.0:
	.section	.rodata,"a",@progbits
	.p2align	6, 0x0
	.amdhsa_kernel _ZN7rocprim17ROCPRIM_400000_NS6detail17trampoline_kernelINS0_14default_configENS1_29reduce_by_key_config_selectorIiiN6thrust23THRUST_200600_302600_NS4plusIiEEEEZZNS1_33reduce_by_key_impl_wrapped_configILNS1_25lookback_scan_determinismE0ES3_S9_NS6_6detail15normal_iteratorINS6_10device_ptrIiEEEESG_SG_SG_PmS8_NS6_8equal_toIiEEEE10hipError_tPvRmT2_T3_mT4_T5_T6_T7_T8_P12ihipStream_tbENKUlT_T0_E_clISt17integral_constantIbLb1EES11_EEDaSW_SX_EUlSW_E_NS1_11comp_targetILNS1_3genE5ELNS1_11target_archE942ELNS1_3gpuE9ELNS1_3repE0EEENS1_30default_config_static_selectorELNS0_4arch9wavefront6targetE0EEEvT1_
		.amdhsa_group_segment_fixed_size 0
		.amdhsa_private_segment_fixed_size 0
		.amdhsa_kernarg_size 120
		.amdhsa_user_sgpr_count 15
		.amdhsa_user_sgpr_dispatch_ptr 0
		.amdhsa_user_sgpr_queue_ptr 0
		.amdhsa_user_sgpr_kernarg_segment_ptr 1
		.amdhsa_user_sgpr_dispatch_id 0
		.amdhsa_user_sgpr_private_segment_size 0
		.amdhsa_wavefront_size32 1
		.amdhsa_uses_dynamic_stack 0
		.amdhsa_enable_private_segment 0
		.amdhsa_system_sgpr_workgroup_id_x 1
		.amdhsa_system_sgpr_workgroup_id_y 0
		.amdhsa_system_sgpr_workgroup_id_z 0
		.amdhsa_system_sgpr_workgroup_info 0
		.amdhsa_system_vgpr_workitem_id 0
		.amdhsa_next_free_vgpr 1
		.amdhsa_next_free_sgpr 1
		.amdhsa_reserve_vcc 0
		.amdhsa_float_round_mode_32 0
		.amdhsa_float_round_mode_16_64 0
		.amdhsa_float_denorm_mode_32 3
		.amdhsa_float_denorm_mode_16_64 3
		.amdhsa_dx10_clamp 1
		.amdhsa_ieee_mode 1
		.amdhsa_fp16_overflow 0
		.amdhsa_workgroup_processor_mode 1
		.amdhsa_memory_ordered 1
		.amdhsa_forward_progress 0
		.amdhsa_shared_vgpr_count 0
		.amdhsa_exception_fp_ieee_invalid_op 0
		.amdhsa_exception_fp_denorm_src 0
		.amdhsa_exception_fp_ieee_div_zero 0
		.amdhsa_exception_fp_ieee_overflow 0
		.amdhsa_exception_fp_ieee_underflow 0
		.amdhsa_exception_fp_ieee_inexact 0
		.amdhsa_exception_int_div_zero 0
	.end_amdhsa_kernel
	.section	.text._ZN7rocprim17ROCPRIM_400000_NS6detail17trampoline_kernelINS0_14default_configENS1_29reduce_by_key_config_selectorIiiN6thrust23THRUST_200600_302600_NS4plusIiEEEEZZNS1_33reduce_by_key_impl_wrapped_configILNS1_25lookback_scan_determinismE0ES3_S9_NS6_6detail15normal_iteratorINS6_10device_ptrIiEEEESG_SG_SG_PmS8_NS6_8equal_toIiEEEE10hipError_tPvRmT2_T3_mT4_T5_T6_T7_T8_P12ihipStream_tbENKUlT_T0_E_clISt17integral_constantIbLb1EES11_EEDaSW_SX_EUlSW_E_NS1_11comp_targetILNS1_3genE5ELNS1_11target_archE942ELNS1_3gpuE9ELNS1_3repE0EEENS1_30default_config_static_selectorELNS0_4arch9wavefront6targetE0EEEvT1_,"axG",@progbits,_ZN7rocprim17ROCPRIM_400000_NS6detail17trampoline_kernelINS0_14default_configENS1_29reduce_by_key_config_selectorIiiN6thrust23THRUST_200600_302600_NS4plusIiEEEEZZNS1_33reduce_by_key_impl_wrapped_configILNS1_25lookback_scan_determinismE0ES3_S9_NS6_6detail15normal_iteratorINS6_10device_ptrIiEEEESG_SG_SG_PmS8_NS6_8equal_toIiEEEE10hipError_tPvRmT2_T3_mT4_T5_T6_T7_T8_P12ihipStream_tbENKUlT_T0_E_clISt17integral_constantIbLb1EES11_EEDaSW_SX_EUlSW_E_NS1_11comp_targetILNS1_3genE5ELNS1_11target_archE942ELNS1_3gpuE9ELNS1_3repE0EEENS1_30default_config_static_selectorELNS0_4arch9wavefront6targetE0EEEvT1_,comdat
.Lfunc_end556:
	.size	_ZN7rocprim17ROCPRIM_400000_NS6detail17trampoline_kernelINS0_14default_configENS1_29reduce_by_key_config_selectorIiiN6thrust23THRUST_200600_302600_NS4plusIiEEEEZZNS1_33reduce_by_key_impl_wrapped_configILNS1_25lookback_scan_determinismE0ES3_S9_NS6_6detail15normal_iteratorINS6_10device_ptrIiEEEESG_SG_SG_PmS8_NS6_8equal_toIiEEEE10hipError_tPvRmT2_T3_mT4_T5_T6_T7_T8_P12ihipStream_tbENKUlT_T0_E_clISt17integral_constantIbLb1EES11_EEDaSW_SX_EUlSW_E_NS1_11comp_targetILNS1_3genE5ELNS1_11target_archE942ELNS1_3gpuE9ELNS1_3repE0EEENS1_30default_config_static_selectorELNS0_4arch9wavefront6targetE0EEEvT1_, .Lfunc_end556-_ZN7rocprim17ROCPRIM_400000_NS6detail17trampoline_kernelINS0_14default_configENS1_29reduce_by_key_config_selectorIiiN6thrust23THRUST_200600_302600_NS4plusIiEEEEZZNS1_33reduce_by_key_impl_wrapped_configILNS1_25lookback_scan_determinismE0ES3_S9_NS6_6detail15normal_iteratorINS6_10device_ptrIiEEEESG_SG_SG_PmS8_NS6_8equal_toIiEEEE10hipError_tPvRmT2_T3_mT4_T5_T6_T7_T8_P12ihipStream_tbENKUlT_T0_E_clISt17integral_constantIbLb1EES11_EEDaSW_SX_EUlSW_E_NS1_11comp_targetILNS1_3genE5ELNS1_11target_archE942ELNS1_3gpuE9ELNS1_3repE0EEENS1_30default_config_static_selectorELNS0_4arch9wavefront6targetE0EEEvT1_
                                        ; -- End function
	.section	.AMDGPU.csdata,"",@progbits
; Kernel info:
; codeLenInByte = 0
; NumSgprs: 0
; NumVgprs: 0
; ScratchSize: 0
; MemoryBound: 0
; FloatMode: 240
; IeeeMode: 1
; LDSByteSize: 0 bytes/workgroup (compile time only)
; SGPRBlocks: 0
; VGPRBlocks: 0
; NumSGPRsForWavesPerEU: 1
; NumVGPRsForWavesPerEU: 1
; Occupancy: 16
; WaveLimiterHint : 0
; COMPUTE_PGM_RSRC2:SCRATCH_EN: 0
; COMPUTE_PGM_RSRC2:USER_SGPR: 15
; COMPUTE_PGM_RSRC2:TRAP_HANDLER: 0
; COMPUTE_PGM_RSRC2:TGID_X_EN: 1
; COMPUTE_PGM_RSRC2:TGID_Y_EN: 0
; COMPUTE_PGM_RSRC2:TGID_Z_EN: 0
; COMPUTE_PGM_RSRC2:TIDIG_COMP_CNT: 0
	.section	.text._ZN7rocprim17ROCPRIM_400000_NS6detail17trampoline_kernelINS0_14default_configENS1_29reduce_by_key_config_selectorIiiN6thrust23THRUST_200600_302600_NS4plusIiEEEEZZNS1_33reduce_by_key_impl_wrapped_configILNS1_25lookback_scan_determinismE0ES3_S9_NS6_6detail15normal_iteratorINS6_10device_ptrIiEEEESG_SG_SG_PmS8_NS6_8equal_toIiEEEE10hipError_tPvRmT2_T3_mT4_T5_T6_T7_T8_P12ihipStream_tbENKUlT_T0_E_clISt17integral_constantIbLb1EES11_EEDaSW_SX_EUlSW_E_NS1_11comp_targetILNS1_3genE4ELNS1_11target_archE910ELNS1_3gpuE8ELNS1_3repE0EEENS1_30default_config_static_selectorELNS0_4arch9wavefront6targetE0EEEvT1_,"axG",@progbits,_ZN7rocprim17ROCPRIM_400000_NS6detail17trampoline_kernelINS0_14default_configENS1_29reduce_by_key_config_selectorIiiN6thrust23THRUST_200600_302600_NS4plusIiEEEEZZNS1_33reduce_by_key_impl_wrapped_configILNS1_25lookback_scan_determinismE0ES3_S9_NS6_6detail15normal_iteratorINS6_10device_ptrIiEEEESG_SG_SG_PmS8_NS6_8equal_toIiEEEE10hipError_tPvRmT2_T3_mT4_T5_T6_T7_T8_P12ihipStream_tbENKUlT_T0_E_clISt17integral_constantIbLb1EES11_EEDaSW_SX_EUlSW_E_NS1_11comp_targetILNS1_3genE4ELNS1_11target_archE910ELNS1_3gpuE8ELNS1_3repE0EEENS1_30default_config_static_selectorELNS0_4arch9wavefront6targetE0EEEvT1_,comdat
	.protected	_ZN7rocprim17ROCPRIM_400000_NS6detail17trampoline_kernelINS0_14default_configENS1_29reduce_by_key_config_selectorIiiN6thrust23THRUST_200600_302600_NS4plusIiEEEEZZNS1_33reduce_by_key_impl_wrapped_configILNS1_25lookback_scan_determinismE0ES3_S9_NS6_6detail15normal_iteratorINS6_10device_ptrIiEEEESG_SG_SG_PmS8_NS6_8equal_toIiEEEE10hipError_tPvRmT2_T3_mT4_T5_T6_T7_T8_P12ihipStream_tbENKUlT_T0_E_clISt17integral_constantIbLb1EES11_EEDaSW_SX_EUlSW_E_NS1_11comp_targetILNS1_3genE4ELNS1_11target_archE910ELNS1_3gpuE8ELNS1_3repE0EEENS1_30default_config_static_selectorELNS0_4arch9wavefront6targetE0EEEvT1_ ; -- Begin function _ZN7rocprim17ROCPRIM_400000_NS6detail17trampoline_kernelINS0_14default_configENS1_29reduce_by_key_config_selectorIiiN6thrust23THRUST_200600_302600_NS4plusIiEEEEZZNS1_33reduce_by_key_impl_wrapped_configILNS1_25lookback_scan_determinismE0ES3_S9_NS6_6detail15normal_iteratorINS6_10device_ptrIiEEEESG_SG_SG_PmS8_NS6_8equal_toIiEEEE10hipError_tPvRmT2_T3_mT4_T5_T6_T7_T8_P12ihipStream_tbENKUlT_T0_E_clISt17integral_constantIbLb1EES11_EEDaSW_SX_EUlSW_E_NS1_11comp_targetILNS1_3genE4ELNS1_11target_archE910ELNS1_3gpuE8ELNS1_3repE0EEENS1_30default_config_static_selectorELNS0_4arch9wavefront6targetE0EEEvT1_
	.globl	_ZN7rocprim17ROCPRIM_400000_NS6detail17trampoline_kernelINS0_14default_configENS1_29reduce_by_key_config_selectorIiiN6thrust23THRUST_200600_302600_NS4plusIiEEEEZZNS1_33reduce_by_key_impl_wrapped_configILNS1_25lookback_scan_determinismE0ES3_S9_NS6_6detail15normal_iteratorINS6_10device_ptrIiEEEESG_SG_SG_PmS8_NS6_8equal_toIiEEEE10hipError_tPvRmT2_T3_mT4_T5_T6_T7_T8_P12ihipStream_tbENKUlT_T0_E_clISt17integral_constantIbLb1EES11_EEDaSW_SX_EUlSW_E_NS1_11comp_targetILNS1_3genE4ELNS1_11target_archE910ELNS1_3gpuE8ELNS1_3repE0EEENS1_30default_config_static_selectorELNS0_4arch9wavefront6targetE0EEEvT1_
	.p2align	8
	.type	_ZN7rocprim17ROCPRIM_400000_NS6detail17trampoline_kernelINS0_14default_configENS1_29reduce_by_key_config_selectorIiiN6thrust23THRUST_200600_302600_NS4plusIiEEEEZZNS1_33reduce_by_key_impl_wrapped_configILNS1_25lookback_scan_determinismE0ES3_S9_NS6_6detail15normal_iteratorINS6_10device_ptrIiEEEESG_SG_SG_PmS8_NS6_8equal_toIiEEEE10hipError_tPvRmT2_T3_mT4_T5_T6_T7_T8_P12ihipStream_tbENKUlT_T0_E_clISt17integral_constantIbLb1EES11_EEDaSW_SX_EUlSW_E_NS1_11comp_targetILNS1_3genE4ELNS1_11target_archE910ELNS1_3gpuE8ELNS1_3repE0EEENS1_30default_config_static_selectorELNS0_4arch9wavefront6targetE0EEEvT1_,@function
_ZN7rocprim17ROCPRIM_400000_NS6detail17trampoline_kernelINS0_14default_configENS1_29reduce_by_key_config_selectorIiiN6thrust23THRUST_200600_302600_NS4plusIiEEEEZZNS1_33reduce_by_key_impl_wrapped_configILNS1_25lookback_scan_determinismE0ES3_S9_NS6_6detail15normal_iteratorINS6_10device_ptrIiEEEESG_SG_SG_PmS8_NS6_8equal_toIiEEEE10hipError_tPvRmT2_T3_mT4_T5_T6_T7_T8_P12ihipStream_tbENKUlT_T0_E_clISt17integral_constantIbLb1EES11_EEDaSW_SX_EUlSW_E_NS1_11comp_targetILNS1_3genE4ELNS1_11target_archE910ELNS1_3gpuE8ELNS1_3repE0EEENS1_30default_config_static_selectorELNS0_4arch9wavefront6targetE0EEEvT1_: ; @_ZN7rocprim17ROCPRIM_400000_NS6detail17trampoline_kernelINS0_14default_configENS1_29reduce_by_key_config_selectorIiiN6thrust23THRUST_200600_302600_NS4plusIiEEEEZZNS1_33reduce_by_key_impl_wrapped_configILNS1_25lookback_scan_determinismE0ES3_S9_NS6_6detail15normal_iteratorINS6_10device_ptrIiEEEESG_SG_SG_PmS8_NS6_8equal_toIiEEEE10hipError_tPvRmT2_T3_mT4_T5_T6_T7_T8_P12ihipStream_tbENKUlT_T0_E_clISt17integral_constantIbLb1EES11_EEDaSW_SX_EUlSW_E_NS1_11comp_targetILNS1_3genE4ELNS1_11target_archE910ELNS1_3gpuE8ELNS1_3repE0EEENS1_30default_config_static_selectorELNS0_4arch9wavefront6targetE0EEEvT1_
; %bb.0:
	.section	.rodata,"a",@progbits
	.p2align	6, 0x0
	.amdhsa_kernel _ZN7rocprim17ROCPRIM_400000_NS6detail17trampoline_kernelINS0_14default_configENS1_29reduce_by_key_config_selectorIiiN6thrust23THRUST_200600_302600_NS4plusIiEEEEZZNS1_33reduce_by_key_impl_wrapped_configILNS1_25lookback_scan_determinismE0ES3_S9_NS6_6detail15normal_iteratorINS6_10device_ptrIiEEEESG_SG_SG_PmS8_NS6_8equal_toIiEEEE10hipError_tPvRmT2_T3_mT4_T5_T6_T7_T8_P12ihipStream_tbENKUlT_T0_E_clISt17integral_constantIbLb1EES11_EEDaSW_SX_EUlSW_E_NS1_11comp_targetILNS1_3genE4ELNS1_11target_archE910ELNS1_3gpuE8ELNS1_3repE0EEENS1_30default_config_static_selectorELNS0_4arch9wavefront6targetE0EEEvT1_
		.amdhsa_group_segment_fixed_size 0
		.amdhsa_private_segment_fixed_size 0
		.amdhsa_kernarg_size 120
		.amdhsa_user_sgpr_count 15
		.amdhsa_user_sgpr_dispatch_ptr 0
		.amdhsa_user_sgpr_queue_ptr 0
		.amdhsa_user_sgpr_kernarg_segment_ptr 1
		.amdhsa_user_sgpr_dispatch_id 0
		.amdhsa_user_sgpr_private_segment_size 0
		.amdhsa_wavefront_size32 1
		.amdhsa_uses_dynamic_stack 0
		.amdhsa_enable_private_segment 0
		.amdhsa_system_sgpr_workgroup_id_x 1
		.amdhsa_system_sgpr_workgroup_id_y 0
		.amdhsa_system_sgpr_workgroup_id_z 0
		.amdhsa_system_sgpr_workgroup_info 0
		.amdhsa_system_vgpr_workitem_id 0
		.amdhsa_next_free_vgpr 1
		.amdhsa_next_free_sgpr 1
		.amdhsa_reserve_vcc 0
		.amdhsa_float_round_mode_32 0
		.amdhsa_float_round_mode_16_64 0
		.amdhsa_float_denorm_mode_32 3
		.amdhsa_float_denorm_mode_16_64 3
		.amdhsa_dx10_clamp 1
		.amdhsa_ieee_mode 1
		.amdhsa_fp16_overflow 0
		.amdhsa_workgroup_processor_mode 1
		.amdhsa_memory_ordered 1
		.amdhsa_forward_progress 0
		.amdhsa_shared_vgpr_count 0
		.amdhsa_exception_fp_ieee_invalid_op 0
		.amdhsa_exception_fp_denorm_src 0
		.amdhsa_exception_fp_ieee_div_zero 0
		.amdhsa_exception_fp_ieee_overflow 0
		.amdhsa_exception_fp_ieee_underflow 0
		.amdhsa_exception_fp_ieee_inexact 0
		.amdhsa_exception_int_div_zero 0
	.end_amdhsa_kernel
	.section	.text._ZN7rocprim17ROCPRIM_400000_NS6detail17trampoline_kernelINS0_14default_configENS1_29reduce_by_key_config_selectorIiiN6thrust23THRUST_200600_302600_NS4plusIiEEEEZZNS1_33reduce_by_key_impl_wrapped_configILNS1_25lookback_scan_determinismE0ES3_S9_NS6_6detail15normal_iteratorINS6_10device_ptrIiEEEESG_SG_SG_PmS8_NS6_8equal_toIiEEEE10hipError_tPvRmT2_T3_mT4_T5_T6_T7_T8_P12ihipStream_tbENKUlT_T0_E_clISt17integral_constantIbLb1EES11_EEDaSW_SX_EUlSW_E_NS1_11comp_targetILNS1_3genE4ELNS1_11target_archE910ELNS1_3gpuE8ELNS1_3repE0EEENS1_30default_config_static_selectorELNS0_4arch9wavefront6targetE0EEEvT1_,"axG",@progbits,_ZN7rocprim17ROCPRIM_400000_NS6detail17trampoline_kernelINS0_14default_configENS1_29reduce_by_key_config_selectorIiiN6thrust23THRUST_200600_302600_NS4plusIiEEEEZZNS1_33reduce_by_key_impl_wrapped_configILNS1_25lookback_scan_determinismE0ES3_S9_NS6_6detail15normal_iteratorINS6_10device_ptrIiEEEESG_SG_SG_PmS8_NS6_8equal_toIiEEEE10hipError_tPvRmT2_T3_mT4_T5_T6_T7_T8_P12ihipStream_tbENKUlT_T0_E_clISt17integral_constantIbLb1EES11_EEDaSW_SX_EUlSW_E_NS1_11comp_targetILNS1_3genE4ELNS1_11target_archE910ELNS1_3gpuE8ELNS1_3repE0EEENS1_30default_config_static_selectorELNS0_4arch9wavefront6targetE0EEEvT1_,comdat
.Lfunc_end557:
	.size	_ZN7rocprim17ROCPRIM_400000_NS6detail17trampoline_kernelINS0_14default_configENS1_29reduce_by_key_config_selectorIiiN6thrust23THRUST_200600_302600_NS4plusIiEEEEZZNS1_33reduce_by_key_impl_wrapped_configILNS1_25lookback_scan_determinismE0ES3_S9_NS6_6detail15normal_iteratorINS6_10device_ptrIiEEEESG_SG_SG_PmS8_NS6_8equal_toIiEEEE10hipError_tPvRmT2_T3_mT4_T5_T6_T7_T8_P12ihipStream_tbENKUlT_T0_E_clISt17integral_constantIbLb1EES11_EEDaSW_SX_EUlSW_E_NS1_11comp_targetILNS1_3genE4ELNS1_11target_archE910ELNS1_3gpuE8ELNS1_3repE0EEENS1_30default_config_static_selectorELNS0_4arch9wavefront6targetE0EEEvT1_, .Lfunc_end557-_ZN7rocprim17ROCPRIM_400000_NS6detail17trampoline_kernelINS0_14default_configENS1_29reduce_by_key_config_selectorIiiN6thrust23THRUST_200600_302600_NS4plusIiEEEEZZNS1_33reduce_by_key_impl_wrapped_configILNS1_25lookback_scan_determinismE0ES3_S9_NS6_6detail15normal_iteratorINS6_10device_ptrIiEEEESG_SG_SG_PmS8_NS6_8equal_toIiEEEE10hipError_tPvRmT2_T3_mT4_T5_T6_T7_T8_P12ihipStream_tbENKUlT_T0_E_clISt17integral_constantIbLb1EES11_EEDaSW_SX_EUlSW_E_NS1_11comp_targetILNS1_3genE4ELNS1_11target_archE910ELNS1_3gpuE8ELNS1_3repE0EEENS1_30default_config_static_selectorELNS0_4arch9wavefront6targetE0EEEvT1_
                                        ; -- End function
	.section	.AMDGPU.csdata,"",@progbits
; Kernel info:
; codeLenInByte = 0
; NumSgprs: 0
; NumVgprs: 0
; ScratchSize: 0
; MemoryBound: 0
; FloatMode: 240
; IeeeMode: 1
; LDSByteSize: 0 bytes/workgroup (compile time only)
; SGPRBlocks: 0
; VGPRBlocks: 0
; NumSGPRsForWavesPerEU: 1
; NumVGPRsForWavesPerEU: 1
; Occupancy: 16
; WaveLimiterHint : 0
; COMPUTE_PGM_RSRC2:SCRATCH_EN: 0
; COMPUTE_PGM_RSRC2:USER_SGPR: 15
; COMPUTE_PGM_RSRC2:TRAP_HANDLER: 0
; COMPUTE_PGM_RSRC2:TGID_X_EN: 1
; COMPUTE_PGM_RSRC2:TGID_Y_EN: 0
; COMPUTE_PGM_RSRC2:TGID_Z_EN: 0
; COMPUTE_PGM_RSRC2:TIDIG_COMP_CNT: 0
	.section	.text._ZN7rocprim17ROCPRIM_400000_NS6detail17trampoline_kernelINS0_14default_configENS1_29reduce_by_key_config_selectorIiiN6thrust23THRUST_200600_302600_NS4plusIiEEEEZZNS1_33reduce_by_key_impl_wrapped_configILNS1_25lookback_scan_determinismE0ES3_S9_NS6_6detail15normal_iteratorINS6_10device_ptrIiEEEESG_SG_SG_PmS8_NS6_8equal_toIiEEEE10hipError_tPvRmT2_T3_mT4_T5_T6_T7_T8_P12ihipStream_tbENKUlT_T0_E_clISt17integral_constantIbLb1EES11_EEDaSW_SX_EUlSW_E_NS1_11comp_targetILNS1_3genE3ELNS1_11target_archE908ELNS1_3gpuE7ELNS1_3repE0EEENS1_30default_config_static_selectorELNS0_4arch9wavefront6targetE0EEEvT1_,"axG",@progbits,_ZN7rocprim17ROCPRIM_400000_NS6detail17trampoline_kernelINS0_14default_configENS1_29reduce_by_key_config_selectorIiiN6thrust23THRUST_200600_302600_NS4plusIiEEEEZZNS1_33reduce_by_key_impl_wrapped_configILNS1_25lookback_scan_determinismE0ES3_S9_NS6_6detail15normal_iteratorINS6_10device_ptrIiEEEESG_SG_SG_PmS8_NS6_8equal_toIiEEEE10hipError_tPvRmT2_T3_mT4_T5_T6_T7_T8_P12ihipStream_tbENKUlT_T0_E_clISt17integral_constantIbLb1EES11_EEDaSW_SX_EUlSW_E_NS1_11comp_targetILNS1_3genE3ELNS1_11target_archE908ELNS1_3gpuE7ELNS1_3repE0EEENS1_30default_config_static_selectorELNS0_4arch9wavefront6targetE0EEEvT1_,comdat
	.protected	_ZN7rocprim17ROCPRIM_400000_NS6detail17trampoline_kernelINS0_14default_configENS1_29reduce_by_key_config_selectorIiiN6thrust23THRUST_200600_302600_NS4plusIiEEEEZZNS1_33reduce_by_key_impl_wrapped_configILNS1_25lookback_scan_determinismE0ES3_S9_NS6_6detail15normal_iteratorINS6_10device_ptrIiEEEESG_SG_SG_PmS8_NS6_8equal_toIiEEEE10hipError_tPvRmT2_T3_mT4_T5_T6_T7_T8_P12ihipStream_tbENKUlT_T0_E_clISt17integral_constantIbLb1EES11_EEDaSW_SX_EUlSW_E_NS1_11comp_targetILNS1_3genE3ELNS1_11target_archE908ELNS1_3gpuE7ELNS1_3repE0EEENS1_30default_config_static_selectorELNS0_4arch9wavefront6targetE0EEEvT1_ ; -- Begin function _ZN7rocprim17ROCPRIM_400000_NS6detail17trampoline_kernelINS0_14default_configENS1_29reduce_by_key_config_selectorIiiN6thrust23THRUST_200600_302600_NS4plusIiEEEEZZNS1_33reduce_by_key_impl_wrapped_configILNS1_25lookback_scan_determinismE0ES3_S9_NS6_6detail15normal_iteratorINS6_10device_ptrIiEEEESG_SG_SG_PmS8_NS6_8equal_toIiEEEE10hipError_tPvRmT2_T3_mT4_T5_T6_T7_T8_P12ihipStream_tbENKUlT_T0_E_clISt17integral_constantIbLb1EES11_EEDaSW_SX_EUlSW_E_NS1_11comp_targetILNS1_3genE3ELNS1_11target_archE908ELNS1_3gpuE7ELNS1_3repE0EEENS1_30default_config_static_selectorELNS0_4arch9wavefront6targetE0EEEvT1_
	.globl	_ZN7rocprim17ROCPRIM_400000_NS6detail17trampoline_kernelINS0_14default_configENS1_29reduce_by_key_config_selectorIiiN6thrust23THRUST_200600_302600_NS4plusIiEEEEZZNS1_33reduce_by_key_impl_wrapped_configILNS1_25lookback_scan_determinismE0ES3_S9_NS6_6detail15normal_iteratorINS6_10device_ptrIiEEEESG_SG_SG_PmS8_NS6_8equal_toIiEEEE10hipError_tPvRmT2_T3_mT4_T5_T6_T7_T8_P12ihipStream_tbENKUlT_T0_E_clISt17integral_constantIbLb1EES11_EEDaSW_SX_EUlSW_E_NS1_11comp_targetILNS1_3genE3ELNS1_11target_archE908ELNS1_3gpuE7ELNS1_3repE0EEENS1_30default_config_static_selectorELNS0_4arch9wavefront6targetE0EEEvT1_
	.p2align	8
	.type	_ZN7rocprim17ROCPRIM_400000_NS6detail17trampoline_kernelINS0_14default_configENS1_29reduce_by_key_config_selectorIiiN6thrust23THRUST_200600_302600_NS4plusIiEEEEZZNS1_33reduce_by_key_impl_wrapped_configILNS1_25lookback_scan_determinismE0ES3_S9_NS6_6detail15normal_iteratorINS6_10device_ptrIiEEEESG_SG_SG_PmS8_NS6_8equal_toIiEEEE10hipError_tPvRmT2_T3_mT4_T5_T6_T7_T8_P12ihipStream_tbENKUlT_T0_E_clISt17integral_constantIbLb1EES11_EEDaSW_SX_EUlSW_E_NS1_11comp_targetILNS1_3genE3ELNS1_11target_archE908ELNS1_3gpuE7ELNS1_3repE0EEENS1_30default_config_static_selectorELNS0_4arch9wavefront6targetE0EEEvT1_,@function
_ZN7rocprim17ROCPRIM_400000_NS6detail17trampoline_kernelINS0_14default_configENS1_29reduce_by_key_config_selectorIiiN6thrust23THRUST_200600_302600_NS4plusIiEEEEZZNS1_33reduce_by_key_impl_wrapped_configILNS1_25lookback_scan_determinismE0ES3_S9_NS6_6detail15normal_iteratorINS6_10device_ptrIiEEEESG_SG_SG_PmS8_NS6_8equal_toIiEEEE10hipError_tPvRmT2_T3_mT4_T5_T6_T7_T8_P12ihipStream_tbENKUlT_T0_E_clISt17integral_constantIbLb1EES11_EEDaSW_SX_EUlSW_E_NS1_11comp_targetILNS1_3genE3ELNS1_11target_archE908ELNS1_3gpuE7ELNS1_3repE0EEENS1_30default_config_static_selectorELNS0_4arch9wavefront6targetE0EEEvT1_: ; @_ZN7rocprim17ROCPRIM_400000_NS6detail17trampoline_kernelINS0_14default_configENS1_29reduce_by_key_config_selectorIiiN6thrust23THRUST_200600_302600_NS4plusIiEEEEZZNS1_33reduce_by_key_impl_wrapped_configILNS1_25lookback_scan_determinismE0ES3_S9_NS6_6detail15normal_iteratorINS6_10device_ptrIiEEEESG_SG_SG_PmS8_NS6_8equal_toIiEEEE10hipError_tPvRmT2_T3_mT4_T5_T6_T7_T8_P12ihipStream_tbENKUlT_T0_E_clISt17integral_constantIbLb1EES11_EEDaSW_SX_EUlSW_E_NS1_11comp_targetILNS1_3genE3ELNS1_11target_archE908ELNS1_3gpuE7ELNS1_3repE0EEENS1_30default_config_static_selectorELNS0_4arch9wavefront6targetE0EEEvT1_
; %bb.0:
	.section	.rodata,"a",@progbits
	.p2align	6, 0x0
	.amdhsa_kernel _ZN7rocprim17ROCPRIM_400000_NS6detail17trampoline_kernelINS0_14default_configENS1_29reduce_by_key_config_selectorIiiN6thrust23THRUST_200600_302600_NS4plusIiEEEEZZNS1_33reduce_by_key_impl_wrapped_configILNS1_25lookback_scan_determinismE0ES3_S9_NS6_6detail15normal_iteratorINS6_10device_ptrIiEEEESG_SG_SG_PmS8_NS6_8equal_toIiEEEE10hipError_tPvRmT2_T3_mT4_T5_T6_T7_T8_P12ihipStream_tbENKUlT_T0_E_clISt17integral_constantIbLb1EES11_EEDaSW_SX_EUlSW_E_NS1_11comp_targetILNS1_3genE3ELNS1_11target_archE908ELNS1_3gpuE7ELNS1_3repE0EEENS1_30default_config_static_selectorELNS0_4arch9wavefront6targetE0EEEvT1_
		.amdhsa_group_segment_fixed_size 0
		.amdhsa_private_segment_fixed_size 0
		.amdhsa_kernarg_size 120
		.amdhsa_user_sgpr_count 15
		.amdhsa_user_sgpr_dispatch_ptr 0
		.amdhsa_user_sgpr_queue_ptr 0
		.amdhsa_user_sgpr_kernarg_segment_ptr 1
		.amdhsa_user_sgpr_dispatch_id 0
		.amdhsa_user_sgpr_private_segment_size 0
		.amdhsa_wavefront_size32 1
		.amdhsa_uses_dynamic_stack 0
		.amdhsa_enable_private_segment 0
		.amdhsa_system_sgpr_workgroup_id_x 1
		.amdhsa_system_sgpr_workgroup_id_y 0
		.amdhsa_system_sgpr_workgroup_id_z 0
		.amdhsa_system_sgpr_workgroup_info 0
		.amdhsa_system_vgpr_workitem_id 0
		.amdhsa_next_free_vgpr 1
		.amdhsa_next_free_sgpr 1
		.amdhsa_reserve_vcc 0
		.amdhsa_float_round_mode_32 0
		.amdhsa_float_round_mode_16_64 0
		.amdhsa_float_denorm_mode_32 3
		.amdhsa_float_denorm_mode_16_64 3
		.amdhsa_dx10_clamp 1
		.amdhsa_ieee_mode 1
		.amdhsa_fp16_overflow 0
		.amdhsa_workgroup_processor_mode 1
		.amdhsa_memory_ordered 1
		.amdhsa_forward_progress 0
		.amdhsa_shared_vgpr_count 0
		.amdhsa_exception_fp_ieee_invalid_op 0
		.amdhsa_exception_fp_denorm_src 0
		.amdhsa_exception_fp_ieee_div_zero 0
		.amdhsa_exception_fp_ieee_overflow 0
		.amdhsa_exception_fp_ieee_underflow 0
		.amdhsa_exception_fp_ieee_inexact 0
		.amdhsa_exception_int_div_zero 0
	.end_amdhsa_kernel
	.section	.text._ZN7rocprim17ROCPRIM_400000_NS6detail17trampoline_kernelINS0_14default_configENS1_29reduce_by_key_config_selectorIiiN6thrust23THRUST_200600_302600_NS4plusIiEEEEZZNS1_33reduce_by_key_impl_wrapped_configILNS1_25lookback_scan_determinismE0ES3_S9_NS6_6detail15normal_iteratorINS6_10device_ptrIiEEEESG_SG_SG_PmS8_NS6_8equal_toIiEEEE10hipError_tPvRmT2_T3_mT4_T5_T6_T7_T8_P12ihipStream_tbENKUlT_T0_E_clISt17integral_constantIbLb1EES11_EEDaSW_SX_EUlSW_E_NS1_11comp_targetILNS1_3genE3ELNS1_11target_archE908ELNS1_3gpuE7ELNS1_3repE0EEENS1_30default_config_static_selectorELNS0_4arch9wavefront6targetE0EEEvT1_,"axG",@progbits,_ZN7rocprim17ROCPRIM_400000_NS6detail17trampoline_kernelINS0_14default_configENS1_29reduce_by_key_config_selectorIiiN6thrust23THRUST_200600_302600_NS4plusIiEEEEZZNS1_33reduce_by_key_impl_wrapped_configILNS1_25lookback_scan_determinismE0ES3_S9_NS6_6detail15normal_iteratorINS6_10device_ptrIiEEEESG_SG_SG_PmS8_NS6_8equal_toIiEEEE10hipError_tPvRmT2_T3_mT4_T5_T6_T7_T8_P12ihipStream_tbENKUlT_T0_E_clISt17integral_constantIbLb1EES11_EEDaSW_SX_EUlSW_E_NS1_11comp_targetILNS1_3genE3ELNS1_11target_archE908ELNS1_3gpuE7ELNS1_3repE0EEENS1_30default_config_static_selectorELNS0_4arch9wavefront6targetE0EEEvT1_,comdat
.Lfunc_end558:
	.size	_ZN7rocprim17ROCPRIM_400000_NS6detail17trampoline_kernelINS0_14default_configENS1_29reduce_by_key_config_selectorIiiN6thrust23THRUST_200600_302600_NS4plusIiEEEEZZNS1_33reduce_by_key_impl_wrapped_configILNS1_25lookback_scan_determinismE0ES3_S9_NS6_6detail15normal_iteratorINS6_10device_ptrIiEEEESG_SG_SG_PmS8_NS6_8equal_toIiEEEE10hipError_tPvRmT2_T3_mT4_T5_T6_T7_T8_P12ihipStream_tbENKUlT_T0_E_clISt17integral_constantIbLb1EES11_EEDaSW_SX_EUlSW_E_NS1_11comp_targetILNS1_3genE3ELNS1_11target_archE908ELNS1_3gpuE7ELNS1_3repE0EEENS1_30default_config_static_selectorELNS0_4arch9wavefront6targetE0EEEvT1_, .Lfunc_end558-_ZN7rocprim17ROCPRIM_400000_NS6detail17trampoline_kernelINS0_14default_configENS1_29reduce_by_key_config_selectorIiiN6thrust23THRUST_200600_302600_NS4plusIiEEEEZZNS1_33reduce_by_key_impl_wrapped_configILNS1_25lookback_scan_determinismE0ES3_S9_NS6_6detail15normal_iteratorINS6_10device_ptrIiEEEESG_SG_SG_PmS8_NS6_8equal_toIiEEEE10hipError_tPvRmT2_T3_mT4_T5_T6_T7_T8_P12ihipStream_tbENKUlT_T0_E_clISt17integral_constantIbLb1EES11_EEDaSW_SX_EUlSW_E_NS1_11comp_targetILNS1_3genE3ELNS1_11target_archE908ELNS1_3gpuE7ELNS1_3repE0EEENS1_30default_config_static_selectorELNS0_4arch9wavefront6targetE0EEEvT1_
                                        ; -- End function
	.section	.AMDGPU.csdata,"",@progbits
; Kernel info:
; codeLenInByte = 0
; NumSgprs: 0
; NumVgprs: 0
; ScratchSize: 0
; MemoryBound: 0
; FloatMode: 240
; IeeeMode: 1
; LDSByteSize: 0 bytes/workgroup (compile time only)
; SGPRBlocks: 0
; VGPRBlocks: 0
; NumSGPRsForWavesPerEU: 1
; NumVGPRsForWavesPerEU: 1
; Occupancy: 16
; WaveLimiterHint : 0
; COMPUTE_PGM_RSRC2:SCRATCH_EN: 0
; COMPUTE_PGM_RSRC2:USER_SGPR: 15
; COMPUTE_PGM_RSRC2:TRAP_HANDLER: 0
; COMPUTE_PGM_RSRC2:TGID_X_EN: 1
; COMPUTE_PGM_RSRC2:TGID_Y_EN: 0
; COMPUTE_PGM_RSRC2:TGID_Z_EN: 0
; COMPUTE_PGM_RSRC2:TIDIG_COMP_CNT: 0
	.section	.text._ZN7rocprim17ROCPRIM_400000_NS6detail17trampoline_kernelINS0_14default_configENS1_29reduce_by_key_config_selectorIiiN6thrust23THRUST_200600_302600_NS4plusIiEEEEZZNS1_33reduce_by_key_impl_wrapped_configILNS1_25lookback_scan_determinismE0ES3_S9_NS6_6detail15normal_iteratorINS6_10device_ptrIiEEEESG_SG_SG_PmS8_NS6_8equal_toIiEEEE10hipError_tPvRmT2_T3_mT4_T5_T6_T7_T8_P12ihipStream_tbENKUlT_T0_E_clISt17integral_constantIbLb1EES11_EEDaSW_SX_EUlSW_E_NS1_11comp_targetILNS1_3genE2ELNS1_11target_archE906ELNS1_3gpuE6ELNS1_3repE0EEENS1_30default_config_static_selectorELNS0_4arch9wavefront6targetE0EEEvT1_,"axG",@progbits,_ZN7rocprim17ROCPRIM_400000_NS6detail17trampoline_kernelINS0_14default_configENS1_29reduce_by_key_config_selectorIiiN6thrust23THRUST_200600_302600_NS4plusIiEEEEZZNS1_33reduce_by_key_impl_wrapped_configILNS1_25lookback_scan_determinismE0ES3_S9_NS6_6detail15normal_iteratorINS6_10device_ptrIiEEEESG_SG_SG_PmS8_NS6_8equal_toIiEEEE10hipError_tPvRmT2_T3_mT4_T5_T6_T7_T8_P12ihipStream_tbENKUlT_T0_E_clISt17integral_constantIbLb1EES11_EEDaSW_SX_EUlSW_E_NS1_11comp_targetILNS1_3genE2ELNS1_11target_archE906ELNS1_3gpuE6ELNS1_3repE0EEENS1_30default_config_static_selectorELNS0_4arch9wavefront6targetE0EEEvT1_,comdat
	.protected	_ZN7rocprim17ROCPRIM_400000_NS6detail17trampoline_kernelINS0_14default_configENS1_29reduce_by_key_config_selectorIiiN6thrust23THRUST_200600_302600_NS4plusIiEEEEZZNS1_33reduce_by_key_impl_wrapped_configILNS1_25lookback_scan_determinismE0ES3_S9_NS6_6detail15normal_iteratorINS6_10device_ptrIiEEEESG_SG_SG_PmS8_NS6_8equal_toIiEEEE10hipError_tPvRmT2_T3_mT4_T5_T6_T7_T8_P12ihipStream_tbENKUlT_T0_E_clISt17integral_constantIbLb1EES11_EEDaSW_SX_EUlSW_E_NS1_11comp_targetILNS1_3genE2ELNS1_11target_archE906ELNS1_3gpuE6ELNS1_3repE0EEENS1_30default_config_static_selectorELNS0_4arch9wavefront6targetE0EEEvT1_ ; -- Begin function _ZN7rocprim17ROCPRIM_400000_NS6detail17trampoline_kernelINS0_14default_configENS1_29reduce_by_key_config_selectorIiiN6thrust23THRUST_200600_302600_NS4plusIiEEEEZZNS1_33reduce_by_key_impl_wrapped_configILNS1_25lookback_scan_determinismE0ES3_S9_NS6_6detail15normal_iteratorINS6_10device_ptrIiEEEESG_SG_SG_PmS8_NS6_8equal_toIiEEEE10hipError_tPvRmT2_T3_mT4_T5_T6_T7_T8_P12ihipStream_tbENKUlT_T0_E_clISt17integral_constantIbLb1EES11_EEDaSW_SX_EUlSW_E_NS1_11comp_targetILNS1_3genE2ELNS1_11target_archE906ELNS1_3gpuE6ELNS1_3repE0EEENS1_30default_config_static_selectorELNS0_4arch9wavefront6targetE0EEEvT1_
	.globl	_ZN7rocprim17ROCPRIM_400000_NS6detail17trampoline_kernelINS0_14default_configENS1_29reduce_by_key_config_selectorIiiN6thrust23THRUST_200600_302600_NS4plusIiEEEEZZNS1_33reduce_by_key_impl_wrapped_configILNS1_25lookback_scan_determinismE0ES3_S9_NS6_6detail15normal_iteratorINS6_10device_ptrIiEEEESG_SG_SG_PmS8_NS6_8equal_toIiEEEE10hipError_tPvRmT2_T3_mT4_T5_T6_T7_T8_P12ihipStream_tbENKUlT_T0_E_clISt17integral_constantIbLb1EES11_EEDaSW_SX_EUlSW_E_NS1_11comp_targetILNS1_3genE2ELNS1_11target_archE906ELNS1_3gpuE6ELNS1_3repE0EEENS1_30default_config_static_selectorELNS0_4arch9wavefront6targetE0EEEvT1_
	.p2align	8
	.type	_ZN7rocprim17ROCPRIM_400000_NS6detail17trampoline_kernelINS0_14default_configENS1_29reduce_by_key_config_selectorIiiN6thrust23THRUST_200600_302600_NS4plusIiEEEEZZNS1_33reduce_by_key_impl_wrapped_configILNS1_25lookback_scan_determinismE0ES3_S9_NS6_6detail15normal_iteratorINS6_10device_ptrIiEEEESG_SG_SG_PmS8_NS6_8equal_toIiEEEE10hipError_tPvRmT2_T3_mT4_T5_T6_T7_T8_P12ihipStream_tbENKUlT_T0_E_clISt17integral_constantIbLb1EES11_EEDaSW_SX_EUlSW_E_NS1_11comp_targetILNS1_3genE2ELNS1_11target_archE906ELNS1_3gpuE6ELNS1_3repE0EEENS1_30default_config_static_selectorELNS0_4arch9wavefront6targetE0EEEvT1_,@function
_ZN7rocprim17ROCPRIM_400000_NS6detail17trampoline_kernelINS0_14default_configENS1_29reduce_by_key_config_selectorIiiN6thrust23THRUST_200600_302600_NS4plusIiEEEEZZNS1_33reduce_by_key_impl_wrapped_configILNS1_25lookback_scan_determinismE0ES3_S9_NS6_6detail15normal_iteratorINS6_10device_ptrIiEEEESG_SG_SG_PmS8_NS6_8equal_toIiEEEE10hipError_tPvRmT2_T3_mT4_T5_T6_T7_T8_P12ihipStream_tbENKUlT_T0_E_clISt17integral_constantIbLb1EES11_EEDaSW_SX_EUlSW_E_NS1_11comp_targetILNS1_3genE2ELNS1_11target_archE906ELNS1_3gpuE6ELNS1_3repE0EEENS1_30default_config_static_selectorELNS0_4arch9wavefront6targetE0EEEvT1_: ; @_ZN7rocprim17ROCPRIM_400000_NS6detail17trampoline_kernelINS0_14default_configENS1_29reduce_by_key_config_selectorIiiN6thrust23THRUST_200600_302600_NS4plusIiEEEEZZNS1_33reduce_by_key_impl_wrapped_configILNS1_25lookback_scan_determinismE0ES3_S9_NS6_6detail15normal_iteratorINS6_10device_ptrIiEEEESG_SG_SG_PmS8_NS6_8equal_toIiEEEE10hipError_tPvRmT2_T3_mT4_T5_T6_T7_T8_P12ihipStream_tbENKUlT_T0_E_clISt17integral_constantIbLb1EES11_EEDaSW_SX_EUlSW_E_NS1_11comp_targetILNS1_3genE2ELNS1_11target_archE906ELNS1_3gpuE6ELNS1_3repE0EEENS1_30default_config_static_selectorELNS0_4arch9wavefront6targetE0EEEvT1_
; %bb.0:
	.section	.rodata,"a",@progbits
	.p2align	6, 0x0
	.amdhsa_kernel _ZN7rocprim17ROCPRIM_400000_NS6detail17trampoline_kernelINS0_14default_configENS1_29reduce_by_key_config_selectorIiiN6thrust23THRUST_200600_302600_NS4plusIiEEEEZZNS1_33reduce_by_key_impl_wrapped_configILNS1_25lookback_scan_determinismE0ES3_S9_NS6_6detail15normal_iteratorINS6_10device_ptrIiEEEESG_SG_SG_PmS8_NS6_8equal_toIiEEEE10hipError_tPvRmT2_T3_mT4_T5_T6_T7_T8_P12ihipStream_tbENKUlT_T0_E_clISt17integral_constantIbLb1EES11_EEDaSW_SX_EUlSW_E_NS1_11comp_targetILNS1_3genE2ELNS1_11target_archE906ELNS1_3gpuE6ELNS1_3repE0EEENS1_30default_config_static_selectorELNS0_4arch9wavefront6targetE0EEEvT1_
		.amdhsa_group_segment_fixed_size 0
		.amdhsa_private_segment_fixed_size 0
		.amdhsa_kernarg_size 120
		.amdhsa_user_sgpr_count 15
		.amdhsa_user_sgpr_dispatch_ptr 0
		.amdhsa_user_sgpr_queue_ptr 0
		.amdhsa_user_sgpr_kernarg_segment_ptr 1
		.amdhsa_user_sgpr_dispatch_id 0
		.amdhsa_user_sgpr_private_segment_size 0
		.amdhsa_wavefront_size32 1
		.amdhsa_uses_dynamic_stack 0
		.amdhsa_enable_private_segment 0
		.amdhsa_system_sgpr_workgroup_id_x 1
		.amdhsa_system_sgpr_workgroup_id_y 0
		.amdhsa_system_sgpr_workgroup_id_z 0
		.amdhsa_system_sgpr_workgroup_info 0
		.amdhsa_system_vgpr_workitem_id 0
		.amdhsa_next_free_vgpr 1
		.amdhsa_next_free_sgpr 1
		.amdhsa_reserve_vcc 0
		.amdhsa_float_round_mode_32 0
		.amdhsa_float_round_mode_16_64 0
		.amdhsa_float_denorm_mode_32 3
		.amdhsa_float_denorm_mode_16_64 3
		.amdhsa_dx10_clamp 1
		.amdhsa_ieee_mode 1
		.amdhsa_fp16_overflow 0
		.amdhsa_workgroup_processor_mode 1
		.amdhsa_memory_ordered 1
		.amdhsa_forward_progress 0
		.amdhsa_shared_vgpr_count 0
		.amdhsa_exception_fp_ieee_invalid_op 0
		.amdhsa_exception_fp_denorm_src 0
		.amdhsa_exception_fp_ieee_div_zero 0
		.amdhsa_exception_fp_ieee_overflow 0
		.amdhsa_exception_fp_ieee_underflow 0
		.amdhsa_exception_fp_ieee_inexact 0
		.amdhsa_exception_int_div_zero 0
	.end_amdhsa_kernel
	.section	.text._ZN7rocprim17ROCPRIM_400000_NS6detail17trampoline_kernelINS0_14default_configENS1_29reduce_by_key_config_selectorIiiN6thrust23THRUST_200600_302600_NS4plusIiEEEEZZNS1_33reduce_by_key_impl_wrapped_configILNS1_25lookback_scan_determinismE0ES3_S9_NS6_6detail15normal_iteratorINS6_10device_ptrIiEEEESG_SG_SG_PmS8_NS6_8equal_toIiEEEE10hipError_tPvRmT2_T3_mT4_T5_T6_T7_T8_P12ihipStream_tbENKUlT_T0_E_clISt17integral_constantIbLb1EES11_EEDaSW_SX_EUlSW_E_NS1_11comp_targetILNS1_3genE2ELNS1_11target_archE906ELNS1_3gpuE6ELNS1_3repE0EEENS1_30default_config_static_selectorELNS0_4arch9wavefront6targetE0EEEvT1_,"axG",@progbits,_ZN7rocprim17ROCPRIM_400000_NS6detail17trampoline_kernelINS0_14default_configENS1_29reduce_by_key_config_selectorIiiN6thrust23THRUST_200600_302600_NS4plusIiEEEEZZNS1_33reduce_by_key_impl_wrapped_configILNS1_25lookback_scan_determinismE0ES3_S9_NS6_6detail15normal_iteratorINS6_10device_ptrIiEEEESG_SG_SG_PmS8_NS6_8equal_toIiEEEE10hipError_tPvRmT2_T3_mT4_T5_T6_T7_T8_P12ihipStream_tbENKUlT_T0_E_clISt17integral_constantIbLb1EES11_EEDaSW_SX_EUlSW_E_NS1_11comp_targetILNS1_3genE2ELNS1_11target_archE906ELNS1_3gpuE6ELNS1_3repE0EEENS1_30default_config_static_selectorELNS0_4arch9wavefront6targetE0EEEvT1_,comdat
.Lfunc_end559:
	.size	_ZN7rocprim17ROCPRIM_400000_NS6detail17trampoline_kernelINS0_14default_configENS1_29reduce_by_key_config_selectorIiiN6thrust23THRUST_200600_302600_NS4plusIiEEEEZZNS1_33reduce_by_key_impl_wrapped_configILNS1_25lookback_scan_determinismE0ES3_S9_NS6_6detail15normal_iteratorINS6_10device_ptrIiEEEESG_SG_SG_PmS8_NS6_8equal_toIiEEEE10hipError_tPvRmT2_T3_mT4_T5_T6_T7_T8_P12ihipStream_tbENKUlT_T0_E_clISt17integral_constantIbLb1EES11_EEDaSW_SX_EUlSW_E_NS1_11comp_targetILNS1_3genE2ELNS1_11target_archE906ELNS1_3gpuE6ELNS1_3repE0EEENS1_30default_config_static_selectorELNS0_4arch9wavefront6targetE0EEEvT1_, .Lfunc_end559-_ZN7rocprim17ROCPRIM_400000_NS6detail17trampoline_kernelINS0_14default_configENS1_29reduce_by_key_config_selectorIiiN6thrust23THRUST_200600_302600_NS4plusIiEEEEZZNS1_33reduce_by_key_impl_wrapped_configILNS1_25lookback_scan_determinismE0ES3_S9_NS6_6detail15normal_iteratorINS6_10device_ptrIiEEEESG_SG_SG_PmS8_NS6_8equal_toIiEEEE10hipError_tPvRmT2_T3_mT4_T5_T6_T7_T8_P12ihipStream_tbENKUlT_T0_E_clISt17integral_constantIbLb1EES11_EEDaSW_SX_EUlSW_E_NS1_11comp_targetILNS1_3genE2ELNS1_11target_archE906ELNS1_3gpuE6ELNS1_3repE0EEENS1_30default_config_static_selectorELNS0_4arch9wavefront6targetE0EEEvT1_
                                        ; -- End function
	.section	.AMDGPU.csdata,"",@progbits
; Kernel info:
; codeLenInByte = 0
; NumSgprs: 0
; NumVgprs: 0
; ScratchSize: 0
; MemoryBound: 0
; FloatMode: 240
; IeeeMode: 1
; LDSByteSize: 0 bytes/workgroup (compile time only)
; SGPRBlocks: 0
; VGPRBlocks: 0
; NumSGPRsForWavesPerEU: 1
; NumVGPRsForWavesPerEU: 1
; Occupancy: 16
; WaveLimiterHint : 0
; COMPUTE_PGM_RSRC2:SCRATCH_EN: 0
; COMPUTE_PGM_RSRC2:USER_SGPR: 15
; COMPUTE_PGM_RSRC2:TRAP_HANDLER: 0
; COMPUTE_PGM_RSRC2:TGID_X_EN: 1
; COMPUTE_PGM_RSRC2:TGID_Y_EN: 0
; COMPUTE_PGM_RSRC2:TGID_Z_EN: 0
; COMPUTE_PGM_RSRC2:TIDIG_COMP_CNT: 0
	.section	.text._ZN7rocprim17ROCPRIM_400000_NS6detail17trampoline_kernelINS0_14default_configENS1_29reduce_by_key_config_selectorIiiN6thrust23THRUST_200600_302600_NS4plusIiEEEEZZNS1_33reduce_by_key_impl_wrapped_configILNS1_25lookback_scan_determinismE0ES3_S9_NS6_6detail15normal_iteratorINS6_10device_ptrIiEEEESG_SG_SG_PmS8_NS6_8equal_toIiEEEE10hipError_tPvRmT2_T3_mT4_T5_T6_T7_T8_P12ihipStream_tbENKUlT_T0_E_clISt17integral_constantIbLb1EES11_EEDaSW_SX_EUlSW_E_NS1_11comp_targetILNS1_3genE10ELNS1_11target_archE1201ELNS1_3gpuE5ELNS1_3repE0EEENS1_30default_config_static_selectorELNS0_4arch9wavefront6targetE0EEEvT1_,"axG",@progbits,_ZN7rocprim17ROCPRIM_400000_NS6detail17trampoline_kernelINS0_14default_configENS1_29reduce_by_key_config_selectorIiiN6thrust23THRUST_200600_302600_NS4plusIiEEEEZZNS1_33reduce_by_key_impl_wrapped_configILNS1_25lookback_scan_determinismE0ES3_S9_NS6_6detail15normal_iteratorINS6_10device_ptrIiEEEESG_SG_SG_PmS8_NS6_8equal_toIiEEEE10hipError_tPvRmT2_T3_mT4_T5_T6_T7_T8_P12ihipStream_tbENKUlT_T0_E_clISt17integral_constantIbLb1EES11_EEDaSW_SX_EUlSW_E_NS1_11comp_targetILNS1_3genE10ELNS1_11target_archE1201ELNS1_3gpuE5ELNS1_3repE0EEENS1_30default_config_static_selectorELNS0_4arch9wavefront6targetE0EEEvT1_,comdat
	.protected	_ZN7rocprim17ROCPRIM_400000_NS6detail17trampoline_kernelINS0_14default_configENS1_29reduce_by_key_config_selectorIiiN6thrust23THRUST_200600_302600_NS4plusIiEEEEZZNS1_33reduce_by_key_impl_wrapped_configILNS1_25lookback_scan_determinismE0ES3_S9_NS6_6detail15normal_iteratorINS6_10device_ptrIiEEEESG_SG_SG_PmS8_NS6_8equal_toIiEEEE10hipError_tPvRmT2_T3_mT4_T5_T6_T7_T8_P12ihipStream_tbENKUlT_T0_E_clISt17integral_constantIbLb1EES11_EEDaSW_SX_EUlSW_E_NS1_11comp_targetILNS1_3genE10ELNS1_11target_archE1201ELNS1_3gpuE5ELNS1_3repE0EEENS1_30default_config_static_selectorELNS0_4arch9wavefront6targetE0EEEvT1_ ; -- Begin function _ZN7rocprim17ROCPRIM_400000_NS6detail17trampoline_kernelINS0_14default_configENS1_29reduce_by_key_config_selectorIiiN6thrust23THRUST_200600_302600_NS4plusIiEEEEZZNS1_33reduce_by_key_impl_wrapped_configILNS1_25lookback_scan_determinismE0ES3_S9_NS6_6detail15normal_iteratorINS6_10device_ptrIiEEEESG_SG_SG_PmS8_NS6_8equal_toIiEEEE10hipError_tPvRmT2_T3_mT4_T5_T6_T7_T8_P12ihipStream_tbENKUlT_T0_E_clISt17integral_constantIbLb1EES11_EEDaSW_SX_EUlSW_E_NS1_11comp_targetILNS1_3genE10ELNS1_11target_archE1201ELNS1_3gpuE5ELNS1_3repE0EEENS1_30default_config_static_selectorELNS0_4arch9wavefront6targetE0EEEvT1_
	.globl	_ZN7rocprim17ROCPRIM_400000_NS6detail17trampoline_kernelINS0_14default_configENS1_29reduce_by_key_config_selectorIiiN6thrust23THRUST_200600_302600_NS4plusIiEEEEZZNS1_33reduce_by_key_impl_wrapped_configILNS1_25lookback_scan_determinismE0ES3_S9_NS6_6detail15normal_iteratorINS6_10device_ptrIiEEEESG_SG_SG_PmS8_NS6_8equal_toIiEEEE10hipError_tPvRmT2_T3_mT4_T5_T6_T7_T8_P12ihipStream_tbENKUlT_T0_E_clISt17integral_constantIbLb1EES11_EEDaSW_SX_EUlSW_E_NS1_11comp_targetILNS1_3genE10ELNS1_11target_archE1201ELNS1_3gpuE5ELNS1_3repE0EEENS1_30default_config_static_selectorELNS0_4arch9wavefront6targetE0EEEvT1_
	.p2align	8
	.type	_ZN7rocprim17ROCPRIM_400000_NS6detail17trampoline_kernelINS0_14default_configENS1_29reduce_by_key_config_selectorIiiN6thrust23THRUST_200600_302600_NS4plusIiEEEEZZNS1_33reduce_by_key_impl_wrapped_configILNS1_25lookback_scan_determinismE0ES3_S9_NS6_6detail15normal_iteratorINS6_10device_ptrIiEEEESG_SG_SG_PmS8_NS6_8equal_toIiEEEE10hipError_tPvRmT2_T3_mT4_T5_T6_T7_T8_P12ihipStream_tbENKUlT_T0_E_clISt17integral_constantIbLb1EES11_EEDaSW_SX_EUlSW_E_NS1_11comp_targetILNS1_3genE10ELNS1_11target_archE1201ELNS1_3gpuE5ELNS1_3repE0EEENS1_30default_config_static_selectorELNS0_4arch9wavefront6targetE0EEEvT1_,@function
_ZN7rocprim17ROCPRIM_400000_NS6detail17trampoline_kernelINS0_14default_configENS1_29reduce_by_key_config_selectorIiiN6thrust23THRUST_200600_302600_NS4plusIiEEEEZZNS1_33reduce_by_key_impl_wrapped_configILNS1_25lookback_scan_determinismE0ES3_S9_NS6_6detail15normal_iteratorINS6_10device_ptrIiEEEESG_SG_SG_PmS8_NS6_8equal_toIiEEEE10hipError_tPvRmT2_T3_mT4_T5_T6_T7_T8_P12ihipStream_tbENKUlT_T0_E_clISt17integral_constantIbLb1EES11_EEDaSW_SX_EUlSW_E_NS1_11comp_targetILNS1_3genE10ELNS1_11target_archE1201ELNS1_3gpuE5ELNS1_3repE0EEENS1_30default_config_static_selectorELNS0_4arch9wavefront6targetE0EEEvT1_: ; @_ZN7rocprim17ROCPRIM_400000_NS6detail17trampoline_kernelINS0_14default_configENS1_29reduce_by_key_config_selectorIiiN6thrust23THRUST_200600_302600_NS4plusIiEEEEZZNS1_33reduce_by_key_impl_wrapped_configILNS1_25lookback_scan_determinismE0ES3_S9_NS6_6detail15normal_iteratorINS6_10device_ptrIiEEEESG_SG_SG_PmS8_NS6_8equal_toIiEEEE10hipError_tPvRmT2_T3_mT4_T5_T6_T7_T8_P12ihipStream_tbENKUlT_T0_E_clISt17integral_constantIbLb1EES11_EEDaSW_SX_EUlSW_E_NS1_11comp_targetILNS1_3genE10ELNS1_11target_archE1201ELNS1_3gpuE5ELNS1_3repE0EEENS1_30default_config_static_selectorELNS0_4arch9wavefront6targetE0EEEvT1_
; %bb.0:
	.section	.rodata,"a",@progbits
	.p2align	6, 0x0
	.amdhsa_kernel _ZN7rocprim17ROCPRIM_400000_NS6detail17trampoline_kernelINS0_14default_configENS1_29reduce_by_key_config_selectorIiiN6thrust23THRUST_200600_302600_NS4plusIiEEEEZZNS1_33reduce_by_key_impl_wrapped_configILNS1_25lookback_scan_determinismE0ES3_S9_NS6_6detail15normal_iteratorINS6_10device_ptrIiEEEESG_SG_SG_PmS8_NS6_8equal_toIiEEEE10hipError_tPvRmT2_T3_mT4_T5_T6_T7_T8_P12ihipStream_tbENKUlT_T0_E_clISt17integral_constantIbLb1EES11_EEDaSW_SX_EUlSW_E_NS1_11comp_targetILNS1_3genE10ELNS1_11target_archE1201ELNS1_3gpuE5ELNS1_3repE0EEENS1_30default_config_static_selectorELNS0_4arch9wavefront6targetE0EEEvT1_
		.amdhsa_group_segment_fixed_size 0
		.amdhsa_private_segment_fixed_size 0
		.amdhsa_kernarg_size 120
		.amdhsa_user_sgpr_count 15
		.amdhsa_user_sgpr_dispatch_ptr 0
		.amdhsa_user_sgpr_queue_ptr 0
		.amdhsa_user_sgpr_kernarg_segment_ptr 1
		.amdhsa_user_sgpr_dispatch_id 0
		.amdhsa_user_sgpr_private_segment_size 0
		.amdhsa_wavefront_size32 1
		.amdhsa_uses_dynamic_stack 0
		.amdhsa_enable_private_segment 0
		.amdhsa_system_sgpr_workgroup_id_x 1
		.amdhsa_system_sgpr_workgroup_id_y 0
		.amdhsa_system_sgpr_workgroup_id_z 0
		.amdhsa_system_sgpr_workgroup_info 0
		.amdhsa_system_vgpr_workitem_id 0
		.amdhsa_next_free_vgpr 1
		.amdhsa_next_free_sgpr 1
		.amdhsa_reserve_vcc 0
		.amdhsa_float_round_mode_32 0
		.amdhsa_float_round_mode_16_64 0
		.amdhsa_float_denorm_mode_32 3
		.amdhsa_float_denorm_mode_16_64 3
		.amdhsa_dx10_clamp 1
		.amdhsa_ieee_mode 1
		.amdhsa_fp16_overflow 0
		.amdhsa_workgroup_processor_mode 1
		.amdhsa_memory_ordered 1
		.amdhsa_forward_progress 0
		.amdhsa_shared_vgpr_count 0
		.amdhsa_exception_fp_ieee_invalid_op 0
		.amdhsa_exception_fp_denorm_src 0
		.amdhsa_exception_fp_ieee_div_zero 0
		.amdhsa_exception_fp_ieee_overflow 0
		.amdhsa_exception_fp_ieee_underflow 0
		.amdhsa_exception_fp_ieee_inexact 0
		.amdhsa_exception_int_div_zero 0
	.end_amdhsa_kernel
	.section	.text._ZN7rocprim17ROCPRIM_400000_NS6detail17trampoline_kernelINS0_14default_configENS1_29reduce_by_key_config_selectorIiiN6thrust23THRUST_200600_302600_NS4plusIiEEEEZZNS1_33reduce_by_key_impl_wrapped_configILNS1_25lookback_scan_determinismE0ES3_S9_NS6_6detail15normal_iteratorINS6_10device_ptrIiEEEESG_SG_SG_PmS8_NS6_8equal_toIiEEEE10hipError_tPvRmT2_T3_mT4_T5_T6_T7_T8_P12ihipStream_tbENKUlT_T0_E_clISt17integral_constantIbLb1EES11_EEDaSW_SX_EUlSW_E_NS1_11comp_targetILNS1_3genE10ELNS1_11target_archE1201ELNS1_3gpuE5ELNS1_3repE0EEENS1_30default_config_static_selectorELNS0_4arch9wavefront6targetE0EEEvT1_,"axG",@progbits,_ZN7rocprim17ROCPRIM_400000_NS6detail17trampoline_kernelINS0_14default_configENS1_29reduce_by_key_config_selectorIiiN6thrust23THRUST_200600_302600_NS4plusIiEEEEZZNS1_33reduce_by_key_impl_wrapped_configILNS1_25lookback_scan_determinismE0ES3_S9_NS6_6detail15normal_iteratorINS6_10device_ptrIiEEEESG_SG_SG_PmS8_NS6_8equal_toIiEEEE10hipError_tPvRmT2_T3_mT4_T5_T6_T7_T8_P12ihipStream_tbENKUlT_T0_E_clISt17integral_constantIbLb1EES11_EEDaSW_SX_EUlSW_E_NS1_11comp_targetILNS1_3genE10ELNS1_11target_archE1201ELNS1_3gpuE5ELNS1_3repE0EEENS1_30default_config_static_selectorELNS0_4arch9wavefront6targetE0EEEvT1_,comdat
.Lfunc_end560:
	.size	_ZN7rocprim17ROCPRIM_400000_NS6detail17trampoline_kernelINS0_14default_configENS1_29reduce_by_key_config_selectorIiiN6thrust23THRUST_200600_302600_NS4plusIiEEEEZZNS1_33reduce_by_key_impl_wrapped_configILNS1_25lookback_scan_determinismE0ES3_S9_NS6_6detail15normal_iteratorINS6_10device_ptrIiEEEESG_SG_SG_PmS8_NS6_8equal_toIiEEEE10hipError_tPvRmT2_T3_mT4_T5_T6_T7_T8_P12ihipStream_tbENKUlT_T0_E_clISt17integral_constantIbLb1EES11_EEDaSW_SX_EUlSW_E_NS1_11comp_targetILNS1_3genE10ELNS1_11target_archE1201ELNS1_3gpuE5ELNS1_3repE0EEENS1_30default_config_static_selectorELNS0_4arch9wavefront6targetE0EEEvT1_, .Lfunc_end560-_ZN7rocprim17ROCPRIM_400000_NS6detail17trampoline_kernelINS0_14default_configENS1_29reduce_by_key_config_selectorIiiN6thrust23THRUST_200600_302600_NS4plusIiEEEEZZNS1_33reduce_by_key_impl_wrapped_configILNS1_25lookback_scan_determinismE0ES3_S9_NS6_6detail15normal_iteratorINS6_10device_ptrIiEEEESG_SG_SG_PmS8_NS6_8equal_toIiEEEE10hipError_tPvRmT2_T3_mT4_T5_T6_T7_T8_P12ihipStream_tbENKUlT_T0_E_clISt17integral_constantIbLb1EES11_EEDaSW_SX_EUlSW_E_NS1_11comp_targetILNS1_3genE10ELNS1_11target_archE1201ELNS1_3gpuE5ELNS1_3repE0EEENS1_30default_config_static_selectorELNS0_4arch9wavefront6targetE0EEEvT1_
                                        ; -- End function
	.section	.AMDGPU.csdata,"",@progbits
; Kernel info:
; codeLenInByte = 0
; NumSgprs: 0
; NumVgprs: 0
; ScratchSize: 0
; MemoryBound: 0
; FloatMode: 240
; IeeeMode: 1
; LDSByteSize: 0 bytes/workgroup (compile time only)
; SGPRBlocks: 0
; VGPRBlocks: 0
; NumSGPRsForWavesPerEU: 1
; NumVGPRsForWavesPerEU: 1
; Occupancy: 16
; WaveLimiterHint : 0
; COMPUTE_PGM_RSRC2:SCRATCH_EN: 0
; COMPUTE_PGM_RSRC2:USER_SGPR: 15
; COMPUTE_PGM_RSRC2:TRAP_HANDLER: 0
; COMPUTE_PGM_RSRC2:TGID_X_EN: 1
; COMPUTE_PGM_RSRC2:TGID_Y_EN: 0
; COMPUTE_PGM_RSRC2:TGID_Z_EN: 0
; COMPUTE_PGM_RSRC2:TIDIG_COMP_CNT: 0
	.section	.text._ZN7rocprim17ROCPRIM_400000_NS6detail17trampoline_kernelINS0_14default_configENS1_29reduce_by_key_config_selectorIiiN6thrust23THRUST_200600_302600_NS4plusIiEEEEZZNS1_33reduce_by_key_impl_wrapped_configILNS1_25lookback_scan_determinismE0ES3_S9_NS6_6detail15normal_iteratorINS6_10device_ptrIiEEEESG_SG_SG_PmS8_NS6_8equal_toIiEEEE10hipError_tPvRmT2_T3_mT4_T5_T6_T7_T8_P12ihipStream_tbENKUlT_T0_E_clISt17integral_constantIbLb1EES11_EEDaSW_SX_EUlSW_E_NS1_11comp_targetILNS1_3genE10ELNS1_11target_archE1200ELNS1_3gpuE4ELNS1_3repE0EEENS1_30default_config_static_selectorELNS0_4arch9wavefront6targetE0EEEvT1_,"axG",@progbits,_ZN7rocprim17ROCPRIM_400000_NS6detail17trampoline_kernelINS0_14default_configENS1_29reduce_by_key_config_selectorIiiN6thrust23THRUST_200600_302600_NS4plusIiEEEEZZNS1_33reduce_by_key_impl_wrapped_configILNS1_25lookback_scan_determinismE0ES3_S9_NS6_6detail15normal_iteratorINS6_10device_ptrIiEEEESG_SG_SG_PmS8_NS6_8equal_toIiEEEE10hipError_tPvRmT2_T3_mT4_T5_T6_T7_T8_P12ihipStream_tbENKUlT_T0_E_clISt17integral_constantIbLb1EES11_EEDaSW_SX_EUlSW_E_NS1_11comp_targetILNS1_3genE10ELNS1_11target_archE1200ELNS1_3gpuE4ELNS1_3repE0EEENS1_30default_config_static_selectorELNS0_4arch9wavefront6targetE0EEEvT1_,comdat
	.protected	_ZN7rocprim17ROCPRIM_400000_NS6detail17trampoline_kernelINS0_14default_configENS1_29reduce_by_key_config_selectorIiiN6thrust23THRUST_200600_302600_NS4plusIiEEEEZZNS1_33reduce_by_key_impl_wrapped_configILNS1_25lookback_scan_determinismE0ES3_S9_NS6_6detail15normal_iteratorINS6_10device_ptrIiEEEESG_SG_SG_PmS8_NS6_8equal_toIiEEEE10hipError_tPvRmT2_T3_mT4_T5_T6_T7_T8_P12ihipStream_tbENKUlT_T0_E_clISt17integral_constantIbLb1EES11_EEDaSW_SX_EUlSW_E_NS1_11comp_targetILNS1_3genE10ELNS1_11target_archE1200ELNS1_3gpuE4ELNS1_3repE0EEENS1_30default_config_static_selectorELNS0_4arch9wavefront6targetE0EEEvT1_ ; -- Begin function _ZN7rocprim17ROCPRIM_400000_NS6detail17trampoline_kernelINS0_14default_configENS1_29reduce_by_key_config_selectorIiiN6thrust23THRUST_200600_302600_NS4plusIiEEEEZZNS1_33reduce_by_key_impl_wrapped_configILNS1_25lookback_scan_determinismE0ES3_S9_NS6_6detail15normal_iteratorINS6_10device_ptrIiEEEESG_SG_SG_PmS8_NS6_8equal_toIiEEEE10hipError_tPvRmT2_T3_mT4_T5_T6_T7_T8_P12ihipStream_tbENKUlT_T0_E_clISt17integral_constantIbLb1EES11_EEDaSW_SX_EUlSW_E_NS1_11comp_targetILNS1_3genE10ELNS1_11target_archE1200ELNS1_3gpuE4ELNS1_3repE0EEENS1_30default_config_static_selectorELNS0_4arch9wavefront6targetE0EEEvT1_
	.globl	_ZN7rocprim17ROCPRIM_400000_NS6detail17trampoline_kernelINS0_14default_configENS1_29reduce_by_key_config_selectorIiiN6thrust23THRUST_200600_302600_NS4plusIiEEEEZZNS1_33reduce_by_key_impl_wrapped_configILNS1_25lookback_scan_determinismE0ES3_S9_NS6_6detail15normal_iteratorINS6_10device_ptrIiEEEESG_SG_SG_PmS8_NS6_8equal_toIiEEEE10hipError_tPvRmT2_T3_mT4_T5_T6_T7_T8_P12ihipStream_tbENKUlT_T0_E_clISt17integral_constantIbLb1EES11_EEDaSW_SX_EUlSW_E_NS1_11comp_targetILNS1_3genE10ELNS1_11target_archE1200ELNS1_3gpuE4ELNS1_3repE0EEENS1_30default_config_static_selectorELNS0_4arch9wavefront6targetE0EEEvT1_
	.p2align	8
	.type	_ZN7rocprim17ROCPRIM_400000_NS6detail17trampoline_kernelINS0_14default_configENS1_29reduce_by_key_config_selectorIiiN6thrust23THRUST_200600_302600_NS4plusIiEEEEZZNS1_33reduce_by_key_impl_wrapped_configILNS1_25lookback_scan_determinismE0ES3_S9_NS6_6detail15normal_iteratorINS6_10device_ptrIiEEEESG_SG_SG_PmS8_NS6_8equal_toIiEEEE10hipError_tPvRmT2_T3_mT4_T5_T6_T7_T8_P12ihipStream_tbENKUlT_T0_E_clISt17integral_constantIbLb1EES11_EEDaSW_SX_EUlSW_E_NS1_11comp_targetILNS1_3genE10ELNS1_11target_archE1200ELNS1_3gpuE4ELNS1_3repE0EEENS1_30default_config_static_selectorELNS0_4arch9wavefront6targetE0EEEvT1_,@function
_ZN7rocprim17ROCPRIM_400000_NS6detail17trampoline_kernelINS0_14default_configENS1_29reduce_by_key_config_selectorIiiN6thrust23THRUST_200600_302600_NS4plusIiEEEEZZNS1_33reduce_by_key_impl_wrapped_configILNS1_25lookback_scan_determinismE0ES3_S9_NS6_6detail15normal_iteratorINS6_10device_ptrIiEEEESG_SG_SG_PmS8_NS6_8equal_toIiEEEE10hipError_tPvRmT2_T3_mT4_T5_T6_T7_T8_P12ihipStream_tbENKUlT_T0_E_clISt17integral_constantIbLb1EES11_EEDaSW_SX_EUlSW_E_NS1_11comp_targetILNS1_3genE10ELNS1_11target_archE1200ELNS1_3gpuE4ELNS1_3repE0EEENS1_30default_config_static_selectorELNS0_4arch9wavefront6targetE0EEEvT1_: ; @_ZN7rocprim17ROCPRIM_400000_NS6detail17trampoline_kernelINS0_14default_configENS1_29reduce_by_key_config_selectorIiiN6thrust23THRUST_200600_302600_NS4plusIiEEEEZZNS1_33reduce_by_key_impl_wrapped_configILNS1_25lookback_scan_determinismE0ES3_S9_NS6_6detail15normal_iteratorINS6_10device_ptrIiEEEESG_SG_SG_PmS8_NS6_8equal_toIiEEEE10hipError_tPvRmT2_T3_mT4_T5_T6_T7_T8_P12ihipStream_tbENKUlT_T0_E_clISt17integral_constantIbLb1EES11_EEDaSW_SX_EUlSW_E_NS1_11comp_targetILNS1_3genE10ELNS1_11target_archE1200ELNS1_3gpuE4ELNS1_3repE0EEENS1_30default_config_static_selectorELNS0_4arch9wavefront6targetE0EEEvT1_
; %bb.0:
	.section	.rodata,"a",@progbits
	.p2align	6, 0x0
	.amdhsa_kernel _ZN7rocprim17ROCPRIM_400000_NS6detail17trampoline_kernelINS0_14default_configENS1_29reduce_by_key_config_selectorIiiN6thrust23THRUST_200600_302600_NS4plusIiEEEEZZNS1_33reduce_by_key_impl_wrapped_configILNS1_25lookback_scan_determinismE0ES3_S9_NS6_6detail15normal_iteratorINS6_10device_ptrIiEEEESG_SG_SG_PmS8_NS6_8equal_toIiEEEE10hipError_tPvRmT2_T3_mT4_T5_T6_T7_T8_P12ihipStream_tbENKUlT_T0_E_clISt17integral_constantIbLb1EES11_EEDaSW_SX_EUlSW_E_NS1_11comp_targetILNS1_3genE10ELNS1_11target_archE1200ELNS1_3gpuE4ELNS1_3repE0EEENS1_30default_config_static_selectorELNS0_4arch9wavefront6targetE0EEEvT1_
		.amdhsa_group_segment_fixed_size 0
		.amdhsa_private_segment_fixed_size 0
		.amdhsa_kernarg_size 120
		.amdhsa_user_sgpr_count 15
		.amdhsa_user_sgpr_dispatch_ptr 0
		.amdhsa_user_sgpr_queue_ptr 0
		.amdhsa_user_sgpr_kernarg_segment_ptr 1
		.amdhsa_user_sgpr_dispatch_id 0
		.amdhsa_user_sgpr_private_segment_size 0
		.amdhsa_wavefront_size32 1
		.amdhsa_uses_dynamic_stack 0
		.amdhsa_enable_private_segment 0
		.amdhsa_system_sgpr_workgroup_id_x 1
		.amdhsa_system_sgpr_workgroup_id_y 0
		.amdhsa_system_sgpr_workgroup_id_z 0
		.amdhsa_system_sgpr_workgroup_info 0
		.amdhsa_system_vgpr_workitem_id 0
		.amdhsa_next_free_vgpr 1
		.amdhsa_next_free_sgpr 1
		.amdhsa_reserve_vcc 0
		.amdhsa_float_round_mode_32 0
		.amdhsa_float_round_mode_16_64 0
		.amdhsa_float_denorm_mode_32 3
		.amdhsa_float_denorm_mode_16_64 3
		.amdhsa_dx10_clamp 1
		.amdhsa_ieee_mode 1
		.amdhsa_fp16_overflow 0
		.amdhsa_workgroup_processor_mode 1
		.amdhsa_memory_ordered 1
		.amdhsa_forward_progress 0
		.amdhsa_shared_vgpr_count 0
		.amdhsa_exception_fp_ieee_invalid_op 0
		.amdhsa_exception_fp_denorm_src 0
		.amdhsa_exception_fp_ieee_div_zero 0
		.amdhsa_exception_fp_ieee_overflow 0
		.amdhsa_exception_fp_ieee_underflow 0
		.amdhsa_exception_fp_ieee_inexact 0
		.amdhsa_exception_int_div_zero 0
	.end_amdhsa_kernel
	.section	.text._ZN7rocprim17ROCPRIM_400000_NS6detail17trampoline_kernelINS0_14default_configENS1_29reduce_by_key_config_selectorIiiN6thrust23THRUST_200600_302600_NS4plusIiEEEEZZNS1_33reduce_by_key_impl_wrapped_configILNS1_25lookback_scan_determinismE0ES3_S9_NS6_6detail15normal_iteratorINS6_10device_ptrIiEEEESG_SG_SG_PmS8_NS6_8equal_toIiEEEE10hipError_tPvRmT2_T3_mT4_T5_T6_T7_T8_P12ihipStream_tbENKUlT_T0_E_clISt17integral_constantIbLb1EES11_EEDaSW_SX_EUlSW_E_NS1_11comp_targetILNS1_3genE10ELNS1_11target_archE1200ELNS1_3gpuE4ELNS1_3repE0EEENS1_30default_config_static_selectorELNS0_4arch9wavefront6targetE0EEEvT1_,"axG",@progbits,_ZN7rocprim17ROCPRIM_400000_NS6detail17trampoline_kernelINS0_14default_configENS1_29reduce_by_key_config_selectorIiiN6thrust23THRUST_200600_302600_NS4plusIiEEEEZZNS1_33reduce_by_key_impl_wrapped_configILNS1_25lookback_scan_determinismE0ES3_S9_NS6_6detail15normal_iteratorINS6_10device_ptrIiEEEESG_SG_SG_PmS8_NS6_8equal_toIiEEEE10hipError_tPvRmT2_T3_mT4_T5_T6_T7_T8_P12ihipStream_tbENKUlT_T0_E_clISt17integral_constantIbLb1EES11_EEDaSW_SX_EUlSW_E_NS1_11comp_targetILNS1_3genE10ELNS1_11target_archE1200ELNS1_3gpuE4ELNS1_3repE0EEENS1_30default_config_static_selectorELNS0_4arch9wavefront6targetE0EEEvT1_,comdat
.Lfunc_end561:
	.size	_ZN7rocprim17ROCPRIM_400000_NS6detail17trampoline_kernelINS0_14default_configENS1_29reduce_by_key_config_selectorIiiN6thrust23THRUST_200600_302600_NS4plusIiEEEEZZNS1_33reduce_by_key_impl_wrapped_configILNS1_25lookback_scan_determinismE0ES3_S9_NS6_6detail15normal_iteratorINS6_10device_ptrIiEEEESG_SG_SG_PmS8_NS6_8equal_toIiEEEE10hipError_tPvRmT2_T3_mT4_T5_T6_T7_T8_P12ihipStream_tbENKUlT_T0_E_clISt17integral_constantIbLb1EES11_EEDaSW_SX_EUlSW_E_NS1_11comp_targetILNS1_3genE10ELNS1_11target_archE1200ELNS1_3gpuE4ELNS1_3repE0EEENS1_30default_config_static_selectorELNS0_4arch9wavefront6targetE0EEEvT1_, .Lfunc_end561-_ZN7rocprim17ROCPRIM_400000_NS6detail17trampoline_kernelINS0_14default_configENS1_29reduce_by_key_config_selectorIiiN6thrust23THRUST_200600_302600_NS4plusIiEEEEZZNS1_33reduce_by_key_impl_wrapped_configILNS1_25lookback_scan_determinismE0ES3_S9_NS6_6detail15normal_iteratorINS6_10device_ptrIiEEEESG_SG_SG_PmS8_NS6_8equal_toIiEEEE10hipError_tPvRmT2_T3_mT4_T5_T6_T7_T8_P12ihipStream_tbENKUlT_T0_E_clISt17integral_constantIbLb1EES11_EEDaSW_SX_EUlSW_E_NS1_11comp_targetILNS1_3genE10ELNS1_11target_archE1200ELNS1_3gpuE4ELNS1_3repE0EEENS1_30default_config_static_selectorELNS0_4arch9wavefront6targetE0EEEvT1_
                                        ; -- End function
	.section	.AMDGPU.csdata,"",@progbits
; Kernel info:
; codeLenInByte = 0
; NumSgprs: 0
; NumVgprs: 0
; ScratchSize: 0
; MemoryBound: 0
; FloatMode: 240
; IeeeMode: 1
; LDSByteSize: 0 bytes/workgroup (compile time only)
; SGPRBlocks: 0
; VGPRBlocks: 0
; NumSGPRsForWavesPerEU: 1
; NumVGPRsForWavesPerEU: 1
; Occupancy: 16
; WaveLimiterHint : 0
; COMPUTE_PGM_RSRC2:SCRATCH_EN: 0
; COMPUTE_PGM_RSRC2:USER_SGPR: 15
; COMPUTE_PGM_RSRC2:TRAP_HANDLER: 0
; COMPUTE_PGM_RSRC2:TGID_X_EN: 1
; COMPUTE_PGM_RSRC2:TGID_Y_EN: 0
; COMPUTE_PGM_RSRC2:TGID_Z_EN: 0
; COMPUTE_PGM_RSRC2:TIDIG_COMP_CNT: 0
	.section	.text._ZN7rocprim17ROCPRIM_400000_NS6detail17trampoline_kernelINS0_14default_configENS1_29reduce_by_key_config_selectorIiiN6thrust23THRUST_200600_302600_NS4plusIiEEEEZZNS1_33reduce_by_key_impl_wrapped_configILNS1_25lookback_scan_determinismE0ES3_S9_NS6_6detail15normal_iteratorINS6_10device_ptrIiEEEESG_SG_SG_PmS8_NS6_8equal_toIiEEEE10hipError_tPvRmT2_T3_mT4_T5_T6_T7_T8_P12ihipStream_tbENKUlT_T0_E_clISt17integral_constantIbLb1EES11_EEDaSW_SX_EUlSW_E_NS1_11comp_targetILNS1_3genE9ELNS1_11target_archE1100ELNS1_3gpuE3ELNS1_3repE0EEENS1_30default_config_static_selectorELNS0_4arch9wavefront6targetE0EEEvT1_,"axG",@progbits,_ZN7rocprim17ROCPRIM_400000_NS6detail17trampoline_kernelINS0_14default_configENS1_29reduce_by_key_config_selectorIiiN6thrust23THRUST_200600_302600_NS4plusIiEEEEZZNS1_33reduce_by_key_impl_wrapped_configILNS1_25lookback_scan_determinismE0ES3_S9_NS6_6detail15normal_iteratorINS6_10device_ptrIiEEEESG_SG_SG_PmS8_NS6_8equal_toIiEEEE10hipError_tPvRmT2_T3_mT4_T5_T6_T7_T8_P12ihipStream_tbENKUlT_T0_E_clISt17integral_constantIbLb1EES11_EEDaSW_SX_EUlSW_E_NS1_11comp_targetILNS1_3genE9ELNS1_11target_archE1100ELNS1_3gpuE3ELNS1_3repE0EEENS1_30default_config_static_selectorELNS0_4arch9wavefront6targetE0EEEvT1_,comdat
	.protected	_ZN7rocprim17ROCPRIM_400000_NS6detail17trampoline_kernelINS0_14default_configENS1_29reduce_by_key_config_selectorIiiN6thrust23THRUST_200600_302600_NS4plusIiEEEEZZNS1_33reduce_by_key_impl_wrapped_configILNS1_25lookback_scan_determinismE0ES3_S9_NS6_6detail15normal_iteratorINS6_10device_ptrIiEEEESG_SG_SG_PmS8_NS6_8equal_toIiEEEE10hipError_tPvRmT2_T3_mT4_T5_T6_T7_T8_P12ihipStream_tbENKUlT_T0_E_clISt17integral_constantIbLb1EES11_EEDaSW_SX_EUlSW_E_NS1_11comp_targetILNS1_3genE9ELNS1_11target_archE1100ELNS1_3gpuE3ELNS1_3repE0EEENS1_30default_config_static_selectorELNS0_4arch9wavefront6targetE0EEEvT1_ ; -- Begin function _ZN7rocprim17ROCPRIM_400000_NS6detail17trampoline_kernelINS0_14default_configENS1_29reduce_by_key_config_selectorIiiN6thrust23THRUST_200600_302600_NS4plusIiEEEEZZNS1_33reduce_by_key_impl_wrapped_configILNS1_25lookback_scan_determinismE0ES3_S9_NS6_6detail15normal_iteratorINS6_10device_ptrIiEEEESG_SG_SG_PmS8_NS6_8equal_toIiEEEE10hipError_tPvRmT2_T3_mT4_T5_T6_T7_T8_P12ihipStream_tbENKUlT_T0_E_clISt17integral_constantIbLb1EES11_EEDaSW_SX_EUlSW_E_NS1_11comp_targetILNS1_3genE9ELNS1_11target_archE1100ELNS1_3gpuE3ELNS1_3repE0EEENS1_30default_config_static_selectorELNS0_4arch9wavefront6targetE0EEEvT1_
	.globl	_ZN7rocprim17ROCPRIM_400000_NS6detail17trampoline_kernelINS0_14default_configENS1_29reduce_by_key_config_selectorIiiN6thrust23THRUST_200600_302600_NS4plusIiEEEEZZNS1_33reduce_by_key_impl_wrapped_configILNS1_25lookback_scan_determinismE0ES3_S9_NS6_6detail15normal_iteratorINS6_10device_ptrIiEEEESG_SG_SG_PmS8_NS6_8equal_toIiEEEE10hipError_tPvRmT2_T3_mT4_T5_T6_T7_T8_P12ihipStream_tbENKUlT_T0_E_clISt17integral_constantIbLb1EES11_EEDaSW_SX_EUlSW_E_NS1_11comp_targetILNS1_3genE9ELNS1_11target_archE1100ELNS1_3gpuE3ELNS1_3repE0EEENS1_30default_config_static_selectorELNS0_4arch9wavefront6targetE0EEEvT1_
	.p2align	8
	.type	_ZN7rocprim17ROCPRIM_400000_NS6detail17trampoline_kernelINS0_14default_configENS1_29reduce_by_key_config_selectorIiiN6thrust23THRUST_200600_302600_NS4plusIiEEEEZZNS1_33reduce_by_key_impl_wrapped_configILNS1_25lookback_scan_determinismE0ES3_S9_NS6_6detail15normal_iteratorINS6_10device_ptrIiEEEESG_SG_SG_PmS8_NS6_8equal_toIiEEEE10hipError_tPvRmT2_T3_mT4_T5_T6_T7_T8_P12ihipStream_tbENKUlT_T0_E_clISt17integral_constantIbLb1EES11_EEDaSW_SX_EUlSW_E_NS1_11comp_targetILNS1_3genE9ELNS1_11target_archE1100ELNS1_3gpuE3ELNS1_3repE0EEENS1_30default_config_static_selectorELNS0_4arch9wavefront6targetE0EEEvT1_,@function
_ZN7rocprim17ROCPRIM_400000_NS6detail17trampoline_kernelINS0_14default_configENS1_29reduce_by_key_config_selectorIiiN6thrust23THRUST_200600_302600_NS4plusIiEEEEZZNS1_33reduce_by_key_impl_wrapped_configILNS1_25lookback_scan_determinismE0ES3_S9_NS6_6detail15normal_iteratorINS6_10device_ptrIiEEEESG_SG_SG_PmS8_NS6_8equal_toIiEEEE10hipError_tPvRmT2_T3_mT4_T5_T6_T7_T8_P12ihipStream_tbENKUlT_T0_E_clISt17integral_constantIbLb1EES11_EEDaSW_SX_EUlSW_E_NS1_11comp_targetILNS1_3genE9ELNS1_11target_archE1100ELNS1_3gpuE3ELNS1_3repE0EEENS1_30default_config_static_selectorELNS0_4arch9wavefront6targetE0EEEvT1_: ; @_ZN7rocprim17ROCPRIM_400000_NS6detail17trampoline_kernelINS0_14default_configENS1_29reduce_by_key_config_selectorIiiN6thrust23THRUST_200600_302600_NS4plusIiEEEEZZNS1_33reduce_by_key_impl_wrapped_configILNS1_25lookback_scan_determinismE0ES3_S9_NS6_6detail15normal_iteratorINS6_10device_ptrIiEEEESG_SG_SG_PmS8_NS6_8equal_toIiEEEE10hipError_tPvRmT2_T3_mT4_T5_T6_T7_T8_P12ihipStream_tbENKUlT_T0_E_clISt17integral_constantIbLb1EES11_EEDaSW_SX_EUlSW_E_NS1_11comp_targetILNS1_3genE9ELNS1_11target_archE1100ELNS1_3gpuE3ELNS1_3repE0EEENS1_30default_config_static_selectorELNS0_4arch9wavefront6targetE0EEEvT1_
; %bb.0:
	s_clause 0x4
	s_load_b256 s[20:27], s[0:1], 0x0
	s_load_b128 s[28:31], s[0:1], 0x20
	s_load_b256 s[36:43], s[0:1], 0x38
	s_load_b64 s[34:35], s[0:1], 0x68
	s_load_b128 s[44:47], s[0:1], 0x58
	v_cmp_ne_u32_e64 s3, 0, v0
	v_cmp_eq_u32_e64 s2, 0, v0
	s_delay_alu instid0(VALU_DEP_1)
	s_and_saveexec_b32 s4, s2
	s_cbranch_execz .LBB562_4
; %bb.1:
	s_mov_b32 s6, exec_lo
	s_mov_b32 s5, exec_lo
	v_mbcnt_lo_u32_b32 v1, s6, 0
                                        ; implicit-def: $vgpr2
	s_delay_alu instid0(VALU_DEP_1)
	v_cmpx_eq_u32_e32 0, v1
	s_cbranch_execz .LBB562_3
; %bb.2:
	s_load_b64 s[0:1], s[0:1], 0x70
	s_bcnt1_i32_b32 s6, s6
	s_delay_alu instid0(SALU_CYCLE_1)
	v_dual_mov_b32 v2, 0 :: v_dual_mov_b32 v3, s6
	s_waitcnt lgkmcnt(0)
	global_atomic_add_u32 v2, v2, v3, s[0:1] glc
.LBB562_3:
	s_or_b32 exec_lo, exec_lo, s5
	s_waitcnt vmcnt(0)
	v_readfirstlane_b32 s0, v2
	s_delay_alu instid0(VALU_DEP_1)
	v_dual_mov_b32 v2, 0 :: v_dual_add_nc_u32 v1, s0, v1
	ds_store_b32 v2, v1
.LBB562_4:
	s_or_b32 exec_lo, exec_lo, s4
	v_mov_b32_e32 v2, 0
	s_waitcnt lgkmcnt(0)
	s_barrier
	buffer_gl0_inv
	s_lshl_b64 s[4:5], s[22:23], 2
	ds_load_b32 v1, v2
	s_add_u32 s9, s20, s4
	s_mul_i32 s1, s40, s39
	s_mul_hi_u32 s6, s40, s38
	s_addc_u32 s10, s21, s5
	s_add_u32 s11, s24, s4
	s_mul_i32 s7, s41, s38
	s_addc_u32 s12, s25, s5
	s_add_i32 s1, s6, s1
	s_mul_i32 s8, s40, s38
	s_add_i32 s1, s1, s7
	s_mov_b32 s0, 0
	s_waitcnt lgkmcnt(0)
	s_barrier
	buffer_gl0_inv
	v_readfirstlane_b32 s48, v1
	v_mul_lo_u32 v1, 0xf00, v1
	s_delay_alu instid0(VALU_DEP_2) | instskip(SKIP_3) | instid1(VALU_DEP_1)
	s_add_u32 s18, s8, s48
	s_addc_u32 s19, s1, 0
	s_add_u32 s4, s42, -1
	s_addc_u32 s5, s43, -1
	v_lshlrev_b64 v[3:4], 2, v[1:2]
	s_cmp_eq_u64 s[18:19], s[4:5]
	s_mul_i32 s40, s4, 0xfffff100
	s_cselect_b32 s33, -1, 0
	s_cmp_lg_u64 s[18:19], s[4:5]
	s_delay_alu instid0(VALU_DEP_1)
	v_add_co_u32 v2, vcc_lo, s9, v3
	v_add_co_ci_u32_e32 v1, vcc_lo, s10, v4, vcc_lo
	v_add_co_u32 v3, vcc_lo, s11, v3
	v_add_co_ci_u32_e32 v4, vcc_lo, s12, v4, vcc_lo
	s_cselect_b32 s17, -1, 0
	s_and_b32 vcc_lo, exec_lo, s33
	s_cbranch_vccnz .LBB562_6
; %bb.5:
	v_lshlrev_b32_e32 v29, 2, v0
	s_delay_alu instid0(VALU_DEP_1) | instskip(SKIP_1) | instid1(VALU_DEP_2)
	v_add_co_u32 v5, vcc_lo, v2, v29
	v_add_co_ci_u32_e32 v6, vcc_lo, 0, v1, vcc_lo
	v_add_co_u32 v7, vcc_lo, 0x1000, v5
	s_delay_alu instid0(VALU_DEP_2)
	v_add_co_ci_u32_e32 v8, vcc_lo, 0, v6, vcc_lo
	s_clause 0x7
	flat_load_b32 v9, v[5:6]
	flat_load_b32 v10, v[5:6] offset:1024
	flat_load_b32 v11, v[5:6] offset:2048
	;; [unrolled: 1-line block ×3, first 2 shown]
	flat_load_b32 v13, v[7:8]
	flat_load_b32 v14, v[7:8] offset:1024
	flat_load_b32 v15, v[7:8] offset:2048
	;; [unrolled: 1-line block ×3, first 2 shown]
	v_add_co_u32 v7, vcc_lo, 0x2000, v5
	v_add_co_ci_u32_e32 v8, vcc_lo, 0, v6, vcc_lo
	v_add_co_u32 v5, vcc_lo, 0x3000, v5
	v_add_co_ci_u32_e32 v6, vcc_lo, 0, v6, vcc_lo
	s_clause 0x6
	flat_load_b32 v17, v[7:8]
	flat_load_b32 v18, v[7:8] offset:1024
	flat_load_b32 v19, v[7:8] offset:2048
	;; [unrolled: 1-line block ×3, first 2 shown]
	flat_load_b32 v20, v[5:6]
	flat_load_b32 v21, v[5:6] offset:1024
	flat_load_b32 v22, v[5:6] offset:2048
	v_add_co_u32 v6, vcc_lo, v3, v29
	v_add_co_ci_u32_e32 v7, vcc_lo, 0, v4, vcc_lo
	v_mad_u32_u24 v5, v0, 56, v29
	s_delay_alu instid0(VALU_DEP_3) | instskip(NEXT) | instid1(VALU_DEP_3)
	v_add_co_u32 v23, vcc_lo, 0x1000, v6
	v_add_co_ci_u32_e32 v24, vcc_lo, 0, v7, vcc_lo
	v_add_co_u32 v25, vcc_lo, 0x2000, v6
	v_add_co_ci_u32_e32 v26, vcc_lo, 0, v7, vcc_lo
	;; [unrolled: 2-line block ×3, first 2 shown]
	s_waitcnt vmcnt(13) lgkmcnt(13)
	ds_store_2addr_stride64_b32 v29, v9, v10 offset1:4
	s_waitcnt vmcnt(11) lgkmcnt(12)
	ds_store_2addr_stride64_b32 v29, v11, v12 offset0:8 offset1:12
	s_waitcnt vmcnt(9) lgkmcnt(11)
	ds_store_2addr_stride64_b32 v29, v13, v14 offset0:16 offset1:20
	;; [unrolled: 2-line block ×6, first 2 shown]
	s_waitcnt vmcnt(0) lgkmcnt(7)
	ds_store_b32 v29, v22 offset:14336
	s_waitcnt lgkmcnt(0)
	s_barrier
	buffer_gl0_inv
	ds_load_2addr_b32 v[21:22], v5 offset1:1
	ds_load_2addr_b32 v[19:20], v5 offset0:2 offset1:3
	ds_load_2addr_b32 v[17:18], v5 offset0:4 offset1:5
	;; [unrolled: 1-line block ×6, first 2 shown]
	ds_load_b32 v63, v5 offset:56
	s_waitcnt lgkmcnt(0)
	s_barrier
	buffer_gl0_inv
	s_clause 0xe
	flat_load_b32 v8, v[6:7]
	flat_load_b32 v30, v[6:7] offset:1024
	flat_load_b32 v31, v[6:7] offset:2048
	flat_load_b32 v6, v[6:7] offset:3072
	flat_load_b32 v7, v[23:24]
	flat_load_b32 v32, v[23:24] offset:1024
	flat_load_b32 v33, v[23:24] offset:2048
	flat_load_b32 v23, v[23:24] offset:3072
	;; [unrolled: 4-line block ×3, first 2 shown]
	flat_load_b32 v26, v[27:28]
	flat_load_b32 v36, v[27:28] offset:1024
	flat_load_b32 v27, v[27:28] offset:2048
	s_waitcnt vmcnt(13) lgkmcnt(13)
	ds_store_2addr_stride64_b32 v29, v8, v30 offset1:4
	s_waitcnt vmcnt(11) lgkmcnt(12)
	ds_store_2addr_stride64_b32 v29, v31, v6 offset0:8 offset1:12
	s_waitcnt vmcnt(9) lgkmcnt(11)
	ds_store_2addr_stride64_b32 v29, v7, v32 offset0:16 offset1:20
	;; [unrolled: 2-line block ×6, first 2 shown]
	s_waitcnt vmcnt(0) lgkmcnt(7)
	ds_store_b32 v29, v27 offset:14336
	s_waitcnt lgkmcnt(0)
	s_barrier
	s_and_not1_b32 vcc_lo, exec_lo, s0
	s_add_i32 s40, s40, s44
	s_cbranch_vccz .LBB562_7
	s_branch .LBB562_54
.LBB562_6:
                                        ; implicit-def: $vgpr5
                                        ; implicit-def: $vgpr21
                                        ; implicit-def: $vgpr19
                                        ; implicit-def: $vgpr17
                                        ; implicit-def: $vgpr15
                                        ; implicit-def: $vgpr13
                                        ; implicit-def: $vgpr11
                                        ; implicit-def: $vgpr9
                                        ; implicit-def: $vgpr63
	s_add_i32 s40, s40, s44
.LBB562_7:
	s_delay_alu instid0(SALU_CYCLE_1)
	v_cmp_gt_u32_e32 vcc_lo, s40, v0
                                        ; implicit-def: $vgpr5
	s_and_saveexec_b32 s1, vcc_lo
	s_cbranch_execz .LBB562_9
; %bb.8:
	v_lshlrev_b32_e32 v5, 2, v0
	s_delay_alu instid0(VALU_DEP_1) | instskip(NEXT) | instid1(VALU_DEP_1)
	v_add_co_u32 v5, s0, v2, v5
	v_add_co_ci_u32_e64 v6, s0, 0, v1, s0
	flat_load_b32 v5, v[5:6]
.LBB562_9:
	s_or_b32 exec_lo, exec_lo, s1
	v_or_b32_e32 v6, 0x100, v0
                                        ; implicit-def: $vgpr9
	s_delay_alu instid0(VALU_DEP_1) | instskip(NEXT) | instid1(VALU_DEP_1)
	v_cmp_gt_u32_e64 s0, s40, v6
	s_and_saveexec_b32 s4, s0
	s_cbranch_execz .LBB562_11
; %bb.10:
	v_lshlrev_b32_e32 v6, 2, v0
	s_delay_alu instid0(VALU_DEP_1) | instskip(NEXT) | instid1(VALU_DEP_1)
	v_add_co_u32 v6, s1, v2, v6
	v_add_co_ci_u32_e64 v7, s1, 0, v1, s1
	flat_load_b32 v9, v[6:7] offset:1024
.LBB562_11:
	s_or_b32 exec_lo, exec_lo, s4
	v_or_b32_e32 v6, 0x200, v0
                                        ; implicit-def: $vgpr10
	s_delay_alu instid0(VALU_DEP_1) | instskip(NEXT) | instid1(VALU_DEP_1)
	v_cmp_gt_u32_e64 s1, s40, v6
	s_and_saveexec_b32 s5, s1
	s_cbranch_execz .LBB562_13
; %bb.12:
	v_lshlrev_b32_e32 v6, 2, v0
	s_delay_alu instid0(VALU_DEP_1) | instskip(NEXT) | instid1(VALU_DEP_1)
	v_add_co_u32 v6, s4, v2, v6
	v_add_co_ci_u32_e64 v7, s4, 0, v1, s4
	flat_load_b32 v10, v[6:7] offset:2048
.LBB562_13:
	s_or_b32 exec_lo, exec_lo, s5
	v_or_b32_e32 v6, 0x300, v0
                                        ; implicit-def: $vgpr11
	s_delay_alu instid0(VALU_DEP_1) | instskip(NEXT) | instid1(VALU_DEP_1)
	v_cmp_gt_u32_e64 s4, s40, v6
	s_and_saveexec_b32 s6, s4
	s_cbranch_execz .LBB562_15
; %bb.14:
	v_lshlrev_b32_e32 v6, 2, v0
	s_delay_alu instid0(VALU_DEP_1) | instskip(NEXT) | instid1(VALU_DEP_1)
	v_add_co_u32 v6, s5, v2, v6
	v_add_co_ci_u32_e64 v7, s5, 0, v1, s5
	flat_load_b32 v11, v[6:7] offset:3072
.LBB562_15:
	s_or_b32 exec_lo, exec_lo, s6
	v_or_b32_e32 v6, 0x400, v0
                                        ; implicit-def: $vgpr12
	s_delay_alu instid0(VALU_DEP_1) | instskip(NEXT) | instid1(VALU_DEP_1)
	v_cmp_gt_u32_e64 s5, s40, v6
	s_and_saveexec_b32 s7, s5
	s_cbranch_execz .LBB562_17
; %bb.16:
	v_lshlrev_b32_e32 v7, 2, v6
	s_delay_alu instid0(VALU_DEP_1) | instskip(NEXT) | instid1(VALU_DEP_1)
	v_add_co_u32 v7, s6, v2, v7
	v_add_co_ci_u32_e64 v8, s6, 0, v1, s6
	flat_load_b32 v12, v[7:8]
.LBB562_17:
	s_or_b32 exec_lo, exec_lo, s7
	v_or_b32_e32 v7, 0x500, v0
                                        ; implicit-def: $vgpr13
	s_delay_alu instid0(VALU_DEP_1) | instskip(NEXT) | instid1(VALU_DEP_1)
	v_cmp_gt_u32_e64 s6, s40, v7
	s_and_saveexec_b32 s8, s6
	s_cbranch_execz .LBB562_19
; %bb.18:
	v_lshlrev_b32_e32 v8, 2, v7
	s_delay_alu instid0(VALU_DEP_1) | instskip(NEXT) | instid1(VALU_DEP_1)
	v_add_co_u32 v13, s7, v2, v8
	v_add_co_ci_u32_e64 v14, s7, 0, v1, s7
	flat_load_b32 v13, v[13:14]
.LBB562_19:
	s_or_b32 exec_lo, exec_lo, s8
	v_or_b32_e32 v8, 0x600, v0
                                        ; implicit-def: $vgpr14
	s_delay_alu instid0(VALU_DEP_1) | instskip(NEXT) | instid1(VALU_DEP_1)
	v_cmp_gt_u32_e64 s7, s40, v8
	s_and_saveexec_b32 s9, s7
	s_cbranch_execz .LBB562_21
; %bb.20:
	v_lshlrev_b32_e32 v14, 2, v8
	s_delay_alu instid0(VALU_DEP_1) | instskip(NEXT) | instid1(VALU_DEP_1)
	v_add_co_u32 v14, s8, v2, v14
	v_add_co_ci_u32_e64 v15, s8, 0, v1, s8
	flat_load_b32 v14, v[14:15]
.LBB562_21:
	s_or_b32 exec_lo, exec_lo, s9
	v_or_b32_e32 v23, 0x700, v0
                                        ; implicit-def: $vgpr15
	s_delay_alu instid0(VALU_DEP_1) | instskip(NEXT) | instid1(VALU_DEP_1)
	v_cmp_gt_u32_e64 s8, s40, v23
	s_and_saveexec_b32 s10, s8
	s_cbranch_execz .LBB562_23
; %bb.22:
	v_lshlrev_b32_e32 v15, 2, v23
	s_delay_alu instid0(VALU_DEP_1) | instskip(NEXT) | instid1(VALU_DEP_1)
	v_add_co_u32 v15, s9, v2, v15
	v_add_co_ci_u32_e64 v16, s9, 0, v1, s9
	flat_load_b32 v15, v[15:16]
.LBB562_23:
	s_or_b32 exec_lo, exec_lo, s10
	v_or_b32_e32 v24, 0x800, v0
                                        ; implicit-def: $vgpr16
	s_delay_alu instid0(VALU_DEP_1) | instskip(NEXT) | instid1(VALU_DEP_1)
	v_cmp_gt_u32_e64 s9, s40, v24
	s_and_saveexec_b32 s11, s9
	s_cbranch_execz .LBB562_25
; %bb.24:
	v_lshlrev_b32_e32 v16, 2, v24
	s_delay_alu instid0(VALU_DEP_1) | instskip(NEXT) | instid1(VALU_DEP_1)
	v_add_co_u32 v16, s10, v2, v16
	v_add_co_ci_u32_e64 v17, s10, 0, v1, s10
	flat_load_b32 v16, v[16:17]
.LBB562_25:
	s_or_b32 exec_lo, exec_lo, s11
	v_or_b32_e32 v26, 0x900, v0
                                        ; implicit-def: $vgpr17
	s_delay_alu instid0(VALU_DEP_1) | instskip(NEXT) | instid1(VALU_DEP_1)
	v_cmp_gt_u32_e64 s10, s40, v26
	s_and_saveexec_b32 s12, s10
	s_cbranch_execz .LBB562_27
; %bb.26:
	v_lshlrev_b32_e32 v17, 2, v26
	s_delay_alu instid0(VALU_DEP_1) | instskip(NEXT) | instid1(VALU_DEP_1)
	v_add_co_u32 v17, s11, v2, v17
	v_add_co_ci_u32_e64 v18, s11, 0, v1, s11
	flat_load_b32 v17, v[17:18]
.LBB562_27:
	s_or_b32 exec_lo, exec_lo, s12
	v_or_b32_e32 v27, 0xa00, v0
                                        ; implicit-def: $vgpr18
	s_delay_alu instid0(VALU_DEP_1) | instskip(NEXT) | instid1(VALU_DEP_1)
	v_cmp_gt_u32_e64 s11, s40, v27
	s_and_saveexec_b32 s13, s11
	s_cbranch_execz .LBB562_29
; %bb.28:
	v_lshlrev_b32_e32 v18, 2, v27
	s_delay_alu instid0(VALU_DEP_1) | instskip(NEXT) | instid1(VALU_DEP_1)
	v_add_co_u32 v18, s12, v2, v18
	v_add_co_ci_u32_e64 v19, s12, 0, v1, s12
	flat_load_b32 v18, v[18:19]
.LBB562_29:
	s_or_b32 exec_lo, exec_lo, s13
	v_or_b32_e32 v28, 0xb00, v0
                                        ; implicit-def: $vgpr19
	s_delay_alu instid0(VALU_DEP_1) | instskip(NEXT) | instid1(VALU_DEP_1)
	v_cmp_gt_u32_e64 s12, s40, v28
	s_and_saveexec_b32 s14, s12
	s_cbranch_execz .LBB562_31
; %bb.30:
	v_lshlrev_b32_e32 v19, 2, v28
	s_delay_alu instid0(VALU_DEP_1) | instskip(NEXT) | instid1(VALU_DEP_1)
	v_add_co_u32 v19, s13, v2, v19
	v_add_co_ci_u32_e64 v20, s13, 0, v1, s13
	flat_load_b32 v19, v[19:20]
.LBB562_31:
	s_or_b32 exec_lo, exec_lo, s14
	v_or_b32_e32 v29, 0xc00, v0
                                        ; implicit-def: $vgpr20
	s_delay_alu instid0(VALU_DEP_1) | instskip(NEXT) | instid1(VALU_DEP_1)
	v_cmp_gt_u32_e64 s13, s40, v29
	s_and_saveexec_b32 s15, s13
	s_cbranch_execz .LBB562_33
; %bb.32:
	v_lshlrev_b32_e32 v20, 2, v29
	s_delay_alu instid0(VALU_DEP_1) | instskip(NEXT) | instid1(VALU_DEP_1)
	v_add_co_u32 v20, s14, v2, v20
	v_add_co_ci_u32_e64 v21, s14, 0, v1, s14
	flat_load_b32 v20, v[20:21]
.LBB562_33:
	s_or_b32 exec_lo, exec_lo, s15
	v_or_b32_e32 v30, 0xd00, v0
                                        ; implicit-def: $vgpr21
	s_delay_alu instid0(VALU_DEP_1) | instskip(NEXT) | instid1(VALU_DEP_1)
	v_cmp_gt_u32_e64 s14, s40, v30
	s_and_saveexec_b32 s16, s14
	s_cbranch_execz .LBB562_35
; %bb.34:
	v_lshlrev_b32_e32 v21, 2, v30
	s_delay_alu instid0(VALU_DEP_1) | instskip(NEXT) | instid1(VALU_DEP_1)
	v_add_co_u32 v21, s15, v2, v21
	v_add_co_ci_u32_e64 v22, s15, 0, v1, s15
	flat_load_b32 v21, v[21:22]
.LBB562_35:
	s_or_b32 exec_lo, exec_lo, s16
	v_or_b32_e32 v31, 0xe00, v0
                                        ; implicit-def: $vgpr22
	s_delay_alu instid0(VALU_DEP_1) | instskip(NEXT) | instid1(VALU_DEP_1)
	v_cmp_gt_u32_e64 s15, s40, v31
	s_and_saveexec_b32 s20, s15
	s_cbranch_execz .LBB562_37
; %bb.36:
	v_lshlrev_b32_e32 v22, 2, v31
	s_delay_alu instid0(VALU_DEP_1) | instskip(NEXT) | instid1(VALU_DEP_1)
	v_add_co_u32 v32, s16, v2, v22
	v_add_co_ci_u32_e64 v33, s16, 0, v1, s16
	flat_load_b32 v22, v[32:33]
.LBB562_37:
	s_or_b32 exec_lo, exec_lo, s20
	v_lshlrev_b32_e32 v25, 2, v0
                                        ; implicit-def: $vgpr32
	s_waitcnt vmcnt(0) lgkmcnt(0)
	ds_store_2addr_stride64_b32 v25, v5, v9 offset1:4
	ds_store_2addr_stride64_b32 v25, v10, v11 offset0:8 offset1:12
	ds_store_2addr_stride64_b32 v25, v12, v13 offset0:16 offset1:20
	;; [unrolled: 1-line block ×6, first 2 shown]
	v_mad_u32_u24 v5, v0, 56, v25
	ds_store_b32 v25, v22 offset:14336
	s_waitcnt lgkmcnt(0)
	s_barrier
	buffer_gl0_inv
	ds_load_2addr_b32 v[21:22], v5 offset1:1
	ds_load_2addr_b32 v[19:20], v5 offset0:2 offset1:3
	ds_load_2addr_b32 v[17:18], v5 offset0:4 offset1:5
	;; [unrolled: 1-line block ×6, first 2 shown]
	ds_load_b32 v63, v5 offset:56
	s_waitcnt lgkmcnt(0)
	s_barrier
	buffer_gl0_inv
	s_and_saveexec_b32 s16, vcc_lo
	s_cbranch_execnz .LBB562_61
; %bb.38:
	s_or_b32 exec_lo, exec_lo, s16
                                        ; implicit-def: $vgpr33
	s_and_saveexec_b32 s16, s0
	s_cbranch_execnz .LBB562_62
.LBB562_39:
	s_or_b32 exec_lo, exec_lo, s16
                                        ; implicit-def: $vgpr34
	s_and_saveexec_b32 s0, s1
	s_cbranch_execnz .LBB562_63
.LBB562_40:
	s_or_b32 exec_lo, exec_lo, s0
                                        ; implicit-def: $vgpr35
	s_and_saveexec_b32 s0, s4
	s_cbranch_execnz .LBB562_64
.LBB562_41:
	s_or_b32 exec_lo, exec_lo, s0
                                        ; implicit-def: $vgpr36
	s_and_saveexec_b32 s0, s5
	s_cbranch_execnz .LBB562_65
.LBB562_42:
	s_or_b32 exec_lo, exec_lo, s0
                                        ; implicit-def: $vgpr6
	s_and_saveexec_b32 s0, s6
	s_cbranch_execnz .LBB562_66
.LBB562_43:
	s_or_b32 exec_lo, exec_lo, s0
                                        ; implicit-def: $vgpr7
	s_and_saveexec_b32 s0, s7
	s_cbranch_execnz .LBB562_67
.LBB562_44:
	s_or_b32 exec_lo, exec_lo, s0
                                        ; implicit-def: $vgpr8
	s_and_saveexec_b32 s0, s8
	s_cbranch_execnz .LBB562_68
.LBB562_45:
	s_or_b32 exec_lo, exec_lo, s0
                                        ; implicit-def: $vgpr23
	s_and_saveexec_b32 s0, s9
	s_cbranch_execnz .LBB562_69
.LBB562_46:
	s_or_b32 exec_lo, exec_lo, s0
                                        ; implicit-def: $vgpr24
	s_and_saveexec_b32 s0, s10
	s_cbranch_execnz .LBB562_70
.LBB562_47:
	s_or_b32 exec_lo, exec_lo, s0
                                        ; implicit-def: $vgpr26
	s_and_saveexec_b32 s0, s11
	s_cbranch_execnz .LBB562_71
.LBB562_48:
	s_or_b32 exec_lo, exec_lo, s0
                                        ; implicit-def: $vgpr27
	s_and_saveexec_b32 s0, s12
	s_cbranch_execnz .LBB562_72
.LBB562_49:
	s_or_b32 exec_lo, exec_lo, s0
                                        ; implicit-def: $vgpr28
	s_and_saveexec_b32 s0, s13
	s_cbranch_execnz .LBB562_73
.LBB562_50:
	s_or_b32 exec_lo, exec_lo, s0
                                        ; implicit-def: $vgpr29
	s_and_saveexec_b32 s0, s14
	s_cbranch_execnz .LBB562_74
.LBB562_51:
	s_or_b32 exec_lo, exec_lo, s0
                                        ; implicit-def: $vgpr30
	s_and_saveexec_b32 s0, s15
	s_cbranch_execz .LBB562_53
.LBB562_52:
	v_lshlrev_b32_e32 v30, 2, v31
	s_delay_alu instid0(VALU_DEP_1)
	v_add_co_u32 v3, vcc_lo, v3, v30
	v_add_co_ci_u32_e32 v4, vcc_lo, 0, v4, vcc_lo
	flat_load_b32 v30, v[3:4]
.LBB562_53:
	s_or_b32 exec_lo, exec_lo, s0
	s_waitcnt vmcnt(0) lgkmcnt(0)
	ds_store_2addr_stride64_b32 v25, v32, v33 offset1:4
	ds_store_2addr_stride64_b32 v25, v34, v35 offset0:8 offset1:12
	ds_store_2addr_stride64_b32 v25, v36, v6 offset0:16 offset1:20
	;; [unrolled: 1-line block ×6, first 2 shown]
	ds_store_b32 v25, v30 offset:14336
	s_waitcnt lgkmcnt(0)
	s_barrier
.LBB562_54:
	buffer_gl0_inv
	ds_load_2addr_b32 v[35:36], v5 offset1:1
	ds_load_2addr_b32 v[33:34], v5 offset0:2 offset1:3
	ds_load_2addr_b32 v[31:32], v5 offset0:4 offset1:5
	;; [unrolled: 1-line block ×6, first 2 shown]
	ds_load_b32 v79, v5 offset:56
	s_cmp_eq_u64 s[18:19], 0
	s_waitcnt lgkmcnt(0)
	s_cselect_b32 s41, -1, 0
	s_cmp_lg_u64 s[18:19], 0
	s_barrier
	s_cselect_b32 s15, -1, 0
	s_and_b32 vcc_lo, exec_lo, s17
	buffer_gl0_inv
	s_cbranch_vccz .LBB562_60
; %bb.55:
	s_and_b32 vcc_lo, exec_lo, s15
	s_cbranch_vccz .LBB562_75
; %bb.56:
	v_add_co_u32 v3, vcc_lo, -4, v2
	v_add_co_ci_u32_e32 v4, vcc_lo, -1, v1, vcc_lo
	v_cmp_ne_u32_e32 vcc_lo, v10, v63
	v_cmp_ne_u32_e64 s0, v9, v10
	v_cmp_ne_u32_e64 s1, v12, v9
	flat_load_b32 v3, v[3:4]
	v_lshlrev_b32_e32 v4, 2, v0
	v_cmp_ne_u32_e64 s4, v11, v12
	v_cmp_ne_u32_e64 s5, v14, v11
	v_cmp_ne_u32_e64 s6, v13, v14
	v_cmp_ne_u32_e64 s7, v16, v13
	v_cmp_ne_u32_e64 s8, v15, v16
	v_cmp_ne_u32_e64 s9, v18, v15
	v_cmp_ne_u32_e64 s10, v17, v18
	v_cmp_ne_u32_e64 s11, v20, v17
	v_cmp_ne_u32_e64 s12, v19, v20
	v_cmp_ne_u32_e64 s13, v22, v19
	v_cmp_ne_u32_e64 s14, v21, v22
	s_mov_b32 s42, -1
	ds_store_b32 v4, v63
	s_waitcnt vmcnt(0) lgkmcnt(0)
	s_barrier
	buffer_gl0_inv
	s_and_saveexec_b32 s16, s3
	s_cbranch_execz .LBB562_58
; %bb.57:
	v_add_nc_u32_e32 v3, -4, v4
	ds_load_b32 v3, v3
.LBB562_58:
	s_or_b32 exec_lo, exec_lo, s16
	v_cndmask_b32_e64 v71, 0, 1, vcc_lo
	v_cndmask_b32_e64 v64, 0, 1, s0
	v_cndmask_b32_e64 v65, 0, 1, s1
	;; [unrolled: 1-line block ×13, first 2 shown]
	s_waitcnt lgkmcnt(0)
	v_cmp_ne_u32_e64 s0, v3, v21
.LBB562_59:
                                        ; implicit-def: $sgpr1
	s_branch .LBB562_87
.LBB562_60:
	s_mov_b32 s42, 0
                                        ; implicit-def: $sgpr0
                                        ; implicit-def: $vgpr71
                                        ; implicit-def: $vgpr64
                                        ; implicit-def: $vgpr65
                                        ; implicit-def: $vgpr66
                                        ; implicit-def: $vgpr67
                                        ; implicit-def: $vgpr68
                                        ; implicit-def: $vgpr69
                                        ; implicit-def: $vgpr70
                                        ; implicit-def: $vgpr72
                                        ; implicit-def: $vgpr73
                                        ; implicit-def: $vgpr74
                                        ; implicit-def: $vgpr75
                                        ; implicit-def: $vgpr76
                                        ; implicit-def: $vgpr77
                                        ; implicit-def: $sgpr1
	s_cbranch_execnz .LBB562_79
	s_branch .LBB562_87
.LBB562_61:
	v_add_co_u32 v32, vcc_lo, v3, v25
	v_add_co_ci_u32_e32 v33, vcc_lo, 0, v4, vcc_lo
	flat_load_b32 v32, v[32:33]
	s_or_b32 exec_lo, exec_lo, s16
                                        ; implicit-def: $vgpr33
	s_and_saveexec_b32 s16, s0
	s_cbranch_execz .LBB562_39
.LBB562_62:
	v_add_co_u32 v33, vcc_lo, v3, v25
	v_add_co_ci_u32_e32 v34, vcc_lo, 0, v4, vcc_lo
	flat_load_b32 v33, v[33:34] offset:1024
	s_or_b32 exec_lo, exec_lo, s16
                                        ; implicit-def: $vgpr34
	s_and_saveexec_b32 s0, s1
	s_cbranch_execz .LBB562_40
.LBB562_63:
	v_add_co_u32 v34, vcc_lo, v3, v25
	v_add_co_ci_u32_e32 v35, vcc_lo, 0, v4, vcc_lo
	flat_load_b32 v34, v[34:35] offset:2048
	s_or_b32 exec_lo, exec_lo, s0
                                        ; implicit-def: $vgpr35
	s_and_saveexec_b32 s0, s4
	s_cbranch_execz .LBB562_41
.LBB562_64:
	v_add_co_u32 v35, vcc_lo, v3, v25
	v_add_co_ci_u32_e32 v36, vcc_lo, 0, v4, vcc_lo
	flat_load_b32 v35, v[35:36] offset:3072
	s_or_b32 exec_lo, exec_lo, s0
                                        ; implicit-def: $vgpr36
	s_and_saveexec_b32 s0, s5
	s_cbranch_execz .LBB562_42
.LBB562_65:
	v_lshlrev_b32_e32 v6, 2, v6
	s_delay_alu instid0(VALU_DEP_1)
	v_add_co_u32 v36, vcc_lo, v3, v6
	v_add_co_ci_u32_e32 v37, vcc_lo, 0, v4, vcc_lo
	flat_load_b32 v36, v[36:37]
	s_or_b32 exec_lo, exec_lo, s0
                                        ; implicit-def: $vgpr6
	s_and_saveexec_b32 s0, s6
	s_cbranch_execz .LBB562_43
.LBB562_66:
	v_lshlrev_b32_e32 v6, 2, v7
	s_delay_alu instid0(VALU_DEP_1)
	v_add_co_u32 v6, vcc_lo, v3, v6
	v_add_co_ci_u32_e32 v7, vcc_lo, 0, v4, vcc_lo
	flat_load_b32 v6, v[6:7]
	s_or_b32 exec_lo, exec_lo, s0
                                        ; implicit-def: $vgpr7
	s_and_saveexec_b32 s0, s7
	s_cbranch_execz .LBB562_44
.LBB562_67:
	v_lshlrev_b32_e32 v7, 2, v8
	s_delay_alu instid0(VALU_DEP_1)
	v_add_co_u32 v7, vcc_lo, v3, v7
	v_add_co_ci_u32_e32 v8, vcc_lo, 0, v4, vcc_lo
	flat_load_b32 v7, v[7:8]
	s_or_b32 exec_lo, exec_lo, s0
                                        ; implicit-def: $vgpr8
	s_and_saveexec_b32 s0, s8
	s_cbranch_execz .LBB562_45
.LBB562_68:
	v_lshlrev_b32_e32 v8, 2, v23
	s_delay_alu instid0(VALU_DEP_1)
	v_add_co_u32 v37, vcc_lo, v3, v8
	v_add_co_ci_u32_e32 v38, vcc_lo, 0, v4, vcc_lo
	flat_load_b32 v8, v[37:38]
	s_or_b32 exec_lo, exec_lo, s0
                                        ; implicit-def: $vgpr23
	s_and_saveexec_b32 s0, s9
	s_cbranch_execz .LBB562_46
.LBB562_69:
	v_lshlrev_b32_e32 v23, 2, v24
	s_delay_alu instid0(VALU_DEP_1)
	v_add_co_u32 v23, vcc_lo, v3, v23
	v_add_co_ci_u32_e32 v24, vcc_lo, 0, v4, vcc_lo
	flat_load_b32 v23, v[23:24]
	s_or_b32 exec_lo, exec_lo, s0
                                        ; implicit-def: $vgpr24
	s_and_saveexec_b32 s0, s10
	s_cbranch_execz .LBB562_47
.LBB562_70:
	v_lshlrev_b32_e32 v24, 2, v26
	s_delay_alu instid0(VALU_DEP_1)
	v_add_co_u32 v37, vcc_lo, v3, v24
	v_add_co_ci_u32_e32 v38, vcc_lo, 0, v4, vcc_lo
	flat_load_b32 v24, v[37:38]
	s_or_b32 exec_lo, exec_lo, s0
                                        ; implicit-def: $vgpr26
	s_and_saveexec_b32 s0, s11
	s_cbranch_execz .LBB562_48
.LBB562_71:
	v_lshlrev_b32_e32 v26, 2, v27
	s_delay_alu instid0(VALU_DEP_1)
	v_add_co_u32 v26, vcc_lo, v3, v26
	v_add_co_ci_u32_e32 v27, vcc_lo, 0, v4, vcc_lo
	flat_load_b32 v26, v[26:27]
	s_or_b32 exec_lo, exec_lo, s0
                                        ; implicit-def: $vgpr27
	s_and_saveexec_b32 s0, s12
	s_cbranch_execz .LBB562_49
.LBB562_72:
	v_lshlrev_b32_e32 v27, 2, v28
	s_delay_alu instid0(VALU_DEP_1)
	v_add_co_u32 v27, vcc_lo, v3, v27
	v_add_co_ci_u32_e32 v28, vcc_lo, 0, v4, vcc_lo
	flat_load_b32 v27, v[27:28]
	s_or_b32 exec_lo, exec_lo, s0
                                        ; implicit-def: $vgpr28
	s_and_saveexec_b32 s0, s13
	s_cbranch_execz .LBB562_50
.LBB562_73:
	v_lshlrev_b32_e32 v28, 2, v29
	s_delay_alu instid0(VALU_DEP_1)
	v_add_co_u32 v28, vcc_lo, v3, v28
	v_add_co_ci_u32_e32 v29, vcc_lo, 0, v4, vcc_lo
	flat_load_b32 v28, v[28:29]
	s_or_b32 exec_lo, exec_lo, s0
                                        ; implicit-def: $vgpr29
	s_and_saveexec_b32 s0, s14
	s_cbranch_execz .LBB562_51
.LBB562_74:
	v_lshlrev_b32_e32 v29, 2, v30
	s_delay_alu instid0(VALU_DEP_1)
	v_add_co_u32 v29, vcc_lo, v3, v29
	v_add_co_ci_u32_e32 v30, vcc_lo, 0, v4, vcc_lo
	flat_load_b32 v29, v[29:30]
	s_or_b32 exec_lo, exec_lo, s0
                                        ; implicit-def: $vgpr30
	s_and_saveexec_b32 s0, s15
	s_cbranch_execnz .LBB562_52
	s_branch .LBB562_53
.LBB562_75:
	s_mov_b32 s42, 0
                                        ; implicit-def: $sgpr0
                                        ; implicit-def: $vgpr71
                                        ; implicit-def: $vgpr64
                                        ; implicit-def: $vgpr65
                                        ; implicit-def: $vgpr66
                                        ; implicit-def: $vgpr67
                                        ; implicit-def: $vgpr68
                                        ; implicit-def: $vgpr69
                                        ; implicit-def: $vgpr70
                                        ; implicit-def: $vgpr72
                                        ; implicit-def: $vgpr73
                                        ; implicit-def: $vgpr74
                                        ; implicit-def: $vgpr75
                                        ; implicit-def: $vgpr76
                                        ; implicit-def: $vgpr77
	s_cbranch_execz .LBB562_59
; %bb.76:
	v_cmp_ne_u32_e32 vcc_lo, v10, v63
	v_lshlrev_b32_e32 v3, 2, v0
                                        ; implicit-def: $sgpr0
	v_cndmask_b32_e64 v71, 0, 1, vcc_lo
	v_cmp_ne_u32_e32 vcc_lo, v9, v10
	ds_store_b32 v3, v63
	s_waitcnt lgkmcnt(0)
	s_barrier
	buffer_gl0_inv
	v_cndmask_b32_e64 v64, 0, 1, vcc_lo
	v_cmp_ne_u32_e32 vcc_lo, v12, v9
	v_cndmask_b32_e64 v65, 0, 1, vcc_lo
	v_cmp_ne_u32_e32 vcc_lo, v11, v12
	v_cndmask_b32_e64 v66, 0, 1, vcc_lo
	v_cmp_ne_u32_e32 vcc_lo, v14, v11
	v_cndmask_b32_e64 v67, 0, 1, vcc_lo
	v_cmp_ne_u32_e32 vcc_lo, v13, v14
	v_cndmask_b32_e64 v68, 0, 1, vcc_lo
	v_cmp_ne_u32_e32 vcc_lo, v16, v13
	v_cndmask_b32_e64 v69, 0, 1, vcc_lo
	v_cmp_ne_u32_e32 vcc_lo, v15, v16
	v_cndmask_b32_e64 v70, 0, 1, vcc_lo
	v_cmp_ne_u32_e32 vcc_lo, v18, v15
	v_cndmask_b32_e64 v72, 0, 1, vcc_lo
	v_cmp_ne_u32_e32 vcc_lo, v17, v18
	v_cndmask_b32_e64 v73, 0, 1, vcc_lo
	v_cmp_ne_u32_e32 vcc_lo, v20, v17
	v_cndmask_b32_e64 v74, 0, 1, vcc_lo
	v_cmp_ne_u32_e32 vcc_lo, v19, v20
	v_cndmask_b32_e64 v75, 0, 1, vcc_lo
	v_cmp_ne_u32_e32 vcc_lo, v22, v19
	v_cndmask_b32_e64 v76, 0, 1, vcc_lo
	v_cmp_ne_u32_e32 vcc_lo, v21, v22
	v_cndmask_b32_e64 v77, 0, 1, vcc_lo
	s_and_saveexec_b32 s1, s3
	s_delay_alu instid0(SALU_CYCLE_1)
	s_xor_b32 s1, exec_lo, s1
	s_cbranch_execz .LBB562_78
; %bb.77:
	v_add_nc_u32_e32 v3, -4, v3
	s_or_b32 s42, s42, exec_lo
	ds_load_b32 v3, v3
	s_waitcnt lgkmcnt(0)
	v_cmp_ne_u32_e32 vcc_lo, v3, v21
	s_and_b32 s0, vcc_lo, exec_lo
.LBB562_78:
	s_or_b32 exec_lo, exec_lo, s1
	s_mov_b32 s1, 1
	s_branch .LBB562_87
.LBB562_79:
	s_mul_hi_u32 s0, s18, 0xfffff100
	s_mul_i32 s1, s19, 0xfffff100
	s_sub_i32 s0, s0, s18
	s_mul_i32 s4, s18, 0xfffff100
	s_add_i32 s0, s0, s1
	s_add_u32 s24, s4, s44
	s_addc_u32 s25, s0, s45
	s_and_b32 vcc_lo, exec_lo, s15
	s_cbranch_vccz .LBB562_84
; %bb.80:
	v_add_co_u32 v2, vcc_lo, -4, v2
	v_add_co_ci_u32_e32 v3, vcc_lo, -1, v1, vcc_lo
	v_mad_u32_u24 v1, v0, 15, 14
	v_cmp_ne_u32_e64 s8, v10, v63
	v_cmp_ne_u32_e64 s10, v12, v9
	flat_load_b32 v5, v[2:3]
	v_mov_b32_e32 v2, 0
	v_cmp_ne_u32_e64 s12, v14, v11
	v_cmp_ne_u32_e64 s11, v11, v12
	v_lshlrev_b32_e32 v4, 2, v0
	v_mul_u32_u24_e32 v3, 15, v0
	v_cmp_gt_u64_e32 vcc_lo, s[24:25], v[1:2]
	v_mad_u32_u24 v1, v0, 15, 13
	s_mov_b32 s42, -1
	s_mov_b32 s14, 0
	ds_store_b32 v4, v63
	s_waitcnt vmcnt(0) lgkmcnt(0)
	v_cmp_gt_u64_e64 s0, s[24:25], v[1:2]
	v_mad_u32_u24 v1, v0, 15, 12
	s_and_b32 s15, vcc_lo, s8
	v_cmp_ne_u32_e64 s8, v9, v10
	s_barrier
	buffer_gl0_inv
	v_cmp_gt_u64_e64 s1, s[24:25], v[1:2]
	v_mad_u32_u24 v1, v0, 15, 11
	s_and_b32 s16, s0, s8
	v_cmp_ne_u32_e64 s8, v18, v15
	s_delay_alu instid0(VALU_DEP_2) | instskip(SKIP_3) | instid1(VALU_DEP_2)
	v_cmp_gt_u64_e64 s4, s[24:25], v[1:2]
	v_mad_u32_u24 v1, v0, 15, 10
	s_and_b32 s17, s1, s10
	v_cmp_ne_u32_e64 s1, v13, v14
	v_cmp_gt_u64_e64 s5, s[24:25], v[1:2]
	v_mad_u32_u24 v1, v0, 15, 9
	s_and_b32 s11, s4, s11
	v_cmp_ne_u32_e64 s4, v16, v13
	s_delay_alu instid0(VALU_DEP_2) | instskip(SKIP_3) | instid1(VALU_DEP_2)
	v_cmp_gt_u64_e64 s6, s[24:25], v[1:2]
	v_mad_u32_u24 v1, v0, 15, 8
	s_and_b32 s12, s5, s12
	v_cmp_ne_u32_e64 s5, v15, v16
	v_cmp_gt_u64_e64 s7, s[24:25], v[1:2]
	v_mad_u32_u24 v1, v0, 15, 7
	s_and_b32 s18, s6, s1
	v_cmp_ne_u32_e64 s1, v17, v18
	v_cmp_ne_u32_e64 s6, v22, v19
	s_delay_alu instid0(VALU_DEP_3) | instskip(SKIP_3) | instid1(VALU_DEP_2)
	v_cmp_gt_u64_e64 s9, s[24:25], v[1:2]
	v_mad_u32_u24 v1, v0, 15, 6
	s_and_b32 s19, s7, s4
	v_cmp_ne_u32_e64 s4, v20, v17
	v_cmp_gt_u64_e32 vcc_lo, s[24:25], v[1:2]
	v_mad_u32_u24 v1, v0, 15, 5
	s_and_b32 s20, s9, s5
	v_cmp_ne_u32_e64 s5, v19, v20
	s_delay_alu instid0(VALU_DEP_2) | instskip(SKIP_3) | instid1(VALU_DEP_2)
	v_cmp_gt_u64_e64 s13, s[24:25], v[1:2]
	v_mad_u32_u24 v1, v0, 15, 4
	s_and_b32 s9, vcc_lo, s8
	v_cmp_ne_u32_e64 s8, v21, v22
	v_cmp_gt_u64_e64 s0, s[24:25], v[1:2]
	v_mad_u32_u24 v1, v0, 15, 3
	s_and_b32 s13, s13, s1
	s_delay_alu instid0(VALU_DEP_1) | instskip(SKIP_1) | instid1(VALU_DEP_4)
	v_cmp_gt_u64_e64 s10, s[24:25], v[1:2]
	v_mad_u32_u24 v1, v0, 15, 2
	s_and_b32 s0, s0, s4
	s_delay_alu instid0(VALU_DEP_1) | instskip(SKIP_1) | instid1(VALU_DEP_4)
	v_cmp_gt_u64_e32 vcc_lo, s[24:25], v[1:2]
	v_mad_u32_u24 v1, v0, 15, 1
	s_and_b32 s5, s10, s5
	s_delay_alu instid0(VALU_DEP_1) | instskip(SKIP_1) | instid1(VALU_DEP_1)
	v_cmp_gt_u64_e64 s7, s[24:25], v[1:2]
	s_and_b32 s1, vcc_lo, s6
	s_and_b32 s4, s7, s8
	s_and_saveexec_b32 s6, s3
	s_cbranch_execz .LBB562_82
; %bb.81:
	v_add_nc_u32_e32 v1, -4, v4
	ds_load_b32 v5, v1
.LBB562_82:
	s_or_b32 exec_lo, exec_lo, s6
	v_mov_b32_e32 v4, v2
	v_cndmask_b32_e64 v74, 0, 1, s0
	s_waitcnt lgkmcnt(0)
	v_cmp_ne_u32_e64 s0, v5, v21
	v_cndmask_b32_e64 v71, 0, 1, s15
	v_cndmask_b32_e64 v64, 0, 1, s16
	v_cmp_gt_u64_e32 vcc_lo, s[24:25], v[3:4]
	v_cndmask_b32_e64 v65, 0, 1, s17
	v_cndmask_b32_e64 v66, 0, 1, s11
	;; [unrolled: 1-line block ×11, first 2 shown]
	s_and_b32 s0, vcc_lo, s0
	s_and_b32 vcc_lo, exec_lo, s14
	s_cbranch_vccnz .LBB562_85
.LBB562_83:
                                        ; implicit-def: $sgpr1
	v_mov_b32_e32 v78, s1
	s_and_saveexec_b32 s1, s42
	s_cbranch_execnz .LBB562_88
	s_branch .LBB562_89
.LBB562_84:
                                        ; implicit-def: $sgpr0
                                        ; implicit-def: $vgpr71
                                        ; implicit-def: $vgpr64
                                        ; implicit-def: $vgpr65
                                        ; implicit-def: $vgpr66
                                        ; implicit-def: $vgpr67
                                        ; implicit-def: $vgpr68
                                        ; implicit-def: $vgpr69
                                        ; implicit-def: $vgpr70
                                        ; implicit-def: $vgpr72
                                        ; implicit-def: $vgpr73
                                        ; implicit-def: $vgpr74
                                        ; implicit-def: $vgpr75
                                        ; implicit-def: $vgpr76
                                        ; implicit-def: $vgpr77
	s_cbranch_execz .LBB562_83
.LBB562_85:
	v_mad_u32_u24 v1, v0, 15, 14
	v_dual_mov_b32 v2, 0 :: v_dual_lshlrev_b32 v3, 2, v0
	v_cmp_ne_u32_e64 s7, v9, v10
	v_cmp_ne_u32_e64 s6, v10, v63
	;; [unrolled: 1-line block ×3, first 2 shown]
	s_delay_alu instid0(VALU_DEP_4)
	v_cmp_gt_u64_e32 vcc_lo, s[24:25], v[1:2]
	v_mad_u32_u24 v1, v0, 15, 13
	v_cmp_ne_u32_e64 s10, v11, v12
	v_cmp_ne_u32_e64 s11, v14, v11
	;; [unrolled: 1-line block ×4, first 2 shown]
	v_cmp_gt_u64_e64 s0, s[24:25], v[1:2]
	v_mad_u32_u24 v1, v0, 15, 12
	s_and_b32 s6, vcc_lo, s6
	v_cmp_ne_u32_e64 s15, v15, v16
	v_cmp_ne_u32_e64 s16, v18, v15
	;; [unrolled: 1-line block ×3, first 2 shown]
	v_cmp_gt_u64_e64 s1, s[24:25], v[1:2]
	v_mad_u32_u24 v1, v0, 15, 11
	s_and_b32 s0, s0, s7
	v_cmp_ne_u32_e64 s18, v20, v17
	v_cndmask_b32_e64 v64, 0, 1, s0
	v_cmp_ne_u32_e64 s20, v19, v20
	v_cmp_gt_u64_e64 s4, s[24:25], v[1:2]
	v_mad_u32_u24 v1, v0, 15, 10
	s_and_b32 s0, s1, s8
	v_cmp_ne_u32_e64 s21, v22, v19
	v_cndmask_b32_e64 v65, 0, 1, s0
	v_cmp_ne_u32_e64 s22, v21, v22
	v_cmp_gt_u64_e64 s5, s[24:25], v[1:2]
	v_mad_u32_u24 v1, v0, 15, 9
	s_and_b32 s0, s4, s10
	v_cndmask_b32_e64 v71, 0, 1, s6
	v_cndmask_b32_e64 v66, 0, 1, s0
	ds_store_b32 v3, v63
	v_cmp_gt_u64_e64 s9, s[24:25], v[1:2]
	v_mad_u32_u24 v1, v0, 15, 8
	s_and_b32 s1, s5, s11
	s_waitcnt lgkmcnt(0)
	v_cndmask_b32_e64 v67, 0, 1, s1
	s_barrier
	v_cmp_gt_u64_e64 s14, s[24:25], v[1:2]
	v_mad_u32_u24 v1, v0, 15, 7
	s_and_b32 s1, s9, s12
	buffer_gl0_inv
	v_cndmask_b32_e64 v68, 0, 1, s1
	v_cmp_gt_u64_e64 s19, s[24:25], v[1:2]
	v_mad_u32_u24 v1, v0, 15, 6
	s_and_b32 s4, s14, s13
	s_delay_alu instid0(SALU_CYCLE_1) | instskip(NEXT) | instid1(VALU_DEP_2)
	v_cndmask_b32_e64 v69, 0, 1, s4
	v_cmp_gt_u64_e64 s23, s[24:25], v[1:2]
	v_mad_u32_u24 v1, v0, 15, 5
	s_and_b32 s4, s19, s15
	s_delay_alu instid0(SALU_CYCLE_1) | instskip(NEXT) | instid1(VALU_DEP_2)
	v_cndmask_b32_e64 v70, 0, 1, s4
	v_cmp_gt_u64_e32 vcc_lo, s[24:25], v[1:2]
	v_mad_u32_u24 v1, v0, 15, 4
	s_and_b32 s5, s23, s16
	s_delay_alu instid0(SALU_CYCLE_1) | instskip(NEXT) | instid1(VALU_DEP_2)
	v_cndmask_b32_e64 v72, 0, 1, s5
	v_cmp_gt_u64_e64 s0, s[24:25], v[1:2]
	v_mad_u32_u24 v1, v0, 15, 3
	s_and_b32 s5, vcc_lo, s17
	s_delay_alu instid0(SALU_CYCLE_1) | instskip(NEXT) | instid1(VALU_DEP_2)
	v_cndmask_b32_e64 v73, 0, 1, s5
	v_cmp_gt_u64_e64 s1, s[24:25], v[1:2]
	v_mad_u32_u24 v1, v0, 15, 2
	s_and_b32 s0, s0, s18
	s_delay_alu instid0(SALU_CYCLE_1) | instskip(NEXT) | instid1(VALU_DEP_2)
	v_cndmask_b32_e64 v74, 0, 1, s0
	v_cmp_gt_u64_e64 s4, s[24:25], v[1:2]
	v_mad_u32_u24 v1, v0, 15, 1
	s_and_b32 s0, s1, s20
	s_mov_b32 s1, 1
	v_cndmask_b32_e64 v75, 0, 1, s0
	s_delay_alu instid0(VALU_DEP_2) | instskip(SKIP_1) | instid1(SALU_CYCLE_1)
	v_cmp_gt_u64_e32 vcc_lo, s[24:25], v[1:2]
	s_and_b32 s0, s4, s21
	v_cndmask_b32_e64 v76, 0, 1, s0
	s_and_b32 s0, vcc_lo, s22
	s_delay_alu instid0(SALU_CYCLE_1)
	v_cndmask_b32_e64 v77, 0, 1, s0
                                        ; implicit-def: $sgpr0
	s_and_saveexec_b32 s4, s3
	s_cbranch_execz .LBB562_172
; %bb.86:
	v_add_nc_u32_e32 v1, -4, v3
	s_or_b32 s42, s42, exec_lo
	ds_load_b32 v3, v1
	v_mul_u32_u24_e32 v1, 15, v0
	s_delay_alu instid0(VALU_DEP_1) | instskip(SKIP_2) | instid1(VALU_DEP_1)
	v_cmp_gt_u64_e32 vcc_lo, s[24:25], v[1:2]
	s_waitcnt lgkmcnt(0)
	v_cmp_ne_u32_e64 s0, v3, v21
	s_and_b32 s0, vcc_lo, s0
	s_delay_alu instid0(SALU_CYCLE_1)
	s_and_b32 s0, s0, exec_lo
	s_or_b32 exec_lo, exec_lo, s4
.LBB562_87:
	v_mov_b32_e32 v78, s1
	s_and_saveexec_b32 s1, s42
.LBB562_88:
	s_delay_alu instid0(VALU_DEP_2)
	v_cndmask_b32_e64 v78, 0, 1, s0
.LBB562_89:
	s_or_b32 exec_lo, exec_lo, s1
	s_delay_alu instid0(VALU_DEP_1)
	v_add3_u32 v1, v77, v78, v76
	v_cmp_eq_u32_e64 s13, 0, v77
	v_cmp_eq_u32_e64 s12, 0, v76
	v_cmp_eq_u32_e64 s11, 0, v75
	v_cmp_eq_u32_e64 s10, 0, v74
	v_add3_u32 v84, v1, v75, v74
	v_cmp_eq_u32_e64 s9, 0, v73
	v_cmp_eq_u32_e64 s8, 0, v72
	;; [unrolled: 1-line block ×9, first 2 shown]
	v_cmp_eq_u32_e32 vcc_lo, 0, v71
	v_mbcnt_lo_u32_b32 v81, -1, 0
	v_lshrrev_b32_e32 v82, 5, v0
	v_or_b32_e32 v83, 31, v0
	s_cmp_eq_u64 s[38:39], 0
	s_cselect_b32 s16, -1, 0
	s_cmp_lg_u32 s48, 0
	s_cbranch_scc0 .LBB562_120
; %bb.90:
	v_cndmask_b32_e64 v1, 0, v35, s13
	v_add3_u32 v2, v84, v73, v72
	s_delay_alu instid0(VALU_DEP_2) | instskip(NEXT) | instid1(VALU_DEP_2)
	v_add_nc_u32_e32 v1, v1, v36
	v_add3_u32 v2, v2, v70, v69
	s_delay_alu instid0(VALU_DEP_2) | instskip(NEXT) | instid1(VALU_DEP_2)
	v_cndmask_b32_e64 v1, 0, v1, s12
	v_add3_u32 v2, v2, v68, v67
	s_delay_alu instid0(VALU_DEP_2) | instskip(NEXT) | instid1(VALU_DEP_2)
	v_add_nc_u32_e32 v1, v1, v33
	v_add3_u32 v2, v2, v66, v65
	s_delay_alu instid0(VALU_DEP_2) | instskip(NEXT) | instid1(VALU_DEP_2)
	v_cndmask_b32_e64 v1, 0, v1, s11
	v_add3_u32 v2, v2, v64, v71
	s_delay_alu instid0(VALU_DEP_2) | instskip(NEXT) | instid1(VALU_DEP_2)
	v_add_nc_u32_e32 v1, v1, v34
	v_mov_b32_dpp v5, v2 row_shr:1 row_mask:0xf bank_mask:0xf
	s_delay_alu instid0(VALU_DEP_2) | instskip(NEXT) | instid1(VALU_DEP_1)
	v_cndmask_b32_e64 v1, 0, v1, s10
	v_add_nc_u32_e32 v1, v1, v31
	s_delay_alu instid0(VALU_DEP_1) | instskip(NEXT) | instid1(VALU_DEP_1)
	v_cndmask_b32_e64 v1, 0, v1, s9
	v_add_nc_u32_e32 v1, v1, v32
	s_delay_alu instid0(VALU_DEP_1) | instskip(NEXT) | instid1(VALU_DEP_1)
	;; [unrolled: 3-line block ×9, first 2 shown]
	v_cndmask_b32_e64 v1, 0, v1, s0
	v_add_nc_u32_e32 v1, v1, v24
	s_delay_alu instid0(VALU_DEP_1) | instskip(SKIP_1) | instid1(VALU_DEP_2)
	v_cndmask_b32_e32 v1, 0, v1, vcc_lo
	v_cmp_eq_u32_e32 vcc_lo, 0, v2
	v_add_nc_u32_e32 v1, v1, v79
	s_delay_alu instid0(VALU_DEP_1) | instskip(NEXT) | instid1(VALU_DEP_1)
	v_mov_b32_dpp v3, v1 row_shr:1 row_mask:0xf bank_mask:0xf
	v_dual_cndmask_b32 v3, 0, v3 :: v_dual_and_b32 v4, 15, v81
	s_delay_alu instid0(VALU_DEP_1) | instskip(SKIP_2) | instid1(VALU_DEP_4)
	v_cmp_eq_u32_e32 vcc_lo, 0, v4
	v_cmp_lt_u32_e64 s14, 1, v4
	v_cndmask_b32_e64 v5, v5, 0, vcc_lo
	v_cndmask_b32_e64 v3, v3, 0, vcc_lo
	s_delay_alu instid0(VALU_DEP_2) | instskip(NEXT) | instid1(VALU_DEP_2)
	v_add_nc_u32_e32 v2, v5, v2
	v_add_nc_u32_e32 v1, v3, v1
	s_delay_alu instid0(VALU_DEP_2) | instskip(SKIP_1) | instid1(VALU_DEP_3)
	v_mov_b32_dpp v3, v2 row_shr:2 row_mask:0xf bank_mask:0xf
	v_cmp_eq_u32_e32 vcc_lo, 0, v2
	v_mov_b32_dpp v5, v1 row_shr:2 row_mask:0xf bank_mask:0xf
	s_delay_alu instid0(VALU_DEP_3) | instskip(SKIP_2) | instid1(VALU_DEP_2)
	v_cndmask_b32_e64 v3, 0, v3, s14
	s_and_b32 vcc_lo, s14, vcc_lo
	v_cmp_lt_u32_e64 s14, 3, v4
	v_dual_cndmask_b32 v5, 0, v5 :: v_dual_add_nc_u32 v2, v2, v3
	s_delay_alu instid0(VALU_DEP_1) | instskip(NEXT) | instid1(VALU_DEP_2)
	v_add_nc_u32_e32 v1, v5, v1
	v_mov_b32_dpp v3, v2 row_shr:4 row_mask:0xf bank_mask:0xf
	v_cmp_eq_u32_e32 vcc_lo, 0, v2
	s_delay_alu instid0(VALU_DEP_3) | instskip(NEXT) | instid1(VALU_DEP_3)
	v_mov_b32_dpp v5, v1 row_shr:4 row_mask:0xf bank_mask:0xf
	v_cndmask_b32_e64 v3, 0, v3, s14
	s_and_b32 vcc_lo, s14, vcc_lo
	v_cmp_lt_u32_e64 s14, 7, v4
	s_delay_alu instid0(VALU_DEP_2) | instskip(NEXT) | instid1(VALU_DEP_1)
	v_dual_cndmask_b32 v5, 0, v5 :: v_dual_add_nc_u32 v2, v3, v2
	v_add_nc_u32_e32 v1, v1, v5
	v_bfe_i32 v5, v81, 4, 1
	s_delay_alu instid0(VALU_DEP_3) | instskip(SKIP_1) | instid1(VALU_DEP_4)
	v_cmp_eq_u32_e32 vcc_lo, 0, v2
	v_mov_b32_dpp v3, v2 row_shr:8 row_mask:0xf bank_mask:0xf
	v_mov_b32_dpp v4, v1 row_shr:8 row_mask:0xf bank_mask:0xf
	s_and_b32 vcc_lo, s14, vcc_lo
	s_delay_alu instid0(VALU_DEP_2) | instskip(SKIP_1) | instid1(VALU_DEP_2)
	v_cndmask_b32_e64 v3, 0, v3, s14
	s_mov_b32 s14, exec_lo
	v_cndmask_b32_e32 v4, 0, v4, vcc_lo
	s_delay_alu instid0(VALU_DEP_1) | instskip(NEXT) | instid1(VALU_DEP_3)
	v_add_nc_u32_e32 v4, v4, v1
	v_add_nc_u32_e32 v1, v3, v2
	ds_swizzle_b32 v2, v4 offset:swizzle(BROADCAST,32,15)
	ds_swizzle_b32 v3, v1 offset:swizzle(BROADCAST,32,15)
	v_cmp_eq_u32_e32 vcc_lo, 0, v1
	s_waitcnt lgkmcnt(0)
	v_dual_cndmask_b32 v2, 0, v2 :: v_dual_and_b32 v3, v5, v3
	s_delay_alu instid0(VALU_DEP_1) | instskip(NEXT) | instid1(VALU_DEP_2)
	v_and_b32_e32 v2, v5, v2
	v_add_nc_u32_e32 v1, v3, v1
	v_lshlrev_b32_e32 v3, 3, v82
	s_delay_alu instid0(VALU_DEP_3)
	v_add_nc_u32_e32 v2, v2, v4
	v_cmpx_eq_u32_e64 v83, v0
	s_cbranch_execz .LBB562_92
; %bb.91:
	ds_store_b64 v3, v[1:2] offset:2064
.LBB562_92:
	s_or_b32 exec_lo, exec_lo, s14
	s_delay_alu instid0(SALU_CYCLE_1)
	s_mov_b32 s15, exec_lo
	s_waitcnt lgkmcnt(0)
	s_barrier
	buffer_gl0_inv
	v_cmpx_gt_u32_e32 8, v0
	s_cbranch_execz .LBB562_94
; %bb.93:
	v_lshlrev_b32_e32 v6, 3, v0
	v_and_b32_e32 v8, 7, v81
	ds_load_b64 v[4:5], v6 offset:2064
	v_cmp_lt_u32_e64 s14, 1, v8
	s_waitcnt lgkmcnt(0)
	v_mov_b32_dpp v7, v5 row_shr:1 row_mask:0xf bank_mask:0xf
	v_cmp_eq_u32_e32 vcc_lo, 0, v4
	v_mov_b32_dpp v37, v4 row_shr:1 row_mask:0xf bank_mask:0xf
	s_delay_alu instid0(VALU_DEP_3) | instskip(SKIP_1) | instid1(VALU_DEP_3)
	v_cndmask_b32_e32 v7, 0, v7, vcc_lo
	v_cmp_eq_u32_e32 vcc_lo, 0, v8
	v_cndmask_b32_e64 v37, v37, 0, vcc_lo
	s_delay_alu instid0(VALU_DEP_3) | instskip(NEXT) | instid1(VALU_DEP_2)
	v_cndmask_b32_e64 v7, v7, 0, vcc_lo
	v_add_nc_u32_e32 v4, v37, v4
	s_delay_alu instid0(VALU_DEP_2) | instskip(NEXT) | instid1(VALU_DEP_2)
	v_add_nc_u32_e32 v5, v7, v5
	v_cmp_eq_u32_e32 vcc_lo, 0, v4
	s_delay_alu instid0(VALU_DEP_2) | instskip(SKIP_1) | instid1(VALU_DEP_1)
	v_mov_b32_dpp v37, v5 row_shr:2 row_mask:0xf bank_mask:0xf
	s_and_b32 vcc_lo, s14, vcc_lo
	v_cndmask_b32_e32 v37, 0, v37, vcc_lo
	v_mov_b32_dpp v7, v4 row_shr:2 row_mask:0xf bank_mask:0xf
	s_delay_alu instid0(VALU_DEP_2) | instskip(NEXT) | instid1(VALU_DEP_2)
	v_add_nc_u32_e32 v5, v37, v5
	v_cndmask_b32_e64 v7, 0, v7, s14
	v_cmp_lt_u32_e64 s14, 3, v8
	s_delay_alu instid0(VALU_DEP_3) | instskip(NEXT) | instid1(VALU_DEP_3)
	v_mov_b32_dpp v8, v5 row_shr:4 row_mask:0xf bank_mask:0xf
	v_add_nc_u32_e32 v4, v7, v4
	s_delay_alu instid0(VALU_DEP_1) | instskip(SKIP_2) | instid1(VALU_DEP_1)
	v_cmp_eq_u32_e32 vcc_lo, 0, v4
	v_mov_b32_dpp v7, v4 row_shr:4 row_mask:0xf bank_mask:0xf
	s_and_b32 vcc_lo, s14, vcc_lo
	v_cndmask_b32_e64 v7, 0, v7, s14
	v_cndmask_b32_e32 v8, 0, v8, vcc_lo
	s_delay_alu instid0(VALU_DEP_2) | instskip(NEXT) | instid1(VALU_DEP_2)
	v_add_nc_u32_e32 v4, v7, v4
	v_add_nc_u32_e32 v5, v8, v5
	ds_store_b64 v6, v[4:5] offset:2064
.LBB562_94:
	s_or_b32 exec_lo, exec_lo, s15
	v_cmp_gt_u32_e32 vcc_lo, 32, v0
	v_dual_mov_b32 v37, 0 :: v_dual_mov_b32 v38, 0
	s_mov_b32 s15, exec_lo
	s_waitcnt lgkmcnt(0)
	s_barrier
	buffer_gl0_inv
	v_cmpx_lt_u32_e32 31, v0
	s_cbranch_execz .LBB562_96
; %bb.95:
	ds_load_b64 v[37:38], v3 offset:2056
	v_cmp_eq_u32_e64 s14, 0, v1
	s_waitcnt lgkmcnt(0)
	s_delay_alu instid0(VALU_DEP_1) | instskip(SKIP_1) | instid1(VALU_DEP_2)
	v_cndmask_b32_e64 v3, 0, v38, s14
	v_add_nc_u32_e32 v1, v37, v1
	v_add_nc_u32_e32 v2, v3, v2
.LBB562_96:
	s_or_b32 exec_lo, exec_lo, s15
	v_add_nc_u32_e32 v3, -1, v81
	s_delay_alu instid0(VALU_DEP_1) | instskip(NEXT) | instid1(VALU_DEP_1)
	v_cmp_gt_i32_e64 s14, 0, v3
	v_cndmask_b32_e64 v3, v3, v81, s14
	v_cmp_eq_u32_e64 s14, 0, v81
	s_delay_alu instid0(VALU_DEP_2)
	v_lshlrev_b32_e32 v3, 2, v3
	ds_bpermute_b32 v43, v3, v1
	ds_bpermute_b32 v44, v3, v2
	s_and_saveexec_b32 s17, vcc_lo
	s_cbranch_execz .LBB562_119
; %bb.97:
	v_mov_b32_e32 v4, 0
	ds_load_b64 v[1:2], v4 offset:2120
	s_waitcnt lgkmcnt(0)
	v_readfirstlane_b32 s18, v2
	s_and_saveexec_b32 s15, s14
	s_cbranch_execz .LBB562_99
; %bb.98:
	s_add_i32 s20, s48, 32
	s_mov_b32 s21, 0
	v_mov_b32_e32 v3, 1
	s_lshl_b64 s[22:23], s[20:21], 4
	s_mov_b32 s24, s21
	s_add_u32 s22, s36, s22
	s_addc_u32 s23, s37, s23
	s_and_b32 s25, s18, 0xff000000
	s_and_b32 s39, s18, 0xff0000
	s_mov_b32 s38, s21
	v_dual_mov_b32 v5, s22 :: v_dual_mov_b32 v6, s23
	s_or_b64 s[24:25], s[38:39], s[24:25]
	s_and_b32 s39, s18, 0xff00
	s_delay_alu instid0(SALU_CYCLE_1) | instskip(SKIP_1) | instid1(SALU_CYCLE_1)
	s_or_b64 s[24:25], s[24:25], s[38:39]
	s_and_b32 s39, s18, 0xff
	s_or_b64 s[20:21], s[24:25], s[38:39]
	s_delay_alu instid0(SALU_CYCLE_1)
	v_mov_b32_e32 v2, s21
	;;#ASMSTART
	global_store_dwordx4 v[5:6], v[1:4] off	
s_waitcnt vmcnt(0)
	;;#ASMEND
.LBB562_99:
	s_or_b32 exec_lo, exec_lo, s15
	v_xad_u32 v39, v81, -1, s48
	s_mov_b32 s19, 0
	s_mov_b32 s15, exec_lo
	s_delay_alu instid0(VALU_DEP_1) | instskip(NEXT) | instid1(VALU_DEP_1)
	v_add_nc_u32_e32 v3, 32, v39
	v_lshlrev_b64 v[2:3], 4, v[3:4]
	s_delay_alu instid0(VALU_DEP_1) | instskip(NEXT) | instid1(VALU_DEP_2)
	v_add_co_u32 v2, vcc_lo, s36, v2
	v_add_co_ci_u32_e32 v3, vcc_lo, s37, v3, vcc_lo
	;;#ASMSTART
	global_load_dwordx4 v[5:8], v[2:3] off glc	
s_waitcnt vmcnt(0)
	;;#ASMEND
	v_and_b32_e32 v4, 0xff, v6
	v_and_b32_e32 v8, 0xff00, v6
	;; [unrolled: 1-line block ×3, first 2 shown]
	v_or3_b32 v5, v5, 0, 0
	v_and_b32_e32 v6, 0xff000000, v6
	s_delay_alu instid0(VALU_DEP_4) | instskip(SKIP_1) | instid1(VALU_DEP_4)
	v_or3_b32 v4, 0, v4, v8
	v_and_b32_e32 v8, 0xff, v7
	v_or3_b32 v5, v5, 0, 0
	s_delay_alu instid0(VALU_DEP_3) | instskip(NEXT) | instid1(VALU_DEP_3)
	v_or3_b32 v6, v4, v40, v6
	v_cmpx_eq_u16_e32 0, v8
	s_cbranch_execz .LBB562_105
; %bb.100:
	s_mov_b32 s20, 1
	.p2align	6
.LBB562_101:                            ; =>This Loop Header: Depth=1
                                        ;     Child Loop BB562_102 Depth 2
	s_delay_alu instid0(SALU_CYCLE_1)
	s_max_u32 s21, s20, 1
.LBB562_102:                            ;   Parent Loop BB562_101 Depth=1
                                        ; =>  This Inner Loop Header: Depth=2
	s_delay_alu instid0(SALU_CYCLE_1)
	s_add_i32 s21, s21, -1
	s_sleep 1
	s_cmp_eq_u32 s21, 0
	s_cbranch_scc0 .LBB562_102
; %bb.103:                              ;   in Loop: Header=BB562_101 Depth=1
	;;#ASMSTART
	global_load_dwordx4 v[5:8], v[2:3] off glc	
s_waitcnt vmcnt(0)
	;;#ASMEND
	v_and_b32_e32 v4, 0xff, v7
	s_cmp_lt_u32 s20, 32
	s_cselect_b32 s21, -1, 0
	s_delay_alu instid0(VALU_DEP_1) | instskip(SKIP_3) | instid1(SALU_CYCLE_1)
	v_cmp_ne_u16_e32 vcc_lo, 0, v4
	s_cmp_lg_u32 s21, 0
	s_addc_u32 s20, s20, 0
	s_or_b32 s19, vcc_lo, s19
	s_and_not1_b32 exec_lo, exec_lo, s19
	s_cbranch_execnz .LBB562_101
; %bb.104:
	s_or_b32 exec_lo, exec_lo, s19
.LBB562_105:
	s_delay_alu instid0(SALU_CYCLE_1)
	s_or_b32 exec_lo, exec_lo, s15
	v_cmp_ne_u32_e32 vcc_lo, 31, v81
	v_and_b32_e32 v3, 0xff, v7
	v_lshlrev_b32_e64 v45, v81, -1
	v_add_nc_u32_e32 v47, 2, v81
	v_add_nc_u32_e32 v49, 4, v81
	v_add_co_ci_u32_e32 v2, vcc_lo, 0, v81, vcc_lo
	v_cmp_eq_u16_e32 vcc_lo, 2, v3
	v_add_nc_u32_e32 v51, 8, v81
	v_add_nc_u32_e32 v53, 16, v81
	v_and_or_b32 v8, vcc_lo, v45, 0x80000000
	v_cmp_gt_u32_e32 vcc_lo, 30, v81
	s_delay_alu instid0(VALU_DEP_2) | instskip(SKIP_2) | instid1(VALU_DEP_3)
	v_ctz_i32_b32_e32 v8, v8
	v_cndmask_b32_e64 v40, 0, 1, vcc_lo
	v_cmp_eq_u32_e32 vcc_lo, 0, v5
	v_cmp_lt_u32_e64 s15, v81, v8
	s_delay_alu instid0(VALU_DEP_3) | instskip(NEXT) | instid1(VALU_DEP_2)
	v_lshlrev_b32_e32 v40, 1, v40
	s_and_b32 vcc_lo, s15, vcc_lo
	v_lshlrev_b32_e32 v2, 2, v2
	s_delay_alu instid0(VALU_DEP_2)
	v_add_lshl_u32 v46, v40, v81, 2
	ds_bpermute_b32 v3, v2, v6
	s_waitcnt lgkmcnt(0)
	v_cndmask_b32_e32 v3, 0, v3, vcc_lo
	ds_bpermute_b32 v4, v2, v5
	v_cmp_gt_u32_e32 vcc_lo, 28, v81
	v_add_nc_u32_e32 v3, v3, v6
	ds_bpermute_b32 v6, v46, v3
	s_waitcnt lgkmcnt(1)
	v_cndmask_b32_e64 v4, 0, v4, s15
	s_delay_alu instid0(VALU_DEP_1) | instskip(SKIP_1) | instid1(VALU_DEP_2)
	v_add_nc_u32_e32 v4, v4, v5
	v_cndmask_b32_e64 v5, 0, 1, vcc_lo
	v_cmp_eq_u32_e32 vcc_lo, 0, v4
	ds_bpermute_b32 v40, v46, v4
	s_waitcnt lgkmcnt(1)
	v_dual_cndmask_b32 v6, 0, v6 :: v_dual_lshlrev_b32 v5, 2, v5
	v_cmp_gt_u32_e32 vcc_lo, v47, v8
	s_delay_alu instid0(VALU_DEP_2) | instskip(NEXT) | instid1(VALU_DEP_3)
	v_add_lshl_u32 v48, v5, v81, 2
	v_cndmask_b32_e64 v6, v6, 0, vcc_lo
	s_delay_alu instid0(VALU_DEP_1) | instskip(SKIP_4) | instid1(VALU_DEP_2)
	v_add_nc_u32_e32 v3, v6, v3
	ds_bpermute_b32 v5, v48, v3
	s_waitcnt lgkmcnt(1)
	v_cndmask_b32_e64 v6, v40, 0, vcc_lo
	v_cmp_gt_u32_e32 vcc_lo, 24, v81
	v_add_nc_u32_e32 v4, v4, v6
	v_cndmask_b32_e64 v40, 0, 1, vcc_lo
	ds_bpermute_b32 v6, v48, v4
	v_cmp_eq_u32_e32 vcc_lo, 0, v4
	v_lshlrev_b32_e32 v40, 3, v40
	s_delay_alu instid0(VALU_DEP_1) | instskip(SKIP_3) | instid1(VALU_DEP_2)
	v_add_lshl_u32 v50, v40, v81, 2
	s_waitcnt lgkmcnt(1)
	v_cndmask_b32_e32 v5, 0, v5, vcc_lo
	v_cmp_gt_u32_e32 vcc_lo, v49, v8
	v_cndmask_b32_e64 v5, v5, 0, vcc_lo
	s_delay_alu instid0(VALU_DEP_1)
	v_add_nc_u32_e32 v3, v3, v5
	s_waitcnt lgkmcnt(0)
	v_cndmask_b32_e64 v6, v6, 0, vcc_lo
	v_cmp_gt_u32_e32 vcc_lo, 16, v81
	ds_bpermute_b32 v5, v50, v3
	v_add_nc_u32_e32 v4, v4, v6
	v_cndmask_b32_e64 v40, 0, 1, vcc_lo
	ds_bpermute_b32 v6, v50, v4
	v_cmp_eq_u32_e32 vcc_lo, 0, v4
	v_lshlrev_b32_e32 v40, 4, v40
	s_delay_alu instid0(VALU_DEP_1) | instskip(SKIP_3) | instid1(VALU_DEP_2)
	v_add_lshl_u32 v52, v40, v81, 2
	s_waitcnt lgkmcnt(1)
	v_dual_mov_b32 v40, 0 :: v_dual_cndmask_b32 v5, 0, v5
	v_cmp_gt_u32_e32 vcc_lo, v51, v8
	v_cndmask_b32_e64 v5, v5, 0, vcc_lo
	s_delay_alu instid0(VALU_DEP_1)
	v_add_nc_u32_e32 v3, v3, v5
	s_waitcnt lgkmcnt(0)
	v_cndmask_b32_e64 v5, v6, 0, vcc_lo
	ds_bpermute_b32 v6, v52, v3
	v_add_nc_u32_e32 v4, v4, v5
	ds_bpermute_b32 v5, v52, v4
	v_cmp_eq_u32_e32 vcc_lo, 0, v4
	s_waitcnt lgkmcnt(1)
	v_cndmask_b32_e32 v6, 0, v6, vcc_lo
	v_cmp_gt_u32_e32 vcc_lo, v53, v8
	s_delay_alu instid0(VALU_DEP_2) | instskip(SKIP_2) | instid1(VALU_DEP_2)
	v_cndmask_b32_e64 v6, v6, 0, vcc_lo
	s_waitcnt lgkmcnt(0)
	v_cndmask_b32_e64 v5, v5, 0, vcc_lo
	v_add_nc_u32_e32 v6, v6, v3
	s_delay_alu instid0(VALU_DEP_2)
	v_add_nc_u32_e32 v5, v5, v4
	s_branch .LBB562_107
.LBB562_106:                            ;   in Loop: Header=BB562_107 Depth=1
	s_or_b32 exec_lo, exec_lo, s15
	v_and_b32_e32 v8, 0xff, v7
	ds_bpermute_b32 v41, v2, v5
	v_subrev_nc_u32_e32 v39, 32, v39
	v_cmp_eq_u16_e32 vcc_lo, 2, v8
	ds_bpermute_b32 v8, v2, v6
	v_and_or_b32 v42, vcc_lo, v45, 0x80000000
	v_cmp_eq_u32_e32 vcc_lo, 0, v5
	s_delay_alu instid0(VALU_DEP_2) | instskip(NEXT) | instid1(VALU_DEP_1)
	v_ctz_i32_b32_e32 v42, v42
	v_cmp_lt_u32_e64 s15, v81, v42
	s_delay_alu instid0(VALU_DEP_1) | instskip(SKIP_4) | instid1(VALU_DEP_2)
	s_and_b32 vcc_lo, s15, vcc_lo
	s_waitcnt lgkmcnt(1)
	v_cndmask_b32_e64 v41, 0, v41, s15
	s_waitcnt lgkmcnt(0)
	v_cndmask_b32_e32 v8, 0, v8, vcc_lo
	v_add_nc_u32_e32 v5, v41, v5
	s_delay_alu instid0(VALU_DEP_2)
	v_add_nc_u32_e32 v6, v8, v6
	ds_bpermute_b32 v41, v46, v5
	ds_bpermute_b32 v8, v46, v6
	v_cmp_eq_u32_e32 vcc_lo, 0, v5
	s_waitcnt lgkmcnt(0)
	v_cndmask_b32_e32 v8, 0, v8, vcc_lo
	v_cmp_gt_u32_e32 vcc_lo, v47, v42
	v_cndmask_b32_e64 v41, v41, 0, vcc_lo
	s_delay_alu instid0(VALU_DEP_1) | instskip(NEXT) | instid1(VALU_DEP_4)
	v_add_nc_u32_e32 v5, v5, v41
	v_cndmask_b32_e64 v8, v8, 0, vcc_lo
	ds_bpermute_b32 v41, v48, v5
	v_add_nc_u32_e32 v6, v8, v6
	v_cmp_eq_u32_e32 vcc_lo, 0, v5
	ds_bpermute_b32 v8, v48, v6
	s_waitcnt lgkmcnt(0)
	v_cndmask_b32_e32 v8, 0, v8, vcc_lo
	v_cmp_gt_u32_e32 vcc_lo, v49, v42
	v_cndmask_b32_e64 v41, v41, 0, vcc_lo
	s_delay_alu instid0(VALU_DEP_1) | instskip(NEXT) | instid1(VALU_DEP_4)
	v_add_nc_u32_e32 v5, v5, v41
	v_cndmask_b32_e64 v8, v8, 0, vcc_lo
	ds_bpermute_b32 v41, v50, v5
	v_add_nc_u32_e32 v6, v6, v8
	v_cmp_eq_u32_e32 vcc_lo, 0, v5
	ds_bpermute_b32 v8, v50, v6
	;; [unrolled: 11-line block ×3, first 2 shown]
	s_waitcnt lgkmcnt(0)
	v_cndmask_b32_e32 v8, 0, v8, vcc_lo
	v_cmp_gt_u32_e32 vcc_lo, v53, v42
	s_delay_alu instid0(VALU_DEP_2) | instskip(NEXT) | instid1(VALU_DEP_1)
	v_cndmask_b32_e64 v8, v8, 0, vcc_lo
	v_add_nc_u32_e32 v6, v8, v6
	v_cndmask_b32_e64 v8, v41, 0, vcc_lo
	v_cmp_eq_u32_e32 vcc_lo, 0, v3
	s_delay_alu instid0(VALU_DEP_2) | instskip(NEXT) | instid1(VALU_DEP_4)
	v_add3_u32 v5, v5, v3, v8
	v_cndmask_b32_e32 v6, 0, v6, vcc_lo
	s_delay_alu instid0(VALU_DEP_1)
	v_add_nc_u32_e32 v6, v6, v4
.LBB562_107:                            ; =>This Loop Header: Depth=1
                                        ;     Child Loop BB562_110 Depth 2
                                        ;       Child Loop BB562_111 Depth 3
	s_delay_alu instid0(VALU_DEP_1) | instskip(NEXT) | instid1(VALU_DEP_1)
	v_dual_mov_b32 v4, v6 :: v_dual_and_b32 v3, 0xff, v7
	v_cmp_ne_u16_e32 vcc_lo, 2, v3
	v_cndmask_b32_e64 v3, 0, 1, vcc_lo
	;;#ASMSTART
	;;#ASMEND
	s_delay_alu instid0(VALU_DEP_1)
	v_cmp_ne_u32_e32 vcc_lo, 0, v3
	v_mov_b32_e32 v3, v5
	s_cmp_lg_u32 vcc_lo, exec_lo
	s_cbranch_scc1 .LBB562_114
; %bb.108:                              ;   in Loop: Header=BB562_107 Depth=1
	v_lshlrev_b64 v[5:6], 4, v[39:40]
	s_mov_b32 s15, exec_lo
	s_delay_alu instid0(VALU_DEP_1) | instskip(NEXT) | instid1(VALU_DEP_2)
	v_add_co_u32 v41, vcc_lo, s36, v5
	v_add_co_ci_u32_e32 v42, vcc_lo, s37, v6, vcc_lo
	;;#ASMSTART
	global_load_dwordx4 v[5:8], v[41:42] off glc	
s_waitcnt vmcnt(0)
	;;#ASMEND
	v_and_b32_e32 v8, 0xff, v6
	v_and_b32_e32 v54, 0xff00, v6
	;; [unrolled: 1-line block ×3, first 2 shown]
	v_or3_b32 v5, v5, 0, 0
	v_and_b32_e32 v6, 0xff000000, v6
	s_delay_alu instid0(VALU_DEP_4) | instskip(SKIP_1) | instid1(VALU_DEP_4)
	v_or3_b32 v8, 0, v8, v54
	v_and_b32_e32 v54, 0xff, v7
	v_or3_b32 v5, v5, 0, 0
	s_delay_alu instid0(VALU_DEP_3) | instskip(NEXT) | instid1(VALU_DEP_3)
	v_or3_b32 v6, v8, v55, v6
	v_cmpx_eq_u16_e32 0, v54
	s_cbranch_execz .LBB562_106
; %bb.109:                              ;   in Loop: Header=BB562_107 Depth=1
	s_mov_b32 s20, 1
	s_mov_b32 s19, 0
	.p2align	6
.LBB562_110:                            ;   Parent Loop BB562_107 Depth=1
                                        ; =>  This Loop Header: Depth=2
                                        ;       Child Loop BB562_111 Depth 3
	s_max_u32 s21, s20, 1
.LBB562_111:                            ;   Parent Loop BB562_107 Depth=1
                                        ;     Parent Loop BB562_110 Depth=2
                                        ; =>    This Inner Loop Header: Depth=3
	s_delay_alu instid0(SALU_CYCLE_1)
	s_add_i32 s21, s21, -1
	s_sleep 1
	s_cmp_eq_u32 s21, 0
	s_cbranch_scc0 .LBB562_111
; %bb.112:                              ;   in Loop: Header=BB562_110 Depth=2
	;;#ASMSTART
	global_load_dwordx4 v[5:8], v[41:42] off glc	
s_waitcnt vmcnt(0)
	;;#ASMEND
	v_and_b32_e32 v8, 0xff, v7
	s_cmp_lt_u32 s20, 32
	s_cselect_b32 s21, -1, 0
	s_delay_alu instid0(SALU_CYCLE_1) | instskip(NEXT) | instid1(VALU_DEP_1)
	s_cmp_lg_u32 s21, 0
	v_cmp_ne_u16_e32 vcc_lo, 0, v8
	s_addc_u32 s20, s20, 0
	s_or_b32 s19, vcc_lo, s19
	s_delay_alu instid0(SALU_CYCLE_1)
	s_and_not1_b32 exec_lo, exec_lo, s19
	s_cbranch_execnz .LBB562_110
; %bb.113:                              ;   in Loop: Header=BB562_107 Depth=1
	s_or_b32 exec_lo, exec_lo, s19
	s_branch .LBB562_106
.LBB562_114:                            ;   in Loop: Header=BB562_107 Depth=1
                                        ; implicit-def: $vgpr6
                                        ; implicit-def: $vgpr5
                                        ; implicit-def: $vgpr7
	s_cbranch_execz .LBB562_107
; %bb.115:
	s_and_saveexec_b32 s15, s14
	s_cbranch_execz .LBB562_117
; %bb.116:
	v_cmp_eq_u32_e32 vcc_lo, 0, v1
	s_mov_b32 s21, 0
	s_add_i32 s20, s48, 32
	v_add_nc_u32_e32 v5, v3, v1
	s_lshl_b64 s[20:21], s[20:21], 4
	v_cndmask_b32_e32 v2, 0, v4, vcc_lo
	s_add_u32 s20, s36, s20
	s_addc_u32 s21, s37, s21
	v_mov_b32_e32 v8, 0
	s_delay_alu instid0(VALU_DEP_2) | instskip(NEXT) | instid1(VALU_DEP_1)
	v_add_nc_u32_e32 v2, s18, v2
	v_and_b32_e32 v6, 0xff000000, v2
	v_and_b32_e32 v7, 0xff0000, v2
	s_delay_alu instid0(VALU_DEP_1) | instskip(SKIP_3) | instid1(VALU_DEP_1)
	v_or_b32_e32 v6, v7, v6
	v_mov_b32_e32 v7, 2
	v_and_b32_e32 v39, 0xff00, v2
	v_and_b32_e32 v2, 0xff, v2
	v_or3_b32 v6, v6, v39, v2
	v_mov_b32_e32 v2, s18
	v_dual_mov_b32 v40, s21 :: v_dual_mov_b32 v39, s20
	;;#ASMSTART
	global_store_dwordx4 v[39:40], v[5:8] off	
s_waitcnt vmcnt(0)
	;;#ASMEND
	ds_store_b128 v8, v[1:4] offset:2048
.LBB562_117:
	s_or_b32 exec_lo, exec_lo, s15
	s_delay_alu instid0(SALU_CYCLE_1)
	s_and_b32 exec_lo, exec_lo, s2
	s_cbranch_execz .LBB562_119
; %bb.118:
	v_mov_b32_e32 v1, 0
	ds_store_b64 v1, v[3:4] offset:2120
.LBB562_119:
	s_or_b32 exec_lo, exec_lo, s17
	s_waitcnt lgkmcnt(1)
	v_cndmask_b32_e64 v4, v43, v37, s14
	s_waitcnt lgkmcnt(0)
	s_barrier
	buffer_gl0_inv
	v_cndmask_b32_e64 v5, v44, v38, s14
	v_cmp_eq_u32_e32 vcc_lo, 0, v4
	v_mov_b32_e32 v3, 0
	ds_load_b64 v[1:2], v3 offset:2120
	s_waitcnt lgkmcnt(0)
	s_barrier
	buffer_gl0_inv
	v_cndmask_b32_e32 v6, 0, v2, vcc_lo
	v_cmp_eq_u32_e32 vcc_lo, 0, v78
	s_delay_alu instid0(VALU_DEP_2) | instskip(NEXT) | instid1(VALU_DEP_1)
	v_add_nc_u32_e32 v5, v6, v5
	v_cndmask_b32_e64 v54, v5, v2, s2
	s_delay_alu instid0(VALU_DEP_1) | instskip(NEXT) | instid1(VALU_DEP_1)
	v_cndmask_b32_e32 v2, 0, v54, vcc_lo
	v_add_nc_u32_e32 v60, v2, v35
	s_delay_alu instid0(VALU_DEP_1) | instskip(NEXT) | instid1(VALU_DEP_1)
	v_cndmask_b32_e64 v2, 0, v60, s13
	v_add_nc_u32_e32 v56, v2, v36
	s_delay_alu instid0(VALU_DEP_1) | instskip(NEXT) | instid1(VALU_DEP_1)
	v_cndmask_b32_e64 v2, 0, v56, s12
	;; [unrolled: 3-line block ×5, first 2 shown]
	v_add_nc_u32_e32 v40, v2, v32
	v_cndmask_b32_e64 v2, v4, 0, s2
	s_delay_alu instid0(VALU_DEP_2) | instskip(NEXT) | instid1(VALU_DEP_2)
	v_cndmask_b32_e64 v4, 0, v40, s8
	v_add_nc_u32_e32 v53, v1, v2
	s_delay_alu instid0(VALU_DEP_2) | instskip(NEXT) | instid1(VALU_DEP_1)
	v_add_nc_u32_e32 v44, v4, v29
	v_cndmask_b32_e64 v1, 0, v44, s7
	s_delay_alu instid0(VALU_DEP_1) | instskip(NEXT) | instid1(VALU_DEP_1)
	v_add_nc_u32_e32 v48, v1, v30
	v_cndmask_b32_e64 v1, 0, v48, s6
	s_delay_alu instid0(VALU_DEP_1) | instskip(NEXT) | instid1(VALU_DEP_1)
	;; [unrolled: 3-line block ×3, first 2 shown]
	v_add_nc_u32_e32 v8, v1, v28
	v_cndmask_b32_e64 v1, 0, v8, s4
	s_delay_alu instid0(VALU_DEP_1) | instskip(SKIP_2) | instid1(VALU_DEP_1)
	v_add_nc_u32_e32 v38, v1, v25
	ds_load_b128 v[1:4], v3 offset:2048
	v_cndmask_b32_e64 v37, 0, v38, s3
	v_add_nc_u32_e32 v62, v37, v26
	s_delay_alu instid0(VALU_DEP_1) | instskip(NEXT) | instid1(VALU_DEP_1)
	v_cndmask_b32_e64 v49, 0, v62, s1
	v_add_nc_u32_e32 v58, v49, v23
	s_waitcnt lgkmcnt(0)
	v_cmp_eq_u32_e32 vcc_lo, 0, v1
	s_delay_alu instid0(VALU_DEP_2) | instskip(SKIP_1) | instid1(VALU_DEP_2)
	v_cndmask_b32_e64 v50, 0, v58, s0
	v_dual_cndmask_b32 v4, 0, v4 :: v_dual_add_nc_u32 v59, v53, v78
	v_add_nc_u32_e32 v50, v50, v24
	s_delay_alu instid0(VALU_DEP_2) | instskip(NEXT) | instid1(VALU_DEP_3)
	v_add_nc_u32_e32 v80, v4, v2
	v_add_nc_u32_e32 v55, v59, v77
	s_delay_alu instid0(VALU_DEP_1) | instskip(NEXT) | instid1(VALU_DEP_1)
	v_add_nc_u32_e32 v51, v55, v76
	v_add_nc_u32_e32 v45, v51, v75
	s_delay_alu instid0(VALU_DEP_1) | instskip(NEXT) | instid1(VALU_DEP_1)
	;; [unrolled: 3-line block ×6, first 2 shown]
	v_add_nc_u32_e32 v57, v61, v65
	v_add_nc_u32_e32 v49, v57, v64
	s_branch .LBB562_132
.LBB562_120:
                                        ; implicit-def: $vgpr1
                                        ; implicit-def: $vgpr80
                                        ; implicit-def: $vgpr53_vgpr54
                                        ; implicit-def: $vgpr59_vgpr60
                                        ; implicit-def: $vgpr55_vgpr56
                                        ; implicit-def: $vgpr51_vgpr52
                                        ; implicit-def: $vgpr45_vgpr46
                                        ; implicit-def: $vgpr41_vgpr42
                                        ; implicit-def: $vgpr39_vgpr40
                                        ; implicit-def: $vgpr43_vgpr44
                                        ; implicit-def: $vgpr47_vgpr48
                                        ; implicit-def: $vgpr5_vgpr6
                                        ; implicit-def: $vgpr7_vgpr8
                                        ; implicit-def: $vgpr37_vgpr38
                                        ; implicit-def: $vgpr61_vgpr62
                                        ; implicit-def: $vgpr57_vgpr58
                                        ; implicit-def: $vgpr49_vgpr50
	s_cbranch_execz .LBB562_132
; %bb.121:
	s_and_b32 s0, s16, exec_lo
	v_mov_b32_e32 v49, v35
	s_cselect_b32 s1, 0, s35
	s_cselect_b32 s0, 0, s34
	s_delay_alu instid0(SALU_CYCLE_1)
	s_cmp_eq_u64 s[0:1], 0
	s_cbranch_scc1 .LBB562_123
; %bb.122:
	v_mov_b32_e32 v1, 0
	global_load_b32 v49, v1, s[0:1]
.LBB562_123:
	v_cmp_eq_u32_e64 s7, 0, v77
	v_cmp_eq_u32_e64 s8, 0, v76
	;; [unrolled: 1-line block ×5, first 2 shown]
	v_cndmask_b32_e64 v1, 0, v35, s7
	v_cmp_eq_u32_e64 s12, 0, v72
	v_cmp_eq_u32_e64 s6, 0, v70
	;; [unrolled: 1-line block ×4, first 2 shown]
	v_add_nc_u32_e32 v1, v1, v36
	v_cmp_eq_u32_e64 s3, 0, v67
	v_add3_u32 v2, v84, v73, v72
	v_cmp_eq_u32_e64 s1, 0, v66
	v_cmp_eq_u32_e32 vcc_lo, 0, v65
	v_cndmask_b32_e64 v1, 0, v1, s8
	v_cmp_eq_u32_e64 s0, 0, v64
	v_add3_u32 v2, v2, v70, v69
	v_cmp_eq_u32_e64 s13, 0, v71
	v_and_b32_e32 v4, 15, v81
	v_add_nc_u32_e32 v1, v1, v33
	s_delay_alu instid0(VALU_DEP_4) | instskip(NEXT) | instid1(VALU_DEP_3)
	v_add3_u32 v2, v2, v68, v67
	v_cmp_lt_u32_e64 s14, 1, v4
	s_delay_alu instid0(VALU_DEP_3) | instskip(NEXT) | instid1(VALU_DEP_3)
	v_cndmask_b32_e64 v1, 0, v1, s9
	v_add3_u32 v2, v2, v66, v65
	s_delay_alu instid0(VALU_DEP_2) | instskip(NEXT) | instid1(VALU_DEP_2)
	v_add_nc_u32_e32 v1, v1, v34
	v_add3_u32 v2, v2, v64, v71
	s_delay_alu instid0(VALU_DEP_2) | instskip(NEXT) | instid1(VALU_DEP_2)
	v_cndmask_b32_e64 v1, 0, v1, s10
	v_mov_b32_dpp v5, v2 row_shr:1 row_mask:0xf bank_mask:0xf
	s_delay_alu instid0(VALU_DEP_2) | instskip(NEXT) | instid1(VALU_DEP_1)
	v_add_nc_u32_e32 v1, v1, v31
	v_cndmask_b32_e64 v1, 0, v1, s11
	s_delay_alu instid0(VALU_DEP_1) | instskip(NEXT) | instid1(VALU_DEP_1)
	v_add_nc_u32_e32 v1, v1, v32
	v_cndmask_b32_e64 v1, 0, v1, s12
	s_delay_alu instid0(VALU_DEP_1) | instskip(NEXT) | instid1(VALU_DEP_1)
	;; [unrolled: 3-line block ×7, first 2 shown]
	v_add_nc_u32_e32 v1, v1, v26
	v_cndmask_b32_e32 v1, 0, v1, vcc_lo
	s_delay_alu instid0(VALU_DEP_1) | instskip(NEXT) | instid1(VALU_DEP_1)
	v_add_nc_u32_e32 v1, v1, v23
	v_cndmask_b32_e64 v1, 0, v1, s0
	s_delay_alu instid0(VALU_DEP_1) | instskip(NEXT) | instid1(VALU_DEP_1)
	v_add_nc_u32_e32 v1, v1, v24
	v_cndmask_b32_e64 v1, 0, v1, s13
	v_cmp_eq_u32_e64 s13, 0, v2
	s_delay_alu instid0(VALU_DEP_2) | instskip(NEXT) | instid1(VALU_DEP_1)
	v_add_nc_u32_e32 v1, v1, v79
	v_mov_b32_dpp v3, v1 row_shr:1 row_mask:0xf bank_mask:0xf
	s_delay_alu instid0(VALU_DEP_1) | instskip(SKIP_1) | instid1(VALU_DEP_1)
	v_cndmask_b32_e64 v3, 0, v3, s13
	v_cmp_eq_u32_e64 s13, 0, v4
	v_cndmask_b32_e64 v5, v5, 0, s13
	s_delay_alu instid0(VALU_DEP_3) | instskip(NEXT) | instid1(VALU_DEP_2)
	v_cndmask_b32_e64 v3, v3, 0, s13
	v_add_nc_u32_e32 v2, v5, v2
	s_delay_alu instid0(VALU_DEP_2) | instskip(NEXT) | instid1(VALU_DEP_2)
	v_add_nc_u32_e32 v1, v3, v1
	v_mov_b32_dpp v3, v2 row_shr:2 row_mask:0xf bank_mask:0xf
	v_cmp_eq_u32_e64 s13, 0, v2
	s_delay_alu instid0(VALU_DEP_3) | instskip(NEXT) | instid1(VALU_DEP_3)
	v_mov_b32_dpp v5, v1 row_shr:2 row_mask:0xf bank_mask:0xf
	v_cndmask_b32_e64 v3, 0, v3, s14
	s_delay_alu instid0(VALU_DEP_3) | instskip(SKIP_1) | instid1(VALU_DEP_3)
	s_and_b32 s13, s14, s13
	v_cmp_lt_u32_e64 s14, 3, v4
	v_cndmask_b32_e64 v5, 0, v5, s13
	s_delay_alu instid0(VALU_DEP_3) | instskip(NEXT) | instid1(VALU_DEP_2)
	v_add_nc_u32_e32 v2, v2, v3
	v_add_nc_u32_e32 v1, v5, v1
	s_delay_alu instid0(VALU_DEP_2) | instskip(SKIP_1) | instid1(VALU_DEP_3)
	v_mov_b32_dpp v3, v2 row_shr:4 row_mask:0xf bank_mask:0xf
	v_cmp_eq_u32_e64 s13, 0, v2
	v_mov_b32_dpp v5, v1 row_shr:4 row_mask:0xf bank_mask:0xf
	s_delay_alu instid0(VALU_DEP_3) | instskip(NEXT) | instid1(VALU_DEP_3)
	v_cndmask_b32_e64 v3, 0, v3, s14
	s_and_b32 s13, s14, s13
	v_cmp_lt_u32_e64 s14, 7, v4
	s_delay_alu instid0(VALU_DEP_3) | instskip(NEXT) | instid1(VALU_DEP_3)
	v_cndmask_b32_e64 v5, 0, v5, s13
	v_add_nc_u32_e32 v2, v3, v2
	s_delay_alu instid0(VALU_DEP_2) | instskip(SKIP_1) | instid1(VALU_DEP_3)
	v_add_nc_u32_e32 v1, v1, v5
	v_bfe_i32 v5, v81, 4, 1
	v_cmp_eq_u32_e64 s13, 0, v2
	v_mov_b32_dpp v3, v2 row_shr:8 row_mask:0xf bank_mask:0xf
	s_delay_alu instid0(VALU_DEP_4) | instskip(NEXT) | instid1(VALU_DEP_3)
	v_mov_b32_dpp v4, v1 row_shr:8 row_mask:0xf bank_mask:0xf
	s_and_b32 s13, s14, s13
	s_delay_alu instid0(VALU_DEP_2) | instskip(SKIP_1) | instid1(VALU_DEP_2)
	v_cndmask_b32_e64 v3, 0, v3, s14
	s_mov_b32 s14, exec_lo
	v_cndmask_b32_e64 v4, 0, v4, s13
	s_delay_alu instid0(VALU_DEP_1) | instskip(NEXT) | instid1(VALU_DEP_3)
	v_add_nc_u32_e32 v4, v4, v1
	v_add_nc_u32_e32 v1, v3, v2
	ds_swizzle_b32 v2, v4 offset:swizzle(BROADCAST,32,15)
	ds_swizzle_b32 v3, v1 offset:swizzle(BROADCAST,32,15)
	v_cmp_eq_u32_e64 s13, 0, v1
	s_waitcnt lgkmcnt(1)
	s_delay_alu instid0(VALU_DEP_1) | instskip(SKIP_2) | instid1(VALU_DEP_2)
	v_cndmask_b32_e64 v2, 0, v2, s13
	s_waitcnt lgkmcnt(0)
	v_and_b32_e32 v3, v5, v3
	v_and_b32_e32 v2, v5, v2
	s_delay_alu instid0(VALU_DEP_2) | instskip(NEXT) | instid1(VALU_DEP_2)
	v_add_nc_u32_e32 v1, v3, v1
	v_add_nc_u32_e32 v2, v2, v4
	v_cmpx_eq_u32_e64 v83, v0
	s_cbranch_execz .LBB562_125
; %bb.124:
	v_lshlrev_b32_e32 v3, 3, v82
	ds_store_b64 v3, v[1:2] offset:2064
.LBB562_125:
	s_or_b32 exec_lo, exec_lo, s14
	s_delay_alu instid0(SALU_CYCLE_1)
	s_mov_b32 s15, exec_lo
	s_waitcnt vmcnt(0) lgkmcnt(0)
	s_barrier
	buffer_gl0_inv
	v_cmpx_gt_u32_e32 8, v0
	s_cbranch_execz .LBB562_127
; %bb.126:
	v_lshlrev_b32_e32 v5, 3, v0
	v_and_b32_e32 v7, 7, v81
	ds_load_b64 v[3:4], v5 offset:2064
	v_cmp_lt_u32_e64 s14, 1, v7
	s_waitcnt lgkmcnt(0)
	v_mov_b32_dpp v6, v4 row_shr:1 row_mask:0xf bank_mask:0xf
	v_cmp_eq_u32_e64 s13, 0, v3
	v_mov_b32_dpp v8, v3 row_shr:1 row_mask:0xf bank_mask:0xf
	s_delay_alu instid0(VALU_DEP_2) | instskip(SKIP_1) | instid1(VALU_DEP_1)
	v_cndmask_b32_e64 v6, 0, v6, s13
	v_cmp_eq_u32_e64 s13, 0, v7
	v_cndmask_b32_e64 v8, v8, 0, s13
	s_delay_alu instid0(VALU_DEP_3) | instskip(NEXT) | instid1(VALU_DEP_2)
	v_cndmask_b32_e64 v6, v6, 0, s13
	v_add_nc_u32_e32 v3, v8, v3
	s_delay_alu instid0(VALU_DEP_2) | instskip(NEXT) | instid1(VALU_DEP_2)
	v_add_nc_u32_e32 v4, v6, v4
	v_mov_b32_dpp v6, v3 row_shr:2 row_mask:0xf bank_mask:0xf
	v_cmp_eq_u32_e64 s13, 0, v3
	s_delay_alu instid0(VALU_DEP_3) | instskip(NEXT) | instid1(VALU_DEP_3)
	v_mov_b32_dpp v8, v4 row_shr:2 row_mask:0xf bank_mask:0xf
	v_cndmask_b32_e64 v6, 0, v6, s14
	s_delay_alu instid0(VALU_DEP_3) | instskip(SKIP_1) | instid1(VALU_DEP_3)
	s_and_b32 s13, s14, s13
	v_cmp_lt_u32_e64 s14, 3, v7
	v_cndmask_b32_e64 v8, 0, v8, s13
	s_delay_alu instid0(VALU_DEP_3) | instskip(NEXT) | instid1(VALU_DEP_2)
	v_add_nc_u32_e32 v3, v6, v3
	v_add_nc_u32_e32 v4, v8, v4
	s_delay_alu instid0(VALU_DEP_2) | instskip(SKIP_1) | instid1(VALU_DEP_3)
	v_cmp_eq_u32_e64 s13, 0, v3
	v_mov_b32_dpp v6, v3 row_shr:4 row_mask:0xf bank_mask:0xf
	v_mov_b32_dpp v7, v4 row_shr:4 row_mask:0xf bank_mask:0xf
	s_delay_alu instid0(VALU_DEP_3) | instskip(NEXT) | instid1(VALU_DEP_2)
	s_and_b32 s13, s14, s13
	v_cndmask_b32_e64 v6, 0, v6, s14
	s_delay_alu instid0(VALU_DEP_2) | instskip(NEXT) | instid1(VALU_DEP_2)
	v_cndmask_b32_e64 v7, 0, v7, s13
	v_add_nc_u32_e32 v3, v6, v3
	s_delay_alu instid0(VALU_DEP_2)
	v_add_nc_u32_e32 v4, v7, v4
	ds_store_b64 v5, v[3:4] offset:2064
.LBB562_127:
	s_or_b32 exec_lo, exec_lo, s15
	v_dual_mov_b32 v7, 0 :: v_dual_mov_b32 v4, v49
	v_mov_b32_e32 v3, 0
	s_mov_b32 s14, exec_lo
	s_waitcnt lgkmcnt(0)
	s_barrier
	buffer_gl0_inv
	v_cmpx_lt_u32_e32 31, v0
	s_cbranch_execz .LBB562_129
; %bb.128:
	v_lshlrev_b32_e32 v3, 3, v82
	ds_load_b64 v[3:4], v3 offset:2056
	s_waitcnt lgkmcnt(0)
	v_cmp_eq_u32_e64 s13, 0, v3
	s_delay_alu instid0(VALU_DEP_1) | instskip(NEXT) | instid1(VALU_DEP_1)
	v_cndmask_b32_e64 v5, 0, v49, s13
	v_add_nc_u32_e32 v4, v5, v4
.LBB562_129:
	s_or_b32 exec_lo, exec_lo, s14
	v_add_nc_u32_e32 v5, -1, v81
	s_delay_alu instid0(VALU_DEP_1) | instskip(NEXT) | instid1(VALU_DEP_1)
	v_cmp_gt_i32_e64 s13, 0, v5
	v_cndmask_b32_e64 v5, v5, v81, s13
	v_cmp_eq_u32_e64 s13, 0, v1
	v_add_nc_u32_e32 v1, v3, v1
	s_delay_alu instid0(VALU_DEP_3) | instskip(NEXT) | instid1(VALU_DEP_3)
	v_lshlrev_b32_e32 v5, 2, v5
	v_cndmask_b32_e64 v6, 0, v4, s13
	v_cmp_eq_u32_e64 s13, 0, v81
	ds_bpermute_b32 v1, v5, v1
	v_add_nc_u32_e32 v2, v6, v2
	ds_bpermute_b32 v2, v5, v2
	s_waitcnt lgkmcnt(1)
	v_cndmask_b32_e64 v1, v1, v3, s13
	s_delay_alu instid0(VALU_DEP_1) | instskip(SKIP_3) | instid1(VALU_DEP_2)
	v_cndmask_b32_e64 v53, v1, 0, s2
	s_waitcnt lgkmcnt(0)
	v_cndmask_b32_e64 v2, v2, v4, s13
	v_cmp_eq_u32_e64 s13, 0, v78
	v_cndmask_b32_e64 v54, v2, v49, s2
	s_delay_alu instid0(VALU_DEP_1) | instskip(NEXT) | instid1(VALU_DEP_1)
	v_cndmask_b32_e64 v2, 0, v54, s13
	v_add_nc_u32_e32 v60, v2, v35
	s_delay_alu instid0(VALU_DEP_1) | instskip(NEXT) | instid1(VALU_DEP_1)
	v_cndmask_b32_e64 v2, 0, v60, s7
	v_add_nc_u32_e32 v56, v2, v36
	;; [unrolled: 3-line block ×11, first 2 shown]
	ds_load_b64 v[1:2], v7 offset:2120
	v_cndmask_b32_e64 v3, 0, v38, s1
	s_delay_alu instid0(VALU_DEP_1) | instskip(NEXT) | instid1(VALU_DEP_1)
	v_add_nc_u32_e32 v62, v3, v26
	v_cndmask_b32_e32 v3, 0, v62, vcc_lo
	s_delay_alu instid0(VALU_DEP_1) | instskip(SKIP_3) | instid1(VALU_DEP_3)
	v_add_nc_u32_e32 v58, v3, v23
	s_waitcnt lgkmcnt(0)
	v_cmp_eq_u32_e32 vcc_lo, 0, v1
	v_add_nc_u32_e32 v59, v53, v78
	v_cndmask_b32_e64 v3, 0, v58, s0
	v_cndmask_b32_e32 v4, 0, v49, vcc_lo
	s_delay_alu instid0(VALU_DEP_3) | instskip(NEXT) | instid1(VALU_DEP_3)
	v_add_nc_u32_e32 v55, v59, v77
	v_add_nc_u32_e32 v50, v3, v24
	s_delay_alu instid0(VALU_DEP_3) | instskip(NEXT) | instid1(VALU_DEP_3)
	v_add_nc_u32_e32 v80, v4, v2
	v_add_nc_u32_e32 v51, v55, v76
	s_delay_alu instid0(VALU_DEP_1) | instskip(NEXT) | instid1(VALU_DEP_1)
	v_add_nc_u32_e32 v45, v51, v75
	v_add_nc_u32_e32 v41, v45, v74
	s_delay_alu instid0(VALU_DEP_1) | instskip(NEXT) | instid1(VALU_DEP_1)
	;; [unrolled: 3-line block ×5, first 2 shown]
	v_add_nc_u32_e32 v61, v37, v66
	v_add_nc_u32_e32 v57, v61, v65
	s_delay_alu instid0(VALU_DEP_1)
	v_add_nc_u32_e32 v49, v57, v64
	s_and_saveexec_b32 s0, s2
	s_cbranch_execz .LBB562_131
; %bb.130:
	v_and_b32_e32 v2, 0xff000000, v80
	v_dual_mov_b32 v4, 0 :: v_dual_and_b32 v3, 0xff0000, v80
	s_add_u32 s4, s36, 0x200
	v_and_b32_e32 v23, 0xff00, v80
	s_addc_u32 s5, s37, 0
	v_and_b32_e32 v24, 0xff, v80
	v_or_b32_e32 v2, v3, v2
	v_mov_b32_e32 v3, 2
	s_delay_alu instid0(VALU_DEP_2)
	v_or3_b32 v2, v2, v23, v24
	v_dual_mov_b32 v24, s5 :: v_dual_mov_b32 v23, s4
	;;#ASMSTART
	global_store_dwordx4 v[23:24], v[1:4] off	
s_waitcnt vmcnt(0)
	;;#ASMEND
.LBB562_131:
	s_or_b32 exec_lo, exec_lo, s0
	v_mov_b32_e32 v3, 0
.LBB562_132:
	v_mov_b32_e32 v23, 0
	s_and_b32 s0, s16, exec_lo
	v_mov_b32_e32 v24, 0
	s_cselect_b32 s1, 0, s47
	s_cselect_b32 s0, 0, s46
	s_delay_alu instid0(SALU_CYCLE_1)
	s_cmp_eq_u64 s[0:1], 0
	s_barrier
	buffer_gl0_inv
	s_cbranch_scc1 .LBB562_134
; %bb.133:
	v_mov_b32_e32 v2, 0
	global_load_b64 v[23:24], v2, s[0:1]
.LBB562_134:
	v_cmp_eq_u32_e32 vcc_lo, 0, v78
	v_cmp_ne_u32_e64 s15, 0, v78
	v_cmp_ne_u32_e64 s14, 0, v77
	;; [unrolled: 1-line block ×4, first 2 shown]
	v_cndmask_b32_e64 v2, 1, 2, vcc_lo
	v_cmp_eq_u32_e32 vcc_lo, 0, v77
	v_cmp_ne_u32_e64 s11, 0, v74
	v_cmp_ne_u32_e64 s10, 0, v73
	;; [unrolled: 1-line block ×4, first 2 shown]
	v_cndmask_b32_e64 v4, 1, 2, vcc_lo
	v_cmp_eq_u32_e32 vcc_lo, 0, v76
	v_cmp_ne_u32_e64 s9, 0, v69
	v_cmp_ne_u32_e64 s7, 0, v68
	;; [unrolled: 1-line block ×3, first 2 shown]
	v_and_b32_e32 v2, v4, v2
	v_cndmask_b32_e64 v25, 1, 2, vcc_lo
	v_cmp_eq_u32_e32 vcc_lo, 0, v75
	v_cmp_ne_u32_e64 s4, 0, v66
	v_cmp_ne_u32_e64 s3, 0, v65
	v_cmp_ne_u32_e64 s1, 0, v64
	v_and_b32_e32 v2, v2, v25
	v_cndmask_b32_e64 v4, 1, 2, vcc_lo
	v_cmp_eq_u32_e32 vcc_lo, 0, v74
	v_cmp_ne_u32_e64 s0, 0, v71
	s_mov_b32 s17, -1
	s_delay_alu instid0(VALU_DEP_3) | instskip(SKIP_2) | instid1(VALU_DEP_2)
	v_and_b32_e32 v2, v2, v4
	v_cndmask_b32_e64 v25, 1, 2, vcc_lo
	v_cmp_eq_u32_e32 vcc_lo, 0, v73
	v_and_b32_e32 v2, v2, v25
	v_cndmask_b32_e64 v4, 1, 2, vcc_lo
	v_cmp_eq_u32_e32 vcc_lo, 0, v72
	s_waitcnt vmcnt(0)
	v_lshlrev_b64 v[25:26], 2, v[23:24]
	s_delay_alu instid0(VALU_DEP_3) | instskip(SKIP_2) | instid1(VALU_DEP_2)
	v_and_b32_e32 v2, v2, v4
	v_cndmask_b32_e64 v27, 1, 2, vcc_lo
	v_cmp_eq_u32_e32 vcc_lo, 0, v70
	v_and_b32_e32 v2, v2, v27
	v_cndmask_b32_e64 v28, 1, 2, vcc_lo
	v_cmp_eq_u32_e32 vcc_lo, 0, v69
	s_delay_alu instid0(VALU_DEP_2) | instskip(SKIP_2) | instid1(VALU_DEP_2)
	v_and_b32_e32 v2, v2, v28
	v_cndmask_b32_e64 v27, 1, 2, vcc_lo
	v_cmp_eq_u32_e32 vcc_lo, 0, v68
	v_and_b32_e32 v2, v2, v27
	v_cndmask_b32_e64 v28, 1, 2, vcc_lo
	v_cmp_eq_u32_e32 vcc_lo, 0, v67
	s_delay_alu instid0(VALU_DEP_2) | instskip(SKIP_2) | instid1(VALU_DEP_2)
	;; [unrolled: 7-line block ×3, first 2 shown]
	v_and_b32_e32 v2, v2, v29
	v_cndmask_b32_e64 v30, 1, 2, vcc_lo
	v_cmp_eq_u32_e32 vcc_lo, 0, v64
	v_and_b32_e32 v30, v2, v30
	v_cndmask_b32_e64 v31, 1, 2, vcc_lo
	v_mov_b32_e32 v4, 0
	s_delay_alu instid0(VALU_DEP_1) | instskip(SKIP_2) | instid1(VALU_DEP_2)
	v_lshlrev_b64 v[27:28], 2, v[3:4]
	v_add_co_u32 v4, vcc_lo, s26, v25
	v_add_co_ci_u32_e32 v29, vcc_lo, s27, v26, vcc_lo
	v_add_co_u32 v2, vcc_lo, v4, v27
	s_delay_alu instid0(VALU_DEP_2) | instskip(SKIP_4) | instid1(VALU_DEP_2)
	v_add_co_ci_u32_e32 v4, vcc_lo, v29, v28, vcc_lo
	v_and_b32_e32 v29, v30, v31
	v_cmp_eq_u32_e32 vcc_lo, 0, v71
	v_cndmask_b32_e64 v30, 1, 2, vcc_lo
	v_cmp_gt_u32_e32 vcc_lo, 0x100, v1
	v_and_b32_e32 v29, v29, v30
	s_delay_alu instid0(VALU_DEP_1)
	v_cmp_gt_i16_e64 s16, 2, v29
	s_cbranch_vccz .LBB562_141
; %bb.135:
	s_delay_alu instid0(VALU_DEP_1)
	s_and_saveexec_b32 s17, s16
	s_cbranch_execz .LBB562_140
; %bb.136:
	s_mov_b32 s18, 0
	s_mov_b32 s16, exec_lo
	v_cmpx_ne_u16_e32 1, v29
	s_xor_b32 s16, exec_lo, s16
	s_cbranch_execnz .LBB562_173
; %bb.137:
	s_and_not1_saveexec_b32 s16, s16
	s_cbranch_execnz .LBB562_189
.LBB562_138:
	s_or_b32 exec_lo, exec_lo, s16
	s_delay_alu instid0(SALU_CYCLE_1)
	s_and_b32 exec_lo, exec_lo, s18
	s_cbranch_execz .LBB562_140
.LBB562_139:
	v_sub_nc_u32_e32 v30, v49, v3
	v_mov_b32_e32 v31, 0
	s_delay_alu instid0(VALU_DEP_1) | instskip(NEXT) | instid1(VALU_DEP_1)
	v_lshlrev_b64 v[30:31], 2, v[30:31]
	v_add_co_u32 v30, vcc_lo, v2, v30
	s_delay_alu instid0(VALU_DEP_2)
	v_add_co_ci_u32_e32 v31, vcc_lo, v4, v31, vcc_lo
	global_store_b32 v[30:31], v63, off
.LBB562_140:
	s_or_b32 exec_lo, exec_lo, s17
	s_mov_b32 s17, 0
.LBB562_141:
	s_delay_alu instid0(SALU_CYCLE_1)
	s_and_b32 vcc_lo, exec_lo, s17
	s_cbranch_vccz .LBB562_151
; %bb.142:
	s_mov_b32 s16, exec_lo
	v_cmpx_gt_i16_e32 2, v29
	s_cbranch_execz .LBB562_147
; %bb.143:
	s_mov_b32 s18, 0
	s_mov_b32 s17, exec_lo
	v_cmpx_ne_u16_e32 1, v29
	s_xor_b32 s17, exec_lo, s17
	s_cbranch_execnz .LBB562_190
; %bb.144:
	s_and_not1_saveexec_b32 s0, s17
	s_cbranch_execnz .LBB562_206
.LBB562_145:
	s_or_b32 exec_lo, exec_lo, s0
	s_delay_alu instid0(SALU_CYCLE_1)
	s_and_b32 exec_lo, exec_lo, s18
	s_cbranch_execz .LBB562_147
.LBB562_146:
	v_sub_nc_u32_e32 v9, v49, v3
	s_delay_alu instid0(VALU_DEP_1)
	v_lshlrev_b32_e32 v9, 2, v9
	ds_store_b32 v9, v63
.LBB562_147:
	s_or_b32 exec_lo, exec_lo, s16
	s_delay_alu instid0(SALU_CYCLE_1)
	s_mov_b32 s1, exec_lo
	s_waitcnt lgkmcnt(0)
	s_waitcnt_vscnt null, 0x0
	s_barrier
	buffer_gl0_inv
	v_cmpx_lt_u32_e64 v0, v1
	s_cbranch_execz .LBB562_150
; %bb.148:
	v_dual_mov_b32 v10, 0 :: v_dual_lshlrev_b32 v11, 2, v0
	v_mov_b32_e32 v9, v0
	s_mov_b32 s3, 0
	.p2align	6
.LBB562_149:                            ; =>This Inner Loop Header: Depth=1
	ds_load_b32 v14, v11
	v_lshlrev_b64 v[12:13], 2, v[9:10]
	v_add_nc_u32_e32 v9, 0x100, v9
	v_add_nc_u32_e32 v11, 0x400, v11
	s_delay_alu instid0(VALU_DEP_2) | instskip(NEXT) | instid1(VALU_DEP_4)
	v_cmp_ge_u32_e32 vcc_lo, v9, v1
	v_add_co_u32 v12, s0, v2, v12
	s_delay_alu instid0(VALU_DEP_1)
	v_add_co_ci_u32_e64 v13, s0, v4, v13, s0
	s_or_b32 s3, vcc_lo, s3
	s_waitcnt lgkmcnt(0)
	global_store_b32 v[12:13], v14, off
	s_and_not1_b32 exec_lo, exec_lo, s3
	s_cbranch_execnz .LBB562_149
.LBB562_150:
	s_or_b32 exec_lo, exec_lo, s1
.LBB562_151:
	s_cmpk_lg_i32 s40, 0xf00
	v_cndmask_b32_e64 v4, 0, 1, s41
	s_cselect_b32 s0, -1, 0
	v_mad_i32_i24 v10, v0, -15, s40
	s_and_b32 s0, s0, s33
	s_and_b32 s1, s2, s41
	v_cndmask_b32_e64 v9, 0, 1, s0
	s_mul_hi_u32 s0, s40, 0x88888889
	v_sub_nc_u32_e32 v2, v1, v4
	s_lshr_b32 s0, s0, 3
	v_cndmask_b32_e64 v11, v78, 0, s1
	v_cmp_eq_u32_e32 vcc_lo, s0, v0
	v_cmp_ne_u32_e64 s0, 0, v10
	s_mov_b32 s16, -1
	s_waitcnt_vscnt null, 0x0
	s_barrier
	s_and_b32 vcc_lo, vcc_lo, s33
	v_add_nc_u32_e32 v2, v2, v9
	v_cndmask_b32_e64 v9, 1, v11, s0
	v_cmp_ne_u32_e64 s0, 1, v10
	buffer_gl0_inv
	v_cndmask_b32_e64 v12, 1, v77, s0
	v_cmp_ne_u32_e64 s0, 14, v10
	s_delay_alu instid0(VALU_DEP_2) | instskip(NEXT) | instid1(VALU_DEP_2)
	v_cndmask_b32_e32 v17, v77, v12, vcc_lo
	v_cndmask_b32_e64 v13, 1, v71, s0
	v_cmp_ne_u32_e64 s0, 2, v10
	s_delay_alu instid0(VALU_DEP_3) | instskip(NEXT) | instid1(VALU_DEP_3)
	v_cmp_ne_u32_e64 s13, 0, v17
	v_cndmask_b32_e32 v16, v71, v13, vcc_lo
	s_delay_alu instid0(VALU_DEP_3) | instskip(SKIP_1) | instid1(VALU_DEP_2)
	v_cndmask_b32_e64 v14, 1, v76, s0
	v_cmp_ne_u32_e64 s0, 3, v10
	v_dual_cndmask_b32 v13, v11, v9 :: v_dual_cndmask_b32 v14, v76, v14
	s_delay_alu instid0(VALU_DEP_2) | instskip(SKIP_1) | instid1(VALU_DEP_3)
	v_cndmask_b32_e64 v15, 1, v75, s0
	v_cmp_ne_u32_e64 s0, 4, v10
	v_cmp_ne_u32_e64 s14, 0, v13
	s_delay_alu instid0(VALU_DEP_4) | instskip(NEXT) | instid1(VALU_DEP_3)
	v_cmp_ne_u32_e64 s12, 0, v14
	v_cndmask_b32_e64 v9, 1, v74, s0
	v_cmp_ne_u32_e64 s0, 5, v10
	s_delay_alu instid0(VALU_DEP_1) | instskip(SKIP_1) | instid1(VALU_DEP_2)
	v_cndmask_b32_e64 v11, 1, v73, s0
	v_cmp_eq_u32_e64 s0, 0, v13
	v_cndmask_b32_e32 v29, v73, v11, vcc_lo
	s_delay_alu instid0(VALU_DEP_2) | instskip(SKIP_1) | instid1(VALU_DEP_3)
	v_cndmask_b32_e64 v12, 1, 2, s0
	v_cmp_eq_u32_e64 s0, 0, v17
	v_cmp_ne_u32_e64 s9, 0, v29
	s_delay_alu instid0(VALU_DEP_2) | instskip(SKIP_1) | instid1(VALU_DEP_2)
	v_cndmask_b32_e64 v18, 1, 2, s0
	v_cmp_ne_u32_e64 s0, 6, v10
	v_dual_cndmask_b32 v15, v75, v15 :: v_dual_and_b32 v12, v18, v12
	s_delay_alu instid0(VALU_DEP_2) | instskip(SKIP_1) | instid1(VALU_DEP_3)
	v_cndmask_b32_e64 v19, 1, v72, s0
	v_cmp_eq_u32_e64 s0, 0, v14
	v_cmp_ne_u32_e64 s11, 0, v15
	s_delay_alu instid0(VALU_DEP_2) | instskip(SKIP_1) | instid1(VALU_DEP_1)
	v_cndmask_b32_e64 v18, 1, 2, s0
	v_cmp_ne_u32_e64 s0, 7, v10
	v_cndmask_b32_e64 v20, 1, v70, s0
	v_cmp_ne_u32_e64 s0, 8, v10
	s_delay_alu instid0(VALU_DEP_2) | instskip(NEXT) | instid1(VALU_DEP_2)
	v_dual_cndmask_b32 v19, v72, v19 :: v_dual_cndmask_b32 v20, v70, v20
	v_cndmask_b32_e64 v21, 1, v69, s0
	v_cmp_eq_u32_e64 s0, 0, v15
	v_and_b32_e32 v12, v12, v18
	s_delay_alu instid0(VALU_DEP_4)
	v_cmp_ne_u32_e64 s8, 0, v19
	v_cmp_ne_u32_e64 s7, 0, v20
	v_cndmask_b32_e32 v21, v69, v21, vcc_lo
	v_cndmask_b32_e64 v18, 1, 2, s0
	v_cndmask_b32_e32 v22, v74, v9, vcc_lo
	v_cmp_ne_u32_e64 s0, 9, v10
	s_delay_alu instid0(VALU_DEP_4) | instskip(NEXT) | instid1(VALU_DEP_4)
	v_cmp_ne_u32_e64 s6, 0, v21
	v_and_b32_e32 v11, v12, v18
	s_delay_alu instid0(VALU_DEP_4) | instskip(NEXT) | instid1(VALU_DEP_4)
	v_cmp_ne_u32_e64 s10, 0, v22
	v_cndmask_b32_e64 v9, 1, v68, s0
	v_cmp_eq_u32_e64 s0, 0, v22
	s_delay_alu instid0(VALU_DEP_2) | instskip(NEXT) | instid1(VALU_DEP_2)
	v_cndmask_b32_e32 v33, v68, v9, vcc_lo
	v_cndmask_b32_e64 v12, 1, 2, s0
	v_cmp_ne_u32_e64 s0, 10, v10
	s_delay_alu instid0(VALU_DEP_1) | instskip(SKIP_1) | instid1(VALU_DEP_2)
	v_cndmask_b32_e64 v18, 1, v67, s0
	v_cmp_ne_u32_e64 s0, 12, v10
	v_cndmask_b32_e32 v18, v67, v18, vcc_lo
	s_delay_alu instid0(VALU_DEP_2) | instskip(SKIP_2) | instid1(VALU_DEP_4)
	v_cndmask_b32_e64 v30, 1, v65, s0
	v_cmp_eq_u32_e64 s0, 0, v29
	v_and_b32_e32 v11, v11, v12
	v_cmp_ne_u32_e64 s4, 0, v18
	s_delay_alu instid0(VALU_DEP_4) | instskip(NEXT) | instid1(VALU_DEP_4)
	v_cndmask_b32_e32 v30, v65, v30, vcc_lo
	v_cndmask_b32_e64 v12, 1, 2, s0
	v_cmp_ne_u32_e64 s0, 13, v10
	s_delay_alu instid0(VALU_DEP_3) | instskip(NEXT) | instid1(VALU_DEP_3)
	v_cmp_ne_u32_e64 s2, 0, v30
	v_and_b32_e32 v11, v11, v12
	s_delay_alu instid0(VALU_DEP_3) | instskip(SKIP_1) | instid1(VALU_DEP_2)
	v_cndmask_b32_e64 v31, 1, v64, s0
	v_cmp_eq_u32_e64 s0, 0, v19
	v_cndmask_b32_e32 v31, v64, v31, vcc_lo
	s_delay_alu instid0(VALU_DEP_2) | instskip(SKIP_1) | instid1(VALU_DEP_3)
	v_cndmask_b32_e64 v12, 1, 2, s0
	v_cmp_ne_u32_e64 s0, 11, v10
	v_cmp_ne_u32_e64 s1, 0, v31
	s_delay_alu instid0(VALU_DEP_2) | instskip(SKIP_1) | instid1(VALU_DEP_2)
	v_cndmask_b32_e64 v10, 1, v66, s0
	v_cmp_eq_u32_e64 s0, 0, v20
	v_dual_cndmask_b32 v32, v66, v10 :: v_dual_and_b32 v11, v11, v12
	s_delay_alu instid0(VALU_DEP_2) | instskip(SKIP_2) | instid1(VALU_DEP_4)
	v_cndmask_b32_e64 v12, 1, 2, s0
	v_cmp_eq_u32_e32 vcc_lo, 0, v21
	v_cmp_ne_u32_e64 s0, 0, v16
	v_cmp_ne_u32_e64 s3, 0, v32
	s_delay_alu instid0(VALU_DEP_4) | instskip(SKIP_4) | instid1(VALU_DEP_4)
	v_and_b32_e32 v9, v11, v12
	v_cndmask_b32_e64 v10, 1, 2, vcc_lo
	v_add_co_u32 v11, vcc_lo, s28, v25
	v_add_co_ci_u32_e32 v12, vcc_lo, s29, v26, vcc_lo
	v_cmp_eq_u32_e32 vcc_lo, 0, v33
	v_and_b32_e32 v25, v9, v10
	v_cndmask_b32_e64 v26, 1, 2, vcc_lo
	v_add_co_u32 v9, vcc_lo, v11, v27
	v_add_co_ci_u32_e32 v10, vcc_lo, v12, v28, vcc_lo
	v_lshlrev_b32_e32 v11, 2, v4
	v_cmp_eq_u32_e32 vcc_lo, 0, v18
	v_and_b32_e32 v12, v25, v26
	v_add_nc_u32_e32 v4, v3, v4
	v_cmp_ne_u32_e64 s5, 0, v33
	v_cndmask_b32_e64 v25, 1, 2, vcc_lo
	v_add_co_u32 v11, vcc_lo, v11, v9
	v_add_co_ci_u32_e32 v26, vcc_lo, 0, v10, vcc_lo
	v_cmp_eq_u32_e32 vcc_lo, 0, v32
	s_delay_alu instid0(VALU_DEP_4) | instskip(SKIP_4) | instid1(VALU_DEP_4)
	v_and_b32_e32 v25, v12, v25
	v_cndmask_b32_e64 v27, 1, 2, vcc_lo
	v_add_co_u32 v11, vcc_lo, v11, -4
	v_add_co_ci_u32_e32 v12, vcc_lo, -1, v26, vcc_lo
	v_cmp_eq_u32_e32 vcc_lo, 0, v30
	v_and_b32_e32 v25, v25, v27
	v_cndmask_b32_e64 v26, 1, 2, vcc_lo
	v_cmp_eq_u32_e32 vcc_lo, 0, v31
	s_delay_alu instid0(VALU_DEP_2) | instskip(SKIP_2) | instid1(VALU_DEP_2)
	v_and_b32_e32 v13, v25, v26
	v_cndmask_b32_e64 v14, 1, 2, vcc_lo
	v_cmp_eq_u32_e32 vcc_lo, 0, v16
	v_and_b32_e32 v13, v13, v14
	v_cndmask_b32_e64 v14, 1, 2, vcc_lo
	v_cmp_gt_u32_e32 vcc_lo, 0x100, v2
	s_delay_alu instid0(VALU_DEP_2) | instskip(NEXT) | instid1(VALU_DEP_1)
	v_and_b32_e32 v13, v13, v14
	v_cmp_gt_i16_e64 s15, 2, v13
	s_cbranch_vccnz .LBB562_155
; %bb.152:
	s_and_b32 vcc_lo, exec_lo, s16
	s_cbranch_vccnz .LBB562_161
.LBB562_153:
	v_cmp_eq_u32_e32 vcc_lo, 0xff, v0
	s_and_b32 s0, vcc_lo, s33
	s_delay_alu instid0(SALU_CYCLE_1)
	s_and_saveexec_b32 s1, s0
	s_cbranch_execnz .LBB562_170
.LBB562_154:
	s_nop 0
	s_sendmsg sendmsg(MSG_DEALLOC_VGPRS)
	s_endpgm
.LBB562_155:
	s_delay_alu instid0(VALU_DEP_1)
	s_and_saveexec_b32 s16, s15
	s_cbranch_execz .LBB562_160
; %bb.156:
	s_mov_b32 s17, 0
	s_mov_b32 s15, exec_lo
	v_cmpx_ne_u16_e32 1, v13
	s_xor_b32 s15, exec_lo, s15
	s_cbranch_execnz .LBB562_207
; %bb.157:
	s_and_not1_saveexec_b32 s15, s15
	s_cbranch_execnz .LBB562_223
.LBB562_158:
	s_or_b32 exec_lo, exec_lo, s15
	s_delay_alu instid0(SALU_CYCLE_1)
	s_and_b32 exec_lo, exec_lo, s17
	s_cbranch_execz .LBB562_160
.LBB562_159:
	v_sub_nc_u32_e32 v14, v49, v4
	v_mov_b32_e32 v15, 0
	s_delay_alu instid0(VALU_DEP_1) | instskip(NEXT) | instid1(VALU_DEP_1)
	v_lshlrev_b64 v[14:15], 2, v[14:15]
	v_add_co_u32 v14, vcc_lo, v11, v14
	s_delay_alu instid0(VALU_DEP_2)
	v_add_co_ci_u32_e32 v15, vcc_lo, v12, v15, vcc_lo
	global_store_b32 v[14:15], v50, off
.LBB562_160:
	s_or_b32 exec_lo, exec_lo, s16
	s_branch .LBB562_153
.LBB562_161:
	s_mov_b32 s15, exec_lo
	v_cmpx_gt_i16_e32 2, v13
	s_cbranch_execz .LBB562_166
; %bb.162:
	s_mov_b32 s17, 0
	s_mov_b32 s16, exec_lo
	v_cmpx_ne_u16_e32 1, v13
	s_xor_b32 s16, exec_lo, s16
	s_cbranch_execnz .LBB562_224
; %bb.163:
	s_and_not1_saveexec_b32 s0, s16
	s_cbranch_execnz .LBB562_240
.LBB562_164:
	s_or_b32 exec_lo, exec_lo, s0
	s_delay_alu instid0(SALU_CYCLE_1)
	s_and_b32 exec_lo, exec_lo, s17
	s_cbranch_execz .LBB562_166
.LBB562_165:
	v_sub_nc_u32_e32 v4, v49, v4
	s_delay_alu instid0(VALU_DEP_1)
	v_lshlrev_b32_e32 v4, 2, v4
	ds_store_b32 v4, v50
.LBB562_166:
	s_or_b32 exec_lo, exec_lo, s15
	s_delay_alu instid0(SALU_CYCLE_1)
	s_mov_b32 s1, exec_lo
	s_waitcnt lgkmcnt(0)
	s_waitcnt_vscnt null, 0x0
	s_barrier
	buffer_gl0_inv
	v_cmpx_lt_u32_e64 v0, v2
	s_cbranch_execz .LBB562_169
; %bb.167:
	v_dual_mov_b32 v5, 0 :: v_dual_lshlrev_b32 v6, 2, v0
	v_mov_b32_e32 v4, v0
	s_mov_b32 s2, 0
	.p2align	6
.LBB562_168:                            ; =>This Inner Loop Header: Depth=1
	ds_load_b32 v13, v6
	v_lshlrev_b64 v[7:8], 2, v[4:5]
	v_add_nc_u32_e32 v4, 0x100, v4
	v_add_nc_u32_e32 v6, 0x400, v6
	s_delay_alu instid0(VALU_DEP_2) | instskip(NEXT) | instid1(VALU_DEP_4)
	v_cmp_ge_u32_e32 vcc_lo, v4, v2
	v_add_co_u32 v7, s0, v11, v7
	s_delay_alu instid0(VALU_DEP_1)
	v_add_co_ci_u32_e64 v8, s0, v12, v8, s0
	s_or_b32 s2, vcc_lo, s2
	s_waitcnt lgkmcnt(0)
	global_store_b32 v[7:8], v13, off
	s_and_not1_b32 exec_lo, exec_lo, s2
	s_cbranch_execnz .LBB562_168
.LBB562_169:
	s_or_b32 exec_lo, exec_lo, s1
	v_cmp_eq_u32_e32 vcc_lo, 0xff, v0
	s_and_b32 s0, vcc_lo, s33
	s_delay_alu instid0(SALU_CYCLE_1)
	s_and_saveexec_b32 s1, s0
	s_cbranch_execz .LBB562_154
.LBB562_170:
	v_add_co_u32 v0, s0, v1, v3
	s_delay_alu instid0(VALU_DEP_1) | instskip(SKIP_1) | instid1(VALU_DEP_3)
	v_add_co_ci_u32_e64 v4, null, 0, 0, s0
	v_mov_b32_e32 v2, 0
	v_add_co_u32 v3, vcc_lo, v0, v23
	s_delay_alu instid0(VALU_DEP_3)
	v_add_co_ci_u32_e32 v4, vcc_lo, v4, v24, vcc_lo
	s_cmpk_lg_i32 s40, 0xf00
	global_store_b64 v2, v[3:4], s[30:31]
	s_cbranch_scc1 .LBB562_154
; %bb.171:
	v_lshlrev_b64 v[0:1], 2, v[1:2]
	s_delay_alu instid0(VALU_DEP_1) | instskip(NEXT) | instid1(VALU_DEP_2)
	v_add_co_u32 v0, vcc_lo, v9, v0
	v_add_co_ci_u32_e32 v1, vcc_lo, v10, v1, vcc_lo
	global_store_b32 v[0:1], v80, off offset:-4
	s_nop 0
	s_sendmsg sendmsg(MSG_DEALLOC_VGPRS)
	s_endpgm
.LBB562_172:
	s_or_b32 exec_lo, exec_lo, s4
	v_mov_b32_e32 v78, s1
	s_and_saveexec_b32 s1, s42
	s_cbranch_execnz .LBB562_88
	s_branch .LBB562_89
.LBB562_173:
	s_and_saveexec_b32 s18, s15
	s_cbranch_execnz .LBB562_241
; %bb.174:
	s_or_b32 exec_lo, exec_lo, s18
	s_and_saveexec_b32 s18, s14
	s_cbranch_execnz .LBB562_242
.LBB562_175:
	s_or_b32 exec_lo, exec_lo, s18
	s_and_saveexec_b32 s18, s13
	s_cbranch_execnz .LBB562_243
.LBB562_176:
	s_or_b32 exec_lo, exec_lo, s18
	s_and_saveexec_b32 s18, s12
	s_cbranch_execnz .LBB562_244
.LBB562_177:
	s_or_b32 exec_lo, exec_lo, s18
	s_and_saveexec_b32 s18, s11
	s_cbranch_execnz .LBB562_245
.LBB562_178:
	s_or_b32 exec_lo, exec_lo, s18
	s_and_saveexec_b32 s18, s10
	s_cbranch_execnz .LBB562_246
.LBB562_179:
	s_or_b32 exec_lo, exec_lo, s18
	s_and_saveexec_b32 s18, s8
	s_cbranch_execnz .LBB562_247
.LBB562_180:
	s_or_b32 exec_lo, exec_lo, s18
	s_and_saveexec_b32 s18, s6
	s_cbranch_execnz .LBB562_248
.LBB562_181:
	s_or_b32 exec_lo, exec_lo, s18
	s_and_saveexec_b32 s18, s9
	s_cbranch_execnz .LBB562_249
.LBB562_182:
	s_or_b32 exec_lo, exec_lo, s18
	s_and_saveexec_b32 s18, s7
	s_cbranch_execnz .LBB562_250
.LBB562_183:
	s_or_b32 exec_lo, exec_lo, s18
	s_and_saveexec_b32 s18, s5
	s_cbranch_execnz .LBB562_251
.LBB562_184:
	s_or_b32 exec_lo, exec_lo, s18
	s_and_saveexec_b32 s18, s4
	s_cbranch_execnz .LBB562_252
.LBB562_185:
	s_or_b32 exec_lo, exec_lo, s18
	s_and_saveexec_b32 s18, s3
	s_cbranch_execnz .LBB562_253
.LBB562_186:
	s_or_b32 exec_lo, exec_lo, s18
	s_and_saveexec_b32 s18, s1
	s_cbranch_execz .LBB562_188
.LBB562_187:
	v_sub_nc_u32_e32 v30, v57, v3
	v_mov_b32_e32 v31, 0
	s_delay_alu instid0(VALU_DEP_1) | instskip(NEXT) | instid1(VALU_DEP_1)
	v_lshlrev_b64 v[30:31], 2, v[30:31]
	v_add_co_u32 v30, vcc_lo, v2, v30
	s_delay_alu instid0(VALU_DEP_2)
	v_add_co_ci_u32_e32 v31, vcc_lo, v4, v31, vcc_lo
	global_store_b32 v[30:31], v10, off
.LBB562_188:
	s_or_b32 exec_lo, exec_lo, s18
	s_delay_alu instid0(SALU_CYCLE_1)
	s_and_b32 s18, s0, exec_lo
	s_and_not1_saveexec_b32 s16, s16
	s_cbranch_execz .LBB562_138
.LBB562_189:
	v_sub_nc_u32_e32 v30, v53, v3
	v_mov_b32_e32 v31, 0
	s_or_b32 s18, s18, exec_lo
	s_delay_alu instid0(VALU_DEP_1) | instskip(SKIP_1) | instid1(VALU_DEP_1)
	v_lshlrev_b64 v[32:33], 2, v[30:31]
	v_sub_nc_u32_e32 v30, v59, v3
	v_lshlrev_b64 v[34:35], 2, v[30:31]
	v_sub_nc_u32_e32 v30, v55, v3
	s_delay_alu instid0(VALU_DEP_4) | instskip(SKIP_1) | instid1(VALU_DEP_3)
	v_add_co_u32 v32, vcc_lo, v2, v32
	v_add_co_ci_u32_e32 v33, vcc_lo, v4, v33, vcc_lo
	v_lshlrev_b64 v[81:82], 2, v[30:31]
	v_sub_nc_u32_e32 v30, v51, v3
	v_add_co_u32 v34, vcc_lo, v2, v34
	v_add_co_ci_u32_e32 v35, vcc_lo, v4, v35, vcc_lo
	global_store_b32 v[32:33], v21, off
	v_lshlrev_b64 v[32:33], 2, v[30:31]
	v_sub_nc_u32_e32 v30, v45, v3
	global_store_b32 v[34:35], v22, off
	v_add_co_u32 v34, vcc_lo, v2, v81
	v_add_co_ci_u32_e32 v35, vcc_lo, v4, v82, vcc_lo
	v_lshlrev_b64 v[81:82], 2, v[30:31]
	v_sub_nc_u32_e32 v30, v41, v3
	v_add_co_u32 v32, vcc_lo, v2, v32
	v_add_co_ci_u32_e32 v33, vcc_lo, v4, v33, vcc_lo
	s_delay_alu instid0(VALU_DEP_3) | instskip(SKIP_3) | instid1(VALU_DEP_3)
	v_lshlrev_b64 v[83:84], 2, v[30:31]
	v_sub_nc_u32_e32 v30, v39, v3
	v_add_co_u32 v81, vcc_lo, v2, v81
	v_add_co_ci_u32_e32 v82, vcc_lo, v4, v82, vcc_lo
	v_lshlrev_b64 v[85:86], 2, v[30:31]
	v_sub_nc_u32_e32 v30, v43, v3
	v_add_co_u32 v83, vcc_lo, v2, v83
	v_add_co_ci_u32_e32 v84, vcc_lo, v4, v84, vcc_lo
	s_clause 0x3
	global_store_b32 v[34:35], v19, off
	global_store_b32 v[32:33], v20, off
	;; [unrolled: 1-line block ×4, first 2 shown]
	v_lshlrev_b64 v[32:33], 2, v[30:31]
	v_sub_nc_u32_e32 v30, v47, v3
	v_add_co_u32 v34, vcc_lo, v2, v85
	v_add_co_ci_u32_e32 v35, vcc_lo, v4, v86, vcc_lo
	s_delay_alu instid0(VALU_DEP_3) | instskip(SKIP_3) | instid1(VALU_DEP_3)
	v_lshlrev_b64 v[81:82], 2, v[30:31]
	v_sub_nc_u32_e32 v30, v5, v3
	v_add_co_u32 v32, vcc_lo, v2, v32
	v_add_co_ci_u32_e32 v33, vcc_lo, v4, v33, vcc_lo
	v_lshlrev_b64 v[83:84], 2, v[30:31]
	v_sub_nc_u32_e32 v30, v7, v3
	v_add_co_u32 v81, vcc_lo, v2, v81
	v_add_co_ci_u32_e32 v82, vcc_lo, v4, v82, vcc_lo
	s_delay_alu instid0(VALU_DEP_3)
	v_lshlrev_b64 v[85:86], 2, v[30:31]
	v_sub_nc_u32_e32 v30, v37, v3
	v_add_co_u32 v83, vcc_lo, v2, v83
	v_add_co_ci_u32_e32 v84, vcc_lo, v4, v84, vcc_lo
	s_clause 0x3
	global_store_b32 v[34:35], v15, off
	global_store_b32 v[32:33], v16, off
	;; [unrolled: 1-line block ×4, first 2 shown]
	v_lshlrev_b64 v[32:33], 2, v[30:31]
	v_sub_nc_u32_e32 v30, v61, v3
	v_add_co_u32 v34, vcc_lo, v2, v85
	v_add_co_ci_u32_e32 v35, vcc_lo, v4, v86, vcc_lo
	s_delay_alu instid0(VALU_DEP_3) | instskip(SKIP_3) | instid1(VALU_DEP_3)
	v_lshlrev_b64 v[81:82], 2, v[30:31]
	v_sub_nc_u32_e32 v30, v57, v3
	v_add_co_u32 v32, vcc_lo, v2, v32
	v_add_co_ci_u32_e32 v33, vcc_lo, v4, v33, vcc_lo
	v_lshlrev_b64 v[30:31], 2, v[30:31]
	v_add_co_u32 v81, vcc_lo, v2, v81
	v_add_co_ci_u32_e32 v82, vcc_lo, v4, v82, vcc_lo
	s_clause 0x2
	global_store_b32 v[34:35], v11, off
	global_store_b32 v[32:33], v12, off
	;; [unrolled: 1-line block ×3, first 2 shown]
	v_add_co_u32 v30, vcc_lo, v2, v30
	v_add_co_ci_u32_e32 v31, vcc_lo, v4, v31, vcc_lo
	global_store_b32 v[30:31], v10, off
	s_or_b32 exec_lo, exec_lo, s16
	s_delay_alu instid0(SALU_CYCLE_1)
	s_and_b32 exec_lo, exec_lo, s18
	s_cbranch_execnz .LBB562_139
	s_branch .LBB562_140
.LBB562_190:
	s_and_saveexec_b32 s18, s15
	s_cbranch_execnz .LBB562_254
; %bb.191:
	s_or_b32 exec_lo, exec_lo, s18
	s_and_saveexec_b32 s15, s14
	s_cbranch_execnz .LBB562_255
.LBB562_192:
	s_or_b32 exec_lo, exec_lo, s15
	s_and_saveexec_b32 s14, s13
	s_cbranch_execnz .LBB562_256
.LBB562_193:
	s_or_b32 exec_lo, exec_lo, s14
	s_and_saveexec_b32 s13, s12
	s_cbranch_execnz .LBB562_257
.LBB562_194:
	s_or_b32 exec_lo, exec_lo, s13
	s_and_saveexec_b32 s12, s11
	s_cbranch_execnz .LBB562_258
.LBB562_195:
	s_or_b32 exec_lo, exec_lo, s12
	s_and_saveexec_b32 s11, s10
	s_cbranch_execnz .LBB562_259
.LBB562_196:
	s_or_b32 exec_lo, exec_lo, s11
	s_and_saveexec_b32 s10, s8
	s_cbranch_execnz .LBB562_260
.LBB562_197:
	s_or_b32 exec_lo, exec_lo, s10
	s_and_saveexec_b32 s8, s6
	s_cbranch_execnz .LBB562_261
.LBB562_198:
	s_or_b32 exec_lo, exec_lo, s8
	s_and_saveexec_b32 s6, s9
	s_cbranch_execnz .LBB562_262
.LBB562_199:
	s_or_b32 exec_lo, exec_lo, s6
	s_and_saveexec_b32 s6, s7
	s_cbranch_execnz .LBB562_263
.LBB562_200:
	s_or_b32 exec_lo, exec_lo, s6
	s_and_saveexec_b32 s6, s5
	s_cbranch_execnz .LBB562_264
.LBB562_201:
	s_or_b32 exec_lo, exec_lo, s6
	s_and_saveexec_b32 s5, s4
	s_cbranch_execnz .LBB562_265
.LBB562_202:
	s_or_b32 exec_lo, exec_lo, s5
	s_and_saveexec_b32 s4, s3
	s_cbranch_execnz .LBB562_266
.LBB562_203:
	s_or_b32 exec_lo, exec_lo, s4
	s_and_saveexec_b32 s3, s1
	s_cbranch_execz .LBB562_205
.LBB562_204:
	v_sub_nc_u32_e32 v9, v57, v3
	s_delay_alu instid0(VALU_DEP_1)
	v_lshlrev_b32_e32 v9, 2, v9
	ds_store_b32 v9, v10
.LBB562_205:
	s_or_b32 exec_lo, exec_lo, s3
	s_delay_alu instid0(SALU_CYCLE_1)
	s_and_b32 s18, s0, exec_lo
                                        ; implicit-def: $vgpr21
                                        ; implicit-def: $vgpr19
                                        ; implicit-def: $vgpr17
                                        ; implicit-def: $vgpr15
                                        ; implicit-def: $vgpr13
                                        ; implicit-def: $vgpr11
                                        ; implicit-def: $vgpr9
	s_and_not1_saveexec_b32 s0, s17
	s_cbranch_execz .LBB562_145
.LBB562_206:
	v_sub_nc_u32_e32 v29, v53, v3
	v_sub_nc_u32_e32 v32, v51, v3
	;; [unrolled: 1-line block ×4, first 2 shown]
	s_or_b32 s18, s18, exec_lo
	v_lshlrev_b32_e32 v29, 2, v29
	v_lshlrev_b32_e32 v32, 2, v32
	;; [unrolled: 1-line block ×4, first 2 shown]
	ds_store_b32 v29, v21
	ds_store_b32 v30, v22
	;; [unrolled: 1-line block ×3, first 2 shown]
	v_sub_nc_u32_e32 v19, v45, v3
	ds_store_b32 v32, v20
	v_sub_nc_u32_e32 v20, v41, v3
	v_sub_nc_u32_e32 v21, v39, v3
	;; [unrolled: 1-line block ×3, first 2 shown]
	v_lshlrev_b32_e32 v19, 2, v19
	v_sub_nc_u32_e32 v29, v47, v3
	v_lshlrev_b32_e32 v20, 2, v20
	v_lshlrev_b32_e32 v21, 2, v21
	;; [unrolled: 1-line block ×3, first 2 shown]
	ds_store_b32 v19, v17
	v_lshlrev_b32_e32 v17, 2, v29
	ds_store_b32 v20, v18
	ds_store_b32 v21, v15
	;; [unrolled: 1-line block ×3, first 2 shown]
	v_sub_nc_u32_e32 v15, v5, v3
	v_sub_nc_u32_e32 v18, v57, v3
	;; [unrolled: 1-line block ×3, first 2 shown]
	ds_store_b32 v17, v13
	v_sub_nc_u32_e32 v13, v7, v3
	v_lshlrev_b32_e32 v15, 2, v15
	v_sub_nc_u32_e32 v17, v61, v3
	v_lshlrev_b32_e32 v16, 2, v16
	s_delay_alu instid0(VALU_DEP_4)
	v_lshlrev_b32_e32 v13, 2, v13
	ds_store_b32 v15, v14
	v_lshlrev_b32_e32 v14, 2, v18
	v_lshlrev_b32_e32 v17, 2, v17
	ds_store_b32 v13, v11
	ds_store_b32 v16, v12
	ds_store_b32 v17, v9
	ds_store_b32 v14, v10
	s_or_b32 exec_lo, exec_lo, s0
	s_delay_alu instid0(SALU_CYCLE_1)
	s_and_b32 exec_lo, exec_lo, s18
	s_cbranch_execnz .LBB562_146
	s_branch .LBB562_147
.LBB562_207:
	s_and_saveexec_b32 s17, s14
	s_cbranch_execnz .LBB562_267
; %bb.208:
	s_or_b32 exec_lo, exec_lo, s17
	s_and_saveexec_b32 s17, s13
	s_cbranch_execnz .LBB562_268
.LBB562_209:
	s_or_b32 exec_lo, exec_lo, s17
	s_and_saveexec_b32 s17, s12
	s_cbranch_execnz .LBB562_269
.LBB562_210:
	s_or_b32 exec_lo, exec_lo, s17
	s_and_saveexec_b32 s17, s11
	s_cbranch_execnz .LBB562_270
.LBB562_211:
	s_or_b32 exec_lo, exec_lo, s17
	s_and_saveexec_b32 s17, s10
	s_cbranch_execnz .LBB562_271
.LBB562_212:
	s_or_b32 exec_lo, exec_lo, s17
	s_and_saveexec_b32 s17, s9
	s_cbranch_execnz .LBB562_272
.LBB562_213:
	s_or_b32 exec_lo, exec_lo, s17
	s_and_saveexec_b32 s17, s8
	s_cbranch_execnz .LBB562_273
.LBB562_214:
	s_or_b32 exec_lo, exec_lo, s17
	s_and_saveexec_b32 s17, s7
	s_cbranch_execnz .LBB562_274
.LBB562_215:
	s_or_b32 exec_lo, exec_lo, s17
	s_and_saveexec_b32 s17, s6
	s_cbranch_execnz .LBB562_275
.LBB562_216:
	s_or_b32 exec_lo, exec_lo, s17
	s_and_saveexec_b32 s17, s5
	s_cbranch_execnz .LBB562_276
.LBB562_217:
	s_or_b32 exec_lo, exec_lo, s17
	s_and_saveexec_b32 s17, s4
	s_cbranch_execnz .LBB562_277
.LBB562_218:
	s_or_b32 exec_lo, exec_lo, s17
	s_and_saveexec_b32 s17, s3
	s_cbranch_execnz .LBB562_278
.LBB562_219:
	s_or_b32 exec_lo, exec_lo, s17
	s_and_saveexec_b32 s17, s2
	s_cbranch_execnz .LBB562_279
.LBB562_220:
	s_or_b32 exec_lo, exec_lo, s17
	s_and_saveexec_b32 s17, s1
	s_cbranch_execz .LBB562_222
.LBB562_221:
	v_sub_nc_u32_e32 v14, v57, v4
	v_mov_b32_e32 v15, 0
	s_delay_alu instid0(VALU_DEP_1) | instskip(NEXT) | instid1(VALU_DEP_1)
	v_lshlrev_b64 v[14:15], 2, v[14:15]
	v_add_co_u32 v14, vcc_lo, v11, v14
	s_delay_alu instid0(VALU_DEP_2)
	v_add_co_ci_u32_e32 v15, vcc_lo, v12, v15, vcc_lo
	global_store_b32 v[14:15], v58, off
.LBB562_222:
	s_or_b32 exec_lo, exec_lo, s17
	s_delay_alu instid0(SALU_CYCLE_1)
	s_and_b32 s17, s0, exec_lo
	s_and_not1_saveexec_b32 s15, s15
	s_cbranch_execz .LBB562_158
.LBB562_223:
	v_sub_nc_u32_e32 v14, v53, v4
	v_mov_b32_e32 v15, 0
	s_or_b32 s17, s17, exec_lo
	s_delay_alu instid0(VALU_DEP_1) | instskip(SKIP_1) | instid1(VALU_DEP_1)
	v_lshlrev_b64 v[16:17], 2, v[14:15]
	v_sub_nc_u32_e32 v14, v59, v4
	v_lshlrev_b64 v[18:19], 2, v[14:15]
	v_sub_nc_u32_e32 v14, v55, v4
	s_delay_alu instid0(VALU_DEP_4) | instskip(SKIP_1) | instid1(VALU_DEP_3)
	v_add_co_u32 v16, vcc_lo, v11, v16
	v_add_co_ci_u32_e32 v17, vcc_lo, v12, v17, vcc_lo
	v_lshlrev_b64 v[20:21], 2, v[14:15]
	v_sub_nc_u32_e32 v14, v51, v4
	v_add_co_u32 v18, vcc_lo, v11, v18
	v_add_co_ci_u32_e32 v19, vcc_lo, v12, v19, vcc_lo
	global_store_b32 v[16:17], v54, off
	v_lshlrev_b64 v[16:17], 2, v[14:15]
	v_sub_nc_u32_e32 v14, v45, v4
	global_store_b32 v[18:19], v60, off
	v_add_co_u32 v18, vcc_lo, v11, v20
	v_add_co_ci_u32_e32 v19, vcc_lo, v12, v21, vcc_lo
	v_lshlrev_b64 v[20:21], 2, v[14:15]
	v_sub_nc_u32_e32 v14, v41, v4
	v_add_co_u32 v16, vcc_lo, v11, v16
	v_add_co_ci_u32_e32 v17, vcc_lo, v12, v17, vcc_lo
	s_delay_alu instid0(VALU_DEP_3) | instskip(SKIP_3) | instid1(VALU_DEP_3)
	v_lshlrev_b64 v[25:26], 2, v[14:15]
	v_sub_nc_u32_e32 v14, v39, v4
	v_add_co_u32 v20, vcc_lo, v11, v20
	v_add_co_ci_u32_e32 v21, vcc_lo, v12, v21, vcc_lo
	v_lshlrev_b64 v[27:28], 2, v[14:15]
	v_sub_nc_u32_e32 v14, v43, v4
	v_add_co_u32 v25, vcc_lo, v11, v25
	v_add_co_ci_u32_e32 v26, vcc_lo, v12, v26, vcc_lo
	s_clause 0x3
	global_store_b32 v[18:19], v56, off
	global_store_b32 v[16:17], v52, off
	global_store_b32 v[20:21], v46, off
	global_store_b32 v[25:26], v42, off
	v_lshlrev_b64 v[16:17], 2, v[14:15]
	v_sub_nc_u32_e32 v14, v47, v4
	v_add_co_u32 v18, vcc_lo, v11, v27
	v_add_co_ci_u32_e32 v19, vcc_lo, v12, v28, vcc_lo
	s_delay_alu instid0(VALU_DEP_3) | instskip(SKIP_3) | instid1(VALU_DEP_3)
	v_lshlrev_b64 v[20:21], 2, v[14:15]
	v_sub_nc_u32_e32 v14, v5, v4
	v_add_co_u32 v16, vcc_lo, v11, v16
	v_add_co_ci_u32_e32 v17, vcc_lo, v12, v17, vcc_lo
	v_lshlrev_b64 v[25:26], 2, v[14:15]
	v_sub_nc_u32_e32 v14, v7, v4
	v_add_co_u32 v20, vcc_lo, v11, v20
	v_add_co_ci_u32_e32 v21, vcc_lo, v12, v21, vcc_lo
	s_delay_alu instid0(VALU_DEP_3)
	v_lshlrev_b64 v[27:28], 2, v[14:15]
	v_sub_nc_u32_e32 v14, v37, v4
	v_add_co_u32 v25, vcc_lo, v11, v25
	v_add_co_ci_u32_e32 v26, vcc_lo, v12, v26, vcc_lo
	s_clause 0x3
	global_store_b32 v[18:19], v40, off
	global_store_b32 v[16:17], v44, off
	;; [unrolled: 1-line block ×4, first 2 shown]
	v_lshlrev_b64 v[16:17], 2, v[14:15]
	v_sub_nc_u32_e32 v14, v61, v4
	v_add_co_u32 v18, vcc_lo, v11, v27
	v_add_co_ci_u32_e32 v19, vcc_lo, v12, v28, vcc_lo
	s_delay_alu instid0(VALU_DEP_3) | instskip(SKIP_3) | instid1(VALU_DEP_3)
	v_lshlrev_b64 v[20:21], 2, v[14:15]
	v_sub_nc_u32_e32 v14, v57, v4
	v_add_co_u32 v16, vcc_lo, v11, v16
	v_add_co_ci_u32_e32 v17, vcc_lo, v12, v17, vcc_lo
	v_lshlrev_b64 v[14:15], 2, v[14:15]
	v_add_co_u32 v20, vcc_lo, v11, v20
	v_add_co_ci_u32_e32 v21, vcc_lo, v12, v21, vcc_lo
	s_clause 0x2
	global_store_b32 v[18:19], v8, off
	global_store_b32 v[16:17], v38, off
	;; [unrolled: 1-line block ×3, first 2 shown]
	v_add_co_u32 v14, vcc_lo, v11, v14
	v_add_co_ci_u32_e32 v15, vcc_lo, v12, v15, vcc_lo
	global_store_b32 v[14:15], v58, off
	s_or_b32 exec_lo, exec_lo, s15
	s_delay_alu instid0(SALU_CYCLE_1)
	s_and_b32 exec_lo, exec_lo, s17
	s_cbranch_execnz .LBB562_159
	s_branch .LBB562_160
.LBB562_224:
	s_and_saveexec_b32 s17, s14
	s_cbranch_execnz .LBB562_280
; %bb.225:
	s_or_b32 exec_lo, exec_lo, s17
	s_and_saveexec_b32 s14, s13
	s_cbranch_execnz .LBB562_281
.LBB562_226:
	s_or_b32 exec_lo, exec_lo, s14
	s_and_saveexec_b32 s13, s12
	s_cbranch_execnz .LBB562_282
.LBB562_227:
	s_or_b32 exec_lo, exec_lo, s13
	s_and_saveexec_b32 s12, s11
	s_cbranch_execnz .LBB562_283
.LBB562_228:
	s_or_b32 exec_lo, exec_lo, s12
	s_and_saveexec_b32 s11, s10
	s_cbranch_execnz .LBB562_284
.LBB562_229:
	s_or_b32 exec_lo, exec_lo, s11
	s_and_saveexec_b32 s10, s9
	s_cbranch_execnz .LBB562_285
.LBB562_230:
	s_or_b32 exec_lo, exec_lo, s10
	s_and_saveexec_b32 s9, s8
	s_cbranch_execnz .LBB562_286
.LBB562_231:
	s_or_b32 exec_lo, exec_lo, s9
	s_and_saveexec_b32 s8, s7
	s_cbranch_execnz .LBB562_287
.LBB562_232:
	s_or_b32 exec_lo, exec_lo, s8
	s_and_saveexec_b32 s7, s6
	s_cbranch_execnz .LBB562_288
.LBB562_233:
	s_or_b32 exec_lo, exec_lo, s7
	s_and_saveexec_b32 s6, s5
	s_cbranch_execnz .LBB562_289
.LBB562_234:
	s_or_b32 exec_lo, exec_lo, s6
	s_and_saveexec_b32 s5, s4
	s_cbranch_execnz .LBB562_290
.LBB562_235:
	s_or_b32 exec_lo, exec_lo, s5
	s_and_saveexec_b32 s4, s3
	s_cbranch_execnz .LBB562_291
.LBB562_236:
	s_or_b32 exec_lo, exec_lo, s4
	s_and_saveexec_b32 s3, s2
	s_cbranch_execnz .LBB562_292
.LBB562_237:
	s_or_b32 exec_lo, exec_lo, s3
	s_and_saveexec_b32 s2, s1
	s_cbranch_execz .LBB562_239
.LBB562_238:
	v_sub_nc_u32_e32 v5, v57, v4
	s_delay_alu instid0(VALU_DEP_1)
	v_lshlrev_b32_e32 v5, 2, v5
	ds_store_b32 v5, v58
.LBB562_239:
	s_or_b32 exec_lo, exec_lo, s2
	s_delay_alu instid0(SALU_CYCLE_1)
	s_and_b32 s17, s0, exec_lo
                                        ; implicit-def: $vgpr53_vgpr54
                                        ; implicit-def: $vgpr59_vgpr60
                                        ; implicit-def: $vgpr55_vgpr56
                                        ; implicit-def: $vgpr51_vgpr52
                                        ; implicit-def: $vgpr45_vgpr46
                                        ; implicit-def: $vgpr41_vgpr42
                                        ; implicit-def: $vgpr39_vgpr40
                                        ; implicit-def: $vgpr43_vgpr44
                                        ; implicit-def: $vgpr47_vgpr48
                                        ; implicit-def: $vgpr5_vgpr6
                                        ; implicit-def: $vgpr7_vgpr8
                                        ; implicit-def: $vgpr37_vgpr38
                                        ; implicit-def: $vgpr61_vgpr62
                                        ; implicit-def: $vgpr57_vgpr58
	s_and_not1_saveexec_b32 s0, s16
	s_cbranch_execz .LBB562_164
.LBB562_240:
	v_sub_nc_u32_e32 v13, v53, v4
	v_sub_nc_u32_e32 v14, v59, v4
	v_sub_nc_u32_e32 v15, v55, v4
	v_sub_nc_u32_e32 v16, v51, v4
	v_sub_nc_u32_e32 v17, v47, v4
	v_lshlrev_b32_e32 v13, 2, v13
	v_lshlrev_b32_e32 v14, 2, v14
	;; [unrolled: 1-line block ×4, first 2 shown]
	v_sub_nc_u32_e32 v5, v5, v4
	ds_store_b32 v13, v54
	ds_store_b32 v14, v60
	;; [unrolled: 1-line block ×3, first 2 shown]
	v_sub_nc_u32_e32 v13, v45, v4
	v_sub_nc_u32_e32 v14, v41, v4
	;; [unrolled: 1-line block ×3, first 2 shown]
	ds_store_b32 v16, v52
	v_sub_nc_u32_e32 v16, v43, v4
	v_lshlrev_b32_e32 v13, 2, v13
	v_lshlrev_b32_e32 v14, 2, v14
	;; [unrolled: 1-line block ×3, first 2 shown]
	v_sub_nc_u32_e32 v7, v7, v4
	v_lshlrev_b32_e32 v16, 2, v16
	ds_store_b32 v13, v46
	v_lshlrev_b32_e32 v13, 2, v17
	ds_store_b32 v14, v42
	ds_store_b32 v15, v40
	;; [unrolled: 1-line block ×3, first 2 shown]
	v_lshlrev_b32_e32 v5, 2, v5
	v_sub_nc_u32_e32 v15, v57, v4
	v_sub_nc_u32_e32 v14, v61, v4
	ds_store_b32 v13, v48
	v_sub_nc_u32_e32 v13, v37, v4
	v_lshlrev_b32_e32 v7, 2, v7
	ds_store_b32 v5, v6
	v_lshlrev_b32_e32 v5, 2, v15
	v_lshlrev_b32_e32 v14, 2, v14
	;; [unrolled: 1-line block ×3, first 2 shown]
	s_or_b32 s17, s17, exec_lo
	ds_store_b32 v7, v8
	ds_store_b32 v13, v38
	ds_store_b32 v14, v62
	ds_store_b32 v5, v58
	s_or_b32 exec_lo, exec_lo, s0
	s_delay_alu instid0(SALU_CYCLE_1)
	s_and_b32 exec_lo, exec_lo, s17
	s_cbranch_execnz .LBB562_165
	s_branch .LBB562_166
.LBB562_241:
	v_sub_nc_u32_e32 v30, v53, v3
	v_mov_b32_e32 v31, 0
	s_delay_alu instid0(VALU_DEP_1) | instskip(NEXT) | instid1(VALU_DEP_1)
	v_lshlrev_b64 v[30:31], 2, v[30:31]
	v_add_co_u32 v30, vcc_lo, v2, v30
	s_delay_alu instid0(VALU_DEP_2)
	v_add_co_ci_u32_e32 v31, vcc_lo, v4, v31, vcc_lo
	global_store_b32 v[30:31], v21, off
	s_or_b32 exec_lo, exec_lo, s18
	s_and_saveexec_b32 s18, s14
	s_cbranch_execz .LBB562_175
.LBB562_242:
	v_sub_nc_u32_e32 v30, v59, v3
	v_mov_b32_e32 v31, 0
	s_delay_alu instid0(VALU_DEP_1) | instskip(NEXT) | instid1(VALU_DEP_1)
	v_lshlrev_b64 v[30:31], 2, v[30:31]
	v_add_co_u32 v30, vcc_lo, v2, v30
	s_delay_alu instid0(VALU_DEP_2)
	v_add_co_ci_u32_e32 v31, vcc_lo, v4, v31, vcc_lo
	global_store_b32 v[30:31], v22, off
	s_or_b32 exec_lo, exec_lo, s18
	s_and_saveexec_b32 s18, s13
	s_cbranch_execz .LBB562_176
.LBB562_243:
	v_sub_nc_u32_e32 v30, v55, v3
	v_mov_b32_e32 v31, 0
	s_delay_alu instid0(VALU_DEP_1) | instskip(NEXT) | instid1(VALU_DEP_1)
	v_lshlrev_b64 v[30:31], 2, v[30:31]
	v_add_co_u32 v30, vcc_lo, v2, v30
	s_delay_alu instid0(VALU_DEP_2)
	v_add_co_ci_u32_e32 v31, vcc_lo, v4, v31, vcc_lo
	global_store_b32 v[30:31], v19, off
	s_or_b32 exec_lo, exec_lo, s18
	s_and_saveexec_b32 s18, s12
	s_cbranch_execz .LBB562_177
.LBB562_244:
	v_sub_nc_u32_e32 v30, v51, v3
	v_mov_b32_e32 v31, 0
	s_delay_alu instid0(VALU_DEP_1) | instskip(NEXT) | instid1(VALU_DEP_1)
	v_lshlrev_b64 v[30:31], 2, v[30:31]
	v_add_co_u32 v30, vcc_lo, v2, v30
	s_delay_alu instid0(VALU_DEP_2)
	v_add_co_ci_u32_e32 v31, vcc_lo, v4, v31, vcc_lo
	global_store_b32 v[30:31], v20, off
	s_or_b32 exec_lo, exec_lo, s18
	s_and_saveexec_b32 s18, s11
	s_cbranch_execz .LBB562_178
.LBB562_245:
	v_sub_nc_u32_e32 v30, v45, v3
	v_mov_b32_e32 v31, 0
	s_delay_alu instid0(VALU_DEP_1) | instskip(NEXT) | instid1(VALU_DEP_1)
	v_lshlrev_b64 v[30:31], 2, v[30:31]
	v_add_co_u32 v30, vcc_lo, v2, v30
	s_delay_alu instid0(VALU_DEP_2)
	v_add_co_ci_u32_e32 v31, vcc_lo, v4, v31, vcc_lo
	global_store_b32 v[30:31], v17, off
	s_or_b32 exec_lo, exec_lo, s18
	s_and_saveexec_b32 s18, s10
	s_cbranch_execz .LBB562_179
.LBB562_246:
	v_sub_nc_u32_e32 v30, v41, v3
	v_mov_b32_e32 v31, 0
	s_delay_alu instid0(VALU_DEP_1) | instskip(NEXT) | instid1(VALU_DEP_1)
	v_lshlrev_b64 v[30:31], 2, v[30:31]
	v_add_co_u32 v30, vcc_lo, v2, v30
	s_delay_alu instid0(VALU_DEP_2)
	v_add_co_ci_u32_e32 v31, vcc_lo, v4, v31, vcc_lo
	global_store_b32 v[30:31], v18, off
	s_or_b32 exec_lo, exec_lo, s18
	s_and_saveexec_b32 s18, s8
	s_cbranch_execz .LBB562_180
.LBB562_247:
	v_sub_nc_u32_e32 v30, v39, v3
	v_mov_b32_e32 v31, 0
	s_delay_alu instid0(VALU_DEP_1) | instskip(NEXT) | instid1(VALU_DEP_1)
	v_lshlrev_b64 v[30:31], 2, v[30:31]
	v_add_co_u32 v30, vcc_lo, v2, v30
	s_delay_alu instid0(VALU_DEP_2)
	v_add_co_ci_u32_e32 v31, vcc_lo, v4, v31, vcc_lo
	global_store_b32 v[30:31], v15, off
	s_or_b32 exec_lo, exec_lo, s18
	s_and_saveexec_b32 s18, s6
	s_cbranch_execz .LBB562_181
.LBB562_248:
	v_sub_nc_u32_e32 v30, v43, v3
	v_mov_b32_e32 v31, 0
	s_delay_alu instid0(VALU_DEP_1) | instskip(NEXT) | instid1(VALU_DEP_1)
	v_lshlrev_b64 v[30:31], 2, v[30:31]
	v_add_co_u32 v30, vcc_lo, v2, v30
	s_delay_alu instid0(VALU_DEP_2)
	v_add_co_ci_u32_e32 v31, vcc_lo, v4, v31, vcc_lo
	global_store_b32 v[30:31], v16, off
	s_or_b32 exec_lo, exec_lo, s18
	s_and_saveexec_b32 s18, s9
	s_cbranch_execz .LBB562_182
.LBB562_249:
	v_sub_nc_u32_e32 v30, v47, v3
	v_mov_b32_e32 v31, 0
	s_delay_alu instid0(VALU_DEP_1) | instskip(NEXT) | instid1(VALU_DEP_1)
	v_lshlrev_b64 v[30:31], 2, v[30:31]
	v_add_co_u32 v30, vcc_lo, v2, v30
	s_delay_alu instid0(VALU_DEP_2)
	v_add_co_ci_u32_e32 v31, vcc_lo, v4, v31, vcc_lo
	global_store_b32 v[30:31], v13, off
	s_or_b32 exec_lo, exec_lo, s18
	s_and_saveexec_b32 s18, s7
	s_cbranch_execz .LBB562_183
.LBB562_250:
	v_sub_nc_u32_e32 v30, v5, v3
	v_mov_b32_e32 v31, 0
	s_delay_alu instid0(VALU_DEP_1) | instskip(NEXT) | instid1(VALU_DEP_1)
	v_lshlrev_b64 v[30:31], 2, v[30:31]
	v_add_co_u32 v30, vcc_lo, v2, v30
	s_delay_alu instid0(VALU_DEP_2)
	v_add_co_ci_u32_e32 v31, vcc_lo, v4, v31, vcc_lo
	global_store_b32 v[30:31], v14, off
	s_or_b32 exec_lo, exec_lo, s18
	s_and_saveexec_b32 s18, s5
	s_cbranch_execz .LBB562_184
.LBB562_251:
	v_sub_nc_u32_e32 v30, v7, v3
	v_mov_b32_e32 v31, 0
	s_delay_alu instid0(VALU_DEP_1) | instskip(NEXT) | instid1(VALU_DEP_1)
	v_lshlrev_b64 v[30:31], 2, v[30:31]
	v_add_co_u32 v30, vcc_lo, v2, v30
	s_delay_alu instid0(VALU_DEP_2)
	v_add_co_ci_u32_e32 v31, vcc_lo, v4, v31, vcc_lo
	global_store_b32 v[30:31], v11, off
	s_or_b32 exec_lo, exec_lo, s18
	s_and_saveexec_b32 s18, s4
	s_cbranch_execz .LBB562_185
.LBB562_252:
	v_sub_nc_u32_e32 v30, v37, v3
	v_mov_b32_e32 v31, 0
	s_delay_alu instid0(VALU_DEP_1) | instskip(NEXT) | instid1(VALU_DEP_1)
	v_lshlrev_b64 v[30:31], 2, v[30:31]
	v_add_co_u32 v30, vcc_lo, v2, v30
	s_delay_alu instid0(VALU_DEP_2)
	v_add_co_ci_u32_e32 v31, vcc_lo, v4, v31, vcc_lo
	global_store_b32 v[30:31], v12, off
	s_or_b32 exec_lo, exec_lo, s18
	s_and_saveexec_b32 s18, s3
	s_cbranch_execz .LBB562_186
.LBB562_253:
	v_sub_nc_u32_e32 v30, v61, v3
	v_mov_b32_e32 v31, 0
	s_delay_alu instid0(VALU_DEP_1) | instskip(NEXT) | instid1(VALU_DEP_1)
	v_lshlrev_b64 v[30:31], 2, v[30:31]
	v_add_co_u32 v30, vcc_lo, v2, v30
	s_delay_alu instid0(VALU_DEP_2)
	v_add_co_ci_u32_e32 v31, vcc_lo, v4, v31, vcc_lo
	global_store_b32 v[30:31], v9, off
	s_or_b32 exec_lo, exec_lo, s18
	s_and_saveexec_b32 s18, s1
	s_cbranch_execnz .LBB562_187
	s_branch .LBB562_188
.LBB562_254:
	v_sub_nc_u32_e32 v29, v53, v3
	s_delay_alu instid0(VALU_DEP_1)
	v_lshlrev_b32_e32 v29, 2, v29
	ds_store_b32 v29, v21
	s_or_b32 exec_lo, exec_lo, s18
	s_and_saveexec_b32 s15, s14
	s_cbranch_execz .LBB562_192
.LBB562_255:
	v_sub_nc_u32_e32 v21, v59, v3
	s_delay_alu instid0(VALU_DEP_1)
	v_lshlrev_b32_e32 v21, 2, v21
	ds_store_b32 v21, v22
	s_or_b32 exec_lo, exec_lo, s15
	s_and_saveexec_b32 s14, s13
	s_cbranch_execz .LBB562_193
.LBB562_256:
	v_sub_nc_u32_e32 v21, v55, v3
	s_delay_alu instid0(VALU_DEP_1)
	v_lshlrev_b32_e32 v21, 2, v21
	ds_store_b32 v21, v19
	s_or_b32 exec_lo, exec_lo, s14
	s_and_saveexec_b32 s13, s12
	s_cbranch_execz .LBB562_194
.LBB562_257:
	v_sub_nc_u32_e32 v19, v51, v3
	s_delay_alu instid0(VALU_DEP_1)
	v_lshlrev_b32_e32 v19, 2, v19
	ds_store_b32 v19, v20
	s_or_b32 exec_lo, exec_lo, s13
	s_and_saveexec_b32 s12, s11
	s_cbranch_execz .LBB562_195
.LBB562_258:
	v_sub_nc_u32_e32 v19, v45, v3
	s_delay_alu instid0(VALU_DEP_1)
	v_lshlrev_b32_e32 v19, 2, v19
	ds_store_b32 v19, v17
	s_or_b32 exec_lo, exec_lo, s12
	s_and_saveexec_b32 s11, s10
	s_cbranch_execz .LBB562_196
.LBB562_259:
	v_sub_nc_u32_e32 v17, v41, v3
	s_delay_alu instid0(VALU_DEP_1)
	v_lshlrev_b32_e32 v17, 2, v17
	ds_store_b32 v17, v18
	s_or_b32 exec_lo, exec_lo, s11
	s_and_saveexec_b32 s10, s8
	s_cbranch_execz .LBB562_197
.LBB562_260:
	v_sub_nc_u32_e32 v17, v39, v3
	s_delay_alu instid0(VALU_DEP_1)
	v_lshlrev_b32_e32 v17, 2, v17
	ds_store_b32 v17, v15
	s_or_b32 exec_lo, exec_lo, s10
	s_and_saveexec_b32 s8, s6
	s_cbranch_execz .LBB562_198
.LBB562_261:
	v_sub_nc_u32_e32 v15, v43, v3
	s_delay_alu instid0(VALU_DEP_1)
	v_lshlrev_b32_e32 v15, 2, v15
	ds_store_b32 v15, v16
	s_or_b32 exec_lo, exec_lo, s8
	s_and_saveexec_b32 s6, s9
	s_cbranch_execz .LBB562_199
.LBB562_262:
	v_sub_nc_u32_e32 v15, v47, v3
	s_delay_alu instid0(VALU_DEP_1)
	v_lshlrev_b32_e32 v15, 2, v15
	ds_store_b32 v15, v13
	s_or_b32 exec_lo, exec_lo, s6
	s_and_saveexec_b32 s6, s7
	s_cbranch_execz .LBB562_200
.LBB562_263:
	v_sub_nc_u32_e32 v13, v5, v3
	s_delay_alu instid0(VALU_DEP_1)
	v_lshlrev_b32_e32 v13, 2, v13
	ds_store_b32 v13, v14
	s_or_b32 exec_lo, exec_lo, s6
	s_and_saveexec_b32 s6, s5
	s_cbranch_execz .LBB562_201
.LBB562_264:
	v_sub_nc_u32_e32 v13, v7, v3
	s_delay_alu instid0(VALU_DEP_1)
	v_lshlrev_b32_e32 v13, 2, v13
	ds_store_b32 v13, v11
	s_or_b32 exec_lo, exec_lo, s6
	s_and_saveexec_b32 s5, s4
	s_cbranch_execz .LBB562_202
.LBB562_265:
	v_sub_nc_u32_e32 v11, v37, v3
	s_delay_alu instid0(VALU_DEP_1)
	v_lshlrev_b32_e32 v11, 2, v11
	ds_store_b32 v11, v12
	s_or_b32 exec_lo, exec_lo, s5
	s_and_saveexec_b32 s4, s3
	s_cbranch_execz .LBB562_203
.LBB562_266:
	v_sub_nc_u32_e32 v11, v61, v3
	s_delay_alu instid0(VALU_DEP_1)
	v_lshlrev_b32_e32 v11, 2, v11
	ds_store_b32 v11, v9
	s_or_b32 exec_lo, exec_lo, s4
	s_and_saveexec_b32 s3, s1
	s_cbranch_execnz .LBB562_204
	s_branch .LBB562_205
.LBB562_267:
	v_sub_nc_u32_e32 v14, v53, v4
	v_mov_b32_e32 v15, 0
	s_delay_alu instid0(VALU_DEP_1) | instskip(NEXT) | instid1(VALU_DEP_1)
	v_lshlrev_b64 v[14:15], 2, v[14:15]
	v_add_co_u32 v14, vcc_lo, v11, v14
	s_delay_alu instid0(VALU_DEP_2)
	v_add_co_ci_u32_e32 v15, vcc_lo, v12, v15, vcc_lo
	global_store_b32 v[14:15], v54, off
	s_or_b32 exec_lo, exec_lo, s17
	s_and_saveexec_b32 s17, s13
	s_cbranch_execz .LBB562_209
.LBB562_268:
	v_sub_nc_u32_e32 v14, v59, v4
	v_mov_b32_e32 v15, 0
	s_delay_alu instid0(VALU_DEP_1) | instskip(NEXT) | instid1(VALU_DEP_1)
	v_lshlrev_b64 v[14:15], 2, v[14:15]
	v_add_co_u32 v14, vcc_lo, v11, v14
	s_delay_alu instid0(VALU_DEP_2)
	v_add_co_ci_u32_e32 v15, vcc_lo, v12, v15, vcc_lo
	global_store_b32 v[14:15], v60, off
	s_or_b32 exec_lo, exec_lo, s17
	s_and_saveexec_b32 s17, s12
	s_cbranch_execz .LBB562_210
.LBB562_269:
	v_sub_nc_u32_e32 v14, v55, v4
	v_mov_b32_e32 v15, 0
	s_delay_alu instid0(VALU_DEP_1) | instskip(NEXT) | instid1(VALU_DEP_1)
	v_lshlrev_b64 v[14:15], 2, v[14:15]
	v_add_co_u32 v14, vcc_lo, v11, v14
	s_delay_alu instid0(VALU_DEP_2)
	v_add_co_ci_u32_e32 v15, vcc_lo, v12, v15, vcc_lo
	global_store_b32 v[14:15], v56, off
	s_or_b32 exec_lo, exec_lo, s17
	s_and_saveexec_b32 s17, s11
	s_cbranch_execz .LBB562_211
.LBB562_270:
	v_sub_nc_u32_e32 v14, v51, v4
	v_mov_b32_e32 v15, 0
	s_delay_alu instid0(VALU_DEP_1) | instskip(NEXT) | instid1(VALU_DEP_1)
	v_lshlrev_b64 v[14:15], 2, v[14:15]
	v_add_co_u32 v14, vcc_lo, v11, v14
	s_delay_alu instid0(VALU_DEP_2)
	v_add_co_ci_u32_e32 v15, vcc_lo, v12, v15, vcc_lo
	global_store_b32 v[14:15], v52, off
	s_or_b32 exec_lo, exec_lo, s17
	s_and_saveexec_b32 s17, s10
	s_cbranch_execz .LBB562_212
.LBB562_271:
	v_sub_nc_u32_e32 v14, v45, v4
	v_mov_b32_e32 v15, 0
	s_delay_alu instid0(VALU_DEP_1) | instskip(NEXT) | instid1(VALU_DEP_1)
	v_lshlrev_b64 v[14:15], 2, v[14:15]
	v_add_co_u32 v14, vcc_lo, v11, v14
	s_delay_alu instid0(VALU_DEP_2)
	v_add_co_ci_u32_e32 v15, vcc_lo, v12, v15, vcc_lo
	global_store_b32 v[14:15], v46, off
	s_or_b32 exec_lo, exec_lo, s17
	s_and_saveexec_b32 s17, s9
	s_cbranch_execz .LBB562_213
.LBB562_272:
	v_sub_nc_u32_e32 v14, v41, v4
	v_mov_b32_e32 v15, 0
	s_delay_alu instid0(VALU_DEP_1) | instskip(NEXT) | instid1(VALU_DEP_1)
	v_lshlrev_b64 v[14:15], 2, v[14:15]
	v_add_co_u32 v14, vcc_lo, v11, v14
	s_delay_alu instid0(VALU_DEP_2)
	v_add_co_ci_u32_e32 v15, vcc_lo, v12, v15, vcc_lo
	global_store_b32 v[14:15], v42, off
	s_or_b32 exec_lo, exec_lo, s17
	s_and_saveexec_b32 s17, s8
	s_cbranch_execz .LBB562_214
.LBB562_273:
	v_sub_nc_u32_e32 v14, v39, v4
	v_mov_b32_e32 v15, 0
	s_delay_alu instid0(VALU_DEP_1) | instskip(NEXT) | instid1(VALU_DEP_1)
	v_lshlrev_b64 v[14:15], 2, v[14:15]
	v_add_co_u32 v14, vcc_lo, v11, v14
	s_delay_alu instid0(VALU_DEP_2)
	v_add_co_ci_u32_e32 v15, vcc_lo, v12, v15, vcc_lo
	global_store_b32 v[14:15], v40, off
	s_or_b32 exec_lo, exec_lo, s17
	s_and_saveexec_b32 s17, s7
	s_cbranch_execz .LBB562_215
.LBB562_274:
	v_sub_nc_u32_e32 v14, v43, v4
	v_mov_b32_e32 v15, 0
	s_delay_alu instid0(VALU_DEP_1) | instskip(NEXT) | instid1(VALU_DEP_1)
	v_lshlrev_b64 v[14:15], 2, v[14:15]
	v_add_co_u32 v14, vcc_lo, v11, v14
	s_delay_alu instid0(VALU_DEP_2)
	v_add_co_ci_u32_e32 v15, vcc_lo, v12, v15, vcc_lo
	global_store_b32 v[14:15], v44, off
	s_or_b32 exec_lo, exec_lo, s17
	s_and_saveexec_b32 s17, s6
	s_cbranch_execz .LBB562_216
.LBB562_275:
	v_sub_nc_u32_e32 v14, v47, v4
	v_mov_b32_e32 v15, 0
	s_delay_alu instid0(VALU_DEP_1) | instskip(NEXT) | instid1(VALU_DEP_1)
	v_lshlrev_b64 v[14:15], 2, v[14:15]
	v_add_co_u32 v14, vcc_lo, v11, v14
	s_delay_alu instid0(VALU_DEP_2)
	v_add_co_ci_u32_e32 v15, vcc_lo, v12, v15, vcc_lo
	global_store_b32 v[14:15], v48, off
	s_or_b32 exec_lo, exec_lo, s17
	s_and_saveexec_b32 s17, s5
	s_cbranch_execz .LBB562_217
.LBB562_276:
	v_sub_nc_u32_e32 v14, v5, v4
	v_mov_b32_e32 v15, 0
	s_delay_alu instid0(VALU_DEP_1) | instskip(NEXT) | instid1(VALU_DEP_1)
	v_lshlrev_b64 v[14:15], 2, v[14:15]
	v_add_co_u32 v14, vcc_lo, v11, v14
	s_delay_alu instid0(VALU_DEP_2)
	v_add_co_ci_u32_e32 v15, vcc_lo, v12, v15, vcc_lo
	global_store_b32 v[14:15], v6, off
	s_or_b32 exec_lo, exec_lo, s17
	s_and_saveexec_b32 s17, s4
	s_cbranch_execz .LBB562_218
.LBB562_277:
	v_sub_nc_u32_e32 v14, v7, v4
	v_mov_b32_e32 v15, 0
	s_delay_alu instid0(VALU_DEP_1) | instskip(NEXT) | instid1(VALU_DEP_1)
	v_lshlrev_b64 v[14:15], 2, v[14:15]
	v_add_co_u32 v14, vcc_lo, v11, v14
	s_delay_alu instid0(VALU_DEP_2)
	v_add_co_ci_u32_e32 v15, vcc_lo, v12, v15, vcc_lo
	global_store_b32 v[14:15], v8, off
	s_or_b32 exec_lo, exec_lo, s17
	s_and_saveexec_b32 s17, s3
	s_cbranch_execz .LBB562_219
.LBB562_278:
	v_sub_nc_u32_e32 v14, v37, v4
	v_mov_b32_e32 v15, 0
	s_delay_alu instid0(VALU_DEP_1) | instskip(NEXT) | instid1(VALU_DEP_1)
	v_lshlrev_b64 v[14:15], 2, v[14:15]
	v_add_co_u32 v14, vcc_lo, v11, v14
	s_delay_alu instid0(VALU_DEP_2)
	v_add_co_ci_u32_e32 v15, vcc_lo, v12, v15, vcc_lo
	global_store_b32 v[14:15], v38, off
	s_or_b32 exec_lo, exec_lo, s17
	s_and_saveexec_b32 s17, s2
	s_cbranch_execz .LBB562_220
.LBB562_279:
	v_sub_nc_u32_e32 v14, v61, v4
	v_mov_b32_e32 v15, 0
	s_delay_alu instid0(VALU_DEP_1) | instskip(NEXT) | instid1(VALU_DEP_1)
	v_lshlrev_b64 v[14:15], 2, v[14:15]
	v_add_co_u32 v14, vcc_lo, v11, v14
	s_delay_alu instid0(VALU_DEP_2)
	v_add_co_ci_u32_e32 v15, vcc_lo, v12, v15, vcc_lo
	global_store_b32 v[14:15], v62, off
	s_or_b32 exec_lo, exec_lo, s17
	s_and_saveexec_b32 s17, s1
	s_cbranch_execnz .LBB562_221
	s_branch .LBB562_222
.LBB562_280:
	v_sub_nc_u32_e32 v13, v53, v4
	s_delay_alu instid0(VALU_DEP_1)
	v_lshlrev_b32_e32 v13, 2, v13
	ds_store_b32 v13, v54
	s_or_b32 exec_lo, exec_lo, s17
	s_and_saveexec_b32 s14, s13
	s_cbranch_execz .LBB562_226
.LBB562_281:
	v_sub_nc_u32_e32 v13, v59, v4
	s_delay_alu instid0(VALU_DEP_1)
	v_lshlrev_b32_e32 v13, 2, v13
	ds_store_b32 v13, v60
	s_or_b32 exec_lo, exec_lo, s14
	s_and_saveexec_b32 s13, s12
	s_cbranch_execz .LBB562_227
.LBB562_282:
	v_sub_nc_u32_e32 v13, v55, v4
	s_delay_alu instid0(VALU_DEP_1)
	v_lshlrev_b32_e32 v13, 2, v13
	ds_store_b32 v13, v56
	s_or_b32 exec_lo, exec_lo, s13
	s_and_saveexec_b32 s12, s11
	s_cbranch_execz .LBB562_228
.LBB562_283:
	v_sub_nc_u32_e32 v13, v51, v4
	s_delay_alu instid0(VALU_DEP_1)
	v_lshlrev_b32_e32 v13, 2, v13
	ds_store_b32 v13, v52
	s_or_b32 exec_lo, exec_lo, s12
	s_and_saveexec_b32 s11, s10
	s_cbranch_execz .LBB562_229
.LBB562_284:
	v_sub_nc_u32_e32 v13, v45, v4
	s_delay_alu instid0(VALU_DEP_1)
	v_lshlrev_b32_e32 v13, 2, v13
	ds_store_b32 v13, v46
	s_or_b32 exec_lo, exec_lo, s11
	s_and_saveexec_b32 s10, s9
	s_cbranch_execz .LBB562_230
.LBB562_285:
	v_sub_nc_u32_e32 v13, v41, v4
	s_delay_alu instid0(VALU_DEP_1)
	v_lshlrev_b32_e32 v13, 2, v13
	ds_store_b32 v13, v42
	s_or_b32 exec_lo, exec_lo, s10
	s_and_saveexec_b32 s9, s8
	s_cbranch_execz .LBB562_231
.LBB562_286:
	v_sub_nc_u32_e32 v13, v39, v4
	s_delay_alu instid0(VALU_DEP_1)
	v_lshlrev_b32_e32 v13, 2, v13
	ds_store_b32 v13, v40
	s_or_b32 exec_lo, exec_lo, s9
	s_and_saveexec_b32 s8, s7
	s_cbranch_execz .LBB562_232
.LBB562_287:
	v_sub_nc_u32_e32 v13, v43, v4
	s_delay_alu instid0(VALU_DEP_1)
	v_lshlrev_b32_e32 v13, 2, v13
	ds_store_b32 v13, v44
	s_or_b32 exec_lo, exec_lo, s8
	s_and_saveexec_b32 s7, s6
	s_cbranch_execz .LBB562_233
.LBB562_288:
	v_sub_nc_u32_e32 v13, v47, v4
	s_delay_alu instid0(VALU_DEP_1)
	v_lshlrev_b32_e32 v13, 2, v13
	ds_store_b32 v13, v48
	s_or_b32 exec_lo, exec_lo, s7
	s_and_saveexec_b32 s6, s5
	s_cbranch_execz .LBB562_234
.LBB562_289:
	v_sub_nc_u32_e32 v5, v5, v4
	s_delay_alu instid0(VALU_DEP_1)
	v_lshlrev_b32_e32 v5, 2, v5
	ds_store_b32 v5, v6
	s_or_b32 exec_lo, exec_lo, s6
	s_and_saveexec_b32 s5, s4
	s_cbranch_execz .LBB562_235
.LBB562_290:
	v_sub_nc_u32_e32 v5, v7, v4
	s_delay_alu instid0(VALU_DEP_1)
	v_lshlrev_b32_e32 v5, 2, v5
	ds_store_b32 v5, v8
	s_or_b32 exec_lo, exec_lo, s5
	s_and_saveexec_b32 s4, s3
	s_cbranch_execz .LBB562_236
.LBB562_291:
	v_sub_nc_u32_e32 v5, v37, v4
	s_delay_alu instid0(VALU_DEP_1)
	v_lshlrev_b32_e32 v5, 2, v5
	ds_store_b32 v5, v38
	s_or_b32 exec_lo, exec_lo, s4
	s_and_saveexec_b32 s3, s2
	s_cbranch_execz .LBB562_237
.LBB562_292:
	v_sub_nc_u32_e32 v5, v61, v4
	s_delay_alu instid0(VALU_DEP_1)
	v_lshlrev_b32_e32 v5, 2, v5
	ds_store_b32 v5, v62
	s_or_b32 exec_lo, exec_lo, s3
	s_and_saveexec_b32 s2, s1
	s_cbranch_execnz .LBB562_238
	s_branch .LBB562_239
	.section	.rodata,"a",@progbits
	.p2align	6, 0x0
	.amdhsa_kernel _ZN7rocprim17ROCPRIM_400000_NS6detail17trampoline_kernelINS0_14default_configENS1_29reduce_by_key_config_selectorIiiN6thrust23THRUST_200600_302600_NS4plusIiEEEEZZNS1_33reduce_by_key_impl_wrapped_configILNS1_25lookback_scan_determinismE0ES3_S9_NS6_6detail15normal_iteratorINS6_10device_ptrIiEEEESG_SG_SG_PmS8_NS6_8equal_toIiEEEE10hipError_tPvRmT2_T3_mT4_T5_T6_T7_T8_P12ihipStream_tbENKUlT_T0_E_clISt17integral_constantIbLb1EES11_EEDaSW_SX_EUlSW_E_NS1_11comp_targetILNS1_3genE9ELNS1_11target_archE1100ELNS1_3gpuE3ELNS1_3repE0EEENS1_30default_config_static_selectorELNS0_4arch9wavefront6targetE0EEEvT1_
		.amdhsa_group_segment_fixed_size 15360
		.amdhsa_private_segment_fixed_size 0
		.amdhsa_kernarg_size 120
		.amdhsa_user_sgpr_count 15
		.amdhsa_user_sgpr_dispatch_ptr 0
		.amdhsa_user_sgpr_queue_ptr 0
		.amdhsa_user_sgpr_kernarg_segment_ptr 1
		.amdhsa_user_sgpr_dispatch_id 0
		.amdhsa_user_sgpr_private_segment_size 0
		.amdhsa_wavefront_size32 1
		.amdhsa_uses_dynamic_stack 0
		.amdhsa_enable_private_segment 0
		.amdhsa_system_sgpr_workgroup_id_x 1
		.amdhsa_system_sgpr_workgroup_id_y 0
		.amdhsa_system_sgpr_workgroup_id_z 0
		.amdhsa_system_sgpr_workgroup_info 0
		.amdhsa_system_vgpr_workitem_id 0
		.amdhsa_next_free_vgpr 87
		.amdhsa_next_free_sgpr 49
		.amdhsa_reserve_vcc 1
		.amdhsa_float_round_mode_32 0
		.amdhsa_float_round_mode_16_64 0
		.amdhsa_float_denorm_mode_32 3
		.amdhsa_float_denorm_mode_16_64 3
		.amdhsa_dx10_clamp 1
		.amdhsa_ieee_mode 1
		.amdhsa_fp16_overflow 0
		.amdhsa_workgroup_processor_mode 1
		.amdhsa_memory_ordered 1
		.amdhsa_forward_progress 0
		.amdhsa_shared_vgpr_count 0
		.amdhsa_exception_fp_ieee_invalid_op 0
		.amdhsa_exception_fp_denorm_src 0
		.amdhsa_exception_fp_ieee_div_zero 0
		.amdhsa_exception_fp_ieee_overflow 0
		.amdhsa_exception_fp_ieee_underflow 0
		.amdhsa_exception_fp_ieee_inexact 0
		.amdhsa_exception_int_div_zero 0
	.end_amdhsa_kernel
	.section	.text._ZN7rocprim17ROCPRIM_400000_NS6detail17trampoline_kernelINS0_14default_configENS1_29reduce_by_key_config_selectorIiiN6thrust23THRUST_200600_302600_NS4plusIiEEEEZZNS1_33reduce_by_key_impl_wrapped_configILNS1_25lookback_scan_determinismE0ES3_S9_NS6_6detail15normal_iteratorINS6_10device_ptrIiEEEESG_SG_SG_PmS8_NS6_8equal_toIiEEEE10hipError_tPvRmT2_T3_mT4_T5_T6_T7_T8_P12ihipStream_tbENKUlT_T0_E_clISt17integral_constantIbLb1EES11_EEDaSW_SX_EUlSW_E_NS1_11comp_targetILNS1_3genE9ELNS1_11target_archE1100ELNS1_3gpuE3ELNS1_3repE0EEENS1_30default_config_static_selectorELNS0_4arch9wavefront6targetE0EEEvT1_,"axG",@progbits,_ZN7rocprim17ROCPRIM_400000_NS6detail17trampoline_kernelINS0_14default_configENS1_29reduce_by_key_config_selectorIiiN6thrust23THRUST_200600_302600_NS4plusIiEEEEZZNS1_33reduce_by_key_impl_wrapped_configILNS1_25lookback_scan_determinismE0ES3_S9_NS6_6detail15normal_iteratorINS6_10device_ptrIiEEEESG_SG_SG_PmS8_NS6_8equal_toIiEEEE10hipError_tPvRmT2_T3_mT4_T5_T6_T7_T8_P12ihipStream_tbENKUlT_T0_E_clISt17integral_constantIbLb1EES11_EEDaSW_SX_EUlSW_E_NS1_11comp_targetILNS1_3genE9ELNS1_11target_archE1100ELNS1_3gpuE3ELNS1_3repE0EEENS1_30default_config_static_selectorELNS0_4arch9wavefront6targetE0EEEvT1_,comdat
.Lfunc_end562:
	.size	_ZN7rocprim17ROCPRIM_400000_NS6detail17trampoline_kernelINS0_14default_configENS1_29reduce_by_key_config_selectorIiiN6thrust23THRUST_200600_302600_NS4plusIiEEEEZZNS1_33reduce_by_key_impl_wrapped_configILNS1_25lookback_scan_determinismE0ES3_S9_NS6_6detail15normal_iteratorINS6_10device_ptrIiEEEESG_SG_SG_PmS8_NS6_8equal_toIiEEEE10hipError_tPvRmT2_T3_mT4_T5_T6_T7_T8_P12ihipStream_tbENKUlT_T0_E_clISt17integral_constantIbLb1EES11_EEDaSW_SX_EUlSW_E_NS1_11comp_targetILNS1_3genE9ELNS1_11target_archE1100ELNS1_3gpuE3ELNS1_3repE0EEENS1_30default_config_static_selectorELNS0_4arch9wavefront6targetE0EEEvT1_, .Lfunc_end562-_ZN7rocprim17ROCPRIM_400000_NS6detail17trampoline_kernelINS0_14default_configENS1_29reduce_by_key_config_selectorIiiN6thrust23THRUST_200600_302600_NS4plusIiEEEEZZNS1_33reduce_by_key_impl_wrapped_configILNS1_25lookback_scan_determinismE0ES3_S9_NS6_6detail15normal_iteratorINS6_10device_ptrIiEEEESG_SG_SG_PmS8_NS6_8equal_toIiEEEE10hipError_tPvRmT2_T3_mT4_T5_T6_T7_T8_P12ihipStream_tbENKUlT_T0_E_clISt17integral_constantIbLb1EES11_EEDaSW_SX_EUlSW_E_NS1_11comp_targetILNS1_3genE9ELNS1_11target_archE1100ELNS1_3gpuE3ELNS1_3repE0EEENS1_30default_config_static_selectorELNS0_4arch9wavefront6targetE0EEEvT1_
                                        ; -- End function
	.section	.AMDGPU.csdata,"",@progbits
; Kernel info:
; codeLenInByte = 17408
; NumSgprs: 51
; NumVgprs: 87
; ScratchSize: 0
; MemoryBound: 0
; FloatMode: 240
; IeeeMode: 1
; LDSByteSize: 15360 bytes/workgroup (compile time only)
; SGPRBlocks: 6
; VGPRBlocks: 10
; NumSGPRsForWavesPerEU: 51
; NumVGPRsForWavesPerEU: 87
; Occupancy: 16
; WaveLimiterHint : 1
; COMPUTE_PGM_RSRC2:SCRATCH_EN: 0
; COMPUTE_PGM_RSRC2:USER_SGPR: 15
; COMPUTE_PGM_RSRC2:TRAP_HANDLER: 0
; COMPUTE_PGM_RSRC2:TGID_X_EN: 1
; COMPUTE_PGM_RSRC2:TGID_Y_EN: 0
; COMPUTE_PGM_RSRC2:TGID_Z_EN: 0
; COMPUTE_PGM_RSRC2:TIDIG_COMP_CNT: 0
	.section	.text._ZN7rocprim17ROCPRIM_400000_NS6detail17trampoline_kernelINS0_14default_configENS1_29reduce_by_key_config_selectorIiiN6thrust23THRUST_200600_302600_NS4plusIiEEEEZZNS1_33reduce_by_key_impl_wrapped_configILNS1_25lookback_scan_determinismE0ES3_S9_NS6_6detail15normal_iteratorINS6_10device_ptrIiEEEESG_SG_SG_PmS8_NS6_8equal_toIiEEEE10hipError_tPvRmT2_T3_mT4_T5_T6_T7_T8_P12ihipStream_tbENKUlT_T0_E_clISt17integral_constantIbLb1EES11_EEDaSW_SX_EUlSW_E_NS1_11comp_targetILNS1_3genE8ELNS1_11target_archE1030ELNS1_3gpuE2ELNS1_3repE0EEENS1_30default_config_static_selectorELNS0_4arch9wavefront6targetE0EEEvT1_,"axG",@progbits,_ZN7rocprim17ROCPRIM_400000_NS6detail17trampoline_kernelINS0_14default_configENS1_29reduce_by_key_config_selectorIiiN6thrust23THRUST_200600_302600_NS4plusIiEEEEZZNS1_33reduce_by_key_impl_wrapped_configILNS1_25lookback_scan_determinismE0ES3_S9_NS6_6detail15normal_iteratorINS6_10device_ptrIiEEEESG_SG_SG_PmS8_NS6_8equal_toIiEEEE10hipError_tPvRmT2_T3_mT4_T5_T6_T7_T8_P12ihipStream_tbENKUlT_T0_E_clISt17integral_constantIbLb1EES11_EEDaSW_SX_EUlSW_E_NS1_11comp_targetILNS1_3genE8ELNS1_11target_archE1030ELNS1_3gpuE2ELNS1_3repE0EEENS1_30default_config_static_selectorELNS0_4arch9wavefront6targetE0EEEvT1_,comdat
	.protected	_ZN7rocprim17ROCPRIM_400000_NS6detail17trampoline_kernelINS0_14default_configENS1_29reduce_by_key_config_selectorIiiN6thrust23THRUST_200600_302600_NS4plusIiEEEEZZNS1_33reduce_by_key_impl_wrapped_configILNS1_25lookback_scan_determinismE0ES3_S9_NS6_6detail15normal_iteratorINS6_10device_ptrIiEEEESG_SG_SG_PmS8_NS6_8equal_toIiEEEE10hipError_tPvRmT2_T3_mT4_T5_T6_T7_T8_P12ihipStream_tbENKUlT_T0_E_clISt17integral_constantIbLb1EES11_EEDaSW_SX_EUlSW_E_NS1_11comp_targetILNS1_3genE8ELNS1_11target_archE1030ELNS1_3gpuE2ELNS1_3repE0EEENS1_30default_config_static_selectorELNS0_4arch9wavefront6targetE0EEEvT1_ ; -- Begin function _ZN7rocprim17ROCPRIM_400000_NS6detail17trampoline_kernelINS0_14default_configENS1_29reduce_by_key_config_selectorIiiN6thrust23THRUST_200600_302600_NS4plusIiEEEEZZNS1_33reduce_by_key_impl_wrapped_configILNS1_25lookback_scan_determinismE0ES3_S9_NS6_6detail15normal_iteratorINS6_10device_ptrIiEEEESG_SG_SG_PmS8_NS6_8equal_toIiEEEE10hipError_tPvRmT2_T3_mT4_T5_T6_T7_T8_P12ihipStream_tbENKUlT_T0_E_clISt17integral_constantIbLb1EES11_EEDaSW_SX_EUlSW_E_NS1_11comp_targetILNS1_3genE8ELNS1_11target_archE1030ELNS1_3gpuE2ELNS1_3repE0EEENS1_30default_config_static_selectorELNS0_4arch9wavefront6targetE0EEEvT1_
	.globl	_ZN7rocprim17ROCPRIM_400000_NS6detail17trampoline_kernelINS0_14default_configENS1_29reduce_by_key_config_selectorIiiN6thrust23THRUST_200600_302600_NS4plusIiEEEEZZNS1_33reduce_by_key_impl_wrapped_configILNS1_25lookback_scan_determinismE0ES3_S9_NS6_6detail15normal_iteratorINS6_10device_ptrIiEEEESG_SG_SG_PmS8_NS6_8equal_toIiEEEE10hipError_tPvRmT2_T3_mT4_T5_T6_T7_T8_P12ihipStream_tbENKUlT_T0_E_clISt17integral_constantIbLb1EES11_EEDaSW_SX_EUlSW_E_NS1_11comp_targetILNS1_3genE8ELNS1_11target_archE1030ELNS1_3gpuE2ELNS1_3repE0EEENS1_30default_config_static_selectorELNS0_4arch9wavefront6targetE0EEEvT1_
	.p2align	8
	.type	_ZN7rocprim17ROCPRIM_400000_NS6detail17trampoline_kernelINS0_14default_configENS1_29reduce_by_key_config_selectorIiiN6thrust23THRUST_200600_302600_NS4plusIiEEEEZZNS1_33reduce_by_key_impl_wrapped_configILNS1_25lookback_scan_determinismE0ES3_S9_NS6_6detail15normal_iteratorINS6_10device_ptrIiEEEESG_SG_SG_PmS8_NS6_8equal_toIiEEEE10hipError_tPvRmT2_T3_mT4_T5_T6_T7_T8_P12ihipStream_tbENKUlT_T0_E_clISt17integral_constantIbLb1EES11_EEDaSW_SX_EUlSW_E_NS1_11comp_targetILNS1_3genE8ELNS1_11target_archE1030ELNS1_3gpuE2ELNS1_3repE0EEENS1_30default_config_static_selectorELNS0_4arch9wavefront6targetE0EEEvT1_,@function
_ZN7rocprim17ROCPRIM_400000_NS6detail17trampoline_kernelINS0_14default_configENS1_29reduce_by_key_config_selectorIiiN6thrust23THRUST_200600_302600_NS4plusIiEEEEZZNS1_33reduce_by_key_impl_wrapped_configILNS1_25lookback_scan_determinismE0ES3_S9_NS6_6detail15normal_iteratorINS6_10device_ptrIiEEEESG_SG_SG_PmS8_NS6_8equal_toIiEEEE10hipError_tPvRmT2_T3_mT4_T5_T6_T7_T8_P12ihipStream_tbENKUlT_T0_E_clISt17integral_constantIbLb1EES11_EEDaSW_SX_EUlSW_E_NS1_11comp_targetILNS1_3genE8ELNS1_11target_archE1030ELNS1_3gpuE2ELNS1_3repE0EEENS1_30default_config_static_selectorELNS0_4arch9wavefront6targetE0EEEvT1_: ; @_ZN7rocprim17ROCPRIM_400000_NS6detail17trampoline_kernelINS0_14default_configENS1_29reduce_by_key_config_selectorIiiN6thrust23THRUST_200600_302600_NS4plusIiEEEEZZNS1_33reduce_by_key_impl_wrapped_configILNS1_25lookback_scan_determinismE0ES3_S9_NS6_6detail15normal_iteratorINS6_10device_ptrIiEEEESG_SG_SG_PmS8_NS6_8equal_toIiEEEE10hipError_tPvRmT2_T3_mT4_T5_T6_T7_T8_P12ihipStream_tbENKUlT_T0_E_clISt17integral_constantIbLb1EES11_EEDaSW_SX_EUlSW_E_NS1_11comp_targetILNS1_3genE8ELNS1_11target_archE1030ELNS1_3gpuE2ELNS1_3repE0EEENS1_30default_config_static_selectorELNS0_4arch9wavefront6targetE0EEEvT1_
; %bb.0:
	.section	.rodata,"a",@progbits
	.p2align	6, 0x0
	.amdhsa_kernel _ZN7rocprim17ROCPRIM_400000_NS6detail17trampoline_kernelINS0_14default_configENS1_29reduce_by_key_config_selectorIiiN6thrust23THRUST_200600_302600_NS4plusIiEEEEZZNS1_33reduce_by_key_impl_wrapped_configILNS1_25lookback_scan_determinismE0ES3_S9_NS6_6detail15normal_iteratorINS6_10device_ptrIiEEEESG_SG_SG_PmS8_NS6_8equal_toIiEEEE10hipError_tPvRmT2_T3_mT4_T5_T6_T7_T8_P12ihipStream_tbENKUlT_T0_E_clISt17integral_constantIbLb1EES11_EEDaSW_SX_EUlSW_E_NS1_11comp_targetILNS1_3genE8ELNS1_11target_archE1030ELNS1_3gpuE2ELNS1_3repE0EEENS1_30default_config_static_selectorELNS0_4arch9wavefront6targetE0EEEvT1_
		.amdhsa_group_segment_fixed_size 0
		.amdhsa_private_segment_fixed_size 0
		.amdhsa_kernarg_size 120
		.amdhsa_user_sgpr_count 15
		.amdhsa_user_sgpr_dispatch_ptr 0
		.amdhsa_user_sgpr_queue_ptr 0
		.amdhsa_user_sgpr_kernarg_segment_ptr 1
		.amdhsa_user_sgpr_dispatch_id 0
		.amdhsa_user_sgpr_private_segment_size 0
		.amdhsa_wavefront_size32 1
		.amdhsa_uses_dynamic_stack 0
		.amdhsa_enable_private_segment 0
		.amdhsa_system_sgpr_workgroup_id_x 1
		.amdhsa_system_sgpr_workgroup_id_y 0
		.amdhsa_system_sgpr_workgroup_id_z 0
		.amdhsa_system_sgpr_workgroup_info 0
		.amdhsa_system_vgpr_workitem_id 0
		.amdhsa_next_free_vgpr 1
		.amdhsa_next_free_sgpr 1
		.amdhsa_reserve_vcc 0
		.amdhsa_float_round_mode_32 0
		.amdhsa_float_round_mode_16_64 0
		.amdhsa_float_denorm_mode_32 3
		.amdhsa_float_denorm_mode_16_64 3
		.amdhsa_dx10_clamp 1
		.amdhsa_ieee_mode 1
		.amdhsa_fp16_overflow 0
		.amdhsa_workgroup_processor_mode 1
		.amdhsa_memory_ordered 1
		.amdhsa_forward_progress 0
		.amdhsa_shared_vgpr_count 0
		.amdhsa_exception_fp_ieee_invalid_op 0
		.amdhsa_exception_fp_denorm_src 0
		.amdhsa_exception_fp_ieee_div_zero 0
		.amdhsa_exception_fp_ieee_overflow 0
		.amdhsa_exception_fp_ieee_underflow 0
		.amdhsa_exception_fp_ieee_inexact 0
		.amdhsa_exception_int_div_zero 0
	.end_amdhsa_kernel
	.section	.text._ZN7rocprim17ROCPRIM_400000_NS6detail17trampoline_kernelINS0_14default_configENS1_29reduce_by_key_config_selectorIiiN6thrust23THRUST_200600_302600_NS4plusIiEEEEZZNS1_33reduce_by_key_impl_wrapped_configILNS1_25lookback_scan_determinismE0ES3_S9_NS6_6detail15normal_iteratorINS6_10device_ptrIiEEEESG_SG_SG_PmS8_NS6_8equal_toIiEEEE10hipError_tPvRmT2_T3_mT4_T5_T6_T7_T8_P12ihipStream_tbENKUlT_T0_E_clISt17integral_constantIbLb1EES11_EEDaSW_SX_EUlSW_E_NS1_11comp_targetILNS1_3genE8ELNS1_11target_archE1030ELNS1_3gpuE2ELNS1_3repE0EEENS1_30default_config_static_selectorELNS0_4arch9wavefront6targetE0EEEvT1_,"axG",@progbits,_ZN7rocprim17ROCPRIM_400000_NS6detail17trampoline_kernelINS0_14default_configENS1_29reduce_by_key_config_selectorIiiN6thrust23THRUST_200600_302600_NS4plusIiEEEEZZNS1_33reduce_by_key_impl_wrapped_configILNS1_25lookback_scan_determinismE0ES3_S9_NS6_6detail15normal_iteratorINS6_10device_ptrIiEEEESG_SG_SG_PmS8_NS6_8equal_toIiEEEE10hipError_tPvRmT2_T3_mT4_T5_T6_T7_T8_P12ihipStream_tbENKUlT_T0_E_clISt17integral_constantIbLb1EES11_EEDaSW_SX_EUlSW_E_NS1_11comp_targetILNS1_3genE8ELNS1_11target_archE1030ELNS1_3gpuE2ELNS1_3repE0EEENS1_30default_config_static_selectorELNS0_4arch9wavefront6targetE0EEEvT1_,comdat
.Lfunc_end563:
	.size	_ZN7rocprim17ROCPRIM_400000_NS6detail17trampoline_kernelINS0_14default_configENS1_29reduce_by_key_config_selectorIiiN6thrust23THRUST_200600_302600_NS4plusIiEEEEZZNS1_33reduce_by_key_impl_wrapped_configILNS1_25lookback_scan_determinismE0ES3_S9_NS6_6detail15normal_iteratorINS6_10device_ptrIiEEEESG_SG_SG_PmS8_NS6_8equal_toIiEEEE10hipError_tPvRmT2_T3_mT4_T5_T6_T7_T8_P12ihipStream_tbENKUlT_T0_E_clISt17integral_constantIbLb1EES11_EEDaSW_SX_EUlSW_E_NS1_11comp_targetILNS1_3genE8ELNS1_11target_archE1030ELNS1_3gpuE2ELNS1_3repE0EEENS1_30default_config_static_selectorELNS0_4arch9wavefront6targetE0EEEvT1_, .Lfunc_end563-_ZN7rocprim17ROCPRIM_400000_NS6detail17trampoline_kernelINS0_14default_configENS1_29reduce_by_key_config_selectorIiiN6thrust23THRUST_200600_302600_NS4plusIiEEEEZZNS1_33reduce_by_key_impl_wrapped_configILNS1_25lookback_scan_determinismE0ES3_S9_NS6_6detail15normal_iteratorINS6_10device_ptrIiEEEESG_SG_SG_PmS8_NS6_8equal_toIiEEEE10hipError_tPvRmT2_T3_mT4_T5_T6_T7_T8_P12ihipStream_tbENKUlT_T0_E_clISt17integral_constantIbLb1EES11_EEDaSW_SX_EUlSW_E_NS1_11comp_targetILNS1_3genE8ELNS1_11target_archE1030ELNS1_3gpuE2ELNS1_3repE0EEENS1_30default_config_static_selectorELNS0_4arch9wavefront6targetE0EEEvT1_
                                        ; -- End function
	.section	.AMDGPU.csdata,"",@progbits
; Kernel info:
; codeLenInByte = 0
; NumSgprs: 0
; NumVgprs: 0
; ScratchSize: 0
; MemoryBound: 0
; FloatMode: 240
; IeeeMode: 1
; LDSByteSize: 0 bytes/workgroup (compile time only)
; SGPRBlocks: 0
; VGPRBlocks: 0
; NumSGPRsForWavesPerEU: 1
; NumVGPRsForWavesPerEU: 1
; Occupancy: 16
; WaveLimiterHint : 0
; COMPUTE_PGM_RSRC2:SCRATCH_EN: 0
; COMPUTE_PGM_RSRC2:USER_SGPR: 15
; COMPUTE_PGM_RSRC2:TRAP_HANDLER: 0
; COMPUTE_PGM_RSRC2:TGID_X_EN: 1
; COMPUTE_PGM_RSRC2:TGID_Y_EN: 0
; COMPUTE_PGM_RSRC2:TGID_Z_EN: 0
; COMPUTE_PGM_RSRC2:TIDIG_COMP_CNT: 0
	.section	.text._ZN7rocprim17ROCPRIM_400000_NS6detail25reduce_by_key_init_kernelINS1_19lookback_scan_stateINS0_5tupleIJjiEEELb1ELb1EEEiNS1_16block_id_wrapperIjLb0EEEEEvT_jbjPmPT0_T1_,"axG",@progbits,_ZN7rocprim17ROCPRIM_400000_NS6detail25reduce_by_key_init_kernelINS1_19lookback_scan_stateINS0_5tupleIJjiEEELb1ELb1EEEiNS1_16block_id_wrapperIjLb0EEEEEvT_jbjPmPT0_T1_,comdat
	.protected	_ZN7rocprim17ROCPRIM_400000_NS6detail25reduce_by_key_init_kernelINS1_19lookback_scan_stateINS0_5tupleIJjiEEELb1ELb1EEEiNS1_16block_id_wrapperIjLb0EEEEEvT_jbjPmPT0_T1_ ; -- Begin function _ZN7rocprim17ROCPRIM_400000_NS6detail25reduce_by_key_init_kernelINS1_19lookback_scan_stateINS0_5tupleIJjiEEELb1ELb1EEEiNS1_16block_id_wrapperIjLb0EEEEEvT_jbjPmPT0_T1_
	.globl	_ZN7rocprim17ROCPRIM_400000_NS6detail25reduce_by_key_init_kernelINS1_19lookback_scan_stateINS0_5tupleIJjiEEELb1ELb1EEEiNS1_16block_id_wrapperIjLb0EEEEEvT_jbjPmPT0_T1_
	.p2align	8
	.type	_ZN7rocprim17ROCPRIM_400000_NS6detail25reduce_by_key_init_kernelINS1_19lookback_scan_stateINS0_5tupleIJjiEEELb1ELb1EEEiNS1_16block_id_wrapperIjLb0EEEEEvT_jbjPmPT0_T1_,@function
_ZN7rocprim17ROCPRIM_400000_NS6detail25reduce_by_key_init_kernelINS1_19lookback_scan_stateINS0_5tupleIJjiEEELb1ELb1EEEiNS1_16block_id_wrapperIjLb0EEEEEvT_jbjPmPT0_T1_: ; @_ZN7rocprim17ROCPRIM_400000_NS6detail25reduce_by_key_init_kernelINS1_19lookback_scan_stateINS0_5tupleIJjiEEELb1ELb1EEEiNS1_16block_id_wrapperIjLb0EEEEEvT_jbjPmPT0_T1_
; %bb.0:
	s_clause 0x2
	s_load_b32 s2, s[0:1], 0x3c
	s_load_b256 s[4:11], s[0:1], 0x8
	s_load_b64 s[0:1], s[0:1], 0x0
	s_waitcnt lgkmcnt(0)
	s_and_b32 s2, s2, 0xffff
	s_delay_alu instid0(SALU_CYCLE_1) | instskip(SKIP_1) | instid1(SALU_CYCLE_1)
	v_mad_u64_u32 v[1:2], null, s15, s2, v[0:1]
	s_and_b32 s2, s5, 1
	s_cmp_eq_u32 s2, 0
	s_mov_b32 s2, -1
	s_cbranch_scc1 .LBB564_7
; %bb.1:
	s_and_not1_b32 vcc_lo, exec_lo, s2
	s_cbranch_vccz .LBB564_16
.LBB564_2:
	s_mov_b32 s2, exec_lo
	v_cmpx_gt_u32_e64 s4, v1
	s_cbranch_execz .LBB564_4
.LBB564_3:
	v_dual_mov_b32 v3, 0 :: v_dual_add_nc_u32 v2, 32, v1
	s_delay_alu instid0(VALU_DEP_1) | instskip(SKIP_2) | instid1(VALU_DEP_3)
	v_lshlrev_b64 v[5:6], 4, v[2:3]
	v_mov_b32_e32 v2, v3
	v_mov_b32_e32 v4, v3
	v_add_co_u32 v7, vcc_lo, s0, v5
	s_delay_alu instid0(VALU_DEP_4)
	v_add_co_ci_u32_e32 v8, vcc_lo, s1, v6, vcc_lo
	v_mov_b32_e32 v5, v3
	global_store_b128 v[7:8], v[2:5], off
.LBB564_4:
	s_or_b32 exec_lo, exec_lo, s2
	s_delay_alu instid0(SALU_CYCLE_1)
	s_mov_b32 s2, exec_lo
	v_cmpx_gt_u32_e32 32, v1
	s_cbranch_execz .LBB564_6
; %bb.5:
	v_dual_mov_b32 v2, 0 :: v_dual_mov_b32 v3, 0xff
	s_delay_alu instid0(VALU_DEP_1) | instskip(SKIP_1) | instid1(VALU_DEP_2)
	v_lshlrev_b64 v[4:5], 4, v[1:2]
	v_mov_b32_e32 v1, v2
	v_add_co_u32 v6, vcc_lo, s0, v4
	s_delay_alu instid0(VALU_DEP_3)
	v_add_co_ci_u32_e32 v7, vcc_lo, s1, v5, vcc_lo
	v_mov_b32_e32 v4, v2
	global_store_b128 v[6:7], v[1:4], off
.LBB564_6:
	s_nop 0
	s_sendmsg sendmsg(MSG_DEALLOC_VGPRS)
	s_endpgm
.LBB564_7:
	s_cmp_lt_u32 s6, s4
	s_mov_b32 s5, exec_lo
	s_cselect_b32 s2, s6, 0
	s_delay_alu instid0(SALU_CYCLE_1)
	v_cmpx_eq_u32_e64 s2, v1
	s_cbranch_execz .LBB564_15
; %bb.8:
	s_add_i32 s2, s6, 32
	s_mov_b32 s3, 0
	v_mov_b32_e32 v6, 0
	s_lshl_b64 s[6:7], s[2:3], 4
	s_mov_b32 s2, exec_lo
	s_add_u32 s6, s0, s6
	s_addc_u32 s7, s1, s7
	s_delay_alu instid0(SALU_CYCLE_1) | instskip(SKIP_2) | instid1(VALU_DEP_1)
	v_dual_mov_b32 v2, s6 :: v_dual_mov_b32 v3, s7
	;;#ASMSTART
	global_load_dwordx4 v[2:5], v[2:3] off glc	
s_waitcnt vmcnt(0)
	;;#ASMEND
	v_and_b32_e32 v5, 0xff, v4
	v_cmpx_eq_u64_e32 0, v[5:6]
	s_cbranch_execz .LBB564_14
; %bb.9:
	v_dual_mov_b32 v8, s7 :: v_dual_mov_b32 v7, s6
	s_mov_b32 s6, 1
	.p2align	6
.LBB564_10:                             ; =>This Loop Header: Depth=1
                                        ;     Child Loop BB564_11 Depth 2
	s_delay_alu instid0(SALU_CYCLE_1)
	s_max_u32 s7, s6, 1
.LBB564_11:                             ;   Parent Loop BB564_10 Depth=1
                                        ; =>  This Inner Loop Header: Depth=2
	s_delay_alu instid0(SALU_CYCLE_1)
	s_add_i32 s7, s7, -1
	s_sleep 1
	s_cmp_eq_u32 s7, 0
	s_cbranch_scc0 .LBB564_11
; %bb.12:                               ;   in Loop: Header=BB564_10 Depth=1
	;;#ASMSTART
	global_load_dwordx4 v[2:5], v[7:8] off glc	
s_waitcnt vmcnt(0)
	;;#ASMEND
	v_and_b32_e32 v5, 0xff, v4
	s_cmp_lt_u32 s6, 32
	s_cselect_b32 s7, -1, 0
	s_delay_alu instid0(SALU_CYCLE_1) | instskip(NEXT) | instid1(VALU_DEP_1)
	s_cmp_lg_u32 s7, 0
	v_cmp_ne_u64_e32 vcc_lo, 0, v[5:6]
	s_addc_u32 s6, s6, 0
	s_or_b32 s3, vcc_lo, s3
	s_delay_alu instid0(SALU_CYCLE_1)
	s_and_not1_b32 exec_lo, exec_lo, s3
	s_cbranch_execnz .LBB564_10
; %bb.13:
	s_or_b32 exec_lo, exec_lo, s3
.LBB564_14:
	s_delay_alu instid0(SALU_CYCLE_1)
	s_or_b32 exec_lo, exec_lo, s2
	v_mov_b32_e32 v0, 0
	global_load_b64 v[4:5], v0, s[8:9]
	s_waitcnt vmcnt(0)
	v_add_co_u32 v4, vcc_lo, v4, v2
	v_add_co_ci_u32_e32 v5, vcc_lo, 0, v5, vcc_lo
	s_clause 0x1
	global_store_b64 v0, v[4:5], s[8:9]
	global_store_b32 v0, v3, s[10:11]
.LBB564_15:
	s_or_b32 exec_lo, exec_lo, s5
	s_cbranch_execnz .LBB564_2
.LBB564_16:
	s_delay_alu instid0(VALU_DEP_1) | instskip(SKIP_2) | instid1(SALU_CYCLE_1)
	v_cmp_eq_u32_e32 vcc_lo, 0, v1
	s_cmp_lg_u64 s[8:9], 0
	s_cselect_b32 s2, -1, 0
	s_and_b32 s3, s2, vcc_lo
	s_delay_alu instid0(SALU_CYCLE_1)
	s_and_saveexec_b32 s2, s3
	s_cbranch_execz .LBB564_18
; %bb.17:
	v_mov_b32_e32 v2, 0
	s_delay_alu instid0(VALU_DEP_1)
	v_mov_b32_e32 v3, v2
	global_store_b64 v2, v[2:3], s[8:9]
.LBB564_18:
	s_or_b32 exec_lo, exec_lo, s2
	s_delay_alu instid0(SALU_CYCLE_1)
	s_mov_b32 s2, exec_lo
	v_cmpx_gt_u32_e64 s4, v1
	s_cbranch_execnz .LBB564_3
	s_branch .LBB564_4
	.section	.rodata,"a",@progbits
	.p2align	6, 0x0
	.amdhsa_kernel _ZN7rocprim17ROCPRIM_400000_NS6detail25reduce_by_key_init_kernelINS1_19lookback_scan_stateINS0_5tupleIJjiEEELb1ELb1EEEiNS1_16block_id_wrapperIjLb0EEEEEvT_jbjPmPT0_T1_
		.amdhsa_group_segment_fixed_size 0
		.amdhsa_private_segment_fixed_size 0
		.amdhsa_kernarg_size 304
		.amdhsa_user_sgpr_count 15
		.amdhsa_user_sgpr_dispatch_ptr 0
		.amdhsa_user_sgpr_queue_ptr 0
		.amdhsa_user_sgpr_kernarg_segment_ptr 1
		.amdhsa_user_sgpr_dispatch_id 0
		.amdhsa_user_sgpr_private_segment_size 0
		.amdhsa_wavefront_size32 1
		.amdhsa_uses_dynamic_stack 0
		.amdhsa_enable_private_segment 0
		.amdhsa_system_sgpr_workgroup_id_x 1
		.amdhsa_system_sgpr_workgroup_id_y 0
		.amdhsa_system_sgpr_workgroup_id_z 0
		.amdhsa_system_sgpr_workgroup_info 0
		.amdhsa_system_vgpr_workitem_id 0
		.amdhsa_next_free_vgpr 9
		.amdhsa_next_free_sgpr 16
		.amdhsa_reserve_vcc 1
		.amdhsa_float_round_mode_32 0
		.amdhsa_float_round_mode_16_64 0
		.amdhsa_float_denorm_mode_32 3
		.amdhsa_float_denorm_mode_16_64 3
		.amdhsa_dx10_clamp 1
		.amdhsa_ieee_mode 1
		.amdhsa_fp16_overflow 0
		.amdhsa_workgroup_processor_mode 1
		.amdhsa_memory_ordered 1
		.amdhsa_forward_progress 0
		.amdhsa_shared_vgpr_count 0
		.amdhsa_exception_fp_ieee_invalid_op 0
		.amdhsa_exception_fp_denorm_src 0
		.amdhsa_exception_fp_ieee_div_zero 0
		.amdhsa_exception_fp_ieee_overflow 0
		.amdhsa_exception_fp_ieee_underflow 0
		.amdhsa_exception_fp_ieee_inexact 0
		.amdhsa_exception_int_div_zero 0
	.end_amdhsa_kernel
	.section	.text._ZN7rocprim17ROCPRIM_400000_NS6detail25reduce_by_key_init_kernelINS1_19lookback_scan_stateINS0_5tupleIJjiEEELb1ELb1EEEiNS1_16block_id_wrapperIjLb0EEEEEvT_jbjPmPT0_T1_,"axG",@progbits,_ZN7rocprim17ROCPRIM_400000_NS6detail25reduce_by_key_init_kernelINS1_19lookback_scan_stateINS0_5tupleIJjiEEELb1ELb1EEEiNS1_16block_id_wrapperIjLb0EEEEEvT_jbjPmPT0_T1_,comdat
.Lfunc_end564:
	.size	_ZN7rocprim17ROCPRIM_400000_NS6detail25reduce_by_key_init_kernelINS1_19lookback_scan_stateINS0_5tupleIJjiEEELb1ELb1EEEiNS1_16block_id_wrapperIjLb0EEEEEvT_jbjPmPT0_T1_, .Lfunc_end564-_ZN7rocprim17ROCPRIM_400000_NS6detail25reduce_by_key_init_kernelINS1_19lookback_scan_stateINS0_5tupleIJjiEEELb1ELb1EEEiNS1_16block_id_wrapperIjLb0EEEEEvT_jbjPmPT0_T1_
                                        ; -- End function
	.section	.AMDGPU.csdata,"",@progbits
; Kernel info:
; codeLenInByte = 636
; NumSgprs: 18
; NumVgprs: 9
; ScratchSize: 0
; MemoryBound: 0
; FloatMode: 240
; IeeeMode: 1
; LDSByteSize: 0 bytes/workgroup (compile time only)
; SGPRBlocks: 2
; VGPRBlocks: 1
; NumSGPRsForWavesPerEU: 18
; NumVGPRsForWavesPerEU: 9
; Occupancy: 16
; WaveLimiterHint : 0
; COMPUTE_PGM_RSRC2:SCRATCH_EN: 0
; COMPUTE_PGM_RSRC2:USER_SGPR: 15
; COMPUTE_PGM_RSRC2:TRAP_HANDLER: 0
; COMPUTE_PGM_RSRC2:TGID_X_EN: 1
; COMPUTE_PGM_RSRC2:TGID_Y_EN: 0
; COMPUTE_PGM_RSRC2:TGID_Z_EN: 0
; COMPUTE_PGM_RSRC2:TIDIG_COMP_CNT: 0
	.section	.text._ZN7rocprim17ROCPRIM_400000_NS6detail17trampoline_kernelINS0_14default_configENS1_29reduce_by_key_config_selectorIiiN6thrust23THRUST_200600_302600_NS4plusIiEEEEZZNS1_33reduce_by_key_impl_wrapped_configILNS1_25lookback_scan_determinismE0ES3_S9_NS6_6detail15normal_iteratorINS6_10device_ptrIiEEEESG_SG_SG_PmS8_NS6_8equal_toIiEEEE10hipError_tPvRmT2_T3_mT4_T5_T6_T7_T8_P12ihipStream_tbENKUlT_T0_E_clISt17integral_constantIbLb1EES10_IbLb0EEEEDaSW_SX_EUlSW_E_NS1_11comp_targetILNS1_3genE0ELNS1_11target_archE4294967295ELNS1_3gpuE0ELNS1_3repE0EEENS1_30default_config_static_selectorELNS0_4arch9wavefront6targetE0EEEvT1_,"axG",@progbits,_ZN7rocprim17ROCPRIM_400000_NS6detail17trampoline_kernelINS0_14default_configENS1_29reduce_by_key_config_selectorIiiN6thrust23THRUST_200600_302600_NS4plusIiEEEEZZNS1_33reduce_by_key_impl_wrapped_configILNS1_25lookback_scan_determinismE0ES3_S9_NS6_6detail15normal_iteratorINS6_10device_ptrIiEEEESG_SG_SG_PmS8_NS6_8equal_toIiEEEE10hipError_tPvRmT2_T3_mT4_T5_T6_T7_T8_P12ihipStream_tbENKUlT_T0_E_clISt17integral_constantIbLb1EES10_IbLb0EEEEDaSW_SX_EUlSW_E_NS1_11comp_targetILNS1_3genE0ELNS1_11target_archE4294967295ELNS1_3gpuE0ELNS1_3repE0EEENS1_30default_config_static_selectorELNS0_4arch9wavefront6targetE0EEEvT1_,comdat
	.protected	_ZN7rocprim17ROCPRIM_400000_NS6detail17trampoline_kernelINS0_14default_configENS1_29reduce_by_key_config_selectorIiiN6thrust23THRUST_200600_302600_NS4plusIiEEEEZZNS1_33reduce_by_key_impl_wrapped_configILNS1_25lookback_scan_determinismE0ES3_S9_NS6_6detail15normal_iteratorINS6_10device_ptrIiEEEESG_SG_SG_PmS8_NS6_8equal_toIiEEEE10hipError_tPvRmT2_T3_mT4_T5_T6_T7_T8_P12ihipStream_tbENKUlT_T0_E_clISt17integral_constantIbLb1EES10_IbLb0EEEEDaSW_SX_EUlSW_E_NS1_11comp_targetILNS1_3genE0ELNS1_11target_archE4294967295ELNS1_3gpuE0ELNS1_3repE0EEENS1_30default_config_static_selectorELNS0_4arch9wavefront6targetE0EEEvT1_ ; -- Begin function _ZN7rocprim17ROCPRIM_400000_NS6detail17trampoline_kernelINS0_14default_configENS1_29reduce_by_key_config_selectorIiiN6thrust23THRUST_200600_302600_NS4plusIiEEEEZZNS1_33reduce_by_key_impl_wrapped_configILNS1_25lookback_scan_determinismE0ES3_S9_NS6_6detail15normal_iteratorINS6_10device_ptrIiEEEESG_SG_SG_PmS8_NS6_8equal_toIiEEEE10hipError_tPvRmT2_T3_mT4_T5_T6_T7_T8_P12ihipStream_tbENKUlT_T0_E_clISt17integral_constantIbLb1EES10_IbLb0EEEEDaSW_SX_EUlSW_E_NS1_11comp_targetILNS1_3genE0ELNS1_11target_archE4294967295ELNS1_3gpuE0ELNS1_3repE0EEENS1_30default_config_static_selectorELNS0_4arch9wavefront6targetE0EEEvT1_
	.globl	_ZN7rocprim17ROCPRIM_400000_NS6detail17trampoline_kernelINS0_14default_configENS1_29reduce_by_key_config_selectorIiiN6thrust23THRUST_200600_302600_NS4plusIiEEEEZZNS1_33reduce_by_key_impl_wrapped_configILNS1_25lookback_scan_determinismE0ES3_S9_NS6_6detail15normal_iteratorINS6_10device_ptrIiEEEESG_SG_SG_PmS8_NS6_8equal_toIiEEEE10hipError_tPvRmT2_T3_mT4_T5_T6_T7_T8_P12ihipStream_tbENKUlT_T0_E_clISt17integral_constantIbLb1EES10_IbLb0EEEEDaSW_SX_EUlSW_E_NS1_11comp_targetILNS1_3genE0ELNS1_11target_archE4294967295ELNS1_3gpuE0ELNS1_3repE0EEENS1_30default_config_static_selectorELNS0_4arch9wavefront6targetE0EEEvT1_
	.p2align	8
	.type	_ZN7rocprim17ROCPRIM_400000_NS6detail17trampoline_kernelINS0_14default_configENS1_29reduce_by_key_config_selectorIiiN6thrust23THRUST_200600_302600_NS4plusIiEEEEZZNS1_33reduce_by_key_impl_wrapped_configILNS1_25lookback_scan_determinismE0ES3_S9_NS6_6detail15normal_iteratorINS6_10device_ptrIiEEEESG_SG_SG_PmS8_NS6_8equal_toIiEEEE10hipError_tPvRmT2_T3_mT4_T5_T6_T7_T8_P12ihipStream_tbENKUlT_T0_E_clISt17integral_constantIbLb1EES10_IbLb0EEEEDaSW_SX_EUlSW_E_NS1_11comp_targetILNS1_3genE0ELNS1_11target_archE4294967295ELNS1_3gpuE0ELNS1_3repE0EEENS1_30default_config_static_selectorELNS0_4arch9wavefront6targetE0EEEvT1_,@function
_ZN7rocprim17ROCPRIM_400000_NS6detail17trampoline_kernelINS0_14default_configENS1_29reduce_by_key_config_selectorIiiN6thrust23THRUST_200600_302600_NS4plusIiEEEEZZNS1_33reduce_by_key_impl_wrapped_configILNS1_25lookback_scan_determinismE0ES3_S9_NS6_6detail15normal_iteratorINS6_10device_ptrIiEEEESG_SG_SG_PmS8_NS6_8equal_toIiEEEE10hipError_tPvRmT2_T3_mT4_T5_T6_T7_T8_P12ihipStream_tbENKUlT_T0_E_clISt17integral_constantIbLb1EES10_IbLb0EEEEDaSW_SX_EUlSW_E_NS1_11comp_targetILNS1_3genE0ELNS1_11target_archE4294967295ELNS1_3gpuE0ELNS1_3repE0EEENS1_30default_config_static_selectorELNS0_4arch9wavefront6targetE0EEEvT1_: ; @_ZN7rocprim17ROCPRIM_400000_NS6detail17trampoline_kernelINS0_14default_configENS1_29reduce_by_key_config_selectorIiiN6thrust23THRUST_200600_302600_NS4plusIiEEEEZZNS1_33reduce_by_key_impl_wrapped_configILNS1_25lookback_scan_determinismE0ES3_S9_NS6_6detail15normal_iteratorINS6_10device_ptrIiEEEESG_SG_SG_PmS8_NS6_8equal_toIiEEEE10hipError_tPvRmT2_T3_mT4_T5_T6_T7_T8_P12ihipStream_tbENKUlT_T0_E_clISt17integral_constantIbLb1EES10_IbLb0EEEEDaSW_SX_EUlSW_E_NS1_11comp_targetILNS1_3genE0ELNS1_11target_archE4294967295ELNS1_3gpuE0ELNS1_3repE0EEENS1_30default_config_static_selectorELNS0_4arch9wavefront6targetE0EEEvT1_
; %bb.0:
	.section	.rodata,"a",@progbits
	.p2align	6, 0x0
	.amdhsa_kernel _ZN7rocprim17ROCPRIM_400000_NS6detail17trampoline_kernelINS0_14default_configENS1_29reduce_by_key_config_selectorIiiN6thrust23THRUST_200600_302600_NS4plusIiEEEEZZNS1_33reduce_by_key_impl_wrapped_configILNS1_25lookback_scan_determinismE0ES3_S9_NS6_6detail15normal_iteratorINS6_10device_ptrIiEEEESG_SG_SG_PmS8_NS6_8equal_toIiEEEE10hipError_tPvRmT2_T3_mT4_T5_T6_T7_T8_P12ihipStream_tbENKUlT_T0_E_clISt17integral_constantIbLb1EES10_IbLb0EEEEDaSW_SX_EUlSW_E_NS1_11comp_targetILNS1_3genE0ELNS1_11target_archE4294967295ELNS1_3gpuE0ELNS1_3repE0EEENS1_30default_config_static_selectorELNS0_4arch9wavefront6targetE0EEEvT1_
		.amdhsa_group_segment_fixed_size 0
		.amdhsa_private_segment_fixed_size 0
		.amdhsa_kernarg_size 120
		.amdhsa_user_sgpr_count 15
		.amdhsa_user_sgpr_dispatch_ptr 0
		.amdhsa_user_sgpr_queue_ptr 0
		.amdhsa_user_sgpr_kernarg_segment_ptr 1
		.amdhsa_user_sgpr_dispatch_id 0
		.amdhsa_user_sgpr_private_segment_size 0
		.amdhsa_wavefront_size32 1
		.amdhsa_uses_dynamic_stack 0
		.amdhsa_enable_private_segment 0
		.amdhsa_system_sgpr_workgroup_id_x 1
		.amdhsa_system_sgpr_workgroup_id_y 0
		.amdhsa_system_sgpr_workgroup_id_z 0
		.amdhsa_system_sgpr_workgroup_info 0
		.amdhsa_system_vgpr_workitem_id 0
		.amdhsa_next_free_vgpr 1
		.amdhsa_next_free_sgpr 1
		.amdhsa_reserve_vcc 0
		.amdhsa_float_round_mode_32 0
		.amdhsa_float_round_mode_16_64 0
		.amdhsa_float_denorm_mode_32 3
		.amdhsa_float_denorm_mode_16_64 3
		.amdhsa_dx10_clamp 1
		.amdhsa_ieee_mode 1
		.amdhsa_fp16_overflow 0
		.amdhsa_workgroup_processor_mode 1
		.amdhsa_memory_ordered 1
		.amdhsa_forward_progress 0
		.amdhsa_shared_vgpr_count 0
		.amdhsa_exception_fp_ieee_invalid_op 0
		.amdhsa_exception_fp_denorm_src 0
		.amdhsa_exception_fp_ieee_div_zero 0
		.amdhsa_exception_fp_ieee_overflow 0
		.amdhsa_exception_fp_ieee_underflow 0
		.amdhsa_exception_fp_ieee_inexact 0
		.amdhsa_exception_int_div_zero 0
	.end_amdhsa_kernel
	.section	.text._ZN7rocprim17ROCPRIM_400000_NS6detail17trampoline_kernelINS0_14default_configENS1_29reduce_by_key_config_selectorIiiN6thrust23THRUST_200600_302600_NS4plusIiEEEEZZNS1_33reduce_by_key_impl_wrapped_configILNS1_25lookback_scan_determinismE0ES3_S9_NS6_6detail15normal_iteratorINS6_10device_ptrIiEEEESG_SG_SG_PmS8_NS6_8equal_toIiEEEE10hipError_tPvRmT2_T3_mT4_T5_T6_T7_T8_P12ihipStream_tbENKUlT_T0_E_clISt17integral_constantIbLb1EES10_IbLb0EEEEDaSW_SX_EUlSW_E_NS1_11comp_targetILNS1_3genE0ELNS1_11target_archE4294967295ELNS1_3gpuE0ELNS1_3repE0EEENS1_30default_config_static_selectorELNS0_4arch9wavefront6targetE0EEEvT1_,"axG",@progbits,_ZN7rocprim17ROCPRIM_400000_NS6detail17trampoline_kernelINS0_14default_configENS1_29reduce_by_key_config_selectorIiiN6thrust23THRUST_200600_302600_NS4plusIiEEEEZZNS1_33reduce_by_key_impl_wrapped_configILNS1_25lookback_scan_determinismE0ES3_S9_NS6_6detail15normal_iteratorINS6_10device_ptrIiEEEESG_SG_SG_PmS8_NS6_8equal_toIiEEEE10hipError_tPvRmT2_T3_mT4_T5_T6_T7_T8_P12ihipStream_tbENKUlT_T0_E_clISt17integral_constantIbLb1EES10_IbLb0EEEEDaSW_SX_EUlSW_E_NS1_11comp_targetILNS1_3genE0ELNS1_11target_archE4294967295ELNS1_3gpuE0ELNS1_3repE0EEENS1_30default_config_static_selectorELNS0_4arch9wavefront6targetE0EEEvT1_,comdat
.Lfunc_end565:
	.size	_ZN7rocprim17ROCPRIM_400000_NS6detail17trampoline_kernelINS0_14default_configENS1_29reduce_by_key_config_selectorIiiN6thrust23THRUST_200600_302600_NS4plusIiEEEEZZNS1_33reduce_by_key_impl_wrapped_configILNS1_25lookback_scan_determinismE0ES3_S9_NS6_6detail15normal_iteratorINS6_10device_ptrIiEEEESG_SG_SG_PmS8_NS6_8equal_toIiEEEE10hipError_tPvRmT2_T3_mT4_T5_T6_T7_T8_P12ihipStream_tbENKUlT_T0_E_clISt17integral_constantIbLb1EES10_IbLb0EEEEDaSW_SX_EUlSW_E_NS1_11comp_targetILNS1_3genE0ELNS1_11target_archE4294967295ELNS1_3gpuE0ELNS1_3repE0EEENS1_30default_config_static_selectorELNS0_4arch9wavefront6targetE0EEEvT1_, .Lfunc_end565-_ZN7rocprim17ROCPRIM_400000_NS6detail17trampoline_kernelINS0_14default_configENS1_29reduce_by_key_config_selectorIiiN6thrust23THRUST_200600_302600_NS4plusIiEEEEZZNS1_33reduce_by_key_impl_wrapped_configILNS1_25lookback_scan_determinismE0ES3_S9_NS6_6detail15normal_iteratorINS6_10device_ptrIiEEEESG_SG_SG_PmS8_NS6_8equal_toIiEEEE10hipError_tPvRmT2_T3_mT4_T5_T6_T7_T8_P12ihipStream_tbENKUlT_T0_E_clISt17integral_constantIbLb1EES10_IbLb0EEEEDaSW_SX_EUlSW_E_NS1_11comp_targetILNS1_3genE0ELNS1_11target_archE4294967295ELNS1_3gpuE0ELNS1_3repE0EEENS1_30default_config_static_selectorELNS0_4arch9wavefront6targetE0EEEvT1_
                                        ; -- End function
	.section	.AMDGPU.csdata,"",@progbits
; Kernel info:
; codeLenInByte = 0
; NumSgprs: 0
; NumVgprs: 0
; ScratchSize: 0
; MemoryBound: 0
; FloatMode: 240
; IeeeMode: 1
; LDSByteSize: 0 bytes/workgroup (compile time only)
; SGPRBlocks: 0
; VGPRBlocks: 0
; NumSGPRsForWavesPerEU: 1
; NumVGPRsForWavesPerEU: 1
; Occupancy: 16
; WaveLimiterHint : 0
; COMPUTE_PGM_RSRC2:SCRATCH_EN: 0
; COMPUTE_PGM_RSRC2:USER_SGPR: 15
; COMPUTE_PGM_RSRC2:TRAP_HANDLER: 0
; COMPUTE_PGM_RSRC2:TGID_X_EN: 1
; COMPUTE_PGM_RSRC2:TGID_Y_EN: 0
; COMPUTE_PGM_RSRC2:TGID_Z_EN: 0
; COMPUTE_PGM_RSRC2:TIDIG_COMP_CNT: 0
	.section	.text._ZN7rocprim17ROCPRIM_400000_NS6detail17trampoline_kernelINS0_14default_configENS1_29reduce_by_key_config_selectorIiiN6thrust23THRUST_200600_302600_NS4plusIiEEEEZZNS1_33reduce_by_key_impl_wrapped_configILNS1_25lookback_scan_determinismE0ES3_S9_NS6_6detail15normal_iteratorINS6_10device_ptrIiEEEESG_SG_SG_PmS8_NS6_8equal_toIiEEEE10hipError_tPvRmT2_T3_mT4_T5_T6_T7_T8_P12ihipStream_tbENKUlT_T0_E_clISt17integral_constantIbLb1EES10_IbLb0EEEEDaSW_SX_EUlSW_E_NS1_11comp_targetILNS1_3genE5ELNS1_11target_archE942ELNS1_3gpuE9ELNS1_3repE0EEENS1_30default_config_static_selectorELNS0_4arch9wavefront6targetE0EEEvT1_,"axG",@progbits,_ZN7rocprim17ROCPRIM_400000_NS6detail17trampoline_kernelINS0_14default_configENS1_29reduce_by_key_config_selectorIiiN6thrust23THRUST_200600_302600_NS4plusIiEEEEZZNS1_33reduce_by_key_impl_wrapped_configILNS1_25lookback_scan_determinismE0ES3_S9_NS6_6detail15normal_iteratorINS6_10device_ptrIiEEEESG_SG_SG_PmS8_NS6_8equal_toIiEEEE10hipError_tPvRmT2_T3_mT4_T5_T6_T7_T8_P12ihipStream_tbENKUlT_T0_E_clISt17integral_constantIbLb1EES10_IbLb0EEEEDaSW_SX_EUlSW_E_NS1_11comp_targetILNS1_3genE5ELNS1_11target_archE942ELNS1_3gpuE9ELNS1_3repE0EEENS1_30default_config_static_selectorELNS0_4arch9wavefront6targetE0EEEvT1_,comdat
	.protected	_ZN7rocprim17ROCPRIM_400000_NS6detail17trampoline_kernelINS0_14default_configENS1_29reduce_by_key_config_selectorIiiN6thrust23THRUST_200600_302600_NS4plusIiEEEEZZNS1_33reduce_by_key_impl_wrapped_configILNS1_25lookback_scan_determinismE0ES3_S9_NS6_6detail15normal_iteratorINS6_10device_ptrIiEEEESG_SG_SG_PmS8_NS6_8equal_toIiEEEE10hipError_tPvRmT2_T3_mT4_T5_T6_T7_T8_P12ihipStream_tbENKUlT_T0_E_clISt17integral_constantIbLb1EES10_IbLb0EEEEDaSW_SX_EUlSW_E_NS1_11comp_targetILNS1_3genE5ELNS1_11target_archE942ELNS1_3gpuE9ELNS1_3repE0EEENS1_30default_config_static_selectorELNS0_4arch9wavefront6targetE0EEEvT1_ ; -- Begin function _ZN7rocprim17ROCPRIM_400000_NS6detail17trampoline_kernelINS0_14default_configENS1_29reduce_by_key_config_selectorIiiN6thrust23THRUST_200600_302600_NS4plusIiEEEEZZNS1_33reduce_by_key_impl_wrapped_configILNS1_25lookback_scan_determinismE0ES3_S9_NS6_6detail15normal_iteratorINS6_10device_ptrIiEEEESG_SG_SG_PmS8_NS6_8equal_toIiEEEE10hipError_tPvRmT2_T3_mT4_T5_T6_T7_T8_P12ihipStream_tbENKUlT_T0_E_clISt17integral_constantIbLb1EES10_IbLb0EEEEDaSW_SX_EUlSW_E_NS1_11comp_targetILNS1_3genE5ELNS1_11target_archE942ELNS1_3gpuE9ELNS1_3repE0EEENS1_30default_config_static_selectorELNS0_4arch9wavefront6targetE0EEEvT1_
	.globl	_ZN7rocprim17ROCPRIM_400000_NS6detail17trampoline_kernelINS0_14default_configENS1_29reduce_by_key_config_selectorIiiN6thrust23THRUST_200600_302600_NS4plusIiEEEEZZNS1_33reduce_by_key_impl_wrapped_configILNS1_25lookback_scan_determinismE0ES3_S9_NS6_6detail15normal_iteratorINS6_10device_ptrIiEEEESG_SG_SG_PmS8_NS6_8equal_toIiEEEE10hipError_tPvRmT2_T3_mT4_T5_T6_T7_T8_P12ihipStream_tbENKUlT_T0_E_clISt17integral_constantIbLb1EES10_IbLb0EEEEDaSW_SX_EUlSW_E_NS1_11comp_targetILNS1_3genE5ELNS1_11target_archE942ELNS1_3gpuE9ELNS1_3repE0EEENS1_30default_config_static_selectorELNS0_4arch9wavefront6targetE0EEEvT1_
	.p2align	8
	.type	_ZN7rocprim17ROCPRIM_400000_NS6detail17trampoline_kernelINS0_14default_configENS1_29reduce_by_key_config_selectorIiiN6thrust23THRUST_200600_302600_NS4plusIiEEEEZZNS1_33reduce_by_key_impl_wrapped_configILNS1_25lookback_scan_determinismE0ES3_S9_NS6_6detail15normal_iteratorINS6_10device_ptrIiEEEESG_SG_SG_PmS8_NS6_8equal_toIiEEEE10hipError_tPvRmT2_T3_mT4_T5_T6_T7_T8_P12ihipStream_tbENKUlT_T0_E_clISt17integral_constantIbLb1EES10_IbLb0EEEEDaSW_SX_EUlSW_E_NS1_11comp_targetILNS1_3genE5ELNS1_11target_archE942ELNS1_3gpuE9ELNS1_3repE0EEENS1_30default_config_static_selectorELNS0_4arch9wavefront6targetE0EEEvT1_,@function
_ZN7rocprim17ROCPRIM_400000_NS6detail17trampoline_kernelINS0_14default_configENS1_29reduce_by_key_config_selectorIiiN6thrust23THRUST_200600_302600_NS4plusIiEEEEZZNS1_33reduce_by_key_impl_wrapped_configILNS1_25lookback_scan_determinismE0ES3_S9_NS6_6detail15normal_iteratorINS6_10device_ptrIiEEEESG_SG_SG_PmS8_NS6_8equal_toIiEEEE10hipError_tPvRmT2_T3_mT4_T5_T6_T7_T8_P12ihipStream_tbENKUlT_T0_E_clISt17integral_constantIbLb1EES10_IbLb0EEEEDaSW_SX_EUlSW_E_NS1_11comp_targetILNS1_3genE5ELNS1_11target_archE942ELNS1_3gpuE9ELNS1_3repE0EEENS1_30default_config_static_selectorELNS0_4arch9wavefront6targetE0EEEvT1_: ; @_ZN7rocprim17ROCPRIM_400000_NS6detail17trampoline_kernelINS0_14default_configENS1_29reduce_by_key_config_selectorIiiN6thrust23THRUST_200600_302600_NS4plusIiEEEEZZNS1_33reduce_by_key_impl_wrapped_configILNS1_25lookback_scan_determinismE0ES3_S9_NS6_6detail15normal_iteratorINS6_10device_ptrIiEEEESG_SG_SG_PmS8_NS6_8equal_toIiEEEE10hipError_tPvRmT2_T3_mT4_T5_T6_T7_T8_P12ihipStream_tbENKUlT_T0_E_clISt17integral_constantIbLb1EES10_IbLb0EEEEDaSW_SX_EUlSW_E_NS1_11comp_targetILNS1_3genE5ELNS1_11target_archE942ELNS1_3gpuE9ELNS1_3repE0EEENS1_30default_config_static_selectorELNS0_4arch9wavefront6targetE0EEEvT1_
; %bb.0:
	.section	.rodata,"a",@progbits
	.p2align	6, 0x0
	.amdhsa_kernel _ZN7rocprim17ROCPRIM_400000_NS6detail17trampoline_kernelINS0_14default_configENS1_29reduce_by_key_config_selectorIiiN6thrust23THRUST_200600_302600_NS4plusIiEEEEZZNS1_33reduce_by_key_impl_wrapped_configILNS1_25lookback_scan_determinismE0ES3_S9_NS6_6detail15normal_iteratorINS6_10device_ptrIiEEEESG_SG_SG_PmS8_NS6_8equal_toIiEEEE10hipError_tPvRmT2_T3_mT4_T5_T6_T7_T8_P12ihipStream_tbENKUlT_T0_E_clISt17integral_constantIbLb1EES10_IbLb0EEEEDaSW_SX_EUlSW_E_NS1_11comp_targetILNS1_3genE5ELNS1_11target_archE942ELNS1_3gpuE9ELNS1_3repE0EEENS1_30default_config_static_selectorELNS0_4arch9wavefront6targetE0EEEvT1_
		.amdhsa_group_segment_fixed_size 0
		.amdhsa_private_segment_fixed_size 0
		.amdhsa_kernarg_size 120
		.amdhsa_user_sgpr_count 15
		.amdhsa_user_sgpr_dispatch_ptr 0
		.amdhsa_user_sgpr_queue_ptr 0
		.amdhsa_user_sgpr_kernarg_segment_ptr 1
		.amdhsa_user_sgpr_dispatch_id 0
		.amdhsa_user_sgpr_private_segment_size 0
		.amdhsa_wavefront_size32 1
		.amdhsa_uses_dynamic_stack 0
		.amdhsa_enable_private_segment 0
		.amdhsa_system_sgpr_workgroup_id_x 1
		.amdhsa_system_sgpr_workgroup_id_y 0
		.amdhsa_system_sgpr_workgroup_id_z 0
		.amdhsa_system_sgpr_workgroup_info 0
		.amdhsa_system_vgpr_workitem_id 0
		.amdhsa_next_free_vgpr 1
		.amdhsa_next_free_sgpr 1
		.amdhsa_reserve_vcc 0
		.amdhsa_float_round_mode_32 0
		.amdhsa_float_round_mode_16_64 0
		.amdhsa_float_denorm_mode_32 3
		.amdhsa_float_denorm_mode_16_64 3
		.amdhsa_dx10_clamp 1
		.amdhsa_ieee_mode 1
		.amdhsa_fp16_overflow 0
		.amdhsa_workgroup_processor_mode 1
		.amdhsa_memory_ordered 1
		.amdhsa_forward_progress 0
		.amdhsa_shared_vgpr_count 0
		.amdhsa_exception_fp_ieee_invalid_op 0
		.amdhsa_exception_fp_denorm_src 0
		.amdhsa_exception_fp_ieee_div_zero 0
		.amdhsa_exception_fp_ieee_overflow 0
		.amdhsa_exception_fp_ieee_underflow 0
		.amdhsa_exception_fp_ieee_inexact 0
		.amdhsa_exception_int_div_zero 0
	.end_amdhsa_kernel
	.section	.text._ZN7rocprim17ROCPRIM_400000_NS6detail17trampoline_kernelINS0_14default_configENS1_29reduce_by_key_config_selectorIiiN6thrust23THRUST_200600_302600_NS4plusIiEEEEZZNS1_33reduce_by_key_impl_wrapped_configILNS1_25lookback_scan_determinismE0ES3_S9_NS6_6detail15normal_iteratorINS6_10device_ptrIiEEEESG_SG_SG_PmS8_NS6_8equal_toIiEEEE10hipError_tPvRmT2_T3_mT4_T5_T6_T7_T8_P12ihipStream_tbENKUlT_T0_E_clISt17integral_constantIbLb1EES10_IbLb0EEEEDaSW_SX_EUlSW_E_NS1_11comp_targetILNS1_3genE5ELNS1_11target_archE942ELNS1_3gpuE9ELNS1_3repE0EEENS1_30default_config_static_selectorELNS0_4arch9wavefront6targetE0EEEvT1_,"axG",@progbits,_ZN7rocprim17ROCPRIM_400000_NS6detail17trampoline_kernelINS0_14default_configENS1_29reduce_by_key_config_selectorIiiN6thrust23THRUST_200600_302600_NS4plusIiEEEEZZNS1_33reduce_by_key_impl_wrapped_configILNS1_25lookback_scan_determinismE0ES3_S9_NS6_6detail15normal_iteratorINS6_10device_ptrIiEEEESG_SG_SG_PmS8_NS6_8equal_toIiEEEE10hipError_tPvRmT2_T3_mT4_T5_T6_T7_T8_P12ihipStream_tbENKUlT_T0_E_clISt17integral_constantIbLb1EES10_IbLb0EEEEDaSW_SX_EUlSW_E_NS1_11comp_targetILNS1_3genE5ELNS1_11target_archE942ELNS1_3gpuE9ELNS1_3repE0EEENS1_30default_config_static_selectorELNS0_4arch9wavefront6targetE0EEEvT1_,comdat
.Lfunc_end566:
	.size	_ZN7rocprim17ROCPRIM_400000_NS6detail17trampoline_kernelINS0_14default_configENS1_29reduce_by_key_config_selectorIiiN6thrust23THRUST_200600_302600_NS4plusIiEEEEZZNS1_33reduce_by_key_impl_wrapped_configILNS1_25lookback_scan_determinismE0ES3_S9_NS6_6detail15normal_iteratorINS6_10device_ptrIiEEEESG_SG_SG_PmS8_NS6_8equal_toIiEEEE10hipError_tPvRmT2_T3_mT4_T5_T6_T7_T8_P12ihipStream_tbENKUlT_T0_E_clISt17integral_constantIbLb1EES10_IbLb0EEEEDaSW_SX_EUlSW_E_NS1_11comp_targetILNS1_3genE5ELNS1_11target_archE942ELNS1_3gpuE9ELNS1_3repE0EEENS1_30default_config_static_selectorELNS0_4arch9wavefront6targetE0EEEvT1_, .Lfunc_end566-_ZN7rocprim17ROCPRIM_400000_NS6detail17trampoline_kernelINS0_14default_configENS1_29reduce_by_key_config_selectorIiiN6thrust23THRUST_200600_302600_NS4plusIiEEEEZZNS1_33reduce_by_key_impl_wrapped_configILNS1_25lookback_scan_determinismE0ES3_S9_NS6_6detail15normal_iteratorINS6_10device_ptrIiEEEESG_SG_SG_PmS8_NS6_8equal_toIiEEEE10hipError_tPvRmT2_T3_mT4_T5_T6_T7_T8_P12ihipStream_tbENKUlT_T0_E_clISt17integral_constantIbLb1EES10_IbLb0EEEEDaSW_SX_EUlSW_E_NS1_11comp_targetILNS1_3genE5ELNS1_11target_archE942ELNS1_3gpuE9ELNS1_3repE0EEENS1_30default_config_static_selectorELNS0_4arch9wavefront6targetE0EEEvT1_
                                        ; -- End function
	.section	.AMDGPU.csdata,"",@progbits
; Kernel info:
; codeLenInByte = 0
; NumSgprs: 0
; NumVgprs: 0
; ScratchSize: 0
; MemoryBound: 0
; FloatMode: 240
; IeeeMode: 1
; LDSByteSize: 0 bytes/workgroup (compile time only)
; SGPRBlocks: 0
; VGPRBlocks: 0
; NumSGPRsForWavesPerEU: 1
; NumVGPRsForWavesPerEU: 1
; Occupancy: 16
; WaveLimiterHint : 0
; COMPUTE_PGM_RSRC2:SCRATCH_EN: 0
; COMPUTE_PGM_RSRC2:USER_SGPR: 15
; COMPUTE_PGM_RSRC2:TRAP_HANDLER: 0
; COMPUTE_PGM_RSRC2:TGID_X_EN: 1
; COMPUTE_PGM_RSRC2:TGID_Y_EN: 0
; COMPUTE_PGM_RSRC2:TGID_Z_EN: 0
; COMPUTE_PGM_RSRC2:TIDIG_COMP_CNT: 0
	.section	.text._ZN7rocprim17ROCPRIM_400000_NS6detail17trampoline_kernelINS0_14default_configENS1_29reduce_by_key_config_selectorIiiN6thrust23THRUST_200600_302600_NS4plusIiEEEEZZNS1_33reduce_by_key_impl_wrapped_configILNS1_25lookback_scan_determinismE0ES3_S9_NS6_6detail15normal_iteratorINS6_10device_ptrIiEEEESG_SG_SG_PmS8_NS6_8equal_toIiEEEE10hipError_tPvRmT2_T3_mT4_T5_T6_T7_T8_P12ihipStream_tbENKUlT_T0_E_clISt17integral_constantIbLb1EES10_IbLb0EEEEDaSW_SX_EUlSW_E_NS1_11comp_targetILNS1_3genE4ELNS1_11target_archE910ELNS1_3gpuE8ELNS1_3repE0EEENS1_30default_config_static_selectorELNS0_4arch9wavefront6targetE0EEEvT1_,"axG",@progbits,_ZN7rocprim17ROCPRIM_400000_NS6detail17trampoline_kernelINS0_14default_configENS1_29reduce_by_key_config_selectorIiiN6thrust23THRUST_200600_302600_NS4plusIiEEEEZZNS1_33reduce_by_key_impl_wrapped_configILNS1_25lookback_scan_determinismE0ES3_S9_NS6_6detail15normal_iteratorINS6_10device_ptrIiEEEESG_SG_SG_PmS8_NS6_8equal_toIiEEEE10hipError_tPvRmT2_T3_mT4_T5_T6_T7_T8_P12ihipStream_tbENKUlT_T0_E_clISt17integral_constantIbLb1EES10_IbLb0EEEEDaSW_SX_EUlSW_E_NS1_11comp_targetILNS1_3genE4ELNS1_11target_archE910ELNS1_3gpuE8ELNS1_3repE0EEENS1_30default_config_static_selectorELNS0_4arch9wavefront6targetE0EEEvT1_,comdat
	.protected	_ZN7rocprim17ROCPRIM_400000_NS6detail17trampoline_kernelINS0_14default_configENS1_29reduce_by_key_config_selectorIiiN6thrust23THRUST_200600_302600_NS4plusIiEEEEZZNS1_33reduce_by_key_impl_wrapped_configILNS1_25lookback_scan_determinismE0ES3_S9_NS6_6detail15normal_iteratorINS6_10device_ptrIiEEEESG_SG_SG_PmS8_NS6_8equal_toIiEEEE10hipError_tPvRmT2_T3_mT4_T5_T6_T7_T8_P12ihipStream_tbENKUlT_T0_E_clISt17integral_constantIbLb1EES10_IbLb0EEEEDaSW_SX_EUlSW_E_NS1_11comp_targetILNS1_3genE4ELNS1_11target_archE910ELNS1_3gpuE8ELNS1_3repE0EEENS1_30default_config_static_selectorELNS0_4arch9wavefront6targetE0EEEvT1_ ; -- Begin function _ZN7rocprim17ROCPRIM_400000_NS6detail17trampoline_kernelINS0_14default_configENS1_29reduce_by_key_config_selectorIiiN6thrust23THRUST_200600_302600_NS4plusIiEEEEZZNS1_33reduce_by_key_impl_wrapped_configILNS1_25lookback_scan_determinismE0ES3_S9_NS6_6detail15normal_iteratorINS6_10device_ptrIiEEEESG_SG_SG_PmS8_NS6_8equal_toIiEEEE10hipError_tPvRmT2_T3_mT4_T5_T6_T7_T8_P12ihipStream_tbENKUlT_T0_E_clISt17integral_constantIbLb1EES10_IbLb0EEEEDaSW_SX_EUlSW_E_NS1_11comp_targetILNS1_3genE4ELNS1_11target_archE910ELNS1_3gpuE8ELNS1_3repE0EEENS1_30default_config_static_selectorELNS0_4arch9wavefront6targetE0EEEvT1_
	.globl	_ZN7rocprim17ROCPRIM_400000_NS6detail17trampoline_kernelINS0_14default_configENS1_29reduce_by_key_config_selectorIiiN6thrust23THRUST_200600_302600_NS4plusIiEEEEZZNS1_33reduce_by_key_impl_wrapped_configILNS1_25lookback_scan_determinismE0ES3_S9_NS6_6detail15normal_iteratorINS6_10device_ptrIiEEEESG_SG_SG_PmS8_NS6_8equal_toIiEEEE10hipError_tPvRmT2_T3_mT4_T5_T6_T7_T8_P12ihipStream_tbENKUlT_T0_E_clISt17integral_constantIbLb1EES10_IbLb0EEEEDaSW_SX_EUlSW_E_NS1_11comp_targetILNS1_3genE4ELNS1_11target_archE910ELNS1_3gpuE8ELNS1_3repE0EEENS1_30default_config_static_selectorELNS0_4arch9wavefront6targetE0EEEvT1_
	.p2align	8
	.type	_ZN7rocprim17ROCPRIM_400000_NS6detail17trampoline_kernelINS0_14default_configENS1_29reduce_by_key_config_selectorIiiN6thrust23THRUST_200600_302600_NS4plusIiEEEEZZNS1_33reduce_by_key_impl_wrapped_configILNS1_25lookback_scan_determinismE0ES3_S9_NS6_6detail15normal_iteratorINS6_10device_ptrIiEEEESG_SG_SG_PmS8_NS6_8equal_toIiEEEE10hipError_tPvRmT2_T3_mT4_T5_T6_T7_T8_P12ihipStream_tbENKUlT_T0_E_clISt17integral_constantIbLb1EES10_IbLb0EEEEDaSW_SX_EUlSW_E_NS1_11comp_targetILNS1_3genE4ELNS1_11target_archE910ELNS1_3gpuE8ELNS1_3repE0EEENS1_30default_config_static_selectorELNS0_4arch9wavefront6targetE0EEEvT1_,@function
_ZN7rocprim17ROCPRIM_400000_NS6detail17trampoline_kernelINS0_14default_configENS1_29reduce_by_key_config_selectorIiiN6thrust23THRUST_200600_302600_NS4plusIiEEEEZZNS1_33reduce_by_key_impl_wrapped_configILNS1_25lookback_scan_determinismE0ES3_S9_NS6_6detail15normal_iteratorINS6_10device_ptrIiEEEESG_SG_SG_PmS8_NS6_8equal_toIiEEEE10hipError_tPvRmT2_T3_mT4_T5_T6_T7_T8_P12ihipStream_tbENKUlT_T0_E_clISt17integral_constantIbLb1EES10_IbLb0EEEEDaSW_SX_EUlSW_E_NS1_11comp_targetILNS1_3genE4ELNS1_11target_archE910ELNS1_3gpuE8ELNS1_3repE0EEENS1_30default_config_static_selectorELNS0_4arch9wavefront6targetE0EEEvT1_: ; @_ZN7rocprim17ROCPRIM_400000_NS6detail17trampoline_kernelINS0_14default_configENS1_29reduce_by_key_config_selectorIiiN6thrust23THRUST_200600_302600_NS4plusIiEEEEZZNS1_33reduce_by_key_impl_wrapped_configILNS1_25lookback_scan_determinismE0ES3_S9_NS6_6detail15normal_iteratorINS6_10device_ptrIiEEEESG_SG_SG_PmS8_NS6_8equal_toIiEEEE10hipError_tPvRmT2_T3_mT4_T5_T6_T7_T8_P12ihipStream_tbENKUlT_T0_E_clISt17integral_constantIbLb1EES10_IbLb0EEEEDaSW_SX_EUlSW_E_NS1_11comp_targetILNS1_3genE4ELNS1_11target_archE910ELNS1_3gpuE8ELNS1_3repE0EEENS1_30default_config_static_selectorELNS0_4arch9wavefront6targetE0EEEvT1_
; %bb.0:
	.section	.rodata,"a",@progbits
	.p2align	6, 0x0
	.amdhsa_kernel _ZN7rocprim17ROCPRIM_400000_NS6detail17trampoline_kernelINS0_14default_configENS1_29reduce_by_key_config_selectorIiiN6thrust23THRUST_200600_302600_NS4plusIiEEEEZZNS1_33reduce_by_key_impl_wrapped_configILNS1_25lookback_scan_determinismE0ES3_S9_NS6_6detail15normal_iteratorINS6_10device_ptrIiEEEESG_SG_SG_PmS8_NS6_8equal_toIiEEEE10hipError_tPvRmT2_T3_mT4_T5_T6_T7_T8_P12ihipStream_tbENKUlT_T0_E_clISt17integral_constantIbLb1EES10_IbLb0EEEEDaSW_SX_EUlSW_E_NS1_11comp_targetILNS1_3genE4ELNS1_11target_archE910ELNS1_3gpuE8ELNS1_3repE0EEENS1_30default_config_static_selectorELNS0_4arch9wavefront6targetE0EEEvT1_
		.amdhsa_group_segment_fixed_size 0
		.amdhsa_private_segment_fixed_size 0
		.amdhsa_kernarg_size 120
		.amdhsa_user_sgpr_count 15
		.amdhsa_user_sgpr_dispatch_ptr 0
		.amdhsa_user_sgpr_queue_ptr 0
		.amdhsa_user_sgpr_kernarg_segment_ptr 1
		.amdhsa_user_sgpr_dispatch_id 0
		.amdhsa_user_sgpr_private_segment_size 0
		.amdhsa_wavefront_size32 1
		.amdhsa_uses_dynamic_stack 0
		.amdhsa_enable_private_segment 0
		.amdhsa_system_sgpr_workgroup_id_x 1
		.amdhsa_system_sgpr_workgroup_id_y 0
		.amdhsa_system_sgpr_workgroup_id_z 0
		.amdhsa_system_sgpr_workgroup_info 0
		.amdhsa_system_vgpr_workitem_id 0
		.amdhsa_next_free_vgpr 1
		.amdhsa_next_free_sgpr 1
		.amdhsa_reserve_vcc 0
		.amdhsa_float_round_mode_32 0
		.amdhsa_float_round_mode_16_64 0
		.amdhsa_float_denorm_mode_32 3
		.amdhsa_float_denorm_mode_16_64 3
		.amdhsa_dx10_clamp 1
		.amdhsa_ieee_mode 1
		.amdhsa_fp16_overflow 0
		.amdhsa_workgroup_processor_mode 1
		.amdhsa_memory_ordered 1
		.amdhsa_forward_progress 0
		.amdhsa_shared_vgpr_count 0
		.amdhsa_exception_fp_ieee_invalid_op 0
		.amdhsa_exception_fp_denorm_src 0
		.amdhsa_exception_fp_ieee_div_zero 0
		.amdhsa_exception_fp_ieee_overflow 0
		.amdhsa_exception_fp_ieee_underflow 0
		.amdhsa_exception_fp_ieee_inexact 0
		.amdhsa_exception_int_div_zero 0
	.end_amdhsa_kernel
	.section	.text._ZN7rocprim17ROCPRIM_400000_NS6detail17trampoline_kernelINS0_14default_configENS1_29reduce_by_key_config_selectorIiiN6thrust23THRUST_200600_302600_NS4plusIiEEEEZZNS1_33reduce_by_key_impl_wrapped_configILNS1_25lookback_scan_determinismE0ES3_S9_NS6_6detail15normal_iteratorINS6_10device_ptrIiEEEESG_SG_SG_PmS8_NS6_8equal_toIiEEEE10hipError_tPvRmT2_T3_mT4_T5_T6_T7_T8_P12ihipStream_tbENKUlT_T0_E_clISt17integral_constantIbLb1EES10_IbLb0EEEEDaSW_SX_EUlSW_E_NS1_11comp_targetILNS1_3genE4ELNS1_11target_archE910ELNS1_3gpuE8ELNS1_3repE0EEENS1_30default_config_static_selectorELNS0_4arch9wavefront6targetE0EEEvT1_,"axG",@progbits,_ZN7rocprim17ROCPRIM_400000_NS6detail17trampoline_kernelINS0_14default_configENS1_29reduce_by_key_config_selectorIiiN6thrust23THRUST_200600_302600_NS4plusIiEEEEZZNS1_33reduce_by_key_impl_wrapped_configILNS1_25lookback_scan_determinismE0ES3_S9_NS6_6detail15normal_iteratorINS6_10device_ptrIiEEEESG_SG_SG_PmS8_NS6_8equal_toIiEEEE10hipError_tPvRmT2_T3_mT4_T5_T6_T7_T8_P12ihipStream_tbENKUlT_T0_E_clISt17integral_constantIbLb1EES10_IbLb0EEEEDaSW_SX_EUlSW_E_NS1_11comp_targetILNS1_3genE4ELNS1_11target_archE910ELNS1_3gpuE8ELNS1_3repE0EEENS1_30default_config_static_selectorELNS0_4arch9wavefront6targetE0EEEvT1_,comdat
.Lfunc_end567:
	.size	_ZN7rocprim17ROCPRIM_400000_NS6detail17trampoline_kernelINS0_14default_configENS1_29reduce_by_key_config_selectorIiiN6thrust23THRUST_200600_302600_NS4plusIiEEEEZZNS1_33reduce_by_key_impl_wrapped_configILNS1_25lookback_scan_determinismE0ES3_S9_NS6_6detail15normal_iteratorINS6_10device_ptrIiEEEESG_SG_SG_PmS8_NS6_8equal_toIiEEEE10hipError_tPvRmT2_T3_mT4_T5_T6_T7_T8_P12ihipStream_tbENKUlT_T0_E_clISt17integral_constantIbLb1EES10_IbLb0EEEEDaSW_SX_EUlSW_E_NS1_11comp_targetILNS1_3genE4ELNS1_11target_archE910ELNS1_3gpuE8ELNS1_3repE0EEENS1_30default_config_static_selectorELNS0_4arch9wavefront6targetE0EEEvT1_, .Lfunc_end567-_ZN7rocprim17ROCPRIM_400000_NS6detail17trampoline_kernelINS0_14default_configENS1_29reduce_by_key_config_selectorIiiN6thrust23THRUST_200600_302600_NS4plusIiEEEEZZNS1_33reduce_by_key_impl_wrapped_configILNS1_25lookback_scan_determinismE0ES3_S9_NS6_6detail15normal_iteratorINS6_10device_ptrIiEEEESG_SG_SG_PmS8_NS6_8equal_toIiEEEE10hipError_tPvRmT2_T3_mT4_T5_T6_T7_T8_P12ihipStream_tbENKUlT_T0_E_clISt17integral_constantIbLb1EES10_IbLb0EEEEDaSW_SX_EUlSW_E_NS1_11comp_targetILNS1_3genE4ELNS1_11target_archE910ELNS1_3gpuE8ELNS1_3repE0EEENS1_30default_config_static_selectorELNS0_4arch9wavefront6targetE0EEEvT1_
                                        ; -- End function
	.section	.AMDGPU.csdata,"",@progbits
; Kernel info:
; codeLenInByte = 0
; NumSgprs: 0
; NumVgprs: 0
; ScratchSize: 0
; MemoryBound: 0
; FloatMode: 240
; IeeeMode: 1
; LDSByteSize: 0 bytes/workgroup (compile time only)
; SGPRBlocks: 0
; VGPRBlocks: 0
; NumSGPRsForWavesPerEU: 1
; NumVGPRsForWavesPerEU: 1
; Occupancy: 16
; WaveLimiterHint : 0
; COMPUTE_PGM_RSRC2:SCRATCH_EN: 0
; COMPUTE_PGM_RSRC2:USER_SGPR: 15
; COMPUTE_PGM_RSRC2:TRAP_HANDLER: 0
; COMPUTE_PGM_RSRC2:TGID_X_EN: 1
; COMPUTE_PGM_RSRC2:TGID_Y_EN: 0
; COMPUTE_PGM_RSRC2:TGID_Z_EN: 0
; COMPUTE_PGM_RSRC2:TIDIG_COMP_CNT: 0
	.section	.text._ZN7rocprim17ROCPRIM_400000_NS6detail17trampoline_kernelINS0_14default_configENS1_29reduce_by_key_config_selectorIiiN6thrust23THRUST_200600_302600_NS4plusIiEEEEZZNS1_33reduce_by_key_impl_wrapped_configILNS1_25lookback_scan_determinismE0ES3_S9_NS6_6detail15normal_iteratorINS6_10device_ptrIiEEEESG_SG_SG_PmS8_NS6_8equal_toIiEEEE10hipError_tPvRmT2_T3_mT4_T5_T6_T7_T8_P12ihipStream_tbENKUlT_T0_E_clISt17integral_constantIbLb1EES10_IbLb0EEEEDaSW_SX_EUlSW_E_NS1_11comp_targetILNS1_3genE3ELNS1_11target_archE908ELNS1_3gpuE7ELNS1_3repE0EEENS1_30default_config_static_selectorELNS0_4arch9wavefront6targetE0EEEvT1_,"axG",@progbits,_ZN7rocprim17ROCPRIM_400000_NS6detail17trampoline_kernelINS0_14default_configENS1_29reduce_by_key_config_selectorIiiN6thrust23THRUST_200600_302600_NS4plusIiEEEEZZNS1_33reduce_by_key_impl_wrapped_configILNS1_25lookback_scan_determinismE0ES3_S9_NS6_6detail15normal_iteratorINS6_10device_ptrIiEEEESG_SG_SG_PmS8_NS6_8equal_toIiEEEE10hipError_tPvRmT2_T3_mT4_T5_T6_T7_T8_P12ihipStream_tbENKUlT_T0_E_clISt17integral_constantIbLb1EES10_IbLb0EEEEDaSW_SX_EUlSW_E_NS1_11comp_targetILNS1_3genE3ELNS1_11target_archE908ELNS1_3gpuE7ELNS1_3repE0EEENS1_30default_config_static_selectorELNS0_4arch9wavefront6targetE0EEEvT1_,comdat
	.protected	_ZN7rocprim17ROCPRIM_400000_NS6detail17trampoline_kernelINS0_14default_configENS1_29reduce_by_key_config_selectorIiiN6thrust23THRUST_200600_302600_NS4plusIiEEEEZZNS1_33reduce_by_key_impl_wrapped_configILNS1_25lookback_scan_determinismE0ES3_S9_NS6_6detail15normal_iteratorINS6_10device_ptrIiEEEESG_SG_SG_PmS8_NS6_8equal_toIiEEEE10hipError_tPvRmT2_T3_mT4_T5_T6_T7_T8_P12ihipStream_tbENKUlT_T0_E_clISt17integral_constantIbLb1EES10_IbLb0EEEEDaSW_SX_EUlSW_E_NS1_11comp_targetILNS1_3genE3ELNS1_11target_archE908ELNS1_3gpuE7ELNS1_3repE0EEENS1_30default_config_static_selectorELNS0_4arch9wavefront6targetE0EEEvT1_ ; -- Begin function _ZN7rocprim17ROCPRIM_400000_NS6detail17trampoline_kernelINS0_14default_configENS1_29reduce_by_key_config_selectorIiiN6thrust23THRUST_200600_302600_NS4plusIiEEEEZZNS1_33reduce_by_key_impl_wrapped_configILNS1_25lookback_scan_determinismE0ES3_S9_NS6_6detail15normal_iteratorINS6_10device_ptrIiEEEESG_SG_SG_PmS8_NS6_8equal_toIiEEEE10hipError_tPvRmT2_T3_mT4_T5_T6_T7_T8_P12ihipStream_tbENKUlT_T0_E_clISt17integral_constantIbLb1EES10_IbLb0EEEEDaSW_SX_EUlSW_E_NS1_11comp_targetILNS1_3genE3ELNS1_11target_archE908ELNS1_3gpuE7ELNS1_3repE0EEENS1_30default_config_static_selectorELNS0_4arch9wavefront6targetE0EEEvT1_
	.globl	_ZN7rocprim17ROCPRIM_400000_NS6detail17trampoline_kernelINS0_14default_configENS1_29reduce_by_key_config_selectorIiiN6thrust23THRUST_200600_302600_NS4plusIiEEEEZZNS1_33reduce_by_key_impl_wrapped_configILNS1_25lookback_scan_determinismE0ES3_S9_NS6_6detail15normal_iteratorINS6_10device_ptrIiEEEESG_SG_SG_PmS8_NS6_8equal_toIiEEEE10hipError_tPvRmT2_T3_mT4_T5_T6_T7_T8_P12ihipStream_tbENKUlT_T0_E_clISt17integral_constantIbLb1EES10_IbLb0EEEEDaSW_SX_EUlSW_E_NS1_11comp_targetILNS1_3genE3ELNS1_11target_archE908ELNS1_3gpuE7ELNS1_3repE0EEENS1_30default_config_static_selectorELNS0_4arch9wavefront6targetE0EEEvT1_
	.p2align	8
	.type	_ZN7rocprim17ROCPRIM_400000_NS6detail17trampoline_kernelINS0_14default_configENS1_29reduce_by_key_config_selectorIiiN6thrust23THRUST_200600_302600_NS4plusIiEEEEZZNS1_33reduce_by_key_impl_wrapped_configILNS1_25lookback_scan_determinismE0ES3_S9_NS6_6detail15normal_iteratorINS6_10device_ptrIiEEEESG_SG_SG_PmS8_NS6_8equal_toIiEEEE10hipError_tPvRmT2_T3_mT4_T5_T6_T7_T8_P12ihipStream_tbENKUlT_T0_E_clISt17integral_constantIbLb1EES10_IbLb0EEEEDaSW_SX_EUlSW_E_NS1_11comp_targetILNS1_3genE3ELNS1_11target_archE908ELNS1_3gpuE7ELNS1_3repE0EEENS1_30default_config_static_selectorELNS0_4arch9wavefront6targetE0EEEvT1_,@function
_ZN7rocprim17ROCPRIM_400000_NS6detail17trampoline_kernelINS0_14default_configENS1_29reduce_by_key_config_selectorIiiN6thrust23THRUST_200600_302600_NS4plusIiEEEEZZNS1_33reduce_by_key_impl_wrapped_configILNS1_25lookback_scan_determinismE0ES3_S9_NS6_6detail15normal_iteratorINS6_10device_ptrIiEEEESG_SG_SG_PmS8_NS6_8equal_toIiEEEE10hipError_tPvRmT2_T3_mT4_T5_T6_T7_T8_P12ihipStream_tbENKUlT_T0_E_clISt17integral_constantIbLb1EES10_IbLb0EEEEDaSW_SX_EUlSW_E_NS1_11comp_targetILNS1_3genE3ELNS1_11target_archE908ELNS1_3gpuE7ELNS1_3repE0EEENS1_30default_config_static_selectorELNS0_4arch9wavefront6targetE0EEEvT1_: ; @_ZN7rocprim17ROCPRIM_400000_NS6detail17trampoline_kernelINS0_14default_configENS1_29reduce_by_key_config_selectorIiiN6thrust23THRUST_200600_302600_NS4plusIiEEEEZZNS1_33reduce_by_key_impl_wrapped_configILNS1_25lookback_scan_determinismE0ES3_S9_NS6_6detail15normal_iteratorINS6_10device_ptrIiEEEESG_SG_SG_PmS8_NS6_8equal_toIiEEEE10hipError_tPvRmT2_T3_mT4_T5_T6_T7_T8_P12ihipStream_tbENKUlT_T0_E_clISt17integral_constantIbLb1EES10_IbLb0EEEEDaSW_SX_EUlSW_E_NS1_11comp_targetILNS1_3genE3ELNS1_11target_archE908ELNS1_3gpuE7ELNS1_3repE0EEENS1_30default_config_static_selectorELNS0_4arch9wavefront6targetE0EEEvT1_
; %bb.0:
	.section	.rodata,"a",@progbits
	.p2align	6, 0x0
	.amdhsa_kernel _ZN7rocprim17ROCPRIM_400000_NS6detail17trampoline_kernelINS0_14default_configENS1_29reduce_by_key_config_selectorIiiN6thrust23THRUST_200600_302600_NS4plusIiEEEEZZNS1_33reduce_by_key_impl_wrapped_configILNS1_25lookback_scan_determinismE0ES3_S9_NS6_6detail15normal_iteratorINS6_10device_ptrIiEEEESG_SG_SG_PmS8_NS6_8equal_toIiEEEE10hipError_tPvRmT2_T3_mT4_T5_T6_T7_T8_P12ihipStream_tbENKUlT_T0_E_clISt17integral_constantIbLb1EES10_IbLb0EEEEDaSW_SX_EUlSW_E_NS1_11comp_targetILNS1_3genE3ELNS1_11target_archE908ELNS1_3gpuE7ELNS1_3repE0EEENS1_30default_config_static_selectorELNS0_4arch9wavefront6targetE0EEEvT1_
		.amdhsa_group_segment_fixed_size 0
		.amdhsa_private_segment_fixed_size 0
		.amdhsa_kernarg_size 120
		.amdhsa_user_sgpr_count 15
		.amdhsa_user_sgpr_dispatch_ptr 0
		.amdhsa_user_sgpr_queue_ptr 0
		.amdhsa_user_sgpr_kernarg_segment_ptr 1
		.amdhsa_user_sgpr_dispatch_id 0
		.amdhsa_user_sgpr_private_segment_size 0
		.amdhsa_wavefront_size32 1
		.amdhsa_uses_dynamic_stack 0
		.amdhsa_enable_private_segment 0
		.amdhsa_system_sgpr_workgroup_id_x 1
		.amdhsa_system_sgpr_workgroup_id_y 0
		.amdhsa_system_sgpr_workgroup_id_z 0
		.amdhsa_system_sgpr_workgroup_info 0
		.amdhsa_system_vgpr_workitem_id 0
		.amdhsa_next_free_vgpr 1
		.amdhsa_next_free_sgpr 1
		.amdhsa_reserve_vcc 0
		.amdhsa_float_round_mode_32 0
		.amdhsa_float_round_mode_16_64 0
		.amdhsa_float_denorm_mode_32 3
		.amdhsa_float_denorm_mode_16_64 3
		.amdhsa_dx10_clamp 1
		.amdhsa_ieee_mode 1
		.amdhsa_fp16_overflow 0
		.amdhsa_workgroup_processor_mode 1
		.amdhsa_memory_ordered 1
		.amdhsa_forward_progress 0
		.amdhsa_shared_vgpr_count 0
		.amdhsa_exception_fp_ieee_invalid_op 0
		.amdhsa_exception_fp_denorm_src 0
		.amdhsa_exception_fp_ieee_div_zero 0
		.amdhsa_exception_fp_ieee_overflow 0
		.amdhsa_exception_fp_ieee_underflow 0
		.amdhsa_exception_fp_ieee_inexact 0
		.amdhsa_exception_int_div_zero 0
	.end_amdhsa_kernel
	.section	.text._ZN7rocprim17ROCPRIM_400000_NS6detail17trampoline_kernelINS0_14default_configENS1_29reduce_by_key_config_selectorIiiN6thrust23THRUST_200600_302600_NS4plusIiEEEEZZNS1_33reduce_by_key_impl_wrapped_configILNS1_25lookback_scan_determinismE0ES3_S9_NS6_6detail15normal_iteratorINS6_10device_ptrIiEEEESG_SG_SG_PmS8_NS6_8equal_toIiEEEE10hipError_tPvRmT2_T3_mT4_T5_T6_T7_T8_P12ihipStream_tbENKUlT_T0_E_clISt17integral_constantIbLb1EES10_IbLb0EEEEDaSW_SX_EUlSW_E_NS1_11comp_targetILNS1_3genE3ELNS1_11target_archE908ELNS1_3gpuE7ELNS1_3repE0EEENS1_30default_config_static_selectorELNS0_4arch9wavefront6targetE0EEEvT1_,"axG",@progbits,_ZN7rocprim17ROCPRIM_400000_NS6detail17trampoline_kernelINS0_14default_configENS1_29reduce_by_key_config_selectorIiiN6thrust23THRUST_200600_302600_NS4plusIiEEEEZZNS1_33reduce_by_key_impl_wrapped_configILNS1_25lookback_scan_determinismE0ES3_S9_NS6_6detail15normal_iteratorINS6_10device_ptrIiEEEESG_SG_SG_PmS8_NS6_8equal_toIiEEEE10hipError_tPvRmT2_T3_mT4_T5_T6_T7_T8_P12ihipStream_tbENKUlT_T0_E_clISt17integral_constantIbLb1EES10_IbLb0EEEEDaSW_SX_EUlSW_E_NS1_11comp_targetILNS1_3genE3ELNS1_11target_archE908ELNS1_3gpuE7ELNS1_3repE0EEENS1_30default_config_static_selectorELNS0_4arch9wavefront6targetE0EEEvT1_,comdat
.Lfunc_end568:
	.size	_ZN7rocprim17ROCPRIM_400000_NS6detail17trampoline_kernelINS0_14default_configENS1_29reduce_by_key_config_selectorIiiN6thrust23THRUST_200600_302600_NS4plusIiEEEEZZNS1_33reduce_by_key_impl_wrapped_configILNS1_25lookback_scan_determinismE0ES3_S9_NS6_6detail15normal_iteratorINS6_10device_ptrIiEEEESG_SG_SG_PmS8_NS6_8equal_toIiEEEE10hipError_tPvRmT2_T3_mT4_T5_T6_T7_T8_P12ihipStream_tbENKUlT_T0_E_clISt17integral_constantIbLb1EES10_IbLb0EEEEDaSW_SX_EUlSW_E_NS1_11comp_targetILNS1_3genE3ELNS1_11target_archE908ELNS1_3gpuE7ELNS1_3repE0EEENS1_30default_config_static_selectorELNS0_4arch9wavefront6targetE0EEEvT1_, .Lfunc_end568-_ZN7rocprim17ROCPRIM_400000_NS6detail17trampoline_kernelINS0_14default_configENS1_29reduce_by_key_config_selectorIiiN6thrust23THRUST_200600_302600_NS4plusIiEEEEZZNS1_33reduce_by_key_impl_wrapped_configILNS1_25lookback_scan_determinismE0ES3_S9_NS6_6detail15normal_iteratorINS6_10device_ptrIiEEEESG_SG_SG_PmS8_NS6_8equal_toIiEEEE10hipError_tPvRmT2_T3_mT4_T5_T6_T7_T8_P12ihipStream_tbENKUlT_T0_E_clISt17integral_constantIbLb1EES10_IbLb0EEEEDaSW_SX_EUlSW_E_NS1_11comp_targetILNS1_3genE3ELNS1_11target_archE908ELNS1_3gpuE7ELNS1_3repE0EEENS1_30default_config_static_selectorELNS0_4arch9wavefront6targetE0EEEvT1_
                                        ; -- End function
	.section	.AMDGPU.csdata,"",@progbits
; Kernel info:
; codeLenInByte = 0
; NumSgprs: 0
; NumVgprs: 0
; ScratchSize: 0
; MemoryBound: 0
; FloatMode: 240
; IeeeMode: 1
; LDSByteSize: 0 bytes/workgroup (compile time only)
; SGPRBlocks: 0
; VGPRBlocks: 0
; NumSGPRsForWavesPerEU: 1
; NumVGPRsForWavesPerEU: 1
; Occupancy: 16
; WaveLimiterHint : 0
; COMPUTE_PGM_RSRC2:SCRATCH_EN: 0
; COMPUTE_PGM_RSRC2:USER_SGPR: 15
; COMPUTE_PGM_RSRC2:TRAP_HANDLER: 0
; COMPUTE_PGM_RSRC2:TGID_X_EN: 1
; COMPUTE_PGM_RSRC2:TGID_Y_EN: 0
; COMPUTE_PGM_RSRC2:TGID_Z_EN: 0
; COMPUTE_PGM_RSRC2:TIDIG_COMP_CNT: 0
	.section	.text._ZN7rocprim17ROCPRIM_400000_NS6detail17trampoline_kernelINS0_14default_configENS1_29reduce_by_key_config_selectorIiiN6thrust23THRUST_200600_302600_NS4plusIiEEEEZZNS1_33reduce_by_key_impl_wrapped_configILNS1_25lookback_scan_determinismE0ES3_S9_NS6_6detail15normal_iteratorINS6_10device_ptrIiEEEESG_SG_SG_PmS8_NS6_8equal_toIiEEEE10hipError_tPvRmT2_T3_mT4_T5_T6_T7_T8_P12ihipStream_tbENKUlT_T0_E_clISt17integral_constantIbLb1EES10_IbLb0EEEEDaSW_SX_EUlSW_E_NS1_11comp_targetILNS1_3genE2ELNS1_11target_archE906ELNS1_3gpuE6ELNS1_3repE0EEENS1_30default_config_static_selectorELNS0_4arch9wavefront6targetE0EEEvT1_,"axG",@progbits,_ZN7rocprim17ROCPRIM_400000_NS6detail17trampoline_kernelINS0_14default_configENS1_29reduce_by_key_config_selectorIiiN6thrust23THRUST_200600_302600_NS4plusIiEEEEZZNS1_33reduce_by_key_impl_wrapped_configILNS1_25lookback_scan_determinismE0ES3_S9_NS6_6detail15normal_iteratorINS6_10device_ptrIiEEEESG_SG_SG_PmS8_NS6_8equal_toIiEEEE10hipError_tPvRmT2_T3_mT4_T5_T6_T7_T8_P12ihipStream_tbENKUlT_T0_E_clISt17integral_constantIbLb1EES10_IbLb0EEEEDaSW_SX_EUlSW_E_NS1_11comp_targetILNS1_3genE2ELNS1_11target_archE906ELNS1_3gpuE6ELNS1_3repE0EEENS1_30default_config_static_selectorELNS0_4arch9wavefront6targetE0EEEvT1_,comdat
	.protected	_ZN7rocprim17ROCPRIM_400000_NS6detail17trampoline_kernelINS0_14default_configENS1_29reduce_by_key_config_selectorIiiN6thrust23THRUST_200600_302600_NS4plusIiEEEEZZNS1_33reduce_by_key_impl_wrapped_configILNS1_25lookback_scan_determinismE0ES3_S9_NS6_6detail15normal_iteratorINS6_10device_ptrIiEEEESG_SG_SG_PmS8_NS6_8equal_toIiEEEE10hipError_tPvRmT2_T3_mT4_T5_T6_T7_T8_P12ihipStream_tbENKUlT_T0_E_clISt17integral_constantIbLb1EES10_IbLb0EEEEDaSW_SX_EUlSW_E_NS1_11comp_targetILNS1_3genE2ELNS1_11target_archE906ELNS1_3gpuE6ELNS1_3repE0EEENS1_30default_config_static_selectorELNS0_4arch9wavefront6targetE0EEEvT1_ ; -- Begin function _ZN7rocprim17ROCPRIM_400000_NS6detail17trampoline_kernelINS0_14default_configENS1_29reduce_by_key_config_selectorIiiN6thrust23THRUST_200600_302600_NS4plusIiEEEEZZNS1_33reduce_by_key_impl_wrapped_configILNS1_25lookback_scan_determinismE0ES3_S9_NS6_6detail15normal_iteratorINS6_10device_ptrIiEEEESG_SG_SG_PmS8_NS6_8equal_toIiEEEE10hipError_tPvRmT2_T3_mT4_T5_T6_T7_T8_P12ihipStream_tbENKUlT_T0_E_clISt17integral_constantIbLb1EES10_IbLb0EEEEDaSW_SX_EUlSW_E_NS1_11comp_targetILNS1_3genE2ELNS1_11target_archE906ELNS1_3gpuE6ELNS1_3repE0EEENS1_30default_config_static_selectorELNS0_4arch9wavefront6targetE0EEEvT1_
	.globl	_ZN7rocprim17ROCPRIM_400000_NS6detail17trampoline_kernelINS0_14default_configENS1_29reduce_by_key_config_selectorIiiN6thrust23THRUST_200600_302600_NS4plusIiEEEEZZNS1_33reduce_by_key_impl_wrapped_configILNS1_25lookback_scan_determinismE0ES3_S9_NS6_6detail15normal_iteratorINS6_10device_ptrIiEEEESG_SG_SG_PmS8_NS6_8equal_toIiEEEE10hipError_tPvRmT2_T3_mT4_T5_T6_T7_T8_P12ihipStream_tbENKUlT_T0_E_clISt17integral_constantIbLb1EES10_IbLb0EEEEDaSW_SX_EUlSW_E_NS1_11comp_targetILNS1_3genE2ELNS1_11target_archE906ELNS1_3gpuE6ELNS1_3repE0EEENS1_30default_config_static_selectorELNS0_4arch9wavefront6targetE0EEEvT1_
	.p2align	8
	.type	_ZN7rocprim17ROCPRIM_400000_NS6detail17trampoline_kernelINS0_14default_configENS1_29reduce_by_key_config_selectorIiiN6thrust23THRUST_200600_302600_NS4plusIiEEEEZZNS1_33reduce_by_key_impl_wrapped_configILNS1_25lookback_scan_determinismE0ES3_S9_NS6_6detail15normal_iteratorINS6_10device_ptrIiEEEESG_SG_SG_PmS8_NS6_8equal_toIiEEEE10hipError_tPvRmT2_T3_mT4_T5_T6_T7_T8_P12ihipStream_tbENKUlT_T0_E_clISt17integral_constantIbLb1EES10_IbLb0EEEEDaSW_SX_EUlSW_E_NS1_11comp_targetILNS1_3genE2ELNS1_11target_archE906ELNS1_3gpuE6ELNS1_3repE0EEENS1_30default_config_static_selectorELNS0_4arch9wavefront6targetE0EEEvT1_,@function
_ZN7rocprim17ROCPRIM_400000_NS6detail17trampoline_kernelINS0_14default_configENS1_29reduce_by_key_config_selectorIiiN6thrust23THRUST_200600_302600_NS4plusIiEEEEZZNS1_33reduce_by_key_impl_wrapped_configILNS1_25lookback_scan_determinismE0ES3_S9_NS6_6detail15normal_iteratorINS6_10device_ptrIiEEEESG_SG_SG_PmS8_NS6_8equal_toIiEEEE10hipError_tPvRmT2_T3_mT4_T5_T6_T7_T8_P12ihipStream_tbENKUlT_T0_E_clISt17integral_constantIbLb1EES10_IbLb0EEEEDaSW_SX_EUlSW_E_NS1_11comp_targetILNS1_3genE2ELNS1_11target_archE906ELNS1_3gpuE6ELNS1_3repE0EEENS1_30default_config_static_selectorELNS0_4arch9wavefront6targetE0EEEvT1_: ; @_ZN7rocprim17ROCPRIM_400000_NS6detail17trampoline_kernelINS0_14default_configENS1_29reduce_by_key_config_selectorIiiN6thrust23THRUST_200600_302600_NS4plusIiEEEEZZNS1_33reduce_by_key_impl_wrapped_configILNS1_25lookback_scan_determinismE0ES3_S9_NS6_6detail15normal_iteratorINS6_10device_ptrIiEEEESG_SG_SG_PmS8_NS6_8equal_toIiEEEE10hipError_tPvRmT2_T3_mT4_T5_T6_T7_T8_P12ihipStream_tbENKUlT_T0_E_clISt17integral_constantIbLb1EES10_IbLb0EEEEDaSW_SX_EUlSW_E_NS1_11comp_targetILNS1_3genE2ELNS1_11target_archE906ELNS1_3gpuE6ELNS1_3repE0EEENS1_30default_config_static_selectorELNS0_4arch9wavefront6targetE0EEEvT1_
; %bb.0:
	.section	.rodata,"a",@progbits
	.p2align	6, 0x0
	.amdhsa_kernel _ZN7rocprim17ROCPRIM_400000_NS6detail17trampoline_kernelINS0_14default_configENS1_29reduce_by_key_config_selectorIiiN6thrust23THRUST_200600_302600_NS4plusIiEEEEZZNS1_33reduce_by_key_impl_wrapped_configILNS1_25lookback_scan_determinismE0ES3_S9_NS6_6detail15normal_iteratorINS6_10device_ptrIiEEEESG_SG_SG_PmS8_NS6_8equal_toIiEEEE10hipError_tPvRmT2_T3_mT4_T5_T6_T7_T8_P12ihipStream_tbENKUlT_T0_E_clISt17integral_constantIbLb1EES10_IbLb0EEEEDaSW_SX_EUlSW_E_NS1_11comp_targetILNS1_3genE2ELNS1_11target_archE906ELNS1_3gpuE6ELNS1_3repE0EEENS1_30default_config_static_selectorELNS0_4arch9wavefront6targetE0EEEvT1_
		.amdhsa_group_segment_fixed_size 0
		.amdhsa_private_segment_fixed_size 0
		.amdhsa_kernarg_size 120
		.amdhsa_user_sgpr_count 15
		.amdhsa_user_sgpr_dispatch_ptr 0
		.amdhsa_user_sgpr_queue_ptr 0
		.amdhsa_user_sgpr_kernarg_segment_ptr 1
		.amdhsa_user_sgpr_dispatch_id 0
		.amdhsa_user_sgpr_private_segment_size 0
		.amdhsa_wavefront_size32 1
		.amdhsa_uses_dynamic_stack 0
		.amdhsa_enable_private_segment 0
		.amdhsa_system_sgpr_workgroup_id_x 1
		.amdhsa_system_sgpr_workgroup_id_y 0
		.amdhsa_system_sgpr_workgroup_id_z 0
		.amdhsa_system_sgpr_workgroup_info 0
		.amdhsa_system_vgpr_workitem_id 0
		.amdhsa_next_free_vgpr 1
		.amdhsa_next_free_sgpr 1
		.amdhsa_reserve_vcc 0
		.amdhsa_float_round_mode_32 0
		.amdhsa_float_round_mode_16_64 0
		.amdhsa_float_denorm_mode_32 3
		.amdhsa_float_denorm_mode_16_64 3
		.amdhsa_dx10_clamp 1
		.amdhsa_ieee_mode 1
		.amdhsa_fp16_overflow 0
		.amdhsa_workgroup_processor_mode 1
		.amdhsa_memory_ordered 1
		.amdhsa_forward_progress 0
		.amdhsa_shared_vgpr_count 0
		.amdhsa_exception_fp_ieee_invalid_op 0
		.amdhsa_exception_fp_denorm_src 0
		.amdhsa_exception_fp_ieee_div_zero 0
		.amdhsa_exception_fp_ieee_overflow 0
		.amdhsa_exception_fp_ieee_underflow 0
		.amdhsa_exception_fp_ieee_inexact 0
		.amdhsa_exception_int_div_zero 0
	.end_amdhsa_kernel
	.section	.text._ZN7rocprim17ROCPRIM_400000_NS6detail17trampoline_kernelINS0_14default_configENS1_29reduce_by_key_config_selectorIiiN6thrust23THRUST_200600_302600_NS4plusIiEEEEZZNS1_33reduce_by_key_impl_wrapped_configILNS1_25lookback_scan_determinismE0ES3_S9_NS6_6detail15normal_iteratorINS6_10device_ptrIiEEEESG_SG_SG_PmS8_NS6_8equal_toIiEEEE10hipError_tPvRmT2_T3_mT4_T5_T6_T7_T8_P12ihipStream_tbENKUlT_T0_E_clISt17integral_constantIbLb1EES10_IbLb0EEEEDaSW_SX_EUlSW_E_NS1_11comp_targetILNS1_3genE2ELNS1_11target_archE906ELNS1_3gpuE6ELNS1_3repE0EEENS1_30default_config_static_selectorELNS0_4arch9wavefront6targetE0EEEvT1_,"axG",@progbits,_ZN7rocprim17ROCPRIM_400000_NS6detail17trampoline_kernelINS0_14default_configENS1_29reduce_by_key_config_selectorIiiN6thrust23THRUST_200600_302600_NS4plusIiEEEEZZNS1_33reduce_by_key_impl_wrapped_configILNS1_25lookback_scan_determinismE0ES3_S9_NS6_6detail15normal_iteratorINS6_10device_ptrIiEEEESG_SG_SG_PmS8_NS6_8equal_toIiEEEE10hipError_tPvRmT2_T3_mT4_T5_T6_T7_T8_P12ihipStream_tbENKUlT_T0_E_clISt17integral_constantIbLb1EES10_IbLb0EEEEDaSW_SX_EUlSW_E_NS1_11comp_targetILNS1_3genE2ELNS1_11target_archE906ELNS1_3gpuE6ELNS1_3repE0EEENS1_30default_config_static_selectorELNS0_4arch9wavefront6targetE0EEEvT1_,comdat
.Lfunc_end569:
	.size	_ZN7rocprim17ROCPRIM_400000_NS6detail17trampoline_kernelINS0_14default_configENS1_29reduce_by_key_config_selectorIiiN6thrust23THRUST_200600_302600_NS4plusIiEEEEZZNS1_33reduce_by_key_impl_wrapped_configILNS1_25lookback_scan_determinismE0ES3_S9_NS6_6detail15normal_iteratorINS6_10device_ptrIiEEEESG_SG_SG_PmS8_NS6_8equal_toIiEEEE10hipError_tPvRmT2_T3_mT4_T5_T6_T7_T8_P12ihipStream_tbENKUlT_T0_E_clISt17integral_constantIbLb1EES10_IbLb0EEEEDaSW_SX_EUlSW_E_NS1_11comp_targetILNS1_3genE2ELNS1_11target_archE906ELNS1_3gpuE6ELNS1_3repE0EEENS1_30default_config_static_selectorELNS0_4arch9wavefront6targetE0EEEvT1_, .Lfunc_end569-_ZN7rocprim17ROCPRIM_400000_NS6detail17trampoline_kernelINS0_14default_configENS1_29reduce_by_key_config_selectorIiiN6thrust23THRUST_200600_302600_NS4plusIiEEEEZZNS1_33reduce_by_key_impl_wrapped_configILNS1_25lookback_scan_determinismE0ES3_S9_NS6_6detail15normal_iteratorINS6_10device_ptrIiEEEESG_SG_SG_PmS8_NS6_8equal_toIiEEEE10hipError_tPvRmT2_T3_mT4_T5_T6_T7_T8_P12ihipStream_tbENKUlT_T0_E_clISt17integral_constantIbLb1EES10_IbLb0EEEEDaSW_SX_EUlSW_E_NS1_11comp_targetILNS1_3genE2ELNS1_11target_archE906ELNS1_3gpuE6ELNS1_3repE0EEENS1_30default_config_static_selectorELNS0_4arch9wavefront6targetE0EEEvT1_
                                        ; -- End function
	.section	.AMDGPU.csdata,"",@progbits
; Kernel info:
; codeLenInByte = 0
; NumSgprs: 0
; NumVgprs: 0
; ScratchSize: 0
; MemoryBound: 0
; FloatMode: 240
; IeeeMode: 1
; LDSByteSize: 0 bytes/workgroup (compile time only)
; SGPRBlocks: 0
; VGPRBlocks: 0
; NumSGPRsForWavesPerEU: 1
; NumVGPRsForWavesPerEU: 1
; Occupancy: 16
; WaveLimiterHint : 0
; COMPUTE_PGM_RSRC2:SCRATCH_EN: 0
; COMPUTE_PGM_RSRC2:USER_SGPR: 15
; COMPUTE_PGM_RSRC2:TRAP_HANDLER: 0
; COMPUTE_PGM_RSRC2:TGID_X_EN: 1
; COMPUTE_PGM_RSRC2:TGID_Y_EN: 0
; COMPUTE_PGM_RSRC2:TGID_Z_EN: 0
; COMPUTE_PGM_RSRC2:TIDIG_COMP_CNT: 0
	.section	.text._ZN7rocprim17ROCPRIM_400000_NS6detail17trampoline_kernelINS0_14default_configENS1_29reduce_by_key_config_selectorIiiN6thrust23THRUST_200600_302600_NS4plusIiEEEEZZNS1_33reduce_by_key_impl_wrapped_configILNS1_25lookback_scan_determinismE0ES3_S9_NS6_6detail15normal_iteratorINS6_10device_ptrIiEEEESG_SG_SG_PmS8_NS6_8equal_toIiEEEE10hipError_tPvRmT2_T3_mT4_T5_T6_T7_T8_P12ihipStream_tbENKUlT_T0_E_clISt17integral_constantIbLb1EES10_IbLb0EEEEDaSW_SX_EUlSW_E_NS1_11comp_targetILNS1_3genE10ELNS1_11target_archE1201ELNS1_3gpuE5ELNS1_3repE0EEENS1_30default_config_static_selectorELNS0_4arch9wavefront6targetE0EEEvT1_,"axG",@progbits,_ZN7rocprim17ROCPRIM_400000_NS6detail17trampoline_kernelINS0_14default_configENS1_29reduce_by_key_config_selectorIiiN6thrust23THRUST_200600_302600_NS4plusIiEEEEZZNS1_33reduce_by_key_impl_wrapped_configILNS1_25lookback_scan_determinismE0ES3_S9_NS6_6detail15normal_iteratorINS6_10device_ptrIiEEEESG_SG_SG_PmS8_NS6_8equal_toIiEEEE10hipError_tPvRmT2_T3_mT4_T5_T6_T7_T8_P12ihipStream_tbENKUlT_T0_E_clISt17integral_constantIbLb1EES10_IbLb0EEEEDaSW_SX_EUlSW_E_NS1_11comp_targetILNS1_3genE10ELNS1_11target_archE1201ELNS1_3gpuE5ELNS1_3repE0EEENS1_30default_config_static_selectorELNS0_4arch9wavefront6targetE0EEEvT1_,comdat
	.protected	_ZN7rocprim17ROCPRIM_400000_NS6detail17trampoline_kernelINS0_14default_configENS1_29reduce_by_key_config_selectorIiiN6thrust23THRUST_200600_302600_NS4plusIiEEEEZZNS1_33reduce_by_key_impl_wrapped_configILNS1_25lookback_scan_determinismE0ES3_S9_NS6_6detail15normal_iteratorINS6_10device_ptrIiEEEESG_SG_SG_PmS8_NS6_8equal_toIiEEEE10hipError_tPvRmT2_T3_mT4_T5_T6_T7_T8_P12ihipStream_tbENKUlT_T0_E_clISt17integral_constantIbLb1EES10_IbLb0EEEEDaSW_SX_EUlSW_E_NS1_11comp_targetILNS1_3genE10ELNS1_11target_archE1201ELNS1_3gpuE5ELNS1_3repE0EEENS1_30default_config_static_selectorELNS0_4arch9wavefront6targetE0EEEvT1_ ; -- Begin function _ZN7rocprim17ROCPRIM_400000_NS6detail17trampoline_kernelINS0_14default_configENS1_29reduce_by_key_config_selectorIiiN6thrust23THRUST_200600_302600_NS4plusIiEEEEZZNS1_33reduce_by_key_impl_wrapped_configILNS1_25lookback_scan_determinismE0ES3_S9_NS6_6detail15normal_iteratorINS6_10device_ptrIiEEEESG_SG_SG_PmS8_NS6_8equal_toIiEEEE10hipError_tPvRmT2_T3_mT4_T5_T6_T7_T8_P12ihipStream_tbENKUlT_T0_E_clISt17integral_constantIbLb1EES10_IbLb0EEEEDaSW_SX_EUlSW_E_NS1_11comp_targetILNS1_3genE10ELNS1_11target_archE1201ELNS1_3gpuE5ELNS1_3repE0EEENS1_30default_config_static_selectorELNS0_4arch9wavefront6targetE0EEEvT1_
	.globl	_ZN7rocprim17ROCPRIM_400000_NS6detail17trampoline_kernelINS0_14default_configENS1_29reduce_by_key_config_selectorIiiN6thrust23THRUST_200600_302600_NS4plusIiEEEEZZNS1_33reduce_by_key_impl_wrapped_configILNS1_25lookback_scan_determinismE0ES3_S9_NS6_6detail15normal_iteratorINS6_10device_ptrIiEEEESG_SG_SG_PmS8_NS6_8equal_toIiEEEE10hipError_tPvRmT2_T3_mT4_T5_T6_T7_T8_P12ihipStream_tbENKUlT_T0_E_clISt17integral_constantIbLb1EES10_IbLb0EEEEDaSW_SX_EUlSW_E_NS1_11comp_targetILNS1_3genE10ELNS1_11target_archE1201ELNS1_3gpuE5ELNS1_3repE0EEENS1_30default_config_static_selectorELNS0_4arch9wavefront6targetE0EEEvT1_
	.p2align	8
	.type	_ZN7rocprim17ROCPRIM_400000_NS6detail17trampoline_kernelINS0_14default_configENS1_29reduce_by_key_config_selectorIiiN6thrust23THRUST_200600_302600_NS4plusIiEEEEZZNS1_33reduce_by_key_impl_wrapped_configILNS1_25lookback_scan_determinismE0ES3_S9_NS6_6detail15normal_iteratorINS6_10device_ptrIiEEEESG_SG_SG_PmS8_NS6_8equal_toIiEEEE10hipError_tPvRmT2_T3_mT4_T5_T6_T7_T8_P12ihipStream_tbENKUlT_T0_E_clISt17integral_constantIbLb1EES10_IbLb0EEEEDaSW_SX_EUlSW_E_NS1_11comp_targetILNS1_3genE10ELNS1_11target_archE1201ELNS1_3gpuE5ELNS1_3repE0EEENS1_30default_config_static_selectorELNS0_4arch9wavefront6targetE0EEEvT1_,@function
_ZN7rocprim17ROCPRIM_400000_NS6detail17trampoline_kernelINS0_14default_configENS1_29reduce_by_key_config_selectorIiiN6thrust23THRUST_200600_302600_NS4plusIiEEEEZZNS1_33reduce_by_key_impl_wrapped_configILNS1_25lookback_scan_determinismE0ES3_S9_NS6_6detail15normal_iteratorINS6_10device_ptrIiEEEESG_SG_SG_PmS8_NS6_8equal_toIiEEEE10hipError_tPvRmT2_T3_mT4_T5_T6_T7_T8_P12ihipStream_tbENKUlT_T0_E_clISt17integral_constantIbLb1EES10_IbLb0EEEEDaSW_SX_EUlSW_E_NS1_11comp_targetILNS1_3genE10ELNS1_11target_archE1201ELNS1_3gpuE5ELNS1_3repE0EEENS1_30default_config_static_selectorELNS0_4arch9wavefront6targetE0EEEvT1_: ; @_ZN7rocprim17ROCPRIM_400000_NS6detail17trampoline_kernelINS0_14default_configENS1_29reduce_by_key_config_selectorIiiN6thrust23THRUST_200600_302600_NS4plusIiEEEEZZNS1_33reduce_by_key_impl_wrapped_configILNS1_25lookback_scan_determinismE0ES3_S9_NS6_6detail15normal_iteratorINS6_10device_ptrIiEEEESG_SG_SG_PmS8_NS6_8equal_toIiEEEE10hipError_tPvRmT2_T3_mT4_T5_T6_T7_T8_P12ihipStream_tbENKUlT_T0_E_clISt17integral_constantIbLb1EES10_IbLb0EEEEDaSW_SX_EUlSW_E_NS1_11comp_targetILNS1_3genE10ELNS1_11target_archE1201ELNS1_3gpuE5ELNS1_3repE0EEENS1_30default_config_static_selectorELNS0_4arch9wavefront6targetE0EEEvT1_
; %bb.0:
	.section	.rodata,"a",@progbits
	.p2align	6, 0x0
	.amdhsa_kernel _ZN7rocprim17ROCPRIM_400000_NS6detail17trampoline_kernelINS0_14default_configENS1_29reduce_by_key_config_selectorIiiN6thrust23THRUST_200600_302600_NS4plusIiEEEEZZNS1_33reduce_by_key_impl_wrapped_configILNS1_25lookback_scan_determinismE0ES3_S9_NS6_6detail15normal_iteratorINS6_10device_ptrIiEEEESG_SG_SG_PmS8_NS6_8equal_toIiEEEE10hipError_tPvRmT2_T3_mT4_T5_T6_T7_T8_P12ihipStream_tbENKUlT_T0_E_clISt17integral_constantIbLb1EES10_IbLb0EEEEDaSW_SX_EUlSW_E_NS1_11comp_targetILNS1_3genE10ELNS1_11target_archE1201ELNS1_3gpuE5ELNS1_3repE0EEENS1_30default_config_static_selectorELNS0_4arch9wavefront6targetE0EEEvT1_
		.amdhsa_group_segment_fixed_size 0
		.amdhsa_private_segment_fixed_size 0
		.amdhsa_kernarg_size 120
		.amdhsa_user_sgpr_count 15
		.amdhsa_user_sgpr_dispatch_ptr 0
		.amdhsa_user_sgpr_queue_ptr 0
		.amdhsa_user_sgpr_kernarg_segment_ptr 1
		.amdhsa_user_sgpr_dispatch_id 0
		.amdhsa_user_sgpr_private_segment_size 0
		.amdhsa_wavefront_size32 1
		.amdhsa_uses_dynamic_stack 0
		.amdhsa_enable_private_segment 0
		.amdhsa_system_sgpr_workgroup_id_x 1
		.amdhsa_system_sgpr_workgroup_id_y 0
		.amdhsa_system_sgpr_workgroup_id_z 0
		.amdhsa_system_sgpr_workgroup_info 0
		.amdhsa_system_vgpr_workitem_id 0
		.amdhsa_next_free_vgpr 1
		.amdhsa_next_free_sgpr 1
		.amdhsa_reserve_vcc 0
		.amdhsa_float_round_mode_32 0
		.amdhsa_float_round_mode_16_64 0
		.amdhsa_float_denorm_mode_32 3
		.amdhsa_float_denorm_mode_16_64 3
		.amdhsa_dx10_clamp 1
		.amdhsa_ieee_mode 1
		.amdhsa_fp16_overflow 0
		.amdhsa_workgroup_processor_mode 1
		.amdhsa_memory_ordered 1
		.amdhsa_forward_progress 0
		.amdhsa_shared_vgpr_count 0
		.amdhsa_exception_fp_ieee_invalid_op 0
		.amdhsa_exception_fp_denorm_src 0
		.amdhsa_exception_fp_ieee_div_zero 0
		.amdhsa_exception_fp_ieee_overflow 0
		.amdhsa_exception_fp_ieee_underflow 0
		.amdhsa_exception_fp_ieee_inexact 0
		.amdhsa_exception_int_div_zero 0
	.end_amdhsa_kernel
	.section	.text._ZN7rocprim17ROCPRIM_400000_NS6detail17trampoline_kernelINS0_14default_configENS1_29reduce_by_key_config_selectorIiiN6thrust23THRUST_200600_302600_NS4plusIiEEEEZZNS1_33reduce_by_key_impl_wrapped_configILNS1_25lookback_scan_determinismE0ES3_S9_NS6_6detail15normal_iteratorINS6_10device_ptrIiEEEESG_SG_SG_PmS8_NS6_8equal_toIiEEEE10hipError_tPvRmT2_T3_mT4_T5_T6_T7_T8_P12ihipStream_tbENKUlT_T0_E_clISt17integral_constantIbLb1EES10_IbLb0EEEEDaSW_SX_EUlSW_E_NS1_11comp_targetILNS1_3genE10ELNS1_11target_archE1201ELNS1_3gpuE5ELNS1_3repE0EEENS1_30default_config_static_selectorELNS0_4arch9wavefront6targetE0EEEvT1_,"axG",@progbits,_ZN7rocprim17ROCPRIM_400000_NS6detail17trampoline_kernelINS0_14default_configENS1_29reduce_by_key_config_selectorIiiN6thrust23THRUST_200600_302600_NS4plusIiEEEEZZNS1_33reduce_by_key_impl_wrapped_configILNS1_25lookback_scan_determinismE0ES3_S9_NS6_6detail15normal_iteratorINS6_10device_ptrIiEEEESG_SG_SG_PmS8_NS6_8equal_toIiEEEE10hipError_tPvRmT2_T3_mT4_T5_T6_T7_T8_P12ihipStream_tbENKUlT_T0_E_clISt17integral_constantIbLb1EES10_IbLb0EEEEDaSW_SX_EUlSW_E_NS1_11comp_targetILNS1_3genE10ELNS1_11target_archE1201ELNS1_3gpuE5ELNS1_3repE0EEENS1_30default_config_static_selectorELNS0_4arch9wavefront6targetE0EEEvT1_,comdat
.Lfunc_end570:
	.size	_ZN7rocprim17ROCPRIM_400000_NS6detail17trampoline_kernelINS0_14default_configENS1_29reduce_by_key_config_selectorIiiN6thrust23THRUST_200600_302600_NS4plusIiEEEEZZNS1_33reduce_by_key_impl_wrapped_configILNS1_25lookback_scan_determinismE0ES3_S9_NS6_6detail15normal_iteratorINS6_10device_ptrIiEEEESG_SG_SG_PmS8_NS6_8equal_toIiEEEE10hipError_tPvRmT2_T3_mT4_T5_T6_T7_T8_P12ihipStream_tbENKUlT_T0_E_clISt17integral_constantIbLb1EES10_IbLb0EEEEDaSW_SX_EUlSW_E_NS1_11comp_targetILNS1_3genE10ELNS1_11target_archE1201ELNS1_3gpuE5ELNS1_3repE0EEENS1_30default_config_static_selectorELNS0_4arch9wavefront6targetE0EEEvT1_, .Lfunc_end570-_ZN7rocprim17ROCPRIM_400000_NS6detail17trampoline_kernelINS0_14default_configENS1_29reduce_by_key_config_selectorIiiN6thrust23THRUST_200600_302600_NS4plusIiEEEEZZNS1_33reduce_by_key_impl_wrapped_configILNS1_25lookback_scan_determinismE0ES3_S9_NS6_6detail15normal_iteratorINS6_10device_ptrIiEEEESG_SG_SG_PmS8_NS6_8equal_toIiEEEE10hipError_tPvRmT2_T3_mT4_T5_T6_T7_T8_P12ihipStream_tbENKUlT_T0_E_clISt17integral_constantIbLb1EES10_IbLb0EEEEDaSW_SX_EUlSW_E_NS1_11comp_targetILNS1_3genE10ELNS1_11target_archE1201ELNS1_3gpuE5ELNS1_3repE0EEENS1_30default_config_static_selectorELNS0_4arch9wavefront6targetE0EEEvT1_
                                        ; -- End function
	.section	.AMDGPU.csdata,"",@progbits
; Kernel info:
; codeLenInByte = 0
; NumSgprs: 0
; NumVgprs: 0
; ScratchSize: 0
; MemoryBound: 0
; FloatMode: 240
; IeeeMode: 1
; LDSByteSize: 0 bytes/workgroup (compile time only)
; SGPRBlocks: 0
; VGPRBlocks: 0
; NumSGPRsForWavesPerEU: 1
; NumVGPRsForWavesPerEU: 1
; Occupancy: 16
; WaveLimiterHint : 0
; COMPUTE_PGM_RSRC2:SCRATCH_EN: 0
; COMPUTE_PGM_RSRC2:USER_SGPR: 15
; COMPUTE_PGM_RSRC2:TRAP_HANDLER: 0
; COMPUTE_PGM_RSRC2:TGID_X_EN: 1
; COMPUTE_PGM_RSRC2:TGID_Y_EN: 0
; COMPUTE_PGM_RSRC2:TGID_Z_EN: 0
; COMPUTE_PGM_RSRC2:TIDIG_COMP_CNT: 0
	.section	.text._ZN7rocprim17ROCPRIM_400000_NS6detail17trampoline_kernelINS0_14default_configENS1_29reduce_by_key_config_selectorIiiN6thrust23THRUST_200600_302600_NS4plusIiEEEEZZNS1_33reduce_by_key_impl_wrapped_configILNS1_25lookback_scan_determinismE0ES3_S9_NS6_6detail15normal_iteratorINS6_10device_ptrIiEEEESG_SG_SG_PmS8_NS6_8equal_toIiEEEE10hipError_tPvRmT2_T3_mT4_T5_T6_T7_T8_P12ihipStream_tbENKUlT_T0_E_clISt17integral_constantIbLb1EES10_IbLb0EEEEDaSW_SX_EUlSW_E_NS1_11comp_targetILNS1_3genE10ELNS1_11target_archE1200ELNS1_3gpuE4ELNS1_3repE0EEENS1_30default_config_static_selectorELNS0_4arch9wavefront6targetE0EEEvT1_,"axG",@progbits,_ZN7rocprim17ROCPRIM_400000_NS6detail17trampoline_kernelINS0_14default_configENS1_29reduce_by_key_config_selectorIiiN6thrust23THRUST_200600_302600_NS4plusIiEEEEZZNS1_33reduce_by_key_impl_wrapped_configILNS1_25lookback_scan_determinismE0ES3_S9_NS6_6detail15normal_iteratorINS6_10device_ptrIiEEEESG_SG_SG_PmS8_NS6_8equal_toIiEEEE10hipError_tPvRmT2_T3_mT4_T5_T6_T7_T8_P12ihipStream_tbENKUlT_T0_E_clISt17integral_constantIbLb1EES10_IbLb0EEEEDaSW_SX_EUlSW_E_NS1_11comp_targetILNS1_3genE10ELNS1_11target_archE1200ELNS1_3gpuE4ELNS1_3repE0EEENS1_30default_config_static_selectorELNS0_4arch9wavefront6targetE0EEEvT1_,comdat
	.protected	_ZN7rocprim17ROCPRIM_400000_NS6detail17trampoline_kernelINS0_14default_configENS1_29reduce_by_key_config_selectorIiiN6thrust23THRUST_200600_302600_NS4plusIiEEEEZZNS1_33reduce_by_key_impl_wrapped_configILNS1_25lookback_scan_determinismE0ES3_S9_NS6_6detail15normal_iteratorINS6_10device_ptrIiEEEESG_SG_SG_PmS8_NS6_8equal_toIiEEEE10hipError_tPvRmT2_T3_mT4_T5_T6_T7_T8_P12ihipStream_tbENKUlT_T0_E_clISt17integral_constantIbLb1EES10_IbLb0EEEEDaSW_SX_EUlSW_E_NS1_11comp_targetILNS1_3genE10ELNS1_11target_archE1200ELNS1_3gpuE4ELNS1_3repE0EEENS1_30default_config_static_selectorELNS0_4arch9wavefront6targetE0EEEvT1_ ; -- Begin function _ZN7rocprim17ROCPRIM_400000_NS6detail17trampoline_kernelINS0_14default_configENS1_29reduce_by_key_config_selectorIiiN6thrust23THRUST_200600_302600_NS4plusIiEEEEZZNS1_33reduce_by_key_impl_wrapped_configILNS1_25lookback_scan_determinismE0ES3_S9_NS6_6detail15normal_iteratorINS6_10device_ptrIiEEEESG_SG_SG_PmS8_NS6_8equal_toIiEEEE10hipError_tPvRmT2_T3_mT4_T5_T6_T7_T8_P12ihipStream_tbENKUlT_T0_E_clISt17integral_constantIbLb1EES10_IbLb0EEEEDaSW_SX_EUlSW_E_NS1_11comp_targetILNS1_3genE10ELNS1_11target_archE1200ELNS1_3gpuE4ELNS1_3repE0EEENS1_30default_config_static_selectorELNS0_4arch9wavefront6targetE0EEEvT1_
	.globl	_ZN7rocprim17ROCPRIM_400000_NS6detail17trampoline_kernelINS0_14default_configENS1_29reduce_by_key_config_selectorIiiN6thrust23THRUST_200600_302600_NS4plusIiEEEEZZNS1_33reduce_by_key_impl_wrapped_configILNS1_25lookback_scan_determinismE0ES3_S9_NS6_6detail15normal_iteratorINS6_10device_ptrIiEEEESG_SG_SG_PmS8_NS6_8equal_toIiEEEE10hipError_tPvRmT2_T3_mT4_T5_T6_T7_T8_P12ihipStream_tbENKUlT_T0_E_clISt17integral_constantIbLb1EES10_IbLb0EEEEDaSW_SX_EUlSW_E_NS1_11comp_targetILNS1_3genE10ELNS1_11target_archE1200ELNS1_3gpuE4ELNS1_3repE0EEENS1_30default_config_static_selectorELNS0_4arch9wavefront6targetE0EEEvT1_
	.p2align	8
	.type	_ZN7rocprim17ROCPRIM_400000_NS6detail17trampoline_kernelINS0_14default_configENS1_29reduce_by_key_config_selectorIiiN6thrust23THRUST_200600_302600_NS4plusIiEEEEZZNS1_33reduce_by_key_impl_wrapped_configILNS1_25lookback_scan_determinismE0ES3_S9_NS6_6detail15normal_iteratorINS6_10device_ptrIiEEEESG_SG_SG_PmS8_NS6_8equal_toIiEEEE10hipError_tPvRmT2_T3_mT4_T5_T6_T7_T8_P12ihipStream_tbENKUlT_T0_E_clISt17integral_constantIbLb1EES10_IbLb0EEEEDaSW_SX_EUlSW_E_NS1_11comp_targetILNS1_3genE10ELNS1_11target_archE1200ELNS1_3gpuE4ELNS1_3repE0EEENS1_30default_config_static_selectorELNS0_4arch9wavefront6targetE0EEEvT1_,@function
_ZN7rocprim17ROCPRIM_400000_NS6detail17trampoline_kernelINS0_14default_configENS1_29reduce_by_key_config_selectorIiiN6thrust23THRUST_200600_302600_NS4plusIiEEEEZZNS1_33reduce_by_key_impl_wrapped_configILNS1_25lookback_scan_determinismE0ES3_S9_NS6_6detail15normal_iteratorINS6_10device_ptrIiEEEESG_SG_SG_PmS8_NS6_8equal_toIiEEEE10hipError_tPvRmT2_T3_mT4_T5_T6_T7_T8_P12ihipStream_tbENKUlT_T0_E_clISt17integral_constantIbLb1EES10_IbLb0EEEEDaSW_SX_EUlSW_E_NS1_11comp_targetILNS1_3genE10ELNS1_11target_archE1200ELNS1_3gpuE4ELNS1_3repE0EEENS1_30default_config_static_selectorELNS0_4arch9wavefront6targetE0EEEvT1_: ; @_ZN7rocprim17ROCPRIM_400000_NS6detail17trampoline_kernelINS0_14default_configENS1_29reduce_by_key_config_selectorIiiN6thrust23THRUST_200600_302600_NS4plusIiEEEEZZNS1_33reduce_by_key_impl_wrapped_configILNS1_25lookback_scan_determinismE0ES3_S9_NS6_6detail15normal_iteratorINS6_10device_ptrIiEEEESG_SG_SG_PmS8_NS6_8equal_toIiEEEE10hipError_tPvRmT2_T3_mT4_T5_T6_T7_T8_P12ihipStream_tbENKUlT_T0_E_clISt17integral_constantIbLb1EES10_IbLb0EEEEDaSW_SX_EUlSW_E_NS1_11comp_targetILNS1_3genE10ELNS1_11target_archE1200ELNS1_3gpuE4ELNS1_3repE0EEENS1_30default_config_static_selectorELNS0_4arch9wavefront6targetE0EEEvT1_
; %bb.0:
	.section	.rodata,"a",@progbits
	.p2align	6, 0x0
	.amdhsa_kernel _ZN7rocprim17ROCPRIM_400000_NS6detail17trampoline_kernelINS0_14default_configENS1_29reduce_by_key_config_selectorIiiN6thrust23THRUST_200600_302600_NS4plusIiEEEEZZNS1_33reduce_by_key_impl_wrapped_configILNS1_25lookback_scan_determinismE0ES3_S9_NS6_6detail15normal_iteratorINS6_10device_ptrIiEEEESG_SG_SG_PmS8_NS6_8equal_toIiEEEE10hipError_tPvRmT2_T3_mT4_T5_T6_T7_T8_P12ihipStream_tbENKUlT_T0_E_clISt17integral_constantIbLb1EES10_IbLb0EEEEDaSW_SX_EUlSW_E_NS1_11comp_targetILNS1_3genE10ELNS1_11target_archE1200ELNS1_3gpuE4ELNS1_3repE0EEENS1_30default_config_static_selectorELNS0_4arch9wavefront6targetE0EEEvT1_
		.amdhsa_group_segment_fixed_size 0
		.amdhsa_private_segment_fixed_size 0
		.amdhsa_kernarg_size 120
		.amdhsa_user_sgpr_count 15
		.amdhsa_user_sgpr_dispatch_ptr 0
		.amdhsa_user_sgpr_queue_ptr 0
		.amdhsa_user_sgpr_kernarg_segment_ptr 1
		.amdhsa_user_sgpr_dispatch_id 0
		.amdhsa_user_sgpr_private_segment_size 0
		.amdhsa_wavefront_size32 1
		.amdhsa_uses_dynamic_stack 0
		.amdhsa_enable_private_segment 0
		.amdhsa_system_sgpr_workgroup_id_x 1
		.amdhsa_system_sgpr_workgroup_id_y 0
		.amdhsa_system_sgpr_workgroup_id_z 0
		.amdhsa_system_sgpr_workgroup_info 0
		.amdhsa_system_vgpr_workitem_id 0
		.amdhsa_next_free_vgpr 1
		.amdhsa_next_free_sgpr 1
		.amdhsa_reserve_vcc 0
		.amdhsa_float_round_mode_32 0
		.amdhsa_float_round_mode_16_64 0
		.amdhsa_float_denorm_mode_32 3
		.amdhsa_float_denorm_mode_16_64 3
		.amdhsa_dx10_clamp 1
		.amdhsa_ieee_mode 1
		.amdhsa_fp16_overflow 0
		.amdhsa_workgroup_processor_mode 1
		.amdhsa_memory_ordered 1
		.amdhsa_forward_progress 0
		.amdhsa_shared_vgpr_count 0
		.amdhsa_exception_fp_ieee_invalid_op 0
		.amdhsa_exception_fp_denorm_src 0
		.amdhsa_exception_fp_ieee_div_zero 0
		.amdhsa_exception_fp_ieee_overflow 0
		.amdhsa_exception_fp_ieee_underflow 0
		.amdhsa_exception_fp_ieee_inexact 0
		.amdhsa_exception_int_div_zero 0
	.end_amdhsa_kernel
	.section	.text._ZN7rocprim17ROCPRIM_400000_NS6detail17trampoline_kernelINS0_14default_configENS1_29reduce_by_key_config_selectorIiiN6thrust23THRUST_200600_302600_NS4plusIiEEEEZZNS1_33reduce_by_key_impl_wrapped_configILNS1_25lookback_scan_determinismE0ES3_S9_NS6_6detail15normal_iteratorINS6_10device_ptrIiEEEESG_SG_SG_PmS8_NS6_8equal_toIiEEEE10hipError_tPvRmT2_T3_mT4_T5_T6_T7_T8_P12ihipStream_tbENKUlT_T0_E_clISt17integral_constantIbLb1EES10_IbLb0EEEEDaSW_SX_EUlSW_E_NS1_11comp_targetILNS1_3genE10ELNS1_11target_archE1200ELNS1_3gpuE4ELNS1_3repE0EEENS1_30default_config_static_selectorELNS0_4arch9wavefront6targetE0EEEvT1_,"axG",@progbits,_ZN7rocprim17ROCPRIM_400000_NS6detail17trampoline_kernelINS0_14default_configENS1_29reduce_by_key_config_selectorIiiN6thrust23THRUST_200600_302600_NS4plusIiEEEEZZNS1_33reduce_by_key_impl_wrapped_configILNS1_25lookback_scan_determinismE0ES3_S9_NS6_6detail15normal_iteratorINS6_10device_ptrIiEEEESG_SG_SG_PmS8_NS6_8equal_toIiEEEE10hipError_tPvRmT2_T3_mT4_T5_T6_T7_T8_P12ihipStream_tbENKUlT_T0_E_clISt17integral_constantIbLb1EES10_IbLb0EEEEDaSW_SX_EUlSW_E_NS1_11comp_targetILNS1_3genE10ELNS1_11target_archE1200ELNS1_3gpuE4ELNS1_3repE0EEENS1_30default_config_static_selectorELNS0_4arch9wavefront6targetE0EEEvT1_,comdat
.Lfunc_end571:
	.size	_ZN7rocprim17ROCPRIM_400000_NS6detail17trampoline_kernelINS0_14default_configENS1_29reduce_by_key_config_selectorIiiN6thrust23THRUST_200600_302600_NS4plusIiEEEEZZNS1_33reduce_by_key_impl_wrapped_configILNS1_25lookback_scan_determinismE0ES3_S9_NS6_6detail15normal_iteratorINS6_10device_ptrIiEEEESG_SG_SG_PmS8_NS6_8equal_toIiEEEE10hipError_tPvRmT2_T3_mT4_T5_T6_T7_T8_P12ihipStream_tbENKUlT_T0_E_clISt17integral_constantIbLb1EES10_IbLb0EEEEDaSW_SX_EUlSW_E_NS1_11comp_targetILNS1_3genE10ELNS1_11target_archE1200ELNS1_3gpuE4ELNS1_3repE0EEENS1_30default_config_static_selectorELNS0_4arch9wavefront6targetE0EEEvT1_, .Lfunc_end571-_ZN7rocprim17ROCPRIM_400000_NS6detail17trampoline_kernelINS0_14default_configENS1_29reduce_by_key_config_selectorIiiN6thrust23THRUST_200600_302600_NS4plusIiEEEEZZNS1_33reduce_by_key_impl_wrapped_configILNS1_25lookback_scan_determinismE0ES3_S9_NS6_6detail15normal_iteratorINS6_10device_ptrIiEEEESG_SG_SG_PmS8_NS6_8equal_toIiEEEE10hipError_tPvRmT2_T3_mT4_T5_T6_T7_T8_P12ihipStream_tbENKUlT_T0_E_clISt17integral_constantIbLb1EES10_IbLb0EEEEDaSW_SX_EUlSW_E_NS1_11comp_targetILNS1_3genE10ELNS1_11target_archE1200ELNS1_3gpuE4ELNS1_3repE0EEENS1_30default_config_static_selectorELNS0_4arch9wavefront6targetE0EEEvT1_
                                        ; -- End function
	.section	.AMDGPU.csdata,"",@progbits
; Kernel info:
; codeLenInByte = 0
; NumSgprs: 0
; NumVgprs: 0
; ScratchSize: 0
; MemoryBound: 0
; FloatMode: 240
; IeeeMode: 1
; LDSByteSize: 0 bytes/workgroup (compile time only)
; SGPRBlocks: 0
; VGPRBlocks: 0
; NumSGPRsForWavesPerEU: 1
; NumVGPRsForWavesPerEU: 1
; Occupancy: 16
; WaveLimiterHint : 0
; COMPUTE_PGM_RSRC2:SCRATCH_EN: 0
; COMPUTE_PGM_RSRC2:USER_SGPR: 15
; COMPUTE_PGM_RSRC2:TRAP_HANDLER: 0
; COMPUTE_PGM_RSRC2:TGID_X_EN: 1
; COMPUTE_PGM_RSRC2:TGID_Y_EN: 0
; COMPUTE_PGM_RSRC2:TGID_Z_EN: 0
; COMPUTE_PGM_RSRC2:TIDIG_COMP_CNT: 0
	.section	.text._ZN7rocprim17ROCPRIM_400000_NS6detail17trampoline_kernelINS0_14default_configENS1_29reduce_by_key_config_selectorIiiN6thrust23THRUST_200600_302600_NS4plusIiEEEEZZNS1_33reduce_by_key_impl_wrapped_configILNS1_25lookback_scan_determinismE0ES3_S9_NS6_6detail15normal_iteratorINS6_10device_ptrIiEEEESG_SG_SG_PmS8_NS6_8equal_toIiEEEE10hipError_tPvRmT2_T3_mT4_T5_T6_T7_T8_P12ihipStream_tbENKUlT_T0_E_clISt17integral_constantIbLb1EES10_IbLb0EEEEDaSW_SX_EUlSW_E_NS1_11comp_targetILNS1_3genE9ELNS1_11target_archE1100ELNS1_3gpuE3ELNS1_3repE0EEENS1_30default_config_static_selectorELNS0_4arch9wavefront6targetE0EEEvT1_,"axG",@progbits,_ZN7rocprim17ROCPRIM_400000_NS6detail17trampoline_kernelINS0_14default_configENS1_29reduce_by_key_config_selectorIiiN6thrust23THRUST_200600_302600_NS4plusIiEEEEZZNS1_33reduce_by_key_impl_wrapped_configILNS1_25lookback_scan_determinismE0ES3_S9_NS6_6detail15normal_iteratorINS6_10device_ptrIiEEEESG_SG_SG_PmS8_NS6_8equal_toIiEEEE10hipError_tPvRmT2_T3_mT4_T5_T6_T7_T8_P12ihipStream_tbENKUlT_T0_E_clISt17integral_constantIbLb1EES10_IbLb0EEEEDaSW_SX_EUlSW_E_NS1_11comp_targetILNS1_3genE9ELNS1_11target_archE1100ELNS1_3gpuE3ELNS1_3repE0EEENS1_30default_config_static_selectorELNS0_4arch9wavefront6targetE0EEEvT1_,comdat
	.protected	_ZN7rocprim17ROCPRIM_400000_NS6detail17trampoline_kernelINS0_14default_configENS1_29reduce_by_key_config_selectorIiiN6thrust23THRUST_200600_302600_NS4plusIiEEEEZZNS1_33reduce_by_key_impl_wrapped_configILNS1_25lookback_scan_determinismE0ES3_S9_NS6_6detail15normal_iteratorINS6_10device_ptrIiEEEESG_SG_SG_PmS8_NS6_8equal_toIiEEEE10hipError_tPvRmT2_T3_mT4_T5_T6_T7_T8_P12ihipStream_tbENKUlT_T0_E_clISt17integral_constantIbLb1EES10_IbLb0EEEEDaSW_SX_EUlSW_E_NS1_11comp_targetILNS1_3genE9ELNS1_11target_archE1100ELNS1_3gpuE3ELNS1_3repE0EEENS1_30default_config_static_selectorELNS0_4arch9wavefront6targetE0EEEvT1_ ; -- Begin function _ZN7rocprim17ROCPRIM_400000_NS6detail17trampoline_kernelINS0_14default_configENS1_29reduce_by_key_config_selectorIiiN6thrust23THRUST_200600_302600_NS4plusIiEEEEZZNS1_33reduce_by_key_impl_wrapped_configILNS1_25lookback_scan_determinismE0ES3_S9_NS6_6detail15normal_iteratorINS6_10device_ptrIiEEEESG_SG_SG_PmS8_NS6_8equal_toIiEEEE10hipError_tPvRmT2_T3_mT4_T5_T6_T7_T8_P12ihipStream_tbENKUlT_T0_E_clISt17integral_constantIbLb1EES10_IbLb0EEEEDaSW_SX_EUlSW_E_NS1_11comp_targetILNS1_3genE9ELNS1_11target_archE1100ELNS1_3gpuE3ELNS1_3repE0EEENS1_30default_config_static_selectorELNS0_4arch9wavefront6targetE0EEEvT1_
	.globl	_ZN7rocprim17ROCPRIM_400000_NS6detail17trampoline_kernelINS0_14default_configENS1_29reduce_by_key_config_selectorIiiN6thrust23THRUST_200600_302600_NS4plusIiEEEEZZNS1_33reduce_by_key_impl_wrapped_configILNS1_25lookback_scan_determinismE0ES3_S9_NS6_6detail15normal_iteratorINS6_10device_ptrIiEEEESG_SG_SG_PmS8_NS6_8equal_toIiEEEE10hipError_tPvRmT2_T3_mT4_T5_T6_T7_T8_P12ihipStream_tbENKUlT_T0_E_clISt17integral_constantIbLb1EES10_IbLb0EEEEDaSW_SX_EUlSW_E_NS1_11comp_targetILNS1_3genE9ELNS1_11target_archE1100ELNS1_3gpuE3ELNS1_3repE0EEENS1_30default_config_static_selectorELNS0_4arch9wavefront6targetE0EEEvT1_
	.p2align	8
	.type	_ZN7rocprim17ROCPRIM_400000_NS6detail17trampoline_kernelINS0_14default_configENS1_29reduce_by_key_config_selectorIiiN6thrust23THRUST_200600_302600_NS4plusIiEEEEZZNS1_33reduce_by_key_impl_wrapped_configILNS1_25lookback_scan_determinismE0ES3_S9_NS6_6detail15normal_iteratorINS6_10device_ptrIiEEEESG_SG_SG_PmS8_NS6_8equal_toIiEEEE10hipError_tPvRmT2_T3_mT4_T5_T6_T7_T8_P12ihipStream_tbENKUlT_T0_E_clISt17integral_constantIbLb1EES10_IbLb0EEEEDaSW_SX_EUlSW_E_NS1_11comp_targetILNS1_3genE9ELNS1_11target_archE1100ELNS1_3gpuE3ELNS1_3repE0EEENS1_30default_config_static_selectorELNS0_4arch9wavefront6targetE0EEEvT1_,@function
_ZN7rocprim17ROCPRIM_400000_NS6detail17trampoline_kernelINS0_14default_configENS1_29reduce_by_key_config_selectorIiiN6thrust23THRUST_200600_302600_NS4plusIiEEEEZZNS1_33reduce_by_key_impl_wrapped_configILNS1_25lookback_scan_determinismE0ES3_S9_NS6_6detail15normal_iteratorINS6_10device_ptrIiEEEESG_SG_SG_PmS8_NS6_8equal_toIiEEEE10hipError_tPvRmT2_T3_mT4_T5_T6_T7_T8_P12ihipStream_tbENKUlT_T0_E_clISt17integral_constantIbLb1EES10_IbLb0EEEEDaSW_SX_EUlSW_E_NS1_11comp_targetILNS1_3genE9ELNS1_11target_archE1100ELNS1_3gpuE3ELNS1_3repE0EEENS1_30default_config_static_selectorELNS0_4arch9wavefront6targetE0EEEvT1_: ; @_ZN7rocprim17ROCPRIM_400000_NS6detail17trampoline_kernelINS0_14default_configENS1_29reduce_by_key_config_selectorIiiN6thrust23THRUST_200600_302600_NS4plusIiEEEEZZNS1_33reduce_by_key_impl_wrapped_configILNS1_25lookback_scan_determinismE0ES3_S9_NS6_6detail15normal_iteratorINS6_10device_ptrIiEEEESG_SG_SG_PmS8_NS6_8equal_toIiEEEE10hipError_tPvRmT2_T3_mT4_T5_T6_T7_T8_P12ihipStream_tbENKUlT_T0_E_clISt17integral_constantIbLb1EES10_IbLb0EEEEDaSW_SX_EUlSW_E_NS1_11comp_targetILNS1_3genE9ELNS1_11target_archE1100ELNS1_3gpuE3ELNS1_3repE0EEENS1_30default_config_static_selectorELNS0_4arch9wavefront6targetE0EEEvT1_
; %bb.0:
	s_clause 0x4
	s_load_b256 s[20:27], s[0:1], 0x0
	s_load_b256 s[36:43], s[0:1], 0x38
	s_load_b128 s[28:31], s[0:1], 0x20
	s_load_b64 s[34:35], s[0:1], 0x68
	s_load_b128 s[44:47], s[0:1], 0x58
	s_mov_b32 s3, 0
	s_mul_i32 s2, s15, 0xf00
	s_waitcnt lgkmcnt(0)
	s_lshl_b64 s[0:1], s[22:23], 2
	s_mul_i32 s4, s40, s39
	s_add_u32 s8, s20, s0
	s_mul_hi_u32 s5, s40, s38
	s_addc_u32 s9, s21, s1
	s_add_u32 s10, s24, s0
	s_mul_i32 s6, s41, s38
	s_addc_u32 s11, s25, s1
	s_add_i32 s4, s5, s4
	s_lshl_b64 s[0:1], s[2:3], 2
	s_add_i32 s4, s4, s6
	s_add_u32 s18, s8, s0
	s_addc_u32 s14, s9, s1
	s_mul_i32 s7, s40, s38
	s_add_u32 s20, s10, s0
	s_addc_u32 s21, s11, s1
	s_add_u32 s16, s7, s15
	s_addc_u32 s17, s4, 0
	s_add_u32 s0, s42, -1
	s_addc_u32 s1, s43, -1
	s_mul_i32 s33, s0, 0xfffff100
	s_cmp_eq_u64 s[16:17], s[0:1]
	s_cselect_b32 s23, -1, 0
	s_cmp_lg_u64 s[16:17], s[0:1]
	s_cselect_b32 s19, -1, 0
	s_and_b32 vcc_lo, exec_lo, s23
	s_cbranch_vccnz .LBB572_2
; %bb.1:
	v_lshlrev_b32_e32 v8, 2, v0
	s_delay_alu instid0(VALU_DEP_1) | instskip(NEXT) | instid1(VALU_DEP_1)
	v_add_co_u32 v1, s0, s18, v8
	v_add_co_ci_u32_e64 v2, null, s14, 0, s0
	s_delay_alu instid0(VALU_DEP_2) | instskip(NEXT) | instid1(VALU_DEP_2)
	v_add_co_u32 v3, vcc_lo, 0x1000, v1
	v_add_co_ci_u32_e32 v4, vcc_lo, 0, v2, vcc_lo
	s_clause 0x7
	flat_load_b32 v9, v[1:2]
	flat_load_b32 v10, v[1:2] offset:1024
	flat_load_b32 v11, v[1:2] offset:2048
	;; [unrolled: 1-line block ×3, first 2 shown]
	flat_load_b32 v13, v[3:4]
	flat_load_b32 v14, v[3:4] offset:1024
	flat_load_b32 v15, v[3:4] offset:2048
	;; [unrolled: 1-line block ×3, first 2 shown]
	v_add_co_u32 v3, vcc_lo, 0x2000, v1
	v_add_co_ci_u32_e32 v4, vcc_lo, 0, v2, vcc_lo
	v_add_co_u32 v1, vcc_lo, 0x3000, v1
	v_add_co_ci_u32_e32 v2, vcc_lo, 0, v2, vcc_lo
	s_clause 0x6
	flat_load_b32 v17, v[3:4]
	flat_load_b32 v18, v[3:4] offset:1024
	flat_load_b32 v19, v[3:4] offset:2048
	;; [unrolled: 1-line block ×3, first 2 shown]
	flat_load_b32 v21, v[1:2]
	flat_load_b32 v22, v[1:2] offset:1024
	flat_load_b32 v25, v[1:2] offset:2048
	v_add_co_u32 v2, s0, s20, v8
	s_delay_alu instid0(VALU_DEP_1) | instskip(SKIP_1) | instid1(VALU_DEP_3)
	v_add_co_ci_u32_e64 v3, null, s21, 0, s0
	v_mad_u32_u24 v1, v0, 56, v8
	v_add_co_u32 v4, vcc_lo, 0x1000, v2
	s_delay_alu instid0(VALU_DEP_3)
	v_add_co_ci_u32_e32 v5, vcc_lo, 0, v3, vcc_lo
	v_add_co_u32 v6, vcc_lo, 0x2000, v2
	v_add_co_ci_u32_e32 v7, vcc_lo, 0, v3, vcc_lo
	v_add_co_u32 v23, vcc_lo, 0x3000, v2
	v_add_co_ci_u32_e32 v24, vcc_lo, 0, v3, vcc_lo
	s_waitcnt vmcnt(13) lgkmcnt(13)
	ds_store_2addr_stride64_b32 v8, v9, v10 offset1:4
	s_waitcnt vmcnt(11) lgkmcnt(12)
	ds_store_2addr_stride64_b32 v8, v11, v12 offset0:8 offset1:12
	s_waitcnt vmcnt(9) lgkmcnt(11)
	ds_store_2addr_stride64_b32 v8, v13, v14 offset0:16 offset1:20
	;; [unrolled: 2-line block ×6, first 2 shown]
	s_waitcnt vmcnt(0) lgkmcnt(7)
	ds_store_b32 v8, v25 offset:14336
	s_waitcnt lgkmcnt(0)
	s_barrier
	buffer_gl0_inv
	ds_load_2addr_b32 v[21:22], v1 offset1:1
	ds_load_2addr_b32 v[19:20], v1 offset0:2 offset1:3
	ds_load_2addr_b32 v[17:18], v1 offset0:4 offset1:5
	;; [unrolled: 1-line block ×6, first 2 shown]
	ds_load_b32 v63, v1 offset:56
	s_waitcnt lgkmcnt(0)
	s_barrier
	buffer_gl0_inv
	s_clause 0xe
	flat_load_b32 v25, v[2:3]
	flat_load_b32 v26, v[2:3] offset:1024
	flat_load_b32 v27, v[2:3] offset:2048
	flat_load_b32 v2, v[2:3] offset:3072
	flat_load_b32 v3, v[4:5]
	flat_load_b32 v28, v[4:5] offset:1024
	flat_load_b32 v29, v[4:5] offset:2048
	flat_load_b32 v4, v[4:5] offset:3072
	;; [unrolled: 4-line block ×3, first 2 shown]
	flat_load_b32 v7, v[23:24]
	flat_load_b32 v32, v[23:24] offset:1024
	flat_load_b32 v23, v[23:24] offset:2048
	s_waitcnt vmcnt(13) lgkmcnt(13)
	ds_store_2addr_stride64_b32 v8, v25, v26 offset1:4
	s_waitcnt vmcnt(11) lgkmcnt(12)
	ds_store_2addr_stride64_b32 v8, v27, v2 offset0:8 offset1:12
	s_waitcnt vmcnt(9) lgkmcnt(11)
	ds_store_2addr_stride64_b32 v8, v3, v28 offset0:16 offset1:20
	;; [unrolled: 2-line block ×6, first 2 shown]
	s_waitcnt vmcnt(0) lgkmcnt(7)
	ds_store_b32 v8, v23 offset:14336
	s_waitcnt lgkmcnt(0)
	s_barrier
	s_and_not1_b32 vcc_lo, exec_lo, s3
	s_add_i32 s33, s33, s44
	s_cbranch_vccz .LBB572_3
	s_branch .LBB572_50
.LBB572_2:
                                        ; implicit-def: $vgpr1
                                        ; implicit-def: $vgpr21
                                        ; implicit-def: $vgpr19
                                        ; implicit-def: $vgpr17
                                        ; implicit-def: $vgpr15
                                        ; implicit-def: $vgpr13
                                        ; implicit-def: $vgpr11
                                        ; implicit-def: $vgpr9
                                        ; implicit-def: $vgpr63
	s_add_i32 s33, s33, s44
.LBB572_3:
	s_delay_alu instid0(SALU_CYCLE_1)
	v_cmp_gt_u32_e32 vcc_lo, s33, v0
                                        ; implicit-def: $vgpr1
	s_and_saveexec_b32 s0, vcc_lo
	s_cbranch_execz .LBB572_5
; %bb.4:
	v_lshlrev_b32_e32 v1, 2, v0
	s_delay_alu instid0(VALU_DEP_1) | instskip(NEXT) | instid1(VALU_DEP_1)
	v_add_co_u32 v1, s1, s18, v1
	v_add_co_ci_u32_e64 v2, null, s14, 0, s1
	flat_load_b32 v1, v[1:2]
.LBB572_5:
	s_or_b32 exec_lo, exec_lo, s0
	v_or_b32_e32 v2, 0x100, v0
                                        ; implicit-def: $vgpr9
	s_delay_alu instid0(VALU_DEP_1) | instskip(NEXT) | instid1(VALU_DEP_1)
	v_cmp_gt_u32_e64 s0, s33, v2
	s_and_saveexec_b32 s1, s0
	s_cbranch_execz .LBB572_7
; %bb.6:
	v_lshlrev_b32_e32 v2, 2, v0
	s_delay_alu instid0(VALU_DEP_1) | instskip(NEXT) | instid1(VALU_DEP_1)
	v_add_co_u32 v2, s2, s18, v2
	v_add_co_ci_u32_e64 v3, null, s14, 0, s2
	flat_load_b32 v9, v[2:3] offset:1024
.LBB572_7:
	s_or_b32 exec_lo, exec_lo, s1
	v_or_b32_e32 v2, 0x200, v0
                                        ; implicit-def: $vgpr10
	s_delay_alu instid0(VALU_DEP_1) | instskip(NEXT) | instid1(VALU_DEP_1)
	v_cmp_gt_u32_e64 s1, s33, v2
	s_and_saveexec_b32 s2, s1
	s_cbranch_execz .LBB572_9
; %bb.8:
	v_lshlrev_b32_e32 v2, 2, v0
	s_delay_alu instid0(VALU_DEP_1) | instskip(NEXT) | instid1(VALU_DEP_1)
	v_add_co_u32 v2, s3, s18, v2
	v_add_co_ci_u32_e64 v3, null, s14, 0, s3
	flat_load_b32 v10, v[2:3] offset:2048
.LBB572_9:
	s_or_b32 exec_lo, exec_lo, s2
	v_or_b32_e32 v2, 0x300, v0
                                        ; implicit-def: $vgpr11
	s_delay_alu instid0(VALU_DEP_1) | instskip(NEXT) | instid1(VALU_DEP_1)
	v_cmp_gt_u32_e64 s2, s33, v2
	s_and_saveexec_b32 s3, s2
	s_cbranch_execz .LBB572_11
; %bb.10:
	v_lshlrev_b32_e32 v2, 2, v0
	s_delay_alu instid0(VALU_DEP_1) | instskip(NEXT) | instid1(VALU_DEP_1)
	v_add_co_u32 v2, s4, s18, v2
	v_add_co_ci_u32_e64 v3, null, s14, 0, s4
	flat_load_b32 v11, v[2:3] offset:3072
.LBB572_11:
	s_or_b32 exec_lo, exec_lo, s3
	v_or_b32_e32 v2, 0x400, v0
                                        ; implicit-def: $vgpr12
	s_delay_alu instid0(VALU_DEP_1) | instskip(NEXT) | instid1(VALU_DEP_1)
	v_cmp_gt_u32_e64 s3, s33, v2
	s_and_saveexec_b32 s4, s3
	s_cbranch_execz .LBB572_13
; %bb.12:
	v_lshlrev_b32_e32 v3, 2, v2
	s_delay_alu instid0(VALU_DEP_1) | instskip(NEXT) | instid1(VALU_DEP_1)
	v_add_co_u32 v3, s5, s18, v3
	v_add_co_ci_u32_e64 v4, null, s14, 0, s5
	flat_load_b32 v12, v[3:4]
.LBB572_13:
	s_or_b32 exec_lo, exec_lo, s4
	v_or_b32_e32 v3, 0x500, v0
                                        ; implicit-def: $vgpr13
	s_delay_alu instid0(VALU_DEP_1) | instskip(NEXT) | instid1(VALU_DEP_1)
	v_cmp_gt_u32_e64 s4, s33, v3
	s_and_saveexec_b32 s5, s4
	s_cbranch_execz .LBB572_15
; %bb.14:
	v_lshlrev_b32_e32 v4, 2, v3
	s_delay_alu instid0(VALU_DEP_1) | instskip(NEXT) | instid1(VALU_DEP_1)
	v_add_co_u32 v4, s6, s18, v4
	v_add_co_ci_u32_e64 v5, null, s14, 0, s6
	flat_load_b32 v13, v[4:5]
.LBB572_15:
	s_or_b32 exec_lo, exec_lo, s5
	v_or_b32_e32 v4, 0x600, v0
                                        ; implicit-def: $vgpr14
	s_delay_alu instid0(VALU_DEP_1) | instskip(NEXT) | instid1(VALU_DEP_1)
	v_cmp_gt_u32_e64 s5, s33, v4
	s_and_saveexec_b32 s6, s5
	s_cbranch_execz .LBB572_17
; %bb.16:
	v_lshlrev_b32_e32 v5, 2, v4
	s_delay_alu instid0(VALU_DEP_1) | instskip(NEXT) | instid1(VALU_DEP_1)
	v_add_co_u32 v5, s7, s18, v5
	v_add_co_ci_u32_e64 v6, null, s14, 0, s7
	flat_load_b32 v14, v[5:6]
.LBB572_17:
	s_or_b32 exec_lo, exec_lo, s6
	v_or_b32_e32 v5, 0x700, v0
                                        ; implicit-def: $vgpr15
	s_delay_alu instid0(VALU_DEP_1) | instskip(NEXT) | instid1(VALU_DEP_1)
	v_cmp_gt_u32_e64 s6, s33, v5
	s_and_saveexec_b32 s7, s6
	s_cbranch_execz .LBB572_19
; %bb.18:
	v_lshlrev_b32_e32 v6, 2, v5
	s_delay_alu instid0(VALU_DEP_1) | instskip(NEXT) | instid1(VALU_DEP_1)
	v_add_co_u32 v6, s8, s18, v6
	v_add_co_ci_u32_e64 v7, null, s14, 0, s8
	flat_load_b32 v15, v[6:7]
.LBB572_19:
	s_or_b32 exec_lo, exec_lo, s7
	v_or_b32_e32 v6, 0x800, v0
                                        ; implicit-def: $vgpr16
	s_delay_alu instid0(VALU_DEP_1) | instskip(NEXT) | instid1(VALU_DEP_1)
	v_cmp_gt_u32_e64 s7, s33, v6
	s_and_saveexec_b32 s8, s7
	s_cbranch_execz .LBB572_21
; %bb.20:
	v_lshlrev_b32_e32 v7, 2, v6
	s_delay_alu instid0(VALU_DEP_1) | instskip(NEXT) | instid1(VALU_DEP_1)
	v_add_co_u32 v7, s9, s18, v7
	v_add_co_ci_u32_e64 v8, null, s14, 0, s9
	flat_load_b32 v16, v[7:8]
.LBB572_21:
	s_or_b32 exec_lo, exec_lo, s8
	v_or_b32_e32 v8, 0x900, v0
                                        ; implicit-def: $vgpr17
	s_delay_alu instid0(VALU_DEP_1) | instskip(NEXT) | instid1(VALU_DEP_1)
	v_cmp_gt_u32_e64 s8, s33, v8
	s_and_saveexec_b32 s9, s8
	s_cbranch_execz .LBB572_23
; %bb.22:
	v_lshlrev_b32_e32 v7, 2, v8
	s_delay_alu instid0(VALU_DEP_1) | instskip(NEXT) | instid1(VALU_DEP_1)
	v_add_co_u32 v17, s10, s18, v7
	v_add_co_ci_u32_e64 v18, null, s14, 0, s10
	flat_load_b32 v17, v[17:18]
.LBB572_23:
	s_or_b32 exec_lo, exec_lo, s9
	v_or_b32_e32 v23, 0xa00, v0
                                        ; implicit-def: $vgpr18
	s_delay_alu instid0(VALU_DEP_1) | instskip(NEXT) | instid1(VALU_DEP_1)
	v_cmp_gt_u32_e64 s9, s33, v23
	s_and_saveexec_b32 s10, s9
	s_cbranch_execz .LBB572_25
; %bb.24:
	v_lshlrev_b32_e32 v7, 2, v23
	s_delay_alu instid0(VALU_DEP_1) | instskip(NEXT) | instid1(VALU_DEP_1)
	v_add_co_u32 v18, s11, s18, v7
	v_add_co_ci_u32_e64 v19, null, s14, 0, s11
	flat_load_b32 v18, v[18:19]
.LBB572_25:
	s_or_b32 exec_lo, exec_lo, s10
	v_or_b32_e32 v24, 0xb00, v0
                                        ; implicit-def: $vgpr19
	s_delay_alu instid0(VALU_DEP_1) | instskip(NEXT) | instid1(VALU_DEP_1)
	v_cmp_gt_u32_e64 s10, s33, v24
	s_and_saveexec_b32 s11, s10
	s_cbranch_execz .LBB572_27
; %bb.26:
	v_lshlrev_b32_e32 v7, 2, v24
	s_delay_alu instid0(VALU_DEP_1) | instskip(NEXT) | instid1(VALU_DEP_1)
	v_add_co_u32 v19, s12, s18, v7
	v_add_co_ci_u32_e64 v20, null, s14, 0, s12
	flat_load_b32 v19, v[19:20]
.LBB572_27:
	s_or_b32 exec_lo, exec_lo, s11
	v_or_b32_e32 v25, 0xc00, v0
                                        ; implicit-def: $vgpr20
	s_delay_alu instid0(VALU_DEP_1) | instskip(NEXT) | instid1(VALU_DEP_1)
	v_cmp_gt_u32_e64 s11, s33, v25
	s_and_saveexec_b32 s12, s11
	s_cbranch_execz .LBB572_29
; %bb.28:
	v_lshlrev_b32_e32 v7, 2, v25
	s_delay_alu instid0(VALU_DEP_1) | instskip(NEXT) | instid1(VALU_DEP_1)
	v_add_co_u32 v20, s13, s18, v7
	v_add_co_ci_u32_e64 v21, null, s14, 0, s13
	flat_load_b32 v20, v[20:21]
.LBB572_29:
	s_or_b32 exec_lo, exec_lo, s12
	v_or_b32_e32 v26, 0xd00, v0
                                        ; implicit-def: $vgpr21
	s_delay_alu instid0(VALU_DEP_1) | instskip(NEXT) | instid1(VALU_DEP_1)
	v_cmp_gt_u32_e64 s12, s33, v26
	s_and_saveexec_b32 s13, s12
	s_cbranch_execz .LBB572_31
; %bb.30:
	v_lshlrev_b32_e32 v7, 2, v26
	s_delay_alu instid0(VALU_DEP_1) | instskip(NEXT) | instid1(VALU_DEP_1)
	v_add_co_u32 v21, s22, s18, v7
	v_add_co_ci_u32_e64 v22, null, s14, 0, s22
	flat_load_b32 v21, v[21:22]
.LBB572_31:
	s_or_b32 exec_lo, exec_lo, s13
	v_or_b32_e32 v27, 0xe00, v0
                                        ; implicit-def: $vgpr22
	s_delay_alu instid0(VALU_DEP_1) | instskip(NEXT) | instid1(VALU_DEP_1)
	v_cmp_gt_u32_e64 s13, s33, v27
	s_and_saveexec_b32 s22, s13
	s_cbranch_execz .LBB572_33
; %bb.32:
	v_lshlrev_b32_e32 v7, 2, v27
	s_delay_alu instid0(VALU_DEP_1) | instskip(NEXT) | instid1(VALU_DEP_1)
	v_add_co_u32 v28, s24, s18, v7
	v_add_co_ci_u32_e64 v29, null, s14, 0, s24
	flat_load_b32 v22, v[28:29]
.LBB572_33:
	s_or_b32 exec_lo, exec_lo, s22
	v_lshlrev_b32_e32 v7, 2, v0
                                        ; implicit-def: $vgpr28
	s_waitcnt vmcnt(0) lgkmcnt(0)
	ds_store_2addr_stride64_b32 v7, v1, v9 offset1:4
	ds_store_2addr_stride64_b32 v7, v10, v11 offset0:8 offset1:12
	ds_store_2addr_stride64_b32 v7, v12, v13 offset0:16 offset1:20
	;; [unrolled: 1-line block ×6, first 2 shown]
	v_mad_u32_u24 v1, v0, 56, v7
	ds_store_b32 v7, v22 offset:14336
	s_waitcnt lgkmcnt(0)
	s_barrier
	buffer_gl0_inv
	ds_load_2addr_b32 v[21:22], v1 offset1:1
	ds_load_2addr_b32 v[19:20], v1 offset0:2 offset1:3
	ds_load_2addr_b32 v[17:18], v1 offset0:4 offset1:5
	;; [unrolled: 1-line block ×6, first 2 shown]
	ds_load_b32 v63, v1 offset:56
	s_waitcnt lgkmcnt(0)
	s_barrier
	buffer_gl0_inv
	s_and_saveexec_b32 s22, vcc_lo
	s_cbranch_execnz .LBB572_57
; %bb.34:
	s_or_b32 exec_lo, exec_lo, s22
                                        ; implicit-def: $vgpr29
	s_and_saveexec_b32 s22, s0
	s_cbranch_execnz .LBB572_58
.LBB572_35:
	s_or_b32 exec_lo, exec_lo, s22
                                        ; implicit-def: $vgpr30
	s_and_saveexec_b32 s0, s1
	s_cbranch_execnz .LBB572_59
.LBB572_36:
	s_or_b32 exec_lo, exec_lo, s0
                                        ; implicit-def: $vgpr31
	s_and_saveexec_b32 s0, s2
	s_cbranch_execnz .LBB572_60
.LBB572_37:
	s_or_b32 exec_lo, exec_lo, s0
                                        ; implicit-def: $vgpr32
	s_and_saveexec_b32 s0, s3
	s_cbranch_execnz .LBB572_61
.LBB572_38:
	s_or_b32 exec_lo, exec_lo, s0
                                        ; implicit-def: $vgpr2
	s_and_saveexec_b32 s0, s4
	s_cbranch_execnz .LBB572_62
.LBB572_39:
	s_or_b32 exec_lo, exec_lo, s0
                                        ; implicit-def: $vgpr3
	s_and_saveexec_b32 s0, s5
	s_cbranch_execnz .LBB572_63
.LBB572_40:
	s_or_b32 exec_lo, exec_lo, s0
                                        ; implicit-def: $vgpr4
	s_and_saveexec_b32 s0, s6
	s_cbranch_execnz .LBB572_64
.LBB572_41:
	s_or_b32 exec_lo, exec_lo, s0
                                        ; implicit-def: $vgpr5
	s_and_saveexec_b32 s0, s7
	s_cbranch_execnz .LBB572_65
.LBB572_42:
	s_or_b32 exec_lo, exec_lo, s0
                                        ; implicit-def: $vgpr6
	s_and_saveexec_b32 s0, s8
	s_cbranch_execnz .LBB572_66
.LBB572_43:
	s_or_b32 exec_lo, exec_lo, s0
                                        ; implicit-def: $vgpr8
	s_and_saveexec_b32 s0, s9
	s_cbranch_execnz .LBB572_67
.LBB572_44:
	s_or_b32 exec_lo, exec_lo, s0
                                        ; implicit-def: $vgpr23
	s_and_saveexec_b32 s0, s10
	s_cbranch_execnz .LBB572_68
.LBB572_45:
	s_or_b32 exec_lo, exec_lo, s0
                                        ; implicit-def: $vgpr24
	s_and_saveexec_b32 s0, s11
	s_cbranch_execnz .LBB572_69
.LBB572_46:
	s_or_b32 exec_lo, exec_lo, s0
                                        ; implicit-def: $vgpr25
	s_and_saveexec_b32 s0, s12
	s_cbranch_execnz .LBB572_70
.LBB572_47:
	s_or_b32 exec_lo, exec_lo, s0
                                        ; implicit-def: $vgpr26
	s_and_saveexec_b32 s0, s13
	s_cbranch_execz .LBB572_49
.LBB572_48:
	v_lshlrev_b32_e32 v26, 2, v27
	s_delay_alu instid0(VALU_DEP_1) | instskip(NEXT) | instid1(VALU_DEP_1)
	v_add_co_u32 v26, s1, s20, v26
	v_add_co_ci_u32_e64 v27, null, s21, 0, s1
	flat_load_b32 v26, v[26:27]
.LBB572_49:
	s_or_b32 exec_lo, exec_lo, s0
	s_waitcnt vmcnt(0) lgkmcnt(0)
	ds_store_2addr_stride64_b32 v7, v28, v29 offset1:4
	ds_store_2addr_stride64_b32 v7, v30, v31 offset0:8 offset1:12
	ds_store_2addr_stride64_b32 v7, v32, v2 offset0:16 offset1:20
	;; [unrolled: 1-line block ×6, first 2 shown]
	ds_store_b32 v7, v26 offset:14336
	s_waitcnt lgkmcnt(0)
	s_barrier
.LBB572_50:
	buffer_gl0_inv
	ds_load_2addr_b32 v[35:36], v1 offset1:1
	ds_load_2addr_b32 v[33:34], v1 offset0:2 offset1:3
	ds_load_2addr_b32 v[31:32], v1 offset0:4 offset1:5
	;; [unrolled: 1-line block ×6, first 2 shown]
	ds_load_b32 v79, v1 offset:56
	s_cmp_eq_u64 s[16:17], 0
	s_waitcnt lgkmcnt(0)
	s_cselect_b32 s40, -1, 0
	s_cmp_lg_u64 s[16:17], 0
	s_barrier
	s_cselect_b32 s20, -1, 0
	s_and_b32 vcc_lo, exec_lo, s19
	buffer_gl0_inv
	s_cbranch_vccz .LBB572_56
; %bb.51:
	s_and_b32 vcc_lo, exec_lo, s20
	s_cbranch_vccz .LBB572_71
; %bb.52:
	v_add_co_u32 v1, s0, -4, s18
	s_delay_alu instid0(VALU_DEP_1)
	v_add_co_ci_u32_e64 v2, null, -1, s14, s0
	v_cmp_ne_u32_e32 vcc_lo, v10, v63
	v_cmp_ne_u32_e64 s0, v9, v10
	v_cmp_ne_u32_e64 s1, v12, v9
	flat_load_b32 v1, v[1:2]
	v_lshlrev_b32_e32 v2, 2, v0
	v_cmp_ne_u32_e64 s2, v11, v12
	v_cmp_ne_u32_e64 s3, v14, v11
	;; [unrolled: 1-line block ×11, first 2 shown]
	s_mov_b32 s41, -1
	s_mov_b32 s19, 0
	s_mov_b32 s21, exec_lo
	ds_store_b32 v2, v63
	s_waitcnt vmcnt(0) lgkmcnt(0)
	s_barrier
	buffer_gl0_inv
	v_cmpx_ne_u32_e32 0, v0
	s_cbranch_execz .LBB572_54
; %bb.53:
	v_add_nc_u32_e32 v1, -4, v2
	ds_load_b32 v1, v1
.LBB572_54:
	s_or_b32 exec_lo, exec_lo, s21
	v_cndmask_b32_e64 v71, 0, 1, vcc_lo
	v_cndmask_b32_e64 v64, 0, 1, s0
	v_cndmask_b32_e64 v65, 0, 1, s1
	;; [unrolled: 1-line block ×13, first 2 shown]
	s_waitcnt lgkmcnt(0)
	v_cmp_ne_u32_e64 s0, v1, v21
	s_and_b32 vcc_lo, exec_lo, s19
	s_cbranch_vccnz .LBB572_72
.LBB572_55:
                                        ; implicit-def: $sgpr1
	s_branch .LBB572_83
.LBB572_56:
	s_mov_b32 s41, 0
                                        ; implicit-def: $sgpr0
                                        ; implicit-def: $vgpr71
                                        ; implicit-def: $vgpr64
                                        ; implicit-def: $vgpr65
                                        ; implicit-def: $vgpr66
                                        ; implicit-def: $vgpr67
                                        ; implicit-def: $vgpr68
                                        ; implicit-def: $vgpr69
                                        ; implicit-def: $vgpr70
                                        ; implicit-def: $vgpr72
                                        ; implicit-def: $vgpr73
                                        ; implicit-def: $vgpr74
                                        ; implicit-def: $vgpr75
                                        ; implicit-def: $vgpr76
                                        ; implicit-def: $vgpr77
                                        ; implicit-def: $sgpr1
	s_cbranch_execnz .LBB572_75
	s_branch .LBB572_83
.LBB572_57:
	v_add_co_u32 v28, s24, s20, v7
	s_delay_alu instid0(VALU_DEP_1)
	v_add_co_ci_u32_e64 v29, null, s21, 0, s24
	flat_load_b32 v28, v[28:29]
	s_or_b32 exec_lo, exec_lo, s22
                                        ; implicit-def: $vgpr29
	s_and_saveexec_b32 s22, s0
	s_cbranch_execz .LBB572_35
.LBB572_58:
	v_add_co_u32 v29, s0, s20, v7
	s_delay_alu instid0(VALU_DEP_1)
	v_add_co_ci_u32_e64 v30, null, s21, 0, s0
	flat_load_b32 v29, v[29:30] offset:1024
	s_or_b32 exec_lo, exec_lo, s22
                                        ; implicit-def: $vgpr30
	s_and_saveexec_b32 s0, s1
	s_cbranch_execz .LBB572_36
.LBB572_59:
	v_add_co_u32 v30, s1, s20, v7
	s_delay_alu instid0(VALU_DEP_1)
	v_add_co_ci_u32_e64 v31, null, s21, 0, s1
	flat_load_b32 v30, v[30:31] offset:2048
	s_or_b32 exec_lo, exec_lo, s0
                                        ; implicit-def: $vgpr31
	s_and_saveexec_b32 s0, s2
	s_cbranch_execz .LBB572_37
.LBB572_60:
	v_add_co_u32 v31, s1, s20, v7
	s_delay_alu instid0(VALU_DEP_1)
	v_add_co_ci_u32_e64 v32, null, s21, 0, s1
	flat_load_b32 v31, v[31:32] offset:3072
	s_or_b32 exec_lo, exec_lo, s0
                                        ; implicit-def: $vgpr32
	s_and_saveexec_b32 s0, s3
	s_cbranch_execz .LBB572_38
.LBB572_61:
	v_lshlrev_b32_e32 v2, 2, v2
	s_delay_alu instid0(VALU_DEP_1) | instskip(NEXT) | instid1(VALU_DEP_1)
	v_add_co_u32 v32, s1, s20, v2
	v_add_co_ci_u32_e64 v33, null, s21, 0, s1
	flat_load_b32 v32, v[32:33]
	s_or_b32 exec_lo, exec_lo, s0
                                        ; implicit-def: $vgpr2
	s_and_saveexec_b32 s0, s4
	s_cbranch_execz .LBB572_39
.LBB572_62:
	v_lshlrev_b32_e32 v2, 2, v3
	s_delay_alu instid0(VALU_DEP_1) | instskip(NEXT) | instid1(VALU_DEP_1)
	v_add_co_u32 v2, s1, s20, v2
	v_add_co_ci_u32_e64 v3, null, s21, 0, s1
	flat_load_b32 v2, v[2:3]
	s_or_b32 exec_lo, exec_lo, s0
                                        ; implicit-def: $vgpr3
	s_and_saveexec_b32 s0, s5
	s_cbranch_execz .LBB572_40
.LBB572_63:
	v_lshlrev_b32_e32 v3, 2, v4
	s_delay_alu instid0(VALU_DEP_1) | instskip(NEXT) | instid1(VALU_DEP_1)
	v_add_co_u32 v3, s1, s20, v3
	v_add_co_ci_u32_e64 v4, null, s21, 0, s1
	flat_load_b32 v3, v[3:4]
	s_or_b32 exec_lo, exec_lo, s0
                                        ; implicit-def: $vgpr4
	s_and_saveexec_b32 s0, s6
	s_cbranch_execz .LBB572_41
.LBB572_64:
	v_lshlrev_b32_e32 v4, 2, v5
	s_delay_alu instid0(VALU_DEP_1) | instskip(NEXT) | instid1(VALU_DEP_1)
	v_add_co_u32 v4, s1, s20, v4
	v_add_co_ci_u32_e64 v5, null, s21, 0, s1
	flat_load_b32 v4, v[4:5]
	s_or_b32 exec_lo, exec_lo, s0
                                        ; implicit-def: $vgpr5
	s_and_saveexec_b32 s0, s7
	s_cbranch_execz .LBB572_42
.LBB572_65:
	v_lshlrev_b32_e32 v5, 2, v6
	s_delay_alu instid0(VALU_DEP_1) | instskip(NEXT) | instid1(VALU_DEP_1)
	v_add_co_u32 v5, s1, s20, v5
	v_add_co_ci_u32_e64 v6, null, s21, 0, s1
	flat_load_b32 v5, v[5:6]
	s_or_b32 exec_lo, exec_lo, s0
                                        ; implicit-def: $vgpr6
	s_and_saveexec_b32 s0, s8
	s_cbranch_execz .LBB572_43
.LBB572_66:
	v_lshlrev_b32_e32 v6, 2, v8
	s_delay_alu instid0(VALU_DEP_1) | instskip(NEXT) | instid1(VALU_DEP_1)
	v_add_co_u32 v33, s1, s20, v6
	v_add_co_ci_u32_e64 v34, null, s21, 0, s1
	flat_load_b32 v6, v[33:34]
	s_or_b32 exec_lo, exec_lo, s0
                                        ; implicit-def: $vgpr8
	s_and_saveexec_b32 s0, s9
	s_cbranch_execz .LBB572_44
.LBB572_67:
	v_lshlrev_b32_e32 v8, 2, v23
	s_delay_alu instid0(VALU_DEP_1) | instskip(NEXT) | instid1(VALU_DEP_1)
	v_add_co_u32 v33, s1, s20, v8
	v_add_co_ci_u32_e64 v34, null, s21, 0, s1
	flat_load_b32 v8, v[33:34]
	s_or_b32 exec_lo, exec_lo, s0
                                        ; implicit-def: $vgpr23
	s_and_saveexec_b32 s0, s10
	s_cbranch_execz .LBB572_45
.LBB572_68:
	v_lshlrev_b32_e32 v23, 2, v24
	s_delay_alu instid0(VALU_DEP_1) | instskip(NEXT) | instid1(VALU_DEP_1)
	v_add_co_u32 v23, s1, s20, v23
	v_add_co_ci_u32_e64 v24, null, s21, 0, s1
	flat_load_b32 v23, v[23:24]
	s_or_b32 exec_lo, exec_lo, s0
                                        ; implicit-def: $vgpr24
	s_and_saveexec_b32 s0, s11
	s_cbranch_execz .LBB572_46
.LBB572_69:
	v_lshlrev_b32_e32 v24, 2, v25
	s_delay_alu instid0(VALU_DEP_1) | instskip(NEXT) | instid1(VALU_DEP_1)
	v_add_co_u32 v24, s1, s20, v24
	v_add_co_ci_u32_e64 v25, null, s21, 0, s1
	flat_load_b32 v24, v[24:25]
	s_or_b32 exec_lo, exec_lo, s0
                                        ; implicit-def: $vgpr25
	s_and_saveexec_b32 s0, s12
	s_cbranch_execz .LBB572_47
.LBB572_70:
	v_lshlrev_b32_e32 v25, 2, v26
	s_delay_alu instid0(VALU_DEP_1) | instskip(NEXT) | instid1(VALU_DEP_1)
	v_add_co_u32 v25, s1, s20, v25
	v_add_co_ci_u32_e64 v26, null, s21, 0, s1
	flat_load_b32 v25, v[25:26]
	s_or_b32 exec_lo, exec_lo, s0
                                        ; implicit-def: $vgpr26
	s_and_saveexec_b32 s0, s13
	s_cbranch_execnz .LBB572_48
	s_branch .LBB572_49
.LBB572_71:
	s_mov_b32 s41, 0
                                        ; implicit-def: $sgpr0
                                        ; implicit-def: $vgpr71
                                        ; implicit-def: $vgpr64
                                        ; implicit-def: $vgpr65
                                        ; implicit-def: $vgpr66
                                        ; implicit-def: $vgpr67
                                        ; implicit-def: $vgpr68
                                        ; implicit-def: $vgpr69
                                        ; implicit-def: $vgpr70
                                        ; implicit-def: $vgpr72
                                        ; implicit-def: $vgpr73
                                        ; implicit-def: $vgpr74
                                        ; implicit-def: $vgpr75
                                        ; implicit-def: $vgpr76
                                        ; implicit-def: $vgpr77
	s_cbranch_execz .LBB572_55
.LBB572_72:
	v_cmp_ne_u32_e32 vcc_lo, v10, v63
	v_lshlrev_b32_e32 v1, 2, v0
	s_mov_b32 s1, exec_lo
                                        ; implicit-def: $sgpr0
	v_cndmask_b32_e64 v71, 0, 1, vcc_lo
	v_cmp_ne_u32_e32 vcc_lo, v9, v10
	ds_store_b32 v1, v63
	s_waitcnt lgkmcnt(0)
	s_barrier
	buffer_gl0_inv
	v_cndmask_b32_e64 v64, 0, 1, vcc_lo
	v_cmp_ne_u32_e32 vcc_lo, v12, v9
	v_cndmask_b32_e64 v65, 0, 1, vcc_lo
	v_cmp_ne_u32_e32 vcc_lo, v11, v12
	;; [unrolled: 2-line block ×12, first 2 shown]
	v_cndmask_b32_e64 v77, 0, 1, vcc_lo
	v_cmpx_ne_u32_e32 0, v0
	s_xor_b32 s1, exec_lo, s1
	s_cbranch_execz .LBB572_74
; %bb.73:
	v_add_nc_u32_e32 v1, -4, v1
	s_or_b32 s41, s41, exec_lo
	ds_load_b32 v1, v1
	s_waitcnt lgkmcnt(0)
	v_cmp_ne_u32_e32 vcc_lo, v1, v21
	s_and_b32 s0, vcc_lo, exec_lo
.LBB572_74:
	s_or_b32 exec_lo, exec_lo, s1
	s_mov_b32 s1, 1
	s_branch .LBB572_83
.LBB572_75:
	s_mul_hi_u32 s0, s16, 0xfffff100
	s_mul_i32 s1, s17, 0xfffff100
	s_sub_i32 s0, s0, s16
	s_mul_i32 s2, s16, 0xfffff100
	s_add_i32 s0, s0, s1
	s_add_u32 s24, s2, s44
	s_addc_u32 s25, s0, s45
	s_and_b32 vcc_lo, exec_lo, s20
	s_cbranch_vccz .LBB572_80
; %bb.76:
	v_add_co_u32 v1, s0, -4, s18
	s_delay_alu instid0(VALU_DEP_1)
	v_add_co_ci_u32_e64 v2, null, -1, s14, s0
	v_cmp_ne_u32_e64 s6, v10, v63
	v_cmp_ne_u32_e64 s8, v9, v10
	v_lshlrev_b32_e32 v4, 2, v0
	flat_load_b32 v5, v[1:2]
	v_mad_u32_u24 v1, v0, 15, 14
	v_mov_b32_e32 v2, 0
	v_mul_u32_u24_e32 v3, 15, v0
	s_mov_b32 s41, -1
	s_mov_b32 s10, 0
	ds_store_b32 v4, v63
	v_cmp_gt_u64_e32 vcc_lo, s[24:25], v[1:2]
	v_mad_u32_u24 v1, v0, 15, 13
	s_waitcnt vmcnt(0) lgkmcnt(0)
	s_barrier
	buffer_gl0_inv
	v_cmp_gt_u64_e64 s0, s[24:25], v[1:2]
	v_mad_u32_u24 v1, v0, 15, 12
	s_and_b32 s11, vcc_lo, s6
	v_cmp_ne_u32_e64 s6, v11, v12
	s_delay_alu instid0(VALU_DEP_2) | instskip(SKIP_4) | instid1(VALU_DEP_3)
	v_cmp_gt_u64_e64 s1, s[24:25], v[1:2]
	v_mad_u32_u24 v1, v0, 15, 11
	s_and_b32 s12, s0, s8
	v_cmp_ne_u32_e64 s0, v12, v9
	v_cmp_ne_u32_e64 s8, v14, v11
	v_cmp_gt_u64_e64 s2, s[24:25], v[1:2]
	v_mad_u32_u24 v1, v0, 15, 10
	s_delay_alu instid0(VALU_DEP_4) | instskip(SKIP_1) | instid1(VALU_DEP_2)
	s_and_b32 s13, s1, s0
	v_cmp_ne_u32_e64 s0, v13, v14
	v_cmp_gt_u64_e64 s3, s[24:25], v[1:2]
	v_mad_u32_u24 v1, v0, 15, 9
	s_and_b32 s14, s2, s6
	v_cmp_ne_u32_e64 s2, v15, v16
	v_cmp_ne_u32_e64 s6, v21, v22
	s_delay_alu instid0(VALU_DEP_3) | instskip(SKIP_3) | instid1(VALU_DEP_2)
	v_cmp_gt_u64_e64 s4, s[24:25], v[1:2]
	v_mad_u32_u24 v1, v0, 15, 8
	s_and_b32 s8, s3, s8
	v_cmp_ne_u32_e64 s3, v18, v15
	v_cmp_gt_u64_e64 s5, s[24:25], v[1:2]
	v_mad_u32_u24 v1, v0, 15, 7
	s_and_b32 s16, s4, s0
	v_cmp_ne_u32_e64 s0, v16, v13
	s_delay_alu instid0(VALU_DEP_2) | instskip(SKIP_1) | instid1(VALU_DEP_3)
	v_cmp_gt_u64_e64 s7, s[24:25], v[1:2]
	v_mad_u32_u24 v1, v0, 15, 6
	s_and_b32 s17, s5, s0
	v_cmp_ne_u32_e64 s0, v17, v18
	s_delay_alu instid0(VALU_DEP_2) | instskip(SKIP_3) | instid1(VALU_DEP_2)
	v_cmp_gt_u64_e32 vcc_lo, s[24:25], v[1:2]
	v_mad_u32_u24 v1, v0, 15, 5
	s_and_b32 s18, s7, s2
	v_cmp_ne_u32_e64 s2, v19, v20
	v_cmp_gt_u64_e64 s9, s[24:25], v[1:2]
	v_mad_u32_u24 v1, v0, 15, 4
	s_and_b32 s7, vcc_lo, s3
	v_cmp_ne_u32_e64 s3, v22, v19
	s_delay_alu instid0(VALU_DEP_2) | instskip(SKIP_3) | instid1(VALU_DEP_2)
	v_cmp_gt_u64_e64 s1, s[24:25], v[1:2]
	v_mad_u32_u24 v1, v0, 15, 3
	s_and_b32 s9, s9, s0
	v_cmp_ne_u32_e64 s0, v20, v17
	v_cmp_gt_u64_e64 s4, s[24:25], v[1:2]
	v_mad_u32_u24 v1, v0, 15, 2
	s_delay_alu instid0(VALU_DEP_3) | instskip(NEXT) | instid1(VALU_DEP_1)
	s_and_b32 s0, s1, s0
	v_cmp_gt_u64_e32 vcc_lo, s[24:25], v[1:2]
	v_mad_u32_u24 v1, v0, 15, 1
	s_delay_alu instid0(VALU_DEP_4) | instskip(SKIP_1) | instid1(VALU_DEP_1)
	s_and_b32 s2, s4, s2
	s_mov_b32 s4, exec_lo
	v_cmp_gt_u64_e64 s5, s[24:25], v[1:2]
	s_and_b32 s1, vcc_lo, s3
	s_delay_alu instid0(VALU_DEP_1)
	s_and_b32 s3, s5, s6
	v_cmpx_ne_u32_e32 0, v0
	s_cbranch_execz .LBB572_78
; %bb.77:
	v_add_nc_u32_e32 v1, -4, v4
	ds_load_b32 v5, v1
.LBB572_78:
	s_or_b32 exec_lo, exec_lo, s4
	v_mov_b32_e32 v4, v2
	v_cndmask_b32_e64 v74, 0, 1, s0
	s_waitcnt lgkmcnt(0)
	v_cmp_ne_u32_e64 s0, v5, v21
	v_cndmask_b32_e64 v71, 0, 1, s11
	v_cndmask_b32_e64 v64, 0, 1, s12
	v_cmp_gt_u64_e32 vcc_lo, s[24:25], v[3:4]
	v_cndmask_b32_e64 v65, 0, 1, s13
	v_cndmask_b32_e64 v66, 0, 1, s14
	;; [unrolled: 1-line block ×11, first 2 shown]
	s_and_b32 s0, vcc_lo, s0
	s_and_b32 vcc_lo, exec_lo, s10
	s_cbranch_vccnz .LBB572_81
.LBB572_79:
                                        ; implicit-def: $sgpr1
	v_mov_b32_e32 v78, s1
	s_and_saveexec_b32 s1, s41
	s_cbranch_execnz .LBB572_84
	s_branch .LBB572_85
.LBB572_80:
                                        ; implicit-def: $sgpr0
                                        ; implicit-def: $vgpr71
                                        ; implicit-def: $vgpr64
                                        ; implicit-def: $vgpr65
                                        ; implicit-def: $vgpr66
                                        ; implicit-def: $vgpr67
                                        ; implicit-def: $vgpr68
                                        ; implicit-def: $vgpr69
                                        ; implicit-def: $vgpr70
                                        ; implicit-def: $vgpr72
                                        ; implicit-def: $vgpr73
                                        ; implicit-def: $vgpr74
                                        ; implicit-def: $vgpr75
                                        ; implicit-def: $vgpr76
                                        ; implicit-def: $vgpr77
	s_cbranch_execz .LBB572_79
.LBB572_81:
	v_mad_u32_u24 v1, v0, 15, 14
	v_dual_mov_b32 v2, 0 :: v_dual_lshlrev_b32 v3, 2, v0
	v_cmp_ne_u32_e64 s5, v9, v10
	v_cmp_ne_u32_e64 s4, v10, v63
	;; [unrolled: 1-line block ×3, first 2 shown]
	s_delay_alu instid0(VALU_DEP_4)
	v_cmp_gt_u64_e32 vcc_lo, s[24:25], v[1:2]
	v_mad_u32_u24 v1, v0, 15, 13
	v_cmp_ne_u32_e64 s8, v11, v12
	v_cmp_ne_u32_e64 s9, v14, v11
	;; [unrolled: 1-line block ×4, first 2 shown]
	v_cmp_gt_u64_e64 s0, s[24:25], v[1:2]
	v_mad_u32_u24 v1, v0, 15, 12
	s_and_b32 s4, vcc_lo, s4
	v_cmp_ne_u32_e64 s13, v15, v16
	v_cmp_ne_u32_e64 s14, v18, v15
	;; [unrolled: 1-line block ×3, first 2 shown]
	v_cmp_gt_u64_e64 s1, s[24:25], v[1:2]
	v_mad_u32_u24 v1, v0, 15, 11
	s_and_b32 s0, s0, s5
	v_cmp_ne_u32_e64 s17, v20, v17
	v_cndmask_b32_e64 v64, 0, 1, s0
	v_cmp_ne_u32_e64 s19, v19, v20
	v_cmp_gt_u64_e64 s2, s[24:25], v[1:2]
	v_mad_u32_u24 v1, v0, 15, 10
	s_and_b32 s0, s1, s6
	v_cmp_ne_u32_e64 s20, v22, v19
	v_cndmask_b32_e64 v65, 0, 1, s0
	v_cmp_ne_u32_e64 s21, v21, v22
	v_cmp_gt_u64_e64 s3, s[24:25], v[1:2]
	v_mad_u32_u24 v1, v0, 15, 9
	s_and_b32 s0, s2, s8
	v_cndmask_b32_e64 v71, 0, 1, s4
	v_cndmask_b32_e64 v66, 0, 1, s0
	ds_store_b32 v3, v63
	v_cmp_gt_u64_e64 s7, s[24:25], v[1:2]
	v_mad_u32_u24 v1, v0, 15, 8
	s_and_b32 s1, s3, s9
	s_waitcnt lgkmcnt(0)
	v_cndmask_b32_e64 v67, 0, 1, s1
	s_barrier
	v_cmp_gt_u64_e64 s12, s[24:25], v[1:2]
	v_mad_u32_u24 v1, v0, 15, 7
	s_and_b32 s1, s7, s10
	buffer_gl0_inv
	v_cndmask_b32_e64 v68, 0, 1, s1
	v_cmp_gt_u64_e64 s18, s[24:25], v[1:2]
	v_mad_u32_u24 v1, v0, 15, 6
	s_and_b32 s2, s12, s11
	s_delay_alu instid0(SALU_CYCLE_1) | instskip(NEXT) | instid1(VALU_DEP_2)
	v_cndmask_b32_e64 v69, 0, 1, s2
	v_cmp_gt_u64_e64 s22, s[24:25], v[1:2]
	v_mad_u32_u24 v1, v0, 15, 5
	s_and_b32 s2, s18, s13
	s_delay_alu instid0(SALU_CYCLE_1) | instskip(NEXT) | instid1(VALU_DEP_2)
	v_cndmask_b32_e64 v70, 0, 1, s2
	v_cmp_gt_u64_e32 vcc_lo, s[24:25], v[1:2]
	v_mad_u32_u24 v1, v0, 15, 4
	s_and_b32 s3, s22, s14
	s_delay_alu instid0(SALU_CYCLE_1) | instskip(NEXT) | instid1(VALU_DEP_2)
	v_cndmask_b32_e64 v72, 0, 1, s3
	v_cmp_gt_u64_e64 s0, s[24:25], v[1:2]
	v_mad_u32_u24 v1, v0, 15, 3
	s_and_b32 s3, vcc_lo, s16
	s_delay_alu instid0(SALU_CYCLE_1) | instskip(NEXT) | instid1(VALU_DEP_2)
	v_cndmask_b32_e64 v73, 0, 1, s3
	v_cmp_gt_u64_e64 s1, s[24:25], v[1:2]
	v_mad_u32_u24 v1, v0, 15, 2
	s_and_b32 s0, s0, s17
	s_delay_alu instid0(SALU_CYCLE_1) | instskip(NEXT) | instid1(VALU_DEP_2)
	v_cndmask_b32_e64 v74, 0, 1, s0
	v_cmp_gt_u64_e64 s2, s[24:25], v[1:2]
	v_mad_u32_u24 v1, v0, 15, 1
	s_and_b32 s0, s1, s19
	s_mov_b32 s1, 1
	v_cndmask_b32_e64 v75, 0, 1, s0
	s_delay_alu instid0(VALU_DEP_2) | instskip(SKIP_4) | instid1(SALU_CYCLE_1)
	v_cmp_gt_u64_e32 vcc_lo, s[24:25], v[1:2]
	s_and_b32 s0, s2, s20
	s_mov_b32 s2, exec_lo
	v_cndmask_b32_e64 v76, 0, 1, s0
	s_and_b32 s0, vcc_lo, s21
	v_cndmask_b32_e64 v77, 0, 1, s0
                                        ; implicit-def: $sgpr0
	v_cmpx_ne_u32_e32 0, v0
	s_cbranch_execz .LBB572_168
; %bb.82:
	v_add_nc_u32_e32 v1, -4, v3
	s_or_b32 s41, s41, exec_lo
	ds_load_b32 v3, v1
	v_mul_u32_u24_e32 v1, 15, v0
	s_delay_alu instid0(VALU_DEP_1) | instskip(SKIP_2) | instid1(VALU_DEP_1)
	v_cmp_gt_u64_e32 vcc_lo, s[24:25], v[1:2]
	s_waitcnt lgkmcnt(0)
	v_cmp_ne_u32_e64 s0, v3, v21
	s_and_b32 s0, vcc_lo, s0
	s_delay_alu instid0(SALU_CYCLE_1)
	s_and_b32 s0, s0, exec_lo
	s_or_b32 exec_lo, exec_lo, s2
.LBB572_83:
	v_mov_b32_e32 v78, s1
	s_and_saveexec_b32 s1, s41
.LBB572_84:
	v_cndmask_b32_e64 v78, 0, 1, s0
.LBB572_85:
	s_or_b32 exec_lo, exec_lo, s1
	s_delay_alu instid0(VALU_DEP_1)
	v_add3_u32 v1, v77, v78, v76
	v_cmp_eq_u32_e64 s12, 0, v77
	v_cmp_eq_u32_e64 s11, 0, v76
	;; [unrolled: 1-line block ×4, first 2 shown]
	v_add3_u32 v84, v1, v75, v74
	v_cmp_eq_u32_e64 s8, 0, v73
	v_cmp_eq_u32_e64 s7, 0, v72
	;; [unrolled: 1-line block ×9, first 2 shown]
	v_cmp_eq_u32_e32 vcc_lo, 0, v71
	v_mbcnt_lo_u32_b32 v81, -1, 0
	v_lshrrev_b32_e32 v82, 5, v0
	v_or_b32_e32 v83, 31, v0
	s_cmp_eq_u64 s[38:39], 0
	s_cselect_b32 s16, -1, 0
	s_cmp_lg_u32 s15, 0
	s_cbranch_scc0 .LBB572_116
; %bb.86:
	v_cndmask_b32_e64 v1, 0, v35, s12
	v_add3_u32 v2, v84, v73, v72
	s_delay_alu instid0(VALU_DEP_2) | instskip(NEXT) | instid1(VALU_DEP_2)
	v_add_nc_u32_e32 v1, v1, v36
	v_add3_u32 v2, v2, v70, v69
	s_delay_alu instid0(VALU_DEP_2) | instskip(NEXT) | instid1(VALU_DEP_2)
	v_cndmask_b32_e64 v1, 0, v1, s11
	v_add3_u32 v2, v2, v68, v67
	s_delay_alu instid0(VALU_DEP_2) | instskip(NEXT) | instid1(VALU_DEP_2)
	v_add_nc_u32_e32 v1, v1, v33
	v_add3_u32 v2, v2, v66, v65
	s_delay_alu instid0(VALU_DEP_2) | instskip(NEXT) | instid1(VALU_DEP_2)
	v_cndmask_b32_e64 v1, 0, v1, s10
	v_add3_u32 v2, v2, v64, v71
	s_delay_alu instid0(VALU_DEP_2) | instskip(NEXT) | instid1(VALU_DEP_2)
	v_add_nc_u32_e32 v1, v1, v34
	v_mov_b32_dpp v5, v2 row_shr:1 row_mask:0xf bank_mask:0xf
	s_delay_alu instid0(VALU_DEP_2) | instskip(NEXT) | instid1(VALU_DEP_1)
	v_cndmask_b32_e64 v1, 0, v1, s9
	v_add_nc_u32_e32 v1, v1, v31
	s_delay_alu instid0(VALU_DEP_1) | instskip(NEXT) | instid1(VALU_DEP_1)
	v_cndmask_b32_e64 v1, 0, v1, s8
	v_add_nc_u32_e32 v1, v1, v32
	s_delay_alu instid0(VALU_DEP_1) | instskip(NEXT) | instid1(VALU_DEP_1)
	;; [unrolled: 3-line block ×9, first 2 shown]
	v_cndmask_b32_e64 v1, 0, v1, s0
	v_add_nc_u32_e32 v1, v1, v24
	s_delay_alu instid0(VALU_DEP_1) | instskip(SKIP_1) | instid1(VALU_DEP_2)
	v_cndmask_b32_e32 v1, 0, v1, vcc_lo
	v_cmp_eq_u32_e32 vcc_lo, 0, v2
	v_add_nc_u32_e32 v1, v1, v79
	s_delay_alu instid0(VALU_DEP_1) | instskip(NEXT) | instid1(VALU_DEP_1)
	v_mov_b32_dpp v3, v1 row_shr:1 row_mask:0xf bank_mask:0xf
	v_dual_cndmask_b32 v3, 0, v3 :: v_dual_and_b32 v4, 15, v81
	s_delay_alu instid0(VALU_DEP_1) | instskip(SKIP_2) | instid1(VALU_DEP_4)
	v_cmp_eq_u32_e32 vcc_lo, 0, v4
	v_cmp_lt_u32_e64 s13, 1, v4
	v_cndmask_b32_e64 v5, v5, 0, vcc_lo
	v_cndmask_b32_e64 v3, v3, 0, vcc_lo
	s_delay_alu instid0(VALU_DEP_2) | instskip(NEXT) | instid1(VALU_DEP_2)
	v_add_nc_u32_e32 v2, v5, v2
	v_add_nc_u32_e32 v1, v3, v1
	s_delay_alu instid0(VALU_DEP_2) | instskip(SKIP_1) | instid1(VALU_DEP_3)
	v_mov_b32_dpp v3, v2 row_shr:2 row_mask:0xf bank_mask:0xf
	v_cmp_eq_u32_e32 vcc_lo, 0, v2
	v_mov_b32_dpp v5, v1 row_shr:2 row_mask:0xf bank_mask:0xf
	s_delay_alu instid0(VALU_DEP_3) | instskip(SKIP_2) | instid1(VALU_DEP_2)
	v_cndmask_b32_e64 v3, 0, v3, s13
	s_and_b32 vcc_lo, s13, vcc_lo
	v_cmp_lt_u32_e64 s13, 3, v4
	v_dual_cndmask_b32 v5, 0, v5 :: v_dual_add_nc_u32 v2, v2, v3
	s_delay_alu instid0(VALU_DEP_1) | instskip(NEXT) | instid1(VALU_DEP_2)
	v_add_nc_u32_e32 v1, v5, v1
	v_mov_b32_dpp v3, v2 row_shr:4 row_mask:0xf bank_mask:0xf
	v_cmp_eq_u32_e32 vcc_lo, 0, v2
	s_delay_alu instid0(VALU_DEP_3) | instskip(NEXT) | instid1(VALU_DEP_3)
	v_mov_b32_dpp v5, v1 row_shr:4 row_mask:0xf bank_mask:0xf
	v_cndmask_b32_e64 v3, 0, v3, s13
	s_and_b32 vcc_lo, s13, vcc_lo
	v_cmp_lt_u32_e64 s13, 7, v4
	s_delay_alu instid0(VALU_DEP_2) | instskip(NEXT) | instid1(VALU_DEP_1)
	v_dual_cndmask_b32 v5, 0, v5 :: v_dual_add_nc_u32 v2, v3, v2
	v_add_nc_u32_e32 v1, v1, v5
	v_bfe_i32 v5, v81, 4, 1
	s_delay_alu instid0(VALU_DEP_3) | instskip(SKIP_1) | instid1(VALU_DEP_4)
	v_cmp_eq_u32_e32 vcc_lo, 0, v2
	v_mov_b32_dpp v3, v2 row_shr:8 row_mask:0xf bank_mask:0xf
	v_mov_b32_dpp v4, v1 row_shr:8 row_mask:0xf bank_mask:0xf
	s_and_b32 vcc_lo, s13, vcc_lo
	s_delay_alu instid0(VALU_DEP_2) | instskip(SKIP_1) | instid1(VALU_DEP_2)
	v_cndmask_b32_e64 v3, 0, v3, s13
	s_mov_b32 s13, exec_lo
	v_cndmask_b32_e32 v4, 0, v4, vcc_lo
	s_delay_alu instid0(VALU_DEP_1) | instskip(NEXT) | instid1(VALU_DEP_3)
	v_add_nc_u32_e32 v4, v4, v1
	v_add_nc_u32_e32 v1, v3, v2
	ds_swizzle_b32 v2, v4 offset:swizzle(BROADCAST,32,15)
	ds_swizzle_b32 v3, v1 offset:swizzle(BROADCAST,32,15)
	v_cmp_eq_u32_e32 vcc_lo, 0, v1
	s_waitcnt lgkmcnt(0)
	v_dual_cndmask_b32 v2, 0, v2 :: v_dual_and_b32 v3, v5, v3
	s_delay_alu instid0(VALU_DEP_1) | instskip(NEXT) | instid1(VALU_DEP_2)
	v_and_b32_e32 v2, v5, v2
	v_add_nc_u32_e32 v1, v3, v1
	v_lshlrev_b32_e32 v3, 3, v82
	s_delay_alu instid0(VALU_DEP_3)
	v_add_nc_u32_e32 v2, v2, v4
	v_cmpx_eq_u32_e64 v83, v0
	s_cbranch_execz .LBB572_88
; %bb.87:
	ds_store_b64 v3, v[1:2] offset:2064
.LBB572_88:
	s_or_b32 exec_lo, exec_lo, s13
	s_delay_alu instid0(SALU_CYCLE_1)
	s_mov_b32 s14, exec_lo
	s_waitcnt lgkmcnt(0)
	s_barrier
	buffer_gl0_inv
	v_cmpx_gt_u32_e32 8, v0
	s_cbranch_execz .LBB572_90
; %bb.89:
	v_lshlrev_b32_e32 v6, 3, v0
	v_and_b32_e32 v8, 7, v81
	ds_load_b64 v[4:5], v6 offset:2064
	v_cmp_lt_u32_e64 s13, 1, v8
	s_waitcnt lgkmcnt(0)
	v_mov_b32_dpp v7, v5 row_shr:1 row_mask:0xf bank_mask:0xf
	v_cmp_eq_u32_e32 vcc_lo, 0, v4
	v_mov_b32_dpp v37, v4 row_shr:1 row_mask:0xf bank_mask:0xf
	s_delay_alu instid0(VALU_DEP_3) | instskip(SKIP_1) | instid1(VALU_DEP_3)
	v_cndmask_b32_e32 v7, 0, v7, vcc_lo
	v_cmp_eq_u32_e32 vcc_lo, 0, v8
	v_cndmask_b32_e64 v37, v37, 0, vcc_lo
	s_delay_alu instid0(VALU_DEP_3) | instskip(NEXT) | instid1(VALU_DEP_2)
	v_cndmask_b32_e64 v7, v7, 0, vcc_lo
	v_add_nc_u32_e32 v4, v37, v4
	s_delay_alu instid0(VALU_DEP_2) | instskip(NEXT) | instid1(VALU_DEP_2)
	v_add_nc_u32_e32 v5, v7, v5
	v_cmp_eq_u32_e32 vcc_lo, 0, v4
	s_delay_alu instid0(VALU_DEP_2) | instskip(SKIP_1) | instid1(VALU_DEP_1)
	v_mov_b32_dpp v37, v5 row_shr:2 row_mask:0xf bank_mask:0xf
	s_and_b32 vcc_lo, s13, vcc_lo
	v_cndmask_b32_e32 v37, 0, v37, vcc_lo
	v_mov_b32_dpp v7, v4 row_shr:2 row_mask:0xf bank_mask:0xf
	s_delay_alu instid0(VALU_DEP_2) | instskip(NEXT) | instid1(VALU_DEP_2)
	v_add_nc_u32_e32 v5, v37, v5
	v_cndmask_b32_e64 v7, 0, v7, s13
	v_cmp_lt_u32_e64 s13, 3, v8
	s_delay_alu instid0(VALU_DEP_3) | instskip(NEXT) | instid1(VALU_DEP_3)
	v_mov_b32_dpp v8, v5 row_shr:4 row_mask:0xf bank_mask:0xf
	v_add_nc_u32_e32 v4, v7, v4
	s_delay_alu instid0(VALU_DEP_1) | instskip(SKIP_2) | instid1(VALU_DEP_1)
	v_cmp_eq_u32_e32 vcc_lo, 0, v4
	v_mov_b32_dpp v7, v4 row_shr:4 row_mask:0xf bank_mask:0xf
	s_and_b32 vcc_lo, s13, vcc_lo
	v_cndmask_b32_e64 v7, 0, v7, s13
	v_cndmask_b32_e32 v8, 0, v8, vcc_lo
	s_delay_alu instid0(VALU_DEP_2) | instskip(NEXT) | instid1(VALU_DEP_2)
	v_add_nc_u32_e32 v4, v7, v4
	v_add_nc_u32_e32 v5, v8, v5
	ds_store_b64 v6, v[4:5] offset:2064
.LBB572_90:
	s_or_b32 exec_lo, exec_lo, s14
	v_cmp_gt_u32_e32 vcc_lo, 32, v0
	v_dual_mov_b32 v37, 0 :: v_dual_mov_b32 v38, 0
	s_mov_b32 s14, exec_lo
	s_waitcnt lgkmcnt(0)
	s_barrier
	buffer_gl0_inv
	v_cmpx_lt_u32_e32 31, v0
	s_cbranch_execz .LBB572_92
; %bb.91:
	ds_load_b64 v[37:38], v3 offset:2056
	v_cmp_eq_u32_e64 s13, 0, v1
	s_waitcnt lgkmcnt(0)
	s_delay_alu instid0(VALU_DEP_1) | instskip(SKIP_1) | instid1(VALU_DEP_2)
	v_cndmask_b32_e64 v3, 0, v38, s13
	v_add_nc_u32_e32 v1, v37, v1
	v_add_nc_u32_e32 v2, v3, v2
.LBB572_92:
	s_or_b32 exec_lo, exec_lo, s14
	v_add_nc_u32_e32 v3, -1, v81
	s_delay_alu instid0(VALU_DEP_1) | instskip(NEXT) | instid1(VALU_DEP_1)
	v_cmp_gt_i32_e64 s13, 0, v3
	v_cndmask_b32_e64 v3, v3, v81, s13
	v_cmp_eq_u32_e64 s13, 0, v81
	s_delay_alu instid0(VALU_DEP_2)
	v_lshlrev_b32_e32 v3, 2, v3
	ds_bpermute_b32 v43, v3, v1
	ds_bpermute_b32 v44, v3, v2
	s_and_saveexec_b32 s17, vcc_lo
	s_cbranch_execz .LBB572_115
; %bb.93:
	v_mov_b32_e32 v4, 0
	ds_load_b64 v[1:2], v4 offset:2120
	s_waitcnt lgkmcnt(0)
	v_readfirstlane_b32 s18, v2
	s_and_saveexec_b32 s14, s13
	s_cbranch_execz .LBB572_95
; %bb.94:
	s_add_i32 s20, s15, 32
	s_mov_b32 s21, 0
	v_mov_b32_e32 v3, 1
	s_lshl_b64 s[24:25], s[20:21], 4
	s_mov_b32 s38, s21
	s_add_u32 s24, s36, s24
	s_addc_u32 s25, s37, s25
	s_and_b32 s39, s18, 0xff000000
	s_and_b32 s43, s18, 0xff0000
	s_mov_b32 s42, s21
	v_dual_mov_b32 v5, s24 :: v_dual_mov_b32 v6, s25
	s_or_b64 s[38:39], s[42:43], s[38:39]
	s_and_b32 s43, s18, 0xff00
	s_delay_alu instid0(SALU_CYCLE_1) | instskip(SKIP_1) | instid1(SALU_CYCLE_1)
	s_or_b64 s[38:39], s[38:39], s[42:43]
	s_and_b32 s43, s18, 0xff
	s_or_b64 s[20:21], s[38:39], s[42:43]
	s_delay_alu instid0(SALU_CYCLE_1)
	v_mov_b32_e32 v2, s21
	;;#ASMSTART
	global_store_dwordx4 v[5:6], v[1:4] off	
s_waitcnt vmcnt(0)
	;;#ASMEND
.LBB572_95:
	s_or_b32 exec_lo, exec_lo, s14
	v_xad_u32 v39, v81, -1, s15
	s_mov_b32 s19, 0
	s_mov_b32 s14, exec_lo
	s_delay_alu instid0(VALU_DEP_1) | instskip(NEXT) | instid1(VALU_DEP_1)
	v_add_nc_u32_e32 v3, 32, v39
	v_lshlrev_b64 v[2:3], 4, v[3:4]
	s_delay_alu instid0(VALU_DEP_1) | instskip(NEXT) | instid1(VALU_DEP_2)
	v_add_co_u32 v2, vcc_lo, s36, v2
	v_add_co_ci_u32_e32 v3, vcc_lo, s37, v3, vcc_lo
	;;#ASMSTART
	global_load_dwordx4 v[5:8], v[2:3] off glc	
s_waitcnt vmcnt(0)
	;;#ASMEND
	v_and_b32_e32 v4, 0xff, v6
	v_and_b32_e32 v8, 0xff00, v6
	;; [unrolled: 1-line block ×3, first 2 shown]
	v_or3_b32 v5, v5, 0, 0
	v_and_b32_e32 v6, 0xff000000, v6
	s_delay_alu instid0(VALU_DEP_4) | instskip(SKIP_1) | instid1(VALU_DEP_4)
	v_or3_b32 v4, 0, v4, v8
	v_and_b32_e32 v8, 0xff, v7
	v_or3_b32 v5, v5, 0, 0
	s_delay_alu instid0(VALU_DEP_3) | instskip(NEXT) | instid1(VALU_DEP_3)
	v_or3_b32 v6, v4, v40, v6
	v_cmpx_eq_u16_e32 0, v8
	s_cbranch_execz .LBB572_101
; %bb.96:
	s_mov_b32 s20, 1
	.p2align	6
.LBB572_97:                             ; =>This Loop Header: Depth=1
                                        ;     Child Loop BB572_98 Depth 2
	s_delay_alu instid0(SALU_CYCLE_1)
	s_max_u32 s21, s20, 1
.LBB572_98:                             ;   Parent Loop BB572_97 Depth=1
                                        ; =>  This Inner Loop Header: Depth=2
	s_delay_alu instid0(SALU_CYCLE_1)
	s_add_i32 s21, s21, -1
	s_sleep 1
	s_cmp_eq_u32 s21, 0
	s_cbranch_scc0 .LBB572_98
; %bb.99:                               ;   in Loop: Header=BB572_97 Depth=1
	;;#ASMSTART
	global_load_dwordx4 v[5:8], v[2:3] off glc	
s_waitcnt vmcnt(0)
	;;#ASMEND
	v_and_b32_e32 v4, 0xff, v7
	s_cmp_lt_u32 s20, 32
	s_cselect_b32 s21, -1, 0
	s_delay_alu instid0(VALU_DEP_1) | instskip(SKIP_3) | instid1(SALU_CYCLE_1)
	v_cmp_ne_u16_e32 vcc_lo, 0, v4
	s_cmp_lg_u32 s21, 0
	s_addc_u32 s20, s20, 0
	s_or_b32 s19, vcc_lo, s19
	s_and_not1_b32 exec_lo, exec_lo, s19
	s_cbranch_execnz .LBB572_97
; %bb.100:
	s_or_b32 exec_lo, exec_lo, s19
.LBB572_101:
	s_delay_alu instid0(SALU_CYCLE_1)
	s_or_b32 exec_lo, exec_lo, s14
	v_cmp_ne_u32_e32 vcc_lo, 31, v81
	v_and_b32_e32 v3, 0xff, v7
	v_lshlrev_b32_e64 v45, v81, -1
	v_add_nc_u32_e32 v47, 2, v81
	v_add_nc_u32_e32 v49, 4, v81
	v_add_co_ci_u32_e32 v2, vcc_lo, 0, v81, vcc_lo
	v_cmp_eq_u16_e32 vcc_lo, 2, v3
	v_add_nc_u32_e32 v51, 8, v81
	v_add_nc_u32_e32 v53, 16, v81
	v_and_or_b32 v8, vcc_lo, v45, 0x80000000
	v_cmp_gt_u32_e32 vcc_lo, 30, v81
	s_delay_alu instid0(VALU_DEP_2) | instskip(SKIP_2) | instid1(VALU_DEP_3)
	v_ctz_i32_b32_e32 v8, v8
	v_cndmask_b32_e64 v40, 0, 1, vcc_lo
	v_cmp_eq_u32_e32 vcc_lo, 0, v5
	v_cmp_lt_u32_e64 s14, v81, v8
	s_delay_alu instid0(VALU_DEP_3) | instskip(NEXT) | instid1(VALU_DEP_2)
	v_lshlrev_b32_e32 v40, 1, v40
	s_and_b32 vcc_lo, s14, vcc_lo
	v_lshlrev_b32_e32 v2, 2, v2
	s_delay_alu instid0(VALU_DEP_2)
	v_add_lshl_u32 v46, v40, v81, 2
	ds_bpermute_b32 v3, v2, v6
	s_waitcnt lgkmcnt(0)
	v_cndmask_b32_e32 v3, 0, v3, vcc_lo
	ds_bpermute_b32 v4, v2, v5
	v_cmp_gt_u32_e32 vcc_lo, 28, v81
	v_add_nc_u32_e32 v3, v3, v6
	ds_bpermute_b32 v6, v46, v3
	s_waitcnt lgkmcnt(1)
	v_cndmask_b32_e64 v4, 0, v4, s14
	s_delay_alu instid0(VALU_DEP_1) | instskip(SKIP_1) | instid1(VALU_DEP_2)
	v_add_nc_u32_e32 v4, v4, v5
	v_cndmask_b32_e64 v5, 0, 1, vcc_lo
	v_cmp_eq_u32_e32 vcc_lo, 0, v4
	ds_bpermute_b32 v40, v46, v4
	s_waitcnt lgkmcnt(1)
	v_dual_cndmask_b32 v6, 0, v6 :: v_dual_lshlrev_b32 v5, 2, v5
	v_cmp_gt_u32_e32 vcc_lo, v47, v8
	s_delay_alu instid0(VALU_DEP_2) | instskip(NEXT) | instid1(VALU_DEP_3)
	v_add_lshl_u32 v48, v5, v81, 2
	v_cndmask_b32_e64 v6, v6, 0, vcc_lo
	s_delay_alu instid0(VALU_DEP_1) | instskip(SKIP_4) | instid1(VALU_DEP_2)
	v_add_nc_u32_e32 v3, v6, v3
	ds_bpermute_b32 v5, v48, v3
	s_waitcnt lgkmcnt(1)
	v_cndmask_b32_e64 v6, v40, 0, vcc_lo
	v_cmp_gt_u32_e32 vcc_lo, 24, v81
	v_add_nc_u32_e32 v4, v4, v6
	v_cndmask_b32_e64 v40, 0, 1, vcc_lo
	ds_bpermute_b32 v6, v48, v4
	v_cmp_eq_u32_e32 vcc_lo, 0, v4
	v_lshlrev_b32_e32 v40, 3, v40
	s_delay_alu instid0(VALU_DEP_1) | instskip(SKIP_3) | instid1(VALU_DEP_2)
	v_add_lshl_u32 v50, v40, v81, 2
	s_waitcnt lgkmcnt(1)
	v_cndmask_b32_e32 v5, 0, v5, vcc_lo
	v_cmp_gt_u32_e32 vcc_lo, v49, v8
	v_cndmask_b32_e64 v5, v5, 0, vcc_lo
	s_delay_alu instid0(VALU_DEP_1)
	v_add_nc_u32_e32 v3, v3, v5
	s_waitcnt lgkmcnt(0)
	v_cndmask_b32_e64 v6, v6, 0, vcc_lo
	v_cmp_gt_u32_e32 vcc_lo, 16, v81
	ds_bpermute_b32 v5, v50, v3
	v_add_nc_u32_e32 v4, v4, v6
	v_cndmask_b32_e64 v40, 0, 1, vcc_lo
	ds_bpermute_b32 v6, v50, v4
	v_cmp_eq_u32_e32 vcc_lo, 0, v4
	v_lshlrev_b32_e32 v40, 4, v40
	s_delay_alu instid0(VALU_DEP_1) | instskip(SKIP_3) | instid1(VALU_DEP_2)
	v_add_lshl_u32 v52, v40, v81, 2
	s_waitcnt lgkmcnt(1)
	v_dual_mov_b32 v40, 0 :: v_dual_cndmask_b32 v5, 0, v5
	v_cmp_gt_u32_e32 vcc_lo, v51, v8
	v_cndmask_b32_e64 v5, v5, 0, vcc_lo
	s_delay_alu instid0(VALU_DEP_1)
	v_add_nc_u32_e32 v3, v3, v5
	s_waitcnt lgkmcnt(0)
	v_cndmask_b32_e64 v5, v6, 0, vcc_lo
	ds_bpermute_b32 v6, v52, v3
	v_add_nc_u32_e32 v4, v4, v5
	ds_bpermute_b32 v5, v52, v4
	v_cmp_eq_u32_e32 vcc_lo, 0, v4
	s_waitcnt lgkmcnt(1)
	v_cndmask_b32_e32 v6, 0, v6, vcc_lo
	v_cmp_gt_u32_e32 vcc_lo, v53, v8
	s_delay_alu instid0(VALU_DEP_2) | instskip(SKIP_2) | instid1(VALU_DEP_2)
	v_cndmask_b32_e64 v6, v6, 0, vcc_lo
	s_waitcnt lgkmcnt(0)
	v_cndmask_b32_e64 v5, v5, 0, vcc_lo
	v_add_nc_u32_e32 v6, v6, v3
	s_delay_alu instid0(VALU_DEP_2)
	v_add_nc_u32_e32 v5, v5, v4
	s_branch .LBB572_103
.LBB572_102:                            ;   in Loop: Header=BB572_103 Depth=1
	s_or_b32 exec_lo, exec_lo, s14
	v_and_b32_e32 v8, 0xff, v7
	ds_bpermute_b32 v41, v2, v5
	v_subrev_nc_u32_e32 v39, 32, v39
	v_cmp_eq_u16_e32 vcc_lo, 2, v8
	ds_bpermute_b32 v8, v2, v6
	v_and_or_b32 v42, vcc_lo, v45, 0x80000000
	v_cmp_eq_u32_e32 vcc_lo, 0, v5
	s_delay_alu instid0(VALU_DEP_2) | instskip(NEXT) | instid1(VALU_DEP_1)
	v_ctz_i32_b32_e32 v42, v42
	v_cmp_lt_u32_e64 s14, v81, v42
	s_delay_alu instid0(VALU_DEP_1) | instskip(SKIP_4) | instid1(VALU_DEP_2)
	s_and_b32 vcc_lo, s14, vcc_lo
	s_waitcnt lgkmcnt(1)
	v_cndmask_b32_e64 v41, 0, v41, s14
	s_waitcnt lgkmcnt(0)
	v_cndmask_b32_e32 v8, 0, v8, vcc_lo
	v_add_nc_u32_e32 v5, v41, v5
	s_delay_alu instid0(VALU_DEP_2)
	v_add_nc_u32_e32 v6, v8, v6
	ds_bpermute_b32 v41, v46, v5
	ds_bpermute_b32 v8, v46, v6
	v_cmp_eq_u32_e32 vcc_lo, 0, v5
	s_waitcnt lgkmcnt(0)
	v_cndmask_b32_e32 v8, 0, v8, vcc_lo
	v_cmp_gt_u32_e32 vcc_lo, v47, v42
	v_cndmask_b32_e64 v41, v41, 0, vcc_lo
	s_delay_alu instid0(VALU_DEP_1) | instskip(NEXT) | instid1(VALU_DEP_4)
	v_add_nc_u32_e32 v5, v5, v41
	v_cndmask_b32_e64 v8, v8, 0, vcc_lo
	ds_bpermute_b32 v41, v48, v5
	v_add_nc_u32_e32 v6, v8, v6
	v_cmp_eq_u32_e32 vcc_lo, 0, v5
	ds_bpermute_b32 v8, v48, v6
	s_waitcnt lgkmcnt(0)
	v_cndmask_b32_e32 v8, 0, v8, vcc_lo
	v_cmp_gt_u32_e32 vcc_lo, v49, v42
	v_cndmask_b32_e64 v41, v41, 0, vcc_lo
	s_delay_alu instid0(VALU_DEP_1) | instskip(NEXT) | instid1(VALU_DEP_4)
	v_add_nc_u32_e32 v5, v5, v41
	v_cndmask_b32_e64 v8, v8, 0, vcc_lo
	ds_bpermute_b32 v41, v50, v5
	v_add_nc_u32_e32 v6, v6, v8
	v_cmp_eq_u32_e32 vcc_lo, 0, v5
	ds_bpermute_b32 v8, v50, v6
	;; [unrolled: 11-line block ×3, first 2 shown]
	s_waitcnt lgkmcnt(0)
	v_cndmask_b32_e32 v8, 0, v8, vcc_lo
	v_cmp_gt_u32_e32 vcc_lo, v53, v42
	s_delay_alu instid0(VALU_DEP_2) | instskip(NEXT) | instid1(VALU_DEP_1)
	v_cndmask_b32_e64 v8, v8, 0, vcc_lo
	v_add_nc_u32_e32 v6, v8, v6
	v_cndmask_b32_e64 v8, v41, 0, vcc_lo
	v_cmp_eq_u32_e32 vcc_lo, 0, v3
	s_delay_alu instid0(VALU_DEP_2) | instskip(NEXT) | instid1(VALU_DEP_4)
	v_add3_u32 v5, v5, v3, v8
	v_cndmask_b32_e32 v6, 0, v6, vcc_lo
	s_delay_alu instid0(VALU_DEP_1)
	v_add_nc_u32_e32 v6, v6, v4
.LBB572_103:                            ; =>This Loop Header: Depth=1
                                        ;     Child Loop BB572_106 Depth 2
                                        ;       Child Loop BB572_107 Depth 3
	s_delay_alu instid0(VALU_DEP_1) | instskip(NEXT) | instid1(VALU_DEP_1)
	v_dual_mov_b32 v4, v6 :: v_dual_and_b32 v3, 0xff, v7
	v_cmp_ne_u16_e32 vcc_lo, 2, v3
	v_cndmask_b32_e64 v3, 0, 1, vcc_lo
	;;#ASMSTART
	;;#ASMEND
	s_delay_alu instid0(VALU_DEP_1)
	v_cmp_ne_u32_e32 vcc_lo, 0, v3
	v_mov_b32_e32 v3, v5
	s_cmp_lg_u32 vcc_lo, exec_lo
	s_cbranch_scc1 .LBB572_110
; %bb.104:                              ;   in Loop: Header=BB572_103 Depth=1
	v_lshlrev_b64 v[5:6], 4, v[39:40]
	s_mov_b32 s14, exec_lo
	s_delay_alu instid0(VALU_DEP_1) | instskip(NEXT) | instid1(VALU_DEP_2)
	v_add_co_u32 v41, vcc_lo, s36, v5
	v_add_co_ci_u32_e32 v42, vcc_lo, s37, v6, vcc_lo
	;;#ASMSTART
	global_load_dwordx4 v[5:8], v[41:42] off glc	
s_waitcnt vmcnt(0)
	;;#ASMEND
	v_and_b32_e32 v8, 0xff, v6
	v_and_b32_e32 v54, 0xff00, v6
	;; [unrolled: 1-line block ×3, first 2 shown]
	v_or3_b32 v5, v5, 0, 0
	v_and_b32_e32 v6, 0xff000000, v6
	s_delay_alu instid0(VALU_DEP_4) | instskip(SKIP_1) | instid1(VALU_DEP_4)
	v_or3_b32 v8, 0, v8, v54
	v_and_b32_e32 v54, 0xff, v7
	v_or3_b32 v5, v5, 0, 0
	s_delay_alu instid0(VALU_DEP_3) | instskip(NEXT) | instid1(VALU_DEP_3)
	v_or3_b32 v6, v8, v55, v6
	v_cmpx_eq_u16_e32 0, v54
	s_cbranch_execz .LBB572_102
; %bb.105:                              ;   in Loop: Header=BB572_103 Depth=1
	s_mov_b32 s20, 1
	s_mov_b32 s19, 0
	.p2align	6
.LBB572_106:                            ;   Parent Loop BB572_103 Depth=1
                                        ; =>  This Loop Header: Depth=2
                                        ;       Child Loop BB572_107 Depth 3
	s_max_u32 s21, s20, 1
.LBB572_107:                            ;   Parent Loop BB572_103 Depth=1
                                        ;     Parent Loop BB572_106 Depth=2
                                        ; =>    This Inner Loop Header: Depth=3
	s_delay_alu instid0(SALU_CYCLE_1)
	s_add_i32 s21, s21, -1
	s_sleep 1
	s_cmp_eq_u32 s21, 0
	s_cbranch_scc0 .LBB572_107
; %bb.108:                              ;   in Loop: Header=BB572_106 Depth=2
	;;#ASMSTART
	global_load_dwordx4 v[5:8], v[41:42] off glc	
s_waitcnt vmcnt(0)
	;;#ASMEND
	v_and_b32_e32 v8, 0xff, v7
	s_cmp_lt_u32 s20, 32
	s_cselect_b32 s21, -1, 0
	s_delay_alu instid0(SALU_CYCLE_1) | instskip(NEXT) | instid1(VALU_DEP_1)
	s_cmp_lg_u32 s21, 0
	v_cmp_ne_u16_e32 vcc_lo, 0, v8
	s_addc_u32 s20, s20, 0
	s_or_b32 s19, vcc_lo, s19
	s_delay_alu instid0(SALU_CYCLE_1)
	s_and_not1_b32 exec_lo, exec_lo, s19
	s_cbranch_execnz .LBB572_106
; %bb.109:                              ;   in Loop: Header=BB572_103 Depth=1
	s_or_b32 exec_lo, exec_lo, s19
	s_branch .LBB572_102
.LBB572_110:                            ;   in Loop: Header=BB572_103 Depth=1
                                        ; implicit-def: $vgpr6
                                        ; implicit-def: $vgpr5
                                        ; implicit-def: $vgpr7
	s_cbranch_execz .LBB572_103
; %bb.111:
	s_and_saveexec_b32 s14, s13
	s_cbranch_execz .LBB572_113
; %bb.112:
	v_cmp_eq_u32_e32 vcc_lo, 0, v1
	s_mov_b32 s21, 0
	s_add_i32 s20, s15, 32
	v_add_nc_u32_e32 v5, v3, v1
	s_lshl_b64 s[20:21], s[20:21], 4
	v_cndmask_b32_e32 v2, 0, v4, vcc_lo
	s_add_u32 s20, s36, s20
	s_addc_u32 s21, s37, s21
	v_mov_b32_e32 v8, 0
	s_delay_alu instid0(VALU_DEP_2) | instskip(NEXT) | instid1(VALU_DEP_1)
	v_add_nc_u32_e32 v2, s18, v2
	v_and_b32_e32 v6, 0xff000000, v2
	v_and_b32_e32 v7, 0xff0000, v2
	s_delay_alu instid0(VALU_DEP_1) | instskip(SKIP_3) | instid1(VALU_DEP_1)
	v_or_b32_e32 v6, v7, v6
	v_mov_b32_e32 v7, 2
	v_and_b32_e32 v39, 0xff00, v2
	v_and_b32_e32 v2, 0xff, v2
	v_or3_b32 v6, v6, v39, v2
	v_mov_b32_e32 v2, s18
	v_dual_mov_b32 v40, s21 :: v_dual_mov_b32 v39, s20
	;;#ASMSTART
	global_store_dwordx4 v[39:40], v[5:8] off	
s_waitcnt vmcnt(0)
	;;#ASMEND
	ds_store_b128 v8, v[1:4] offset:2048
.LBB572_113:
	s_or_b32 exec_lo, exec_lo, s14
	v_cmp_eq_u32_e32 vcc_lo, 0, v0
	s_and_b32 exec_lo, exec_lo, vcc_lo
	s_cbranch_execz .LBB572_115
; %bb.114:
	v_mov_b32_e32 v1, 0
	ds_store_b64 v1, v[3:4] offset:2120
.LBB572_115:
	s_or_b32 exec_lo, exec_lo, s17
	s_waitcnt lgkmcnt(1)
	v_cndmask_b32_e64 v4, v43, v37, s13
	s_waitcnt lgkmcnt(0)
	s_barrier
	buffer_gl0_inv
	v_cndmask_b32_e64 v5, v44, v38, s13
	v_cmp_eq_u32_e32 vcc_lo, 0, v4
	v_mov_b32_e32 v3, 0
	v_cmp_eq_u32_e64 s13, 0, v78
	ds_load_b64 v[1:2], v3 offset:2120
	s_waitcnt lgkmcnt(0)
	s_barrier
	buffer_gl0_inv
	v_cndmask_b32_e32 v6, 0, v2, vcc_lo
	v_cmp_eq_u32_e32 vcc_lo, 0, v0
	s_delay_alu instid0(VALU_DEP_2) | instskip(NEXT) | instid1(VALU_DEP_1)
	v_add_nc_u32_e32 v5, v6, v5
	v_cndmask_b32_e32 v54, v5, v2, vcc_lo
	s_delay_alu instid0(VALU_DEP_1) | instskip(NEXT) | instid1(VALU_DEP_1)
	v_cndmask_b32_e64 v2, 0, v54, s13
	v_add_nc_u32_e32 v60, v2, v35
	s_delay_alu instid0(VALU_DEP_1) | instskip(NEXT) | instid1(VALU_DEP_1)
	v_cndmask_b32_e64 v2, 0, v60, s12
	v_add_nc_u32_e32 v56, v2, v36
	;; [unrolled: 3-line block ×6, first 2 shown]
	v_cndmask_b32_e64 v2, v4, 0, vcc_lo
	s_delay_alu instid0(VALU_DEP_2) | instskip(NEXT) | instid1(VALU_DEP_2)
	v_cndmask_b32_e64 v4, 0, v40, s7
	v_add_nc_u32_e32 v53, v1, v2
	s_delay_alu instid0(VALU_DEP_2) | instskip(NEXT) | instid1(VALU_DEP_2)
	v_add_nc_u32_e32 v44, v4, v29
	v_add_nc_u32_e32 v59, v53, v78
	s_delay_alu instid0(VALU_DEP_2) | instskip(NEXT) | instid1(VALU_DEP_2)
	v_cndmask_b32_e64 v1, 0, v44, s6
	v_add_nc_u32_e32 v55, v59, v77
	s_delay_alu instid0(VALU_DEP_2) | instskip(NEXT) | instid1(VALU_DEP_2)
	v_add_nc_u32_e32 v48, v1, v30
	v_add_nc_u32_e32 v51, v55, v76
	;; [unrolled: 6-line block ×4, first 2 shown]
	s_delay_alu instid0(VALU_DEP_2) | instskip(NEXT) | instid1(VALU_DEP_2)
	v_cndmask_b32_e64 v1, 0, v8, s3
	v_add_nc_u32_e32 v47, v43, v70
	s_delay_alu instid0(VALU_DEP_2) | instskip(SKIP_3) | instid1(VALU_DEP_2)
	v_add_nc_u32_e32 v38, v1, v25
	ds_load_b128 v[1:4], v3 offset:2048
	v_add_nc_u32_e32 v5, v47, v69
	v_cndmask_b32_e64 v37, 0, v38, s2
	v_add_nc_u32_e32 v7, v5, v68
	s_delay_alu instid0(VALU_DEP_2) | instskip(NEXT) | instid1(VALU_DEP_2)
	v_add_nc_u32_e32 v62, v37, v26
	v_add_nc_u32_e32 v37, v7, v67
	s_delay_alu instid0(VALU_DEP_2) | instskip(NEXT) | instid1(VALU_DEP_2)
	v_cndmask_b32_e64 v49, 0, v62, s1
	v_add_nc_u32_e32 v61, v37, v66
	s_delay_alu instid0(VALU_DEP_2) | instskip(SKIP_2) | instid1(VALU_DEP_3)
	v_add_nc_u32_e32 v58, v49, v23
	s_waitcnt lgkmcnt(0)
	v_cmp_eq_u32_e32 vcc_lo, 0, v1
	v_add_nc_u32_e32 v57, v61, v65
	s_delay_alu instid0(VALU_DEP_3) | instskip(SKIP_1) | instid1(VALU_DEP_3)
	v_cndmask_b32_e64 v50, 0, v58, s0
	v_cndmask_b32_e32 v4, 0, v4, vcc_lo
	v_add_nc_u32_e32 v49, v57, v64
	s_delay_alu instid0(VALU_DEP_3) | instskip(NEXT) | instid1(VALU_DEP_3)
	v_add_nc_u32_e32 v50, v50, v24
	v_add_nc_u32_e32 v80, v4, v2
	s_branch .LBB572_128
.LBB572_116:
                                        ; implicit-def: $vgpr1
                                        ; implicit-def: $vgpr80
                                        ; implicit-def: $vgpr53_vgpr54
                                        ; implicit-def: $vgpr59_vgpr60
                                        ; implicit-def: $vgpr55_vgpr56
                                        ; implicit-def: $vgpr51_vgpr52
                                        ; implicit-def: $vgpr45_vgpr46
                                        ; implicit-def: $vgpr41_vgpr42
                                        ; implicit-def: $vgpr39_vgpr40
                                        ; implicit-def: $vgpr43_vgpr44
                                        ; implicit-def: $vgpr47_vgpr48
                                        ; implicit-def: $vgpr5_vgpr6
                                        ; implicit-def: $vgpr7_vgpr8
                                        ; implicit-def: $vgpr37_vgpr38
                                        ; implicit-def: $vgpr61_vgpr62
                                        ; implicit-def: $vgpr57_vgpr58
                                        ; implicit-def: $vgpr49_vgpr50
	s_cbranch_execz .LBB572_128
; %bb.117:
	s_and_b32 s0, s16, exec_lo
	v_mov_b32_e32 v49, v35
	s_cselect_b32 s1, 0, s35
	s_cselect_b32 s0, 0, s34
	s_delay_alu instid0(SALU_CYCLE_1)
	s_cmp_eq_u64 s[0:1], 0
	s_cbranch_scc1 .LBB572_119
; %bb.118:
	v_mov_b32_e32 v1, 0
	global_load_b32 v49, v1, s[0:1]
.LBB572_119:
	v_cmp_eq_u32_e64 s6, 0, v77
	v_cmp_eq_u32_e64 s7, 0, v76
	v_cmp_eq_u32_e64 s8, 0, v75
	v_cmp_eq_u32_e64 s9, 0, v74
	v_cmp_eq_u32_e64 s10, 0, v73
	v_cndmask_b32_e64 v1, 0, v35, s6
	v_cmp_eq_u32_e64 s11, 0, v72
	v_cmp_eq_u32_e64 s5, 0, v70
	;; [unrolled: 1-line block ×4, first 2 shown]
	v_add_nc_u32_e32 v1, v1, v36
	v_cmp_eq_u32_e64 s2, 0, v67
	v_add3_u32 v2, v84, v73, v72
	v_cmp_eq_u32_e64 s1, 0, v66
	v_cmp_eq_u32_e32 vcc_lo, 0, v65
	v_cndmask_b32_e64 v1, 0, v1, s7
	v_cmp_eq_u32_e64 s0, 0, v64
	v_add3_u32 v2, v2, v70, v69
	v_cmp_eq_u32_e64 s12, 0, v71
	v_and_b32_e32 v4, 15, v81
	v_add_nc_u32_e32 v1, v1, v33
	s_delay_alu instid0(VALU_DEP_4) | instskip(NEXT) | instid1(VALU_DEP_3)
	v_add3_u32 v2, v2, v68, v67
	v_cmp_lt_u32_e64 s13, 1, v4
	s_delay_alu instid0(VALU_DEP_3) | instskip(NEXT) | instid1(VALU_DEP_3)
	v_cndmask_b32_e64 v1, 0, v1, s8
	v_add3_u32 v2, v2, v66, v65
	s_delay_alu instid0(VALU_DEP_2) | instskip(NEXT) | instid1(VALU_DEP_2)
	v_add_nc_u32_e32 v1, v1, v34
	v_add3_u32 v2, v2, v64, v71
	s_delay_alu instid0(VALU_DEP_2) | instskip(NEXT) | instid1(VALU_DEP_2)
	v_cndmask_b32_e64 v1, 0, v1, s9
	v_mov_b32_dpp v5, v2 row_shr:1 row_mask:0xf bank_mask:0xf
	s_delay_alu instid0(VALU_DEP_2) | instskip(NEXT) | instid1(VALU_DEP_1)
	v_add_nc_u32_e32 v1, v1, v31
	v_cndmask_b32_e64 v1, 0, v1, s10
	s_delay_alu instid0(VALU_DEP_1) | instskip(NEXT) | instid1(VALU_DEP_1)
	v_add_nc_u32_e32 v1, v1, v32
	v_cndmask_b32_e64 v1, 0, v1, s11
	s_delay_alu instid0(VALU_DEP_1) | instskip(NEXT) | instid1(VALU_DEP_1)
	;; [unrolled: 3-line block ×7, first 2 shown]
	v_add_nc_u32_e32 v1, v1, v26
	v_cndmask_b32_e32 v1, 0, v1, vcc_lo
	s_delay_alu instid0(VALU_DEP_1) | instskip(NEXT) | instid1(VALU_DEP_1)
	v_add_nc_u32_e32 v1, v1, v23
	v_cndmask_b32_e64 v1, 0, v1, s0
	s_delay_alu instid0(VALU_DEP_1) | instskip(NEXT) | instid1(VALU_DEP_1)
	v_add_nc_u32_e32 v1, v1, v24
	v_cndmask_b32_e64 v1, 0, v1, s12
	v_cmp_eq_u32_e64 s12, 0, v2
	s_delay_alu instid0(VALU_DEP_2) | instskip(NEXT) | instid1(VALU_DEP_1)
	v_add_nc_u32_e32 v1, v1, v79
	v_mov_b32_dpp v3, v1 row_shr:1 row_mask:0xf bank_mask:0xf
	s_delay_alu instid0(VALU_DEP_1) | instskip(SKIP_1) | instid1(VALU_DEP_1)
	v_cndmask_b32_e64 v3, 0, v3, s12
	v_cmp_eq_u32_e64 s12, 0, v4
	v_cndmask_b32_e64 v5, v5, 0, s12
	s_delay_alu instid0(VALU_DEP_3) | instskip(NEXT) | instid1(VALU_DEP_2)
	v_cndmask_b32_e64 v3, v3, 0, s12
	v_add_nc_u32_e32 v2, v5, v2
	s_delay_alu instid0(VALU_DEP_2) | instskip(NEXT) | instid1(VALU_DEP_2)
	v_add_nc_u32_e32 v1, v3, v1
	v_mov_b32_dpp v3, v2 row_shr:2 row_mask:0xf bank_mask:0xf
	v_cmp_eq_u32_e64 s12, 0, v2
	s_delay_alu instid0(VALU_DEP_3) | instskip(NEXT) | instid1(VALU_DEP_3)
	v_mov_b32_dpp v5, v1 row_shr:2 row_mask:0xf bank_mask:0xf
	v_cndmask_b32_e64 v3, 0, v3, s13
	s_delay_alu instid0(VALU_DEP_3) | instskip(SKIP_1) | instid1(VALU_DEP_3)
	s_and_b32 s12, s13, s12
	v_cmp_lt_u32_e64 s13, 3, v4
	v_cndmask_b32_e64 v5, 0, v5, s12
	s_delay_alu instid0(VALU_DEP_3) | instskip(NEXT) | instid1(VALU_DEP_2)
	v_add_nc_u32_e32 v2, v2, v3
	v_add_nc_u32_e32 v1, v5, v1
	s_delay_alu instid0(VALU_DEP_2) | instskip(SKIP_1) | instid1(VALU_DEP_3)
	v_mov_b32_dpp v3, v2 row_shr:4 row_mask:0xf bank_mask:0xf
	v_cmp_eq_u32_e64 s12, 0, v2
	v_mov_b32_dpp v5, v1 row_shr:4 row_mask:0xf bank_mask:0xf
	s_delay_alu instid0(VALU_DEP_3) | instskip(NEXT) | instid1(VALU_DEP_3)
	v_cndmask_b32_e64 v3, 0, v3, s13
	s_and_b32 s12, s13, s12
	v_cmp_lt_u32_e64 s13, 7, v4
	s_delay_alu instid0(VALU_DEP_3) | instskip(NEXT) | instid1(VALU_DEP_3)
	v_cndmask_b32_e64 v5, 0, v5, s12
	v_add_nc_u32_e32 v2, v3, v2
	s_delay_alu instid0(VALU_DEP_2) | instskip(SKIP_1) | instid1(VALU_DEP_3)
	v_add_nc_u32_e32 v1, v1, v5
	v_bfe_i32 v5, v81, 4, 1
	v_cmp_eq_u32_e64 s12, 0, v2
	v_mov_b32_dpp v3, v2 row_shr:8 row_mask:0xf bank_mask:0xf
	s_delay_alu instid0(VALU_DEP_4) | instskip(NEXT) | instid1(VALU_DEP_3)
	v_mov_b32_dpp v4, v1 row_shr:8 row_mask:0xf bank_mask:0xf
	s_and_b32 s12, s13, s12
	s_delay_alu instid0(VALU_DEP_2) | instskip(SKIP_1) | instid1(VALU_DEP_2)
	v_cndmask_b32_e64 v3, 0, v3, s13
	s_mov_b32 s13, exec_lo
	v_cndmask_b32_e64 v4, 0, v4, s12
	s_delay_alu instid0(VALU_DEP_1) | instskip(NEXT) | instid1(VALU_DEP_3)
	v_add_nc_u32_e32 v4, v4, v1
	v_add_nc_u32_e32 v1, v3, v2
	ds_swizzle_b32 v2, v4 offset:swizzle(BROADCAST,32,15)
	ds_swizzle_b32 v3, v1 offset:swizzle(BROADCAST,32,15)
	v_cmp_eq_u32_e64 s12, 0, v1
	s_waitcnt lgkmcnt(1)
	s_delay_alu instid0(VALU_DEP_1) | instskip(SKIP_2) | instid1(VALU_DEP_2)
	v_cndmask_b32_e64 v2, 0, v2, s12
	s_waitcnt lgkmcnt(0)
	v_and_b32_e32 v3, v5, v3
	v_and_b32_e32 v2, v5, v2
	s_delay_alu instid0(VALU_DEP_2) | instskip(NEXT) | instid1(VALU_DEP_2)
	v_add_nc_u32_e32 v1, v3, v1
	v_add_nc_u32_e32 v2, v2, v4
	v_cmpx_eq_u32_e64 v83, v0
	s_cbranch_execz .LBB572_121
; %bb.120:
	v_lshlrev_b32_e32 v3, 3, v82
	ds_store_b64 v3, v[1:2] offset:2064
.LBB572_121:
	s_or_b32 exec_lo, exec_lo, s13
	s_delay_alu instid0(SALU_CYCLE_1)
	s_mov_b32 s14, exec_lo
	s_waitcnt vmcnt(0) lgkmcnt(0)
	s_barrier
	buffer_gl0_inv
	v_cmpx_gt_u32_e32 8, v0
	s_cbranch_execz .LBB572_123
; %bb.122:
	v_lshlrev_b32_e32 v5, 3, v0
	v_and_b32_e32 v7, 7, v81
	ds_load_b64 v[3:4], v5 offset:2064
	v_cmp_lt_u32_e64 s13, 1, v7
	s_waitcnt lgkmcnt(0)
	v_mov_b32_dpp v6, v4 row_shr:1 row_mask:0xf bank_mask:0xf
	v_cmp_eq_u32_e64 s12, 0, v3
	v_mov_b32_dpp v8, v3 row_shr:1 row_mask:0xf bank_mask:0xf
	s_delay_alu instid0(VALU_DEP_2) | instskip(SKIP_1) | instid1(VALU_DEP_1)
	v_cndmask_b32_e64 v6, 0, v6, s12
	v_cmp_eq_u32_e64 s12, 0, v7
	v_cndmask_b32_e64 v8, v8, 0, s12
	s_delay_alu instid0(VALU_DEP_3) | instskip(NEXT) | instid1(VALU_DEP_2)
	v_cndmask_b32_e64 v6, v6, 0, s12
	v_add_nc_u32_e32 v3, v8, v3
	s_delay_alu instid0(VALU_DEP_2) | instskip(NEXT) | instid1(VALU_DEP_2)
	v_add_nc_u32_e32 v4, v6, v4
	v_mov_b32_dpp v6, v3 row_shr:2 row_mask:0xf bank_mask:0xf
	v_cmp_eq_u32_e64 s12, 0, v3
	s_delay_alu instid0(VALU_DEP_3) | instskip(NEXT) | instid1(VALU_DEP_3)
	v_mov_b32_dpp v8, v4 row_shr:2 row_mask:0xf bank_mask:0xf
	v_cndmask_b32_e64 v6, 0, v6, s13
	s_delay_alu instid0(VALU_DEP_3) | instskip(SKIP_1) | instid1(VALU_DEP_3)
	s_and_b32 s12, s13, s12
	v_cmp_lt_u32_e64 s13, 3, v7
	v_cndmask_b32_e64 v8, 0, v8, s12
	s_delay_alu instid0(VALU_DEP_3) | instskip(NEXT) | instid1(VALU_DEP_2)
	v_add_nc_u32_e32 v3, v6, v3
	v_add_nc_u32_e32 v4, v8, v4
	s_delay_alu instid0(VALU_DEP_2) | instskip(SKIP_1) | instid1(VALU_DEP_3)
	v_cmp_eq_u32_e64 s12, 0, v3
	v_mov_b32_dpp v6, v3 row_shr:4 row_mask:0xf bank_mask:0xf
	v_mov_b32_dpp v7, v4 row_shr:4 row_mask:0xf bank_mask:0xf
	s_delay_alu instid0(VALU_DEP_3) | instskip(NEXT) | instid1(VALU_DEP_2)
	s_and_b32 s12, s13, s12
	v_cndmask_b32_e64 v6, 0, v6, s13
	s_delay_alu instid0(VALU_DEP_2) | instskip(NEXT) | instid1(VALU_DEP_2)
	v_cndmask_b32_e64 v7, 0, v7, s12
	v_add_nc_u32_e32 v3, v6, v3
	s_delay_alu instid0(VALU_DEP_2)
	v_add_nc_u32_e32 v4, v7, v4
	ds_store_b64 v5, v[3:4] offset:2064
.LBB572_123:
	s_or_b32 exec_lo, exec_lo, s14
	v_dual_mov_b32 v7, 0 :: v_dual_mov_b32 v4, v49
	v_mov_b32_e32 v3, 0
	s_mov_b32 s13, exec_lo
	s_waitcnt lgkmcnt(0)
	s_barrier
	buffer_gl0_inv
	v_cmpx_lt_u32_e32 31, v0
	s_cbranch_execz .LBB572_125
; %bb.124:
	v_lshlrev_b32_e32 v3, 3, v82
	ds_load_b64 v[3:4], v3 offset:2056
	s_waitcnt lgkmcnt(0)
	v_cmp_eq_u32_e64 s12, 0, v3
	s_delay_alu instid0(VALU_DEP_1) | instskip(NEXT) | instid1(VALU_DEP_1)
	v_cndmask_b32_e64 v5, 0, v49, s12
	v_add_nc_u32_e32 v4, v5, v4
.LBB572_125:
	s_or_b32 exec_lo, exec_lo, s13
	v_add_nc_u32_e32 v5, -1, v81
	v_cmp_eq_u32_e64 s13, 0, v78
	s_delay_alu instid0(VALU_DEP_2) | instskip(NEXT) | instid1(VALU_DEP_1)
	v_cmp_gt_i32_e64 s12, 0, v5
	v_cndmask_b32_e64 v5, v5, v81, s12
	v_cmp_eq_u32_e64 s12, 0, v1
	v_add_nc_u32_e32 v1, v3, v1
	s_delay_alu instid0(VALU_DEP_3) | instskip(NEXT) | instid1(VALU_DEP_3)
	v_lshlrev_b32_e32 v5, 2, v5
	v_cndmask_b32_e64 v6, 0, v4, s12
	v_cmp_eq_u32_e64 s12, 0, v81
	ds_bpermute_b32 v1, v5, v1
	v_add_nc_u32_e32 v2, v6, v2
	ds_bpermute_b32 v2, v5, v2
	s_waitcnt lgkmcnt(1)
	v_cndmask_b32_e64 v1, v1, v3, s12
	s_waitcnt lgkmcnt(0)
	v_cndmask_b32_e64 v2, v2, v4, s12
	v_cmp_eq_u32_e64 s12, 0, v0
	s_delay_alu instid0(VALU_DEP_1) | instskip(SKIP_1) | instid1(VALU_DEP_2)
	v_cndmask_b32_e64 v54, v2, v49, s12
	v_cndmask_b32_e64 v53, v1, 0, s12
	;; [unrolled: 1-line block ×3, first 2 shown]
	s_delay_alu instid0(VALU_DEP_1) | instskip(NEXT) | instid1(VALU_DEP_1)
	v_add_nc_u32_e32 v60, v2, v35
	v_cndmask_b32_e64 v2, 0, v60, s6
	s_delay_alu instid0(VALU_DEP_1) | instskip(NEXT) | instid1(VALU_DEP_1)
	v_add_nc_u32_e32 v56, v2, v36
	v_cndmask_b32_e64 v2, 0, v56, s7
	;; [unrolled: 3-line block ×10, first 2 shown]
	s_delay_alu instid0(VALU_DEP_1) | instskip(SKIP_2) | instid1(VALU_DEP_1)
	v_add_nc_u32_e32 v38, v1, v25
	ds_load_b64 v[1:2], v7 offset:2120
	v_cndmask_b32_e64 v3, 0, v38, s1
	v_add_nc_u32_e32 v62, v3, v26
	s_delay_alu instid0(VALU_DEP_1) | instskip(NEXT) | instid1(VALU_DEP_1)
	v_cndmask_b32_e32 v3, 0, v62, vcc_lo
	v_add_nc_u32_e32 v58, v3, v23
	s_waitcnt lgkmcnt(0)
	v_cmp_eq_u32_e32 vcc_lo, 0, v1
	v_add_nc_u32_e32 v59, v53, v78
	s_delay_alu instid0(VALU_DEP_3) | instskip(SKIP_1) | instid1(VALU_DEP_3)
	v_cndmask_b32_e64 v3, 0, v58, s0
	v_cndmask_b32_e32 v4, 0, v49, vcc_lo
	v_add_nc_u32_e32 v55, v59, v77
	s_delay_alu instid0(VALU_DEP_3) | instskip(NEXT) | instid1(VALU_DEP_3)
	v_add_nc_u32_e32 v50, v3, v24
	v_add_nc_u32_e32 v80, v4, v2
	s_delay_alu instid0(VALU_DEP_3) | instskip(NEXT) | instid1(VALU_DEP_1)
	v_add_nc_u32_e32 v51, v55, v76
	v_add_nc_u32_e32 v45, v51, v75
	s_delay_alu instid0(VALU_DEP_1) | instskip(NEXT) | instid1(VALU_DEP_1)
	v_add_nc_u32_e32 v41, v45, v74
	v_add_nc_u32_e32 v39, v41, v73
	s_delay_alu instid0(VALU_DEP_1) | instskip(NEXT) | instid1(VALU_DEP_1)
	;; [unrolled: 3-line block ×5, first 2 shown]
	v_add_nc_u32_e32 v57, v61, v65
	v_add_nc_u32_e32 v49, v57, v64
	s_and_saveexec_b32 s0, s12
	s_cbranch_execz .LBB572_127
; %bb.126:
	v_and_b32_e32 v2, 0xff000000, v80
	v_dual_mov_b32 v4, 0 :: v_dual_and_b32 v3, 0xff0000, v80
	s_add_u32 s2, s36, 0x200
	v_and_b32_e32 v23, 0xff00, v80
	s_addc_u32 s3, s37, 0
	v_and_b32_e32 v24, 0xff, v80
	v_or_b32_e32 v2, v3, v2
	v_mov_b32_e32 v3, 2
	s_delay_alu instid0(VALU_DEP_2)
	v_or3_b32 v2, v2, v23, v24
	v_dual_mov_b32 v24, s3 :: v_dual_mov_b32 v23, s2
	;;#ASMSTART
	global_store_dwordx4 v[23:24], v[1:4] off	
s_waitcnt vmcnt(0)
	;;#ASMEND
.LBB572_127:
	s_or_b32 exec_lo, exec_lo, s0
	v_mov_b32_e32 v3, 0
.LBB572_128:
	v_mov_b32_e32 v23, 0
	s_and_b32 s0, s16, exec_lo
	v_mov_b32_e32 v24, 0
	s_cselect_b32 s1, 0, s47
	s_cselect_b32 s0, 0, s46
	s_delay_alu instid0(SALU_CYCLE_1)
	s_cmp_eq_u64 s[0:1], 0
	s_barrier
	buffer_gl0_inv
	s_cbranch_scc1 .LBB572_130
; %bb.129:
	v_mov_b32_e32 v2, 0
	global_load_b64 v[23:24], v2, s[0:1]
.LBB572_130:
	v_cmp_eq_u32_e32 vcc_lo, 0, v78
	v_cmp_ne_u32_e64 s14, 0, v78
	v_cmp_ne_u32_e64 s13, 0, v77
	v_cmp_ne_u32_e64 s12, 0, v76
	v_cmp_ne_u32_e64 s11, 0, v75
	v_cndmask_b32_e64 v2, 1, 2, vcc_lo
	v_cmp_eq_u32_e32 vcc_lo, 0, v77
	v_cmp_ne_u32_e64 s10, 0, v74
	v_cmp_ne_u32_e64 s9, 0, v73
	v_cmp_ne_u32_e64 s7, 0, v72
	v_cmp_ne_u32_e64 s5, 0, v70
	v_cndmask_b32_e64 v4, 1, 2, vcc_lo
	v_cmp_eq_u32_e32 vcc_lo, 0, v76
	v_cmp_ne_u32_e64 s8, 0, v69
	v_cmp_ne_u32_e64 s6, 0, v68
	;; [unrolled: 1-line block ×3, first 2 shown]
	v_and_b32_e32 v2, v4, v2
	v_cndmask_b32_e64 v25, 1, 2, vcc_lo
	v_cmp_eq_u32_e32 vcc_lo, 0, v75
	v_cmp_ne_u32_e64 s3, 0, v66
	v_cmp_ne_u32_e64 s2, 0, v65
	;; [unrolled: 1-line block ×3, first 2 shown]
	v_and_b32_e32 v2, v2, v25
	v_cndmask_b32_e64 v4, 1, 2, vcc_lo
	v_cmp_eq_u32_e32 vcc_lo, 0, v74
	v_cmp_ne_u32_e64 s0, 0, v71
	s_mov_b32 s16, -1
	s_delay_alu instid0(VALU_DEP_3) | instskip(SKIP_2) | instid1(VALU_DEP_2)
	v_and_b32_e32 v2, v2, v4
	v_cndmask_b32_e64 v25, 1, 2, vcc_lo
	v_cmp_eq_u32_e32 vcc_lo, 0, v73
	v_and_b32_e32 v2, v2, v25
	v_cndmask_b32_e64 v4, 1, 2, vcc_lo
	v_cmp_eq_u32_e32 vcc_lo, 0, v72
	s_waitcnt vmcnt(0)
	v_lshlrev_b64 v[25:26], 2, v[23:24]
	s_delay_alu instid0(VALU_DEP_3) | instskip(SKIP_2) | instid1(VALU_DEP_2)
	v_and_b32_e32 v2, v2, v4
	v_cndmask_b32_e64 v27, 1, 2, vcc_lo
	v_cmp_eq_u32_e32 vcc_lo, 0, v70
	v_and_b32_e32 v2, v2, v27
	v_cndmask_b32_e64 v28, 1, 2, vcc_lo
	v_cmp_eq_u32_e32 vcc_lo, 0, v69
	s_delay_alu instid0(VALU_DEP_2) | instskip(SKIP_2) | instid1(VALU_DEP_2)
	v_and_b32_e32 v2, v2, v28
	v_cndmask_b32_e64 v27, 1, 2, vcc_lo
	v_cmp_eq_u32_e32 vcc_lo, 0, v68
	v_and_b32_e32 v2, v2, v27
	v_cndmask_b32_e64 v28, 1, 2, vcc_lo
	v_cmp_eq_u32_e32 vcc_lo, 0, v67
	s_delay_alu instid0(VALU_DEP_2) | instskip(SKIP_2) | instid1(VALU_DEP_2)
	;; [unrolled: 7-line block ×3, first 2 shown]
	v_and_b32_e32 v2, v2, v29
	v_cndmask_b32_e64 v30, 1, 2, vcc_lo
	v_cmp_eq_u32_e32 vcc_lo, 0, v64
	v_and_b32_e32 v30, v2, v30
	v_cndmask_b32_e64 v31, 1, 2, vcc_lo
	v_mov_b32_e32 v4, 0
	s_delay_alu instid0(VALU_DEP_1) | instskip(SKIP_2) | instid1(VALU_DEP_2)
	v_lshlrev_b64 v[27:28], 2, v[3:4]
	v_add_co_u32 v4, vcc_lo, s26, v25
	v_add_co_ci_u32_e32 v29, vcc_lo, s27, v26, vcc_lo
	v_add_co_u32 v2, vcc_lo, v4, v27
	s_delay_alu instid0(VALU_DEP_2) | instskip(SKIP_4) | instid1(VALU_DEP_2)
	v_add_co_ci_u32_e32 v4, vcc_lo, v29, v28, vcc_lo
	v_and_b32_e32 v29, v30, v31
	v_cmp_eq_u32_e32 vcc_lo, 0, v71
	v_cndmask_b32_e64 v30, 1, 2, vcc_lo
	v_cmp_gt_u32_e32 vcc_lo, 0x100, v1
	v_and_b32_e32 v29, v29, v30
	s_delay_alu instid0(VALU_DEP_1)
	v_cmp_gt_i16_e64 s15, 2, v29
	s_cbranch_vccz .LBB572_137
; %bb.131:
	s_delay_alu instid0(VALU_DEP_1)
	s_and_saveexec_b32 s16, s15
	s_cbranch_execz .LBB572_136
; %bb.132:
	s_mov_b32 s17, 0
	s_mov_b32 s15, exec_lo
	v_cmpx_ne_u16_e32 1, v29
	s_xor_b32 s15, exec_lo, s15
	s_cbranch_execnz .LBB572_169
; %bb.133:
	s_and_not1_saveexec_b32 s15, s15
	s_cbranch_execnz .LBB572_185
.LBB572_134:
	s_or_b32 exec_lo, exec_lo, s15
	s_delay_alu instid0(SALU_CYCLE_1)
	s_and_b32 exec_lo, exec_lo, s17
	s_cbranch_execz .LBB572_136
.LBB572_135:
	v_sub_nc_u32_e32 v30, v49, v3
	v_mov_b32_e32 v31, 0
	s_delay_alu instid0(VALU_DEP_1) | instskip(NEXT) | instid1(VALU_DEP_1)
	v_lshlrev_b64 v[30:31], 2, v[30:31]
	v_add_co_u32 v30, vcc_lo, v2, v30
	s_delay_alu instid0(VALU_DEP_2)
	v_add_co_ci_u32_e32 v31, vcc_lo, v4, v31, vcc_lo
	global_store_b32 v[30:31], v63, off
.LBB572_136:
	s_or_b32 exec_lo, exec_lo, s16
	s_mov_b32 s16, 0
.LBB572_137:
	s_delay_alu instid0(SALU_CYCLE_1)
	s_and_b32 vcc_lo, exec_lo, s16
	s_cbranch_vccz .LBB572_147
; %bb.138:
	s_mov_b32 s15, exec_lo
	v_cmpx_gt_i16_e32 2, v29
	s_cbranch_execz .LBB572_143
; %bb.139:
	s_mov_b32 s17, 0
	s_mov_b32 s16, exec_lo
	v_cmpx_ne_u16_e32 1, v29
	s_xor_b32 s16, exec_lo, s16
	s_cbranch_execnz .LBB572_186
; %bb.140:
	s_and_not1_saveexec_b32 s0, s16
	s_cbranch_execnz .LBB572_202
.LBB572_141:
	s_or_b32 exec_lo, exec_lo, s0
	s_delay_alu instid0(SALU_CYCLE_1)
	s_and_b32 exec_lo, exec_lo, s17
	s_cbranch_execz .LBB572_143
.LBB572_142:
	v_sub_nc_u32_e32 v9, v49, v3
	s_delay_alu instid0(VALU_DEP_1)
	v_lshlrev_b32_e32 v9, 2, v9
	ds_store_b32 v9, v63
.LBB572_143:
	s_or_b32 exec_lo, exec_lo, s15
	s_delay_alu instid0(SALU_CYCLE_1)
	s_mov_b32 s1, exec_lo
	s_waitcnt lgkmcnt(0)
	s_waitcnt_vscnt null, 0x0
	s_barrier
	buffer_gl0_inv
	v_cmpx_lt_u32_e64 v0, v1
	s_cbranch_execz .LBB572_146
; %bb.144:
	v_dual_mov_b32 v10, 0 :: v_dual_lshlrev_b32 v11, 2, v0
	v_mov_b32_e32 v9, v0
	s_mov_b32 s2, 0
	.p2align	6
.LBB572_145:                            ; =>This Inner Loop Header: Depth=1
	ds_load_b32 v14, v11
	v_lshlrev_b64 v[12:13], 2, v[9:10]
	v_add_nc_u32_e32 v9, 0x100, v9
	v_add_nc_u32_e32 v11, 0x400, v11
	s_delay_alu instid0(VALU_DEP_2) | instskip(NEXT) | instid1(VALU_DEP_4)
	v_cmp_ge_u32_e32 vcc_lo, v9, v1
	v_add_co_u32 v12, s0, v2, v12
	s_delay_alu instid0(VALU_DEP_1)
	v_add_co_ci_u32_e64 v13, s0, v4, v13, s0
	s_or_b32 s2, vcc_lo, s2
	s_waitcnt lgkmcnt(0)
	global_store_b32 v[12:13], v14, off
	s_and_not1_b32 exec_lo, exec_lo, s2
	s_cbranch_execnz .LBB572_145
.LBB572_146:
	s_or_b32 exec_lo, exec_lo, s1
.LBB572_147:
	s_cmpk_lg_i32 s33, 0xf00
	v_cmp_eq_u32_e32 vcc_lo, 0, v0
	s_cselect_b32 s0, -1, 0
	v_cndmask_b32_e64 v4, 0, 1, s40
	s_and_b32 s0, s23, s0
	v_mad_i32_i24 v10, v0, -15, s33
	v_cndmask_b32_e64 v9, 0, 1, s0
	s_mul_hi_u32 s0, s33, 0x88888889
	s_and_b32 s1, vcc_lo, s40
	s_lshr_b32 s0, s0, 3
	v_sub_nc_u32_e32 v2, v1, v4
	v_cndmask_b32_e64 v11, v78, 0, s1
	v_cmp_eq_u32_e32 vcc_lo, s0, v0
	v_cmp_ne_u32_e64 s0, 0, v10
	s_mov_b32 s16, -1
	s_waitcnt_vscnt null, 0x0
	s_barrier
	s_and_b32 vcc_lo, s23, vcc_lo
	v_add_nc_u32_e32 v2, v2, v9
	v_cndmask_b32_e64 v9, 1, v11, s0
	v_cmp_ne_u32_e64 s0, 1, v10
	buffer_gl0_inv
	v_cndmask_b32_e64 v12, 1, v77, s0
	v_cmp_ne_u32_e64 s0, 14, v10
	s_delay_alu instid0(VALU_DEP_2) | instskip(NEXT) | instid1(VALU_DEP_2)
	v_cndmask_b32_e32 v17, v77, v12, vcc_lo
	v_cndmask_b32_e64 v13, 1, v71, s0
	v_cmp_ne_u32_e64 s0, 2, v10
	s_delay_alu instid0(VALU_DEP_3) | instskip(NEXT) | instid1(VALU_DEP_3)
	v_cmp_ne_u32_e64 s13, 0, v17
	v_cndmask_b32_e32 v16, v71, v13, vcc_lo
	s_delay_alu instid0(VALU_DEP_3) | instskip(SKIP_1) | instid1(VALU_DEP_2)
	v_cndmask_b32_e64 v14, 1, v76, s0
	v_cmp_ne_u32_e64 s0, 3, v10
	v_dual_cndmask_b32 v13, v11, v9 :: v_dual_cndmask_b32 v14, v76, v14
	s_delay_alu instid0(VALU_DEP_2) | instskip(SKIP_1) | instid1(VALU_DEP_3)
	v_cndmask_b32_e64 v15, 1, v75, s0
	v_cmp_ne_u32_e64 s0, 4, v10
	v_cmp_ne_u32_e64 s14, 0, v13
	s_delay_alu instid0(VALU_DEP_4) | instskip(NEXT) | instid1(VALU_DEP_3)
	v_cmp_ne_u32_e64 s12, 0, v14
	v_cndmask_b32_e64 v9, 1, v74, s0
	v_cmp_ne_u32_e64 s0, 5, v10
	s_delay_alu instid0(VALU_DEP_1) | instskip(SKIP_1) | instid1(VALU_DEP_2)
	v_cndmask_b32_e64 v11, 1, v73, s0
	v_cmp_eq_u32_e64 s0, 0, v13
	v_cndmask_b32_e32 v29, v73, v11, vcc_lo
	s_delay_alu instid0(VALU_DEP_2) | instskip(SKIP_1) | instid1(VALU_DEP_3)
	v_cndmask_b32_e64 v12, 1, 2, s0
	v_cmp_eq_u32_e64 s0, 0, v17
	v_cmp_ne_u32_e64 s9, 0, v29
	s_delay_alu instid0(VALU_DEP_2) | instskip(SKIP_1) | instid1(VALU_DEP_2)
	v_cndmask_b32_e64 v18, 1, 2, s0
	v_cmp_ne_u32_e64 s0, 6, v10
	v_dual_cndmask_b32 v15, v75, v15 :: v_dual_and_b32 v12, v18, v12
	s_delay_alu instid0(VALU_DEP_2) | instskip(SKIP_1) | instid1(VALU_DEP_3)
	v_cndmask_b32_e64 v19, 1, v72, s0
	v_cmp_eq_u32_e64 s0, 0, v14
	v_cmp_ne_u32_e64 s11, 0, v15
	s_delay_alu instid0(VALU_DEP_2) | instskip(SKIP_1) | instid1(VALU_DEP_1)
	v_cndmask_b32_e64 v18, 1, 2, s0
	v_cmp_ne_u32_e64 s0, 7, v10
	v_cndmask_b32_e64 v20, 1, v70, s0
	v_cmp_ne_u32_e64 s0, 8, v10
	s_delay_alu instid0(VALU_DEP_2) | instskip(NEXT) | instid1(VALU_DEP_2)
	v_dual_cndmask_b32 v19, v72, v19 :: v_dual_cndmask_b32 v20, v70, v20
	v_cndmask_b32_e64 v21, 1, v69, s0
	v_cmp_eq_u32_e64 s0, 0, v15
	v_and_b32_e32 v12, v12, v18
	s_delay_alu instid0(VALU_DEP_4)
	v_cmp_ne_u32_e64 s8, 0, v19
	v_cmp_ne_u32_e64 s7, 0, v20
	v_cndmask_b32_e32 v21, v69, v21, vcc_lo
	v_cndmask_b32_e64 v18, 1, 2, s0
	v_cndmask_b32_e32 v22, v74, v9, vcc_lo
	v_cmp_ne_u32_e64 s0, 9, v10
	s_delay_alu instid0(VALU_DEP_4) | instskip(NEXT) | instid1(VALU_DEP_4)
	v_cmp_ne_u32_e64 s6, 0, v21
	v_and_b32_e32 v11, v12, v18
	s_delay_alu instid0(VALU_DEP_4) | instskip(NEXT) | instid1(VALU_DEP_4)
	v_cmp_ne_u32_e64 s10, 0, v22
	v_cndmask_b32_e64 v9, 1, v68, s0
	v_cmp_eq_u32_e64 s0, 0, v22
	s_delay_alu instid0(VALU_DEP_2) | instskip(NEXT) | instid1(VALU_DEP_2)
	v_cndmask_b32_e32 v33, v68, v9, vcc_lo
	v_cndmask_b32_e64 v12, 1, 2, s0
	v_cmp_ne_u32_e64 s0, 10, v10
	s_delay_alu instid0(VALU_DEP_1) | instskip(SKIP_1) | instid1(VALU_DEP_2)
	v_cndmask_b32_e64 v18, 1, v67, s0
	v_cmp_ne_u32_e64 s0, 12, v10
	v_cndmask_b32_e32 v18, v67, v18, vcc_lo
	s_delay_alu instid0(VALU_DEP_2) | instskip(SKIP_2) | instid1(VALU_DEP_4)
	v_cndmask_b32_e64 v30, 1, v65, s0
	v_cmp_eq_u32_e64 s0, 0, v29
	v_and_b32_e32 v11, v11, v12
	v_cmp_ne_u32_e64 s4, 0, v18
	s_delay_alu instid0(VALU_DEP_4) | instskip(NEXT) | instid1(VALU_DEP_4)
	v_cndmask_b32_e32 v30, v65, v30, vcc_lo
	v_cndmask_b32_e64 v12, 1, 2, s0
	v_cmp_ne_u32_e64 s0, 13, v10
	s_delay_alu instid0(VALU_DEP_3) | instskip(NEXT) | instid1(VALU_DEP_3)
	v_cmp_ne_u32_e64 s2, 0, v30
	v_and_b32_e32 v11, v11, v12
	s_delay_alu instid0(VALU_DEP_3) | instskip(SKIP_1) | instid1(VALU_DEP_2)
	v_cndmask_b32_e64 v31, 1, v64, s0
	v_cmp_eq_u32_e64 s0, 0, v19
	v_cndmask_b32_e32 v31, v64, v31, vcc_lo
	s_delay_alu instid0(VALU_DEP_2) | instskip(SKIP_1) | instid1(VALU_DEP_3)
	v_cndmask_b32_e64 v12, 1, 2, s0
	v_cmp_ne_u32_e64 s0, 11, v10
	v_cmp_ne_u32_e64 s1, 0, v31
	s_delay_alu instid0(VALU_DEP_2) | instskip(SKIP_1) | instid1(VALU_DEP_2)
	v_cndmask_b32_e64 v10, 1, v66, s0
	v_cmp_eq_u32_e64 s0, 0, v20
	v_dual_cndmask_b32 v32, v66, v10 :: v_dual_and_b32 v11, v11, v12
	s_delay_alu instid0(VALU_DEP_2) | instskip(SKIP_2) | instid1(VALU_DEP_4)
	v_cndmask_b32_e64 v12, 1, 2, s0
	v_cmp_eq_u32_e32 vcc_lo, 0, v21
	v_cmp_ne_u32_e64 s0, 0, v16
	v_cmp_ne_u32_e64 s3, 0, v32
	s_delay_alu instid0(VALU_DEP_4) | instskip(SKIP_4) | instid1(VALU_DEP_4)
	v_and_b32_e32 v9, v11, v12
	v_cndmask_b32_e64 v10, 1, 2, vcc_lo
	v_add_co_u32 v11, vcc_lo, s28, v25
	v_add_co_ci_u32_e32 v12, vcc_lo, s29, v26, vcc_lo
	v_cmp_eq_u32_e32 vcc_lo, 0, v33
	v_and_b32_e32 v25, v9, v10
	v_cndmask_b32_e64 v26, 1, 2, vcc_lo
	v_add_co_u32 v9, vcc_lo, v11, v27
	v_add_co_ci_u32_e32 v10, vcc_lo, v12, v28, vcc_lo
	v_lshlrev_b32_e32 v11, 2, v4
	v_cmp_eq_u32_e32 vcc_lo, 0, v18
	v_and_b32_e32 v12, v25, v26
	v_add_nc_u32_e32 v4, v3, v4
	v_cmp_ne_u32_e64 s5, 0, v33
	v_cndmask_b32_e64 v25, 1, 2, vcc_lo
	v_add_co_u32 v11, vcc_lo, v11, v9
	v_add_co_ci_u32_e32 v26, vcc_lo, 0, v10, vcc_lo
	v_cmp_eq_u32_e32 vcc_lo, 0, v32
	s_delay_alu instid0(VALU_DEP_4) | instskip(SKIP_4) | instid1(VALU_DEP_4)
	v_and_b32_e32 v25, v12, v25
	v_cndmask_b32_e64 v27, 1, 2, vcc_lo
	v_add_co_u32 v11, vcc_lo, v11, -4
	v_add_co_ci_u32_e32 v12, vcc_lo, -1, v26, vcc_lo
	v_cmp_eq_u32_e32 vcc_lo, 0, v30
	v_and_b32_e32 v25, v25, v27
	v_cndmask_b32_e64 v26, 1, 2, vcc_lo
	v_cmp_eq_u32_e32 vcc_lo, 0, v31
	s_delay_alu instid0(VALU_DEP_2) | instskip(SKIP_2) | instid1(VALU_DEP_2)
	v_and_b32_e32 v13, v25, v26
	v_cndmask_b32_e64 v14, 1, 2, vcc_lo
	v_cmp_eq_u32_e32 vcc_lo, 0, v16
	v_and_b32_e32 v13, v13, v14
	v_cndmask_b32_e64 v14, 1, 2, vcc_lo
	v_cmp_gt_u32_e32 vcc_lo, 0x100, v2
	s_delay_alu instid0(VALU_DEP_2) | instskip(NEXT) | instid1(VALU_DEP_1)
	v_and_b32_e32 v13, v13, v14
	v_cmp_gt_i16_e64 s15, 2, v13
	s_cbranch_vccnz .LBB572_151
; %bb.148:
	s_and_b32 vcc_lo, exec_lo, s16
	s_cbranch_vccnz .LBB572_157
.LBB572_149:
	v_cmp_eq_u32_e32 vcc_lo, 0xff, v0
	s_and_b32 s0, vcc_lo, s23
	s_delay_alu instid0(SALU_CYCLE_1)
	s_and_saveexec_b32 s1, s0
	s_cbranch_execnz .LBB572_166
.LBB572_150:
	s_nop 0
	s_sendmsg sendmsg(MSG_DEALLOC_VGPRS)
	s_endpgm
.LBB572_151:
	s_delay_alu instid0(VALU_DEP_1)
	s_and_saveexec_b32 s16, s15
	s_cbranch_execz .LBB572_156
; %bb.152:
	s_mov_b32 s17, 0
	s_mov_b32 s15, exec_lo
	v_cmpx_ne_u16_e32 1, v13
	s_xor_b32 s15, exec_lo, s15
	s_cbranch_execnz .LBB572_203
; %bb.153:
	s_and_not1_saveexec_b32 s15, s15
	s_cbranch_execnz .LBB572_219
.LBB572_154:
	s_or_b32 exec_lo, exec_lo, s15
	s_delay_alu instid0(SALU_CYCLE_1)
	s_and_b32 exec_lo, exec_lo, s17
	s_cbranch_execz .LBB572_156
.LBB572_155:
	v_sub_nc_u32_e32 v14, v49, v4
	v_mov_b32_e32 v15, 0
	s_delay_alu instid0(VALU_DEP_1) | instskip(NEXT) | instid1(VALU_DEP_1)
	v_lshlrev_b64 v[14:15], 2, v[14:15]
	v_add_co_u32 v14, vcc_lo, v11, v14
	s_delay_alu instid0(VALU_DEP_2)
	v_add_co_ci_u32_e32 v15, vcc_lo, v12, v15, vcc_lo
	global_store_b32 v[14:15], v50, off
.LBB572_156:
	s_or_b32 exec_lo, exec_lo, s16
	s_branch .LBB572_149
.LBB572_157:
	s_mov_b32 s15, exec_lo
	v_cmpx_gt_i16_e32 2, v13
	s_cbranch_execz .LBB572_162
; %bb.158:
	s_mov_b32 s17, 0
	s_mov_b32 s16, exec_lo
	v_cmpx_ne_u16_e32 1, v13
	s_xor_b32 s16, exec_lo, s16
	s_cbranch_execnz .LBB572_220
; %bb.159:
	s_and_not1_saveexec_b32 s0, s16
	s_cbranch_execnz .LBB572_236
.LBB572_160:
	s_or_b32 exec_lo, exec_lo, s0
	s_delay_alu instid0(SALU_CYCLE_1)
	s_and_b32 exec_lo, exec_lo, s17
	s_cbranch_execz .LBB572_162
.LBB572_161:
	v_sub_nc_u32_e32 v4, v49, v4
	s_delay_alu instid0(VALU_DEP_1)
	v_lshlrev_b32_e32 v4, 2, v4
	ds_store_b32 v4, v50
.LBB572_162:
	s_or_b32 exec_lo, exec_lo, s15
	s_delay_alu instid0(SALU_CYCLE_1)
	s_mov_b32 s1, exec_lo
	s_waitcnt lgkmcnt(0)
	s_waitcnt_vscnt null, 0x0
	s_barrier
	buffer_gl0_inv
	v_cmpx_lt_u32_e64 v0, v2
	s_cbranch_execz .LBB572_165
; %bb.163:
	v_dual_mov_b32 v5, 0 :: v_dual_lshlrev_b32 v6, 2, v0
	v_mov_b32_e32 v4, v0
	s_mov_b32 s2, 0
	.p2align	6
.LBB572_164:                            ; =>This Inner Loop Header: Depth=1
	ds_load_b32 v13, v6
	v_lshlrev_b64 v[7:8], 2, v[4:5]
	v_add_nc_u32_e32 v4, 0x100, v4
	v_add_nc_u32_e32 v6, 0x400, v6
	s_delay_alu instid0(VALU_DEP_2) | instskip(NEXT) | instid1(VALU_DEP_4)
	v_cmp_ge_u32_e32 vcc_lo, v4, v2
	v_add_co_u32 v7, s0, v11, v7
	s_delay_alu instid0(VALU_DEP_1)
	v_add_co_ci_u32_e64 v8, s0, v12, v8, s0
	s_or_b32 s2, vcc_lo, s2
	s_waitcnt lgkmcnt(0)
	global_store_b32 v[7:8], v13, off
	s_and_not1_b32 exec_lo, exec_lo, s2
	s_cbranch_execnz .LBB572_164
.LBB572_165:
	s_or_b32 exec_lo, exec_lo, s1
	v_cmp_eq_u32_e32 vcc_lo, 0xff, v0
	s_and_b32 s0, vcc_lo, s23
	s_delay_alu instid0(SALU_CYCLE_1)
	s_and_saveexec_b32 s1, s0
	s_cbranch_execz .LBB572_150
.LBB572_166:
	v_add_co_u32 v0, s0, v1, v3
	s_delay_alu instid0(VALU_DEP_1) | instskip(SKIP_1) | instid1(VALU_DEP_3)
	v_add_co_ci_u32_e64 v4, null, 0, 0, s0
	v_mov_b32_e32 v2, 0
	v_add_co_u32 v3, vcc_lo, v0, v23
	s_delay_alu instid0(VALU_DEP_3)
	v_add_co_ci_u32_e32 v4, vcc_lo, v4, v24, vcc_lo
	s_cmpk_lg_i32 s33, 0xf00
	global_store_b64 v2, v[3:4], s[30:31]
	s_cbranch_scc1 .LBB572_150
; %bb.167:
	v_lshlrev_b64 v[0:1], 2, v[1:2]
	s_delay_alu instid0(VALU_DEP_1) | instskip(NEXT) | instid1(VALU_DEP_2)
	v_add_co_u32 v0, vcc_lo, v9, v0
	v_add_co_ci_u32_e32 v1, vcc_lo, v10, v1, vcc_lo
	global_store_b32 v[0:1], v80, off offset:-4
	s_nop 0
	s_sendmsg sendmsg(MSG_DEALLOC_VGPRS)
	s_endpgm
.LBB572_168:
	s_or_b32 exec_lo, exec_lo, s2
	v_mov_b32_e32 v78, s1
	s_and_saveexec_b32 s1, s41
	s_cbranch_execnz .LBB572_84
	s_branch .LBB572_85
.LBB572_169:
	s_and_saveexec_b32 s17, s14
	s_cbranch_execnz .LBB572_237
; %bb.170:
	s_or_b32 exec_lo, exec_lo, s17
	s_and_saveexec_b32 s17, s13
	s_cbranch_execnz .LBB572_238
.LBB572_171:
	s_or_b32 exec_lo, exec_lo, s17
	s_and_saveexec_b32 s17, s12
	s_cbranch_execnz .LBB572_239
.LBB572_172:
	s_or_b32 exec_lo, exec_lo, s17
	s_and_saveexec_b32 s17, s11
	s_cbranch_execnz .LBB572_240
.LBB572_173:
	s_or_b32 exec_lo, exec_lo, s17
	s_and_saveexec_b32 s17, s10
	s_cbranch_execnz .LBB572_241
.LBB572_174:
	s_or_b32 exec_lo, exec_lo, s17
	s_and_saveexec_b32 s17, s9
	s_cbranch_execnz .LBB572_242
.LBB572_175:
	s_or_b32 exec_lo, exec_lo, s17
	s_and_saveexec_b32 s17, s7
	s_cbranch_execnz .LBB572_243
.LBB572_176:
	s_or_b32 exec_lo, exec_lo, s17
	s_and_saveexec_b32 s17, s5
	s_cbranch_execnz .LBB572_244
.LBB572_177:
	s_or_b32 exec_lo, exec_lo, s17
	s_and_saveexec_b32 s17, s8
	s_cbranch_execnz .LBB572_245
.LBB572_178:
	s_or_b32 exec_lo, exec_lo, s17
	s_and_saveexec_b32 s17, s6
	s_cbranch_execnz .LBB572_246
.LBB572_179:
	s_or_b32 exec_lo, exec_lo, s17
	s_and_saveexec_b32 s17, s4
	s_cbranch_execnz .LBB572_247
.LBB572_180:
	s_or_b32 exec_lo, exec_lo, s17
	s_and_saveexec_b32 s17, s3
	s_cbranch_execnz .LBB572_248
.LBB572_181:
	s_or_b32 exec_lo, exec_lo, s17
	s_and_saveexec_b32 s17, s2
	s_cbranch_execnz .LBB572_249
.LBB572_182:
	s_or_b32 exec_lo, exec_lo, s17
	s_and_saveexec_b32 s17, s1
	s_cbranch_execz .LBB572_184
.LBB572_183:
	v_sub_nc_u32_e32 v30, v57, v3
	v_mov_b32_e32 v31, 0
	s_delay_alu instid0(VALU_DEP_1) | instskip(NEXT) | instid1(VALU_DEP_1)
	v_lshlrev_b64 v[30:31], 2, v[30:31]
	v_add_co_u32 v30, vcc_lo, v2, v30
	s_delay_alu instid0(VALU_DEP_2)
	v_add_co_ci_u32_e32 v31, vcc_lo, v4, v31, vcc_lo
	global_store_b32 v[30:31], v10, off
.LBB572_184:
	s_or_b32 exec_lo, exec_lo, s17
	s_delay_alu instid0(SALU_CYCLE_1)
	s_and_b32 s17, s0, exec_lo
	s_and_not1_saveexec_b32 s15, s15
	s_cbranch_execz .LBB572_134
.LBB572_185:
	v_sub_nc_u32_e32 v30, v53, v3
	v_mov_b32_e32 v31, 0
	s_or_b32 s17, s17, exec_lo
	s_delay_alu instid0(VALU_DEP_1) | instskip(SKIP_1) | instid1(VALU_DEP_1)
	v_lshlrev_b64 v[32:33], 2, v[30:31]
	v_sub_nc_u32_e32 v30, v59, v3
	v_lshlrev_b64 v[34:35], 2, v[30:31]
	v_sub_nc_u32_e32 v30, v55, v3
	s_delay_alu instid0(VALU_DEP_4) | instskip(SKIP_1) | instid1(VALU_DEP_3)
	v_add_co_u32 v32, vcc_lo, v2, v32
	v_add_co_ci_u32_e32 v33, vcc_lo, v4, v33, vcc_lo
	v_lshlrev_b64 v[81:82], 2, v[30:31]
	v_sub_nc_u32_e32 v30, v51, v3
	v_add_co_u32 v34, vcc_lo, v2, v34
	v_add_co_ci_u32_e32 v35, vcc_lo, v4, v35, vcc_lo
	global_store_b32 v[32:33], v21, off
	v_lshlrev_b64 v[32:33], 2, v[30:31]
	v_sub_nc_u32_e32 v30, v45, v3
	global_store_b32 v[34:35], v22, off
	v_add_co_u32 v34, vcc_lo, v2, v81
	v_add_co_ci_u32_e32 v35, vcc_lo, v4, v82, vcc_lo
	v_lshlrev_b64 v[81:82], 2, v[30:31]
	v_sub_nc_u32_e32 v30, v41, v3
	v_add_co_u32 v32, vcc_lo, v2, v32
	v_add_co_ci_u32_e32 v33, vcc_lo, v4, v33, vcc_lo
	s_delay_alu instid0(VALU_DEP_3) | instskip(SKIP_3) | instid1(VALU_DEP_3)
	v_lshlrev_b64 v[83:84], 2, v[30:31]
	v_sub_nc_u32_e32 v30, v39, v3
	v_add_co_u32 v81, vcc_lo, v2, v81
	v_add_co_ci_u32_e32 v82, vcc_lo, v4, v82, vcc_lo
	v_lshlrev_b64 v[85:86], 2, v[30:31]
	v_sub_nc_u32_e32 v30, v43, v3
	v_add_co_u32 v83, vcc_lo, v2, v83
	v_add_co_ci_u32_e32 v84, vcc_lo, v4, v84, vcc_lo
	s_clause 0x3
	global_store_b32 v[34:35], v19, off
	global_store_b32 v[32:33], v20, off
	;; [unrolled: 1-line block ×4, first 2 shown]
	v_lshlrev_b64 v[32:33], 2, v[30:31]
	v_sub_nc_u32_e32 v30, v47, v3
	v_add_co_u32 v34, vcc_lo, v2, v85
	v_add_co_ci_u32_e32 v35, vcc_lo, v4, v86, vcc_lo
	s_delay_alu instid0(VALU_DEP_3) | instskip(SKIP_3) | instid1(VALU_DEP_3)
	v_lshlrev_b64 v[81:82], 2, v[30:31]
	v_sub_nc_u32_e32 v30, v5, v3
	v_add_co_u32 v32, vcc_lo, v2, v32
	v_add_co_ci_u32_e32 v33, vcc_lo, v4, v33, vcc_lo
	v_lshlrev_b64 v[83:84], 2, v[30:31]
	v_sub_nc_u32_e32 v30, v7, v3
	v_add_co_u32 v81, vcc_lo, v2, v81
	v_add_co_ci_u32_e32 v82, vcc_lo, v4, v82, vcc_lo
	s_delay_alu instid0(VALU_DEP_3)
	v_lshlrev_b64 v[85:86], 2, v[30:31]
	v_sub_nc_u32_e32 v30, v37, v3
	v_add_co_u32 v83, vcc_lo, v2, v83
	v_add_co_ci_u32_e32 v84, vcc_lo, v4, v84, vcc_lo
	s_clause 0x3
	global_store_b32 v[34:35], v15, off
	global_store_b32 v[32:33], v16, off
	global_store_b32 v[81:82], v13, off
	global_store_b32 v[83:84], v14, off
	v_lshlrev_b64 v[32:33], 2, v[30:31]
	v_sub_nc_u32_e32 v30, v61, v3
	v_add_co_u32 v34, vcc_lo, v2, v85
	v_add_co_ci_u32_e32 v35, vcc_lo, v4, v86, vcc_lo
	s_delay_alu instid0(VALU_DEP_3) | instskip(SKIP_3) | instid1(VALU_DEP_3)
	v_lshlrev_b64 v[81:82], 2, v[30:31]
	v_sub_nc_u32_e32 v30, v57, v3
	v_add_co_u32 v32, vcc_lo, v2, v32
	v_add_co_ci_u32_e32 v33, vcc_lo, v4, v33, vcc_lo
	v_lshlrev_b64 v[30:31], 2, v[30:31]
	v_add_co_u32 v81, vcc_lo, v2, v81
	v_add_co_ci_u32_e32 v82, vcc_lo, v4, v82, vcc_lo
	s_clause 0x2
	global_store_b32 v[34:35], v11, off
	global_store_b32 v[32:33], v12, off
	;; [unrolled: 1-line block ×3, first 2 shown]
	v_add_co_u32 v30, vcc_lo, v2, v30
	v_add_co_ci_u32_e32 v31, vcc_lo, v4, v31, vcc_lo
	global_store_b32 v[30:31], v10, off
	s_or_b32 exec_lo, exec_lo, s15
	s_delay_alu instid0(SALU_CYCLE_1)
	s_and_b32 exec_lo, exec_lo, s17
	s_cbranch_execnz .LBB572_135
	s_branch .LBB572_136
.LBB572_186:
	s_and_saveexec_b32 s17, s14
	s_cbranch_execnz .LBB572_250
; %bb.187:
	s_or_b32 exec_lo, exec_lo, s17
	s_and_saveexec_b32 s14, s13
	s_cbranch_execnz .LBB572_251
.LBB572_188:
	s_or_b32 exec_lo, exec_lo, s14
	s_and_saveexec_b32 s13, s12
	s_cbranch_execnz .LBB572_252
.LBB572_189:
	s_or_b32 exec_lo, exec_lo, s13
	s_and_saveexec_b32 s12, s11
	s_cbranch_execnz .LBB572_253
.LBB572_190:
	s_or_b32 exec_lo, exec_lo, s12
	s_and_saveexec_b32 s11, s10
	s_cbranch_execnz .LBB572_254
.LBB572_191:
	s_or_b32 exec_lo, exec_lo, s11
	s_and_saveexec_b32 s10, s9
	s_cbranch_execnz .LBB572_255
.LBB572_192:
	s_or_b32 exec_lo, exec_lo, s10
	s_and_saveexec_b32 s9, s7
	s_cbranch_execnz .LBB572_256
.LBB572_193:
	s_or_b32 exec_lo, exec_lo, s9
	s_and_saveexec_b32 s7, s5
	s_cbranch_execnz .LBB572_257
.LBB572_194:
	s_or_b32 exec_lo, exec_lo, s7
	s_and_saveexec_b32 s5, s8
	s_cbranch_execnz .LBB572_258
.LBB572_195:
	s_or_b32 exec_lo, exec_lo, s5
	s_and_saveexec_b32 s5, s6
	s_cbranch_execnz .LBB572_259
.LBB572_196:
	s_or_b32 exec_lo, exec_lo, s5
	s_and_saveexec_b32 s5, s4
	s_cbranch_execnz .LBB572_260
.LBB572_197:
	s_or_b32 exec_lo, exec_lo, s5
	s_and_saveexec_b32 s4, s3
	s_cbranch_execnz .LBB572_261
.LBB572_198:
	s_or_b32 exec_lo, exec_lo, s4
	s_and_saveexec_b32 s3, s2
	s_cbranch_execnz .LBB572_262
.LBB572_199:
	s_or_b32 exec_lo, exec_lo, s3
	s_and_saveexec_b32 s2, s1
	s_cbranch_execz .LBB572_201
.LBB572_200:
	v_sub_nc_u32_e32 v9, v57, v3
	s_delay_alu instid0(VALU_DEP_1)
	v_lshlrev_b32_e32 v9, 2, v9
	ds_store_b32 v9, v10
.LBB572_201:
	s_or_b32 exec_lo, exec_lo, s2
	s_delay_alu instid0(SALU_CYCLE_1)
	s_and_b32 s17, s0, exec_lo
                                        ; implicit-def: $vgpr21
                                        ; implicit-def: $vgpr19
                                        ; implicit-def: $vgpr17
                                        ; implicit-def: $vgpr15
                                        ; implicit-def: $vgpr13
                                        ; implicit-def: $vgpr11
                                        ; implicit-def: $vgpr9
	s_and_not1_saveexec_b32 s0, s16
	s_cbranch_execz .LBB572_141
.LBB572_202:
	v_sub_nc_u32_e32 v29, v53, v3
	v_sub_nc_u32_e32 v32, v51, v3
	;; [unrolled: 1-line block ×4, first 2 shown]
	s_or_b32 s17, s17, exec_lo
	v_lshlrev_b32_e32 v29, 2, v29
	v_lshlrev_b32_e32 v32, 2, v32
	;; [unrolled: 1-line block ×4, first 2 shown]
	ds_store_b32 v29, v21
	ds_store_b32 v30, v22
	;; [unrolled: 1-line block ×3, first 2 shown]
	v_sub_nc_u32_e32 v19, v45, v3
	ds_store_b32 v32, v20
	v_sub_nc_u32_e32 v20, v41, v3
	v_sub_nc_u32_e32 v21, v39, v3
	;; [unrolled: 1-line block ×3, first 2 shown]
	v_lshlrev_b32_e32 v19, 2, v19
	v_sub_nc_u32_e32 v29, v47, v3
	v_lshlrev_b32_e32 v20, 2, v20
	v_lshlrev_b32_e32 v21, 2, v21
	;; [unrolled: 1-line block ×3, first 2 shown]
	ds_store_b32 v19, v17
	v_lshlrev_b32_e32 v17, 2, v29
	ds_store_b32 v20, v18
	ds_store_b32 v21, v15
	ds_store_b32 v22, v16
	v_sub_nc_u32_e32 v15, v5, v3
	v_sub_nc_u32_e32 v18, v57, v3
	;; [unrolled: 1-line block ×3, first 2 shown]
	ds_store_b32 v17, v13
	v_sub_nc_u32_e32 v13, v7, v3
	v_lshlrev_b32_e32 v15, 2, v15
	v_sub_nc_u32_e32 v17, v61, v3
	v_lshlrev_b32_e32 v16, 2, v16
	s_delay_alu instid0(VALU_DEP_4)
	v_lshlrev_b32_e32 v13, 2, v13
	ds_store_b32 v15, v14
	v_lshlrev_b32_e32 v14, 2, v18
	v_lshlrev_b32_e32 v17, 2, v17
	ds_store_b32 v13, v11
	ds_store_b32 v16, v12
	;; [unrolled: 1-line block ×4, first 2 shown]
	s_or_b32 exec_lo, exec_lo, s0
	s_delay_alu instid0(SALU_CYCLE_1)
	s_and_b32 exec_lo, exec_lo, s17
	s_cbranch_execnz .LBB572_142
	s_branch .LBB572_143
.LBB572_203:
	s_and_saveexec_b32 s17, s14
	s_cbranch_execnz .LBB572_263
; %bb.204:
	s_or_b32 exec_lo, exec_lo, s17
	s_and_saveexec_b32 s17, s13
	s_cbranch_execnz .LBB572_264
.LBB572_205:
	s_or_b32 exec_lo, exec_lo, s17
	s_and_saveexec_b32 s17, s12
	s_cbranch_execnz .LBB572_265
.LBB572_206:
	s_or_b32 exec_lo, exec_lo, s17
	s_and_saveexec_b32 s17, s11
	s_cbranch_execnz .LBB572_266
.LBB572_207:
	s_or_b32 exec_lo, exec_lo, s17
	s_and_saveexec_b32 s17, s10
	s_cbranch_execnz .LBB572_267
.LBB572_208:
	s_or_b32 exec_lo, exec_lo, s17
	s_and_saveexec_b32 s17, s9
	s_cbranch_execnz .LBB572_268
.LBB572_209:
	s_or_b32 exec_lo, exec_lo, s17
	s_and_saveexec_b32 s17, s8
	s_cbranch_execnz .LBB572_269
.LBB572_210:
	s_or_b32 exec_lo, exec_lo, s17
	s_and_saveexec_b32 s17, s7
	s_cbranch_execnz .LBB572_270
.LBB572_211:
	s_or_b32 exec_lo, exec_lo, s17
	s_and_saveexec_b32 s17, s6
	s_cbranch_execnz .LBB572_271
.LBB572_212:
	s_or_b32 exec_lo, exec_lo, s17
	s_and_saveexec_b32 s17, s5
	s_cbranch_execnz .LBB572_272
.LBB572_213:
	s_or_b32 exec_lo, exec_lo, s17
	s_and_saveexec_b32 s17, s4
	s_cbranch_execnz .LBB572_273
.LBB572_214:
	s_or_b32 exec_lo, exec_lo, s17
	s_and_saveexec_b32 s17, s3
	s_cbranch_execnz .LBB572_274
.LBB572_215:
	s_or_b32 exec_lo, exec_lo, s17
	s_and_saveexec_b32 s17, s2
	s_cbranch_execnz .LBB572_275
.LBB572_216:
	s_or_b32 exec_lo, exec_lo, s17
	s_and_saveexec_b32 s17, s1
	s_cbranch_execz .LBB572_218
.LBB572_217:
	v_sub_nc_u32_e32 v14, v57, v4
	v_mov_b32_e32 v15, 0
	s_delay_alu instid0(VALU_DEP_1) | instskip(NEXT) | instid1(VALU_DEP_1)
	v_lshlrev_b64 v[14:15], 2, v[14:15]
	v_add_co_u32 v14, vcc_lo, v11, v14
	s_delay_alu instid0(VALU_DEP_2)
	v_add_co_ci_u32_e32 v15, vcc_lo, v12, v15, vcc_lo
	global_store_b32 v[14:15], v58, off
.LBB572_218:
	s_or_b32 exec_lo, exec_lo, s17
	s_delay_alu instid0(SALU_CYCLE_1)
	s_and_b32 s17, s0, exec_lo
	s_and_not1_saveexec_b32 s15, s15
	s_cbranch_execz .LBB572_154
.LBB572_219:
	v_sub_nc_u32_e32 v14, v53, v4
	v_mov_b32_e32 v15, 0
	s_or_b32 s17, s17, exec_lo
	s_delay_alu instid0(VALU_DEP_1) | instskip(SKIP_1) | instid1(VALU_DEP_1)
	v_lshlrev_b64 v[16:17], 2, v[14:15]
	v_sub_nc_u32_e32 v14, v59, v4
	v_lshlrev_b64 v[18:19], 2, v[14:15]
	v_sub_nc_u32_e32 v14, v55, v4
	s_delay_alu instid0(VALU_DEP_4) | instskip(SKIP_1) | instid1(VALU_DEP_3)
	v_add_co_u32 v16, vcc_lo, v11, v16
	v_add_co_ci_u32_e32 v17, vcc_lo, v12, v17, vcc_lo
	v_lshlrev_b64 v[20:21], 2, v[14:15]
	v_sub_nc_u32_e32 v14, v51, v4
	v_add_co_u32 v18, vcc_lo, v11, v18
	v_add_co_ci_u32_e32 v19, vcc_lo, v12, v19, vcc_lo
	global_store_b32 v[16:17], v54, off
	v_lshlrev_b64 v[16:17], 2, v[14:15]
	v_sub_nc_u32_e32 v14, v45, v4
	global_store_b32 v[18:19], v60, off
	v_add_co_u32 v18, vcc_lo, v11, v20
	v_add_co_ci_u32_e32 v19, vcc_lo, v12, v21, vcc_lo
	v_lshlrev_b64 v[20:21], 2, v[14:15]
	v_sub_nc_u32_e32 v14, v41, v4
	v_add_co_u32 v16, vcc_lo, v11, v16
	v_add_co_ci_u32_e32 v17, vcc_lo, v12, v17, vcc_lo
	s_delay_alu instid0(VALU_DEP_3) | instskip(SKIP_3) | instid1(VALU_DEP_3)
	v_lshlrev_b64 v[25:26], 2, v[14:15]
	v_sub_nc_u32_e32 v14, v39, v4
	v_add_co_u32 v20, vcc_lo, v11, v20
	v_add_co_ci_u32_e32 v21, vcc_lo, v12, v21, vcc_lo
	v_lshlrev_b64 v[27:28], 2, v[14:15]
	v_sub_nc_u32_e32 v14, v43, v4
	v_add_co_u32 v25, vcc_lo, v11, v25
	v_add_co_ci_u32_e32 v26, vcc_lo, v12, v26, vcc_lo
	s_clause 0x3
	global_store_b32 v[18:19], v56, off
	global_store_b32 v[16:17], v52, off
	;; [unrolled: 1-line block ×4, first 2 shown]
	v_lshlrev_b64 v[16:17], 2, v[14:15]
	v_sub_nc_u32_e32 v14, v47, v4
	v_add_co_u32 v18, vcc_lo, v11, v27
	v_add_co_ci_u32_e32 v19, vcc_lo, v12, v28, vcc_lo
	s_delay_alu instid0(VALU_DEP_3) | instskip(SKIP_3) | instid1(VALU_DEP_3)
	v_lshlrev_b64 v[20:21], 2, v[14:15]
	v_sub_nc_u32_e32 v14, v5, v4
	v_add_co_u32 v16, vcc_lo, v11, v16
	v_add_co_ci_u32_e32 v17, vcc_lo, v12, v17, vcc_lo
	v_lshlrev_b64 v[25:26], 2, v[14:15]
	v_sub_nc_u32_e32 v14, v7, v4
	v_add_co_u32 v20, vcc_lo, v11, v20
	v_add_co_ci_u32_e32 v21, vcc_lo, v12, v21, vcc_lo
	s_delay_alu instid0(VALU_DEP_3)
	v_lshlrev_b64 v[27:28], 2, v[14:15]
	v_sub_nc_u32_e32 v14, v37, v4
	v_add_co_u32 v25, vcc_lo, v11, v25
	v_add_co_ci_u32_e32 v26, vcc_lo, v12, v26, vcc_lo
	s_clause 0x3
	global_store_b32 v[18:19], v40, off
	global_store_b32 v[16:17], v44, off
	;; [unrolled: 1-line block ×4, first 2 shown]
	v_lshlrev_b64 v[16:17], 2, v[14:15]
	v_sub_nc_u32_e32 v14, v61, v4
	v_add_co_u32 v18, vcc_lo, v11, v27
	v_add_co_ci_u32_e32 v19, vcc_lo, v12, v28, vcc_lo
	s_delay_alu instid0(VALU_DEP_3) | instskip(SKIP_3) | instid1(VALU_DEP_3)
	v_lshlrev_b64 v[20:21], 2, v[14:15]
	v_sub_nc_u32_e32 v14, v57, v4
	v_add_co_u32 v16, vcc_lo, v11, v16
	v_add_co_ci_u32_e32 v17, vcc_lo, v12, v17, vcc_lo
	v_lshlrev_b64 v[14:15], 2, v[14:15]
	v_add_co_u32 v20, vcc_lo, v11, v20
	v_add_co_ci_u32_e32 v21, vcc_lo, v12, v21, vcc_lo
	s_clause 0x2
	global_store_b32 v[18:19], v8, off
	global_store_b32 v[16:17], v38, off
	;; [unrolled: 1-line block ×3, first 2 shown]
	v_add_co_u32 v14, vcc_lo, v11, v14
	v_add_co_ci_u32_e32 v15, vcc_lo, v12, v15, vcc_lo
	global_store_b32 v[14:15], v58, off
	s_or_b32 exec_lo, exec_lo, s15
	s_delay_alu instid0(SALU_CYCLE_1)
	s_and_b32 exec_lo, exec_lo, s17
	s_cbranch_execnz .LBB572_155
	s_branch .LBB572_156
.LBB572_220:
	s_and_saveexec_b32 s17, s14
	s_cbranch_execnz .LBB572_276
; %bb.221:
	s_or_b32 exec_lo, exec_lo, s17
	s_and_saveexec_b32 s14, s13
	s_cbranch_execnz .LBB572_277
.LBB572_222:
	s_or_b32 exec_lo, exec_lo, s14
	s_and_saveexec_b32 s13, s12
	s_cbranch_execnz .LBB572_278
.LBB572_223:
	s_or_b32 exec_lo, exec_lo, s13
	s_and_saveexec_b32 s12, s11
	s_cbranch_execnz .LBB572_279
.LBB572_224:
	s_or_b32 exec_lo, exec_lo, s12
	s_and_saveexec_b32 s11, s10
	s_cbranch_execnz .LBB572_280
.LBB572_225:
	s_or_b32 exec_lo, exec_lo, s11
	s_and_saveexec_b32 s10, s9
	s_cbranch_execnz .LBB572_281
.LBB572_226:
	s_or_b32 exec_lo, exec_lo, s10
	s_and_saveexec_b32 s9, s8
	s_cbranch_execnz .LBB572_282
.LBB572_227:
	s_or_b32 exec_lo, exec_lo, s9
	s_and_saveexec_b32 s8, s7
	s_cbranch_execnz .LBB572_283
.LBB572_228:
	s_or_b32 exec_lo, exec_lo, s8
	s_and_saveexec_b32 s7, s6
	s_cbranch_execnz .LBB572_284
.LBB572_229:
	s_or_b32 exec_lo, exec_lo, s7
	s_and_saveexec_b32 s6, s5
	s_cbranch_execnz .LBB572_285
.LBB572_230:
	s_or_b32 exec_lo, exec_lo, s6
	s_and_saveexec_b32 s5, s4
	s_cbranch_execnz .LBB572_286
.LBB572_231:
	s_or_b32 exec_lo, exec_lo, s5
	s_and_saveexec_b32 s4, s3
	s_cbranch_execnz .LBB572_287
.LBB572_232:
	s_or_b32 exec_lo, exec_lo, s4
	s_and_saveexec_b32 s3, s2
	s_cbranch_execnz .LBB572_288
.LBB572_233:
	s_or_b32 exec_lo, exec_lo, s3
	s_and_saveexec_b32 s2, s1
	s_cbranch_execz .LBB572_235
.LBB572_234:
	v_sub_nc_u32_e32 v5, v57, v4
	s_delay_alu instid0(VALU_DEP_1)
	v_lshlrev_b32_e32 v5, 2, v5
	ds_store_b32 v5, v58
.LBB572_235:
	s_or_b32 exec_lo, exec_lo, s2
	s_delay_alu instid0(SALU_CYCLE_1)
	s_and_b32 s17, s0, exec_lo
                                        ; implicit-def: $vgpr53_vgpr54
                                        ; implicit-def: $vgpr59_vgpr60
                                        ; implicit-def: $vgpr55_vgpr56
                                        ; implicit-def: $vgpr51_vgpr52
                                        ; implicit-def: $vgpr45_vgpr46
                                        ; implicit-def: $vgpr41_vgpr42
                                        ; implicit-def: $vgpr39_vgpr40
                                        ; implicit-def: $vgpr43_vgpr44
                                        ; implicit-def: $vgpr47_vgpr48
                                        ; implicit-def: $vgpr5_vgpr6
                                        ; implicit-def: $vgpr7_vgpr8
                                        ; implicit-def: $vgpr37_vgpr38
                                        ; implicit-def: $vgpr61_vgpr62
                                        ; implicit-def: $vgpr57_vgpr58
	s_and_not1_saveexec_b32 s0, s16
	s_cbranch_execz .LBB572_160
.LBB572_236:
	v_sub_nc_u32_e32 v13, v53, v4
	v_sub_nc_u32_e32 v14, v59, v4
	v_sub_nc_u32_e32 v15, v55, v4
	v_sub_nc_u32_e32 v16, v51, v4
	v_sub_nc_u32_e32 v17, v47, v4
	v_lshlrev_b32_e32 v13, 2, v13
	v_lshlrev_b32_e32 v14, 2, v14
	;; [unrolled: 1-line block ×4, first 2 shown]
	v_sub_nc_u32_e32 v5, v5, v4
	ds_store_b32 v13, v54
	ds_store_b32 v14, v60
	;; [unrolled: 1-line block ×3, first 2 shown]
	v_sub_nc_u32_e32 v13, v45, v4
	v_sub_nc_u32_e32 v14, v41, v4
	;; [unrolled: 1-line block ×3, first 2 shown]
	ds_store_b32 v16, v52
	v_sub_nc_u32_e32 v16, v43, v4
	v_lshlrev_b32_e32 v13, 2, v13
	v_lshlrev_b32_e32 v14, 2, v14
	;; [unrolled: 1-line block ×3, first 2 shown]
	v_sub_nc_u32_e32 v7, v7, v4
	v_lshlrev_b32_e32 v16, 2, v16
	ds_store_b32 v13, v46
	v_lshlrev_b32_e32 v13, 2, v17
	ds_store_b32 v14, v42
	ds_store_b32 v15, v40
	;; [unrolled: 1-line block ×3, first 2 shown]
	v_lshlrev_b32_e32 v5, 2, v5
	v_sub_nc_u32_e32 v15, v57, v4
	v_sub_nc_u32_e32 v14, v61, v4
	ds_store_b32 v13, v48
	v_sub_nc_u32_e32 v13, v37, v4
	v_lshlrev_b32_e32 v7, 2, v7
	ds_store_b32 v5, v6
	v_lshlrev_b32_e32 v5, 2, v15
	v_lshlrev_b32_e32 v14, 2, v14
	;; [unrolled: 1-line block ×3, first 2 shown]
	s_or_b32 s17, s17, exec_lo
	ds_store_b32 v7, v8
	ds_store_b32 v13, v38
	;; [unrolled: 1-line block ×4, first 2 shown]
	s_or_b32 exec_lo, exec_lo, s0
	s_delay_alu instid0(SALU_CYCLE_1)
	s_and_b32 exec_lo, exec_lo, s17
	s_cbranch_execnz .LBB572_161
	s_branch .LBB572_162
.LBB572_237:
	v_sub_nc_u32_e32 v30, v53, v3
	v_mov_b32_e32 v31, 0
	s_delay_alu instid0(VALU_DEP_1) | instskip(NEXT) | instid1(VALU_DEP_1)
	v_lshlrev_b64 v[30:31], 2, v[30:31]
	v_add_co_u32 v30, vcc_lo, v2, v30
	s_delay_alu instid0(VALU_DEP_2)
	v_add_co_ci_u32_e32 v31, vcc_lo, v4, v31, vcc_lo
	global_store_b32 v[30:31], v21, off
	s_or_b32 exec_lo, exec_lo, s17
	s_and_saveexec_b32 s17, s13
	s_cbranch_execz .LBB572_171
.LBB572_238:
	v_sub_nc_u32_e32 v30, v59, v3
	v_mov_b32_e32 v31, 0
	s_delay_alu instid0(VALU_DEP_1) | instskip(NEXT) | instid1(VALU_DEP_1)
	v_lshlrev_b64 v[30:31], 2, v[30:31]
	v_add_co_u32 v30, vcc_lo, v2, v30
	s_delay_alu instid0(VALU_DEP_2)
	v_add_co_ci_u32_e32 v31, vcc_lo, v4, v31, vcc_lo
	global_store_b32 v[30:31], v22, off
	s_or_b32 exec_lo, exec_lo, s17
	s_and_saveexec_b32 s17, s12
	s_cbranch_execz .LBB572_172
.LBB572_239:
	v_sub_nc_u32_e32 v30, v55, v3
	v_mov_b32_e32 v31, 0
	s_delay_alu instid0(VALU_DEP_1) | instskip(NEXT) | instid1(VALU_DEP_1)
	v_lshlrev_b64 v[30:31], 2, v[30:31]
	v_add_co_u32 v30, vcc_lo, v2, v30
	s_delay_alu instid0(VALU_DEP_2)
	v_add_co_ci_u32_e32 v31, vcc_lo, v4, v31, vcc_lo
	global_store_b32 v[30:31], v19, off
	s_or_b32 exec_lo, exec_lo, s17
	s_and_saveexec_b32 s17, s11
	s_cbranch_execz .LBB572_173
.LBB572_240:
	v_sub_nc_u32_e32 v30, v51, v3
	v_mov_b32_e32 v31, 0
	s_delay_alu instid0(VALU_DEP_1) | instskip(NEXT) | instid1(VALU_DEP_1)
	v_lshlrev_b64 v[30:31], 2, v[30:31]
	v_add_co_u32 v30, vcc_lo, v2, v30
	s_delay_alu instid0(VALU_DEP_2)
	v_add_co_ci_u32_e32 v31, vcc_lo, v4, v31, vcc_lo
	global_store_b32 v[30:31], v20, off
	s_or_b32 exec_lo, exec_lo, s17
	s_and_saveexec_b32 s17, s10
	s_cbranch_execz .LBB572_174
.LBB572_241:
	v_sub_nc_u32_e32 v30, v45, v3
	v_mov_b32_e32 v31, 0
	s_delay_alu instid0(VALU_DEP_1) | instskip(NEXT) | instid1(VALU_DEP_1)
	v_lshlrev_b64 v[30:31], 2, v[30:31]
	v_add_co_u32 v30, vcc_lo, v2, v30
	s_delay_alu instid0(VALU_DEP_2)
	v_add_co_ci_u32_e32 v31, vcc_lo, v4, v31, vcc_lo
	global_store_b32 v[30:31], v17, off
	s_or_b32 exec_lo, exec_lo, s17
	s_and_saveexec_b32 s17, s9
	s_cbranch_execz .LBB572_175
.LBB572_242:
	v_sub_nc_u32_e32 v30, v41, v3
	v_mov_b32_e32 v31, 0
	s_delay_alu instid0(VALU_DEP_1) | instskip(NEXT) | instid1(VALU_DEP_1)
	v_lshlrev_b64 v[30:31], 2, v[30:31]
	v_add_co_u32 v30, vcc_lo, v2, v30
	s_delay_alu instid0(VALU_DEP_2)
	v_add_co_ci_u32_e32 v31, vcc_lo, v4, v31, vcc_lo
	global_store_b32 v[30:31], v18, off
	s_or_b32 exec_lo, exec_lo, s17
	s_and_saveexec_b32 s17, s7
	s_cbranch_execz .LBB572_176
.LBB572_243:
	v_sub_nc_u32_e32 v30, v39, v3
	v_mov_b32_e32 v31, 0
	s_delay_alu instid0(VALU_DEP_1) | instskip(NEXT) | instid1(VALU_DEP_1)
	v_lshlrev_b64 v[30:31], 2, v[30:31]
	v_add_co_u32 v30, vcc_lo, v2, v30
	s_delay_alu instid0(VALU_DEP_2)
	v_add_co_ci_u32_e32 v31, vcc_lo, v4, v31, vcc_lo
	global_store_b32 v[30:31], v15, off
	s_or_b32 exec_lo, exec_lo, s17
	s_and_saveexec_b32 s17, s5
	s_cbranch_execz .LBB572_177
.LBB572_244:
	v_sub_nc_u32_e32 v30, v43, v3
	v_mov_b32_e32 v31, 0
	s_delay_alu instid0(VALU_DEP_1) | instskip(NEXT) | instid1(VALU_DEP_1)
	v_lshlrev_b64 v[30:31], 2, v[30:31]
	v_add_co_u32 v30, vcc_lo, v2, v30
	s_delay_alu instid0(VALU_DEP_2)
	v_add_co_ci_u32_e32 v31, vcc_lo, v4, v31, vcc_lo
	global_store_b32 v[30:31], v16, off
	s_or_b32 exec_lo, exec_lo, s17
	s_and_saveexec_b32 s17, s8
	s_cbranch_execz .LBB572_178
.LBB572_245:
	v_sub_nc_u32_e32 v30, v47, v3
	v_mov_b32_e32 v31, 0
	s_delay_alu instid0(VALU_DEP_1) | instskip(NEXT) | instid1(VALU_DEP_1)
	v_lshlrev_b64 v[30:31], 2, v[30:31]
	v_add_co_u32 v30, vcc_lo, v2, v30
	s_delay_alu instid0(VALU_DEP_2)
	v_add_co_ci_u32_e32 v31, vcc_lo, v4, v31, vcc_lo
	global_store_b32 v[30:31], v13, off
	s_or_b32 exec_lo, exec_lo, s17
	s_and_saveexec_b32 s17, s6
	s_cbranch_execz .LBB572_179
.LBB572_246:
	v_sub_nc_u32_e32 v30, v5, v3
	v_mov_b32_e32 v31, 0
	s_delay_alu instid0(VALU_DEP_1) | instskip(NEXT) | instid1(VALU_DEP_1)
	v_lshlrev_b64 v[30:31], 2, v[30:31]
	v_add_co_u32 v30, vcc_lo, v2, v30
	s_delay_alu instid0(VALU_DEP_2)
	v_add_co_ci_u32_e32 v31, vcc_lo, v4, v31, vcc_lo
	global_store_b32 v[30:31], v14, off
	s_or_b32 exec_lo, exec_lo, s17
	s_and_saveexec_b32 s17, s4
	s_cbranch_execz .LBB572_180
.LBB572_247:
	v_sub_nc_u32_e32 v30, v7, v3
	v_mov_b32_e32 v31, 0
	s_delay_alu instid0(VALU_DEP_1) | instskip(NEXT) | instid1(VALU_DEP_1)
	v_lshlrev_b64 v[30:31], 2, v[30:31]
	v_add_co_u32 v30, vcc_lo, v2, v30
	s_delay_alu instid0(VALU_DEP_2)
	v_add_co_ci_u32_e32 v31, vcc_lo, v4, v31, vcc_lo
	global_store_b32 v[30:31], v11, off
	s_or_b32 exec_lo, exec_lo, s17
	s_and_saveexec_b32 s17, s3
	s_cbranch_execz .LBB572_181
.LBB572_248:
	v_sub_nc_u32_e32 v30, v37, v3
	v_mov_b32_e32 v31, 0
	s_delay_alu instid0(VALU_DEP_1) | instskip(NEXT) | instid1(VALU_DEP_1)
	v_lshlrev_b64 v[30:31], 2, v[30:31]
	v_add_co_u32 v30, vcc_lo, v2, v30
	s_delay_alu instid0(VALU_DEP_2)
	v_add_co_ci_u32_e32 v31, vcc_lo, v4, v31, vcc_lo
	global_store_b32 v[30:31], v12, off
	s_or_b32 exec_lo, exec_lo, s17
	s_and_saveexec_b32 s17, s2
	s_cbranch_execz .LBB572_182
.LBB572_249:
	v_sub_nc_u32_e32 v30, v61, v3
	v_mov_b32_e32 v31, 0
	s_delay_alu instid0(VALU_DEP_1) | instskip(NEXT) | instid1(VALU_DEP_1)
	v_lshlrev_b64 v[30:31], 2, v[30:31]
	v_add_co_u32 v30, vcc_lo, v2, v30
	s_delay_alu instid0(VALU_DEP_2)
	v_add_co_ci_u32_e32 v31, vcc_lo, v4, v31, vcc_lo
	global_store_b32 v[30:31], v9, off
	s_or_b32 exec_lo, exec_lo, s17
	s_and_saveexec_b32 s17, s1
	s_cbranch_execnz .LBB572_183
	s_branch .LBB572_184
.LBB572_250:
	v_sub_nc_u32_e32 v29, v53, v3
	s_delay_alu instid0(VALU_DEP_1)
	v_lshlrev_b32_e32 v29, 2, v29
	ds_store_b32 v29, v21
	s_or_b32 exec_lo, exec_lo, s17
	s_and_saveexec_b32 s14, s13
	s_cbranch_execz .LBB572_188
.LBB572_251:
	v_sub_nc_u32_e32 v21, v59, v3
	s_delay_alu instid0(VALU_DEP_1)
	v_lshlrev_b32_e32 v21, 2, v21
	ds_store_b32 v21, v22
	s_or_b32 exec_lo, exec_lo, s14
	s_and_saveexec_b32 s13, s12
	s_cbranch_execz .LBB572_189
.LBB572_252:
	v_sub_nc_u32_e32 v21, v55, v3
	s_delay_alu instid0(VALU_DEP_1)
	v_lshlrev_b32_e32 v21, 2, v21
	ds_store_b32 v21, v19
	s_or_b32 exec_lo, exec_lo, s13
	s_and_saveexec_b32 s12, s11
	s_cbranch_execz .LBB572_190
.LBB572_253:
	v_sub_nc_u32_e32 v19, v51, v3
	s_delay_alu instid0(VALU_DEP_1)
	v_lshlrev_b32_e32 v19, 2, v19
	ds_store_b32 v19, v20
	s_or_b32 exec_lo, exec_lo, s12
	s_and_saveexec_b32 s11, s10
	s_cbranch_execz .LBB572_191
.LBB572_254:
	v_sub_nc_u32_e32 v19, v45, v3
	s_delay_alu instid0(VALU_DEP_1)
	v_lshlrev_b32_e32 v19, 2, v19
	ds_store_b32 v19, v17
	s_or_b32 exec_lo, exec_lo, s11
	s_and_saveexec_b32 s10, s9
	s_cbranch_execz .LBB572_192
.LBB572_255:
	v_sub_nc_u32_e32 v17, v41, v3
	s_delay_alu instid0(VALU_DEP_1)
	v_lshlrev_b32_e32 v17, 2, v17
	ds_store_b32 v17, v18
	s_or_b32 exec_lo, exec_lo, s10
	s_and_saveexec_b32 s9, s7
	s_cbranch_execz .LBB572_193
.LBB572_256:
	v_sub_nc_u32_e32 v17, v39, v3
	s_delay_alu instid0(VALU_DEP_1)
	v_lshlrev_b32_e32 v17, 2, v17
	ds_store_b32 v17, v15
	s_or_b32 exec_lo, exec_lo, s9
	s_and_saveexec_b32 s7, s5
	s_cbranch_execz .LBB572_194
.LBB572_257:
	v_sub_nc_u32_e32 v15, v43, v3
	s_delay_alu instid0(VALU_DEP_1)
	v_lshlrev_b32_e32 v15, 2, v15
	ds_store_b32 v15, v16
	s_or_b32 exec_lo, exec_lo, s7
	s_and_saveexec_b32 s5, s8
	s_cbranch_execz .LBB572_195
.LBB572_258:
	v_sub_nc_u32_e32 v15, v47, v3
	s_delay_alu instid0(VALU_DEP_1)
	v_lshlrev_b32_e32 v15, 2, v15
	ds_store_b32 v15, v13
	s_or_b32 exec_lo, exec_lo, s5
	s_and_saveexec_b32 s5, s6
	s_cbranch_execz .LBB572_196
.LBB572_259:
	v_sub_nc_u32_e32 v13, v5, v3
	s_delay_alu instid0(VALU_DEP_1)
	v_lshlrev_b32_e32 v13, 2, v13
	ds_store_b32 v13, v14
	s_or_b32 exec_lo, exec_lo, s5
	s_and_saveexec_b32 s5, s4
	s_cbranch_execz .LBB572_197
.LBB572_260:
	v_sub_nc_u32_e32 v13, v7, v3
	s_delay_alu instid0(VALU_DEP_1)
	v_lshlrev_b32_e32 v13, 2, v13
	ds_store_b32 v13, v11
	s_or_b32 exec_lo, exec_lo, s5
	s_and_saveexec_b32 s4, s3
	s_cbranch_execz .LBB572_198
.LBB572_261:
	v_sub_nc_u32_e32 v11, v37, v3
	s_delay_alu instid0(VALU_DEP_1)
	v_lshlrev_b32_e32 v11, 2, v11
	ds_store_b32 v11, v12
	s_or_b32 exec_lo, exec_lo, s4
	s_and_saveexec_b32 s3, s2
	s_cbranch_execz .LBB572_199
.LBB572_262:
	v_sub_nc_u32_e32 v11, v61, v3
	s_delay_alu instid0(VALU_DEP_1)
	v_lshlrev_b32_e32 v11, 2, v11
	ds_store_b32 v11, v9
	s_or_b32 exec_lo, exec_lo, s3
	s_and_saveexec_b32 s2, s1
	s_cbranch_execnz .LBB572_200
	s_branch .LBB572_201
.LBB572_263:
	v_sub_nc_u32_e32 v14, v53, v4
	v_mov_b32_e32 v15, 0
	s_delay_alu instid0(VALU_DEP_1) | instskip(NEXT) | instid1(VALU_DEP_1)
	v_lshlrev_b64 v[14:15], 2, v[14:15]
	v_add_co_u32 v14, vcc_lo, v11, v14
	s_delay_alu instid0(VALU_DEP_2)
	v_add_co_ci_u32_e32 v15, vcc_lo, v12, v15, vcc_lo
	global_store_b32 v[14:15], v54, off
	s_or_b32 exec_lo, exec_lo, s17
	s_and_saveexec_b32 s17, s13
	s_cbranch_execz .LBB572_205
.LBB572_264:
	v_sub_nc_u32_e32 v14, v59, v4
	v_mov_b32_e32 v15, 0
	s_delay_alu instid0(VALU_DEP_1) | instskip(NEXT) | instid1(VALU_DEP_1)
	v_lshlrev_b64 v[14:15], 2, v[14:15]
	v_add_co_u32 v14, vcc_lo, v11, v14
	s_delay_alu instid0(VALU_DEP_2)
	v_add_co_ci_u32_e32 v15, vcc_lo, v12, v15, vcc_lo
	global_store_b32 v[14:15], v60, off
	s_or_b32 exec_lo, exec_lo, s17
	s_and_saveexec_b32 s17, s12
	s_cbranch_execz .LBB572_206
.LBB572_265:
	v_sub_nc_u32_e32 v14, v55, v4
	v_mov_b32_e32 v15, 0
	s_delay_alu instid0(VALU_DEP_1) | instskip(NEXT) | instid1(VALU_DEP_1)
	v_lshlrev_b64 v[14:15], 2, v[14:15]
	v_add_co_u32 v14, vcc_lo, v11, v14
	s_delay_alu instid0(VALU_DEP_2)
	v_add_co_ci_u32_e32 v15, vcc_lo, v12, v15, vcc_lo
	global_store_b32 v[14:15], v56, off
	s_or_b32 exec_lo, exec_lo, s17
	s_and_saveexec_b32 s17, s11
	s_cbranch_execz .LBB572_207
.LBB572_266:
	v_sub_nc_u32_e32 v14, v51, v4
	v_mov_b32_e32 v15, 0
	s_delay_alu instid0(VALU_DEP_1) | instskip(NEXT) | instid1(VALU_DEP_1)
	v_lshlrev_b64 v[14:15], 2, v[14:15]
	v_add_co_u32 v14, vcc_lo, v11, v14
	s_delay_alu instid0(VALU_DEP_2)
	v_add_co_ci_u32_e32 v15, vcc_lo, v12, v15, vcc_lo
	global_store_b32 v[14:15], v52, off
	s_or_b32 exec_lo, exec_lo, s17
	s_and_saveexec_b32 s17, s10
	s_cbranch_execz .LBB572_208
.LBB572_267:
	v_sub_nc_u32_e32 v14, v45, v4
	v_mov_b32_e32 v15, 0
	s_delay_alu instid0(VALU_DEP_1) | instskip(NEXT) | instid1(VALU_DEP_1)
	v_lshlrev_b64 v[14:15], 2, v[14:15]
	v_add_co_u32 v14, vcc_lo, v11, v14
	s_delay_alu instid0(VALU_DEP_2)
	v_add_co_ci_u32_e32 v15, vcc_lo, v12, v15, vcc_lo
	global_store_b32 v[14:15], v46, off
	s_or_b32 exec_lo, exec_lo, s17
	s_and_saveexec_b32 s17, s9
	s_cbranch_execz .LBB572_209
.LBB572_268:
	v_sub_nc_u32_e32 v14, v41, v4
	v_mov_b32_e32 v15, 0
	s_delay_alu instid0(VALU_DEP_1) | instskip(NEXT) | instid1(VALU_DEP_1)
	v_lshlrev_b64 v[14:15], 2, v[14:15]
	v_add_co_u32 v14, vcc_lo, v11, v14
	s_delay_alu instid0(VALU_DEP_2)
	v_add_co_ci_u32_e32 v15, vcc_lo, v12, v15, vcc_lo
	global_store_b32 v[14:15], v42, off
	s_or_b32 exec_lo, exec_lo, s17
	s_and_saveexec_b32 s17, s8
	s_cbranch_execz .LBB572_210
.LBB572_269:
	v_sub_nc_u32_e32 v14, v39, v4
	v_mov_b32_e32 v15, 0
	s_delay_alu instid0(VALU_DEP_1) | instskip(NEXT) | instid1(VALU_DEP_1)
	v_lshlrev_b64 v[14:15], 2, v[14:15]
	v_add_co_u32 v14, vcc_lo, v11, v14
	s_delay_alu instid0(VALU_DEP_2)
	v_add_co_ci_u32_e32 v15, vcc_lo, v12, v15, vcc_lo
	global_store_b32 v[14:15], v40, off
	s_or_b32 exec_lo, exec_lo, s17
	s_and_saveexec_b32 s17, s7
	s_cbranch_execz .LBB572_211
.LBB572_270:
	v_sub_nc_u32_e32 v14, v43, v4
	v_mov_b32_e32 v15, 0
	s_delay_alu instid0(VALU_DEP_1) | instskip(NEXT) | instid1(VALU_DEP_1)
	v_lshlrev_b64 v[14:15], 2, v[14:15]
	v_add_co_u32 v14, vcc_lo, v11, v14
	s_delay_alu instid0(VALU_DEP_2)
	v_add_co_ci_u32_e32 v15, vcc_lo, v12, v15, vcc_lo
	global_store_b32 v[14:15], v44, off
	s_or_b32 exec_lo, exec_lo, s17
	s_and_saveexec_b32 s17, s6
	s_cbranch_execz .LBB572_212
.LBB572_271:
	v_sub_nc_u32_e32 v14, v47, v4
	v_mov_b32_e32 v15, 0
	s_delay_alu instid0(VALU_DEP_1) | instskip(NEXT) | instid1(VALU_DEP_1)
	v_lshlrev_b64 v[14:15], 2, v[14:15]
	v_add_co_u32 v14, vcc_lo, v11, v14
	s_delay_alu instid0(VALU_DEP_2)
	v_add_co_ci_u32_e32 v15, vcc_lo, v12, v15, vcc_lo
	global_store_b32 v[14:15], v48, off
	s_or_b32 exec_lo, exec_lo, s17
	s_and_saveexec_b32 s17, s5
	s_cbranch_execz .LBB572_213
.LBB572_272:
	v_sub_nc_u32_e32 v14, v5, v4
	v_mov_b32_e32 v15, 0
	s_delay_alu instid0(VALU_DEP_1) | instskip(NEXT) | instid1(VALU_DEP_1)
	v_lshlrev_b64 v[14:15], 2, v[14:15]
	v_add_co_u32 v14, vcc_lo, v11, v14
	s_delay_alu instid0(VALU_DEP_2)
	v_add_co_ci_u32_e32 v15, vcc_lo, v12, v15, vcc_lo
	global_store_b32 v[14:15], v6, off
	s_or_b32 exec_lo, exec_lo, s17
	s_and_saveexec_b32 s17, s4
	s_cbranch_execz .LBB572_214
.LBB572_273:
	v_sub_nc_u32_e32 v14, v7, v4
	v_mov_b32_e32 v15, 0
	s_delay_alu instid0(VALU_DEP_1) | instskip(NEXT) | instid1(VALU_DEP_1)
	v_lshlrev_b64 v[14:15], 2, v[14:15]
	v_add_co_u32 v14, vcc_lo, v11, v14
	s_delay_alu instid0(VALU_DEP_2)
	v_add_co_ci_u32_e32 v15, vcc_lo, v12, v15, vcc_lo
	global_store_b32 v[14:15], v8, off
	s_or_b32 exec_lo, exec_lo, s17
	s_and_saveexec_b32 s17, s3
	s_cbranch_execz .LBB572_215
.LBB572_274:
	v_sub_nc_u32_e32 v14, v37, v4
	v_mov_b32_e32 v15, 0
	s_delay_alu instid0(VALU_DEP_1) | instskip(NEXT) | instid1(VALU_DEP_1)
	v_lshlrev_b64 v[14:15], 2, v[14:15]
	v_add_co_u32 v14, vcc_lo, v11, v14
	s_delay_alu instid0(VALU_DEP_2)
	v_add_co_ci_u32_e32 v15, vcc_lo, v12, v15, vcc_lo
	global_store_b32 v[14:15], v38, off
	s_or_b32 exec_lo, exec_lo, s17
	s_and_saveexec_b32 s17, s2
	s_cbranch_execz .LBB572_216
.LBB572_275:
	v_sub_nc_u32_e32 v14, v61, v4
	v_mov_b32_e32 v15, 0
	s_delay_alu instid0(VALU_DEP_1) | instskip(NEXT) | instid1(VALU_DEP_1)
	v_lshlrev_b64 v[14:15], 2, v[14:15]
	v_add_co_u32 v14, vcc_lo, v11, v14
	s_delay_alu instid0(VALU_DEP_2)
	v_add_co_ci_u32_e32 v15, vcc_lo, v12, v15, vcc_lo
	global_store_b32 v[14:15], v62, off
	s_or_b32 exec_lo, exec_lo, s17
	s_and_saveexec_b32 s17, s1
	s_cbranch_execnz .LBB572_217
	s_branch .LBB572_218
.LBB572_276:
	v_sub_nc_u32_e32 v13, v53, v4
	s_delay_alu instid0(VALU_DEP_1)
	v_lshlrev_b32_e32 v13, 2, v13
	ds_store_b32 v13, v54
	s_or_b32 exec_lo, exec_lo, s17
	s_and_saveexec_b32 s14, s13
	s_cbranch_execz .LBB572_222
.LBB572_277:
	v_sub_nc_u32_e32 v13, v59, v4
	s_delay_alu instid0(VALU_DEP_1)
	v_lshlrev_b32_e32 v13, 2, v13
	ds_store_b32 v13, v60
	s_or_b32 exec_lo, exec_lo, s14
	s_and_saveexec_b32 s13, s12
	s_cbranch_execz .LBB572_223
.LBB572_278:
	v_sub_nc_u32_e32 v13, v55, v4
	s_delay_alu instid0(VALU_DEP_1)
	v_lshlrev_b32_e32 v13, 2, v13
	ds_store_b32 v13, v56
	s_or_b32 exec_lo, exec_lo, s13
	s_and_saveexec_b32 s12, s11
	s_cbranch_execz .LBB572_224
.LBB572_279:
	v_sub_nc_u32_e32 v13, v51, v4
	s_delay_alu instid0(VALU_DEP_1)
	v_lshlrev_b32_e32 v13, 2, v13
	ds_store_b32 v13, v52
	s_or_b32 exec_lo, exec_lo, s12
	s_and_saveexec_b32 s11, s10
	s_cbranch_execz .LBB572_225
.LBB572_280:
	v_sub_nc_u32_e32 v13, v45, v4
	s_delay_alu instid0(VALU_DEP_1)
	v_lshlrev_b32_e32 v13, 2, v13
	ds_store_b32 v13, v46
	s_or_b32 exec_lo, exec_lo, s11
	s_and_saveexec_b32 s10, s9
	s_cbranch_execz .LBB572_226
.LBB572_281:
	v_sub_nc_u32_e32 v13, v41, v4
	s_delay_alu instid0(VALU_DEP_1)
	v_lshlrev_b32_e32 v13, 2, v13
	ds_store_b32 v13, v42
	s_or_b32 exec_lo, exec_lo, s10
	s_and_saveexec_b32 s9, s8
	s_cbranch_execz .LBB572_227
.LBB572_282:
	v_sub_nc_u32_e32 v13, v39, v4
	s_delay_alu instid0(VALU_DEP_1)
	v_lshlrev_b32_e32 v13, 2, v13
	ds_store_b32 v13, v40
	s_or_b32 exec_lo, exec_lo, s9
	s_and_saveexec_b32 s8, s7
	s_cbranch_execz .LBB572_228
.LBB572_283:
	v_sub_nc_u32_e32 v13, v43, v4
	s_delay_alu instid0(VALU_DEP_1)
	v_lshlrev_b32_e32 v13, 2, v13
	ds_store_b32 v13, v44
	s_or_b32 exec_lo, exec_lo, s8
	s_and_saveexec_b32 s7, s6
	s_cbranch_execz .LBB572_229
.LBB572_284:
	v_sub_nc_u32_e32 v13, v47, v4
	s_delay_alu instid0(VALU_DEP_1)
	v_lshlrev_b32_e32 v13, 2, v13
	ds_store_b32 v13, v48
	s_or_b32 exec_lo, exec_lo, s7
	s_and_saveexec_b32 s6, s5
	s_cbranch_execz .LBB572_230
.LBB572_285:
	v_sub_nc_u32_e32 v5, v5, v4
	s_delay_alu instid0(VALU_DEP_1)
	v_lshlrev_b32_e32 v5, 2, v5
	ds_store_b32 v5, v6
	s_or_b32 exec_lo, exec_lo, s6
	s_and_saveexec_b32 s5, s4
	s_cbranch_execz .LBB572_231
.LBB572_286:
	v_sub_nc_u32_e32 v5, v7, v4
	s_delay_alu instid0(VALU_DEP_1)
	v_lshlrev_b32_e32 v5, 2, v5
	ds_store_b32 v5, v8
	s_or_b32 exec_lo, exec_lo, s5
	s_and_saveexec_b32 s4, s3
	s_cbranch_execz .LBB572_232
.LBB572_287:
	v_sub_nc_u32_e32 v5, v37, v4
	s_delay_alu instid0(VALU_DEP_1)
	v_lshlrev_b32_e32 v5, 2, v5
	ds_store_b32 v5, v38
	s_or_b32 exec_lo, exec_lo, s4
	s_and_saveexec_b32 s3, s2
	s_cbranch_execz .LBB572_233
.LBB572_288:
	v_sub_nc_u32_e32 v5, v61, v4
	s_delay_alu instid0(VALU_DEP_1)
	v_lshlrev_b32_e32 v5, 2, v5
	ds_store_b32 v5, v62
	s_or_b32 exec_lo, exec_lo, s3
	s_and_saveexec_b32 s2, s1
	s_cbranch_execnz .LBB572_234
	s_branch .LBB572_235
	.section	.rodata,"a",@progbits
	.p2align	6, 0x0
	.amdhsa_kernel _ZN7rocprim17ROCPRIM_400000_NS6detail17trampoline_kernelINS0_14default_configENS1_29reduce_by_key_config_selectorIiiN6thrust23THRUST_200600_302600_NS4plusIiEEEEZZNS1_33reduce_by_key_impl_wrapped_configILNS1_25lookback_scan_determinismE0ES3_S9_NS6_6detail15normal_iteratorINS6_10device_ptrIiEEEESG_SG_SG_PmS8_NS6_8equal_toIiEEEE10hipError_tPvRmT2_T3_mT4_T5_T6_T7_T8_P12ihipStream_tbENKUlT_T0_E_clISt17integral_constantIbLb1EES10_IbLb0EEEEDaSW_SX_EUlSW_E_NS1_11comp_targetILNS1_3genE9ELNS1_11target_archE1100ELNS1_3gpuE3ELNS1_3repE0EEENS1_30default_config_static_selectorELNS0_4arch9wavefront6targetE0EEEvT1_
		.amdhsa_group_segment_fixed_size 15360
		.amdhsa_private_segment_fixed_size 0
		.amdhsa_kernarg_size 120
		.amdhsa_user_sgpr_count 15
		.amdhsa_user_sgpr_dispatch_ptr 0
		.amdhsa_user_sgpr_queue_ptr 0
		.amdhsa_user_sgpr_kernarg_segment_ptr 1
		.amdhsa_user_sgpr_dispatch_id 0
		.amdhsa_user_sgpr_private_segment_size 0
		.amdhsa_wavefront_size32 1
		.amdhsa_uses_dynamic_stack 0
		.amdhsa_enable_private_segment 0
		.amdhsa_system_sgpr_workgroup_id_x 1
		.amdhsa_system_sgpr_workgroup_id_y 0
		.amdhsa_system_sgpr_workgroup_id_z 0
		.amdhsa_system_sgpr_workgroup_info 0
		.amdhsa_system_vgpr_workitem_id 0
		.amdhsa_next_free_vgpr 87
		.amdhsa_next_free_sgpr 48
		.amdhsa_reserve_vcc 1
		.amdhsa_float_round_mode_32 0
		.amdhsa_float_round_mode_16_64 0
		.amdhsa_float_denorm_mode_32 3
		.amdhsa_float_denorm_mode_16_64 3
		.amdhsa_dx10_clamp 1
		.amdhsa_ieee_mode 1
		.amdhsa_fp16_overflow 0
		.amdhsa_workgroup_processor_mode 1
		.amdhsa_memory_ordered 1
		.amdhsa_forward_progress 0
		.amdhsa_shared_vgpr_count 0
		.amdhsa_exception_fp_ieee_invalid_op 0
		.amdhsa_exception_fp_denorm_src 0
		.amdhsa_exception_fp_ieee_div_zero 0
		.amdhsa_exception_fp_ieee_overflow 0
		.amdhsa_exception_fp_ieee_underflow 0
		.amdhsa_exception_fp_ieee_inexact 0
		.amdhsa_exception_int_div_zero 0
	.end_amdhsa_kernel
	.section	.text._ZN7rocprim17ROCPRIM_400000_NS6detail17trampoline_kernelINS0_14default_configENS1_29reduce_by_key_config_selectorIiiN6thrust23THRUST_200600_302600_NS4plusIiEEEEZZNS1_33reduce_by_key_impl_wrapped_configILNS1_25lookback_scan_determinismE0ES3_S9_NS6_6detail15normal_iteratorINS6_10device_ptrIiEEEESG_SG_SG_PmS8_NS6_8equal_toIiEEEE10hipError_tPvRmT2_T3_mT4_T5_T6_T7_T8_P12ihipStream_tbENKUlT_T0_E_clISt17integral_constantIbLb1EES10_IbLb0EEEEDaSW_SX_EUlSW_E_NS1_11comp_targetILNS1_3genE9ELNS1_11target_archE1100ELNS1_3gpuE3ELNS1_3repE0EEENS1_30default_config_static_selectorELNS0_4arch9wavefront6targetE0EEEvT1_,"axG",@progbits,_ZN7rocprim17ROCPRIM_400000_NS6detail17trampoline_kernelINS0_14default_configENS1_29reduce_by_key_config_selectorIiiN6thrust23THRUST_200600_302600_NS4plusIiEEEEZZNS1_33reduce_by_key_impl_wrapped_configILNS1_25lookback_scan_determinismE0ES3_S9_NS6_6detail15normal_iteratorINS6_10device_ptrIiEEEESG_SG_SG_PmS8_NS6_8equal_toIiEEEE10hipError_tPvRmT2_T3_mT4_T5_T6_T7_T8_P12ihipStream_tbENKUlT_T0_E_clISt17integral_constantIbLb1EES10_IbLb0EEEEDaSW_SX_EUlSW_E_NS1_11comp_targetILNS1_3genE9ELNS1_11target_archE1100ELNS1_3gpuE3ELNS1_3repE0EEENS1_30default_config_static_selectorELNS0_4arch9wavefront6targetE0EEEvT1_,comdat
.Lfunc_end572:
	.size	_ZN7rocprim17ROCPRIM_400000_NS6detail17trampoline_kernelINS0_14default_configENS1_29reduce_by_key_config_selectorIiiN6thrust23THRUST_200600_302600_NS4plusIiEEEEZZNS1_33reduce_by_key_impl_wrapped_configILNS1_25lookback_scan_determinismE0ES3_S9_NS6_6detail15normal_iteratorINS6_10device_ptrIiEEEESG_SG_SG_PmS8_NS6_8equal_toIiEEEE10hipError_tPvRmT2_T3_mT4_T5_T6_T7_T8_P12ihipStream_tbENKUlT_T0_E_clISt17integral_constantIbLb1EES10_IbLb0EEEEDaSW_SX_EUlSW_E_NS1_11comp_targetILNS1_3genE9ELNS1_11target_archE1100ELNS1_3gpuE3ELNS1_3repE0EEENS1_30default_config_static_selectorELNS0_4arch9wavefront6targetE0EEEvT1_, .Lfunc_end572-_ZN7rocprim17ROCPRIM_400000_NS6detail17trampoline_kernelINS0_14default_configENS1_29reduce_by_key_config_selectorIiiN6thrust23THRUST_200600_302600_NS4plusIiEEEEZZNS1_33reduce_by_key_impl_wrapped_configILNS1_25lookback_scan_determinismE0ES3_S9_NS6_6detail15normal_iteratorINS6_10device_ptrIiEEEESG_SG_SG_PmS8_NS6_8equal_toIiEEEE10hipError_tPvRmT2_T3_mT4_T5_T6_T7_T8_P12ihipStream_tbENKUlT_T0_E_clISt17integral_constantIbLb1EES10_IbLb0EEEEDaSW_SX_EUlSW_E_NS1_11comp_targetILNS1_3genE9ELNS1_11target_archE1100ELNS1_3gpuE3ELNS1_3repE0EEENS1_30default_config_static_selectorELNS0_4arch9wavefront6targetE0EEEvT1_
                                        ; -- End function
	.section	.AMDGPU.csdata,"",@progbits
; Kernel info:
; codeLenInByte = 17356
; NumSgprs: 50
; NumVgprs: 87
; ScratchSize: 0
; MemoryBound: 0
; FloatMode: 240
; IeeeMode: 1
; LDSByteSize: 15360 bytes/workgroup (compile time only)
; SGPRBlocks: 6
; VGPRBlocks: 10
; NumSGPRsForWavesPerEU: 50
; NumVGPRsForWavesPerEU: 87
; Occupancy: 16
; WaveLimiterHint : 1
; COMPUTE_PGM_RSRC2:SCRATCH_EN: 0
; COMPUTE_PGM_RSRC2:USER_SGPR: 15
; COMPUTE_PGM_RSRC2:TRAP_HANDLER: 0
; COMPUTE_PGM_RSRC2:TGID_X_EN: 1
; COMPUTE_PGM_RSRC2:TGID_Y_EN: 0
; COMPUTE_PGM_RSRC2:TGID_Z_EN: 0
; COMPUTE_PGM_RSRC2:TIDIG_COMP_CNT: 0
	.section	.text._ZN7rocprim17ROCPRIM_400000_NS6detail17trampoline_kernelINS0_14default_configENS1_29reduce_by_key_config_selectorIiiN6thrust23THRUST_200600_302600_NS4plusIiEEEEZZNS1_33reduce_by_key_impl_wrapped_configILNS1_25lookback_scan_determinismE0ES3_S9_NS6_6detail15normal_iteratorINS6_10device_ptrIiEEEESG_SG_SG_PmS8_NS6_8equal_toIiEEEE10hipError_tPvRmT2_T3_mT4_T5_T6_T7_T8_P12ihipStream_tbENKUlT_T0_E_clISt17integral_constantIbLb1EES10_IbLb0EEEEDaSW_SX_EUlSW_E_NS1_11comp_targetILNS1_3genE8ELNS1_11target_archE1030ELNS1_3gpuE2ELNS1_3repE0EEENS1_30default_config_static_selectorELNS0_4arch9wavefront6targetE0EEEvT1_,"axG",@progbits,_ZN7rocprim17ROCPRIM_400000_NS6detail17trampoline_kernelINS0_14default_configENS1_29reduce_by_key_config_selectorIiiN6thrust23THRUST_200600_302600_NS4plusIiEEEEZZNS1_33reduce_by_key_impl_wrapped_configILNS1_25lookback_scan_determinismE0ES3_S9_NS6_6detail15normal_iteratorINS6_10device_ptrIiEEEESG_SG_SG_PmS8_NS6_8equal_toIiEEEE10hipError_tPvRmT2_T3_mT4_T5_T6_T7_T8_P12ihipStream_tbENKUlT_T0_E_clISt17integral_constantIbLb1EES10_IbLb0EEEEDaSW_SX_EUlSW_E_NS1_11comp_targetILNS1_3genE8ELNS1_11target_archE1030ELNS1_3gpuE2ELNS1_3repE0EEENS1_30default_config_static_selectorELNS0_4arch9wavefront6targetE0EEEvT1_,comdat
	.protected	_ZN7rocprim17ROCPRIM_400000_NS6detail17trampoline_kernelINS0_14default_configENS1_29reduce_by_key_config_selectorIiiN6thrust23THRUST_200600_302600_NS4plusIiEEEEZZNS1_33reduce_by_key_impl_wrapped_configILNS1_25lookback_scan_determinismE0ES3_S9_NS6_6detail15normal_iteratorINS6_10device_ptrIiEEEESG_SG_SG_PmS8_NS6_8equal_toIiEEEE10hipError_tPvRmT2_T3_mT4_T5_T6_T7_T8_P12ihipStream_tbENKUlT_T0_E_clISt17integral_constantIbLb1EES10_IbLb0EEEEDaSW_SX_EUlSW_E_NS1_11comp_targetILNS1_3genE8ELNS1_11target_archE1030ELNS1_3gpuE2ELNS1_3repE0EEENS1_30default_config_static_selectorELNS0_4arch9wavefront6targetE0EEEvT1_ ; -- Begin function _ZN7rocprim17ROCPRIM_400000_NS6detail17trampoline_kernelINS0_14default_configENS1_29reduce_by_key_config_selectorIiiN6thrust23THRUST_200600_302600_NS4plusIiEEEEZZNS1_33reduce_by_key_impl_wrapped_configILNS1_25lookback_scan_determinismE0ES3_S9_NS6_6detail15normal_iteratorINS6_10device_ptrIiEEEESG_SG_SG_PmS8_NS6_8equal_toIiEEEE10hipError_tPvRmT2_T3_mT4_T5_T6_T7_T8_P12ihipStream_tbENKUlT_T0_E_clISt17integral_constantIbLb1EES10_IbLb0EEEEDaSW_SX_EUlSW_E_NS1_11comp_targetILNS1_3genE8ELNS1_11target_archE1030ELNS1_3gpuE2ELNS1_3repE0EEENS1_30default_config_static_selectorELNS0_4arch9wavefront6targetE0EEEvT1_
	.globl	_ZN7rocprim17ROCPRIM_400000_NS6detail17trampoline_kernelINS0_14default_configENS1_29reduce_by_key_config_selectorIiiN6thrust23THRUST_200600_302600_NS4plusIiEEEEZZNS1_33reduce_by_key_impl_wrapped_configILNS1_25lookback_scan_determinismE0ES3_S9_NS6_6detail15normal_iteratorINS6_10device_ptrIiEEEESG_SG_SG_PmS8_NS6_8equal_toIiEEEE10hipError_tPvRmT2_T3_mT4_T5_T6_T7_T8_P12ihipStream_tbENKUlT_T0_E_clISt17integral_constantIbLb1EES10_IbLb0EEEEDaSW_SX_EUlSW_E_NS1_11comp_targetILNS1_3genE8ELNS1_11target_archE1030ELNS1_3gpuE2ELNS1_3repE0EEENS1_30default_config_static_selectorELNS0_4arch9wavefront6targetE0EEEvT1_
	.p2align	8
	.type	_ZN7rocprim17ROCPRIM_400000_NS6detail17trampoline_kernelINS0_14default_configENS1_29reduce_by_key_config_selectorIiiN6thrust23THRUST_200600_302600_NS4plusIiEEEEZZNS1_33reduce_by_key_impl_wrapped_configILNS1_25lookback_scan_determinismE0ES3_S9_NS6_6detail15normal_iteratorINS6_10device_ptrIiEEEESG_SG_SG_PmS8_NS6_8equal_toIiEEEE10hipError_tPvRmT2_T3_mT4_T5_T6_T7_T8_P12ihipStream_tbENKUlT_T0_E_clISt17integral_constantIbLb1EES10_IbLb0EEEEDaSW_SX_EUlSW_E_NS1_11comp_targetILNS1_3genE8ELNS1_11target_archE1030ELNS1_3gpuE2ELNS1_3repE0EEENS1_30default_config_static_selectorELNS0_4arch9wavefront6targetE0EEEvT1_,@function
_ZN7rocprim17ROCPRIM_400000_NS6detail17trampoline_kernelINS0_14default_configENS1_29reduce_by_key_config_selectorIiiN6thrust23THRUST_200600_302600_NS4plusIiEEEEZZNS1_33reduce_by_key_impl_wrapped_configILNS1_25lookback_scan_determinismE0ES3_S9_NS6_6detail15normal_iteratorINS6_10device_ptrIiEEEESG_SG_SG_PmS8_NS6_8equal_toIiEEEE10hipError_tPvRmT2_T3_mT4_T5_T6_T7_T8_P12ihipStream_tbENKUlT_T0_E_clISt17integral_constantIbLb1EES10_IbLb0EEEEDaSW_SX_EUlSW_E_NS1_11comp_targetILNS1_3genE8ELNS1_11target_archE1030ELNS1_3gpuE2ELNS1_3repE0EEENS1_30default_config_static_selectorELNS0_4arch9wavefront6targetE0EEEvT1_: ; @_ZN7rocprim17ROCPRIM_400000_NS6detail17trampoline_kernelINS0_14default_configENS1_29reduce_by_key_config_selectorIiiN6thrust23THRUST_200600_302600_NS4plusIiEEEEZZNS1_33reduce_by_key_impl_wrapped_configILNS1_25lookback_scan_determinismE0ES3_S9_NS6_6detail15normal_iteratorINS6_10device_ptrIiEEEESG_SG_SG_PmS8_NS6_8equal_toIiEEEE10hipError_tPvRmT2_T3_mT4_T5_T6_T7_T8_P12ihipStream_tbENKUlT_T0_E_clISt17integral_constantIbLb1EES10_IbLb0EEEEDaSW_SX_EUlSW_E_NS1_11comp_targetILNS1_3genE8ELNS1_11target_archE1030ELNS1_3gpuE2ELNS1_3repE0EEENS1_30default_config_static_selectorELNS0_4arch9wavefront6targetE0EEEvT1_
; %bb.0:
	.section	.rodata,"a",@progbits
	.p2align	6, 0x0
	.amdhsa_kernel _ZN7rocprim17ROCPRIM_400000_NS6detail17trampoline_kernelINS0_14default_configENS1_29reduce_by_key_config_selectorIiiN6thrust23THRUST_200600_302600_NS4plusIiEEEEZZNS1_33reduce_by_key_impl_wrapped_configILNS1_25lookback_scan_determinismE0ES3_S9_NS6_6detail15normal_iteratorINS6_10device_ptrIiEEEESG_SG_SG_PmS8_NS6_8equal_toIiEEEE10hipError_tPvRmT2_T3_mT4_T5_T6_T7_T8_P12ihipStream_tbENKUlT_T0_E_clISt17integral_constantIbLb1EES10_IbLb0EEEEDaSW_SX_EUlSW_E_NS1_11comp_targetILNS1_3genE8ELNS1_11target_archE1030ELNS1_3gpuE2ELNS1_3repE0EEENS1_30default_config_static_selectorELNS0_4arch9wavefront6targetE0EEEvT1_
		.amdhsa_group_segment_fixed_size 0
		.amdhsa_private_segment_fixed_size 0
		.amdhsa_kernarg_size 120
		.amdhsa_user_sgpr_count 15
		.amdhsa_user_sgpr_dispatch_ptr 0
		.amdhsa_user_sgpr_queue_ptr 0
		.amdhsa_user_sgpr_kernarg_segment_ptr 1
		.amdhsa_user_sgpr_dispatch_id 0
		.amdhsa_user_sgpr_private_segment_size 0
		.amdhsa_wavefront_size32 1
		.amdhsa_uses_dynamic_stack 0
		.amdhsa_enable_private_segment 0
		.amdhsa_system_sgpr_workgroup_id_x 1
		.amdhsa_system_sgpr_workgroup_id_y 0
		.amdhsa_system_sgpr_workgroup_id_z 0
		.amdhsa_system_sgpr_workgroup_info 0
		.amdhsa_system_vgpr_workitem_id 0
		.amdhsa_next_free_vgpr 1
		.amdhsa_next_free_sgpr 1
		.amdhsa_reserve_vcc 0
		.amdhsa_float_round_mode_32 0
		.amdhsa_float_round_mode_16_64 0
		.amdhsa_float_denorm_mode_32 3
		.amdhsa_float_denorm_mode_16_64 3
		.amdhsa_dx10_clamp 1
		.amdhsa_ieee_mode 1
		.amdhsa_fp16_overflow 0
		.amdhsa_workgroup_processor_mode 1
		.amdhsa_memory_ordered 1
		.amdhsa_forward_progress 0
		.amdhsa_shared_vgpr_count 0
		.amdhsa_exception_fp_ieee_invalid_op 0
		.amdhsa_exception_fp_denorm_src 0
		.amdhsa_exception_fp_ieee_div_zero 0
		.amdhsa_exception_fp_ieee_overflow 0
		.amdhsa_exception_fp_ieee_underflow 0
		.amdhsa_exception_fp_ieee_inexact 0
		.amdhsa_exception_int_div_zero 0
	.end_amdhsa_kernel
	.section	.text._ZN7rocprim17ROCPRIM_400000_NS6detail17trampoline_kernelINS0_14default_configENS1_29reduce_by_key_config_selectorIiiN6thrust23THRUST_200600_302600_NS4plusIiEEEEZZNS1_33reduce_by_key_impl_wrapped_configILNS1_25lookback_scan_determinismE0ES3_S9_NS6_6detail15normal_iteratorINS6_10device_ptrIiEEEESG_SG_SG_PmS8_NS6_8equal_toIiEEEE10hipError_tPvRmT2_T3_mT4_T5_T6_T7_T8_P12ihipStream_tbENKUlT_T0_E_clISt17integral_constantIbLb1EES10_IbLb0EEEEDaSW_SX_EUlSW_E_NS1_11comp_targetILNS1_3genE8ELNS1_11target_archE1030ELNS1_3gpuE2ELNS1_3repE0EEENS1_30default_config_static_selectorELNS0_4arch9wavefront6targetE0EEEvT1_,"axG",@progbits,_ZN7rocprim17ROCPRIM_400000_NS6detail17trampoline_kernelINS0_14default_configENS1_29reduce_by_key_config_selectorIiiN6thrust23THRUST_200600_302600_NS4plusIiEEEEZZNS1_33reduce_by_key_impl_wrapped_configILNS1_25lookback_scan_determinismE0ES3_S9_NS6_6detail15normal_iteratorINS6_10device_ptrIiEEEESG_SG_SG_PmS8_NS6_8equal_toIiEEEE10hipError_tPvRmT2_T3_mT4_T5_T6_T7_T8_P12ihipStream_tbENKUlT_T0_E_clISt17integral_constantIbLb1EES10_IbLb0EEEEDaSW_SX_EUlSW_E_NS1_11comp_targetILNS1_3genE8ELNS1_11target_archE1030ELNS1_3gpuE2ELNS1_3repE0EEENS1_30default_config_static_selectorELNS0_4arch9wavefront6targetE0EEEvT1_,comdat
.Lfunc_end573:
	.size	_ZN7rocprim17ROCPRIM_400000_NS6detail17trampoline_kernelINS0_14default_configENS1_29reduce_by_key_config_selectorIiiN6thrust23THRUST_200600_302600_NS4plusIiEEEEZZNS1_33reduce_by_key_impl_wrapped_configILNS1_25lookback_scan_determinismE0ES3_S9_NS6_6detail15normal_iteratorINS6_10device_ptrIiEEEESG_SG_SG_PmS8_NS6_8equal_toIiEEEE10hipError_tPvRmT2_T3_mT4_T5_T6_T7_T8_P12ihipStream_tbENKUlT_T0_E_clISt17integral_constantIbLb1EES10_IbLb0EEEEDaSW_SX_EUlSW_E_NS1_11comp_targetILNS1_3genE8ELNS1_11target_archE1030ELNS1_3gpuE2ELNS1_3repE0EEENS1_30default_config_static_selectorELNS0_4arch9wavefront6targetE0EEEvT1_, .Lfunc_end573-_ZN7rocprim17ROCPRIM_400000_NS6detail17trampoline_kernelINS0_14default_configENS1_29reduce_by_key_config_selectorIiiN6thrust23THRUST_200600_302600_NS4plusIiEEEEZZNS1_33reduce_by_key_impl_wrapped_configILNS1_25lookback_scan_determinismE0ES3_S9_NS6_6detail15normal_iteratorINS6_10device_ptrIiEEEESG_SG_SG_PmS8_NS6_8equal_toIiEEEE10hipError_tPvRmT2_T3_mT4_T5_T6_T7_T8_P12ihipStream_tbENKUlT_T0_E_clISt17integral_constantIbLb1EES10_IbLb0EEEEDaSW_SX_EUlSW_E_NS1_11comp_targetILNS1_3genE8ELNS1_11target_archE1030ELNS1_3gpuE2ELNS1_3repE0EEENS1_30default_config_static_selectorELNS0_4arch9wavefront6targetE0EEEvT1_
                                        ; -- End function
	.section	.AMDGPU.csdata,"",@progbits
; Kernel info:
; codeLenInByte = 0
; NumSgprs: 0
; NumVgprs: 0
; ScratchSize: 0
; MemoryBound: 0
; FloatMode: 240
; IeeeMode: 1
; LDSByteSize: 0 bytes/workgroup (compile time only)
; SGPRBlocks: 0
; VGPRBlocks: 0
; NumSGPRsForWavesPerEU: 1
; NumVGPRsForWavesPerEU: 1
; Occupancy: 16
; WaveLimiterHint : 0
; COMPUTE_PGM_RSRC2:SCRATCH_EN: 0
; COMPUTE_PGM_RSRC2:USER_SGPR: 15
; COMPUTE_PGM_RSRC2:TRAP_HANDLER: 0
; COMPUTE_PGM_RSRC2:TGID_X_EN: 1
; COMPUTE_PGM_RSRC2:TGID_Y_EN: 0
; COMPUTE_PGM_RSRC2:TGID_Z_EN: 0
; COMPUTE_PGM_RSRC2:TIDIG_COMP_CNT: 0
	.section	.text._ZN7rocprim17ROCPRIM_400000_NS6detail25reduce_by_key_init_kernelINS1_19lookback_scan_stateINS0_5tupleIJjiEEELb0ELb1EEEiNS1_16block_id_wrapperIjLb1EEEEEvT_jbjPmPT0_T1_,"axG",@progbits,_ZN7rocprim17ROCPRIM_400000_NS6detail25reduce_by_key_init_kernelINS1_19lookback_scan_stateINS0_5tupleIJjiEEELb0ELb1EEEiNS1_16block_id_wrapperIjLb1EEEEEvT_jbjPmPT0_T1_,comdat
	.protected	_ZN7rocprim17ROCPRIM_400000_NS6detail25reduce_by_key_init_kernelINS1_19lookback_scan_stateINS0_5tupleIJjiEEELb0ELb1EEEiNS1_16block_id_wrapperIjLb1EEEEEvT_jbjPmPT0_T1_ ; -- Begin function _ZN7rocprim17ROCPRIM_400000_NS6detail25reduce_by_key_init_kernelINS1_19lookback_scan_stateINS0_5tupleIJjiEEELb0ELb1EEEiNS1_16block_id_wrapperIjLb1EEEEEvT_jbjPmPT0_T1_
	.globl	_ZN7rocprim17ROCPRIM_400000_NS6detail25reduce_by_key_init_kernelINS1_19lookback_scan_stateINS0_5tupleIJjiEEELb0ELb1EEEiNS1_16block_id_wrapperIjLb1EEEEEvT_jbjPmPT0_T1_
	.p2align	8
	.type	_ZN7rocprim17ROCPRIM_400000_NS6detail25reduce_by_key_init_kernelINS1_19lookback_scan_stateINS0_5tupleIJjiEEELb0ELb1EEEiNS1_16block_id_wrapperIjLb1EEEEEvT_jbjPmPT0_T1_,@function
_ZN7rocprim17ROCPRIM_400000_NS6detail25reduce_by_key_init_kernelINS1_19lookback_scan_stateINS0_5tupleIJjiEEELb0ELb1EEEiNS1_16block_id_wrapperIjLb1EEEEEvT_jbjPmPT0_T1_: ; @_ZN7rocprim17ROCPRIM_400000_NS6detail25reduce_by_key_init_kernelINS1_19lookback_scan_stateINS0_5tupleIJjiEEELb0ELb1EEEiNS1_16block_id_wrapperIjLb1EEEEEvT_jbjPmPT0_T1_
; %bb.0:
	s_clause 0x3
	s_load_b32 s14, s[0:1], 0x3c
	s_load_b256 s[4:11], s[0:1], 0x8
	s_load_b64 s[12:13], s[0:1], 0x28
	s_load_b64 s[2:3], s[0:1], 0x0
	s_mov_b32 s1, -1
	s_waitcnt lgkmcnt(0)
	s_and_b32 s0, s14, 0xffff
	s_delay_alu instid0(SALU_CYCLE_1) | instskip(SKIP_1) | instid1(SALU_CYCLE_1)
	v_mad_u64_u32 v[1:2], null, s15, s0, v[0:1]
	s_and_b32 s0, s5, 1
	s_cmp_eq_u32 s0, 0
	s_cbranch_scc0 .LBB574_8
; %bb.1:
	s_cmp_lt_u32 s6, s4
	s_mov_b32 s5, exec_lo
	s_cselect_b32 s0, s6, 0
	s_delay_alu instid0(VALU_DEP_1) | instid1(SALU_CYCLE_1)
	v_cmpx_eq_u32_e64 s0, v1
	s_cbranch_execz .LBB574_7
; %bb.2:
	s_add_i32 s0, s6, 32
	s_mov_b32 s1, 0
	v_mov_b32_e32 v6, 0
	s_lshl_b64 s[6:7], s[0:1], 4
	s_mov_b32 s0, exec_lo
	s_add_u32 s6, s2, s6
	s_addc_u32 s7, s3, s7
	s_delay_alu instid0(SALU_CYCLE_1) | instskip(SKIP_2) | instid1(VALU_DEP_1)
	v_dual_mov_b32 v2, s6 :: v_dual_mov_b32 v3, s7
	;;#ASMSTART
	global_load_dwordx4 v[2:5], v[2:3] off glc	
s_waitcnt vmcnt(0)
	;;#ASMEND
	v_and_b32_e32 v5, 0xff, v4
	v_cmpx_eq_u64_e32 0, v[5:6]
	s_cbranch_execz .LBB574_6
; %bb.3:
	v_dual_mov_b32 v8, s7 :: v_dual_mov_b32 v7, s6
.LBB574_4:                              ; =>This Inner Loop Header: Depth=1
	;;#ASMSTART
	global_load_dwordx4 v[2:5], v[7:8] off glc	
s_waitcnt vmcnt(0)
	;;#ASMEND
	v_and_b32_e32 v5, 0xff, v4
	s_delay_alu instid0(VALU_DEP_1) | instskip(SKIP_1) | instid1(SALU_CYCLE_1)
	v_cmp_ne_u64_e32 vcc_lo, 0, v[5:6]
	s_or_b32 s1, vcc_lo, s1
	s_and_not1_b32 exec_lo, exec_lo, s1
	s_cbranch_execnz .LBB574_4
; %bb.5:
	s_or_b32 exec_lo, exec_lo, s1
.LBB574_6:
	s_delay_alu instid0(SALU_CYCLE_1)
	s_or_b32 exec_lo, exec_lo, s0
	v_mov_b32_e32 v0, 0
	global_load_b64 v[4:5], v0, s[8:9]
	s_waitcnt vmcnt(0)
	v_add_co_u32 v4, vcc_lo, v4, v2
	v_add_co_ci_u32_e32 v5, vcc_lo, 0, v5, vcc_lo
	s_clause 0x1
	global_store_b64 v0, v[4:5], s[8:9]
	global_store_b32 v0, v3, s[10:11]
.LBB574_7:
	s_or_b32 exec_lo, exec_lo, s5
	s_mov_b32 s1, 0
.LBB574_8:
	s_delay_alu instid0(VALU_DEP_1)
	v_cmp_eq_u32_e64 s0, 0, v1
	s_and_not1_b32 vcc_lo, exec_lo, s1
	s_cbranch_vccnz .LBB574_12
; %bb.9:
	s_cmp_lg_u64 s[8:9], 0
	s_cselect_b32 s1, -1, 0
	s_delay_alu instid0(SALU_CYCLE_1) | instskip(NEXT) | instid1(SALU_CYCLE_1)
	s_and_b32 s1, s1, s0
	s_and_saveexec_b32 s0, s1
	s_cbranch_execz .LBB574_11
; %bb.10:
	v_mov_b32_e32 v2, 0
	s_delay_alu instid0(VALU_DEP_1)
	v_mov_b32_e32 v3, v2
	global_store_b64 v2, v[2:3], s[8:9]
.LBB574_11:
	s_or_b32 exec_lo, exec_lo, s0
.LBB574_12:
	s_delay_alu instid0(SALU_CYCLE_1)
	s_mov_b32 s0, exec_lo
	v_cmpx_eq_u32_e32 0, v1
	s_cbranch_execz .LBB574_14
; %bb.13:
	v_mov_b32_e32 v0, 0
	global_store_b32 v0, v0, s[12:13]
.LBB574_14:
	s_or_b32 exec_lo, exec_lo, s0
	s_delay_alu instid0(SALU_CYCLE_1)
	s_mov_b32 s0, exec_lo
	v_cmpx_gt_u32_e64 s4, v1
	s_cbranch_execz .LBB574_16
; %bb.15:
	v_dual_mov_b32 v3, 0 :: v_dual_add_nc_u32 v2, 32, v1
	s_delay_alu instid0(VALU_DEP_1) | instskip(SKIP_2) | instid1(VALU_DEP_3)
	v_lshlrev_b64 v[5:6], 4, v[2:3]
	v_mov_b32_e32 v2, v3
	v_mov_b32_e32 v4, v3
	v_add_co_u32 v7, vcc_lo, s2, v5
	s_delay_alu instid0(VALU_DEP_4)
	v_add_co_ci_u32_e32 v8, vcc_lo, s3, v6, vcc_lo
	v_mov_b32_e32 v5, v3
	global_store_b128 v[7:8], v[2:5], off
.LBB574_16:
	s_or_b32 exec_lo, exec_lo, s0
	s_delay_alu instid0(SALU_CYCLE_1)
	s_mov_b32 s0, exec_lo
	v_cmpx_gt_u32_e32 32, v1
	s_cbranch_execz .LBB574_18
; %bb.17:
	v_dual_mov_b32 v2, 0 :: v_dual_mov_b32 v3, 0xff
	s_delay_alu instid0(VALU_DEP_1) | instskip(SKIP_1) | instid1(VALU_DEP_2)
	v_lshlrev_b64 v[4:5], 4, v[1:2]
	v_mov_b32_e32 v1, v2
	v_add_co_u32 v6, vcc_lo, s2, v4
	s_delay_alu instid0(VALU_DEP_3)
	v_add_co_ci_u32_e32 v7, vcc_lo, s3, v5, vcc_lo
	v_mov_b32_e32 v4, v2
	global_store_b128 v[6:7], v[1:4], off
.LBB574_18:
	s_nop 0
	s_sendmsg sendmsg(MSG_DEALLOC_VGPRS)
	s_endpgm
	.section	.rodata,"a",@progbits
	.p2align	6, 0x0
	.amdhsa_kernel _ZN7rocprim17ROCPRIM_400000_NS6detail25reduce_by_key_init_kernelINS1_19lookback_scan_stateINS0_5tupleIJjiEEELb0ELb1EEEiNS1_16block_id_wrapperIjLb1EEEEEvT_jbjPmPT0_T1_
		.amdhsa_group_segment_fixed_size 0
		.amdhsa_private_segment_fixed_size 0
		.amdhsa_kernarg_size 304
		.amdhsa_user_sgpr_count 15
		.amdhsa_user_sgpr_dispatch_ptr 0
		.amdhsa_user_sgpr_queue_ptr 0
		.amdhsa_user_sgpr_kernarg_segment_ptr 1
		.amdhsa_user_sgpr_dispatch_id 0
		.amdhsa_user_sgpr_private_segment_size 0
		.amdhsa_wavefront_size32 1
		.amdhsa_uses_dynamic_stack 0
		.amdhsa_enable_private_segment 0
		.amdhsa_system_sgpr_workgroup_id_x 1
		.amdhsa_system_sgpr_workgroup_id_y 0
		.amdhsa_system_sgpr_workgroup_id_z 0
		.amdhsa_system_sgpr_workgroup_info 0
		.amdhsa_system_vgpr_workitem_id 0
		.amdhsa_next_free_vgpr 9
		.amdhsa_next_free_sgpr 16
		.amdhsa_reserve_vcc 1
		.amdhsa_float_round_mode_32 0
		.amdhsa_float_round_mode_16_64 0
		.amdhsa_float_denorm_mode_32 3
		.amdhsa_float_denorm_mode_16_64 3
		.amdhsa_dx10_clamp 1
		.amdhsa_ieee_mode 1
		.amdhsa_fp16_overflow 0
		.amdhsa_workgroup_processor_mode 1
		.amdhsa_memory_ordered 1
		.amdhsa_forward_progress 0
		.amdhsa_shared_vgpr_count 0
		.amdhsa_exception_fp_ieee_invalid_op 0
		.amdhsa_exception_fp_denorm_src 0
		.amdhsa_exception_fp_ieee_div_zero 0
		.amdhsa_exception_fp_ieee_overflow 0
		.amdhsa_exception_fp_ieee_underflow 0
		.amdhsa_exception_fp_ieee_inexact 0
		.amdhsa_exception_int_div_zero 0
	.end_amdhsa_kernel
	.section	.text._ZN7rocprim17ROCPRIM_400000_NS6detail25reduce_by_key_init_kernelINS1_19lookback_scan_stateINS0_5tupleIJjiEEELb0ELb1EEEiNS1_16block_id_wrapperIjLb1EEEEEvT_jbjPmPT0_T1_,"axG",@progbits,_ZN7rocprim17ROCPRIM_400000_NS6detail25reduce_by_key_init_kernelINS1_19lookback_scan_stateINS0_5tupleIJjiEEELb0ELb1EEEiNS1_16block_id_wrapperIjLb1EEEEEvT_jbjPmPT0_T1_,comdat
.Lfunc_end574:
	.size	_ZN7rocprim17ROCPRIM_400000_NS6detail25reduce_by_key_init_kernelINS1_19lookback_scan_stateINS0_5tupleIJjiEEELb0ELb1EEEiNS1_16block_id_wrapperIjLb1EEEEEvT_jbjPmPT0_T1_, .Lfunc_end574-_ZN7rocprim17ROCPRIM_400000_NS6detail25reduce_by_key_init_kernelINS1_19lookback_scan_stateINS0_5tupleIJjiEEELb0ELb1EEEiNS1_16block_id_wrapperIjLb1EEEEEvT_jbjPmPT0_T1_
                                        ; -- End function
	.section	.AMDGPU.csdata,"",@progbits
; Kernel info:
; codeLenInByte = 608
; NumSgprs: 18
; NumVgprs: 9
; ScratchSize: 0
; MemoryBound: 0
; FloatMode: 240
; IeeeMode: 1
; LDSByteSize: 0 bytes/workgroup (compile time only)
; SGPRBlocks: 2
; VGPRBlocks: 1
; NumSGPRsForWavesPerEU: 18
; NumVGPRsForWavesPerEU: 9
; Occupancy: 16
; WaveLimiterHint : 0
; COMPUTE_PGM_RSRC2:SCRATCH_EN: 0
; COMPUTE_PGM_RSRC2:USER_SGPR: 15
; COMPUTE_PGM_RSRC2:TRAP_HANDLER: 0
; COMPUTE_PGM_RSRC2:TGID_X_EN: 1
; COMPUTE_PGM_RSRC2:TGID_Y_EN: 0
; COMPUTE_PGM_RSRC2:TGID_Z_EN: 0
; COMPUTE_PGM_RSRC2:TIDIG_COMP_CNT: 0
	.section	.text._ZN7rocprim17ROCPRIM_400000_NS6detail17trampoline_kernelINS0_14default_configENS1_29reduce_by_key_config_selectorIiiN6thrust23THRUST_200600_302600_NS4plusIiEEEEZZNS1_33reduce_by_key_impl_wrapped_configILNS1_25lookback_scan_determinismE0ES3_S9_NS6_6detail15normal_iteratorINS6_10device_ptrIiEEEESG_SG_SG_PmS8_NS6_8equal_toIiEEEE10hipError_tPvRmT2_T3_mT4_T5_T6_T7_T8_P12ihipStream_tbENKUlT_T0_E_clISt17integral_constantIbLb0EES10_IbLb1EEEEDaSW_SX_EUlSW_E_NS1_11comp_targetILNS1_3genE0ELNS1_11target_archE4294967295ELNS1_3gpuE0ELNS1_3repE0EEENS1_30default_config_static_selectorELNS0_4arch9wavefront6targetE0EEEvT1_,"axG",@progbits,_ZN7rocprim17ROCPRIM_400000_NS6detail17trampoline_kernelINS0_14default_configENS1_29reduce_by_key_config_selectorIiiN6thrust23THRUST_200600_302600_NS4plusIiEEEEZZNS1_33reduce_by_key_impl_wrapped_configILNS1_25lookback_scan_determinismE0ES3_S9_NS6_6detail15normal_iteratorINS6_10device_ptrIiEEEESG_SG_SG_PmS8_NS6_8equal_toIiEEEE10hipError_tPvRmT2_T3_mT4_T5_T6_T7_T8_P12ihipStream_tbENKUlT_T0_E_clISt17integral_constantIbLb0EES10_IbLb1EEEEDaSW_SX_EUlSW_E_NS1_11comp_targetILNS1_3genE0ELNS1_11target_archE4294967295ELNS1_3gpuE0ELNS1_3repE0EEENS1_30default_config_static_selectorELNS0_4arch9wavefront6targetE0EEEvT1_,comdat
	.protected	_ZN7rocprim17ROCPRIM_400000_NS6detail17trampoline_kernelINS0_14default_configENS1_29reduce_by_key_config_selectorIiiN6thrust23THRUST_200600_302600_NS4plusIiEEEEZZNS1_33reduce_by_key_impl_wrapped_configILNS1_25lookback_scan_determinismE0ES3_S9_NS6_6detail15normal_iteratorINS6_10device_ptrIiEEEESG_SG_SG_PmS8_NS6_8equal_toIiEEEE10hipError_tPvRmT2_T3_mT4_T5_T6_T7_T8_P12ihipStream_tbENKUlT_T0_E_clISt17integral_constantIbLb0EES10_IbLb1EEEEDaSW_SX_EUlSW_E_NS1_11comp_targetILNS1_3genE0ELNS1_11target_archE4294967295ELNS1_3gpuE0ELNS1_3repE0EEENS1_30default_config_static_selectorELNS0_4arch9wavefront6targetE0EEEvT1_ ; -- Begin function _ZN7rocprim17ROCPRIM_400000_NS6detail17trampoline_kernelINS0_14default_configENS1_29reduce_by_key_config_selectorIiiN6thrust23THRUST_200600_302600_NS4plusIiEEEEZZNS1_33reduce_by_key_impl_wrapped_configILNS1_25lookback_scan_determinismE0ES3_S9_NS6_6detail15normal_iteratorINS6_10device_ptrIiEEEESG_SG_SG_PmS8_NS6_8equal_toIiEEEE10hipError_tPvRmT2_T3_mT4_T5_T6_T7_T8_P12ihipStream_tbENKUlT_T0_E_clISt17integral_constantIbLb0EES10_IbLb1EEEEDaSW_SX_EUlSW_E_NS1_11comp_targetILNS1_3genE0ELNS1_11target_archE4294967295ELNS1_3gpuE0ELNS1_3repE0EEENS1_30default_config_static_selectorELNS0_4arch9wavefront6targetE0EEEvT1_
	.globl	_ZN7rocprim17ROCPRIM_400000_NS6detail17trampoline_kernelINS0_14default_configENS1_29reduce_by_key_config_selectorIiiN6thrust23THRUST_200600_302600_NS4plusIiEEEEZZNS1_33reduce_by_key_impl_wrapped_configILNS1_25lookback_scan_determinismE0ES3_S9_NS6_6detail15normal_iteratorINS6_10device_ptrIiEEEESG_SG_SG_PmS8_NS6_8equal_toIiEEEE10hipError_tPvRmT2_T3_mT4_T5_T6_T7_T8_P12ihipStream_tbENKUlT_T0_E_clISt17integral_constantIbLb0EES10_IbLb1EEEEDaSW_SX_EUlSW_E_NS1_11comp_targetILNS1_3genE0ELNS1_11target_archE4294967295ELNS1_3gpuE0ELNS1_3repE0EEENS1_30default_config_static_selectorELNS0_4arch9wavefront6targetE0EEEvT1_
	.p2align	8
	.type	_ZN7rocprim17ROCPRIM_400000_NS6detail17trampoline_kernelINS0_14default_configENS1_29reduce_by_key_config_selectorIiiN6thrust23THRUST_200600_302600_NS4plusIiEEEEZZNS1_33reduce_by_key_impl_wrapped_configILNS1_25lookback_scan_determinismE0ES3_S9_NS6_6detail15normal_iteratorINS6_10device_ptrIiEEEESG_SG_SG_PmS8_NS6_8equal_toIiEEEE10hipError_tPvRmT2_T3_mT4_T5_T6_T7_T8_P12ihipStream_tbENKUlT_T0_E_clISt17integral_constantIbLb0EES10_IbLb1EEEEDaSW_SX_EUlSW_E_NS1_11comp_targetILNS1_3genE0ELNS1_11target_archE4294967295ELNS1_3gpuE0ELNS1_3repE0EEENS1_30default_config_static_selectorELNS0_4arch9wavefront6targetE0EEEvT1_,@function
_ZN7rocprim17ROCPRIM_400000_NS6detail17trampoline_kernelINS0_14default_configENS1_29reduce_by_key_config_selectorIiiN6thrust23THRUST_200600_302600_NS4plusIiEEEEZZNS1_33reduce_by_key_impl_wrapped_configILNS1_25lookback_scan_determinismE0ES3_S9_NS6_6detail15normal_iteratorINS6_10device_ptrIiEEEESG_SG_SG_PmS8_NS6_8equal_toIiEEEE10hipError_tPvRmT2_T3_mT4_T5_T6_T7_T8_P12ihipStream_tbENKUlT_T0_E_clISt17integral_constantIbLb0EES10_IbLb1EEEEDaSW_SX_EUlSW_E_NS1_11comp_targetILNS1_3genE0ELNS1_11target_archE4294967295ELNS1_3gpuE0ELNS1_3repE0EEENS1_30default_config_static_selectorELNS0_4arch9wavefront6targetE0EEEvT1_: ; @_ZN7rocprim17ROCPRIM_400000_NS6detail17trampoline_kernelINS0_14default_configENS1_29reduce_by_key_config_selectorIiiN6thrust23THRUST_200600_302600_NS4plusIiEEEEZZNS1_33reduce_by_key_impl_wrapped_configILNS1_25lookback_scan_determinismE0ES3_S9_NS6_6detail15normal_iteratorINS6_10device_ptrIiEEEESG_SG_SG_PmS8_NS6_8equal_toIiEEEE10hipError_tPvRmT2_T3_mT4_T5_T6_T7_T8_P12ihipStream_tbENKUlT_T0_E_clISt17integral_constantIbLb0EES10_IbLb1EEEEDaSW_SX_EUlSW_E_NS1_11comp_targetILNS1_3genE0ELNS1_11target_archE4294967295ELNS1_3gpuE0ELNS1_3repE0EEENS1_30default_config_static_selectorELNS0_4arch9wavefront6targetE0EEEvT1_
; %bb.0:
	.section	.rodata,"a",@progbits
	.p2align	6, 0x0
	.amdhsa_kernel _ZN7rocprim17ROCPRIM_400000_NS6detail17trampoline_kernelINS0_14default_configENS1_29reduce_by_key_config_selectorIiiN6thrust23THRUST_200600_302600_NS4plusIiEEEEZZNS1_33reduce_by_key_impl_wrapped_configILNS1_25lookback_scan_determinismE0ES3_S9_NS6_6detail15normal_iteratorINS6_10device_ptrIiEEEESG_SG_SG_PmS8_NS6_8equal_toIiEEEE10hipError_tPvRmT2_T3_mT4_T5_T6_T7_T8_P12ihipStream_tbENKUlT_T0_E_clISt17integral_constantIbLb0EES10_IbLb1EEEEDaSW_SX_EUlSW_E_NS1_11comp_targetILNS1_3genE0ELNS1_11target_archE4294967295ELNS1_3gpuE0ELNS1_3repE0EEENS1_30default_config_static_selectorELNS0_4arch9wavefront6targetE0EEEvT1_
		.amdhsa_group_segment_fixed_size 0
		.amdhsa_private_segment_fixed_size 0
		.amdhsa_kernarg_size 120
		.amdhsa_user_sgpr_count 15
		.amdhsa_user_sgpr_dispatch_ptr 0
		.amdhsa_user_sgpr_queue_ptr 0
		.amdhsa_user_sgpr_kernarg_segment_ptr 1
		.amdhsa_user_sgpr_dispatch_id 0
		.amdhsa_user_sgpr_private_segment_size 0
		.amdhsa_wavefront_size32 1
		.amdhsa_uses_dynamic_stack 0
		.amdhsa_enable_private_segment 0
		.amdhsa_system_sgpr_workgroup_id_x 1
		.amdhsa_system_sgpr_workgroup_id_y 0
		.amdhsa_system_sgpr_workgroup_id_z 0
		.amdhsa_system_sgpr_workgroup_info 0
		.amdhsa_system_vgpr_workitem_id 0
		.amdhsa_next_free_vgpr 1
		.amdhsa_next_free_sgpr 1
		.amdhsa_reserve_vcc 0
		.amdhsa_float_round_mode_32 0
		.amdhsa_float_round_mode_16_64 0
		.amdhsa_float_denorm_mode_32 3
		.amdhsa_float_denorm_mode_16_64 3
		.amdhsa_dx10_clamp 1
		.amdhsa_ieee_mode 1
		.amdhsa_fp16_overflow 0
		.amdhsa_workgroup_processor_mode 1
		.amdhsa_memory_ordered 1
		.amdhsa_forward_progress 0
		.amdhsa_shared_vgpr_count 0
		.amdhsa_exception_fp_ieee_invalid_op 0
		.amdhsa_exception_fp_denorm_src 0
		.amdhsa_exception_fp_ieee_div_zero 0
		.amdhsa_exception_fp_ieee_overflow 0
		.amdhsa_exception_fp_ieee_underflow 0
		.amdhsa_exception_fp_ieee_inexact 0
		.amdhsa_exception_int_div_zero 0
	.end_amdhsa_kernel
	.section	.text._ZN7rocprim17ROCPRIM_400000_NS6detail17trampoline_kernelINS0_14default_configENS1_29reduce_by_key_config_selectorIiiN6thrust23THRUST_200600_302600_NS4plusIiEEEEZZNS1_33reduce_by_key_impl_wrapped_configILNS1_25lookback_scan_determinismE0ES3_S9_NS6_6detail15normal_iteratorINS6_10device_ptrIiEEEESG_SG_SG_PmS8_NS6_8equal_toIiEEEE10hipError_tPvRmT2_T3_mT4_T5_T6_T7_T8_P12ihipStream_tbENKUlT_T0_E_clISt17integral_constantIbLb0EES10_IbLb1EEEEDaSW_SX_EUlSW_E_NS1_11comp_targetILNS1_3genE0ELNS1_11target_archE4294967295ELNS1_3gpuE0ELNS1_3repE0EEENS1_30default_config_static_selectorELNS0_4arch9wavefront6targetE0EEEvT1_,"axG",@progbits,_ZN7rocprim17ROCPRIM_400000_NS6detail17trampoline_kernelINS0_14default_configENS1_29reduce_by_key_config_selectorIiiN6thrust23THRUST_200600_302600_NS4plusIiEEEEZZNS1_33reduce_by_key_impl_wrapped_configILNS1_25lookback_scan_determinismE0ES3_S9_NS6_6detail15normal_iteratorINS6_10device_ptrIiEEEESG_SG_SG_PmS8_NS6_8equal_toIiEEEE10hipError_tPvRmT2_T3_mT4_T5_T6_T7_T8_P12ihipStream_tbENKUlT_T0_E_clISt17integral_constantIbLb0EES10_IbLb1EEEEDaSW_SX_EUlSW_E_NS1_11comp_targetILNS1_3genE0ELNS1_11target_archE4294967295ELNS1_3gpuE0ELNS1_3repE0EEENS1_30default_config_static_selectorELNS0_4arch9wavefront6targetE0EEEvT1_,comdat
.Lfunc_end575:
	.size	_ZN7rocprim17ROCPRIM_400000_NS6detail17trampoline_kernelINS0_14default_configENS1_29reduce_by_key_config_selectorIiiN6thrust23THRUST_200600_302600_NS4plusIiEEEEZZNS1_33reduce_by_key_impl_wrapped_configILNS1_25lookback_scan_determinismE0ES3_S9_NS6_6detail15normal_iteratorINS6_10device_ptrIiEEEESG_SG_SG_PmS8_NS6_8equal_toIiEEEE10hipError_tPvRmT2_T3_mT4_T5_T6_T7_T8_P12ihipStream_tbENKUlT_T0_E_clISt17integral_constantIbLb0EES10_IbLb1EEEEDaSW_SX_EUlSW_E_NS1_11comp_targetILNS1_3genE0ELNS1_11target_archE4294967295ELNS1_3gpuE0ELNS1_3repE0EEENS1_30default_config_static_selectorELNS0_4arch9wavefront6targetE0EEEvT1_, .Lfunc_end575-_ZN7rocprim17ROCPRIM_400000_NS6detail17trampoline_kernelINS0_14default_configENS1_29reduce_by_key_config_selectorIiiN6thrust23THRUST_200600_302600_NS4plusIiEEEEZZNS1_33reduce_by_key_impl_wrapped_configILNS1_25lookback_scan_determinismE0ES3_S9_NS6_6detail15normal_iteratorINS6_10device_ptrIiEEEESG_SG_SG_PmS8_NS6_8equal_toIiEEEE10hipError_tPvRmT2_T3_mT4_T5_T6_T7_T8_P12ihipStream_tbENKUlT_T0_E_clISt17integral_constantIbLb0EES10_IbLb1EEEEDaSW_SX_EUlSW_E_NS1_11comp_targetILNS1_3genE0ELNS1_11target_archE4294967295ELNS1_3gpuE0ELNS1_3repE0EEENS1_30default_config_static_selectorELNS0_4arch9wavefront6targetE0EEEvT1_
                                        ; -- End function
	.section	.AMDGPU.csdata,"",@progbits
; Kernel info:
; codeLenInByte = 0
; NumSgprs: 0
; NumVgprs: 0
; ScratchSize: 0
; MemoryBound: 0
; FloatMode: 240
; IeeeMode: 1
; LDSByteSize: 0 bytes/workgroup (compile time only)
; SGPRBlocks: 0
; VGPRBlocks: 0
; NumSGPRsForWavesPerEU: 1
; NumVGPRsForWavesPerEU: 1
; Occupancy: 16
; WaveLimiterHint : 0
; COMPUTE_PGM_RSRC2:SCRATCH_EN: 0
; COMPUTE_PGM_RSRC2:USER_SGPR: 15
; COMPUTE_PGM_RSRC2:TRAP_HANDLER: 0
; COMPUTE_PGM_RSRC2:TGID_X_EN: 1
; COMPUTE_PGM_RSRC2:TGID_Y_EN: 0
; COMPUTE_PGM_RSRC2:TGID_Z_EN: 0
; COMPUTE_PGM_RSRC2:TIDIG_COMP_CNT: 0
	.section	.text._ZN7rocprim17ROCPRIM_400000_NS6detail17trampoline_kernelINS0_14default_configENS1_29reduce_by_key_config_selectorIiiN6thrust23THRUST_200600_302600_NS4plusIiEEEEZZNS1_33reduce_by_key_impl_wrapped_configILNS1_25lookback_scan_determinismE0ES3_S9_NS6_6detail15normal_iteratorINS6_10device_ptrIiEEEESG_SG_SG_PmS8_NS6_8equal_toIiEEEE10hipError_tPvRmT2_T3_mT4_T5_T6_T7_T8_P12ihipStream_tbENKUlT_T0_E_clISt17integral_constantIbLb0EES10_IbLb1EEEEDaSW_SX_EUlSW_E_NS1_11comp_targetILNS1_3genE5ELNS1_11target_archE942ELNS1_3gpuE9ELNS1_3repE0EEENS1_30default_config_static_selectorELNS0_4arch9wavefront6targetE0EEEvT1_,"axG",@progbits,_ZN7rocprim17ROCPRIM_400000_NS6detail17trampoline_kernelINS0_14default_configENS1_29reduce_by_key_config_selectorIiiN6thrust23THRUST_200600_302600_NS4plusIiEEEEZZNS1_33reduce_by_key_impl_wrapped_configILNS1_25lookback_scan_determinismE0ES3_S9_NS6_6detail15normal_iteratorINS6_10device_ptrIiEEEESG_SG_SG_PmS8_NS6_8equal_toIiEEEE10hipError_tPvRmT2_T3_mT4_T5_T6_T7_T8_P12ihipStream_tbENKUlT_T0_E_clISt17integral_constantIbLb0EES10_IbLb1EEEEDaSW_SX_EUlSW_E_NS1_11comp_targetILNS1_3genE5ELNS1_11target_archE942ELNS1_3gpuE9ELNS1_3repE0EEENS1_30default_config_static_selectorELNS0_4arch9wavefront6targetE0EEEvT1_,comdat
	.protected	_ZN7rocprim17ROCPRIM_400000_NS6detail17trampoline_kernelINS0_14default_configENS1_29reduce_by_key_config_selectorIiiN6thrust23THRUST_200600_302600_NS4plusIiEEEEZZNS1_33reduce_by_key_impl_wrapped_configILNS1_25lookback_scan_determinismE0ES3_S9_NS6_6detail15normal_iteratorINS6_10device_ptrIiEEEESG_SG_SG_PmS8_NS6_8equal_toIiEEEE10hipError_tPvRmT2_T3_mT4_T5_T6_T7_T8_P12ihipStream_tbENKUlT_T0_E_clISt17integral_constantIbLb0EES10_IbLb1EEEEDaSW_SX_EUlSW_E_NS1_11comp_targetILNS1_3genE5ELNS1_11target_archE942ELNS1_3gpuE9ELNS1_3repE0EEENS1_30default_config_static_selectorELNS0_4arch9wavefront6targetE0EEEvT1_ ; -- Begin function _ZN7rocprim17ROCPRIM_400000_NS6detail17trampoline_kernelINS0_14default_configENS1_29reduce_by_key_config_selectorIiiN6thrust23THRUST_200600_302600_NS4plusIiEEEEZZNS1_33reduce_by_key_impl_wrapped_configILNS1_25lookback_scan_determinismE0ES3_S9_NS6_6detail15normal_iteratorINS6_10device_ptrIiEEEESG_SG_SG_PmS8_NS6_8equal_toIiEEEE10hipError_tPvRmT2_T3_mT4_T5_T6_T7_T8_P12ihipStream_tbENKUlT_T0_E_clISt17integral_constantIbLb0EES10_IbLb1EEEEDaSW_SX_EUlSW_E_NS1_11comp_targetILNS1_3genE5ELNS1_11target_archE942ELNS1_3gpuE9ELNS1_3repE0EEENS1_30default_config_static_selectorELNS0_4arch9wavefront6targetE0EEEvT1_
	.globl	_ZN7rocprim17ROCPRIM_400000_NS6detail17trampoline_kernelINS0_14default_configENS1_29reduce_by_key_config_selectorIiiN6thrust23THRUST_200600_302600_NS4plusIiEEEEZZNS1_33reduce_by_key_impl_wrapped_configILNS1_25lookback_scan_determinismE0ES3_S9_NS6_6detail15normal_iteratorINS6_10device_ptrIiEEEESG_SG_SG_PmS8_NS6_8equal_toIiEEEE10hipError_tPvRmT2_T3_mT4_T5_T6_T7_T8_P12ihipStream_tbENKUlT_T0_E_clISt17integral_constantIbLb0EES10_IbLb1EEEEDaSW_SX_EUlSW_E_NS1_11comp_targetILNS1_3genE5ELNS1_11target_archE942ELNS1_3gpuE9ELNS1_3repE0EEENS1_30default_config_static_selectorELNS0_4arch9wavefront6targetE0EEEvT1_
	.p2align	8
	.type	_ZN7rocprim17ROCPRIM_400000_NS6detail17trampoline_kernelINS0_14default_configENS1_29reduce_by_key_config_selectorIiiN6thrust23THRUST_200600_302600_NS4plusIiEEEEZZNS1_33reduce_by_key_impl_wrapped_configILNS1_25lookback_scan_determinismE0ES3_S9_NS6_6detail15normal_iteratorINS6_10device_ptrIiEEEESG_SG_SG_PmS8_NS6_8equal_toIiEEEE10hipError_tPvRmT2_T3_mT4_T5_T6_T7_T8_P12ihipStream_tbENKUlT_T0_E_clISt17integral_constantIbLb0EES10_IbLb1EEEEDaSW_SX_EUlSW_E_NS1_11comp_targetILNS1_3genE5ELNS1_11target_archE942ELNS1_3gpuE9ELNS1_3repE0EEENS1_30default_config_static_selectorELNS0_4arch9wavefront6targetE0EEEvT1_,@function
_ZN7rocprim17ROCPRIM_400000_NS6detail17trampoline_kernelINS0_14default_configENS1_29reduce_by_key_config_selectorIiiN6thrust23THRUST_200600_302600_NS4plusIiEEEEZZNS1_33reduce_by_key_impl_wrapped_configILNS1_25lookback_scan_determinismE0ES3_S9_NS6_6detail15normal_iteratorINS6_10device_ptrIiEEEESG_SG_SG_PmS8_NS6_8equal_toIiEEEE10hipError_tPvRmT2_T3_mT4_T5_T6_T7_T8_P12ihipStream_tbENKUlT_T0_E_clISt17integral_constantIbLb0EES10_IbLb1EEEEDaSW_SX_EUlSW_E_NS1_11comp_targetILNS1_3genE5ELNS1_11target_archE942ELNS1_3gpuE9ELNS1_3repE0EEENS1_30default_config_static_selectorELNS0_4arch9wavefront6targetE0EEEvT1_: ; @_ZN7rocprim17ROCPRIM_400000_NS6detail17trampoline_kernelINS0_14default_configENS1_29reduce_by_key_config_selectorIiiN6thrust23THRUST_200600_302600_NS4plusIiEEEEZZNS1_33reduce_by_key_impl_wrapped_configILNS1_25lookback_scan_determinismE0ES3_S9_NS6_6detail15normal_iteratorINS6_10device_ptrIiEEEESG_SG_SG_PmS8_NS6_8equal_toIiEEEE10hipError_tPvRmT2_T3_mT4_T5_T6_T7_T8_P12ihipStream_tbENKUlT_T0_E_clISt17integral_constantIbLb0EES10_IbLb1EEEEDaSW_SX_EUlSW_E_NS1_11comp_targetILNS1_3genE5ELNS1_11target_archE942ELNS1_3gpuE9ELNS1_3repE0EEENS1_30default_config_static_selectorELNS0_4arch9wavefront6targetE0EEEvT1_
; %bb.0:
	.section	.rodata,"a",@progbits
	.p2align	6, 0x0
	.amdhsa_kernel _ZN7rocprim17ROCPRIM_400000_NS6detail17trampoline_kernelINS0_14default_configENS1_29reduce_by_key_config_selectorIiiN6thrust23THRUST_200600_302600_NS4plusIiEEEEZZNS1_33reduce_by_key_impl_wrapped_configILNS1_25lookback_scan_determinismE0ES3_S9_NS6_6detail15normal_iteratorINS6_10device_ptrIiEEEESG_SG_SG_PmS8_NS6_8equal_toIiEEEE10hipError_tPvRmT2_T3_mT4_T5_T6_T7_T8_P12ihipStream_tbENKUlT_T0_E_clISt17integral_constantIbLb0EES10_IbLb1EEEEDaSW_SX_EUlSW_E_NS1_11comp_targetILNS1_3genE5ELNS1_11target_archE942ELNS1_3gpuE9ELNS1_3repE0EEENS1_30default_config_static_selectorELNS0_4arch9wavefront6targetE0EEEvT1_
		.amdhsa_group_segment_fixed_size 0
		.amdhsa_private_segment_fixed_size 0
		.amdhsa_kernarg_size 120
		.amdhsa_user_sgpr_count 15
		.amdhsa_user_sgpr_dispatch_ptr 0
		.amdhsa_user_sgpr_queue_ptr 0
		.amdhsa_user_sgpr_kernarg_segment_ptr 1
		.amdhsa_user_sgpr_dispatch_id 0
		.amdhsa_user_sgpr_private_segment_size 0
		.amdhsa_wavefront_size32 1
		.amdhsa_uses_dynamic_stack 0
		.amdhsa_enable_private_segment 0
		.amdhsa_system_sgpr_workgroup_id_x 1
		.amdhsa_system_sgpr_workgroup_id_y 0
		.amdhsa_system_sgpr_workgroup_id_z 0
		.amdhsa_system_sgpr_workgroup_info 0
		.amdhsa_system_vgpr_workitem_id 0
		.amdhsa_next_free_vgpr 1
		.amdhsa_next_free_sgpr 1
		.amdhsa_reserve_vcc 0
		.amdhsa_float_round_mode_32 0
		.amdhsa_float_round_mode_16_64 0
		.amdhsa_float_denorm_mode_32 3
		.amdhsa_float_denorm_mode_16_64 3
		.amdhsa_dx10_clamp 1
		.amdhsa_ieee_mode 1
		.amdhsa_fp16_overflow 0
		.amdhsa_workgroup_processor_mode 1
		.amdhsa_memory_ordered 1
		.amdhsa_forward_progress 0
		.amdhsa_shared_vgpr_count 0
		.amdhsa_exception_fp_ieee_invalid_op 0
		.amdhsa_exception_fp_denorm_src 0
		.amdhsa_exception_fp_ieee_div_zero 0
		.amdhsa_exception_fp_ieee_overflow 0
		.amdhsa_exception_fp_ieee_underflow 0
		.amdhsa_exception_fp_ieee_inexact 0
		.amdhsa_exception_int_div_zero 0
	.end_amdhsa_kernel
	.section	.text._ZN7rocprim17ROCPRIM_400000_NS6detail17trampoline_kernelINS0_14default_configENS1_29reduce_by_key_config_selectorIiiN6thrust23THRUST_200600_302600_NS4plusIiEEEEZZNS1_33reduce_by_key_impl_wrapped_configILNS1_25lookback_scan_determinismE0ES3_S9_NS6_6detail15normal_iteratorINS6_10device_ptrIiEEEESG_SG_SG_PmS8_NS6_8equal_toIiEEEE10hipError_tPvRmT2_T3_mT4_T5_T6_T7_T8_P12ihipStream_tbENKUlT_T0_E_clISt17integral_constantIbLb0EES10_IbLb1EEEEDaSW_SX_EUlSW_E_NS1_11comp_targetILNS1_3genE5ELNS1_11target_archE942ELNS1_3gpuE9ELNS1_3repE0EEENS1_30default_config_static_selectorELNS0_4arch9wavefront6targetE0EEEvT1_,"axG",@progbits,_ZN7rocprim17ROCPRIM_400000_NS6detail17trampoline_kernelINS0_14default_configENS1_29reduce_by_key_config_selectorIiiN6thrust23THRUST_200600_302600_NS4plusIiEEEEZZNS1_33reduce_by_key_impl_wrapped_configILNS1_25lookback_scan_determinismE0ES3_S9_NS6_6detail15normal_iteratorINS6_10device_ptrIiEEEESG_SG_SG_PmS8_NS6_8equal_toIiEEEE10hipError_tPvRmT2_T3_mT4_T5_T6_T7_T8_P12ihipStream_tbENKUlT_T0_E_clISt17integral_constantIbLb0EES10_IbLb1EEEEDaSW_SX_EUlSW_E_NS1_11comp_targetILNS1_3genE5ELNS1_11target_archE942ELNS1_3gpuE9ELNS1_3repE0EEENS1_30default_config_static_selectorELNS0_4arch9wavefront6targetE0EEEvT1_,comdat
.Lfunc_end576:
	.size	_ZN7rocprim17ROCPRIM_400000_NS6detail17trampoline_kernelINS0_14default_configENS1_29reduce_by_key_config_selectorIiiN6thrust23THRUST_200600_302600_NS4plusIiEEEEZZNS1_33reduce_by_key_impl_wrapped_configILNS1_25lookback_scan_determinismE0ES3_S9_NS6_6detail15normal_iteratorINS6_10device_ptrIiEEEESG_SG_SG_PmS8_NS6_8equal_toIiEEEE10hipError_tPvRmT2_T3_mT4_T5_T6_T7_T8_P12ihipStream_tbENKUlT_T0_E_clISt17integral_constantIbLb0EES10_IbLb1EEEEDaSW_SX_EUlSW_E_NS1_11comp_targetILNS1_3genE5ELNS1_11target_archE942ELNS1_3gpuE9ELNS1_3repE0EEENS1_30default_config_static_selectorELNS0_4arch9wavefront6targetE0EEEvT1_, .Lfunc_end576-_ZN7rocprim17ROCPRIM_400000_NS6detail17trampoline_kernelINS0_14default_configENS1_29reduce_by_key_config_selectorIiiN6thrust23THRUST_200600_302600_NS4plusIiEEEEZZNS1_33reduce_by_key_impl_wrapped_configILNS1_25lookback_scan_determinismE0ES3_S9_NS6_6detail15normal_iteratorINS6_10device_ptrIiEEEESG_SG_SG_PmS8_NS6_8equal_toIiEEEE10hipError_tPvRmT2_T3_mT4_T5_T6_T7_T8_P12ihipStream_tbENKUlT_T0_E_clISt17integral_constantIbLb0EES10_IbLb1EEEEDaSW_SX_EUlSW_E_NS1_11comp_targetILNS1_3genE5ELNS1_11target_archE942ELNS1_3gpuE9ELNS1_3repE0EEENS1_30default_config_static_selectorELNS0_4arch9wavefront6targetE0EEEvT1_
                                        ; -- End function
	.section	.AMDGPU.csdata,"",@progbits
; Kernel info:
; codeLenInByte = 0
; NumSgprs: 0
; NumVgprs: 0
; ScratchSize: 0
; MemoryBound: 0
; FloatMode: 240
; IeeeMode: 1
; LDSByteSize: 0 bytes/workgroup (compile time only)
; SGPRBlocks: 0
; VGPRBlocks: 0
; NumSGPRsForWavesPerEU: 1
; NumVGPRsForWavesPerEU: 1
; Occupancy: 16
; WaveLimiterHint : 0
; COMPUTE_PGM_RSRC2:SCRATCH_EN: 0
; COMPUTE_PGM_RSRC2:USER_SGPR: 15
; COMPUTE_PGM_RSRC2:TRAP_HANDLER: 0
; COMPUTE_PGM_RSRC2:TGID_X_EN: 1
; COMPUTE_PGM_RSRC2:TGID_Y_EN: 0
; COMPUTE_PGM_RSRC2:TGID_Z_EN: 0
; COMPUTE_PGM_RSRC2:TIDIG_COMP_CNT: 0
	.section	.text._ZN7rocprim17ROCPRIM_400000_NS6detail17trampoline_kernelINS0_14default_configENS1_29reduce_by_key_config_selectorIiiN6thrust23THRUST_200600_302600_NS4plusIiEEEEZZNS1_33reduce_by_key_impl_wrapped_configILNS1_25lookback_scan_determinismE0ES3_S9_NS6_6detail15normal_iteratorINS6_10device_ptrIiEEEESG_SG_SG_PmS8_NS6_8equal_toIiEEEE10hipError_tPvRmT2_T3_mT4_T5_T6_T7_T8_P12ihipStream_tbENKUlT_T0_E_clISt17integral_constantIbLb0EES10_IbLb1EEEEDaSW_SX_EUlSW_E_NS1_11comp_targetILNS1_3genE4ELNS1_11target_archE910ELNS1_3gpuE8ELNS1_3repE0EEENS1_30default_config_static_selectorELNS0_4arch9wavefront6targetE0EEEvT1_,"axG",@progbits,_ZN7rocprim17ROCPRIM_400000_NS6detail17trampoline_kernelINS0_14default_configENS1_29reduce_by_key_config_selectorIiiN6thrust23THRUST_200600_302600_NS4plusIiEEEEZZNS1_33reduce_by_key_impl_wrapped_configILNS1_25lookback_scan_determinismE0ES3_S9_NS6_6detail15normal_iteratorINS6_10device_ptrIiEEEESG_SG_SG_PmS8_NS6_8equal_toIiEEEE10hipError_tPvRmT2_T3_mT4_T5_T6_T7_T8_P12ihipStream_tbENKUlT_T0_E_clISt17integral_constantIbLb0EES10_IbLb1EEEEDaSW_SX_EUlSW_E_NS1_11comp_targetILNS1_3genE4ELNS1_11target_archE910ELNS1_3gpuE8ELNS1_3repE0EEENS1_30default_config_static_selectorELNS0_4arch9wavefront6targetE0EEEvT1_,comdat
	.protected	_ZN7rocprim17ROCPRIM_400000_NS6detail17trampoline_kernelINS0_14default_configENS1_29reduce_by_key_config_selectorIiiN6thrust23THRUST_200600_302600_NS4plusIiEEEEZZNS1_33reduce_by_key_impl_wrapped_configILNS1_25lookback_scan_determinismE0ES3_S9_NS6_6detail15normal_iteratorINS6_10device_ptrIiEEEESG_SG_SG_PmS8_NS6_8equal_toIiEEEE10hipError_tPvRmT2_T3_mT4_T5_T6_T7_T8_P12ihipStream_tbENKUlT_T0_E_clISt17integral_constantIbLb0EES10_IbLb1EEEEDaSW_SX_EUlSW_E_NS1_11comp_targetILNS1_3genE4ELNS1_11target_archE910ELNS1_3gpuE8ELNS1_3repE0EEENS1_30default_config_static_selectorELNS0_4arch9wavefront6targetE0EEEvT1_ ; -- Begin function _ZN7rocprim17ROCPRIM_400000_NS6detail17trampoline_kernelINS0_14default_configENS1_29reduce_by_key_config_selectorIiiN6thrust23THRUST_200600_302600_NS4plusIiEEEEZZNS1_33reduce_by_key_impl_wrapped_configILNS1_25lookback_scan_determinismE0ES3_S9_NS6_6detail15normal_iteratorINS6_10device_ptrIiEEEESG_SG_SG_PmS8_NS6_8equal_toIiEEEE10hipError_tPvRmT2_T3_mT4_T5_T6_T7_T8_P12ihipStream_tbENKUlT_T0_E_clISt17integral_constantIbLb0EES10_IbLb1EEEEDaSW_SX_EUlSW_E_NS1_11comp_targetILNS1_3genE4ELNS1_11target_archE910ELNS1_3gpuE8ELNS1_3repE0EEENS1_30default_config_static_selectorELNS0_4arch9wavefront6targetE0EEEvT1_
	.globl	_ZN7rocprim17ROCPRIM_400000_NS6detail17trampoline_kernelINS0_14default_configENS1_29reduce_by_key_config_selectorIiiN6thrust23THRUST_200600_302600_NS4plusIiEEEEZZNS1_33reduce_by_key_impl_wrapped_configILNS1_25lookback_scan_determinismE0ES3_S9_NS6_6detail15normal_iteratorINS6_10device_ptrIiEEEESG_SG_SG_PmS8_NS6_8equal_toIiEEEE10hipError_tPvRmT2_T3_mT4_T5_T6_T7_T8_P12ihipStream_tbENKUlT_T0_E_clISt17integral_constantIbLb0EES10_IbLb1EEEEDaSW_SX_EUlSW_E_NS1_11comp_targetILNS1_3genE4ELNS1_11target_archE910ELNS1_3gpuE8ELNS1_3repE0EEENS1_30default_config_static_selectorELNS0_4arch9wavefront6targetE0EEEvT1_
	.p2align	8
	.type	_ZN7rocprim17ROCPRIM_400000_NS6detail17trampoline_kernelINS0_14default_configENS1_29reduce_by_key_config_selectorIiiN6thrust23THRUST_200600_302600_NS4plusIiEEEEZZNS1_33reduce_by_key_impl_wrapped_configILNS1_25lookback_scan_determinismE0ES3_S9_NS6_6detail15normal_iteratorINS6_10device_ptrIiEEEESG_SG_SG_PmS8_NS6_8equal_toIiEEEE10hipError_tPvRmT2_T3_mT4_T5_T6_T7_T8_P12ihipStream_tbENKUlT_T0_E_clISt17integral_constantIbLb0EES10_IbLb1EEEEDaSW_SX_EUlSW_E_NS1_11comp_targetILNS1_3genE4ELNS1_11target_archE910ELNS1_3gpuE8ELNS1_3repE0EEENS1_30default_config_static_selectorELNS0_4arch9wavefront6targetE0EEEvT1_,@function
_ZN7rocprim17ROCPRIM_400000_NS6detail17trampoline_kernelINS0_14default_configENS1_29reduce_by_key_config_selectorIiiN6thrust23THRUST_200600_302600_NS4plusIiEEEEZZNS1_33reduce_by_key_impl_wrapped_configILNS1_25lookback_scan_determinismE0ES3_S9_NS6_6detail15normal_iteratorINS6_10device_ptrIiEEEESG_SG_SG_PmS8_NS6_8equal_toIiEEEE10hipError_tPvRmT2_T3_mT4_T5_T6_T7_T8_P12ihipStream_tbENKUlT_T0_E_clISt17integral_constantIbLb0EES10_IbLb1EEEEDaSW_SX_EUlSW_E_NS1_11comp_targetILNS1_3genE4ELNS1_11target_archE910ELNS1_3gpuE8ELNS1_3repE0EEENS1_30default_config_static_selectorELNS0_4arch9wavefront6targetE0EEEvT1_: ; @_ZN7rocprim17ROCPRIM_400000_NS6detail17trampoline_kernelINS0_14default_configENS1_29reduce_by_key_config_selectorIiiN6thrust23THRUST_200600_302600_NS4plusIiEEEEZZNS1_33reduce_by_key_impl_wrapped_configILNS1_25lookback_scan_determinismE0ES3_S9_NS6_6detail15normal_iteratorINS6_10device_ptrIiEEEESG_SG_SG_PmS8_NS6_8equal_toIiEEEE10hipError_tPvRmT2_T3_mT4_T5_T6_T7_T8_P12ihipStream_tbENKUlT_T0_E_clISt17integral_constantIbLb0EES10_IbLb1EEEEDaSW_SX_EUlSW_E_NS1_11comp_targetILNS1_3genE4ELNS1_11target_archE910ELNS1_3gpuE8ELNS1_3repE0EEENS1_30default_config_static_selectorELNS0_4arch9wavefront6targetE0EEEvT1_
; %bb.0:
	.section	.rodata,"a",@progbits
	.p2align	6, 0x0
	.amdhsa_kernel _ZN7rocprim17ROCPRIM_400000_NS6detail17trampoline_kernelINS0_14default_configENS1_29reduce_by_key_config_selectorIiiN6thrust23THRUST_200600_302600_NS4plusIiEEEEZZNS1_33reduce_by_key_impl_wrapped_configILNS1_25lookback_scan_determinismE0ES3_S9_NS6_6detail15normal_iteratorINS6_10device_ptrIiEEEESG_SG_SG_PmS8_NS6_8equal_toIiEEEE10hipError_tPvRmT2_T3_mT4_T5_T6_T7_T8_P12ihipStream_tbENKUlT_T0_E_clISt17integral_constantIbLb0EES10_IbLb1EEEEDaSW_SX_EUlSW_E_NS1_11comp_targetILNS1_3genE4ELNS1_11target_archE910ELNS1_3gpuE8ELNS1_3repE0EEENS1_30default_config_static_selectorELNS0_4arch9wavefront6targetE0EEEvT1_
		.amdhsa_group_segment_fixed_size 0
		.amdhsa_private_segment_fixed_size 0
		.amdhsa_kernarg_size 120
		.amdhsa_user_sgpr_count 15
		.amdhsa_user_sgpr_dispatch_ptr 0
		.amdhsa_user_sgpr_queue_ptr 0
		.amdhsa_user_sgpr_kernarg_segment_ptr 1
		.amdhsa_user_sgpr_dispatch_id 0
		.amdhsa_user_sgpr_private_segment_size 0
		.amdhsa_wavefront_size32 1
		.amdhsa_uses_dynamic_stack 0
		.amdhsa_enable_private_segment 0
		.amdhsa_system_sgpr_workgroup_id_x 1
		.amdhsa_system_sgpr_workgroup_id_y 0
		.amdhsa_system_sgpr_workgroup_id_z 0
		.amdhsa_system_sgpr_workgroup_info 0
		.amdhsa_system_vgpr_workitem_id 0
		.amdhsa_next_free_vgpr 1
		.amdhsa_next_free_sgpr 1
		.amdhsa_reserve_vcc 0
		.amdhsa_float_round_mode_32 0
		.amdhsa_float_round_mode_16_64 0
		.amdhsa_float_denorm_mode_32 3
		.amdhsa_float_denorm_mode_16_64 3
		.amdhsa_dx10_clamp 1
		.amdhsa_ieee_mode 1
		.amdhsa_fp16_overflow 0
		.amdhsa_workgroup_processor_mode 1
		.amdhsa_memory_ordered 1
		.amdhsa_forward_progress 0
		.amdhsa_shared_vgpr_count 0
		.amdhsa_exception_fp_ieee_invalid_op 0
		.amdhsa_exception_fp_denorm_src 0
		.amdhsa_exception_fp_ieee_div_zero 0
		.amdhsa_exception_fp_ieee_overflow 0
		.amdhsa_exception_fp_ieee_underflow 0
		.amdhsa_exception_fp_ieee_inexact 0
		.amdhsa_exception_int_div_zero 0
	.end_amdhsa_kernel
	.section	.text._ZN7rocprim17ROCPRIM_400000_NS6detail17trampoline_kernelINS0_14default_configENS1_29reduce_by_key_config_selectorIiiN6thrust23THRUST_200600_302600_NS4plusIiEEEEZZNS1_33reduce_by_key_impl_wrapped_configILNS1_25lookback_scan_determinismE0ES3_S9_NS6_6detail15normal_iteratorINS6_10device_ptrIiEEEESG_SG_SG_PmS8_NS6_8equal_toIiEEEE10hipError_tPvRmT2_T3_mT4_T5_T6_T7_T8_P12ihipStream_tbENKUlT_T0_E_clISt17integral_constantIbLb0EES10_IbLb1EEEEDaSW_SX_EUlSW_E_NS1_11comp_targetILNS1_3genE4ELNS1_11target_archE910ELNS1_3gpuE8ELNS1_3repE0EEENS1_30default_config_static_selectorELNS0_4arch9wavefront6targetE0EEEvT1_,"axG",@progbits,_ZN7rocprim17ROCPRIM_400000_NS6detail17trampoline_kernelINS0_14default_configENS1_29reduce_by_key_config_selectorIiiN6thrust23THRUST_200600_302600_NS4plusIiEEEEZZNS1_33reduce_by_key_impl_wrapped_configILNS1_25lookback_scan_determinismE0ES3_S9_NS6_6detail15normal_iteratorINS6_10device_ptrIiEEEESG_SG_SG_PmS8_NS6_8equal_toIiEEEE10hipError_tPvRmT2_T3_mT4_T5_T6_T7_T8_P12ihipStream_tbENKUlT_T0_E_clISt17integral_constantIbLb0EES10_IbLb1EEEEDaSW_SX_EUlSW_E_NS1_11comp_targetILNS1_3genE4ELNS1_11target_archE910ELNS1_3gpuE8ELNS1_3repE0EEENS1_30default_config_static_selectorELNS0_4arch9wavefront6targetE0EEEvT1_,comdat
.Lfunc_end577:
	.size	_ZN7rocprim17ROCPRIM_400000_NS6detail17trampoline_kernelINS0_14default_configENS1_29reduce_by_key_config_selectorIiiN6thrust23THRUST_200600_302600_NS4plusIiEEEEZZNS1_33reduce_by_key_impl_wrapped_configILNS1_25lookback_scan_determinismE0ES3_S9_NS6_6detail15normal_iteratorINS6_10device_ptrIiEEEESG_SG_SG_PmS8_NS6_8equal_toIiEEEE10hipError_tPvRmT2_T3_mT4_T5_T6_T7_T8_P12ihipStream_tbENKUlT_T0_E_clISt17integral_constantIbLb0EES10_IbLb1EEEEDaSW_SX_EUlSW_E_NS1_11comp_targetILNS1_3genE4ELNS1_11target_archE910ELNS1_3gpuE8ELNS1_3repE0EEENS1_30default_config_static_selectorELNS0_4arch9wavefront6targetE0EEEvT1_, .Lfunc_end577-_ZN7rocprim17ROCPRIM_400000_NS6detail17trampoline_kernelINS0_14default_configENS1_29reduce_by_key_config_selectorIiiN6thrust23THRUST_200600_302600_NS4plusIiEEEEZZNS1_33reduce_by_key_impl_wrapped_configILNS1_25lookback_scan_determinismE0ES3_S9_NS6_6detail15normal_iteratorINS6_10device_ptrIiEEEESG_SG_SG_PmS8_NS6_8equal_toIiEEEE10hipError_tPvRmT2_T3_mT4_T5_T6_T7_T8_P12ihipStream_tbENKUlT_T0_E_clISt17integral_constantIbLb0EES10_IbLb1EEEEDaSW_SX_EUlSW_E_NS1_11comp_targetILNS1_3genE4ELNS1_11target_archE910ELNS1_3gpuE8ELNS1_3repE0EEENS1_30default_config_static_selectorELNS0_4arch9wavefront6targetE0EEEvT1_
                                        ; -- End function
	.section	.AMDGPU.csdata,"",@progbits
; Kernel info:
; codeLenInByte = 0
; NumSgprs: 0
; NumVgprs: 0
; ScratchSize: 0
; MemoryBound: 0
; FloatMode: 240
; IeeeMode: 1
; LDSByteSize: 0 bytes/workgroup (compile time only)
; SGPRBlocks: 0
; VGPRBlocks: 0
; NumSGPRsForWavesPerEU: 1
; NumVGPRsForWavesPerEU: 1
; Occupancy: 16
; WaveLimiterHint : 0
; COMPUTE_PGM_RSRC2:SCRATCH_EN: 0
; COMPUTE_PGM_RSRC2:USER_SGPR: 15
; COMPUTE_PGM_RSRC2:TRAP_HANDLER: 0
; COMPUTE_PGM_RSRC2:TGID_X_EN: 1
; COMPUTE_PGM_RSRC2:TGID_Y_EN: 0
; COMPUTE_PGM_RSRC2:TGID_Z_EN: 0
; COMPUTE_PGM_RSRC2:TIDIG_COMP_CNT: 0
	.section	.text._ZN7rocprim17ROCPRIM_400000_NS6detail17trampoline_kernelINS0_14default_configENS1_29reduce_by_key_config_selectorIiiN6thrust23THRUST_200600_302600_NS4plusIiEEEEZZNS1_33reduce_by_key_impl_wrapped_configILNS1_25lookback_scan_determinismE0ES3_S9_NS6_6detail15normal_iteratorINS6_10device_ptrIiEEEESG_SG_SG_PmS8_NS6_8equal_toIiEEEE10hipError_tPvRmT2_T3_mT4_T5_T6_T7_T8_P12ihipStream_tbENKUlT_T0_E_clISt17integral_constantIbLb0EES10_IbLb1EEEEDaSW_SX_EUlSW_E_NS1_11comp_targetILNS1_3genE3ELNS1_11target_archE908ELNS1_3gpuE7ELNS1_3repE0EEENS1_30default_config_static_selectorELNS0_4arch9wavefront6targetE0EEEvT1_,"axG",@progbits,_ZN7rocprim17ROCPRIM_400000_NS6detail17trampoline_kernelINS0_14default_configENS1_29reduce_by_key_config_selectorIiiN6thrust23THRUST_200600_302600_NS4plusIiEEEEZZNS1_33reduce_by_key_impl_wrapped_configILNS1_25lookback_scan_determinismE0ES3_S9_NS6_6detail15normal_iteratorINS6_10device_ptrIiEEEESG_SG_SG_PmS8_NS6_8equal_toIiEEEE10hipError_tPvRmT2_T3_mT4_T5_T6_T7_T8_P12ihipStream_tbENKUlT_T0_E_clISt17integral_constantIbLb0EES10_IbLb1EEEEDaSW_SX_EUlSW_E_NS1_11comp_targetILNS1_3genE3ELNS1_11target_archE908ELNS1_3gpuE7ELNS1_3repE0EEENS1_30default_config_static_selectorELNS0_4arch9wavefront6targetE0EEEvT1_,comdat
	.protected	_ZN7rocprim17ROCPRIM_400000_NS6detail17trampoline_kernelINS0_14default_configENS1_29reduce_by_key_config_selectorIiiN6thrust23THRUST_200600_302600_NS4plusIiEEEEZZNS1_33reduce_by_key_impl_wrapped_configILNS1_25lookback_scan_determinismE0ES3_S9_NS6_6detail15normal_iteratorINS6_10device_ptrIiEEEESG_SG_SG_PmS8_NS6_8equal_toIiEEEE10hipError_tPvRmT2_T3_mT4_T5_T6_T7_T8_P12ihipStream_tbENKUlT_T0_E_clISt17integral_constantIbLb0EES10_IbLb1EEEEDaSW_SX_EUlSW_E_NS1_11comp_targetILNS1_3genE3ELNS1_11target_archE908ELNS1_3gpuE7ELNS1_3repE0EEENS1_30default_config_static_selectorELNS0_4arch9wavefront6targetE0EEEvT1_ ; -- Begin function _ZN7rocprim17ROCPRIM_400000_NS6detail17trampoline_kernelINS0_14default_configENS1_29reduce_by_key_config_selectorIiiN6thrust23THRUST_200600_302600_NS4plusIiEEEEZZNS1_33reduce_by_key_impl_wrapped_configILNS1_25lookback_scan_determinismE0ES3_S9_NS6_6detail15normal_iteratorINS6_10device_ptrIiEEEESG_SG_SG_PmS8_NS6_8equal_toIiEEEE10hipError_tPvRmT2_T3_mT4_T5_T6_T7_T8_P12ihipStream_tbENKUlT_T0_E_clISt17integral_constantIbLb0EES10_IbLb1EEEEDaSW_SX_EUlSW_E_NS1_11comp_targetILNS1_3genE3ELNS1_11target_archE908ELNS1_3gpuE7ELNS1_3repE0EEENS1_30default_config_static_selectorELNS0_4arch9wavefront6targetE0EEEvT1_
	.globl	_ZN7rocprim17ROCPRIM_400000_NS6detail17trampoline_kernelINS0_14default_configENS1_29reduce_by_key_config_selectorIiiN6thrust23THRUST_200600_302600_NS4plusIiEEEEZZNS1_33reduce_by_key_impl_wrapped_configILNS1_25lookback_scan_determinismE0ES3_S9_NS6_6detail15normal_iteratorINS6_10device_ptrIiEEEESG_SG_SG_PmS8_NS6_8equal_toIiEEEE10hipError_tPvRmT2_T3_mT4_T5_T6_T7_T8_P12ihipStream_tbENKUlT_T0_E_clISt17integral_constantIbLb0EES10_IbLb1EEEEDaSW_SX_EUlSW_E_NS1_11comp_targetILNS1_3genE3ELNS1_11target_archE908ELNS1_3gpuE7ELNS1_3repE0EEENS1_30default_config_static_selectorELNS0_4arch9wavefront6targetE0EEEvT1_
	.p2align	8
	.type	_ZN7rocprim17ROCPRIM_400000_NS6detail17trampoline_kernelINS0_14default_configENS1_29reduce_by_key_config_selectorIiiN6thrust23THRUST_200600_302600_NS4plusIiEEEEZZNS1_33reduce_by_key_impl_wrapped_configILNS1_25lookback_scan_determinismE0ES3_S9_NS6_6detail15normal_iteratorINS6_10device_ptrIiEEEESG_SG_SG_PmS8_NS6_8equal_toIiEEEE10hipError_tPvRmT2_T3_mT4_T5_T6_T7_T8_P12ihipStream_tbENKUlT_T0_E_clISt17integral_constantIbLb0EES10_IbLb1EEEEDaSW_SX_EUlSW_E_NS1_11comp_targetILNS1_3genE3ELNS1_11target_archE908ELNS1_3gpuE7ELNS1_3repE0EEENS1_30default_config_static_selectorELNS0_4arch9wavefront6targetE0EEEvT1_,@function
_ZN7rocprim17ROCPRIM_400000_NS6detail17trampoline_kernelINS0_14default_configENS1_29reduce_by_key_config_selectorIiiN6thrust23THRUST_200600_302600_NS4plusIiEEEEZZNS1_33reduce_by_key_impl_wrapped_configILNS1_25lookback_scan_determinismE0ES3_S9_NS6_6detail15normal_iteratorINS6_10device_ptrIiEEEESG_SG_SG_PmS8_NS6_8equal_toIiEEEE10hipError_tPvRmT2_T3_mT4_T5_T6_T7_T8_P12ihipStream_tbENKUlT_T0_E_clISt17integral_constantIbLb0EES10_IbLb1EEEEDaSW_SX_EUlSW_E_NS1_11comp_targetILNS1_3genE3ELNS1_11target_archE908ELNS1_3gpuE7ELNS1_3repE0EEENS1_30default_config_static_selectorELNS0_4arch9wavefront6targetE0EEEvT1_: ; @_ZN7rocprim17ROCPRIM_400000_NS6detail17trampoline_kernelINS0_14default_configENS1_29reduce_by_key_config_selectorIiiN6thrust23THRUST_200600_302600_NS4plusIiEEEEZZNS1_33reduce_by_key_impl_wrapped_configILNS1_25lookback_scan_determinismE0ES3_S9_NS6_6detail15normal_iteratorINS6_10device_ptrIiEEEESG_SG_SG_PmS8_NS6_8equal_toIiEEEE10hipError_tPvRmT2_T3_mT4_T5_T6_T7_T8_P12ihipStream_tbENKUlT_T0_E_clISt17integral_constantIbLb0EES10_IbLb1EEEEDaSW_SX_EUlSW_E_NS1_11comp_targetILNS1_3genE3ELNS1_11target_archE908ELNS1_3gpuE7ELNS1_3repE0EEENS1_30default_config_static_selectorELNS0_4arch9wavefront6targetE0EEEvT1_
; %bb.0:
	.section	.rodata,"a",@progbits
	.p2align	6, 0x0
	.amdhsa_kernel _ZN7rocprim17ROCPRIM_400000_NS6detail17trampoline_kernelINS0_14default_configENS1_29reduce_by_key_config_selectorIiiN6thrust23THRUST_200600_302600_NS4plusIiEEEEZZNS1_33reduce_by_key_impl_wrapped_configILNS1_25lookback_scan_determinismE0ES3_S9_NS6_6detail15normal_iteratorINS6_10device_ptrIiEEEESG_SG_SG_PmS8_NS6_8equal_toIiEEEE10hipError_tPvRmT2_T3_mT4_T5_T6_T7_T8_P12ihipStream_tbENKUlT_T0_E_clISt17integral_constantIbLb0EES10_IbLb1EEEEDaSW_SX_EUlSW_E_NS1_11comp_targetILNS1_3genE3ELNS1_11target_archE908ELNS1_3gpuE7ELNS1_3repE0EEENS1_30default_config_static_selectorELNS0_4arch9wavefront6targetE0EEEvT1_
		.amdhsa_group_segment_fixed_size 0
		.amdhsa_private_segment_fixed_size 0
		.amdhsa_kernarg_size 120
		.amdhsa_user_sgpr_count 15
		.amdhsa_user_sgpr_dispatch_ptr 0
		.amdhsa_user_sgpr_queue_ptr 0
		.amdhsa_user_sgpr_kernarg_segment_ptr 1
		.amdhsa_user_sgpr_dispatch_id 0
		.amdhsa_user_sgpr_private_segment_size 0
		.amdhsa_wavefront_size32 1
		.amdhsa_uses_dynamic_stack 0
		.amdhsa_enable_private_segment 0
		.amdhsa_system_sgpr_workgroup_id_x 1
		.amdhsa_system_sgpr_workgroup_id_y 0
		.amdhsa_system_sgpr_workgroup_id_z 0
		.amdhsa_system_sgpr_workgroup_info 0
		.amdhsa_system_vgpr_workitem_id 0
		.amdhsa_next_free_vgpr 1
		.amdhsa_next_free_sgpr 1
		.amdhsa_reserve_vcc 0
		.amdhsa_float_round_mode_32 0
		.amdhsa_float_round_mode_16_64 0
		.amdhsa_float_denorm_mode_32 3
		.amdhsa_float_denorm_mode_16_64 3
		.amdhsa_dx10_clamp 1
		.amdhsa_ieee_mode 1
		.amdhsa_fp16_overflow 0
		.amdhsa_workgroup_processor_mode 1
		.amdhsa_memory_ordered 1
		.amdhsa_forward_progress 0
		.amdhsa_shared_vgpr_count 0
		.amdhsa_exception_fp_ieee_invalid_op 0
		.amdhsa_exception_fp_denorm_src 0
		.amdhsa_exception_fp_ieee_div_zero 0
		.amdhsa_exception_fp_ieee_overflow 0
		.amdhsa_exception_fp_ieee_underflow 0
		.amdhsa_exception_fp_ieee_inexact 0
		.amdhsa_exception_int_div_zero 0
	.end_amdhsa_kernel
	.section	.text._ZN7rocprim17ROCPRIM_400000_NS6detail17trampoline_kernelINS0_14default_configENS1_29reduce_by_key_config_selectorIiiN6thrust23THRUST_200600_302600_NS4plusIiEEEEZZNS1_33reduce_by_key_impl_wrapped_configILNS1_25lookback_scan_determinismE0ES3_S9_NS6_6detail15normal_iteratorINS6_10device_ptrIiEEEESG_SG_SG_PmS8_NS6_8equal_toIiEEEE10hipError_tPvRmT2_T3_mT4_T5_T6_T7_T8_P12ihipStream_tbENKUlT_T0_E_clISt17integral_constantIbLb0EES10_IbLb1EEEEDaSW_SX_EUlSW_E_NS1_11comp_targetILNS1_3genE3ELNS1_11target_archE908ELNS1_3gpuE7ELNS1_3repE0EEENS1_30default_config_static_selectorELNS0_4arch9wavefront6targetE0EEEvT1_,"axG",@progbits,_ZN7rocprim17ROCPRIM_400000_NS6detail17trampoline_kernelINS0_14default_configENS1_29reduce_by_key_config_selectorIiiN6thrust23THRUST_200600_302600_NS4plusIiEEEEZZNS1_33reduce_by_key_impl_wrapped_configILNS1_25lookback_scan_determinismE0ES3_S9_NS6_6detail15normal_iteratorINS6_10device_ptrIiEEEESG_SG_SG_PmS8_NS6_8equal_toIiEEEE10hipError_tPvRmT2_T3_mT4_T5_T6_T7_T8_P12ihipStream_tbENKUlT_T0_E_clISt17integral_constantIbLb0EES10_IbLb1EEEEDaSW_SX_EUlSW_E_NS1_11comp_targetILNS1_3genE3ELNS1_11target_archE908ELNS1_3gpuE7ELNS1_3repE0EEENS1_30default_config_static_selectorELNS0_4arch9wavefront6targetE0EEEvT1_,comdat
.Lfunc_end578:
	.size	_ZN7rocprim17ROCPRIM_400000_NS6detail17trampoline_kernelINS0_14default_configENS1_29reduce_by_key_config_selectorIiiN6thrust23THRUST_200600_302600_NS4plusIiEEEEZZNS1_33reduce_by_key_impl_wrapped_configILNS1_25lookback_scan_determinismE0ES3_S9_NS6_6detail15normal_iteratorINS6_10device_ptrIiEEEESG_SG_SG_PmS8_NS6_8equal_toIiEEEE10hipError_tPvRmT2_T3_mT4_T5_T6_T7_T8_P12ihipStream_tbENKUlT_T0_E_clISt17integral_constantIbLb0EES10_IbLb1EEEEDaSW_SX_EUlSW_E_NS1_11comp_targetILNS1_3genE3ELNS1_11target_archE908ELNS1_3gpuE7ELNS1_3repE0EEENS1_30default_config_static_selectorELNS0_4arch9wavefront6targetE0EEEvT1_, .Lfunc_end578-_ZN7rocprim17ROCPRIM_400000_NS6detail17trampoline_kernelINS0_14default_configENS1_29reduce_by_key_config_selectorIiiN6thrust23THRUST_200600_302600_NS4plusIiEEEEZZNS1_33reduce_by_key_impl_wrapped_configILNS1_25lookback_scan_determinismE0ES3_S9_NS6_6detail15normal_iteratorINS6_10device_ptrIiEEEESG_SG_SG_PmS8_NS6_8equal_toIiEEEE10hipError_tPvRmT2_T3_mT4_T5_T6_T7_T8_P12ihipStream_tbENKUlT_T0_E_clISt17integral_constantIbLb0EES10_IbLb1EEEEDaSW_SX_EUlSW_E_NS1_11comp_targetILNS1_3genE3ELNS1_11target_archE908ELNS1_3gpuE7ELNS1_3repE0EEENS1_30default_config_static_selectorELNS0_4arch9wavefront6targetE0EEEvT1_
                                        ; -- End function
	.section	.AMDGPU.csdata,"",@progbits
; Kernel info:
; codeLenInByte = 0
; NumSgprs: 0
; NumVgprs: 0
; ScratchSize: 0
; MemoryBound: 0
; FloatMode: 240
; IeeeMode: 1
; LDSByteSize: 0 bytes/workgroup (compile time only)
; SGPRBlocks: 0
; VGPRBlocks: 0
; NumSGPRsForWavesPerEU: 1
; NumVGPRsForWavesPerEU: 1
; Occupancy: 16
; WaveLimiterHint : 0
; COMPUTE_PGM_RSRC2:SCRATCH_EN: 0
; COMPUTE_PGM_RSRC2:USER_SGPR: 15
; COMPUTE_PGM_RSRC2:TRAP_HANDLER: 0
; COMPUTE_PGM_RSRC2:TGID_X_EN: 1
; COMPUTE_PGM_RSRC2:TGID_Y_EN: 0
; COMPUTE_PGM_RSRC2:TGID_Z_EN: 0
; COMPUTE_PGM_RSRC2:TIDIG_COMP_CNT: 0
	.section	.text._ZN7rocprim17ROCPRIM_400000_NS6detail17trampoline_kernelINS0_14default_configENS1_29reduce_by_key_config_selectorIiiN6thrust23THRUST_200600_302600_NS4plusIiEEEEZZNS1_33reduce_by_key_impl_wrapped_configILNS1_25lookback_scan_determinismE0ES3_S9_NS6_6detail15normal_iteratorINS6_10device_ptrIiEEEESG_SG_SG_PmS8_NS6_8equal_toIiEEEE10hipError_tPvRmT2_T3_mT4_T5_T6_T7_T8_P12ihipStream_tbENKUlT_T0_E_clISt17integral_constantIbLb0EES10_IbLb1EEEEDaSW_SX_EUlSW_E_NS1_11comp_targetILNS1_3genE2ELNS1_11target_archE906ELNS1_3gpuE6ELNS1_3repE0EEENS1_30default_config_static_selectorELNS0_4arch9wavefront6targetE0EEEvT1_,"axG",@progbits,_ZN7rocprim17ROCPRIM_400000_NS6detail17trampoline_kernelINS0_14default_configENS1_29reduce_by_key_config_selectorIiiN6thrust23THRUST_200600_302600_NS4plusIiEEEEZZNS1_33reduce_by_key_impl_wrapped_configILNS1_25lookback_scan_determinismE0ES3_S9_NS6_6detail15normal_iteratorINS6_10device_ptrIiEEEESG_SG_SG_PmS8_NS6_8equal_toIiEEEE10hipError_tPvRmT2_T3_mT4_T5_T6_T7_T8_P12ihipStream_tbENKUlT_T0_E_clISt17integral_constantIbLb0EES10_IbLb1EEEEDaSW_SX_EUlSW_E_NS1_11comp_targetILNS1_3genE2ELNS1_11target_archE906ELNS1_3gpuE6ELNS1_3repE0EEENS1_30default_config_static_selectorELNS0_4arch9wavefront6targetE0EEEvT1_,comdat
	.protected	_ZN7rocprim17ROCPRIM_400000_NS6detail17trampoline_kernelINS0_14default_configENS1_29reduce_by_key_config_selectorIiiN6thrust23THRUST_200600_302600_NS4plusIiEEEEZZNS1_33reduce_by_key_impl_wrapped_configILNS1_25lookback_scan_determinismE0ES3_S9_NS6_6detail15normal_iteratorINS6_10device_ptrIiEEEESG_SG_SG_PmS8_NS6_8equal_toIiEEEE10hipError_tPvRmT2_T3_mT4_T5_T6_T7_T8_P12ihipStream_tbENKUlT_T0_E_clISt17integral_constantIbLb0EES10_IbLb1EEEEDaSW_SX_EUlSW_E_NS1_11comp_targetILNS1_3genE2ELNS1_11target_archE906ELNS1_3gpuE6ELNS1_3repE0EEENS1_30default_config_static_selectorELNS0_4arch9wavefront6targetE0EEEvT1_ ; -- Begin function _ZN7rocprim17ROCPRIM_400000_NS6detail17trampoline_kernelINS0_14default_configENS1_29reduce_by_key_config_selectorIiiN6thrust23THRUST_200600_302600_NS4plusIiEEEEZZNS1_33reduce_by_key_impl_wrapped_configILNS1_25lookback_scan_determinismE0ES3_S9_NS6_6detail15normal_iteratorINS6_10device_ptrIiEEEESG_SG_SG_PmS8_NS6_8equal_toIiEEEE10hipError_tPvRmT2_T3_mT4_T5_T6_T7_T8_P12ihipStream_tbENKUlT_T0_E_clISt17integral_constantIbLb0EES10_IbLb1EEEEDaSW_SX_EUlSW_E_NS1_11comp_targetILNS1_3genE2ELNS1_11target_archE906ELNS1_3gpuE6ELNS1_3repE0EEENS1_30default_config_static_selectorELNS0_4arch9wavefront6targetE0EEEvT1_
	.globl	_ZN7rocprim17ROCPRIM_400000_NS6detail17trampoline_kernelINS0_14default_configENS1_29reduce_by_key_config_selectorIiiN6thrust23THRUST_200600_302600_NS4plusIiEEEEZZNS1_33reduce_by_key_impl_wrapped_configILNS1_25lookback_scan_determinismE0ES3_S9_NS6_6detail15normal_iteratorINS6_10device_ptrIiEEEESG_SG_SG_PmS8_NS6_8equal_toIiEEEE10hipError_tPvRmT2_T3_mT4_T5_T6_T7_T8_P12ihipStream_tbENKUlT_T0_E_clISt17integral_constantIbLb0EES10_IbLb1EEEEDaSW_SX_EUlSW_E_NS1_11comp_targetILNS1_3genE2ELNS1_11target_archE906ELNS1_3gpuE6ELNS1_3repE0EEENS1_30default_config_static_selectorELNS0_4arch9wavefront6targetE0EEEvT1_
	.p2align	8
	.type	_ZN7rocprim17ROCPRIM_400000_NS6detail17trampoline_kernelINS0_14default_configENS1_29reduce_by_key_config_selectorIiiN6thrust23THRUST_200600_302600_NS4plusIiEEEEZZNS1_33reduce_by_key_impl_wrapped_configILNS1_25lookback_scan_determinismE0ES3_S9_NS6_6detail15normal_iteratorINS6_10device_ptrIiEEEESG_SG_SG_PmS8_NS6_8equal_toIiEEEE10hipError_tPvRmT2_T3_mT4_T5_T6_T7_T8_P12ihipStream_tbENKUlT_T0_E_clISt17integral_constantIbLb0EES10_IbLb1EEEEDaSW_SX_EUlSW_E_NS1_11comp_targetILNS1_3genE2ELNS1_11target_archE906ELNS1_3gpuE6ELNS1_3repE0EEENS1_30default_config_static_selectorELNS0_4arch9wavefront6targetE0EEEvT1_,@function
_ZN7rocprim17ROCPRIM_400000_NS6detail17trampoline_kernelINS0_14default_configENS1_29reduce_by_key_config_selectorIiiN6thrust23THRUST_200600_302600_NS4plusIiEEEEZZNS1_33reduce_by_key_impl_wrapped_configILNS1_25lookback_scan_determinismE0ES3_S9_NS6_6detail15normal_iteratorINS6_10device_ptrIiEEEESG_SG_SG_PmS8_NS6_8equal_toIiEEEE10hipError_tPvRmT2_T3_mT4_T5_T6_T7_T8_P12ihipStream_tbENKUlT_T0_E_clISt17integral_constantIbLb0EES10_IbLb1EEEEDaSW_SX_EUlSW_E_NS1_11comp_targetILNS1_3genE2ELNS1_11target_archE906ELNS1_3gpuE6ELNS1_3repE0EEENS1_30default_config_static_selectorELNS0_4arch9wavefront6targetE0EEEvT1_: ; @_ZN7rocprim17ROCPRIM_400000_NS6detail17trampoline_kernelINS0_14default_configENS1_29reduce_by_key_config_selectorIiiN6thrust23THRUST_200600_302600_NS4plusIiEEEEZZNS1_33reduce_by_key_impl_wrapped_configILNS1_25lookback_scan_determinismE0ES3_S9_NS6_6detail15normal_iteratorINS6_10device_ptrIiEEEESG_SG_SG_PmS8_NS6_8equal_toIiEEEE10hipError_tPvRmT2_T3_mT4_T5_T6_T7_T8_P12ihipStream_tbENKUlT_T0_E_clISt17integral_constantIbLb0EES10_IbLb1EEEEDaSW_SX_EUlSW_E_NS1_11comp_targetILNS1_3genE2ELNS1_11target_archE906ELNS1_3gpuE6ELNS1_3repE0EEENS1_30default_config_static_selectorELNS0_4arch9wavefront6targetE0EEEvT1_
; %bb.0:
	.section	.rodata,"a",@progbits
	.p2align	6, 0x0
	.amdhsa_kernel _ZN7rocprim17ROCPRIM_400000_NS6detail17trampoline_kernelINS0_14default_configENS1_29reduce_by_key_config_selectorIiiN6thrust23THRUST_200600_302600_NS4plusIiEEEEZZNS1_33reduce_by_key_impl_wrapped_configILNS1_25lookback_scan_determinismE0ES3_S9_NS6_6detail15normal_iteratorINS6_10device_ptrIiEEEESG_SG_SG_PmS8_NS6_8equal_toIiEEEE10hipError_tPvRmT2_T3_mT4_T5_T6_T7_T8_P12ihipStream_tbENKUlT_T0_E_clISt17integral_constantIbLb0EES10_IbLb1EEEEDaSW_SX_EUlSW_E_NS1_11comp_targetILNS1_3genE2ELNS1_11target_archE906ELNS1_3gpuE6ELNS1_3repE0EEENS1_30default_config_static_selectorELNS0_4arch9wavefront6targetE0EEEvT1_
		.amdhsa_group_segment_fixed_size 0
		.amdhsa_private_segment_fixed_size 0
		.amdhsa_kernarg_size 120
		.amdhsa_user_sgpr_count 15
		.amdhsa_user_sgpr_dispatch_ptr 0
		.amdhsa_user_sgpr_queue_ptr 0
		.amdhsa_user_sgpr_kernarg_segment_ptr 1
		.amdhsa_user_sgpr_dispatch_id 0
		.amdhsa_user_sgpr_private_segment_size 0
		.amdhsa_wavefront_size32 1
		.amdhsa_uses_dynamic_stack 0
		.amdhsa_enable_private_segment 0
		.amdhsa_system_sgpr_workgroup_id_x 1
		.amdhsa_system_sgpr_workgroup_id_y 0
		.amdhsa_system_sgpr_workgroup_id_z 0
		.amdhsa_system_sgpr_workgroup_info 0
		.amdhsa_system_vgpr_workitem_id 0
		.amdhsa_next_free_vgpr 1
		.amdhsa_next_free_sgpr 1
		.amdhsa_reserve_vcc 0
		.amdhsa_float_round_mode_32 0
		.amdhsa_float_round_mode_16_64 0
		.amdhsa_float_denorm_mode_32 3
		.amdhsa_float_denorm_mode_16_64 3
		.amdhsa_dx10_clamp 1
		.amdhsa_ieee_mode 1
		.amdhsa_fp16_overflow 0
		.amdhsa_workgroup_processor_mode 1
		.amdhsa_memory_ordered 1
		.amdhsa_forward_progress 0
		.amdhsa_shared_vgpr_count 0
		.amdhsa_exception_fp_ieee_invalid_op 0
		.amdhsa_exception_fp_denorm_src 0
		.amdhsa_exception_fp_ieee_div_zero 0
		.amdhsa_exception_fp_ieee_overflow 0
		.amdhsa_exception_fp_ieee_underflow 0
		.amdhsa_exception_fp_ieee_inexact 0
		.amdhsa_exception_int_div_zero 0
	.end_amdhsa_kernel
	.section	.text._ZN7rocprim17ROCPRIM_400000_NS6detail17trampoline_kernelINS0_14default_configENS1_29reduce_by_key_config_selectorIiiN6thrust23THRUST_200600_302600_NS4plusIiEEEEZZNS1_33reduce_by_key_impl_wrapped_configILNS1_25lookback_scan_determinismE0ES3_S9_NS6_6detail15normal_iteratorINS6_10device_ptrIiEEEESG_SG_SG_PmS8_NS6_8equal_toIiEEEE10hipError_tPvRmT2_T3_mT4_T5_T6_T7_T8_P12ihipStream_tbENKUlT_T0_E_clISt17integral_constantIbLb0EES10_IbLb1EEEEDaSW_SX_EUlSW_E_NS1_11comp_targetILNS1_3genE2ELNS1_11target_archE906ELNS1_3gpuE6ELNS1_3repE0EEENS1_30default_config_static_selectorELNS0_4arch9wavefront6targetE0EEEvT1_,"axG",@progbits,_ZN7rocprim17ROCPRIM_400000_NS6detail17trampoline_kernelINS0_14default_configENS1_29reduce_by_key_config_selectorIiiN6thrust23THRUST_200600_302600_NS4plusIiEEEEZZNS1_33reduce_by_key_impl_wrapped_configILNS1_25lookback_scan_determinismE0ES3_S9_NS6_6detail15normal_iteratorINS6_10device_ptrIiEEEESG_SG_SG_PmS8_NS6_8equal_toIiEEEE10hipError_tPvRmT2_T3_mT4_T5_T6_T7_T8_P12ihipStream_tbENKUlT_T0_E_clISt17integral_constantIbLb0EES10_IbLb1EEEEDaSW_SX_EUlSW_E_NS1_11comp_targetILNS1_3genE2ELNS1_11target_archE906ELNS1_3gpuE6ELNS1_3repE0EEENS1_30default_config_static_selectorELNS0_4arch9wavefront6targetE0EEEvT1_,comdat
.Lfunc_end579:
	.size	_ZN7rocprim17ROCPRIM_400000_NS6detail17trampoline_kernelINS0_14default_configENS1_29reduce_by_key_config_selectorIiiN6thrust23THRUST_200600_302600_NS4plusIiEEEEZZNS1_33reduce_by_key_impl_wrapped_configILNS1_25lookback_scan_determinismE0ES3_S9_NS6_6detail15normal_iteratorINS6_10device_ptrIiEEEESG_SG_SG_PmS8_NS6_8equal_toIiEEEE10hipError_tPvRmT2_T3_mT4_T5_T6_T7_T8_P12ihipStream_tbENKUlT_T0_E_clISt17integral_constantIbLb0EES10_IbLb1EEEEDaSW_SX_EUlSW_E_NS1_11comp_targetILNS1_3genE2ELNS1_11target_archE906ELNS1_3gpuE6ELNS1_3repE0EEENS1_30default_config_static_selectorELNS0_4arch9wavefront6targetE0EEEvT1_, .Lfunc_end579-_ZN7rocprim17ROCPRIM_400000_NS6detail17trampoline_kernelINS0_14default_configENS1_29reduce_by_key_config_selectorIiiN6thrust23THRUST_200600_302600_NS4plusIiEEEEZZNS1_33reduce_by_key_impl_wrapped_configILNS1_25lookback_scan_determinismE0ES3_S9_NS6_6detail15normal_iteratorINS6_10device_ptrIiEEEESG_SG_SG_PmS8_NS6_8equal_toIiEEEE10hipError_tPvRmT2_T3_mT4_T5_T6_T7_T8_P12ihipStream_tbENKUlT_T0_E_clISt17integral_constantIbLb0EES10_IbLb1EEEEDaSW_SX_EUlSW_E_NS1_11comp_targetILNS1_3genE2ELNS1_11target_archE906ELNS1_3gpuE6ELNS1_3repE0EEENS1_30default_config_static_selectorELNS0_4arch9wavefront6targetE0EEEvT1_
                                        ; -- End function
	.section	.AMDGPU.csdata,"",@progbits
; Kernel info:
; codeLenInByte = 0
; NumSgprs: 0
; NumVgprs: 0
; ScratchSize: 0
; MemoryBound: 0
; FloatMode: 240
; IeeeMode: 1
; LDSByteSize: 0 bytes/workgroup (compile time only)
; SGPRBlocks: 0
; VGPRBlocks: 0
; NumSGPRsForWavesPerEU: 1
; NumVGPRsForWavesPerEU: 1
; Occupancy: 16
; WaveLimiterHint : 0
; COMPUTE_PGM_RSRC2:SCRATCH_EN: 0
; COMPUTE_PGM_RSRC2:USER_SGPR: 15
; COMPUTE_PGM_RSRC2:TRAP_HANDLER: 0
; COMPUTE_PGM_RSRC2:TGID_X_EN: 1
; COMPUTE_PGM_RSRC2:TGID_Y_EN: 0
; COMPUTE_PGM_RSRC2:TGID_Z_EN: 0
; COMPUTE_PGM_RSRC2:TIDIG_COMP_CNT: 0
	.section	.text._ZN7rocprim17ROCPRIM_400000_NS6detail17trampoline_kernelINS0_14default_configENS1_29reduce_by_key_config_selectorIiiN6thrust23THRUST_200600_302600_NS4plusIiEEEEZZNS1_33reduce_by_key_impl_wrapped_configILNS1_25lookback_scan_determinismE0ES3_S9_NS6_6detail15normal_iteratorINS6_10device_ptrIiEEEESG_SG_SG_PmS8_NS6_8equal_toIiEEEE10hipError_tPvRmT2_T3_mT4_T5_T6_T7_T8_P12ihipStream_tbENKUlT_T0_E_clISt17integral_constantIbLb0EES10_IbLb1EEEEDaSW_SX_EUlSW_E_NS1_11comp_targetILNS1_3genE10ELNS1_11target_archE1201ELNS1_3gpuE5ELNS1_3repE0EEENS1_30default_config_static_selectorELNS0_4arch9wavefront6targetE0EEEvT1_,"axG",@progbits,_ZN7rocprim17ROCPRIM_400000_NS6detail17trampoline_kernelINS0_14default_configENS1_29reduce_by_key_config_selectorIiiN6thrust23THRUST_200600_302600_NS4plusIiEEEEZZNS1_33reduce_by_key_impl_wrapped_configILNS1_25lookback_scan_determinismE0ES3_S9_NS6_6detail15normal_iteratorINS6_10device_ptrIiEEEESG_SG_SG_PmS8_NS6_8equal_toIiEEEE10hipError_tPvRmT2_T3_mT4_T5_T6_T7_T8_P12ihipStream_tbENKUlT_T0_E_clISt17integral_constantIbLb0EES10_IbLb1EEEEDaSW_SX_EUlSW_E_NS1_11comp_targetILNS1_3genE10ELNS1_11target_archE1201ELNS1_3gpuE5ELNS1_3repE0EEENS1_30default_config_static_selectorELNS0_4arch9wavefront6targetE0EEEvT1_,comdat
	.protected	_ZN7rocprim17ROCPRIM_400000_NS6detail17trampoline_kernelINS0_14default_configENS1_29reduce_by_key_config_selectorIiiN6thrust23THRUST_200600_302600_NS4plusIiEEEEZZNS1_33reduce_by_key_impl_wrapped_configILNS1_25lookback_scan_determinismE0ES3_S9_NS6_6detail15normal_iteratorINS6_10device_ptrIiEEEESG_SG_SG_PmS8_NS6_8equal_toIiEEEE10hipError_tPvRmT2_T3_mT4_T5_T6_T7_T8_P12ihipStream_tbENKUlT_T0_E_clISt17integral_constantIbLb0EES10_IbLb1EEEEDaSW_SX_EUlSW_E_NS1_11comp_targetILNS1_3genE10ELNS1_11target_archE1201ELNS1_3gpuE5ELNS1_3repE0EEENS1_30default_config_static_selectorELNS0_4arch9wavefront6targetE0EEEvT1_ ; -- Begin function _ZN7rocprim17ROCPRIM_400000_NS6detail17trampoline_kernelINS0_14default_configENS1_29reduce_by_key_config_selectorIiiN6thrust23THRUST_200600_302600_NS4plusIiEEEEZZNS1_33reduce_by_key_impl_wrapped_configILNS1_25lookback_scan_determinismE0ES3_S9_NS6_6detail15normal_iteratorINS6_10device_ptrIiEEEESG_SG_SG_PmS8_NS6_8equal_toIiEEEE10hipError_tPvRmT2_T3_mT4_T5_T6_T7_T8_P12ihipStream_tbENKUlT_T0_E_clISt17integral_constantIbLb0EES10_IbLb1EEEEDaSW_SX_EUlSW_E_NS1_11comp_targetILNS1_3genE10ELNS1_11target_archE1201ELNS1_3gpuE5ELNS1_3repE0EEENS1_30default_config_static_selectorELNS0_4arch9wavefront6targetE0EEEvT1_
	.globl	_ZN7rocprim17ROCPRIM_400000_NS6detail17trampoline_kernelINS0_14default_configENS1_29reduce_by_key_config_selectorIiiN6thrust23THRUST_200600_302600_NS4plusIiEEEEZZNS1_33reduce_by_key_impl_wrapped_configILNS1_25lookback_scan_determinismE0ES3_S9_NS6_6detail15normal_iteratorINS6_10device_ptrIiEEEESG_SG_SG_PmS8_NS6_8equal_toIiEEEE10hipError_tPvRmT2_T3_mT4_T5_T6_T7_T8_P12ihipStream_tbENKUlT_T0_E_clISt17integral_constantIbLb0EES10_IbLb1EEEEDaSW_SX_EUlSW_E_NS1_11comp_targetILNS1_3genE10ELNS1_11target_archE1201ELNS1_3gpuE5ELNS1_3repE0EEENS1_30default_config_static_selectorELNS0_4arch9wavefront6targetE0EEEvT1_
	.p2align	8
	.type	_ZN7rocprim17ROCPRIM_400000_NS6detail17trampoline_kernelINS0_14default_configENS1_29reduce_by_key_config_selectorIiiN6thrust23THRUST_200600_302600_NS4plusIiEEEEZZNS1_33reduce_by_key_impl_wrapped_configILNS1_25lookback_scan_determinismE0ES3_S9_NS6_6detail15normal_iteratorINS6_10device_ptrIiEEEESG_SG_SG_PmS8_NS6_8equal_toIiEEEE10hipError_tPvRmT2_T3_mT4_T5_T6_T7_T8_P12ihipStream_tbENKUlT_T0_E_clISt17integral_constantIbLb0EES10_IbLb1EEEEDaSW_SX_EUlSW_E_NS1_11comp_targetILNS1_3genE10ELNS1_11target_archE1201ELNS1_3gpuE5ELNS1_3repE0EEENS1_30default_config_static_selectorELNS0_4arch9wavefront6targetE0EEEvT1_,@function
_ZN7rocprim17ROCPRIM_400000_NS6detail17trampoline_kernelINS0_14default_configENS1_29reduce_by_key_config_selectorIiiN6thrust23THRUST_200600_302600_NS4plusIiEEEEZZNS1_33reduce_by_key_impl_wrapped_configILNS1_25lookback_scan_determinismE0ES3_S9_NS6_6detail15normal_iteratorINS6_10device_ptrIiEEEESG_SG_SG_PmS8_NS6_8equal_toIiEEEE10hipError_tPvRmT2_T3_mT4_T5_T6_T7_T8_P12ihipStream_tbENKUlT_T0_E_clISt17integral_constantIbLb0EES10_IbLb1EEEEDaSW_SX_EUlSW_E_NS1_11comp_targetILNS1_3genE10ELNS1_11target_archE1201ELNS1_3gpuE5ELNS1_3repE0EEENS1_30default_config_static_selectorELNS0_4arch9wavefront6targetE0EEEvT1_: ; @_ZN7rocprim17ROCPRIM_400000_NS6detail17trampoline_kernelINS0_14default_configENS1_29reduce_by_key_config_selectorIiiN6thrust23THRUST_200600_302600_NS4plusIiEEEEZZNS1_33reduce_by_key_impl_wrapped_configILNS1_25lookback_scan_determinismE0ES3_S9_NS6_6detail15normal_iteratorINS6_10device_ptrIiEEEESG_SG_SG_PmS8_NS6_8equal_toIiEEEE10hipError_tPvRmT2_T3_mT4_T5_T6_T7_T8_P12ihipStream_tbENKUlT_T0_E_clISt17integral_constantIbLb0EES10_IbLb1EEEEDaSW_SX_EUlSW_E_NS1_11comp_targetILNS1_3genE10ELNS1_11target_archE1201ELNS1_3gpuE5ELNS1_3repE0EEENS1_30default_config_static_selectorELNS0_4arch9wavefront6targetE0EEEvT1_
; %bb.0:
	.section	.rodata,"a",@progbits
	.p2align	6, 0x0
	.amdhsa_kernel _ZN7rocprim17ROCPRIM_400000_NS6detail17trampoline_kernelINS0_14default_configENS1_29reduce_by_key_config_selectorIiiN6thrust23THRUST_200600_302600_NS4plusIiEEEEZZNS1_33reduce_by_key_impl_wrapped_configILNS1_25lookback_scan_determinismE0ES3_S9_NS6_6detail15normal_iteratorINS6_10device_ptrIiEEEESG_SG_SG_PmS8_NS6_8equal_toIiEEEE10hipError_tPvRmT2_T3_mT4_T5_T6_T7_T8_P12ihipStream_tbENKUlT_T0_E_clISt17integral_constantIbLb0EES10_IbLb1EEEEDaSW_SX_EUlSW_E_NS1_11comp_targetILNS1_3genE10ELNS1_11target_archE1201ELNS1_3gpuE5ELNS1_3repE0EEENS1_30default_config_static_selectorELNS0_4arch9wavefront6targetE0EEEvT1_
		.amdhsa_group_segment_fixed_size 0
		.amdhsa_private_segment_fixed_size 0
		.amdhsa_kernarg_size 120
		.amdhsa_user_sgpr_count 15
		.amdhsa_user_sgpr_dispatch_ptr 0
		.amdhsa_user_sgpr_queue_ptr 0
		.amdhsa_user_sgpr_kernarg_segment_ptr 1
		.amdhsa_user_sgpr_dispatch_id 0
		.amdhsa_user_sgpr_private_segment_size 0
		.amdhsa_wavefront_size32 1
		.amdhsa_uses_dynamic_stack 0
		.amdhsa_enable_private_segment 0
		.amdhsa_system_sgpr_workgroup_id_x 1
		.amdhsa_system_sgpr_workgroup_id_y 0
		.amdhsa_system_sgpr_workgroup_id_z 0
		.amdhsa_system_sgpr_workgroup_info 0
		.amdhsa_system_vgpr_workitem_id 0
		.amdhsa_next_free_vgpr 1
		.amdhsa_next_free_sgpr 1
		.amdhsa_reserve_vcc 0
		.amdhsa_float_round_mode_32 0
		.amdhsa_float_round_mode_16_64 0
		.amdhsa_float_denorm_mode_32 3
		.amdhsa_float_denorm_mode_16_64 3
		.amdhsa_dx10_clamp 1
		.amdhsa_ieee_mode 1
		.amdhsa_fp16_overflow 0
		.amdhsa_workgroup_processor_mode 1
		.amdhsa_memory_ordered 1
		.amdhsa_forward_progress 0
		.amdhsa_shared_vgpr_count 0
		.amdhsa_exception_fp_ieee_invalid_op 0
		.amdhsa_exception_fp_denorm_src 0
		.amdhsa_exception_fp_ieee_div_zero 0
		.amdhsa_exception_fp_ieee_overflow 0
		.amdhsa_exception_fp_ieee_underflow 0
		.amdhsa_exception_fp_ieee_inexact 0
		.amdhsa_exception_int_div_zero 0
	.end_amdhsa_kernel
	.section	.text._ZN7rocprim17ROCPRIM_400000_NS6detail17trampoline_kernelINS0_14default_configENS1_29reduce_by_key_config_selectorIiiN6thrust23THRUST_200600_302600_NS4plusIiEEEEZZNS1_33reduce_by_key_impl_wrapped_configILNS1_25lookback_scan_determinismE0ES3_S9_NS6_6detail15normal_iteratorINS6_10device_ptrIiEEEESG_SG_SG_PmS8_NS6_8equal_toIiEEEE10hipError_tPvRmT2_T3_mT4_T5_T6_T7_T8_P12ihipStream_tbENKUlT_T0_E_clISt17integral_constantIbLb0EES10_IbLb1EEEEDaSW_SX_EUlSW_E_NS1_11comp_targetILNS1_3genE10ELNS1_11target_archE1201ELNS1_3gpuE5ELNS1_3repE0EEENS1_30default_config_static_selectorELNS0_4arch9wavefront6targetE0EEEvT1_,"axG",@progbits,_ZN7rocprim17ROCPRIM_400000_NS6detail17trampoline_kernelINS0_14default_configENS1_29reduce_by_key_config_selectorIiiN6thrust23THRUST_200600_302600_NS4plusIiEEEEZZNS1_33reduce_by_key_impl_wrapped_configILNS1_25lookback_scan_determinismE0ES3_S9_NS6_6detail15normal_iteratorINS6_10device_ptrIiEEEESG_SG_SG_PmS8_NS6_8equal_toIiEEEE10hipError_tPvRmT2_T3_mT4_T5_T6_T7_T8_P12ihipStream_tbENKUlT_T0_E_clISt17integral_constantIbLb0EES10_IbLb1EEEEDaSW_SX_EUlSW_E_NS1_11comp_targetILNS1_3genE10ELNS1_11target_archE1201ELNS1_3gpuE5ELNS1_3repE0EEENS1_30default_config_static_selectorELNS0_4arch9wavefront6targetE0EEEvT1_,comdat
.Lfunc_end580:
	.size	_ZN7rocprim17ROCPRIM_400000_NS6detail17trampoline_kernelINS0_14default_configENS1_29reduce_by_key_config_selectorIiiN6thrust23THRUST_200600_302600_NS4plusIiEEEEZZNS1_33reduce_by_key_impl_wrapped_configILNS1_25lookback_scan_determinismE0ES3_S9_NS6_6detail15normal_iteratorINS6_10device_ptrIiEEEESG_SG_SG_PmS8_NS6_8equal_toIiEEEE10hipError_tPvRmT2_T3_mT4_T5_T6_T7_T8_P12ihipStream_tbENKUlT_T0_E_clISt17integral_constantIbLb0EES10_IbLb1EEEEDaSW_SX_EUlSW_E_NS1_11comp_targetILNS1_3genE10ELNS1_11target_archE1201ELNS1_3gpuE5ELNS1_3repE0EEENS1_30default_config_static_selectorELNS0_4arch9wavefront6targetE0EEEvT1_, .Lfunc_end580-_ZN7rocprim17ROCPRIM_400000_NS6detail17trampoline_kernelINS0_14default_configENS1_29reduce_by_key_config_selectorIiiN6thrust23THRUST_200600_302600_NS4plusIiEEEEZZNS1_33reduce_by_key_impl_wrapped_configILNS1_25lookback_scan_determinismE0ES3_S9_NS6_6detail15normal_iteratorINS6_10device_ptrIiEEEESG_SG_SG_PmS8_NS6_8equal_toIiEEEE10hipError_tPvRmT2_T3_mT4_T5_T6_T7_T8_P12ihipStream_tbENKUlT_T0_E_clISt17integral_constantIbLb0EES10_IbLb1EEEEDaSW_SX_EUlSW_E_NS1_11comp_targetILNS1_3genE10ELNS1_11target_archE1201ELNS1_3gpuE5ELNS1_3repE0EEENS1_30default_config_static_selectorELNS0_4arch9wavefront6targetE0EEEvT1_
                                        ; -- End function
	.section	.AMDGPU.csdata,"",@progbits
; Kernel info:
; codeLenInByte = 0
; NumSgprs: 0
; NumVgprs: 0
; ScratchSize: 0
; MemoryBound: 0
; FloatMode: 240
; IeeeMode: 1
; LDSByteSize: 0 bytes/workgroup (compile time only)
; SGPRBlocks: 0
; VGPRBlocks: 0
; NumSGPRsForWavesPerEU: 1
; NumVGPRsForWavesPerEU: 1
; Occupancy: 16
; WaveLimiterHint : 0
; COMPUTE_PGM_RSRC2:SCRATCH_EN: 0
; COMPUTE_PGM_RSRC2:USER_SGPR: 15
; COMPUTE_PGM_RSRC2:TRAP_HANDLER: 0
; COMPUTE_PGM_RSRC2:TGID_X_EN: 1
; COMPUTE_PGM_RSRC2:TGID_Y_EN: 0
; COMPUTE_PGM_RSRC2:TGID_Z_EN: 0
; COMPUTE_PGM_RSRC2:TIDIG_COMP_CNT: 0
	.section	.text._ZN7rocprim17ROCPRIM_400000_NS6detail17trampoline_kernelINS0_14default_configENS1_29reduce_by_key_config_selectorIiiN6thrust23THRUST_200600_302600_NS4plusIiEEEEZZNS1_33reduce_by_key_impl_wrapped_configILNS1_25lookback_scan_determinismE0ES3_S9_NS6_6detail15normal_iteratorINS6_10device_ptrIiEEEESG_SG_SG_PmS8_NS6_8equal_toIiEEEE10hipError_tPvRmT2_T3_mT4_T5_T6_T7_T8_P12ihipStream_tbENKUlT_T0_E_clISt17integral_constantIbLb0EES10_IbLb1EEEEDaSW_SX_EUlSW_E_NS1_11comp_targetILNS1_3genE10ELNS1_11target_archE1200ELNS1_3gpuE4ELNS1_3repE0EEENS1_30default_config_static_selectorELNS0_4arch9wavefront6targetE0EEEvT1_,"axG",@progbits,_ZN7rocprim17ROCPRIM_400000_NS6detail17trampoline_kernelINS0_14default_configENS1_29reduce_by_key_config_selectorIiiN6thrust23THRUST_200600_302600_NS4plusIiEEEEZZNS1_33reduce_by_key_impl_wrapped_configILNS1_25lookback_scan_determinismE0ES3_S9_NS6_6detail15normal_iteratorINS6_10device_ptrIiEEEESG_SG_SG_PmS8_NS6_8equal_toIiEEEE10hipError_tPvRmT2_T3_mT4_T5_T6_T7_T8_P12ihipStream_tbENKUlT_T0_E_clISt17integral_constantIbLb0EES10_IbLb1EEEEDaSW_SX_EUlSW_E_NS1_11comp_targetILNS1_3genE10ELNS1_11target_archE1200ELNS1_3gpuE4ELNS1_3repE0EEENS1_30default_config_static_selectorELNS0_4arch9wavefront6targetE0EEEvT1_,comdat
	.protected	_ZN7rocprim17ROCPRIM_400000_NS6detail17trampoline_kernelINS0_14default_configENS1_29reduce_by_key_config_selectorIiiN6thrust23THRUST_200600_302600_NS4plusIiEEEEZZNS1_33reduce_by_key_impl_wrapped_configILNS1_25lookback_scan_determinismE0ES3_S9_NS6_6detail15normal_iteratorINS6_10device_ptrIiEEEESG_SG_SG_PmS8_NS6_8equal_toIiEEEE10hipError_tPvRmT2_T3_mT4_T5_T6_T7_T8_P12ihipStream_tbENKUlT_T0_E_clISt17integral_constantIbLb0EES10_IbLb1EEEEDaSW_SX_EUlSW_E_NS1_11comp_targetILNS1_3genE10ELNS1_11target_archE1200ELNS1_3gpuE4ELNS1_3repE0EEENS1_30default_config_static_selectorELNS0_4arch9wavefront6targetE0EEEvT1_ ; -- Begin function _ZN7rocprim17ROCPRIM_400000_NS6detail17trampoline_kernelINS0_14default_configENS1_29reduce_by_key_config_selectorIiiN6thrust23THRUST_200600_302600_NS4plusIiEEEEZZNS1_33reduce_by_key_impl_wrapped_configILNS1_25lookback_scan_determinismE0ES3_S9_NS6_6detail15normal_iteratorINS6_10device_ptrIiEEEESG_SG_SG_PmS8_NS6_8equal_toIiEEEE10hipError_tPvRmT2_T3_mT4_T5_T6_T7_T8_P12ihipStream_tbENKUlT_T0_E_clISt17integral_constantIbLb0EES10_IbLb1EEEEDaSW_SX_EUlSW_E_NS1_11comp_targetILNS1_3genE10ELNS1_11target_archE1200ELNS1_3gpuE4ELNS1_3repE0EEENS1_30default_config_static_selectorELNS0_4arch9wavefront6targetE0EEEvT1_
	.globl	_ZN7rocprim17ROCPRIM_400000_NS6detail17trampoline_kernelINS0_14default_configENS1_29reduce_by_key_config_selectorIiiN6thrust23THRUST_200600_302600_NS4plusIiEEEEZZNS1_33reduce_by_key_impl_wrapped_configILNS1_25lookback_scan_determinismE0ES3_S9_NS6_6detail15normal_iteratorINS6_10device_ptrIiEEEESG_SG_SG_PmS8_NS6_8equal_toIiEEEE10hipError_tPvRmT2_T3_mT4_T5_T6_T7_T8_P12ihipStream_tbENKUlT_T0_E_clISt17integral_constantIbLb0EES10_IbLb1EEEEDaSW_SX_EUlSW_E_NS1_11comp_targetILNS1_3genE10ELNS1_11target_archE1200ELNS1_3gpuE4ELNS1_3repE0EEENS1_30default_config_static_selectorELNS0_4arch9wavefront6targetE0EEEvT1_
	.p2align	8
	.type	_ZN7rocprim17ROCPRIM_400000_NS6detail17trampoline_kernelINS0_14default_configENS1_29reduce_by_key_config_selectorIiiN6thrust23THRUST_200600_302600_NS4plusIiEEEEZZNS1_33reduce_by_key_impl_wrapped_configILNS1_25lookback_scan_determinismE0ES3_S9_NS6_6detail15normal_iteratorINS6_10device_ptrIiEEEESG_SG_SG_PmS8_NS6_8equal_toIiEEEE10hipError_tPvRmT2_T3_mT4_T5_T6_T7_T8_P12ihipStream_tbENKUlT_T0_E_clISt17integral_constantIbLb0EES10_IbLb1EEEEDaSW_SX_EUlSW_E_NS1_11comp_targetILNS1_3genE10ELNS1_11target_archE1200ELNS1_3gpuE4ELNS1_3repE0EEENS1_30default_config_static_selectorELNS0_4arch9wavefront6targetE0EEEvT1_,@function
_ZN7rocprim17ROCPRIM_400000_NS6detail17trampoline_kernelINS0_14default_configENS1_29reduce_by_key_config_selectorIiiN6thrust23THRUST_200600_302600_NS4plusIiEEEEZZNS1_33reduce_by_key_impl_wrapped_configILNS1_25lookback_scan_determinismE0ES3_S9_NS6_6detail15normal_iteratorINS6_10device_ptrIiEEEESG_SG_SG_PmS8_NS6_8equal_toIiEEEE10hipError_tPvRmT2_T3_mT4_T5_T6_T7_T8_P12ihipStream_tbENKUlT_T0_E_clISt17integral_constantIbLb0EES10_IbLb1EEEEDaSW_SX_EUlSW_E_NS1_11comp_targetILNS1_3genE10ELNS1_11target_archE1200ELNS1_3gpuE4ELNS1_3repE0EEENS1_30default_config_static_selectorELNS0_4arch9wavefront6targetE0EEEvT1_: ; @_ZN7rocprim17ROCPRIM_400000_NS6detail17trampoline_kernelINS0_14default_configENS1_29reduce_by_key_config_selectorIiiN6thrust23THRUST_200600_302600_NS4plusIiEEEEZZNS1_33reduce_by_key_impl_wrapped_configILNS1_25lookback_scan_determinismE0ES3_S9_NS6_6detail15normal_iteratorINS6_10device_ptrIiEEEESG_SG_SG_PmS8_NS6_8equal_toIiEEEE10hipError_tPvRmT2_T3_mT4_T5_T6_T7_T8_P12ihipStream_tbENKUlT_T0_E_clISt17integral_constantIbLb0EES10_IbLb1EEEEDaSW_SX_EUlSW_E_NS1_11comp_targetILNS1_3genE10ELNS1_11target_archE1200ELNS1_3gpuE4ELNS1_3repE0EEENS1_30default_config_static_selectorELNS0_4arch9wavefront6targetE0EEEvT1_
; %bb.0:
	.section	.rodata,"a",@progbits
	.p2align	6, 0x0
	.amdhsa_kernel _ZN7rocprim17ROCPRIM_400000_NS6detail17trampoline_kernelINS0_14default_configENS1_29reduce_by_key_config_selectorIiiN6thrust23THRUST_200600_302600_NS4plusIiEEEEZZNS1_33reduce_by_key_impl_wrapped_configILNS1_25lookback_scan_determinismE0ES3_S9_NS6_6detail15normal_iteratorINS6_10device_ptrIiEEEESG_SG_SG_PmS8_NS6_8equal_toIiEEEE10hipError_tPvRmT2_T3_mT4_T5_T6_T7_T8_P12ihipStream_tbENKUlT_T0_E_clISt17integral_constantIbLb0EES10_IbLb1EEEEDaSW_SX_EUlSW_E_NS1_11comp_targetILNS1_3genE10ELNS1_11target_archE1200ELNS1_3gpuE4ELNS1_3repE0EEENS1_30default_config_static_selectorELNS0_4arch9wavefront6targetE0EEEvT1_
		.amdhsa_group_segment_fixed_size 0
		.amdhsa_private_segment_fixed_size 0
		.amdhsa_kernarg_size 120
		.amdhsa_user_sgpr_count 15
		.amdhsa_user_sgpr_dispatch_ptr 0
		.amdhsa_user_sgpr_queue_ptr 0
		.amdhsa_user_sgpr_kernarg_segment_ptr 1
		.amdhsa_user_sgpr_dispatch_id 0
		.amdhsa_user_sgpr_private_segment_size 0
		.amdhsa_wavefront_size32 1
		.amdhsa_uses_dynamic_stack 0
		.amdhsa_enable_private_segment 0
		.amdhsa_system_sgpr_workgroup_id_x 1
		.amdhsa_system_sgpr_workgroup_id_y 0
		.amdhsa_system_sgpr_workgroup_id_z 0
		.amdhsa_system_sgpr_workgroup_info 0
		.amdhsa_system_vgpr_workitem_id 0
		.amdhsa_next_free_vgpr 1
		.amdhsa_next_free_sgpr 1
		.amdhsa_reserve_vcc 0
		.amdhsa_float_round_mode_32 0
		.amdhsa_float_round_mode_16_64 0
		.amdhsa_float_denorm_mode_32 3
		.amdhsa_float_denorm_mode_16_64 3
		.amdhsa_dx10_clamp 1
		.amdhsa_ieee_mode 1
		.amdhsa_fp16_overflow 0
		.amdhsa_workgroup_processor_mode 1
		.amdhsa_memory_ordered 1
		.amdhsa_forward_progress 0
		.amdhsa_shared_vgpr_count 0
		.amdhsa_exception_fp_ieee_invalid_op 0
		.amdhsa_exception_fp_denorm_src 0
		.amdhsa_exception_fp_ieee_div_zero 0
		.amdhsa_exception_fp_ieee_overflow 0
		.amdhsa_exception_fp_ieee_underflow 0
		.amdhsa_exception_fp_ieee_inexact 0
		.amdhsa_exception_int_div_zero 0
	.end_amdhsa_kernel
	.section	.text._ZN7rocprim17ROCPRIM_400000_NS6detail17trampoline_kernelINS0_14default_configENS1_29reduce_by_key_config_selectorIiiN6thrust23THRUST_200600_302600_NS4plusIiEEEEZZNS1_33reduce_by_key_impl_wrapped_configILNS1_25lookback_scan_determinismE0ES3_S9_NS6_6detail15normal_iteratorINS6_10device_ptrIiEEEESG_SG_SG_PmS8_NS6_8equal_toIiEEEE10hipError_tPvRmT2_T3_mT4_T5_T6_T7_T8_P12ihipStream_tbENKUlT_T0_E_clISt17integral_constantIbLb0EES10_IbLb1EEEEDaSW_SX_EUlSW_E_NS1_11comp_targetILNS1_3genE10ELNS1_11target_archE1200ELNS1_3gpuE4ELNS1_3repE0EEENS1_30default_config_static_selectorELNS0_4arch9wavefront6targetE0EEEvT1_,"axG",@progbits,_ZN7rocprim17ROCPRIM_400000_NS6detail17trampoline_kernelINS0_14default_configENS1_29reduce_by_key_config_selectorIiiN6thrust23THRUST_200600_302600_NS4plusIiEEEEZZNS1_33reduce_by_key_impl_wrapped_configILNS1_25lookback_scan_determinismE0ES3_S9_NS6_6detail15normal_iteratorINS6_10device_ptrIiEEEESG_SG_SG_PmS8_NS6_8equal_toIiEEEE10hipError_tPvRmT2_T3_mT4_T5_T6_T7_T8_P12ihipStream_tbENKUlT_T0_E_clISt17integral_constantIbLb0EES10_IbLb1EEEEDaSW_SX_EUlSW_E_NS1_11comp_targetILNS1_3genE10ELNS1_11target_archE1200ELNS1_3gpuE4ELNS1_3repE0EEENS1_30default_config_static_selectorELNS0_4arch9wavefront6targetE0EEEvT1_,comdat
.Lfunc_end581:
	.size	_ZN7rocprim17ROCPRIM_400000_NS6detail17trampoline_kernelINS0_14default_configENS1_29reduce_by_key_config_selectorIiiN6thrust23THRUST_200600_302600_NS4plusIiEEEEZZNS1_33reduce_by_key_impl_wrapped_configILNS1_25lookback_scan_determinismE0ES3_S9_NS6_6detail15normal_iteratorINS6_10device_ptrIiEEEESG_SG_SG_PmS8_NS6_8equal_toIiEEEE10hipError_tPvRmT2_T3_mT4_T5_T6_T7_T8_P12ihipStream_tbENKUlT_T0_E_clISt17integral_constantIbLb0EES10_IbLb1EEEEDaSW_SX_EUlSW_E_NS1_11comp_targetILNS1_3genE10ELNS1_11target_archE1200ELNS1_3gpuE4ELNS1_3repE0EEENS1_30default_config_static_selectorELNS0_4arch9wavefront6targetE0EEEvT1_, .Lfunc_end581-_ZN7rocprim17ROCPRIM_400000_NS6detail17trampoline_kernelINS0_14default_configENS1_29reduce_by_key_config_selectorIiiN6thrust23THRUST_200600_302600_NS4plusIiEEEEZZNS1_33reduce_by_key_impl_wrapped_configILNS1_25lookback_scan_determinismE0ES3_S9_NS6_6detail15normal_iteratorINS6_10device_ptrIiEEEESG_SG_SG_PmS8_NS6_8equal_toIiEEEE10hipError_tPvRmT2_T3_mT4_T5_T6_T7_T8_P12ihipStream_tbENKUlT_T0_E_clISt17integral_constantIbLb0EES10_IbLb1EEEEDaSW_SX_EUlSW_E_NS1_11comp_targetILNS1_3genE10ELNS1_11target_archE1200ELNS1_3gpuE4ELNS1_3repE0EEENS1_30default_config_static_selectorELNS0_4arch9wavefront6targetE0EEEvT1_
                                        ; -- End function
	.section	.AMDGPU.csdata,"",@progbits
; Kernel info:
; codeLenInByte = 0
; NumSgprs: 0
; NumVgprs: 0
; ScratchSize: 0
; MemoryBound: 0
; FloatMode: 240
; IeeeMode: 1
; LDSByteSize: 0 bytes/workgroup (compile time only)
; SGPRBlocks: 0
; VGPRBlocks: 0
; NumSGPRsForWavesPerEU: 1
; NumVGPRsForWavesPerEU: 1
; Occupancy: 16
; WaveLimiterHint : 0
; COMPUTE_PGM_RSRC2:SCRATCH_EN: 0
; COMPUTE_PGM_RSRC2:USER_SGPR: 15
; COMPUTE_PGM_RSRC2:TRAP_HANDLER: 0
; COMPUTE_PGM_RSRC2:TGID_X_EN: 1
; COMPUTE_PGM_RSRC2:TGID_Y_EN: 0
; COMPUTE_PGM_RSRC2:TGID_Z_EN: 0
; COMPUTE_PGM_RSRC2:TIDIG_COMP_CNT: 0
	.section	.text._ZN7rocprim17ROCPRIM_400000_NS6detail17trampoline_kernelINS0_14default_configENS1_29reduce_by_key_config_selectorIiiN6thrust23THRUST_200600_302600_NS4plusIiEEEEZZNS1_33reduce_by_key_impl_wrapped_configILNS1_25lookback_scan_determinismE0ES3_S9_NS6_6detail15normal_iteratorINS6_10device_ptrIiEEEESG_SG_SG_PmS8_NS6_8equal_toIiEEEE10hipError_tPvRmT2_T3_mT4_T5_T6_T7_T8_P12ihipStream_tbENKUlT_T0_E_clISt17integral_constantIbLb0EES10_IbLb1EEEEDaSW_SX_EUlSW_E_NS1_11comp_targetILNS1_3genE9ELNS1_11target_archE1100ELNS1_3gpuE3ELNS1_3repE0EEENS1_30default_config_static_selectorELNS0_4arch9wavefront6targetE0EEEvT1_,"axG",@progbits,_ZN7rocprim17ROCPRIM_400000_NS6detail17trampoline_kernelINS0_14default_configENS1_29reduce_by_key_config_selectorIiiN6thrust23THRUST_200600_302600_NS4plusIiEEEEZZNS1_33reduce_by_key_impl_wrapped_configILNS1_25lookback_scan_determinismE0ES3_S9_NS6_6detail15normal_iteratorINS6_10device_ptrIiEEEESG_SG_SG_PmS8_NS6_8equal_toIiEEEE10hipError_tPvRmT2_T3_mT4_T5_T6_T7_T8_P12ihipStream_tbENKUlT_T0_E_clISt17integral_constantIbLb0EES10_IbLb1EEEEDaSW_SX_EUlSW_E_NS1_11comp_targetILNS1_3genE9ELNS1_11target_archE1100ELNS1_3gpuE3ELNS1_3repE0EEENS1_30default_config_static_selectorELNS0_4arch9wavefront6targetE0EEEvT1_,comdat
	.protected	_ZN7rocprim17ROCPRIM_400000_NS6detail17trampoline_kernelINS0_14default_configENS1_29reduce_by_key_config_selectorIiiN6thrust23THRUST_200600_302600_NS4plusIiEEEEZZNS1_33reduce_by_key_impl_wrapped_configILNS1_25lookback_scan_determinismE0ES3_S9_NS6_6detail15normal_iteratorINS6_10device_ptrIiEEEESG_SG_SG_PmS8_NS6_8equal_toIiEEEE10hipError_tPvRmT2_T3_mT4_T5_T6_T7_T8_P12ihipStream_tbENKUlT_T0_E_clISt17integral_constantIbLb0EES10_IbLb1EEEEDaSW_SX_EUlSW_E_NS1_11comp_targetILNS1_3genE9ELNS1_11target_archE1100ELNS1_3gpuE3ELNS1_3repE0EEENS1_30default_config_static_selectorELNS0_4arch9wavefront6targetE0EEEvT1_ ; -- Begin function _ZN7rocprim17ROCPRIM_400000_NS6detail17trampoline_kernelINS0_14default_configENS1_29reduce_by_key_config_selectorIiiN6thrust23THRUST_200600_302600_NS4plusIiEEEEZZNS1_33reduce_by_key_impl_wrapped_configILNS1_25lookback_scan_determinismE0ES3_S9_NS6_6detail15normal_iteratorINS6_10device_ptrIiEEEESG_SG_SG_PmS8_NS6_8equal_toIiEEEE10hipError_tPvRmT2_T3_mT4_T5_T6_T7_T8_P12ihipStream_tbENKUlT_T0_E_clISt17integral_constantIbLb0EES10_IbLb1EEEEDaSW_SX_EUlSW_E_NS1_11comp_targetILNS1_3genE9ELNS1_11target_archE1100ELNS1_3gpuE3ELNS1_3repE0EEENS1_30default_config_static_selectorELNS0_4arch9wavefront6targetE0EEEvT1_
	.globl	_ZN7rocprim17ROCPRIM_400000_NS6detail17trampoline_kernelINS0_14default_configENS1_29reduce_by_key_config_selectorIiiN6thrust23THRUST_200600_302600_NS4plusIiEEEEZZNS1_33reduce_by_key_impl_wrapped_configILNS1_25lookback_scan_determinismE0ES3_S9_NS6_6detail15normal_iteratorINS6_10device_ptrIiEEEESG_SG_SG_PmS8_NS6_8equal_toIiEEEE10hipError_tPvRmT2_T3_mT4_T5_T6_T7_T8_P12ihipStream_tbENKUlT_T0_E_clISt17integral_constantIbLb0EES10_IbLb1EEEEDaSW_SX_EUlSW_E_NS1_11comp_targetILNS1_3genE9ELNS1_11target_archE1100ELNS1_3gpuE3ELNS1_3repE0EEENS1_30default_config_static_selectorELNS0_4arch9wavefront6targetE0EEEvT1_
	.p2align	8
	.type	_ZN7rocprim17ROCPRIM_400000_NS6detail17trampoline_kernelINS0_14default_configENS1_29reduce_by_key_config_selectorIiiN6thrust23THRUST_200600_302600_NS4plusIiEEEEZZNS1_33reduce_by_key_impl_wrapped_configILNS1_25lookback_scan_determinismE0ES3_S9_NS6_6detail15normal_iteratorINS6_10device_ptrIiEEEESG_SG_SG_PmS8_NS6_8equal_toIiEEEE10hipError_tPvRmT2_T3_mT4_T5_T6_T7_T8_P12ihipStream_tbENKUlT_T0_E_clISt17integral_constantIbLb0EES10_IbLb1EEEEDaSW_SX_EUlSW_E_NS1_11comp_targetILNS1_3genE9ELNS1_11target_archE1100ELNS1_3gpuE3ELNS1_3repE0EEENS1_30default_config_static_selectorELNS0_4arch9wavefront6targetE0EEEvT1_,@function
_ZN7rocprim17ROCPRIM_400000_NS6detail17trampoline_kernelINS0_14default_configENS1_29reduce_by_key_config_selectorIiiN6thrust23THRUST_200600_302600_NS4plusIiEEEEZZNS1_33reduce_by_key_impl_wrapped_configILNS1_25lookback_scan_determinismE0ES3_S9_NS6_6detail15normal_iteratorINS6_10device_ptrIiEEEESG_SG_SG_PmS8_NS6_8equal_toIiEEEE10hipError_tPvRmT2_T3_mT4_T5_T6_T7_T8_P12ihipStream_tbENKUlT_T0_E_clISt17integral_constantIbLb0EES10_IbLb1EEEEDaSW_SX_EUlSW_E_NS1_11comp_targetILNS1_3genE9ELNS1_11target_archE1100ELNS1_3gpuE3ELNS1_3repE0EEENS1_30default_config_static_selectorELNS0_4arch9wavefront6targetE0EEEvT1_: ; @_ZN7rocprim17ROCPRIM_400000_NS6detail17trampoline_kernelINS0_14default_configENS1_29reduce_by_key_config_selectorIiiN6thrust23THRUST_200600_302600_NS4plusIiEEEEZZNS1_33reduce_by_key_impl_wrapped_configILNS1_25lookback_scan_determinismE0ES3_S9_NS6_6detail15normal_iteratorINS6_10device_ptrIiEEEESG_SG_SG_PmS8_NS6_8equal_toIiEEEE10hipError_tPvRmT2_T3_mT4_T5_T6_T7_T8_P12ihipStream_tbENKUlT_T0_E_clISt17integral_constantIbLb0EES10_IbLb1EEEEDaSW_SX_EUlSW_E_NS1_11comp_targetILNS1_3genE9ELNS1_11target_archE1100ELNS1_3gpuE3ELNS1_3repE0EEENS1_30default_config_static_selectorELNS0_4arch9wavefront6targetE0EEEvT1_
; %bb.0:
	s_clause 0x4
	s_load_b256 s[12:19], s[0:1], 0x0
	s_load_b128 s[28:31], s[0:1], 0x20
	s_load_b256 s[20:27], s[0:1], 0x38
	s_load_b64 s[34:35], s[0:1], 0x68
	s_load_b128 s[36:39], s[0:1], 0x58
	v_cmp_ne_u32_e64 s3, 0, v0
	v_cmp_eq_u32_e64 s2, 0, v0
	s_delay_alu instid0(VALU_DEP_1)
	s_and_saveexec_b32 s4, s2
	s_cbranch_execz .LBB582_4
; %bb.1:
	s_mov_b32 s6, exec_lo
	s_mov_b32 s5, exec_lo
	v_mbcnt_lo_u32_b32 v1, s6, 0
                                        ; implicit-def: $vgpr2
	s_delay_alu instid0(VALU_DEP_1)
	v_cmpx_eq_u32_e32 0, v1
	s_cbranch_execz .LBB582_3
; %bb.2:
	s_load_b64 s[0:1], s[0:1], 0x70
	s_bcnt1_i32_b32 s6, s6
	s_delay_alu instid0(SALU_CYCLE_1)
	v_dual_mov_b32 v2, 0 :: v_dual_mov_b32 v3, s6
	s_waitcnt lgkmcnt(0)
	global_atomic_add_u32 v2, v2, v3, s[0:1] glc
.LBB582_3:
	s_or_b32 exec_lo, exec_lo, s5
	s_waitcnt vmcnt(0)
	v_readfirstlane_b32 s0, v2
	s_delay_alu instid0(VALU_DEP_1)
	v_dual_mov_b32 v2, 0 :: v_dual_add_nc_u32 v1, s0, v1
	ds_store_b32 v2, v1
.LBB582_4:
	s_or_b32 exec_lo, exec_lo, s4
	v_mov_b32_e32 v2, 0
	s_waitcnt lgkmcnt(0)
	s_barrier
	buffer_gl0_inv
	s_lshl_b64 s[4:5], s[14:15], 2
	ds_load_b32 v1, v2
	s_add_u32 s9, s12, s4
	s_mul_i32 s1, s24, s23
	s_mul_hi_u32 s6, s24, s22
	s_addc_u32 s10, s13, s5
	s_add_u32 s11, s16, s4
	s_mul_i32 s7, s25, s22
	s_addc_u32 s12, s17, s5
	s_add_i32 s1, s6, s1
	s_mul_i32 s8, s24, s22
	s_add_i32 s1, s1, s7
	s_mov_b32 s0, 0
	s_waitcnt lgkmcnt(0)
	s_barrier
	buffer_gl0_inv
	v_readfirstlane_b32 s33, v1
	v_mul_lo_u32 v1, 0xf00, v1
	s_delay_alu instid0(VALU_DEP_2) | instskip(SKIP_3) | instid1(VALU_DEP_1)
	s_add_u32 s24, s8, s33
	s_addc_u32 s25, s1, 0
	s_add_u32 s4, s26, -1
	s_addc_u32 s5, s27, -1
	v_lshlrev_b64 v[5:6], 2, v[1:2]
	s_cmp_eq_u64 s[24:25], s[4:5]
	s_mul_i32 s26, s4, 0xfffff100
	s_cselect_b32 s17, -1, 0
	s_cmp_lg_u64 s[24:25], s[4:5]
	s_delay_alu instid0(VALU_DEP_1)
	v_add_co_u32 v4, vcc_lo, s9, v5
	v_add_co_ci_u32_e32 v2, vcc_lo, s10, v6, vcc_lo
	v_add_co_u32 v1, vcc_lo, s11, v5
	v_add_co_ci_u32_e32 v3, vcc_lo, s12, v6, vcc_lo
	s_cselect_b32 s40, -1, 0
	s_and_b32 vcc_lo, exec_lo, s17
	s_cbranch_vccnz .LBB582_6
; %bb.5:
	v_lshlrev_b32_e32 v29, 2, v0
	s_delay_alu instid0(VALU_DEP_1) | instskip(SKIP_1) | instid1(VALU_DEP_2)
	v_add_co_u32 v5, vcc_lo, v4, v29
	v_add_co_ci_u32_e32 v6, vcc_lo, 0, v2, vcc_lo
	v_add_co_u32 v7, vcc_lo, 0x1000, v5
	s_delay_alu instid0(VALU_DEP_2)
	v_add_co_ci_u32_e32 v8, vcc_lo, 0, v6, vcc_lo
	s_clause 0x7
	flat_load_b32 v9, v[5:6]
	flat_load_b32 v10, v[5:6] offset:1024
	flat_load_b32 v11, v[5:6] offset:2048
	flat_load_b32 v12, v[5:6] offset:3072
	flat_load_b32 v13, v[7:8]
	flat_load_b32 v14, v[7:8] offset:1024
	flat_load_b32 v15, v[7:8] offset:2048
	;; [unrolled: 1-line block ×3, first 2 shown]
	v_add_co_u32 v7, vcc_lo, 0x2000, v5
	v_add_co_ci_u32_e32 v8, vcc_lo, 0, v6, vcc_lo
	v_add_co_u32 v5, vcc_lo, 0x3000, v5
	v_add_co_ci_u32_e32 v6, vcc_lo, 0, v6, vcc_lo
	s_clause 0x6
	flat_load_b32 v17, v[7:8]
	flat_load_b32 v18, v[7:8] offset:1024
	flat_load_b32 v19, v[7:8] offset:2048
	;; [unrolled: 1-line block ×3, first 2 shown]
	flat_load_b32 v20, v[5:6]
	flat_load_b32 v21, v[5:6] offset:1024
	flat_load_b32 v22, v[5:6] offset:2048
	v_add_co_u32 v6, vcc_lo, v1, v29
	v_add_co_ci_u32_e32 v7, vcc_lo, 0, v3, vcc_lo
	v_mad_u32_u24 v5, v0, 56, v29
	s_delay_alu instid0(VALU_DEP_3) | instskip(NEXT) | instid1(VALU_DEP_3)
	v_add_co_u32 v23, vcc_lo, 0x1000, v6
	v_add_co_ci_u32_e32 v24, vcc_lo, 0, v7, vcc_lo
	v_add_co_u32 v25, vcc_lo, 0x2000, v6
	v_add_co_ci_u32_e32 v26, vcc_lo, 0, v7, vcc_lo
	;; [unrolled: 2-line block ×3, first 2 shown]
	s_waitcnt vmcnt(13) lgkmcnt(13)
	ds_store_2addr_stride64_b32 v29, v9, v10 offset1:4
	s_waitcnt vmcnt(11) lgkmcnt(12)
	ds_store_2addr_stride64_b32 v29, v11, v12 offset0:8 offset1:12
	s_waitcnt vmcnt(9) lgkmcnt(11)
	ds_store_2addr_stride64_b32 v29, v13, v14 offset0:16 offset1:20
	;; [unrolled: 2-line block ×6, first 2 shown]
	s_waitcnt vmcnt(0) lgkmcnt(7)
	ds_store_b32 v29, v22 offset:14336
	s_waitcnt lgkmcnt(0)
	s_barrier
	buffer_gl0_inv
	ds_load_2addr_b32 v[21:22], v5 offset1:1
	ds_load_2addr_b32 v[19:20], v5 offset0:2 offset1:3
	ds_load_2addr_b32 v[17:18], v5 offset0:4 offset1:5
	;; [unrolled: 1-line block ×6, first 2 shown]
	ds_load_b32 v63, v5 offset:56
	s_waitcnt lgkmcnt(0)
	s_barrier
	buffer_gl0_inv
	s_clause 0xe
	flat_load_b32 v8, v[6:7]
	flat_load_b32 v30, v[6:7] offset:1024
	flat_load_b32 v31, v[6:7] offset:2048
	flat_load_b32 v6, v[6:7] offset:3072
	flat_load_b32 v7, v[23:24]
	flat_load_b32 v32, v[23:24] offset:1024
	flat_load_b32 v33, v[23:24] offset:2048
	flat_load_b32 v23, v[23:24] offset:3072
	;; [unrolled: 4-line block ×3, first 2 shown]
	flat_load_b32 v26, v[27:28]
	flat_load_b32 v36, v[27:28] offset:1024
	flat_load_b32 v27, v[27:28] offset:2048
	s_waitcnt vmcnt(13) lgkmcnt(13)
	ds_store_2addr_stride64_b32 v29, v8, v30 offset1:4
	s_waitcnt vmcnt(11) lgkmcnt(12)
	ds_store_2addr_stride64_b32 v29, v31, v6 offset0:8 offset1:12
	s_waitcnt vmcnt(9) lgkmcnt(11)
	ds_store_2addr_stride64_b32 v29, v7, v32 offset0:16 offset1:20
	;; [unrolled: 2-line block ×6, first 2 shown]
	s_waitcnt vmcnt(0) lgkmcnt(7)
	ds_store_b32 v29, v27 offset:14336
	s_waitcnt lgkmcnt(0)
	s_barrier
	s_and_not1_b32 vcc_lo, exec_lo, s0
	s_add_i32 s26, s26, s36
	s_cbranch_vccz .LBB582_7
	s_branch .LBB582_54
.LBB582_6:
                                        ; implicit-def: $vgpr5
                                        ; implicit-def: $vgpr21
                                        ; implicit-def: $vgpr19
                                        ; implicit-def: $vgpr17
                                        ; implicit-def: $vgpr15
                                        ; implicit-def: $vgpr13
                                        ; implicit-def: $vgpr11
                                        ; implicit-def: $vgpr9
                                        ; implicit-def: $vgpr63
	s_add_i32 s26, s26, s36
.LBB582_7:
	s_delay_alu instid0(SALU_CYCLE_1)
	v_cmp_gt_u32_e32 vcc_lo, s26, v0
                                        ; implicit-def: $vgpr5
	s_and_saveexec_b32 s1, vcc_lo
	s_cbranch_execz .LBB582_9
; %bb.8:
	v_lshlrev_b32_e32 v5, 2, v0
	s_delay_alu instid0(VALU_DEP_1) | instskip(NEXT) | instid1(VALU_DEP_1)
	v_add_co_u32 v5, s0, v4, v5
	v_add_co_ci_u32_e64 v6, s0, 0, v2, s0
	flat_load_b32 v5, v[5:6]
.LBB582_9:
	s_or_b32 exec_lo, exec_lo, s1
	v_or_b32_e32 v6, 0x100, v0
                                        ; implicit-def: $vgpr9
	s_delay_alu instid0(VALU_DEP_1) | instskip(NEXT) | instid1(VALU_DEP_1)
	v_cmp_gt_u32_e64 s0, s26, v6
	s_and_saveexec_b32 s4, s0
	s_cbranch_execz .LBB582_11
; %bb.10:
	v_lshlrev_b32_e32 v6, 2, v0
	s_delay_alu instid0(VALU_DEP_1) | instskip(NEXT) | instid1(VALU_DEP_1)
	v_add_co_u32 v6, s1, v4, v6
	v_add_co_ci_u32_e64 v7, s1, 0, v2, s1
	flat_load_b32 v9, v[6:7] offset:1024
.LBB582_11:
	s_or_b32 exec_lo, exec_lo, s4
	v_or_b32_e32 v6, 0x200, v0
                                        ; implicit-def: $vgpr10
	s_delay_alu instid0(VALU_DEP_1) | instskip(NEXT) | instid1(VALU_DEP_1)
	v_cmp_gt_u32_e64 s1, s26, v6
	s_and_saveexec_b32 s5, s1
	s_cbranch_execz .LBB582_13
; %bb.12:
	v_lshlrev_b32_e32 v6, 2, v0
	s_delay_alu instid0(VALU_DEP_1) | instskip(NEXT) | instid1(VALU_DEP_1)
	v_add_co_u32 v6, s4, v4, v6
	v_add_co_ci_u32_e64 v7, s4, 0, v2, s4
	flat_load_b32 v10, v[6:7] offset:2048
.LBB582_13:
	s_or_b32 exec_lo, exec_lo, s5
	v_or_b32_e32 v6, 0x300, v0
                                        ; implicit-def: $vgpr11
	s_delay_alu instid0(VALU_DEP_1) | instskip(NEXT) | instid1(VALU_DEP_1)
	v_cmp_gt_u32_e64 s4, s26, v6
	s_and_saveexec_b32 s6, s4
	s_cbranch_execz .LBB582_15
; %bb.14:
	v_lshlrev_b32_e32 v6, 2, v0
	s_delay_alu instid0(VALU_DEP_1) | instskip(NEXT) | instid1(VALU_DEP_1)
	v_add_co_u32 v6, s5, v4, v6
	v_add_co_ci_u32_e64 v7, s5, 0, v2, s5
	flat_load_b32 v11, v[6:7] offset:3072
.LBB582_15:
	s_or_b32 exec_lo, exec_lo, s6
	v_or_b32_e32 v6, 0x400, v0
                                        ; implicit-def: $vgpr12
	s_delay_alu instid0(VALU_DEP_1) | instskip(SKIP_1) | instid1(VALU_DEP_2)
	v_cmp_gt_u32_e64 s5, s26, v6
	v_lshlrev_b32_e32 v6, 2, v6
	s_and_saveexec_b32 s7, s5
	s_cbranch_execz .LBB582_17
; %bb.16:
	s_delay_alu instid0(VALU_DEP_1) | instskip(NEXT) | instid1(VALU_DEP_1)
	v_add_co_u32 v7, s6, v4, v6
	v_add_co_ci_u32_e64 v8, s6, 0, v2, s6
	flat_load_b32 v12, v[7:8]
.LBB582_17:
	s_or_b32 exec_lo, exec_lo, s7
	v_or_b32_e32 v7, 0x500, v0
                                        ; implicit-def: $vgpr13
	s_delay_alu instid0(VALU_DEP_1) | instskip(SKIP_1) | instid1(VALU_DEP_2)
	v_cmp_gt_u32_e64 s6, s26, v7
	v_lshlrev_b32_e32 v7, 2, v7
	s_and_saveexec_b32 s8, s6
	s_cbranch_execz .LBB582_19
; %bb.18:
	s_delay_alu instid0(VALU_DEP_1) | instskip(NEXT) | instid1(VALU_DEP_1)
	v_add_co_u32 v13, s7, v4, v7
	v_add_co_ci_u32_e64 v14, s7, 0, v2, s7
	flat_load_b32 v13, v[13:14]
.LBB582_19:
	s_or_b32 exec_lo, exec_lo, s8
	v_or_b32_e32 v8, 0x600, v0
                                        ; implicit-def: $vgpr14
	s_delay_alu instid0(VALU_DEP_1) | instskip(SKIP_1) | instid1(VALU_DEP_2)
	v_cmp_gt_u32_e64 s7, s26, v8
	v_lshlrev_b32_e32 v8, 2, v8
	s_and_saveexec_b32 s9, s7
	s_cbranch_execz .LBB582_21
; %bb.20:
	s_delay_alu instid0(VALU_DEP_1) | instskip(NEXT) | instid1(VALU_DEP_1)
	v_add_co_u32 v14, s8, v4, v8
	v_add_co_ci_u32_e64 v15, s8, 0, v2, s8
	flat_load_b32 v14, v[14:15]
.LBB582_21:
	s_or_b32 exec_lo, exec_lo, s9
	v_or_b32_e32 v15, 0x700, v0
	s_delay_alu instid0(VALU_DEP_1) | instskip(SKIP_1) | instid1(VALU_DEP_2)
	v_cmp_gt_u32_e64 s8, s26, v15
	v_lshlrev_b32_e32 v23, 2, v15
                                        ; implicit-def: $vgpr15
	s_and_saveexec_b32 s10, s8
	s_cbranch_execz .LBB582_23
; %bb.22:
	s_delay_alu instid0(VALU_DEP_1) | instskip(NEXT) | instid1(VALU_DEP_1)
	v_add_co_u32 v15, s9, v4, v23
	v_add_co_ci_u32_e64 v16, s9, 0, v2, s9
	flat_load_b32 v15, v[15:16]
.LBB582_23:
	s_or_b32 exec_lo, exec_lo, s10
	v_or_b32_e32 v16, 0x800, v0
	s_delay_alu instid0(VALU_DEP_1) | instskip(SKIP_1) | instid1(VALU_DEP_2)
	v_cmp_gt_u32_e64 s9, s26, v16
	v_lshlrev_b32_e32 v24, 2, v16
                                        ; implicit-def: $vgpr16
	s_and_saveexec_b32 s11, s9
	s_cbranch_execz .LBB582_25
; %bb.24:
	s_delay_alu instid0(VALU_DEP_1) | instskip(NEXT) | instid1(VALU_DEP_1)
	v_add_co_u32 v16, s10, v4, v24
	v_add_co_ci_u32_e64 v17, s10, 0, v2, s10
	flat_load_b32 v16, v[16:17]
.LBB582_25:
	s_or_b32 exec_lo, exec_lo, s11
	v_or_b32_e32 v17, 0x900, v0
	s_delay_alu instid0(VALU_DEP_1) | instskip(SKIP_1) | instid1(VALU_DEP_2)
	v_cmp_gt_u32_e64 s10, s26, v17
	v_lshlrev_b32_e32 v25, 2, v17
                                        ; implicit-def: $vgpr17
	s_and_saveexec_b32 s12, s10
	s_cbranch_execz .LBB582_27
; %bb.26:
	s_delay_alu instid0(VALU_DEP_1) | instskip(NEXT) | instid1(VALU_DEP_1)
	v_add_co_u32 v17, s11, v4, v25
	v_add_co_ci_u32_e64 v18, s11, 0, v2, s11
	flat_load_b32 v17, v[17:18]
.LBB582_27:
	s_or_b32 exec_lo, exec_lo, s12
	v_or_b32_e32 v18, 0xa00, v0
	s_delay_alu instid0(VALU_DEP_1) | instskip(SKIP_1) | instid1(VALU_DEP_2)
	v_cmp_gt_u32_e64 s11, s26, v18
	v_lshlrev_b32_e32 v27, 2, v18
                                        ; implicit-def: $vgpr18
	s_and_saveexec_b32 s13, s11
	s_cbranch_execz .LBB582_29
; %bb.28:
	s_delay_alu instid0(VALU_DEP_1) | instskip(NEXT) | instid1(VALU_DEP_1)
	v_add_co_u32 v18, s12, v4, v27
	v_add_co_ci_u32_e64 v19, s12, 0, v2, s12
	flat_load_b32 v18, v[18:19]
.LBB582_29:
	s_or_b32 exec_lo, exec_lo, s13
	v_or_b32_e32 v19, 0xb00, v0
	s_delay_alu instid0(VALU_DEP_1) | instskip(SKIP_1) | instid1(VALU_DEP_2)
	v_cmp_gt_u32_e64 s12, s26, v19
	v_lshlrev_b32_e32 v28, 2, v19
                                        ; implicit-def: $vgpr19
	s_and_saveexec_b32 s14, s12
	s_cbranch_execz .LBB582_31
; %bb.30:
	s_delay_alu instid0(VALU_DEP_1) | instskip(NEXT) | instid1(VALU_DEP_1)
	v_add_co_u32 v19, s13, v4, v28
	v_add_co_ci_u32_e64 v20, s13, 0, v2, s13
	flat_load_b32 v19, v[19:20]
.LBB582_31:
	s_or_b32 exec_lo, exec_lo, s14
	v_or_b32_e32 v20, 0xc00, v0
	s_delay_alu instid0(VALU_DEP_1) | instskip(SKIP_1) | instid1(VALU_DEP_2)
	v_cmp_gt_u32_e64 s13, s26, v20
	v_lshlrev_b32_e32 v29, 2, v20
                                        ; implicit-def: $vgpr20
	s_and_saveexec_b32 s15, s13
	s_cbranch_execz .LBB582_33
; %bb.32:
	s_delay_alu instid0(VALU_DEP_1) | instskip(NEXT) | instid1(VALU_DEP_1)
	v_add_co_u32 v20, s14, v4, v29
	v_add_co_ci_u32_e64 v21, s14, 0, v2, s14
	flat_load_b32 v20, v[20:21]
.LBB582_33:
	s_or_b32 exec_lo, exec_lo, s15
	v_or_b32_e32 v21, 0xd00, v0
	s_delay_alu instid0(VALU_DEP_1) | instskip(SKIP_1) | instid1(VALU_DEP_2)
	v_cmp_gt_u32_e64 s14, s26, v21
	v_lshlrev_b32_e32 v30, 2, v21
                                        ; implicit-def: $vgpr21
	s_and_saveexec_b32 s16, s14
	s_cbranch_execz .LBB582_35
; %bb.34:
	s_delay_alu instid0(VALU_DEP_1) | instskip(NEXT) | instid1(VALU_DEP_1)
	v_add_co_u32 v21, s15, v4, v30
	v_add_co_ci_u32_e64 v22, s15, 0, v2, s15
	flat_load_b32 v21, v[21:22]
.LBB582_35:
	s_or_b32 exec_lo, exec_lo, s16
	v_or_b32_e32 v22, 0xe00, v0
	s_delay_alu instid0(VALU_DEP_1) | instskip(SKIP_1) | instid1(VALU_DEP_2)
	v_cmp_gt_u32_e64 s15, s26, v22
	v_lshlrev_b32_e32 v31, 2, v22
                                        ; implicit-def: $vgpr22
	s_and_saveexec_b32 s27, s15
	s_cbranch_execz .LBB582_37
; %bb.36:
	s_delay_alu instid0(VALU_DEP_1) | instskip(NEXT) | instid1(VALU_DEP_1)
	v_add_co_u32 v32, s16, v4, v31
	v_add_co_ci_u32_e64 v33, s16, 0, v2, s16
	flat_load_b32 v22, v[32:33]
.LBB582_37:
	s_or_b32 exec_lo, exec_lo, s27
	v_lshlrev_b32_e32 v26, 2, v0
                                        ; implicit-def: $vgpr32
	s_waitcnt vmcnt(0) lgkmcnt(0)
	ds_store_2addr_stride64_b32 v26, v5, v9 offset1:4
	ds_store_2addr_stride64_b32 v26, v10, v11 offset0:8 offset1:12
	ds_store_2addr_stride64_b32 v26, v12, v13 offset0:16 offset1:20
	;; [unrolled: 1-line block ×6, first 2 shown]
	v_mad_u32_u24 v5, v0, 56, v26
	ds_store_b32 v26, v22 offset:14336
	s_waitcnt lgkmcnt(0)
	s_barrier
	buffer_gl0_inv
	ds_load_2addr_b32 v[21:22], v5 offset1:1
	ds_load_2addr_b32 v[19:20], v5 offset0:2 offset1:3
	ds_load_2addr_b32 v[17:18], v5 offset0:4 offset1:5
	;; [unrolled: 1-line block ×6, first 2 shown]
	ds_load_b32 v63, v5 offset:56
	s_waitcnt lgkmcnt(0)
	s_barrier
	buffer_gl0_inv
	s_and_saveexec_b32 s16, vcc_lo
	s_cbranch_execnz .LBB582_61
; %bb.38:
	s_or_b32 exec_lo, exec_lo, s16
                                        ; implicit-def: $vgpr33
	s_and_saveexec_b32 s16, s0
	s_cbranch_execnz .LBB582_62
.LBB582_39:
	s_or_b32 exec_lo, exec_lo, s16
                                        ; implicit-def: $vgpr34
	s_and_saveexec_b32 s0, s1
	s_cbranch_execnz .LBB582_63
.LBB582_40:
	s_or_b32 exec_lo, exec_lo, s0
                                        ; implicit-def: $vgpr35
	s_and_saveexec_b32 s0, s4
	s_cbranch_execnz .LBB582_64
.LBB582_41:
	s_or_b32 exec_lo, exec_lo, s0
                                        ; implicit-def: $vgpr36
	s_and_saveexec_b32 s0, s5
	s_cbranch_execnz .LBB582_65
.LBB582_42:
	s_or_b32 exec_lo, exec_lo, s0
                                        ; implicit-def: $vgpr6
	s_and_saveexec_b32 s0, s6
	s_cbranch_execnz .LBB582_66
.LBB582_43:
	s_or_b32 exec_lo, exec_lo, s0
                                        ; implicit-def: $vgpr7
	s_and_saveexec_b32 s0, s7
	s_cbranch_execnz .LBB582_67
.LBB582_44:
	s_or_b32 exec_lo, exec_lo, s0
                                        ; implicit-def: $vgpr8
	s_and_saveexec_b32 s0, s8
	s_cbranch_execnz .LBB582_68
.LBB582_45:
	s_or_b32 exec_lo, exec_lo, s0
                                        ; implicit-def: $vgpr23
	s_and_saveexec_b32 s0, s9
	s_cbranch_execnz .LBB582_69
.LBB582_46:
	s_or_b32 exec_lo, exec_lo, s0
                                        ; implicit-def: $vgpr24
	s_and_saveexec_b32 s0, s10
	s_cbranch_execnz .LBB582_70
.LBB582_47:
	s_or_b32 exec_lo, exec_lo, s0
                                        ; implicit-def: $vgpr25
	s_and_saveexec_b32 s0, s11
	s_cbranch_execnz .LBB582_71
.LBB582_48:
	s_or_b32 exec_lo, exec_lo, s0
                                        ; implicit-def: $vgpr27
	s_and_saveexec_b32 s0, s12
	s_cbranch_execnz .LBB582_72
.LBB582_49:
	s_or_b32 exec_lo, exec_lo, s0
                                        ; implicit-def: $vgpr28
	s_and_saveexec_b32 s0, s13
	s_cbranch_execnz .LBB582_73
.LBB582_50:
	s_or_b32 exec_lo, exec_lo, s0
                                        ; implicit-def: $vgpr29
	s_and_saveexec_b32 s0, s14
	s_cbranch_execnz .LBB582_74
.LBB582_51:
	s_or_b32 exec_lo, exec_lo, s0
                                        ; implicit-def: $vgpr30
	s_and_saveexec_b32 s0, s15
	s_cbranch_execz .LBB582_53
.LBB582_52:
	v_add_co_u32 v30, vcc_lo, v1, v31
	v_add_co_ci_u32_e32 v31, vcc_lo, 0, v3, vcc_lo
	flat_load_b32 v30, v[30:31]
.LBB582_53:
	s_or_b32 exec_lo, exec_lo, s0
	s_waitcnt vmcnt(0) lgkmcnt(0)
	ds_store_2addr_stride64_b32 v26, v32, v33 offset1:4
	ds_store_2addr_stride64_b32 v26, v34, v35 offset0:8 offset1:12
	ds_store_2addr_stride64_b32 v26, v36, v6 offset0:16 offset1:20
	;; [unrolled: 1-line block ×6, first 2 shown]
	ds_store_b32 v26, v30 offset:14336
	s_waitcnt lgkmcnt(0)
	s_barrier
.LBB582_54:
	buffer_gl0_inv
	ds_load_2addr_b32 v[35:36], v5 offset1:1
	ds_load_2addr_b32 v[33:34], v5 offset0:2 offset1:3
	ds_load_2addr_b32 v[31:32], v5 offset0:4 offset1:5
	;; [unrolled: 1-line block ×6, first 2 shown]
	ds_load_b32 v80, v5 offset:56
	s_cmp_eq_u64 s[24:25], 0
	s_waitcnt lgkmcnt(0)
	s_cselect_b32 s27, -1, 0
	s_cmp_lg_u64 s[24:25], 0
	s_barrier
	s_cselect_b32 s15, -1, 0
	s_and_b32 vcc_lo, exec_lo, s40
	buffer_gl0_inv
	s_cbranch_vccz .LBB582_60
; %bb.55:
	s_and_b32 vcc_lo, exec_lo, s15
	s_cbranch_vccz .LBB582_75
; %bb.56:
	v_add_co_u32 v5, vcc_lo, -4, v4
	v_add_co_ci_u32_e32 v6, vcc_lo, -1, v2, vcc_lo
	v_lshlrev_b32_e32 v3, 2, v0
	v_cmp_ne_u32_e32 vcc_lo, v10, v63
	v_cmp_ne_u32_e64 s0, v9, v10
	flat_load_b32 v1, v[5:6]
	v_cmp_ne_u32_e64 s1, v12, v9
	v_cmp_ne_u32_e64 s4, v11, v12
	;; [unrolled: 1-line block ×12, first 2 shown]
	s_mov_b32 s40, -1
	ds_store_b32 v3, v63
	s_waitcnt vmcnt(0) lgkmcnt(0)
	s_barrier
	buffer_gl0_inv
	s_and_saveexec_b32 s16, s3
	s_cbranch_execz .LBB582_58
; %bb.57:
	v_add_nc_u32_e32 v1, -4, v3
	ds_load_b32 v1, v1
.LBB582_58:
	s_or_b32 exec_lo, exec_lo, s16
	v_cndmask_b32_e64 v69, 0, 1, vcc_lo
	v_cndmask_b32_e64 v64, 0, 1, s0
	v_cndmask_b32_e64 v65, 0, 1, s1
	;; [unrolled: 1-line block ×13, first 2 shown]
	s_waitcnt lgkmcnt(0)
	v_cmp_ne_u32_e64 s0, v1, v21
.LBB582_59:
                                        ; implicit-def: $sgpr1
	s_branch .LBB582_87
.LBB582_60:
	s_mov_b32 s40, 0
                                        ; implicit-def: $sgpr0
                                        ; implicit-def: $vgpr69
                                        ; implicit-def: $vgpr64
                                        ; implicit-def: $vgpr65
                                        ; implicit-def: $vgpr66
                                        ; implicit-def: $vgpr67
                                        ; implicit-def: $vgpr68
                                        ; implicit-def: $vgpr70
                                        ; implicit-def: $vgpr71
                                        ; implicit-def: $vgpr72
                                        ; implicit-def: $vgpr73
                                        ; implicit-def: $vgpr74
                                        ; implicit-def: $vgpr75
                                        ; implicit-def: $vgpr76
                                        ; implicit-def: $vgpr77
                                        ; implicit-def: $sgpr1
	s_cbranch_execnz .LBB582_79
	s_branch .LBB582_87
.LBB582_61:
	v_add_co_u32 v32, vcc_lo, v1, v26
	v_add_co_ci_u32_e32 v33, vcc_lo, 0, v3, vcc_lo
	flat_load_b32 v32, v[32:33]
	s_or_b32 exec_lo, exec_lo, s16
                                        ; implicit-def: $vgpr33
	s_and_saveexec_b32 s16, s0
	s_cbranch_execz .LBB582_39
.LBB582_62:
	v_add_co_u32 v33, vcc_lo, v1, v26
	v_add_co_ci_u32_e32 v34, vcc_lo, 0, v3, vcc_lo
	flat_load_b32 v33, v[33:34] offset:1024
	s_or_b32 exec_lo, exec_lo, s16
                                        ; implicit-def: $vgpr34
	s_and_saveexec_b32 s0, s1
	s_cbranch_execz .LBB582_40
.LBB582_63:
	v_add_co_u32 v34, vcc_lo, v1, v26
	v_add_co_ci_u32_e32 v35, vcc_lo, 0, v3, vcc_lo
	flat_load_b32 v34, v[34:35] offset:2048
	s_or_b32 exec_lo, exec_lo, s0
                                        ; implicit-def: $vgpr35
	s_and_saveexec_b32 s0, s4
	s_cbranch_execz .LBB582_41
.LBB582_64:
	v_add_co_u32 v35, vcc_lo, v1, v26
	v_add_co_ci_u32_e32 v36, vcc_lo, 0, v3, vcc_lo
	flat_load_b32 v35, v[35:36] offset:3072
	s_or_b32 exec_lo, exec_lo, s0
                                        ; implicit-def: $vgpr36
	s_and_saveexec_b32 s0, s5
	s_cbranch_execz .LBB582_42
.LBB582_65:
	v_add_co_u32 v36, vcc_lo, v1, v6
	v_add_co_ci_u32_e32 v37, vcc_lo, 0, v3, vcc_lo
	flat_load_b32 v36, v[36:37]
	s_or_b32 exec_lo, exec_lo, s0
                                        ; implicit-def: $vgpr6
	s_and_saveexec_b32 s0, s6
	s_cbranch_execz .LBB582_43
.LBB582_66:
	v_add_co_u32 v6, vcc_lo, v1, v7
	v_add_co_ci_u32_e32 v7, vcc_lo, 0, v3, vcc_lo
	flat_load_b32 v6, v[6:7]
	s_or_b32 exec_lo, exec_lo, s0
                                        ; implicit-def: $vgpr7
	s_and_saveexec_b32 s0, s7
	s_cbranch_execz .LBB582_44
.LBB582_67:
	v_add_co_u32 v7, vcc_lo, v1, v8
	v_add_co_ci_u32_e32 v8, vcc_lo, 0, v3, vcc_lo
	flat_load_b32 v7, v[7:8]
	s_or_b32 exec_lo, exec_lo, s0
                                        ; implicit-def: $vgpr8
	s_and_saveexec_b32 s0, s8
	s_cbranch_execz .LBB582_45
.LBB582_68:
	v_add_co_u32 v37, vcc_lo, v1, v23
	v_add_co_ci_u32_e32 v38, vcc_lo, 0, v3, vcc_lo
	flat_load_b32 v8, v[37:38]
	s_or_b32 exec_lo, exec_lo, s0
                                        ; implicit-def: $vgpr23
	s_and_saveexec_b32 s0, s9
	s_cbranch_execz .LBB582_46
.LBB582_69:
	v_add_co_u32 v23, vcc_lo, v1, v24
	v_add_co_ci_u32_e32 v24, vcc_lo, 0, v3, vcc_lo
	flat_load_b32 v23, v[23:24]
	s_or_b32 exec_lo, exec_lo, s0
                                        ; implicit-def: $vgpr24
	s_and_saveexec_b32 s0, s10
	s_cbranch_execz .LBB582_47
.LBB582_70:
	v_add_co_u32 v24, vcc_lo, v1, v25
	v_add_co_ci_u32_e32 v25, vcc_lo, 0, v3, vcc_lo
	flat_load_b32 v24, v[24:25]
	s_or_b32 exec_lo, exec_lo, s0
                                        ; implicit-def: $vgpr25
	s_and_saveexec_b32 s0, s11
	s_cbranch_execz .LBB582_48
.LBB582_71:
	v_add_co_u32 v37, vcc_lo, v1, v27
	v_add_co_ci_u32_e32 v38, vcc_lo, 0, v3, vcc_lo
	flat_load_b32 v25, v[37:38]
	s_or_b32 exec_lo, exec_lo, s0
                                        ; implicit-def: $vgpr27
	s_and_saveexec_b32 s0, s12
	s_cbranch_execz .LBB582_49
.LBB582_72:
	v_add_co_u32 v27, vcc_lo, v1, v28
	v_add_co_ci_u32_e32 v28, vcc_lo, 0, v3, vcc_lo
	flat_load_b32 v27, v[27:28]
	s_or_b32 exec_lo, exec_lo, s0
                                        ; implicit-def: $vgpr28
	s_and_saveexec_b32 s0, s13
	s_cbranch_execz .LBB582_50
.LBB582_73:
	v_add_co_u32 v28, vcc_lo, v1, v29
	v_add_co_ci_u32_e32 v29, vcc_lo, 0, v3, vcc_lo
	flat_load_b32 v28, v[28:29]
	s_or_b32 exec_lo, exec_lo, s0
                                        ; implicit-def: $vgpr29
	s_and_saveexec_b32 s0, s14
	s_cbranch_execz .LBB582_51
.LBB582_74:
	v_add_co_u32 v29, vcc_lo, v1, v30
	v_add_co_ci_u32_e32 v30, vcc_lo, 0, v3, vcc_lo
	flat_load_b32 v29, v[29:30]
	s_or_b32 exec_lo, exec_lo, s0
                                        ; implicit-def: $vgpr30
	s_and_saveexec_b32 s0, s15
	s_cbranch_execnz .LBB582_52
	s_branch .LBB582_53
.LBB582_75:
	s_mov_b32 s40, 0
                                        ; implicit-def: $sgpr0
                                        ; implicit-def: $vgpr69
                                        ; implicit-def: $vgpr64
                                        ; implicit-def: $vgpr65
                                        ; implicit-def: $vgpr66
                                        ; implicit-def: $vgpr67
                                        ; implicit-def: $vgpr68
                                        ; implicit-def: $vgpr70
                                        ; implicit-def: $vgpr71
                                        ; implicit-def: $vgpr72
                                        ; implicit-def: $vgpr73
                                        ; implicit-def: $vgpr74
                                        ; implicit-def: $vgpr75
                                        ; implicit-def: $vgpr76
                                        ; implicit-def: $vgpr77
	s_cbranch_execz .LBB582_59
; %bb.76:
	v_cmp_ne_u32_e32 vcc_lo, v10, v63
	v_lshlrev_b32_e32 v1, 2, v0
                                        ; implicit-def: $sgpr0
	v_cndmask_b32_e64 v69, 0, 1, vcc_lo
	v_cmp_ne_u32_e32 vcc_lo, v9, v10
	ds_store_b32 v1, v63
	s_waitcnt lgkmcnt(0)
	s_barrier
	buffer_gl0_inv
	v_cndmask_b32_e64 v64, 0, 1, vcc_lo
	v_cmp_ne_u32_e32 vcc_lo, v12, v9
	v_cndmask_b32_e64 v65, 0, 1, vcc_lo
	v_cmp_ne_u32_e32 vcc_lo, v11, v12
	;; [unrolled: 2-line block ×12, first 2 shown]
	v_cndmask_b32_e64 v77, 0, 1, vcc_lo
	s_and_saveexec_b32 s1, s3
	s_delay_alu instid0(SALU_CYCLE_1)
	s_xor_b32 s1, exec_lo, s1
	s_cbranch_execz .LBB582_78
; %bb.77:
	v_add_nc_u32_e32 v1, -4, v1
	s_or_b32 s40, s40, exec_lo
	ds_load_b32 v1, v1
	s_waitcnt lgkmcnt(0)
	v_cmp_ne_u32_e32 vcc_lo, v1, v21
	s_and_b32 s0, vcc_lo, exec_lo
.LBB582_78:
	s_or_b32 exec_lo, exec_lo, s1
	s_mov_b32 s1, 1
	s_branch .LBB582_87
.LBB582_79:
	s_mul_hi_u32 s0, s24, 0xfffff100
	s_mul_i32 s1, s25, 0xfffff100
	s_sub_i32 s0, s0, s24
	s_mul_i32 s4, s24, 0xfffff100
	s_add_i32 s0, s0, s1
	s_add_u32 s24, s4, s36
	s_addc_u32 s25, s0, s37
	s_and_b32 vcc_lo, exec_lo, s15
	v_cmp_ne_u32_e64 s14, v10, v63
	v_cmp_ne_u32_e64 s15, v9, v10
	v_cmp_ne_u32_e64 s13, v12, v9
	v_cmp_ne_u32_e64 s12, v11, v12
	v_cmp_ne_u32_e64 s8, v14, v11
	v_cmp_ne_u32_e64 s9, v13, v14
	v_cmp_ne_u32_e64 s10, v16, v13
	v_cmp_ne_u32_e64 s11, v15, v16
	v_cmp_ne_u32_e64 s0, v18, v15
	v_cmp_ne_u32_e64 s1, v17, v18
	v_cmp_ne_u32_e64 s4, v20, v17
	v_cmp_ne_u32_e64 s5, v19, v20
	v_cmp_ne_u32_e64 s6, v22, v19
	v_cmp_ne_u32_e64 s7, v21, v22
	v_mad_u32_u24 v1, v0, 15, 14
	v_mad_u32_u24 v55, v0, 15, 13
	;; [unrolled: 1-line block ×14, first 2 shown]
	s_cbranch_vccz .LBB582_84
; %bb.80:
	v_add_co_u32 v56, vcc_lo, -4, v4
	v_add_co_ci_u32_e32 v57, vcc_lo, -1, v2, vcc_lo
	v_mov_b32_e32 v2, 0
	s_mov_b32 s40, -1
	s_mov_b32 s36, 0
	flat_load_b32 v58, v[56:57]
	v_lshlrev_b32_e32 v57, 2, v0
	v_cmp_gt_u64_e32 vcc_lo, s[24:25], v[1:2]
	v_mov_b32_e32 v56, v2
	v_mov_b32_e32 v54, v2
	;; [unrolled: 1-line block ×5, first 2 shown]
	v_cmp_gt_u64_e64 s16, s[24:25], v[55:56]
	s_and_b32 s37, vcc_lo, s14
	v_cmp_gt_u64_e32 vcc_lo, s[24:25], v[53:54]
	v_mov_b32_e32 v46, v2
	v_mov_b32_e32 v44, v2
	v_cmp_gt_u64_e64 s14, s[24:25], v[51:52]
	s_and_b32 s41, s16, s15
	v_mov_b32_e32 v42, v2
	s_and_b32 s42, vcc_lo, s13
	v_cmp_gt_u64_e32 vcc_lo, s[24:25], v[49:50]
	v_cmp_gt_u64_e64 s13, s[24:25], v[47:48]
	v_cmp_gt_u64_e64 s15, s[24:25], v[45:46]
	;; [unrolled: 1-line block ×3, first 2 shown]
	v_mov_b32_e32 v40, v2
	v_mov_b32_e32 v38, v2
	;; [unrolled: 1-line block ×5, first 2 shown]
	s_and_b32 s14, s14, s12
	s_and_b32 s43, vcc_lo, s8
	s_and_b32 s13, s13, s9
	s_and_b32 s15, s15, s10
	;; [unrolled: 1-line block ×3, first 2 shown]
	v_cmp_gt_u64_e32 vcc_lo, s[24:25], v[41:42]
	v_cmp_gt_u64_e64 s8, s[24:25], v[39:40]
	v_cmp_gt_u64_e64 s9, s[24:25], v[37:38]
	;; [unrolled: 1-line block ×5, first 2 shown]
	v_mul_u32_u24_e32 v56, 15, v0
	s_and_b32 s0, vcc_lo, s0
	s_and_b32 s8, s8, s1
	s_and_b32 s9, s9, s4
	;; [unrolled: 1-line block ×5, first 2 shown]
	ds_store_b32 v57, v63
	s_waitcnt vmcnt(0) lgkmcnt(0)
	s_barrier
	buffer_gl0_inv
	s_and_saveexec_b32 s6, s3
	s_cbranch_execz .LBB582_82
; %bb.81:
	v_add_nc_u32_e32 v4, -4, v57
	ds_load_b32 v58, v4
.LBB582_82:
	s_or_b32 exec_lo, exec_lo, s6
	v_mov_b32_e32 v57, v2
	v_cndmask_b32_e64 v72, 0, 1, s0
	s_waitcnt lgkmcnt(0)
	v_cmp_ne_u32_e64 s0, v58, v21
	v_cndmask_b32_e64 v69, 0, 1, s37
	v_cndmask_b32_e64 v64, 0, 1, s41
	v_cmp_gt_u64_e32 vcc_lo, s[24:25], v[56:57]
	v_cndmask_b32_e64 v65, 0, 1, s42
	v_cndmask_b32_e64 v66, 0, 1, s14
	;; [unrolled: 1-line block ×11, first 2 shown]
	s_and_b32 s0, vcc_lo, s0
	s_and_b32 vcc_lo, exec_lo, s36
	s_cbranch_vccnz .LBB582_85
.LBB582_83:
                                        ; implicit-def: $sgpr1
	v_mov_b32_e32 v78, s1
	s_and_saveexec_b32 s1, s40
	s_cbranch_execnz .LBB582_88
	s_branch .LBB582_89
.LBB582_84:
                                        ; implicit-def: $sgpr0
                                        ; implicit-def: $vgpr69
                                        ; implicit-def: $vgpr64
                                        ; implicit-def: $vgpr65
                                        ; implicit-def: $vgpr66
                                        ; implicit-def: $vgpr67
                                        ; implicit-def: $vgpr68
                                        ; implicit-def: $vgpr70
                                        ; implicit-def: $vgpr71
                                        ; implicit-def: $vgpr72
                                        ; implicit-def: $vgpr73
                                        ; implicit-def: $vgpr74
                                        ; implicit-def: $vgpr75
                                        ; implicit-def: $vgpr76
                                        ; implicit-def: $vgpr77
	s_cbranch_execz .LBB582_83
.LBB582_85:
	v_dual_mov_b32 v2, 0 :: v_dual_lshlrev_b32 v57, 2, v0
	v_cmp_ne_u32_e64 s1, v12, v9
	v_cmp_ne_u32_e32 vcc_lo, v10, v63
	v_cmp_ne_u32_e64 s0, v9, v10
	s_delay_alu instid0(VALU_DEP_4)
	v_mov_b32_e32 v54, v2
	v_mov_b32_e32 v56, v2
	v_cmp_gt_u64_e64 s4, s[24:25], v[1:2]
	v_mov_b32_e32 v50, v2
	v_mov_b32_e32 v52, v2
	v_cmp_gt_u64_e64 s6, s[24:25], v[53:54]
	v_cmp_gt_u64_e64 s5, s[24:25], v[55:56]
	v_mov_b32_e32 v48, v2
	s_and_b32 s4, s4, vcc_lo
	v_cmp_gt_u64_e32 vcc_lo, s[24:25], v[51:52]
	v_cndmask_b32_e64 v69, 0, 1, s4
	s_and_b32 s1, s6, s1
	s_and_b32 s0, s5, s0
	v_cndmask_b32_e64 v65, 0, 1, s1
	v_cmp_gt_u64_e64 s1, s[24:25], v[49:50]
	v_cmp_ne_u32_e64 s4, v14, v11
	v_cndmask_b32_e64 v64, 0, 1, s0
	v_cmp_ne_u32_e64 s0, v11, v12
	v_mov_b32_e32 v46, v2
	v_mov_b32_e32 v44, v2
	s_and_b32 s1, s1, s4
	v_cmp_ne_u32_e64 s4, v16, v13
	s_and_b32 s0, vcc_lo, s0
	v_cmp_gt_u64_e32 vcc_lo, s[24:25], v[47:48]
	v_cndmask_b32_e64 v67, 0, 1, s1
	v_cmp_gt_u64_e64 s1, s[24:25], v[45:46]
	v_cndmask_b32_e64 v66, 0, 1, s0
	v_cmp_ne_u32_e64 s0, v13, v14
	v_mov_b32_e32 v42, v2
	v_mov_b32_e32 v40, v2
	;; [unrolled: 1-line block ×3, first 2 shown]
	s_and_b32 s1, s1, s4
	s_and_b32 s0, vcc_lo, s0
	v_cmp_gt_u64_e32 vcc_lo, s[24:25], v[43:44]
	v_cndmask_b32_e64 v68, 0, 1, s0
	v_cmp_ne_u32_e64 s0, v15, v16
	v_cndmask_b32_e64 v70, 0, 1, s1
	v_cmp_gt_u64_e64 s1, s[24:25], v[41:42]
	v_cmp_ne_u32_e64 s4, v18, v15
	v_mov_b32_e32 v8, v2
	s_and_b32 s0, vcc_lo, s0
	v_cmp_gt_u64_e32 vcc_lo, s[24:25], v[39:40]
	v_cndmask_b32_e64 v71, 0, 1, s0
	s_and_b32 s1, s1, s4
	v_cmp_ne_u32_e64 s0, v17, v18
	v_cndmask_b32_e64 v72, 0, 1, s1
	v_cmp_gt_u64_e64 s1, s[24:25], v[37:38]
	v_cmp_ne_u32_e64 s4, v20, v17
	v_mov_b32_e32 v6, v2
	s_and_b32 s0, vcc_lo, s0
	v_mov_b32_e32 v4, v2
	v_cndmask_b32_e64 v73, 0, 1, s0
	s_and_b32 s0, s1, s4
	v_cmp_gt_u64_e32 vcc_lo, s[24:25], v[7:8]
	v_cndmask_b32_e64 v74, 0, 1, s0
	v_cmp_ne_u32_e64 s0, v19, v20
	v_cmp_gt_u64_e64 s1, s[24:25], v[5:6]
	v_cmp_ne_u32_e64 s4, v22, v19
	v_cmp_gt_u64_e64 s5, s[24:25], v[3:4]
	v_cmp_ne_u32_e64 s6, v21, v22
	s_and_b32 s0, vcc_lo, s0
	ds_store_b32 v57, v63
	v_cndmask_b32_e64 v75, 0, 1, s0
	s_and_b32 s0, s1, s4
	s_mov_b32 s1, 1
	v_cndmask_b32_e64 v76, 0, 1, s0
	s_and_b32 s0, s5, s6
	s_waitcnt lgkmcnt(0)
	v_cndmask_b32_e64 v77, 0, 1, s0
	s_barrier
	buffer_gl0_inv
                                        ; implicit-def: $sgpr0
	s_and_saveexec_b32 s4, s3
	s_cbranch_execz .LBB582_167
; %bb.86:
	v_add_nc_u32_e32 v1, -4, v57
	s_or_b32 s40, s40, exec_lo
	ds_load_b32 v3, v1
	v_mul_u32_u24_e32 v1, 15, v0
	s_delay_alu instid0(VALU_DEP_1) | instskip(SKIP_2) | instid1(VALU_DEP_1)
	v_cmp_gt_u64_e32 vcc_lo, s[24:25], v[1:2]
	s_waitcnt lgkmcnt(0)
	v_cmp_ne_u32_e64 s0, v3, v21
	s_and_b32 s0, vcc_lo, s0
	s_delay_alu instid0(SALU_CYCLE_1)
	s_and_b32 s0, s0, exec_lo
	s_or_b32 exec_lo, exec_lo, s4
.LBB582_87:
	v_mov_b32_e32 v78, s1
	s_and_saveexec_b32 s1, s40
.LBB582_88:
	s_delay_alu instid0(VALU_DEP_2)
	v_cndmask_b32_e64 v78, 0, 1, s0
.LBB582_89:
	s_or_b32 exec_lo, exec_lo, s1
	s_delay_alu instid0(VALU_DEP_1)
	v_add3_u32 v1, v77, v78, v76
	v_cmp_eq_u32_e64 s13, 0, v77
	v_cmp_eq_u32_e64 s12, 0, v76
	;; [unrolled: 1-line block ×4, first 2 shown]
	v_add3_u32 v84, v1, v75, v74
	v_cmp_eq_u32_e64 s9, 0, v73
	v_cmp_eq_u32_e64 s8, 0, v72
	;; [unrolled: 1-line block ×9, first 2 shown]
	v_cmp_eq_u32_e32 vcc_lo, 0, v69
	v_mbcnt_lo_u32_b32 v81, -1, 0
	v_lshrrev_b32_e32 v82, 5, v0
	v_or_b32_e32 v83, 31, v0
	s_cmp_eq_u64 s[22:23], 0
	s_cselect_b32 s16, -1, 0
	s_cmp_lg_u32 s33, 0
	s_cbranch_scc0 .LBB582_115
; %bb.90:
	v_cndmask_b32_e64 v1, 0, v35, s13
	v_add3_u32 v2, v84, v73, v72
	s_delay_alu instid0(VALU_DEP_2) | instskip(NEXT) | instid1(VALU_DEP_2)
	v_add_nc_u32_e32 v1, v1, v36
	v_add3_u32 v2, v2, v71, v70
	s_delay_alu instid0(VALU_DEP_2) | instskip(NEXT) | instid1(VALU_DEP_2)
	v_cndmask_b32_e64 v1, 0, v1, s12
	v_add3_u32 v2, v2, v68, v67
	s_delay_alu instid0(VALU_DEP_2) | instskip(NEXT) | instid1(VALU_DEP_2)
	v_add_nc_u32_e32 v1, v1, v33
	v_add3_u32 v2, v2, v66, v65
	s_delay_alu instid0(VALU_DEP_2) | instskip(NEXT) | instid1(VALU_DEP_2)
	v_cndmask_b32_e64 v1, 0, v1, s11
	v_add3_u32 v2, v2, v64, v69
	s_delay_alu instid0(VALU_DEP_2) | instskip(NEXT) | instid1(VALU_DEP_2)
	v_add_nc_u32_e32 v1, v1, v34
	v_mov_b32_dpp v5, v2 row_shr:1 row_mask:0xf bank_mask:0xf
	s_delay_alu instid0(VALU_DEP_2) | instskip(NEXT) | instid1(VALU_DEP_1)
	v_cndmask_b32_e64 v1, 0, v1, s10
	v_add_nc_u32_e32 v1, v1, v31
	s_delay_alu instid0(VALU_DEP_1) | instskip(NEXT) | instid1(VALU_DEP_1)
	v_cndmask_b32_e64 v1, 0, v1, s9
	v_add_nc_u32_e32 v1, v1, v32
	s_delay_alu instid0(VALU_DEP_1) | instskip(NEXT) | instid1(VALU_DEP_1)
	;; [unrolled: 3-line block ×9, first 2 shown]
	v_cndmask_b32_e64 v1, 0, v1, s0
	v_add_nc_u32_e32 v1, v1, v24
	s_delay_alu instid0(VALU_DEP_1) | instskip(SKIP_1) | instid1(VALU_DEP_2)
	v_cndmask_b32_e32 v1, 0, v1, vcc_lo
	v_cmp_eq_u32_e32 vcc_lo, 0, v2
	v_add_nc_u32_e32 v1, v1, v80
	s_delay_alu instid0(VALU_DEP_1) | instskip(NEXT) | instid1(VALU_DEP_1)
	v_mov_b32_dpp v3, v1 row_shr:1 row_mask:0xf bank_mask:0xf
	v_dual_cndmask_b32 v3, 0, v3 :: v_dual_and_b32 v4, 15, v81
	s_delay_alu instid0(VALU_DEP_1) | instskip(SKIP_2) | instid1(VALU_DEP_4)
	v_cmp_eq_u32_e32 vcc_lo, 0, v4
	v_cmp_lt_u32_e64 s14, 1, v4
	v_cndmask_b32_e64 v5, v5, 0, vcc_lo
	v_cndmask_b32_e64 v3, v3, 0, vcc_lo
	s_delay_alu instid0(VALU_DEP_2) | instskip(NEXT) | instid1(VALU_DEP_2)
	v_add_nc_u32_e32 v2, v5, v2
	v_add_nc_u32_e32 v1, v3, v1
	s_delay_alu instid0(VALU_DEP_2) | instskip(SKIP_1) | instid1(VALU_DEP_3)
	v_mov_b32_dpp v3, v2 row_shr:2 row_mask:0xf bank_mask:0xf
	v_cmp_eq_u32_e32 vcc_lo, 0, v2
	v_mov_b32_dpp v5, v1 row_shr:2 row_mask:0xf bank_mask:0xf
	s_delay_alu instid0(VALU_DEP_3) | instskip(SKIP_2) | instid1(VALU_DEP_2)
	v_cndmask_b32_e64 v3, 0, v3, s14
	s_and_b32 vcc_lo, s14, vcc_lo
	v_cmp_lt_u32_e64 s14, 3, v4
	v_dual_cndmask_b32 v5, 0, v5 :: v_dual_add_nc_u32 v2, v2, v3
	s_delay_alu instid0(VALU_DEP_1) | instskip(NEXT) | instid1(VALU_DEP_2)
	v_add_nc_u32_e32 v1, v5, v1
	v_mov_b32_dpp v3, v2 row_shr:4 row_mask:0xf bank_mask:0xf
	v_cmp_eq_u32_e32 vcc_lo, 0, v2
	s_delay_alu instid0(VALU_DEP_3) | instskip(NEXT) | instid1(VALU_DEP_3)
	v_mov_b32_dpp v5, v1 row_shr:4 row_mask:0xf bank_mask:0xf
	v_cndmask_b32_e64 v3, 0, v3, s14
	s_and_b32 vcc_lo, s14, vcc_lo
	v_cmp_lt_u32_e64 s14, 7, v4
	s_delay_alu instid0(VALU_DEP_2) | instskip(NEXT) | instid1(VALU_DEP_1)
	v_dual_cndmask_b32 v5, 0, v5 :: v_dual_add_nc_u32 v2, v3, v2
	v_add_nc_u32_e32 v1, v1, v5
	v_bfe_i32 v5, v81, 4, 1
	s_delay_alu instid0(VALU_DEP_3) | instskip(SKIP_1) | instid1(VALU_DEP_4)
	v_cmp_eq_u32_e32 vcc_lo, 0, v2
	v_mov_b32_dpp v3, v2 row_shr:8 row_mask:0xf bank_mask:0xf
	v_mov_b32_dpp v4, v1 row_shr:8 row_mask:0xf bank_mask:0xf
	s_and_b32 vcc_lo, s14, vcc_lo
	s_delay_alu instid0(VALU_DEP_2) | instskip(SKIP_1) | instid1(VALU_DEP_2)
	v_cndmask_b32_e64 v3, 0, v3, s14
	s_mov_b32 s14, exec_lo
	v_cndmask_b32_e32 v4, 0, v4, vcc_lo
	s_delay_alu instid0(VALU_DEP_1) | instskip(NEXT) | instid1(VALU_DEP_3)
	v_add_nc_u32_e32 v4, v4, v1
	v_add_nc_u32_e32 v1, v3, v2
	ds_swizzle_b32 v2, v4 offset:swizzle(BROADCAST,32,15)
	ds_swizzle_b32 v3, v1 offset:swizzle(BROADCAST,32,15)
	v_cmp_eq_u32_e32 vcc_lo, 0, v1
	s_waitcnt lgkmcnt(0)
	v_dual_cndmask_b32 v2, 0, v2 :: v_dual_and_b32 v3, v5, v3
	s_delay_alu instid0(VALU_DEP_1) | instskip(NEXT) | instid1(VALU_DEP_2)
	v_and_b32_e32 v2, v5, v2
	v_add_nc_u32_e32 v1, v3, v1
	v_lshlrev_b32_e32 v3, 3, v82
	s_delay_alu instid0(VALU_DEP_3)
	v_add_nc_u32_e32 v2, v2, v4
	v_cmpx_eq_u32_e64 v83, v0
	s_cbranch_execz .LBB582_92
; %bb.91:
	ds_store_b64 v3, v[1:2] offset:2064
.LBB582_92:
	s_or_b32 exec_lo, exec_lo, s14
	s_delay_alu instid0(SALU_CYCLE_1)
	s_mov_b32 s15, exec_lo
	s_waitcnt lgkmcnt(0)
	s_barrier
	buffer_gl0_inv
	v_cmpx_gt_u32_e32 8, v0
	s_cbranch_execz .LBB582_94
; %bb.93:
	v_lshlrev_b32_e32 v6, 3, v0
	v_and_b32_e32 v8, 7, v81
	ds_load_b64 v[4:5], v6 offset:2064
	v_cmp_lt_u32_e64 s14, 1, v8
	s_waitcnt lgkmcnt(0)
	v_mov_b32_dpp v7, v5 row_shr:1 row_mask:0xf bank_mask:0xf
	v_cmp_eq_u32_e32 vcc_lo, 0, v4
	v_mov_b32_dpp v37, v4 row_shr:1 row_mask:0xf bank_mask:0xf
	s_delay_alu instid0(VALU_DEP_3) | instskip(SKIP_1) | instid1(VALU_DEP_3)
	v_cndmask_b32_e32 v7, 0, v7, vcc_lo
	v_cmp_eq_u32_e32 vcc_lo, 0, v8
	v_cndmask_b32_e64 v37, v37, 0, vcc_lo
	s_delay_alu instid0(VALU_DEP_3) | instskip(NEXT) | instid1(VALU_DEP_2)
	v_cndmask_b32_e64 v7, v7, 0, vcc_lo
	v_add_nc_u32_e32 v4, v37, v4
	s_delay_alu instid0(VALU_DEP_2) | instskip(NEXT) | instid1(VALU_DEP_2)
	v_add_nc_u32_e32 v5, v7, v5
	v_cmp_eq_u32_e32 vcc_lo, 0, v4
	s_delay_alu instid0(VALU_DEP_2) | instskip(SKIP_1) | instid1(VALU_DEP_1)
	v_mov_b32_dpp v37, v5 row_shr:2 row_mask:0xf bank_mask:0xf
	s_and_b32 vcc_lo, s14, vcc_lo
	v_cndmask_b32_e32 v37, 0, v37, vcc_lo
	v_mov_b32_dpp v7, v4 row_shr:2 row_mask:0xf bank_mask:0xf
	s_delay_alu instid0(VALU_DEP_2) | instskip(NEXT) | instid1(VALU_DEP_2)
	v_add_nc_u32_e32 v5, v37, v5
	v_cndmask_b32_e64 v7, 0, v7, s14
	v_cmp_lt_u32_e64 s14, 3, v8
	s_delay_alu instid0(VALU_DEP_3) | instskip(NEXT) | instid1(VALU_DEP_3)
	v_mov_b32_dpp v8, v5 row_shr:4 row_mask:0xf bank_mask:0xf
	v_add_nc_u32_e32 v4, v7, v4
	s_delay_alu instid0(VALU_DEP_1) | instskip(SKIP_2) | instid1(VALU_DEP_1)
	v_cmp_eq_u32_e32 vcc_lo, 0, v4
	v_mov_b32_dpp v7, v4 row_shr:4 row_mask:0xf bank_mask:0xf
	s_and_b32 vcc_lo, s14, vcc_lo
	v_cndmask_b32_e64 v7, 0, v7, s14
	v_cndmask_b32_e32 v8, 0, v8, vcc_lo
	s_delay_alu instid0(VALU_DEP_2) | instskip(NEXT) | instid1(VALU_DEP_2)
	v_add_nc_u32_e32 v4, v7, v4
	v_add_nc_u32_e32 v5, v8, v5
	ds_store_b64 v6, v[4:5] offset:2064
.LBB582_94:
	s_or_b32 exec_lo, exec_lo, s15
	v_cmp_gt_u32_e32 vcc_lo, 32, v0
	v_dual_mov_b32 v37, 0 :: v_dual_mov_b32 v38, 0
	s_mov_b32 s15, exec_lo
	s_waitcnt lgkmcnt(0)
	s_barrier
	buffer_gl0_inv
	v_cmpx_lt_u32_e32 31, v0
	s_cbranch_execz .LBB582_96
; %bb.95:
	ds_load_b64 v[37:38], v3 offset:2056
	v_cmp_eq_u32_e64 s14, 0, v1
	s_waitcnt lgkmcnt(0)
	s_delay_alu instid0(VALU_DEP_1) | instskip(SKIP_1) | instid1(VALU_DEP_2)
	v_cndmask_b32_e64 v3, 0, v38, s14
	v_add_nc_u32_e32 v1, v37, v1
	v_add_nc_u32_e32 v2, v3, v2
.LBB582_96:
	s_or_b32 exec_lo, exec_lo, s15
	v_add_nc_u32_e32 v3, -1, v81
	s_delay_alu instid0(VALU_DEP_1) | instskip(NEXT) | instid1(VALU_DEP_1)
	v_cmp_gt_i32_e64 s14, 0, v3
	v_cndmask_b32_e64 v3, v3, v81, s14
	v_cmp_eq_u32_e64 s14, 0, v81
	s_delay_alu instid0(VALU_DEP_2)
	v_lshlrev_b32_e32 v3, 2, v3
	ds_bpermute_b32 v43, v3, v1
	ds_bpermute_b32 v44, v3, v2
	s_and_saveexec_b32 s22, vcc_lo
	s_cbranch_execz .LBB582_114
; %bb.97:
	v_mov_b32_e32 v4, 0
	ds_load_b64 v[1:2], v4 offset:2120
	s_waitcnt lgkmcnt(0)
	v_readfirstlane_b32 s23, v2
	s_and_saveexec_b32 s15, s14
	s_cbranch_execz .LBB582_99
; %bb.98:
	s_add_i32 s24, s33, 32
	s_mov_b32 s25, 0
	v_mov_b32_e32 v3, 1
	s_lshl_b64 s[36:37], s[24:25], 4
	s_mov_b32 s40, s25
	s_add_u32 s36, s20, s36
	s_addc_u32 s37, s21, s37
	s_and_b32 s41, s23, 0xff000000
	s_and_b32 s43, s23, 0xff0000
	s_mov_b32 s42, s25
	v_dual_mov_b32 v5, s36 :: v_dual_mov_b32 v6, s37
	s_or_b64 s[40:41], s[42:43], s[40:41]
	s_and_b32 s43, s23, 0xff00
	s_delay_alu instid0(SALU_CYCLE_1) | instskip(SKIP_1) | instid1(SALU_CYCLE_1)
	s_or_b64 s[40:41], s[40:41], s[42:43]
	s_and_b32 s43, s23, 0xff
	s_or_b64 s[24:25], s[40:41], s[42:43]
	s_delay_alu instid0(SALU_CYCLE_1)
	v_mov_b32_e32 v2, s25
	;;#ASMSTART
	global_store_dwordx4 v[5:6], v[1:4] off	
s_waitcnt vmcnt(0)
	;;#ASMEND
.LBB582_99:
	s_or_b32 exec_lo, exec_lo, s15
	v_xad_u32 v39, v81, -1, s33
	s_mov_b32 s24, 0
	s_mov_b32 s15, exec_lo
	s_delay_alu instid0(VALU_DEP_1) | instskip(NEXT) | instid1(VALU_DEP_1)
	v_add_nc_u32_e32 v3, 32, v39
	v_lshlrev_b64 v[2:3], 4, v[3:4]
	s_delay_alu instid0(VALU_DEP_1) | instskip(NEXT) | instid1(VALU_DEP_2)
	v_add_co_u32 v2, vcc_lo, s20, v2
	v_add_co_ci_u32_e32 v3, vcc_lo, s21, v3, vcc_lo
	;;#ASMSTART
	global_load_dwordx4 v[5:8], v[2:3] off glc	
s_waitcnt vmcnt(0)
	;;#ASMEND
	v_and_b32_e32 v4, 0xff, v6
	v_and_b32_e32 v8, 0xff00, v6
	v_and_b32_e32 v40, 0xff0000, v6
	v_or3_b32 v5, v5, 0, 0
	v_and_b32_e32 v6, 0xff000000, v6
	s_delay_alu instid0(VALU_DEP_4) | instskip(SKIP_1) | instid1(VALU_DEP_4)
	v_or3_b32 v4, 0, v4, v8
	v_and_b32_e32 v8, 0xff, v7
	v_or3_b32 v5, v5, 0, 0
	s_delay_alu instid0(VALU_DEP_3) | instskip(NEXT) | instid1(VALU_DEP_3)
	v_or3_b32 v6, v4, v40, v6
	v_cmpx_eq_u16_e32 0, v8
	s_cbranch_execz .LBB582_102
.LBB582_100:                            ; =>This Inner Loop Header: Depth=1
	;;#ASMSTART
	global_load_dwordx4 v[5:8], v[2:3] off glc	
s_waitcnt vmcnt(0)
	;;#ASMEND
	v_and_b32_e32 v4, 0xff, v7
	s_delay_alu instid0(VALU_DEP_1) | instskip(SKIP_1) | instid1(SALU_CYCLE_1)
	v_cmp_ne_u16_e32 vcc_lo, 0, v4
	s_or_b32 s24, vcc_lo, s24
	s_and_not1_b32 exec_lo, exec_lo, s24
	s_cbranch_execnz .LBB582_100
; %bb.101:
	s_or_b32 exec_lo, exec_lo, s24
.LBB582_102:
	s_delay_alu instid0(SALU_CYCLE_1)
	s_or_b32 exec_lo, exec_lo, s15
	v_cmp_ne_u32_e32 vcc_lo, 31, v81
	v_and_b32_e32 v3, 0xff, v7
	v_lshlrev_b32_e64 v45, v81, -1
	v_add_nc_u32_e32 v47, 2, v81
	v_add_nc_u32_e32 v49, 4, v81
	v_add_co_ci_u32_e32 v2, vcc_lo, 0, v81, vcc_lo
	v_cmp_eq_u16_e32 vcc_lo, 2, v3
	v_add_nc_u32_e32 v51, 8, v81
	v_add_nc_u32_e32 v53, 16, v81
	v_and_or_b32 v8, vcc_lo, v45, 0x80000000
	v_cmp_gt_u32_e32 vcc_lo, 30, v81
	s_delay_alu instid0(VALU_DEP_2) | instskip(SKIP_2) | instid1(VALU_DEP_3)
	v_ctz_i32_b32_e32 v8, v8
	v_cndmask_b32_e64 v40, 0, 1, vcc_lo
	v_cmp_eq_u32_e32 vcc_lo, 0, v5
	v_cmp_lt_u32_e64 s15, v81, v8
	s_delay_alu instid0(VALU_DEP_3) | instskip(NEXT) | instid1(VALU_DEP_2)
	v_lshlrev_b32_e32 v40, 1, v40
	s_and_b32 vcc_lo, s15, vcc_lo
	v_lshlrev_b32_e32 v2, 2, v2
	s_delay_alu instid0(VALU_DEP_2)
	v_add_lshl_u32 v46, v40, v81, 2
	ds_bpermute_b32 v3, v2, v6
	s_waitcnt lgkmcnt(0)
	v_cndmask_b32_e32 v3, 0, v3, vcc_lo
	ds_bpermute_b32 v4, v2, v5
	v_cmp_gt_u32_e32 vcc_lo, 28, v81
	v_add_nc_u32_e32 v3, v3, v6
	ds_bpermute_b32 v6, v46, v3
	s_waitcnt lgkmcnt(1)
	v_cndmask_b32_e64 v4, 0, v4, s15
	s_delay_alu instid0(VALU_DEP_1) | instskip(SKIP_1) | instid1(VALU_DEP_2)
	v_add_nc_u32_e32 v4, v4, v5
	v_cndmask_b32_e64 v5, 0, 1, vcc_lo
	v_cmp_eq_u32_e32 vcc_lo, 0, v4
	ds_bpermute_b32 v40, v46, v4
	s_waitcnt lgkmcnt(1)
	v_dual_cndmask_b32 v6, 0, v6 :: v_dual_lshlrev_b32 v5, 2, v5
	v_cmp_gt_u32_e32 vcc_lo, v47, v8
	s_delay_alu instid0(VALU_DEP_2) | instskip(NEXT) | instid1(VALU_DEP_3)
	v_add_lshl_u32 v48, v5, v81, 2
	v_cndmask_b32_e64 v6, v6, 0, vcc_lo
	s_delay_alu instid0(VALU_DEP_1) | instskip(SKIP_4) | instid1(VALU_DEP_2)
	v_add_nc_u32_e32 v3, v6, v3
	ds_bpermute_b32 v5, v48, v3
	s_waitcnt lgkmcnt(1)
	v_cndmask_b32_e64 v6, v40, 0, vcc_lo
	v_cmp_gt_u32_e32 vcc_lo, 24, v81
	v_add_nc_u32_e32 v4, v4, v6
	v_cndmask_b32_e64 v40, 0, 1, vcc_lo
	ds_bpermute_b32 v6, v48, v4
	v_cmp_eq_u32_e32 vcc_lo, 0, v4
	v_lshlrev_b32_e32 v40, 3, v40
	s_delay_alu instid0(VALU_DEP_1) | instskip(SKIP_3) | instid1(VALU_DEP_2)
	v_add_lshl_u32 v50, v40, v81, 2
	s_waitcnt lgkmcnt(1)
	v_cndmask_b32_e32 v5, 0, v5, vcc_lo
	v_cmp_gt_u32_e32 vcc_lo, v49, v8
	v_cndmask_b32_e64 v5, v5, 0, vcc_lo
	s_delay_alu instid0(VALU_DEP_1)
	v_add_nc_u32_e32 v3, v3, v5
	s_waitcnt lgkmcnt(0)
	v_cndmask_b32_e64 v6, v6, 0, vcc_lo
	v_cmp_gt_u32_e32 vcc_lo, 16, v81
	ds_bpermute_b32 v5, v50, v3
	v_add_nc_u32_e32 v4, v4, v6
	v_cndmask_b32_e64 v40, 0, 1, vcc_lo
	ds_bpermute_b32 v6, v50, v4
	v_cmp_eq_u32_e32 vcc_lo, 0, v4
	v_lshlrev_b32_e32 v40, 4, v40
	s_delay_alu instid0(VALU_DEP_1) | instskip(SKIP_3) | instid1(VALU_DEP_2)
	v_add_lshl_u32 v52, v40, v81, 2
	s_waitcnt lgkmcnt(1)
	v_dual_mov_b32 v40, 0 :: v_dual_cndmask_b32 v5, 0, v5
	v_cmp_gt_u32_e32 vcc_lo, v51, v8
	v_cndmask_b32_e64 v5, v5, 0, vcc_lo
	s_delay_alu instid0(VALU_DEP_1)
	v_add_nc_u32_e32 v3, v3, v5
	s_waitcnt lgkmcnt(0)
	v_cndmask_b32_e64 v5, v6, 0, vcc_lo
	ds_bpermute_b32 v6, v52, v3
	v_add_nc_u32_e32 v4, v4, v5
	ds_bpermute_b32 v5, v52, v4
	v_cmp_eq_u32_e32 vcc_lo, 0, v4
	s_waitcnt lgkmcnt(1)
	v_cndmask_b32_e32 v6, 0, v6, vcc_lo
	v_cmp_gt_u32_e32 vcc_lo, v53, v8
	s_delay_alu instid0(VALU_DEP_2) | instskip(SKIP_2) | instid1(VALU_DEP_2)
	v_cndmask_b32_e64 v6, v6, 0, vcc_lo
	s_waitcnt lgkmcnt(0)
	v_cndmask_b32_e64 v5, v5, 0, vcc_lo
	v_add_nc_u32_e32 v6, v6, v3
	s_delay_alu instid0(VALU_DEP_2)
	v_add_nc_u32_e32 v5, v5, v4
	s_branch .LBB582_104
.LBB582_103:                            ;   in Loop: Header=BB582_104 Depth=1
	s_or_b32 exec_lo, exec_lo, s15
	v_and_b32_e32 v8, 0xff, v7
	ds_bpermute_b32 v41, v2, v5
	v_subrev_nc_u32_e32 v39, 32, v39
	v_cmp_eq_u16_e32 vcc_lo, 2, v8
	ds_bpermute_b32 v8, v2, v6
	v_and_or_b32 v42, vcc_lo, v45, 0x80000000
	v_cmp_eq_u32_e32 vcc_lo, 0, v5
	s_delay_alu instid0(VALU_DEP_2) | instskip(NEXT) | instid1(VALU_DEP_1)
	v_ctz_i32_b32_e32 v42, v42
	v_cmp_lt_u32_e64 s15, v81, v42
	s_delay_alu instid0(VALU_DEP_1) | instskip(SKIP_4) | instid1(VALU_DEP_2)
	s_and_b32 vcc_lo, s15, vcc_lo
	s_waitcnt lgkmcnt(1)
	v_cndmask_b32_e64 v41, 0, v41, s15
	s_waitcnt lgkmcnt(0)
	v_cndmask_b32_e32 v8, 0, v8, vcc_lo
	v_add_nc_u32_e32 v5, v41, v5
	s_delay_alu instid0(VALU_DEP_2)
	v_add_nc_u32_e32 v6, v8, v6
	ds_bpermute_b32 v41, v46, v5
	ds_bpermute_b32 v8, v46, v6
	v_cmp_eq_u32_e32 vcc_lo, 0, v5
	s_waitcnt lgkmcnt(0)
	v_cndmask_b32_e32 v8, 0, v8, vcc_lo
	v_cmp_gt_u32_e32 vcc_lo, v47, v42
	v_cndmask_b32_e64 v41, v41, 0, vcc_lo
	s_delay_alu instid0(VALU_DEP_1) | instskip(NEXT) | instid1(VALU_DEP_4)
	v_add_nc_u32_e32 v5, v5, v41
	v_cndmask_b32_e64 v8, v8, 0, vcc_lo
	ds_bpermute_b32 v41, v48, v5
	v_add_nc_u32_e32 v6, v8, v6
	v_cmp_eq_u32_e32 vcc_lo, 0, v5
	ds_bpermute_b32 v8, v48, v6
	s_waitcnt lgkmcnt(0)
	v_cndmask_b32_e32 v8, 0, v8, vcc_lo
	v_cmp_gt_u32_e32 vcc_lo, v49, v42
	v_cndmask_b32_e64 v41, v41, 0, vcc_lo
	s_delay_alu instid0(VALU_DEP_1) | instskip(NEXT) | instid1(VALU_DEP_4)
	v_add_nc_u32_e32 v5, v5, v41
	v_cndmask_b32_e64 v8, v8, 0, vcc_lo
	ds_bpermute_b32 v41, v50, v5
	v_add_nc_u32_e32 v6, v6, v8
	v_cmp_eq_u32_e32 vcc_lo, 0, v5
	ds_bpermute_b32 v8, v50, v6
	;; [unrolled: 11-line block ×3, first 2 shown]
	s_waitcnt lgkmcnt(0)
	v_cndmask_b32_e32 v8, 0, v8, vcc_lo
	v_cmp_gt_u32_e32 vcc_lo, v53, v42
	s_delay_alu instid0(VALU_DEP_2) | instskip(NEXT) | instid1(VALU_DEP_1)
	v_cndmask_b32_e64 v8, v8, 0, vcc_lo
	v_add_nc_u32_e32 v6, v8, v6
	v_cndmask_b32_e64 v8, v41, 0, vcc_lo
	v_cmp_eq_u32_e32 vcc_lo, 0, v3
	s_delay_alu instid0(VALU_DEP_2) | instskip(NEXT) | instid1(VALU_DEP_4)
	v_add3_u32 v5, v5, v3, v8
	v_cndmask_b32_e32 v6, 0, v6, vcc_lo
	s_delay_alu instid0(VALU_DEP_1)
	v_add_nc_u32_e32 v6, v6, v4
.LBB582_104:                            ; =>This Loop Header: Depth=1
                                        ;     Child Loop BB582_107 Depth 2
	s_delay_alu instid0(VALU_DEP_1) | instskip(NEXT) | instid1(VALU_DEP_1)
	v_dual_mov_b32 v4, v6 :: v_dual_and_b32 v3, 0xff, v7
	v_cmp_ne_u16_e32 vcc_lo, 2, v3
	v_cndmask_b32_e64 v3, 0, 1, vcc_lo
	;;#ASMSTART
	;;#ASMEND
	s_delay_alu instid0(VALU_DEP_1)
	v_cmp_ne_u32_e32 vcc_lo, 0, v3
	v_mov_b32_e32 v3, v5
	s_cmp_lg_u32 vcc_lo, exec_lo
	s_cbranch_scc1 .LBB582_109
; %bb.105:                              ;   in Loop: Header=BB582_104 Depth=1
	v_lshlrev_b64 v[5:6], 4, v[39:40]
	s_mov_b32 s15, exec_lo
	s_delay_alu instid0(VALU_DEP_1) | instskip(NEXT) | instid1(VALU_DEP_2)
	v_add_co_u32 v41, vcc_lo, s20, v5
	v_add_co_ci_u32_e32 v42, vcc_lo, s21, v6, vcc_lo
	;;#ASMSTART
	global_load_dwordx4 v[5:8], v[41:42] off glc	
s_waitcnt vmcnt(0)
	;;#ASMEND
	v_and_b32_e32 v8, 0xff, v6
	v_and_b32_e32 v54, 0xff00, v6
	;; [unrolled: 1-line block ×3, first 2 shown]
	v_or3_b32 v5, v5, 0, 0
	v_and_b32_e32 v6, 0xff000000, v6
	s_delay_alu instid0(VALU_DEP_4) | instskip(SKIP_1) | instid1(VALU_DEP_4)
	v_or3_b32 v8, 0, v8, v54
	v_and_b32_e32 v54, 0xff, v7
	v_or3_b32 v5, v5, 0, 0
	s_delay_alu instid0(VALU_DEP_3) | instskip(NEXT) | instid1(VALU_DEP_3)
	v_or3_b32 v6, v8, v55, v6
	v_cmpx_eq_u16_e32 0, v54
	s_cbranch_execz .LBB582_103
; %bb.106:                              ;   in Loop: Header=BB582_104 Depth=1
	s_mov_b32 s24, 0
.LBB582_107:                            ;   Parent Loop BB582_104 Depth=1
                                        ; =>  This Inner Loop Header: Depth=2
	;;#ASMSTART
	global_load_dwordx4 v[5:8], v[41:42] off glc	
s_waitcnt vmcnt(0)
	;;#ASMEND
	v_and_b32_e32 v8, 0xff, v7
	s_delay_alu instid0(VALU_DEP_1) | instskip(SKIP_1) | instid1(SALU_CYCLE_1)
	v_cmp_ne_u16_e32 vcc_lo, 0, v8
	s_or_b32 s24, vcc_lo, s24
	s_and_not1_b32 exec_lo, exec_lo, s24
	s_cbranch_execnz .LBB582_107
; %bb.108:                              ;   in Loop: Header=BB582_104 Depth=1
	s_or_b32 exec_lo, exec_lo, s24
	s_branch .LBB582_103
.LBB582_109:                            ;   in Loop: Header=BB582_104 Depth=1
                                        ; implicit-def: $vgpr6
                                        ; implicit-def: $vgpr5
                                        ; implicit-def: $vgpr7
	s_cbranch_execz .LBB582_104
; %bb.110:
	s_and_saveexec_b32 s15, s14
	s_cbranch_execz .LBB582_112
; %bb.111:
	v_cmp_eq_u32_e32 vcc_lo, 0, v1
	s_mov_b32 s25, 0
	s_add_i32 s24, s33, 32
	v_add_nc_u32_e32 v5, v3, v1
	s_lshl_b64 s[24:25], s[24:25], 4
	v_cndmask_b32_e32 v2, 0, v4, vcc_lo
	s_add_u32 s24, s20, s24
	s_addc_u32 s25, s21, s25
	v_mov_b32_e32 v8, 0
	s_delay_alu instid0(VALU_DEP_2) | instskip(NEXT) | instid1(VALU_DEP_1)
	v_add_nc_u32_e32 v2, s23, v2
	v_and_b32_e32 v6, 0xff000000, v2
	v_and_b32_e32 v7, 0xff0000, v2
	s_delay_alu instid0(VALU_DEP_1) | instskip(SKIP_3) | instid1(VALU_DEP_1)
	v_or_b32_e32 v6, v7, v6
	v_mov_b32_e32 v7, 2
	v_and_b32_e32 v39, 0xff00, v2
	v_and_b32_e32 v2, 0xff, v2
	v_or3_b32 v6, v6, v39, v2
	v_mov_b32_e32 v2, s23
	v_dual_mov_b32 v40, s25 :: v_dual_mov_b32 v39, s24
	;;#ASMSTART
	global_store_dwordx4 v[39:40], v[5:8] off	
s_waitcnt vmcnt(0)
	;;#ASMEND
	ds_store_b128 v8, v[1:4] offset:2048
.LBB582_112:
	s_or_b32 exec_lo, exec_lo, s15
	s_delay_alu instid0(SALU_CYCLE_1)
	s_and_b32 exec_lo, exec_lo, s2
	s_cbranch_execz .LBB582_114
; %bb.113:
	v_mov_b32_e32 v1, 0
	ds_store_b64 v1, v[3:4] offset:2120
.LBB582_114:
	s_or_b32 exec_lo, exec_lo, s22
	s_waitcnt lgkmcnt(1)
	v_cndmask_b32_e64 v4, v43, v37, s14
	s_waitcnt lgkmcnt(0)
	s_barrier
	buffer_gl0_inv
	v_cndmask_b32_e64 v5, v44, v38, s14
	v_cmp_eq_u32_e32 vcc_lo, 0, v4
	v_mov_b32_e32 v3, 0
	ds_load_b64 v[1:2], v3 offset:2120
	s_waitcnt lgkmcnt(0)
	s_barrier
	buffer_gl0_inv
	v_cndmask_b32_e32 v6, 0, v2, vcc_lo
	v_cmp_eq_u32_e32 vcc_lo, 0, v78
	s_delay_alu instid0(VALU_DEP_2) | instskip(NEXT) | instid1(VALU_DEP_1)
	v_add_nc_u32_e32 v5, v6, v5
	v_cndmask_b32_e64 v54, v5, v2, s2
	s_delay_alu instid0(VALU_DEP_1) | instskip(NEXT) | instid1(VALU_DEP_1)
	v_cndmask_b32_e32 v2, 0, v54, vcc_lo
	v_add_nc_u32_e32 v60, v2, v35
	s_delay_alu instid0(VALU_DEP_1) | instskip(NEXT) | instid1(VALU_DEP_1)
	v_cndmask_b32_e64 v2, 0, v60, s13
	v_add_nc_u32_e32 v56, v2, v36
	s_delay_alu instid0(VALU_DEP_1) | instskip(NEXT) | instid1(VALU_DEP_1)
	v_cndmask_b32_e64 v2, 0, v56, s12
	;; [unrolled: 3-line block ×5, first 2 shown]
	v_add_nc_u32_e32 v40, v2, v32
	v_cndmask_b32_e64 v2, v4, 0, s2
	s_delay_alu instid0(VALU_DEP_2) | instskip(NEXT) | instid1(VALU_DEP_2)
	v_cndmask_b32_e64 v4, 0, v40, s8
	v_add_nc_u32_e32 v53, v1, v2
	s_delay_alu instid0(VALU_DEP_2) | instskip(NEXT) | instid1(VALU_DEP_1)
	v_add_nc_u32_e32 v44, v4, v29
	v_cndmask_b32_e64 v1, 0, v44, s7
	s_delay_alu instid0(VALU_DEP_1) | instskip(NEXT) | instid1(VALU_DEP_1)
	v_add_nc_u32_e32 v48, v1, v30
	v_cndmask_b32_e64 v1, 0, v48, s6
	s_delay_alu instid0(VALU_DEP_1) | instskip(NEXT) | instid1(VALU_DEP_1)
	;; [unrolled: 3-line block ×3, first 2 shown]
	v_add_nc_u32_e32 v8, v1, v28
	v_cndmask_b32_e64 v1, 0, v8, s4
	s_delay_alu instid0(VALU_DEP_1) | instskip(SKIP_2) | instid1(VALU_DEP_1)
	v_add_nc_u32_e32 v38, v1, v25
	ds_load_b128 v[1:4], v3 offset:2048
	v_cndmask_b32_e64 v37, 0, v38, s3
	v_add_nc_u32_e32 v62, v37, v26
	s_delay_alu instid0(VALU_DEP_1) | instskip(NEXT) | instid1(VALU_DEP_1)
	v_cndmask_b32_e64 v49, 0, v62, s1
	v_add_nc_u32_e32 v58, v49, v23
	s_waitcnt lgkmcnt(0)
	v_cmp_eq_u32_e32 vcc_lo, 0, v1
	s_delay_alu instid0(VALU_DEP_2) | instskip(SKIP_1) | instid1(VALU_DEP_2)
	v_cndmask_b32_e64 v50, 0, v58, s0
	v_dual_cndmask_b32 v4, 0, v4 :: v_dual_add_nc_u32 v59, v53, v78
	v_add_nc_u32_e32 v50, v50, v24
	s_delay_alu instid0(VALU_DEP_2) | instskip(NEXT) | instid1(VALU_DEP_3)
	v_add_nc_u32_e32 v79, v4, v2
	v_add_nc_u32_e32 v55, v59, v77
	s_delay_alu instid0(VALU_DEP_1) | instskip(NEXT) | instid1(VALU_DEP_1)
	v_add_nc_u32_e32 v51, v55, v76
	v_add_nc_u32_e32 v45, v51, v75
	s_delay_alu instid0(VALU_DEP_1) | instskip(NEXT) | instid1(VALU_DEP_1)
	;; [unrolled: 3-line block ×6, first 2 shown]
	v_add_nc_u32_e32 v57, v61, v65
	v_add_nc_u32_e32 v49, v57, v64
	s_branch .LBB582_127
.LBB582_115:
                                        ; implicit-def: $vgpr1
                                        ; implicit-def: $vgpr79
                                        ; implicit-def: $vgpr53_vgpr54
                                        ; implicit-def: $vgpr59_vgpr60
                                        ; implicit-def: $vgpr55_vgpr56
                                        ; implicit-def: $vgpr51_vgpr52
                                        ; implicit-def: $vgpr45_vgpr46
                                        ; implicit-def: $vgpr41_vgpr42
                                        ; implicit-def: $vgpr39_vgpr40
                                        ; implicit-def: $vgpr43_vgpr44
                                        ; implicit-def: $vgpr47_vgpr48
                                        ; implicit-def: $vgpr5_vgpr6
                                        ; implicit-def: $vgpr7_vgpr8
                                        ; implicit-def: $vgpr37_vgpr38
                                        ; implicit-def: $vgpr61_vgpr62
                                        ; implicit-def: $vgpr57_vgpr58
                                        ; implicit-def: $vgpr49_vgpr50
	s_cbranch_execz .LBB582_127
; %bb.116:
	s_and_b32 s0, s16, exec_lo
	v_mov_b32_e32 v49, v35
	s_cselect_b32 s1, 0, s35
	s_cselect_b32 s0, 0, s34
	s_delay_alu instid0(SALU_CYCLE_1)
	s_cmp_eq_u64 s[0:1], 0
	s_cbranch_scc1 .LBB582_118
; %bb.117:
	v_mov_b32_e32 v1, 0
	global_load_b32 v49, v1, s[0:1]
.LBB582_118:
	v_cmp_eq_u32_e64 s7, 0, v77
	v_cmp_eq_u32_e64 s8, 0, v76
	v_cmp_eq_u32_e64 s9, 0, v75
	v_cmp_eq_u32_e64 s10, 0, v74
	v_cmp_eq_u32_e64 s11, 0, v73
	v_cndmask_b32_e64 v1, 0, v35, s7
	v_cmp_eq_u32_e64 s12, 0, v72
	v_cmp_eq_u32_e64 s6, 0, v71
	;; [unrolled: 1-line block ×4, first 2 shown]
	v_add_nc_u32_e32 v1, v1, v36
	v_cmp_eq_u32_e64 s3, 0, v67
	v_add3_u32 v2, v84, v73, v72
	v_cmp_eq_u32_e64 s1, 0, v66
	v_cmp_eq_u32_e32 vcc_lo, 0, v65
	v_cndmask_b32_e64 v1, 0, v1, s8
	v_cmp_eq_u32_e64 s0, 0, v64
	v_add3_u32 v2, v2, v71, v70
	v_cmp_eq_u32_e64 s13, 0, v69
	v_and_b32_e32 v4, 15, v81
	v_add_nc_u32_e32 v1, v1, v33
	s_delay_alu instid0(VALU_DEP_4) | instskip(NEXT) | instid1(VALU_DEP_3)
	v_add3_u32 v2, v2, v68, v67
	v_cmp_lt_u32_e64 s14, 1, v4
	s_delay_alu instid0(VALU_DEP_3) | instskip(NEXT) | instid1(VALU_DEP_3)
	v_cndmask_b32_e64 v1, 0, v1, s9
	v_add3_u32 v2, v2, v66, v65
	s_delay_alu instid0(VALU_DEP_2) | instskip(NEXT) | instid1(VALU_DEP_2)
	v_add_nc_u32_e32 v1, v1, v34
	v_add3_u32 v2, v2, v64, v69
	s_delay_alu instid0(VALU_DEP_2) | instskip(NEXT) | instid1(VALU_DEP_2)
	v_cndmask_b32_e64 v1, 0, v1, s10
	v_mov_b32_dpp v5, v2 row_shr:1 row_mask:0xf bank_mask:0xf
	s_delay_alu instid0(VALU_DEP_2) | instskip(NEXT) | instid1(VALU_DEP_1)
	v_add_nc_u32_e32 v1, v1, v31
	v_cndmask_b32_e64 v1, 0, v1, s11
	s_delay_alu instid0(VALU_DEP_1) | instskip(NEXT) | instid1(VALU_DEP_1)
	v_add_nc_u32_e32 v1, v1, v32
	v_cndmask_b32_e64 v1, 0, v1, s12
	s_delay_alu instid0(VALU_DEP_1) | instskip(NEXT) | instid1(VALU_DEP_1)
	;; [unrolled: 3-line block ×7, first 2 shown]
	v_add_nc_u32_e32 v1, v1, v26
	v_cndmask_b32_e32 v1, 0, v1, vcc_lo
	s_delay_alu instid0(VALU_DEP_1) | instskip(NEXT) | instid1(VALU_DEP_1)
	v_add_nc_u32_e32 v1, v1, v23
	v_cndmask_b32_e64 v1, 0, v1, s0
	s_delay_alu instid0(VALU_DEP_1) | instskip(NEXT) | instid1(VALU_DEP_1)
	v_add_nc_u32_e32 v1, v1, v24
	v_cndmask_b32_e64 v1, 0, v1, s13
	v_cmp_eq_u32_e64 s13, 0, v2
	s_delay_alu instid0(VALU_DEP_2) | instskip(NEXT) | instid1(VALU_DEP_1)
	v_add_nc_u32_e32 v1, v1, v80
	v_mov_b32_dpp v3, v1 row_shr:1 row_mask:0xf bank_mask:0xf
	s_delay_alu instid0(VALU_DEP_1) | instskip(SKIP_1) | instid1(VALU_DEP_1)
	v_cndmask_b32_e64 v3, 0, v3, s13
	v_cmp_eq_u32_e64 s13, 0, v4
	v_cndmask_b32_e64 v5, v5, 0, s13
	s_delay_alu instid0(VALU_DEP_3) | instskip(NEXT) | instid1(VALU_DEP_2)
	v_cndmask_b32_e64 v3, v3, 0, s13
	v_add_nc_u32_e32 v2, v5, v2
	s_delay_alu instid0(VALU_DEP_2) | instskip(NEXT) | instid1(VALU_DEP_2)
	v_add_nc_u32_e32 v1, v3, v1
	v_mov_b32_dpp v3, v2 row_shr:2 row_mask:0xf bank_mask:0xf
	v_cmp_eq_u32_e64 s13, 0, v2
	s_delay_alu instid0(VALU_DEP_3) | instskip(NEXT) | instid1(VALU_DEP_3)
	v_mov_b32_dpp v5, v1 row_shr:2 row_mask:0xf bank_mask:0xf
	v_cndmask_b32_e64 v3, 0, v3, s14
	s_delay_alu instid0(VALU_DEP_3) | instskip(SKIP_1) | instid1(VALU_DEP_3)
	s_and_b32 s13, s14, s13
	v_cmp_lt_u32_e64 s14, 3, v4
	v_cndmask_b32_e64 v5, 0, v5, s13
	s_delay_alu instid0(VALU_DEP_3) | instskip(NEXT) | instid1(VALU_DEP_2)
	v_add_nc_u32_e32 v2, v2, v3
	v_add_nc_u32_e32 v1, v5, v1
	s_delay_alu instid0(VALU_DEP_2) | instskip(SKIP_1) | instid1(VALU_DEP_3)
	v_mov_b32_dpp v3, v2 row_shr:4 row_mask:0xf bank_mask:0xf
	v_cmp_eq_u32_e64 s13, 0, v2
	v_mov_b32_dpp v5, v1 row_shr:4 row_mask:0xf bank_mask:0xf
	s_delay_alu instid0(VALU_DEP_3) | instskip(NEXT) | instid1(VALU_DEP_3)
	v_cndmask_b32_e64 v3, 0, v3, s14
	s_and_b32 s13, s14, s13
	v_cmp_lt_u32_e64 s14, 7, v4
	s_delay_alu instid0(VALU_DEP_3) | instskip(NEXT) | instid1(VALU_DEP_3)
	v_cndmask_b32_e64 v5, 0, v5, s13
	v_add_nc_u32_e32 v2, v3, v2
	s_delay_alu instid0(VALU_DEP_2) | instskip(SKIP_1) | instid1(VALU_DEP_3)
	v_add_nc_u32_e32 v1, v1, v5
	v_bfe_i32 v5, v81, 4, 1
	v_cmp_eq_u32_e64 s13, 0, v2
	v_mov_b32_dpp v3, v2 row_shr:8 row_mask:0xf bank_mask:0xf
	s_delay_alu instid0(VALU_DEP_4) | instskip(NEXT) | instid1(VALU_DEP_3)
	v_mov_b32_dpp v4, v1 row_shr:8 row_mask:0xf bank_mask:0xf
	s_and_b32 s13, s14, s13
	s_delay_alu instid0(VALU_DEP_2) | instskip(SKIP_1) | instid1(VALU_DEP_2)
	v_cndmask_b32_e64 v3, 0, v3, s14
	s_mov_b32 s14, exec_lo
	v_cndmask_b32_e64 v4, 0, v4, s13
	s_delay_alu instid0(VALU_DEP_1) | instskip(NEXT) | instid1(VALU_DEP_3)
	v_add_nc_u32_e32 v4, v4, v1
	v_add_nc_u32_e32 v1, v3, v2
	ds_swizzle_b32 v2, v4 offset:swizzle(BROADCAST,32,15)
	ds_swizzle_b32 v3, v1 offset:swizzle(BROADCAST,32,15)
	v_cmp_eq_u32_e64 s13, 0, v1
	s_waitcnt lgkmcnt(1)
	s_delay_alu instid0(VALU_DEP_1) | instskip(SKIP_2) | instid1(VALU_DEP_2)
	v_cndmask_b32_e64 v2, 0, v2, s13
	s_waitcnt lgkmcnt(0)
	v_and_b32_e32 v3, v5, v3
	v_and_b32_e32 v2, v5, v2
	s_delay_alu instid0(VALU_DEP_2) | instskip(NEXT) | instid1(VALU_DEP_2)
	v_add_nc_u32_e32 v1, v3, v1
	v_add_nc_u32_e32 v2, v2, v4
	v_lshlrev_b32_e32 v4, 3, v82
	v_cmpx_eq_u32_e64 v83, v0
	s_cbranch_execz .LBB582_120
; %bb.119:
	ds_store_b64 v4, v[1:2] offset:2064
.LBB582_120:
	s_or_b32 exec_lo, exec_lo, s14
	s_delay_alu instid0(SALU_CYCLE_1)
	s_mov_b32 s15, exec_lo
	s_waitcnt vmcnt(0) lgkmcnt(0)
	s_barrier
	buffer_gl0_inv
	v_cmpx_gt_u32_e32 8, v0
	s_cbranch_execz .LBB582_122
; %bb.121:
	v_lshlrev_b32_e32 v3, 3, v0
	v_and_b32_e32 v8, 7, v81
	ds_load_b64 v[5:6], v3 offset:2064
	v_cmp_lt_u32_e64 s14, 1, v8
	s_waitcnt lgkmcnt(0)
	v_mov_b32_dpp v7, v6 row_shr:1 row_mask:0xf bank_mask:0xf
	v_cmp_eq_u32_e64 s13, 0, v5
	v_mov_b32_dpp v37, v5 row_shr:1 row_mask:0xf bank_mask:0xf
	s_delay_alu instid0(VALU_DEP_2) | instskip(SKIP_1) | instid1(VALU_DEP_1)
	v_cndmask_b32_e64 v7, 0, v7, s13
	v_cmp_eq_u32_e64 s13, 0, v8
	v_cndmask_b32_e64 v37, v37, 0, s13
	s_delay_alu instid0(VALU_DEP_3) | instskip(NEXT) | instid1(VALU_DEP_2)
	v_cndmask_b32_e64 v7, v7, 0, s13
	v_add_nc_u32_e32 v5, v37, v5
	s_delay_alu instid0(VALU_DEP_2) | instskip(NEXT) | instid1(VALU_DEP_2)
	v_add_nc_u32_e32 v6, v7, v6
	v_mov_b32_dpp v7, v5 row_shr:2 row_mask:0xf bank_mask:0xf
	v_cmp_eq_u32_e64 s13, 0, v5
	s_delay_alu instid0(VALU_DEP_3) | instskip(NEXT) | instid1(VALU_DEP_3)
	v_mov_b32_dpp v37, v6 row_shr:2 row_mask:0xf bank_mask:0xf
	v_cndmask_b32_e64 v7, 0, v7, s14
	s_delay_alu instid0(VALU_DEP_3) | instskip(SKIP_1) | instid1(VALU_DEP_3)
	s_and_b32 s13, s14, s13
	v_cmp_lt_u32_e64 s14, 3, v8
	v_cndmask_b32_e64 v37, 0, v37, s13
	s_delay_alu instid0(VALU_DEP_3) | instskip(NEXT) | instid1(VALU_DEP_2)
	v_add_nc_u32_e32 v5, v7, v5
	v_add_nc_u32_e32 v6, v37, v6
	s_delay_alu instid0(VALU_DEP_2) | instskip(SKIP_1) | instid1(VALU_DEP_3)
	v_cmp_eq_u32_e64 s13, 0, v5
	v_mov_b32_dpp v7, v5 row_shr:4 row_mask:0xf bank_mask:0xf
	v_mov_b32_dpp v8, v6 row_shr:4 row_mask:0xf bank_mask:0xf
	s_delay_alu instid0(VALU_DEP_3) | instskip(NEXT) | instid1(VALU_DEP_2)
	s_and_b32 s13, s14, s13
	v_cndmask_b32_e64 v7, 0, v7, s14
	s_delay_alu instid0(VALU_DEP_2) | instskip(NEXT) | instid1(VALU_DEP_2)
	v_cndmask_b32_e64 v8, 0, v8, s13
	v_add_nc_u32_e32 v5, v7, v5
	s_delay_alu instid0(VALU_DEP_2)
	v_add_nc_u32_e32 v6, v8, v6
	ds_store_b64 v3, v[5:6] offset:2064
.LBB582_122:
	s_or_b32 exec_lo, exec_lo, s15
	v_mov_b32_e32 v7, 0
	v_mov_b32_e32 v3, 0
	;; [unrolled: 1-line block ×3, first 2 shown]
	s_mov_b32 s14, exec_lo
	s_waitcnt lgkmcnt(0)
	s_barrier
	buffer_gl0_inv
	v_cmpx_lt_u32_e32 31, v0
	s_cbranch_execz .LBB582_124
; %bb.123:
	ds_load_b64 v[3:4], v4 offset:2056
	s_waitcnt lgkmcnt(0)
	v_cmp_eq_u32_e64 s13, 0, v3
	s_delay_alu instid0(VALU_DEP_1) | instskip(NEXT) | instid1(VALU_DEP_1)
	v_cndmask_b32_e64 v5, 0, v49, s13
	v_add_nc_u32_e32 v5, v5, v4
.LBB582_124:
	s_or_b32 exec_lo, exec_lo, s14
	v_add_nc_u32_e32 v4, -1, v81
	s_delay_alu instid0(VALU_DEP_1) | instskip(NEXT) | instid1(VALU_DEP_1)
	v_cmp_gt_i32_e64 s13, 0, v4
	v_cndmask_b32_e64 v4, v4, v81, s13
	v_cmp_eq_u32_e64 s13, 0, v1
	v_add_nc_u32_e32 v1, v3, v1
	s_delay_alu instid0(VALU_DEP_3) | instskip(NEXT) | instid1(VALU_DEP_3)
	v_lshlrev_b32_e32 v4, 2, v4
	v_cndmask_b32_e64 v6, 0, v5, s13
	v_cmp_eq_u32_e64 s13, 0, v81
	ds_bpermute_b32 v1, v4, v1
	v_add_nc_u32_e32 v2, v6, v2
	ds_bpermute_b32 v2, v4, v2
	s_waitcnt lgkmcnt(1)
	v_cndmask_b32_e64 v1, v1, v3, s13
	s_delay_alu instid0(VALU_DEP_1) | instskip(SKIP_3) | instid1(VALU_DEP_2)
	v_cndmask_b32_e64 v53, v1, 0, s2
	s_waitcnt lgkmcnt(0)
	v_cndmask_b32_e64 v2, v2, v5, s13
	v_cmp_eq_u32_e64 s13, 0, v78
	v_cndmask_b32_e64 v54, v2, v49, s2
	s_delay_alu instid0(VALU_DEP_1) | instskip(NEXT) | instid1(VALU_DEP_1)
	v_cndmask_b32_e64 v2, 0, v54, s13
	v_add_nc_u32_e32 v60, v2, v35
	s_delay_alu instid0(VALU_DEP_1) | instskip(NEXT) | instid1(VALU_DEP_1)
	v_cndmask_b32_e64 v2, 0, v60, s7
	v_add_nc_u32_e32 v56, v2, v36
	;; [unrolled: 3-line block ×11, first 2 shown]
	ds_load_b64 v[1:2], v7 offset:2120
	v_cndmask_b32_e64 v3, 0, v38, s1
	s_delay_alu instid0(VALU_DEP_1) | instskip(NEXT) | instid1(VALU_DEP_1)
	v_add_nc_u32_e32 v62, v3, v26
	v_cndmask_b32_e32 v3, 0, v62, vcc_lo
	s_delay_alu instid0(VALU_DEP_1) | instskip(SKIP_3) | instid1(VALU_DEP_3)
	v_add_nc_u32_e32 v58, v3, v23
	s_waitcnt lgkmcnt(0)
	v_cmp_eq_u32_e32 vcc_lo, 0, v1
	v_add_nc_u32_e32 v59, v53, v78
	v_cndmask_b32_e64 v3, 0, v58, s0
	v_cndmask_b32_e32 v4, 0, v49, vcc_lo
	s_delay_alu instid0(VALU_DEP_3) | instskip(NEXT) | instid1(VALU_DEP_3)
	v_add_nc_u32_e32 v55, v59, v77
	v_add_nc_u32_e32 v50, v3, v24
	s_delay_alu instid0(VALU_DEP_3) | instskip(NEXT) | instid1(VALU_DEP_3)
	v_add_nc_u32_e32 v79, v4, v2
	v_add_nc_u32_e32 v51, v55, v76
	s_delay_alu instid0(VALU_DEP_1) | instskip(NEXT) | instid1(VALU_DEP_1)
	v_add_nc_u32_e32 v45, v51, v75
	v_add_nc_u32_e32 v41, v45, v74
	s_delay_alu instid0(VALU_DEP_1) | instskip(NEXT) | instid1(VALU_DEP_1)
	;; [unrolled: 3-line block ×5, first 2 shown]
	v_add_nc_u32_e32 v61, v37, v66
	v_add_nc_u32_e32 v57, v61, v65
	s_delay_alu instid0(VALU_DEP_1)
	v_add_nc_u32_e32 v49, v57, v64
	s_and_saveexec_b32 s0, s2
	s_cbranch_execz .LBB582_126
; %bb.125:
	v_and_b32_e32 v2, 0xff000000, v79
	v_dual_mov_b32 v4, 0 :: v_dual_and_b32 v3, 0xff0000, v79
	s_add_u32 s4, s20, 0x200
	v_and_b32_e32 v23, 0xff00, v79
	s_addc_u32 s5, s21, 0
	v_and_b32_e32 v24, 0xff, v79
	v_or_b32_e32 v2, v3, v2
	v_mov_b32_e32 v3, 2
	s_delay_alu instid0(VALU_DEP_2)
	v_or3_b32 v2, v2, v23, v24
	v_dual_mov_b32 v24, s5 :: v_dual_mov_b32 v23, s4
	;;#ASMSTART
	global_store_dwordx4 v[23:24], v[1:4] off	
s_waitcnt vmcnt(0)
	;;#ASMEND
.LBB582_126:
	s_or_b32 exec_lo, exec_lo, s0
	v_mov_b32_e32 v3, 0
.LBB582_127:
	v_mov_b32_e32 v23, 0
	s_and_b32 s0, s16, exec_lo
	v_mov_b32_e32 v24, 0
	s_cselect_b32 s1, 0, s39
	s_cselect_b32 s0, 0, s38
	s_delay_alu instid0(SALU_CYCLE_1)
	s_cmp_eq_u64 s[0:1], 0
	s_barrier
	buffer_gl0_inv
	s_cbranch_scc1 .LBB582_129
; %bb.128:
	v_mov_b32_e32 v2, 0
	global_load_b64 v[23:24], v2, s[0:1]
.LBB582_129:
	v_cmp_eq_u32_e32 vcc_lo, 0, v78
	v_cmp_ne_u32_e64 s15, 0, v78
	v_cmp_ne_u32_e64 s14, 0, v77
	v_cmp_ne_u32_e64 s13, 0, v76
	v_cmp_ne_u32_e64 s12, 0, v75
	v_cndmask_b32_e64 v2, 1, 2, vcc_lo
	v_cmp_eq_u32_e32 vcc_lo, 0, v77
	v_cmp_ne_u32_e64 s11, 0, v74
	v_cmp_ne_u32_e64 s10, 0, v73
	;; [unrolled: 1-line block ×4, first 2 shown]
	v_cndmask_b32_e64 v4, 1, 2, vcc_lo
	v_cmp_eq_u32_e32 vcc_lo, 0, v76
	v_cmp_ne_u32_e64 s9, 0, v70
	v_cmp_ne_u32_e64 s7, 0, v68
	;; [unrolled: 1-line block ×3, first 2 shown]
	v_and_b32_e32 v2, v4, v2
	v_cndmask_b32_e64 v25, 1, 2, vcc_lo
	v_cmp_eq_u32_e32 vcc_lo, 0, v75
	v_cmp_ne_u32_e64 s4, 0, v66
	v_cmp_ne_u32_e64 s3, 0, v65
	;; [unrolled: 1-line block ×3, first 2 shown]
	v_and_b32_e32 v2, v2, v25
	v_cndmask_b32_e64 v4, 1, 2, vcc_lo
	v_cmp_eq_u32_e32 vcc_lo, 0, v74
	v_cmp_ne_u32_e64 s0, 0, v69
	s_delay_alu instid0(VALU_DEP_3) | instskip(SKIP_2) | instid1(VALU_DEP_2)
	v_and_b32_e32 v2, v2, v4
	v_cndmask_b32_e64 v25, 1, 2, vcc_lo
	v_cmp_eq_u32_e32 vcc_lo, 0, v73
	v_and_b32_e32 v2, v2, v25
	v_cndmask_b32_e64 v4, 1, 2, vcc_lo
	v_cmp_eq_u32_e32 vcc_lo, 0, v72
	s_waitcnt vmcnt(0)
	v_lshlrev_b64 v[25:26], 2, v[23:24]
	s_delay_alu instid0(VALU_DEP_3) | instskip(SKIP_2) | instid1(VALU_DEP_2)
	v_and_b32_e32 v2, v2, v4
	v_cndmask_b32_e64 v27, 1, 2, vcc_lo
	v_cmp_eq_u32_e32 vcc_lo, 0, v71
	v_and_b32_e32 v2, v2, v27
	v_cndmask_b32_e64 v28, 1, 2, vcc_lo
	v_cmp_eq_u32_e32 vcc_lo, 0, v70
	s_delay_alu instid0(VALU_DEP_2) | instskip(SKIP_2) | instid1(VALU_DEP_2)
	v_and_b32_e32 v2, v2, v28
	v_cndmask_b32_e64 v27, 1, 2, vcc_lo
	v_cmp_eq_u32_e32 vcc_lo, 0, v68
	v_and_b32_e32 v2, v2, v27
	v_cndmask_b32_e64 v28, 1, 2, vcc_lo
	v_cmp_eq_u32_e32 vcc_lo, 0, v67
	s_delay_alu instid0(VALU_DEP_2) | instskip(SKIP_2) | instid1(VALU_DEP_2)
	;; [unrolled: 7-line block ×3, first 2 shown]
	v_and_b32_e32 v2, v2, v29
	v_cndmask_b32_e64 v30, 1, 2, vcc_lo
	v_cmp_eq_u32_e32 vcc_lo, 0, v64
	v_and_b32_e32 v30, v2, v30
	v_cndmask_b32_e64 v31, 1, 2, vcc_lo
	v_mov_b32_e32 v4, 0
	s_delay_alu instid0(VALU_DEP_1) | instskip(SKIP_3) | instid1(VALU_DEP_2)
	v_lshlrev_b64 v[27:28], 2, v[3:4]
	v_add_co_u32 v4, vcc_lo, s18, v25
	v_add_co_ci_u32_e32 v29, vcc_lo, s19, v26, vcc_lo
	s_mov_b32 s18, -1
	v_add_co_u32 v2, vcc_lo, v4, v27
	s_delay_alu instid0(VALU_DEP_2) | instskip(SKIP_4) | instid1(VALU_DEP_2)
	v_add_co_ci_u32_e32 v4, vcc_lo, v29, v28, vcc_lo
	v_and_b32_e32 v29, v30, v31
	v_cmp_eq_u32_e32 vcc_lo, 0, v69
	v_cndmask_b32_e64 v30, 1, 2, vcc_lo
	v_cmp_gt_u32_e32 vcc_lo, 0x100, v1
	v_and_b32_e32 v29, v29, v30
	s_delay_alu instid0(VALU_DEP_1)
	v_cmp_gt_i16_e64 s16, 2, v29
	s_cbranch_vccz .LBB582_136
; %bb.130:
	s_delay_alu instid0(VALU_DEP_1)
	s_and_saveexec_b32 s18, s16
	s_cbranch_execz .LBB582_135
; %bb.131:
	s_mov_b32 s19, 0
	s_mov_b32 s16, exec_lo
	v_cmpx_ne_u16_e32 1, v29
	s_xor_b32 s16, exec_lo, s16
	s_cbranch_execnz .LBB582_168
; %bb.132:
	s_and_not1_saveexec_b32 s16, s16
	s_cbranch_execnz .LBB582_184
.LBB582_133:
	s_or_b32 exec_lo, exec_lo, s16
	s_delay_alu instid0(SALU_CYCLE_1)
	s_and_b32 exec_lo, exec_lo, s19
	s_cbranch_execz .LBB582_135
.LBB582_134:
	v_sub_nc_u32_e32 v30, v49, v3
	v_mov_b32_e32 v31, 0
	s_delay_alu instid0(VALU_DEP_1) | instskip(NEXT) | instid1(VALU_DEP_1)
	v_lshlrev_b64 v[30:31], 2, v[30:31]
	v_add_co_u32 v30, vcc_lo, v2, v30
	s_delay_alu instid0(VALU_DEP_2)
	v_add_co_ci_u32_e32 v31, vcc_lo, v4, v31, vcc_lo
	global_store_b32 v[30:31], v63, off
.LBB582_135:
	s_or_b32 exec_lo, exec_lo, s18
	s_mov_b32 s18, 0
.LBB582_136:
	s_delay_alu instid0(SALU_CYCLE_1)
	s_and_b32 vcc_lo, exec_lo, s18
	s_cbranch_vccz .LBB582_146
; %bb.137:
	s_mov_b32 s16, exec_lo
	v_cmpx_gt_i16_e32 2, v29
	s_cbranch_execz .LBB582_142
; %bb.138:
	s_mov_b32 s19, 0
	s_mov_b32 s18, exec_lo
	v_cmpx_ne_u16_e32 1, v29
	s_xor_b32 s18, exec_lo, s18
	s_cbranch_execnz .LBB582_185
; %bb.139:
	s_and_not1_saveexec_b32 s0, s18
	s_cbranch_execnz .LBB582_201
.LBB582_140:
	s_or_b32 exec_lo, exec_lo, s0
	s_delay_alu instid0(SALU_CYCLE_1)
	s_and_b32 exec_lo, exec_lo, s19
	s_cbranch_execz .LBB582_142
.LBB582_141:
	v_sub_nc_u32_e32 v9, v49, v3
	s_delay_alu instid0(VALU_DEP_1)
	v_lshlrev_b32_e32 v9, 2, v9
	ds_store_b32 v9, v63
.LBB582_142:
	s_or_b32 exec_lo, exec_lo, s16
	s_delay_alu instid0(SALU_CYCLE_1)
	s_mov_b32 s1, exec_lo
	s_waitcnt lgkmcnt(0)
	s_waitcnt_vscnt null, 0x0
	s_barrier
	buffer_gl0_inv
	v_cmpx_lt_u32_e64 v0, v1
	s_cbranch_execz .LBB582_145
; %bb.143:
	v_dual_mov_b32 v10, 0 :: v_dual_lshlrev_b32 v11, 2, v0
	v_mov_b32_e32 v9, v0
	s_mov_b32 s3, 0
	.p2align	6
.LBB582_144:                            ; =>This Inner Loop Header: Depth=1
	ds_load_b32 v14, v11
	v_lshlrev_b64 v[12:13], 2, v[9:10]
	v_add_nc_u32_e32 v9, 0x100, v9
	v_add_nc_u32_e32 v11, 0x400, v11
	s_delay_alu instid0(VALU_DEP_2) | instskip(NEXT) | instid1(VALU_DEP_4)
	v_cmp_ge_u32_e32 vcc_lo, v9, v1
	v_add_co_u32 v12, s0, v2, v12
	s_delay_alu instid0(VALU_DEP_1)
	v_add_co_ci_u32_e64 v13, s0, v4, v13, s0
	s_or_b32 s3, vcc_lo, s3
	s_waitcnt lgkmcnt(0)
	global_store_b32 v[12:13], v14, off
	s_and_not1_b32 exec_lo, exec_lo, s3
	s_cbranch_execnz .LBB582_144
.LBB582_145:
	s_or_b32 exec_lo, exec_lo, s1
.LBB582_146:
	s_cmpk_lg_i32 s26, 0xf00
	v_cndmask_b32_e64 v4, 0, 1, s27
	s_cselect_b32 s0, -1, 0
	v_mad_i32_i24 v10, v0, -15, s26
	s_and_b32 s0, s0, s17
	s_and_b32 s1, s2, s27
	v_cndmask_b32_e64 v9, 0, 1, s0
	s_mul_hi_u32 s0, s26, 0x88888889
	v_sub_nc_u32_e32 v2, v1, v4
	s_lshr_b32 s0, s0, 3
	v_cndmask_b32_e64 v11, v78, 0, s1
	v_cmp_eq_u32_e32 vcc_lo, s0, v0
	v_cmp_ne_u32_e64 s0, 0, v10
	s_mov_b32 s16, -1
	s_waitcnt_vscnt null, 0x0
	s_barrier
	s_and_b32 vcc_lo, vcc_lo, s17
	v_add_nc_u32_e32 v2, v2, v9
	v_cndmask_b32_e64 v9, 1, v11, s0
	v_cmp_ne_u32_e64 s0, 1, v10
	buffer_gl0_inv
	v_cndmask_b32_e64 v12, 1, v77, s0
	v_cmp_ne_u32_e64 s0, 14, v10
	s_delay_alu instid0(VALU_DEP_2) | instskip(NEXT) | instid1(VALU_DEP_2)
	v_cndmask_b32_e32 v17, v77, v12, vcc_lo
	v_cndmask_b32_e64 v13, 1, v69, s0
	v_cmp_ne_u32_e64 s0, 2, v10
	s_delay_alu instid0(VALU_DEP_3) | instskip(NEXT) | instid1(VALU_DEP_2)
	v_cmp_ne_u32_e64 s13, 0, v17
	v_cndmask_b32_e64 v14, 1, v76, s0
	v_cmp_ne_u32_e64 s0, 3, v10
	s_delay_alu instid0(VALU_DEP_2) | instskip(NEXT) | instid1(VALU_DEP_2)
	v_cndmask_b32_e32 v14, v76, v14, vcc_lo
	v_cndmask_b32_e64 v15, 1, v75, s0
	v_cmp_ne_u32_e64 s0, 4, v10
	v_cndmask_b32_e32 v16, v69, v13, vcc_lo
	v_cndmask_b32_e32 v13, v11, v9, vcc_lo
	v_cmp_ne_u32_e64 s12, 0, v14
	v_cndmask_b32_e32 v15, v75, v15, vcc_lo
	v_cndmask_b32_e64 v9, 1, v74, s0
	v_cmp_ne_u32_e64 s0, 5, v10
	v_cmp_ne_u32_e64 s14, 0, v13
	s_delay_alu instid0(VALU_DEP_4) | instskip(NEXT) | instid1(VALU_DEP_3)
	v_cmp_ne_u32_e64 s11, 0, v15
	v_cndmask_b32_e64 v11, 1, v73, s0
	v_cmp_eq_u32_e64 s0, 0, v13
	s_delay_alu instid0(VALU_DEP_2) | instskip(NEXT) | instid1(VALU_DEP_2)
	v_cndmask_b32_e32 v29, v73, v11, vcc_lo
	v_cndmask_b32_e64 v12, 1, 2, s0
	v_cmp_eq_u32_e64 s0, 0, v17
	s_delay_alu instid0(VALU_DEP_3) | instskip(NEXT) | instid1(VALU_DEP_2)
	v_cmp_ne_u32_e64 s9, 0, v29
	v_cndmask_b32_e64 v18, 1, 2, s0
	v_cmp_ne_u32_e64 s0, 6, v10
	s_delay_alu instid0(VALU_DEP_2) | instskip(NEXT) | instid1(VALU_DEP_2)
	v_and_b32_e32 v12, v18, v12
	v_cndmask_b32_e64 v19, 1, v72, s0
	v_cmp_eq_u32_e64 s0, 0, v14
	s_delay_alu instid0(VALU_DEP_1) | instskip(SKIP_1) | instid1(VALU_DEP_1)
	v_cndmask_b32_e64 v18, 1, 2, s0
	v_cmp_ne_u32_e64 s0, 7, v10
	v_cndmask_b32_e64 v20, 1, v71, s0
	v_cmp_ne_u32_e64 s0, 8, v10
	s_delay_alu instid0(VALU_DEP_2) | instskip(NEXT) | instid1(VALU_DEP_2)
	v_dual_cndmask_b32 v19, v72, v19 :: v_dual_cndmask_b32 v20, v71, v20
	v_cndmask_b32_e64 v21, 1, v70, s0
	v_cmp_eq_u32_e64 s0, 0, v15
	v_and_b32_e32 v12, v12, v18
	s_delay_alu instid0(VALU_DEP_4)
	v_cmp_ne_u32_e64 s8, 0, v19
	v_cmp_ne_u32_e64 s7, 0, v20
	v_cndmask_b32_e32 v21, v70, v21, vcc_lo
	v_cndmask_b32_e64 v18, 1, 2, s0
	v_cndmask_b32_e32 v22, v74, v9, vcc_lo
	v_cmp_ne_u32_e64 s0, 9, v10
	s_delay_alu instid0(VALU_DEP_4) | instskip(NEXT) | instid1(VALU_DEP_4)
	v_cmp_ne_u32_e64 s6, 0, v21
	v_and_b32_e32 v11, v12, v18
	s_delay_alu instid0(VALU_DEP_4) | instskip(NEXT) | instid1(VALU_DEP_4)
	v_cmp_ne_u32_e64 s10, 0, v22
	v_cndmask_b32_e64 v9, 1, v68, s0
	v_cmp_eq_u32_e64 s0, 0, v22
	s_delay_alu instid0(VALU_DEP_2) | instskip(NEXT) | instid1(VALU_DEP_2)
	v_cndmask_b32_e32 v33, v68, v9, vcc_lo
	v_cndmask_b32_e64 v12, 1, 2, s0
	v_cmp_ne_u32_e64 s0, 10, v10
	s_delay_alu instid0(VALU_DEP_1) | instskip(SKIP_1) | instid1(VALU_DEP_2)
	v_cndmask_b32_e64 v18, 1, v67, s0
	v_cmp_ne_u32_e64 s0, 12, v10
	v_cndmask_b32_e32 v18, v67, v18, vcc_lo
	s_delay_alu instid0(VALU_DEP_2) | instskip(SKIP_2) | instid1(VALU_DEP_4)
	v_cndmask_b32_e64 v30, 1, v65, s0
	v_cmp_eq_u32_e64 s0, 0, v29
	v_and_b32_e32 v11, v11, v12
	v_cmp_ne_u32_e64 s4, 0, v18
	s_delay_alu instid0(VALU_DEP_4) | instskip(NEXT) | instid1(VALU_DEP_4)
	v_cndmask_b32_e32 v30, v65, v30, vcc_lo
	v_cndmask_b32_e64 v12, 1, 2, s0
	v_cmp_ne_u32_e64 s0, 13, v10
	s_delay_alu instid0(VALU_DEP_3) | instskip(NEXT) | instid1(VALU_DEP_3)
	v_cmp_ne_u32_e64 s2, 0, v30
	v_and_b32_e32 v11, v11, v12
	s_delay_alu instid0(VALU_DEP_3) | instskip(SKIP_1) | instid1(VALU_DEP_2)
	v_cndmask_b32_e64 v31, 1, v64, s0
	v_cmp_eq_u32_e64 s0, 0, v19
	v_cndmask_b32_e32 v31, v64, v31, vcc_lo
	s_delay_alu instid0(VALU_DEP_2) | instskip(SKIP_1) | instid1(VALU_DEP_3)
	v_cndmask_b32_e64 v12, 1, 2, s0
	v_cmp_ne_u32_e64 s0, 11, v10
	v_cmp_ne_u32_e64 s1, 0, v31
	s_delay_alu instid0(VALU_DEP_2) | instskip(SKIP_1) | instid1(VALU_DEP_2)
	v_cndmask_b32_e64 v10, 1, v66, s0
	v_cmp_eq_u32_e64 s0, 0, v20
	v_dual_cndmask_b32 v32, v66, v10 :: v_dual_and_b32 v11, v11, v12
	s_delay_alu instid0(VALU_DEP_2) | instskip(SKIP_2) | instid1(VALU_DEP_4)
	v_cndmask_b32_e64 v12, 1, 2, s0
	v_cmp_eq_u32_e32 vcc_lo, 0, v21
	v_cmp_ne_u32_e64 s0, 0, v16
	v_cmp_ne_u32_e64 s3, 0, v32
	s_delay_alu instid0(VALU_DEP_4) | instskip(SKIP_4) | instid1(VALU_DEP_4)
	v_and_b32_e32 v9, v11, v12
	v_cndmask_b32_e64 v10, 1, 2, vcc_lo
	v_add_co_u32 v11, vcc_lo, s28, v25
	v_add_co_ci_u32_e32 v12, vcc_lo, s29, v26, vcc_lo
	v_cmp_eq_u32_e32 vcc_lo, 0, v33
	v_and_b32_e32 v25, v9, v10
	v_cndmask_b32_e64 v26, 1, 2, vcc_lo
	v_add_co_u32 v9, vcc_lo, v11, v27
	v_add_co_ci_u32_e32 v10, vcc_lo, v12, v28, vcc_lo
	v_lshlrev_b32_e32 v11, 2, v4
	v_cmp_eq_u32_e32 vcc_lo, 0, v18
	v_and_b32_e32 v12, v25, v26
	v_add_nc_u32_e32 v4, v3, v4
	v_cmp_ne_u32_e64 s5, 0, v33
	v_cndmask_b32_e64 v25, 1, 2, vcc_lo
	v_add_co_u32 v11, vcc_lo, v11, v9
	v_add_co_ci_u32_e32 v26, vcc_lo, 0, v10, vcc_lo
	v_cmp_eq_u32_e32 vcc_lo, 0, v32
	s_delay_alu instid0(VALU_DEP_4) | instskip(SKIP_4) | instid1(VALU_DEP_4)
	v_and_b32_e32 v25, v12, v25
	v_cndmask_b32_e64 v27, 1, 2, vcc_lo
	v_add_co_u32 v11, vcc_lo, v11, -4
	v_add_co_ci_u32_e32 v12, vcc_lo, -1, v26, vcc_lo
	v_cmp_eq_u32_e32 vcc_lo, 0, v30
	v_and_b32_e32 v25, v25, v27
	v_cndmask_b32_e64 v26, 1, 2, vcc_lo
	v_cmp_eq_u32_e32 vcc_lo, 0, v31
	s_delay_alu instid0(VALU_DEP_2) | instskip(SKIP_2) | instid1(VALU_DEP_2)
	v_and_b32_e32 v13, v25, v26
	v_cndmask_b32_e64 v14, 1, 2, vcc_lo
	v_cmp_eq_u32_e32 vcc_lo, 0, v16
	v_and_b32_e32 v13, v13, v14
	v_cndmask_b32_e64 v14, 1, 2, vcc_lo
	v_cmp_gt_u32_e32 vcc_lo, 0x100, v2
	s_delay_alu instid0(VALU_DEP_2) | instskip(NEXT) | instid1(VALU_DEP_1)
	v_and_b32_e32 v13, v13, v14
	v_cmp_gt_i16_e64 s15, 2, v13
	s_cbranch_vccnz .LBB582_150
; %bb.147:
	s_and_b32 vcc_lo, exec_lo, s16
	s_cbranch_vccnz .LBB582_156
.LBB582_148:
	v_cmp_eq_u32_e32 vcc_lo, 0xff, v0
	s_and_b32 s0, vcc_lo, s17
	s_delay_alu instid0(SALU_CYCLE_1)
	s_and_saveexec_b32 s1, s0
	s_cbranch_execnz .LBB582_165
.LBB582_149:
	s_nop 0
	s_sendmsg sendmsg(MSG_DEALLOC_VGPRS)
	s_endpgm
.LBB582_150:
	s_delay_alu instid0(VALU_DEP_1)
	s_and_saveexec_b32 s16, s15
	s_cbranch_execz .LBB582_155
; %bb.151:
	s_mov_b32 s18, 0
	s_mov_b32 s15, exec_lo
	v_cmpx_ne_u16_e32 1, v13
	s_xor_b32 s15, exec_lo, s15
	s_cbranch_execnz .LBB582_202
; %bb.152:
	s_and_not1_saveexec_b32 s15, s15
	s_cbranch_execnz .LBB582_218
.LBB582_153:
	s_or_b32 exec_lo, exec_lo, s15
	s_delay_alu instid0(SALU_CYCLE_1)
	s_and_b32 exec_lo, exec_lo, s18
	s_cbranch_execz .LBB582_155
.LBB582_154:
	v_sub_nc_u32_e32 v14, v49, v4
	v_mov_b32_e32 v15, 0
	s_delay_alu instid0(VALU_DEP_1) | instskip(NEXT) | instid1(VALU_DEP_1)
	v_lshlrev_b64 v[14:15], 2, v[14:15]
	v_add_co_u32 v14, vcc_lo, v11, v14
	s_delay_alu instid0(VALU_DEP_2)
	v_add_co_ci_u32_e32 v15, vcc_lo, v12, v15, vcc_lo
	global_store_b32 v[14:15], v50, off
.LBB582_155:
	s_or_b32 exec_lo, exec_lo, s16
	s_branch .LBB582_148
.LBB582_156:
	s_mov_b32 s15, exec_lo
	v_cmpx_gt_i16_e32 2, v13
	s_cbranch_execz .LBB582_161
; %bb.157:
	s_mov_b32 s18, 0
	s_mov_b32 s16, exec_lo
	v_cmpx_ne_u16_e32 1, v13
	s_xor_b32 s16, exec_lo, s16
	s_cbranch_execnz .LBB582_219
; %bb.158:
	s_and_not1_saveexec_b32 s0, s16
	s_cbranch_execnz .LBB582_235
.LBB582_159:
	s_or_b32 exec_lo, exec_lo, s0
	s_delay_alu instid0(SALU_CYCLE_1)
	s_and_b32 exec_lo, exec_lo, s18
	s_cbranch_execz .LBB582_161
.LBB582_160:
	v_sub_nc_u32_e32 v4, v49, v4
	s_delay_alu instid0(VALU_DEP_1)
	v_lshlrev_b32_e32 v4, 2, v4
	ds_store_b32 v4, v50
.LBB582_161:
	s_or_b32 exec_lo, exec_lo, s15
	s_delay_alu instid0(SALU_CYCLE_1)
	s_mov_b32 s1, exec_lo
	s_waitcnt lgkmcnt(0)
	s_waitcnt_vscnt null, 0x0
	s_barrier
	buffer_gl0_inv
	v_cmpx_lt_u32_e64 v0, v2
	s_cbranch_execz .LBB582_164
; %bb.162:
	v_dual_mov_b32 v5, 0 :: v_dual_lshlrev_b32 v6, 2, v0
	v_mov_b32_e32 v4, v0
	s_mov_b32 s2, 0
	.p2align	6
.LBB582_163:                            ; =>This Inner Loop Header: Depth=1
	ds_load_b32 v13, v6
	v_lshlrev_b64 v[7:8], 2, v[4:5]
	v_add_nc_u32_e32 v4, 0x100, v4
	v_add_nc_u32_e32 v6, 0x400, v6
	s_delay_alu instid0(VALU_DEP_2) | instskip(NEXT) | instid1(VALU_DEP_4)
	v_cmp_ge_u32_e32 vcc_lo, v4, v2
	v_add_co_u32 v7, s0, v11, v7
	s_delay_alu instid0(VALU_DEP_1)
	v_add_co_ci_u32_e64 v8, s0, v12, v8, s0
	s_or_b32 s2, vcc_lo, s2
	s_waitcnt lgkmcnt(0)
	global_store_b32 v[7:8], v13, off
	s_and_not1_b32 exec_lo, exec_lo, s2
	s_cbranch_execnz .LBB582_163
.LBB582_164:
	s_or_b32 exec_lo, exec_lo, s1
	v_cmp_eq_u32_e32 vcc_lo, 0xff, v0
	s_and_b32 s0, vcc_lo, s17
	s_delay_alu instid0(SALU_CYCLE_1)
	s_and_saveexec_b32 s1, s0
	s_cbranch_execz .LBB582_149
.LBB582_165:
	v_add_co_u32 v0, s0, v1, v3
	s_delay_alu instid0(VALU_DEP_1) | instskip(SKIP_1) | instid1(VALU_DEP_3)
	v_add_co_ci_u32_e64 v4, null, 0, 0, s0
	v_mov_b32_e32 v2, 0
	v_add_co_u32 v3, vcc_lo, v0, v23
	s_delay_alu instid0(VALU_DEP_3)
	v_add_co_ci_u32_e32 v4, vcc_lo, v4, v24, vcc_lo
	s_cmpk_lg_i32 s26, 0xf00
	global_store_b64 v2, v[3:4], s[30:31]
	s_cbranch_scc1 .LBB582_149
; %bb.166:
	v_lshlrev_b64 v[0:1], 2, v[1:2]
	s_delay_alu instid0(VALU_DEP_1) | instskip(NEXT) | instid1(VALU_DEP_2)
	v_add_co_u32 v0, vcc_lo, v9, v0
	v_add_co_ci_u32_e32 v1, vcc_lo, v10, v1, vcc_lo
	global_store_b32 v[0:1], v79, off offset:-4
	s_nop 0
	s_sendmsg sendmsg(MSG_DEALLOC_VGPRS)
	s_endpgm
.LBB582_167:
	s_or_b32 exec_lo, exec_lo, s4
	v_mov_b32_e32 v78, s1
	s_and_saveexec_b32 s1, s40
	s_cbranch_execnz .LBB582_88
	s_branch .LBB582_89
.LBB582_168:
	s_and_saveexec_b32 s19, s15
	s_cbranch_execnz .LBB582_236
; %bb.169:
	s_or_b32 exec_lo, exec_lo, s19
	s_and_saveexec_b32 s19, s14
	s_cbranch_execnz .LBB582_237
.LBB582_170:
	s_or_b32 exec_lo, exec_lo, s19
	s_and_saveexec_b32 s19, s13
	s_cbranch_execnz .LBB582_238
.LBB582_171:
	s_or_b32 exec_lo, exec_lo, s19
	s_and_saveexec_b32 s19, s12
	s_cbranch_execnz .LBB582_239
.LBB582_172:
	s_or_b32 exec_lo, exec_lo, s19
	s_and_saveexec_b32 s19, s11
	s_cbranch_execnz .LBB582_240
.LBB582_173:
	s_or_b32 exec_lo, exec_lo, s19
	s_and_saveexec_b32 s19, s10
	s_cbranch_execnz .LBB582_241
.LBB582_174:
	s_or_b32 exec_lo, exec_lo, s19
	s_and_saveexec_b32 s19, s8
	s_cbranch_execnz .LBB582_242
.LBB582_175:
	s_or_b32 exec_lo, exec_lo, s19
	s_and_saveexec_b32 s19, s6
	s_cbranch_execnz .LBB582_243
.LBB582_176:
	s_or_b32 exec_lo, exec_lo, s19
	s_and_saveexec_b32 s19, s9
	s_cbranch_execnz .LBB582_244
.LBB582_177:
	s_or_b32 exec_lo, exec_lo, s19
	s_and_saveexec_b32 s19, s7
	s_cbranch_execnz .LBB582_245
.LBB582_178:
	s_or_b32 exec_lo, exec_lo, s19
	s_and_saveexec_b32 s19, s5
	s_cbranch_execnz .LBB582_246
.LBB582_179:
	s_or_b32 exec_lo, exec_lo, s19
	s_and_saveexec_b32 s19, s4
	s_cbranch_execnz .LBB582_247
.LBB582_180:
	s_or_b32 exec_lo, exec_lo, s19
	s_and_saveexec_b32 s19, s3
	s_cbranch_execnz .LBB582_248
.LBB582_181:
	s_or_b32 exec_lo, exec_lo, s19
	s_and_saveexec_b32 s19, s1
	s_cbranch_execz .LBB582_183
.LBB582_182:
	v_sub_nc_u32_e32 v30, v57, v3
	v_mov_b32_e32 v31, 0
	s_delay_alu instid0(VALU_DEP_1) | instskip(NEXT) | instid1(VALU_DEP_1)
	v_lshlrev_b64 v[30:31], 2, v[30:31]
	v_add_co_u32 v30, vcc_lo, v2, v30
	s_delay_alu instid0(VALU_DEP_2)
	v_add_co_ci_u32_e32 v31, vcc_lo, v4, v31, vcc_lo
	global_store_b32 v[30:31], v10, off
.LBB582_183:
	s_or_b32 exec_lo, exec_lo, s19
	s_delay_alu instid0(SALU_CYCLE_1)
	s_and_b32 s19, s0, exec_lo
	s_and_not1_saveexec_b32 s16, s16
	s_cbranch_execz .LBB582_133
.LBB582_184:
	v_sub_nc_u32_e32 v30, v53, v3
	v_mov_b32_e32 v31, 0
	s_or_b32 s19, s19, exec_lo
	s_delay_alu instid0(VALU_DEP_1) | instskip(SKIP_1) | instid1(VALU_DEP_1)
	v_lshlrev_b64 v[32:33], 2, v[30:31]
	v_sub_nc_u32_e32 v30, v59, v3
	v_lshlrev_b64 v[34:35], 2, v[30:31]
	v_sub_nc_u32_e32 v30, v55, v3
	s_delay_alu instid0(VALU_DEP_4) | instskip(SKIP_1) | instid1(VALU_DEP_3)
	v_add_co_u32 v32, vcc_lo, v2, v32
	v_add_co_ci_u32_e32 v33, vcc_lo, v4, v33, vcc_lo
	v_lshlrev_b64 v[80:81], 2, v[30:31]
	v_sub_nc_u32_e32 v30, v51, v3
	v_add_co_u32 v34, vcc_lo, v2, v34
	v_add_co_ci_u32_e32 v35, vcc_lo, v4, v35, vcc_lo
	global_store_b32 v[32:33], v21, off
	v_lshlrev_b64 v[32:33], 2, v[30:31]
	v_sub_nc_u32_e32 v30, v45, v3
	global_store_b32 v[34:35], v22, off
	v_add_co_u32 v34, vcc_lo, v2, v80
	v_add_co_ci_u32_e32 v35, vcc_lo, v4, v81, vcc_lo
	v_lshlrev_b64 v[80:81], 2, v[30:31]
	v_sub_nc_u32_e32 v30, v41, v3
	v_add_co_u32 v32, vcc_lo, v2, v32
	v_add_co_ci_u32_e32 v33, vcc_lo, v4, v33, vcc_lo
	s_delay_alu instid0(VALU_DEP_3) | instskip(SKIP_3) | instid1(VALU_DEP_3)
	v_lshlrev_b64 v[82:83], 2, v[30:31]
	v_sub_nc_u32_e32 v30, v39, v3
	v_add_co_u32 v80, vcc_lo, v2, v80
	v_add_co_ci_u32_e32 v81, vcc_lo, v4, v81, vcc_lo
	v_lshlrev_b64 v[84:85], 2, v[30:31]
	v_sub_nc_u32_e32 v30, v43, v3
	v_add_co_u32 v82, vcc_lo, v2, v82
	v_add_co_ci_u32_e32 v83, vcc_lo, v4, v83, vcc_lo
	s_clause 0x3
	global_store_b32 v[34:35], v19, off
	global_store_b32 v[32:33], v20, off
	;; [unrolled: 1-line block ×4, first 2 shown]
	v_lshlrev_b64 v[32:33], 2, v[30:31]
	v_sub_nc_u32_e32 v30, v47, v3
	v_add_co_u32 v34, vcc_lo, v2, v84
	v_add_co_ci_u32_e32 v35, vcc_lo, v4, v85, vcc_lo
	s_delay_alu instid0(VALU_DEP_3) | instskip(SKIP_3) | instid1(VALU_DEP_3)
	v_lshlrev_b64 v[80:81], 2, v[30:31]
	v_sub_nc_u32_e32 v30, v5, v3
	v_add_co_u32 v32, vcc_lo, v2, v32
	v_add_co_ci_u32_e32 v33, vcc_lo, v4, v33, vcc_lo
	v_lshlrev_b64 v[82:83], 2, v[30:31]
	v_sub_nc_u32_e32 v30, v7, v3
	v_add_co_u32 v80, vcc_lo, v2, v80
	v_add_co_ci_u32_e32 v81, vcc_lo, v4, v81, vcc_lo
	s_delay_alu instid0(VALU_DEP_3)
	v_lshlrev_b64 v[84:85], 2, v[30:31]
	v_sub_nc_u32_e32 v30, v37, v3
	v_add_co_u32 v82, vcc_lo, v2, v82
	v_add_co_ci_u32_e32 v83, vcc_lo, v4, v83, vcc_lo
	s_clause 0x3
	global_store_b32 v[34:35], v15, off
	global_store_b32 v[32:33], v16, off
	;; [unrolled: 1-line block ×4, first 2 shown]
	v_lshlrev_b64 v[32:33], 2, v[30:31]
	v_sub_nc_u32_e32 v30, v61, v3
	v_add_co_u32 v34, vcc_lo, v2, v84
	v_add_co_ci_u32_e32 v35, vcc_lo, v4, v85, vcc_lo
	s_delay_alu instid0(VALU_DEP_3) | instskip(SKIP_3) | instid1(VALU_DEP_3)
	v_lshlrev_b64 v[80:81], 2, v[30:31]
	v_sub_nc_u32_e32 v30, v57, v3
	v_add_co_u32 v32, vcc_lo, v2, v32
	v_add_co_ci_u32_e32 v33, vcc_lo, v4, v33, vcc_lo
	v_lshlrev_b64 v[30:31], 2, v[30:31]
	v_add_co_u32 v80, vcc_lo, v2, v80
	v_add_co_ci_u32_e32 v81, vcc_lo, v4, v81, vcc_lo
	s_clause 0x2
	global_store_b32 v[34:35], v11, off
	global_store_b32 v[32:33], v12, off
	global_store_b32 v[80:81], v9, off
	v_add_co_u32 v30, vcc_lo, v2, v30
	v_add_co_ci_u32_e32 v31, vcc_lo, v4, v31, vcc_lo
	global_store_b32 v[30:31], v10, off
	s_or_b32 exec_lo, exec_lo, s16
	s_delay_alu instid0(SALU_CYCLE_1)
	s_and_b32 exec_lo, exec_lo, s19
	s_cbranch_execnz .LBB582_134
	s_branch .LBB582_135
.LBB582_185:
	s_and_saveexec_b32 s19, s15
	s_cbranch_execnz .LBB582_249
; %bb.186:
	s_or_b32 exec_lo, exec_lo, s19
	s_and_saveexec_b32 s15, s14
	s_cbranch_execnz .LBB582_250
.LBB582_187:
	s_or_b32 exec_lo, exec_lo, s15
	s_and_saveexec_b32 s14, s13
	s_cbranch_execnz .LBB582_251
.LBB582_188:
	s_or_b32 exec_lo, exec_lo, s14
	s_and_saveexec_b32 s13, s12
	s_cbranch_execnz .LBB582_252
.LBB582_189:
	s_or_b32 exec_lo, exec_lo, s13
	s_and_saveexec_b32 s12, s11
	s_cbranch_execnz .LBB582_253
.LBB582_190:
	s_or_b32 exec_lo, exec_lo, s12
	s_and_saveexec_b32 s11, s10
	s_cbranch_execnz .LBB582_254
.LBB582_191:
	s_or_b32 exec_lo, exec_lo, s11
	s_and_saveexec_b32 s10, s8
	s_cbranch_execnz .LBB582_255
.LBB582_192:
	s_or_b32 exec_lo, exec_lo, s10
	s_and_saveexec_b32 s8, s6
	s_cbranch_execnz .LBB582_256
.LBB582_193:
	s_or_b32 exec_lo, exec_lo, s8
	s_and_saveexec_b32 s6, s9
	s_cbranch_execnz .LBB582_257
.LBB582_194:
	s_or_b32 exec_lo, exec_lo, s6
	s_and_saveexec_b32 s6, s7
	s_cbranch_execnz .LBB582_258
.LBB582_195:
	s_or_b32 exec_lo, exec_lo, s6
	s_and_saveexec_b32 s6, s5
	s_cbranch_execnz .LBB582_259
.LBB582_196:
	s_or_b32 exec_lo, exec_lo, s6
	s_and_saveexec_b32 s5, s4
	s_cbranch_execnz .LBB582_260
.LBB582_197:
	s_or_b32 exec_lo, exec_lo, s5
	s_and_saveexec_b32 s4, s3
	s_cbranch_execnz .LBB582_261
.LBB582_198:
	s_or_b32 exec_lo, exec_lo, s4
	s_and_saveexec_b32 s3, s1
	s_cbranch_execz .LBB582_200
.LBB582_199:
	v_sub_nc_u32_e32 v9, v57, v3
	s_delay_alu instid0(VALU_DEP_1)
	v_lshlrev_b32_e32 v9, 2, v9
	ds_store_b32 v9, v10
.LBB582_200:
	s_or_b32 exec_lo, exec_lo, s3
	s_delay_alu instid0(SALU_CYCLE_1)
	s_and_b32 s19, s0, exec_lo
                                        ; implicit-def: $vgpr21
                                        ; implicit-def: $vgpr19
                                        ; implicit-def: $vgpr17
                                        ; implicit-def: $vgpr15
                                        ; implicit-def: $vgpr13
                                        ; implicit-def: $vgpr11
                                        ; implicit-def: $vgpr9
	s_and_not1_saveexec_b32 s0, s18
	s_cbranch_execz .LBB582_140
.LBB582_201:
	v_sub_nc_u32_e32 v29, v53, v3
	v_sub_nc_u32_e32 v32, v51, v3
	;; [unrolled: 1-line block ×4, first 2 shown]
	s_or_b32 s19, s19, exec_lo
	v_lshlrev_b32_e32 v29, 2, v29
	v_lshlrev_b32_e32 v32, 2, v32
	;; [unrolled: 1-line block ×4, first 2 shown]
	ds_store_b32 v29, v21
	ds_store_b32 v30, v22
	;; [unrolled: 1-line block ×3, first 2 shown]
	v_sub_nc_u32_e32 v19, v45, v3
	ds_store_b32 v32, v20
	v_sub_nc_u32_e32 v20, v41, v3
	v_sub_nc_u32_e32 v21, v39, v3
	;; [unrolled: 1-line block ×3, first 2 shown]
	v_lshlrev_b32_e32 v19, 2, v19
	v_sub_nc_u32_e32 v29, v47, v3
	v_lshlrev_b32_e32 v20, 2, v20
	v_lshlrev_b32_e32 v21, 2, v21
	;; [unrolled: 1-line block ×3, first 2 shown]
	ds_store_b32 v19, v17
	v_lshlrev_b32_e32 v17, 2, v29
	ds_store_b32 v20, v18
	ds_store_b32 v21, v15
	;; [unrolled: 1-line block ×3, first 2 shown]
	v_sub_nc_u32_e32 v15, v5, v3
	v_sub_nc_u32_e32 v18, v57, v3
	v_sub_nc_u32_e32 v16, v37, v3
	ds_store_b32 v17, v13
	v_sub_nc_u32_e32 v13, v7, v3
	v_lshlrev_b32_e32 v15, 2, v15
	v_sub_nc_u32_e32 v17, v61, v3
	v_lshlrev_b32_e32 v16, 2, v16
	s_delay_alu instid0(VALU_DEP_4)
	v_lshlrev_b32_e32 v13, 2, v13
	ds_store_b32 v15, v14
	v_lshlrev_b32_e32 v14, 2, v18
	v_lshlrev_b32_e32 v17, 2, v17
	ds_store_b32 v13, v11
	ds_store_b32 v16, v12
	;; [unrolled: 1-line block ×4, first 2 shown]
	s_or_b32 exec_lo, exec_lo, s0
	s_delay_alu instid0(SALU_CYCLE_1)
	s_and_b32 exec_lo, exec_lo, s19
	s_cbranch_execnz .LBB582_141
	s_branch .LBB582_142
.LBB582_202:
	s_and_saveexec_b32 s18, s14
	s_cbranch_execnz .LBB582_262
; %bb.203:
	s_or_b32 exec_lo, exec_lo, s18
	s_and_saveexec_b32 s18, s13
	s_cbranch_execnz .LBB582_263
.LBB582_204:
	s_or_b32 exec_lo, exec_lo, s18
	s_and_saveexec_b32 s18, s12
	s_cbranch_execnz .LBB582_264
.LBB582_205:
	s_or_b32 exec_lo, exec_lo, s18
	s_and_saveexec_b32 s18, s11
	s_cbranch_execnz .LBB582_265
.LBB582_206:
	s_or_b32 exec_lo, exec_lo, s18
	s_and_saveexec_b32 s18, s10
	s_cbranch_execnz .LBB582_266
.LBB582_207:
	s_or_b32 exec_lo, exec_lo, s18
	s_and_saveexec_b32 s18, s9
	s_cbranch_execnz .LBB582_267
.LBB582_208:
	s_or_b32 exec_lo, exec_lo, s18
	s_and_saveexec_b32 s18, s8
	s_cbranch_execnz .LBB582_268
.LBB582_209:
	s_or_b32 exec_lo, exec_lo, s18
	s_and_saveexec_b32 s18, s7
	s_cbranch_execnz .LBB582_269
.LBB582_210:
	s_or_b32 exec_lo, exec_lo, s18
	s_and_saveexec_b32 s18, s6
	s_cbranch_execnz .LBB582_270
.LBB582_211:
	s_or_b32 exec_lo, exec_lo, s18
	s_and_saveexec_b32 s18, s5
	s_cbranch_execnz .LBB582_271
.LBB582_212:
	s_or_b32 exec_lo, exec_lo, s18
	s_and_saveexec_b32 s18, s4
	s_cbranch_execnz .LBB582_272
.LBB582_213:
	s_or_b32 exec_lo, exec_lo, s18
	s_and_saveexec_b32 s18, s3
	s_cbranch_execnz .LBB582_273
.LBB582_214:
	s_or_b32 exec_lo, exec_lo, s18
	s_and_saveexec_b32 s18, s2
	s_cbranch_execnz .LBB582_274
.LBB582_215:
	s_or_b32 exec_lo, exec_lo, s18
	s_and_saveexec_b32 s18, s1
	s_cbranch_execz .LBB582_217
.LBB582_216:
	v_sub_nc_u32_e32 v14, v57, v4
	v_mov_b32_e32 v15, 0
	s_delay_alu instid0(VALU_DEP_1) | instskip(NEXT) | instid1(VALU_DEP_1)
	v_lshlrev_b64 v[14:15], 2, v[14:15]
	v_add_co_u32 v14, vcc_lo, v11, v14
	s_delay_alu instid0(VALU_DEP_2)
	v_add_co_ci_u32_e32 v15, vcc_lo, v12, v15, vcc_lo
	global_store_b32 v[14:15], v58, off
.LBB582_217:
	s_or_b32 exec_lo, exec_lo, s18
	s_delay_alu instid0(SALU_CYCLE_1)
	s_and_b32 s18, s0, exec_lo
	s_and_not1_saveexec_b32 s15, s15
	s_cbranch_execz .LBB582_153
.LBB582_218:
	v_sub_nc_u32_e32 v14, v53, v4
	v_mov_b32_e32 v15, 0
	s_or_b32 s18, s18, exec_lo
	s_delay_alu instid0(VALU_DEP_1) | instskip(SKIP_1) | instid1(VALU_DEP_1)
	v_lshlrev_b64 v[16:17], 2, v[14:15]
	v_sub_nc_u32_e32 v14, v59, v4
	v_lshlrev_b64 v[18:19], 2, v[14:15]
	v_sub_nc_u32_e32 v14, v55, v4
	s_delay_alu instid0(VALU_DEP_4) | instskip(SKIP_1) | instid1(VALU_DEP_3)
	v_add_co_u32 v16, vcc_lo, v11, v16
	v_add_co_ci_u32_e32 v17, vcc_lo, v12, v17, vcc_lo
	v_lshlrev_b64 v[20:21], 2, v[14:15]
	v_sub_nc_u32_e32 v14, v51, v4
	v_add_co_u32 v18, vcc_lo, v11, v18
	v_add_co_ci_u32_e32 v19, vcc_lo, v12, v19, vcc_lo
	global_store_b32 v[16:17], v54, off
	v_lshlrev_b64 v[16:17], 2, v[14:15]
	v_sub_nc_u32_e32 v14, v45, v4
	global_store_b32 v[18:19], v60, off
	v_add_co_u32 v18, vcc_lo, v11, v20
	v_add_co_ci_u32_e32 v19, vcc_lo, v12, v21, vcc_lo
	v_lshlrev_b64 v[20:21], 2, v[14:15]
	v_sub_nc_u32_e32 v14, v41, v4
	v_add_co_u32 v16, vcc_lo, v11, v16
	v_add_co_ci_u32_e32 v17, vcc_lo, v12, v17, vcc_lo
	s_delay_alu instid0(VALU_DEP_3) | instskip(SKIP_3) | instid1(VALU_DEP_3)
	v_lshlrev_b64 v[25:26], 2, v[14:15]
	v_sub_nc_u32_e32 v14, v39, v4
	v_add_co_u32 v20, vcc_lo, v11, v20
	v_add_co_ci_u32_e32 v21, vcc_lo, v12, v21, vcc_lo
	v_lshlrev_b64 v[27:28], 2, v[14:15]
	v_sub_nc_u32_e32 v14, v43, v4
	v_add_co_u32 v25, vcc_lo, v11, v25
	v_add_co_ci_u32_e32 v26, vcc_lo, v12, v26, vcc_lo
	s_clause 0x3
	global_store_b32 v[18:19], v56, off
	global_store_b32 v[16:17], v52, off
	;; [unrolled: 1-line block ×4, first 2 shown]
	v_lshlrev_b64 v[16:17], 2, v[14:15]
	v_sub_nc_u32_e32 v14, v47, v4
	v_add_co_u32 v18, vcc_lo, v11, v27
	v_add_co_ci_u32_e32 v19, vcc_lo, v12, v28, vcc_lo
	s_delay_alu instid0(VALU_DEP_3) | instskip(SKIP_3) | instid1(VALU_DEP_3)
	v_lshlrev_b64 v[20:21], 2, v[14:15]
	v_sub_nc_u32_e32 v14, v5, v4
	v_add_co_u32 v16, vcc_lo, v11, v16
	v_add_co_ci_u32_e32 v17, vcc_lo, v12, v17, vcc_lo
	v_lshlrev_b64 v[25:26], 2, v[14:15]
	v_sub_nc_u32_e32 v14, v7, v4
	v_add_co_u32 v20, vcc_lo, v11, v20
	v_add_co_ci_u32_e32 v21, vcc_lo, v12, v21, vcc_lo
	s_delay_alu instid0(VALU_DEP_3)
	v_lshlrev_b64 v[27:28], 2, v[14:15]
	v_sub_nc_u32_e32 v14, v37, v4
	v_add_co_u32 v25, vcc_lo, v11, v25
	v_add_co_ci_u32_e32 v26, vcc_lo, v12, v26, vcc_lo
	s_clause 0x3
	global_store_b32 v[18:19], v40, off
	global_store_b32 v[16:17], v44, off
	global_store_b32 v[20:21], v48, off
	global_store_b32 v[25:26], v6, off
	v_lshlrev_b64 v[16:17], 2, v[14:15]
	v_sub_nc_u32_e32 v14, v61, v4
	v_add_co_u32 v18, vcc_lo, v11, v27
	v_add_co_ci_u32_e32 v19, vcc_lo, v12, v28, vcc_lo
	s_delay_alu instid0(VALU_DEP_3) | instskip(SKIP_3) | instid1(VALU_DEP_3)
	v_lshlrev_b64 v[20:21], 2, v[14:15]
	v_sub_nc_u32_e32 v14, v57, v4
	v_add_co_u32 v16, vcc_lo, v11, v16
	v_add_co_ci_u32_e32 v17, vcc_lo, v12, v17, vcc_lo
	v_lshlrev_b64 v[14:15], 2, v[14:15]
	v_add_co_u32 v20, vcc_lo, v11, v20
	v_add_co_ci_u32_e32 v21, vcc_lo, v12, v21, vcc_lo
	s_clause 0x2
	global_store_b32 v[18:19], v8, off
	global_store_b32 v[16:17], v38, off
	;; [unrolled: 1-line block ×3, first 2 shown]
	v_add_co_u32 v14, vcc_lo, v11, v14
	v_add_co_ci_u32_e32 v15, vcc_lo, v12, v15, vcc_lo
	global_store_b32 v[14:15], v58, off
	s_or_b32 exec_lo, exec_lo, s15
	s_delay_alu instid0(SALU_CYCLE_1)
	s_and_b32 exec_lo, exec_lo, s18
	s_cbranch_execnz .LBB582_154
	s_branch .LBB582_155
.LBB582_219:
	s_and_saveexec_b32 s18, s14
	s_cbranch_execnz .LBB582_275
; %bb.220:
	s_or_b32 exec_lo, exec_lo, s18
	s_and_saveexec_b32 s14, s13
	s_cbranch_execnz .LBB582_276
.LBB582_221:
	s_or_b32 exec_lo, exec_lo, s14
	s_and_saveexec_b32 s13, s12
	s_cbranch_execnz .LBB582_277
.LBB582_222:
	s_or_b32 exec_lo, exec_lo, s13
	s_and_saveexec_b32 s12, s11
	s_cbranch_execnz .LBB582_278
.LBB582_223:
	s_or_b32 exec_lo, exec_lo, s12
	s_and_saveexec_b32 s11, s10
	s_cbranch_execnz .LBB582_279
.LBB582_224:
	s_or_b32 exec_lo, exec_lo, s11
	s_and_saveexec_b32 s10, s9
	s_cbranch_execnz .LBB582_280
.LBB582_225:
	s_or_b32 exec_lo, exec_lo, s10
	s_and_saveexec_b32 s9, s8
	s_cbranch_execnz .LBB582_281
.LBB582_226:
	s_or_b32 exec_lo, exec_lo, s9
	s_and_saveexec_b32 s8, s7
	s_cbranch_execnz .LBB582_282
.LBB582_227:
	s_or_b32 exec_lo, exec_lo, s8
	s_and_saveexec_b32 s7, s6
	s_cbranch_execnz .LBB582_283
.LBB582_228:
	s_or_b32 exec_lo, exec_lo, s7
	s_and_saveexec_b32 s6, s5
	s_cbranch_execnz .LBB582_284
.LBB582_229:
	s_or_b32 exec_lo, exec_lo, s6
	s_and_saveexec_b32 s5, s4
	s_cbranch_execnz .LBB582_285
.LBB582_230:
	s_or_b32 exec_lo, exec_lo, s5
	s_and_saveexec_b32 s4, s3
	s_cbranch_execnz .LBB582_286
.LBB582_231:
	s_or_b32 exec_lo, exec_lo, s4
	s_and_saveexec_b32 s3, s2
	s_cbranch_execnz .LBB582_287
.LBB582_232:
	s_or_b32 exec_lo, exec_lo, s3
	s_and_saveexec_b32 s2, s1
	s_cbranch_execz .LBB582_234
.LBB582_233:
	v_sub_nc_u32_e32 v5, v57, v4
	s_delay_alu instid0(VALU_DEP_1)
	v_lshlrev_b32_e32 v5, 2, v5
	ds_store_b32 v5, v58
.LBB582_234:
	s_or_b32 exec_lo, exec_lo, s2
	s_delay_alu instid0(SALU_CYCLE_1)
	s_and_b32 s18, s0, exec_lo
                                        ; implicit-def: $vgpr53_vgpr54
                                        ; implicit-def: $vgpr59_vgpr60
                                        ; implicit-def: $vgpr55_vgpr56
                                        ; implicit-def: $vgpr51_vgpr52
                                        ; implicit-def: $vgpr45_vgpr46
                                        ; implicit-def: $vgpr41_vgpr42
                                        ; implicit-def: $vgpr39_vgpr40
                                        ; implicit-def: $vgpr43_vgpr44
                                        ; implicit-def: $vgpr47_vgpr48
                                        ; implicit-def: $vgpr5_vgpr6
                                        ; implicit-def: $vgpr7_vgpr8
                                        ; implicit-def: $vgpr37_vgpr38
                                        ; implicit-def: $vgpr61_vgpr62
                                        ; implicit-def: $vgpr57_vgpr58
	s_and_not1_saveexec_b32 s0, s16
	s_cbranch_execz .LBB582_159
.LBB582_235:
	v_sub_nc_u32_e32 v13, v53, v4
	v_sub_nc_u32_e32 v14, v59, v4
	;; [unrolled: 1-line block ×5, first 2 shown]
	v_lshlrev_b32_e32 v13, 2, v13
	v_lshlrev_b32_e32 v14, 2, v14
	;; [unrolled: 1-line block ×4, first 2 shown]
	v_sub_nc_u32_e32 v5, v5, v4
	ds_store_b32 v13, v54
	ds_store_b32 v14, v60
	;; [unrolled: 1-line block ×3, first 2 shown]
	v_sub_nc_u32_e32 v13, v45, v4
	v_sub_nc_u32_e32 v14, v41, v4
	;; [unrolled: 1-line block ×3, first 2 shown]
	ds_store_b32 v16, v52
	v_sub_nc_u32_e32 v16, v43, v4
	v_lshlrev_b32_e32 v13, 2, v13
	v_lshlrev_b32_e32 v14, 2, v14
	;; [unrolled: 1-line block ×3, first 2 shown]
	v_sub_nc_u32_e32 v7, v7, v4
	v_lshlrev_b32_e32 v16, 2, v16
	ds_store_b32 v13, v46
	v_lshlrev_b32_e32 v13, 2, v17
	ds_store_b32 v14, v42
	ds_store_b32 v15, v40
	;; [unrolled: 1-line block ×3, first 2 shown]
	v_lshlrev_b32_e32 v5, 2, v5
	v_sub_nc_u32_e32 v15, v57, v4
	v_sub_nc_u32_e32 v14, v61, v4
	ds_store_b32 v13, v48
	v_sub_nc_u32_e32 v13, v37, v4
	v_lshlrev_b32_e32 v7, 2, v7
	ds_store_b32 v5, v6
	v_lshlrev_b32_e32 v5, 2, v15
	v_lshlrev_b32_e32 v14, 2, v14
	;; [unrolled: 1-line block ×3, first 2 shown]
	s_or_b32 s18, s18, exec_lo
	ds_store_b32 v7, v8
	ds_store_b32 v13, v38
	;; [unrolled: 1-line block ×4, first 2 shown]
	s_or_b32 exec_lo, exec_lo, s0
	s_delay_alu instid0(SALU_CYCLE_1)
	s_and_b32 exec_lo, exec_lo, s18
	s_cbranch_execnz .LBB582_160
	s_branch .LBB582_161
.LBB582_236:
	v_sub_nc_u32_e32 v30, v53, v3
	v_mov_b32_e32 v31, 0
	s_delay_alu instid0(VALU_DEP_1) | instskip(NEXT) | instid1(VALU_DEP_1)
	v_lshlrev_b64 v[30:31], 2, v[30:31]
	v_add_co_u32 v30, vcc_lo, v2, v30
	s_delay_alu instid0(VALU_DEP_2)
	v_add_co_ci_u32_e32 v31, vcc_lo, v4, v31, vcc_lo
	global_store_b32 v[30:31], v21, off
	s_or_b32 exec_lo, exec_lo, s19
	s_and_saveexec_b32 s19, s14
	s_cbranch_execz .LBB582_170
.LBB582_237:
	v_sub_nc_u32_e32 v30, v59, v3
	v_mov_b32_e32 v31, 0
	s_delay_alu instid0(VALU_DEP_1) | instskip(NEXT) | instid1(VALU_DEP_1)
	v_lshlrev_b64 v[30:31], 2, v[30:31]
	v_add_co_u32 v30, vcc_lo, v2, v30
	s_delay_alu instid0(VALU_DEP_2)
	v_add_co_ci_u32_e32 v31, vcc_lo, v4, v31, vcc_lo
	global_store_b32 v[30:31], v22, off
	s_or_b32 exec_lo, exec_lo, s19
	s_and_saveexec_b32 s19, s13
	s_cbranch_execz .LBB582_171
.LBB582_238:
	v_sub_nc_u32_e32 v30, v55, v3
	v_mov_b32_e32 v31, 0
	s_delay_alu instid0(VALU_DEP_1) | instskip(NEXT) | instid1(VALU_DEP_1)
	v_lshlrev_b64 v[30:31], 2, v[30:31]
	v_add_co_u32 v30, vcc_lo, v2, v30
	s_delay_alu instid0(VALU_DEP_2)
	v_add_co_ci_u32_e32 v31, vcc_lo, v4, v31, vcc_lo
	global_store_b32 v[30:31], v19, off
	s_or_b32 exec_lo, exec_lo, s19
	s_and_saveexec_b32 s19, s12
	s_cbranch_execz .LBB582_172
.LBB582_239:
	v_sub_nc_u32_e32 v30, v51, v3
	v_mov_b32_e32 v31, 0
	s_delay_alu instid0(VALU_DEP_1) | instskip(NEXT) | instid1(VALU_DEP_1)
	v_lshlrev_b64 v[30:31], 2, v[30:31]
	v_add_co_u32 v30, vcc_lo, v2, v30
	s_delay_alu instid0(VALU_DEP_2)
	v_add_co_ci_u32_e32 v31, vcc_lo, v4, v31, vcc_lo
	global_store_b32 v[30:31], v20, off
	s_or_b32 exec_lo, exec_lo, s19
	s_and_saveexec_b32 s19, s11
	s_cbranch_execz .LBB582_173
.LBB582_240:
	v_sub_nc_u32_e32 v30, v45, v3
	v_mov_b32_e32 v31, 0
	s_delay_alu instid0(VALU_DEP_1) | instskip(NEXT) | instid1(VALU_DEP_1)
	v_lshlrev_b64 v[30:31], 2, v[30:31]
	v_add_co_u32 v30, vcc_lo, v2, v30
	s_delay_alu instid0(VALU_DEP_2)
	v_add_co_ci_u32_e32 v31, vcc_lo, v4, v31, vcc_lo
	global_store_b32 v[30:31], v17, off
	s_or_b32 exec_lo, exec_lo, s19
	s_and_saveexec_b32 s19, s10
	s_cbranch_execz .LBB582_174
.LBB582_241:
	v_sub_nc_u32_e32 v30, v41, v3
	v_mov_b32_e32 v31, 0
	s_delay_alu instid0(VALU_DEP_1) | instskip(NEXT) | instid1(VALU_DEP_1)
	v_lshlrev_b64 v[30:31], 2, v[30:31]
	v_add_co_u32 v30, vcc_lo, v2, v30
	s_delay_alu instid0(VALU_DEP_2)
	v_add_co_ci_u32_e32 v31, vcc_lo, v4, v31, vcc_lo
	global_store_b32 v[30:31], v18, off
	s_or_b32 exec_lo, exec_lo, s19
	s_and_saveexec_b32 s19, s8
	s_cbranch_execz .LBB582_175
.LBB582_242:
	v_sub_nc_u32_e32 v30, v39, v3
	v_mov_b32_e32 v31, 0
	s_delay_alu instid0(VALU_DEP_1) | instskip(NEXT) | instid1(VALU_DEP_1)
	v_lshlrev_b64 v[30:31], 2, v[30:31]
	v_add_co_u32 v30, vcc_lo, v2, v30
	s_delay_alu instid0(VALU_DEP_2)
	v_add_co_ci_u32_e32 v31, vcc_lo, v4, v31, vcc_lo
	global_store_b32 v[30:31], v15, off
	s_or_b32 exec_lo, exec_lo, s19
	s_and_saveexec_b32 s19, s6
	s_cbranch_execz .LBB582_176
.LBB582_243:
	v_sub_nc_u32_e32 v30, v43, v3
	v_mov_b32_e32 v31, 0
	s_delay_alu instid0(VALU_DEP_1) | instskip(NEXT) | instid1(VALU_DEP_1)
	v_lshlrev_b64 v[30:31], 2, v[30:31]
	v_add_co_u32 v30, vcc_lo, v2, v30
	s_delay_alu instid0(VALU_DEP_2)
	v_add_co_ci_u32_e32 v31, vcc_lo, v4, v31, vcc_lo
	global_store_b32 v[30:31], v16, off
	s_or_b32 exec_lo, exec_lo, s19
	s_and_saveexec_b32 s19, s9
	s_cbranch_execz .LBB582_177
.LBB582_244:
	v_sub_nc_u32_e32 v30, v47, v3
	v_mov_b32_e32 v31, 0
	s_delay_alu instid0(VALU_DEP_1) | instskip(NEXT) | instid1(VALU_DEP_1)
	v_lshlrev_b64 v[30:31], 2, v[30:31]
	v_add_co_u32 v30, vcc_lo, v2, v30
	s_delay_alu instid0(VALU_DEP_2)
	v_add_co_ci_u32_e32 v31, vcc_lo, v4, v31, vcc_lo
	global_store_b32 v[30:31], v13, off
	s_or_b32 exec_lo, exec_lo, s19
	s_and_saveexec_b32 s19, s7
	s_cbranch_execz .LBB582_178
.LBB582_245:
	v_sub_nc_u32_e32 v30, v5, v3
	v_mov_b32_e32 v31, 0
	s_delay_alu instid0(VALU_DEP_1) | instskip(NEXT) | instid1(VALU_DEP_1)
	v_lshlrev_b64 v[30:31], 2, v[30:31]
	v_add_co_u32 v30, vcc_lo, v2, v30
	s_delay_alu instid0(VALU_DEP_2)
	v_add_co_ci_u32_e32 v31, vcc_lo, v4, v31, vcc_lo
	global_store_b32 v[30:31], v14, off
	s_or_b32 exec_lo, exec_lo, s19
	s_and_saveexec_b32 s19, s5
	s_cbranch_execz .LBB582_179
.LBB582_246:
	v_sub_nc_u32_e32 v30, v7, v3
	v_mov_b32_e32 v31, 0
	s_delay_alu instid0(VALU_DEP_1) | instskip(NEXT) | instid1(VALU_DEP_1)
	v_lshlrev_b64 v[30:31], 2, v[30:31]
	v_add_co_u32 v30, vcc_lo, v2, v30
	s_delay_alu instid0(VALU_DEP_2)
	v_add_co_ci_u32_e32 v31, vcc_lo, v4, v31, vcc_lo
	global_store_b32 v[30:31], v11, off
	s_or_b32 exec_lo, exec_lo, s19
	s_and_saveexec_b32 s19, s4
	s_cbranch_execz .LBB582_180
.LBB582_247:
	v_sub_nc_u32_e32 v30, v37, v3
	v_mov_b32_e32 v31, 0
	s_delay_alu instid0(VALU_DEP_1) | instskip(NEXT) | instid1(VALU_DEP_1)
	v_lshlrev_b64 v[30:31], 2, v[30:31]
	v_add_co_u32 v30, vcc_lo, v2, v30
	s_delay_alu instid0(VALU_DEP_2)
	v_add_co_ci_u32_e32 v31, vcc_lo, v4, v31, vcc_lo
	global_store_b32 v[30:31], v12, off
	s_or_b32 exec_lo, exec_lo, s19
	s_and_saveexec_b32 s19, s3
	s_cbranch_execz .LBB582_181
.LBB582_248:
	v_sub_nc_u32_e32 v30, v61, v3
	v_mov_b32_e32 v31, 0
	s_delay_alu instid0(VALU_DEP_1) | instskip(NEXT) | instid1(VALU_DEP_1)
	v_lshlrev_b64 v[30:31], 2, v[30:31]
	v_add_co_u32 v30, vcc_lo, v2, v30
	s_delay_alu instid0(VALU_DEP_2)
	v_add_co_ci_u32_e32 v31, vcc_lo, v4, v31, vcc_lo
	global_store_b32 v[30:31], v9, off
	s_or_b32 exec_lo, exec_lo, s19
	s_and_saveexec_b32 s19, s1
	s_cbranch_execnz .LBB582_182
	s_branch .LBB582_183
.LBB582_249:
	v_sub_nc_u32_e32 v29, v53, v3
	s_delay_alu instid0(VALU_DEP_1)
	v_lshlrev_b32_e32 v29, 2, v29
	ds_store_b32 v29, v21
	s_or_b32 exec_lo, exec_lo, s19
	s_and_saveexec_b32 s15, s14
	s_cbranch_execz .LBB582_187
.LBB582_250:
	v_sub_nc_u32_e32 v21, v59, v3
	s_delay_alu instid0(VALU_DEP_1)
	v_lshlrev_b32_e32 v21, 2, v21
	ds_store_b32 v21, v22
	s_or_b32 exec_lo, exec_lo, s15
	s_and_saveexec_b32 s14, s13
	s_cbranch_execz .LBB582_188
.LBB582_251:
	v_sub_nc_u32_e32 v21, v55, v3
	s_delay_alu instid0(VALU_DEP_1)
	v_lshlrev_b32_e32 v21, 2, v21
	ds_store_b32 v21, v19
	s_or_b32 exec_lo, exec_lo, s14
	s_and_saveexec_b32 s13, s12
	s_cbranch_execz .LBB582_189
.LBB582_252:
	v_sub_nc_u32_e32 v19, v51, v3
	s_delay_alu instid0(VALU_DEP_1)
	v_lshlrev_b32_e32 v19, 2, v19
	ds_store_b32 v19, v20
	s_or_b32 exec_lo, exec_lo, s13
	s_and_saveexec_b32 s12, s11
	s_cbranch_execz .LBB582_190
.LBB582_253:
	v_sub_nc_u32_e32 v19, v45, v3
	s_delay_alu instid0(VALU_DEP_1)
	v_lshlrev_b32_e32 v19, 2, v19
	ds_store_b32 v19, v17
	s_or_b32 exec_lo, exec_lo, s12
	s_and_saveexec_b32 s11, s10
	s_cbranch_execz .LBB582_191
.LBB582_254:
	v_sub_nc_u32_e32 v17, v41, v3
	s_delay_alu instid0(VALU_DEP_1)
	v_lshlrev_b32_e32 v17, 2, v17
	ds_store_b32 v17, v18
	s_or_b32 exec_lo, exec_lo, s11
	s_and_saveexec_b32 s10, s8
	s_cbranch_execz .LBB582_192
.LBB582_255:
	v_sub_nc_u32_e32 v17, v39, v3
	s_delay_alu instid0(VALU_DEP_1)
	v_lshlrev_b32_e32 v17, 2, v17
	ds_store_b32 v17, v15
	s_or_b32 exec_lo, exec_lo, s10
	s_and_saveexec_b32 s8, s6
	s_cbranch_execz .LBB582_193
.LBB582_256:
	v_sub_nc_u32_e32 v15, v43, v3
	s_delay_alu instid0(VALU_DEP_1)
	v_lshlrev_b32_e32 v15, 2, v15
	ds_store_b32 v15, v16
	s_or_b32 exec_lo, exec_lo, s8
	s_and_saveexec_b32 s6, s9
	s_cbranch_execz .LBB582_194
.LBB582_257:
	v_sub_nc_u32_e32 v15, v47, v3
	s_delay_alu instid0(VALU_DEP_1)
	v_lshlrev_b32_e32 v15, 2, v15
	ds_store_b32 v15, v13
	s_or_b32 exec_lo, exec_lo, s6
	s_and_saveexec_b32 s6, s7
	s_cbranch_execz .LBB582_195
.LBB582_258:
	v_sub_nc_u32_e32 v13, v5, v3
	s_delay_alu instid0(VALU_DEP_1)
	v_lshlrev_b32_e32 v13, 2, v13
	ds_store_b32 v13, v14
	s_or_b32 exec_lo, exec_lo, s6
	s_and_saveexec_b32 s6, s5
	s_cbranch_execz .LBB582_196
.LBB582_259:
	v_sub_nc_u32_e32 v13, v7, v3
	s_delay_alu instid0(VALU_DEP_1)
	v_lshlrev_b32_e32 v13, 2, v13
	ds_store_b32 v13, v11
	s_or_b32 exec_lo, exec_lo, s6
	s_and_saveexec_b32 s5, s4
	s_cbranch_execz .LBB582_197
.LBB582_260:
	v_sub_nc_u32_e32 v11, v37, v3
	s_delay_alu instid0(VALU_DEP_1)
	v_lshlrev_b32_e32 v11, 2, v11
	ds_store_b32 v11, v12
	s_or_b32 exec_lo, exec_lo, s5
	s_and_saveexec_b32 s4, s3
	s_cbranch_execz .LBB582_198
.LBB582_261:
	v_sub_nc_u32_e32 v11, v61, v3
	s_delay_alu instid0(VALU_DEP_1)
	v_lshlrev_b32_e32 v11, 2, v11
	ds_store_b32 v11, v9
	s_or_b32 exec_lo, exec_lo, s4
	s_and_saveexec_b32 s3, s1
	s_cbranch_execnz .LBB582_199
	s_branch .LBB582_200
.LBB582_262:
	v_sub_nc_u32_e32 v14, v53, v4
	v_mov_b32_e32 v15, 0
	s_delay_alu instid0(VALU_DEP_1) | instskip(NEXT) | instid1(VALU_DEP_1)
	v_lshlrev_b64 v[14:15], 2, v[14:15]
	v_add_co_u32 v14, vcc_lo, v11, v14
	s_delay_alu instid0(VALU_DEP_2)
	v_add_co_ci_u32_e32 v15, vcc_lo, v12, v15, vcc_lo
	global_store_b32 v[14:15], v54, off
	s_or_b32 exec_lo, exec_lo, s18
	s_and_saveexec_b32 s18, s13
	s_cbranch_execz .LBB582_204
.LBB582_263:
	v_sub_nc_u32_e32 v14, v59, v4
	v_mov_b32_e32 v15, 0
	s_delay_alu instid0(VALU_DEP_1) | instskip(NEXT) | instid1(VALU_DEP_1)
	v_lshlrev_b64 v[14:15], 2, v[14:15]
	v_add_co_u32 v14, vcc_lo, v11, v14
	s_delay_alu instid0(VALU_DEP_2)
	v_add_co_ci_u32_e32 v15, vcc_lo, v12, v15, vcc_lo
	global_store_b32 v[14:15], v60, off
	s_or_b32 exec_lo, exec_lo, s18
	s_and_saveexec_b32 s18, s12
	s_cbranch_execz .LBB582_205
.LBB582_264:
	v_sub_nc_u32_e32 v14, v55, v4
	v_mov_b32_e32 v15, 0
	s_delay_alu instid0(VALU_DEP_1) | instskip(NEXT) | instid1(VALU_DEP_1)
	v_lshlrev_b64 v[14:15], 2, v[14:15]
	v_add_co_u32 v14, vcc_lo, v11, v14
	s_delay_alu instid0(VALU_DEP_2)
	v_add_co_ci_u32_e32 v15, vcc_lo, v12, v15, vcc_lo
	global_store_b32 v[14:15], v56, off
	s_or_b32 exec_lo, exec_lo, s18
	s_and_saveexec_b32 s18, s11
	s_cbranch_execz .LBB582_206
.LBB582_265:
	v_sub_nc_u32_e32 v14, v51, v4
	v_mov_b32_e32 v15, 0
	s_delay_alu instid0(VALU_DEP_1) | instskip(NEXT) | instid1(VALU_DEP_1)
	v_lshlrev_b64 v[14:15], 2, v[14:15]
	v_add_co_u32 v14, vcc_lo, v11, v14
	s_delay_alu instid0(VALU_DEP_2)
	v_add_co_ci_u32_e32 v15, vcc_lo, v12, v15, vcc_lo
	global_store_b32 v[14:15], v52, off
	s_or_b32 exec_lo, exec_lo, s18
	s_and_saveexec_b32 s18, s10
	s_cbranch_execz .LBB582_207
.LBB582_266:
	v_sub_nc_u32_e32 v14, v45, v4
	v_mov_b32_e32 v15, 0
	s_delay_alu instid0(VALU_DEP_1) | instskip(NEXT) | instid1(VALU_DEP_1)
	v_lshlrev_b64 v[14:15], 2, v[14:15]
	v_add_co_u32 v14, vcc_lo, v11, v14
	s_delay_alu instid0(VALU_DEP_2)
	v_add_co_ci_u32_e32 v15, vcc_lo, v12, v15, vcc_lo
	global_store_b32 v[14:15], v46, off
	s_or_b32 exec_lo, exec_lo, s18
	s_and_saveexec_b32 s18, s9
	s_cbranch_execz .LBB582_208
.LBB582_267:
	v_sub_nc_u32_e32 v14, v41, v4
	v_mov_b32_e32 v15, 0
	s_delay_alu instid0(VALU_DEP_1) | instskip(NEXT) | instid1(VALU_DEP_1)
	v_lshlrev_b64 v[14:15], 2, v[14:15]
	v_add_co_u32 v14, vcc_lo, v11, v14
	s_delay_alu instid0(VALU_DEP_2)
	v_add_co_ci_u32_e32 v15, vcc_lo, v12, v15, vcc_lo
	global_store_b32 v[14:15], v42, off
	s_or_b32 exec_lo, exec_lo, s18
	s_and_saveexec_b32 s18, s8
	s_cbranch_execz .LBB582_209
.LBB582_268:
	v_sub_nc_u32_e32 v14, v39, v4
	v_mov_b32_e32 v15, 0
	s_delay_alu instid0(VALU_DEP_1) | instskip(NEXT) | instid1(VALU_DEP_1)
	v_lshlrev_b64 v[14:15], 2, v[14:15]
	v_add_co_u32 v14, vcc_lo, v11, v14
	s_delay_alu instid0(VALU_DEP_2)
	v_add_co_ci_u32_e32 v15, vcc_lo, v12, v15, vcc_lo
	global_store_b32 v[14:15], v40, off
	s_or_b32 exec_lo, exec_lo, s18
	s_and_saveexec_b32 s18, s7
	s_cbranch_execz .LBB582_210
.LBB582_269:
	v_sub_nc_u32_e32 v14, v43, v4
	v_mov_b32_e32 v15, 0
	s_delay_alu instid0(VALU_DEP_1) | instskip(NEXT) | instid1(VALU_DEP_1)
	v_lshlrev_b64 v[14:15], 2, v[14:15]
	v_add_co_u32 v14, vcc_lo, v11, v14
	s_delay_alu instid0(VALU_DEP_2)
	v_add_co_ci_u32_e32 v15, vcc_lo, v12, v15, vcc_lo
	global_store_b32 v[14:15], v44, off
	s_or_b32 exec_lo, exec_lo, s18
	s_and_saveexec_b32 s18, s6
	s_cbranch_execz .LBB582_211
.LBB582_270:
	v_sub_nc_u32_e32 v14, v47, v4
	v_mov_b32_e32 v15, 0
	s_delay_alu instid0(VALU_DEP_1) | instskip(NEXT) | instid1(VALU_DEP_1)
	v_lshlrev_b64 v[14:15], 2, v[14:15]
	v_add_co_u32 v14, vcc_lo, v11, v14
	s_delay_alu instid0(VALU_DEP_2)
	v_add_co_ci_u32_e32 v15, vcc_lo, v12, v15, vcc_lo
	global_store_b32 v[14:15], v48, off
	s_or_b32 exec_lo, exec_lo, s18
	s_and_saveexec_b32 s18, s5
	s_cbranch_execz .LBB582_212
.LBB582_271:
	v_sub_nc_u32_e32 v14, v5, v4
	v_mov_b32_e32 v15, 0
	s_delay_alu instid0(VALU_DEP_1) | instskip(NEXT) | instid1(VALU_DEP_1)
	v_lshlrev_b64 v[14:15], 2, v[14:15]
	v_add_co_u32 v14, vcc_lo, v11, v14
	s_delay_alu instid0(VALU_DEP_2)
	v_add_co_ci_u32_e32 v15, vcc_lo, v12, v15, vcc_lo
	global_store_b32 v[14:15], v6, off
	s_or_b32 exec_lo, exec_lo, s18
	s_and_saveexec_b32 s18, s4
	s_cbranch_execz .LBB582_213
.LBB582_272:
	v_sub_nc_u32_e32 v14, v7, v4
	v_mov_b32_e32 v15, 0
	s_delay_alu instid0(VALU_DEP_1) | instskip(NEXT) | instid1(VALU_DEP_1)
	v_lshlrev_b64 v[14:15], 2, v[14:15]
	v_add_co_u32 v14, vcc_lo, v11, v14
	s_delay_alu instid0(VALU_DEP_2)
	v_add_co_ci_u32_e32 v15, vcc_lo, v12, v15, vcc_lo
	global_store_b32 v[14:15], v8, off
	s_or_b32 exec_lo, exec_lo, s18
	s_and_saveexec_b32 s18, s3
	s_cbranch_execz .LBB582_214
.LBB582_273:
	v_sub_nc_u32_e32 v14, v37, v4
	v_mov_b32_e32 v15, 0
	s_delay_alu instid0(VALU_DEP_1) | instskip(NEXT) | instid1(VALU_DEP_1)
	v_lshlrev_b64 v[14:15], 2, v[14:15]
	v_add_co_u32 v14, vcc_lo, v11, v14
	s_delay_alu instid0(VALU_DEP_2)
	v_add_co_ci_u32_e32 v15, vcc_lo, v12, v15, vcc_lo
	global_store_b32 v[14:15], v38, off
	s_or_b32 exec_lo, exec_lo, s18
	s_and_saveexec_b32 s18, s2
	s_cbranch_execz .LBB582_215
.LBB582_274:
	v_sub_nc_u32_e32 v14, v61, v4
	v_mov_b32_e32 v15, 0
	s_delay_alu instid0(VALU_DEP_1) | instskip(NEXT) | instid1(VALU_DEP_1)
	v_lshlrev_b64 v[14:15], 2, v[14:15]
	v_add_co_u32 v14, vcc_lo, v11, v14
	s_delay_alu instid0(VALU_DEP_2)
	v_add_co_ci_u32_e32 v15, vcc_lo, v12, v15, vcc_lo
	global_store_b32 v[14:15], v62, off
	s_or_b32 exec_lo, exec_lo, s18
	s_and_saveexec_b32 s18, s1
	s_cbranch_execnz .LBB582_216
	s_branch .LBB582_217
.LBB582_275:
	v_sub_nc_u32_e32 v13, v53, v4
	s_delay_alu instid0(VALU_DEP_1)
	v_lshlrev_b32_e32 v13, 2, v13
	ds_store_b32 v13, v54
	s_or_b32 exec_lo, exec_lo, s18
	s_and_saveexec_b32 s14, s13
	s_cbranch_execz .LBB582_221
.LBB582_276:
	v_sub_nc_u32_e32 v13, v59, v4
	s_delay_alu instid0(VALU_DEP_1)
	v_lshlrev_b32_e32 v13, 2, v13
	ds_store_b32 v13, v60
	s_or_b32 exec_lo, exec_lo, s14
	s_and_saveexec_b32 s13, s12
	s_cbranch_execz .LBB582_222
.LBB582_277:
	v_sub_nc_u32_e32 v13, v55, v4
	s_delay_alu instid0(VALU_DEP_1)
	v_lshlrev_b32_e32 v13, 2, v13
	ds_store_b32 v13, v56
	s_or_b32 exec_lo, exec_lo, s13
	s_and_saveexec_b32 s12, s11
	s_cbranch_execz .LBB582_223
.LBB582_278:
	v_sub_nc_u32_e32 v13, v51, v4
	s_delay_alu instid0(VALU_DEP_1)
	v_lshlrev_b32_e32 v13, 2, v13
	ds_store_b32 v13, v52
	s_or_b32 exec_lo, exec_lo, s12
	s_and_saveexec_b32 s11, s10
	s_cbranch_execz .LBB582_224
.LBB582_279:
	v_sub_nc_u32_e32 v13, v45, v4
	s_delay_alu instid0(VALU_DEP_1)
	v_lshlrev_b32_e32 v13, 2, v13
	ds_store_b32 v13, v46
	s_or_b32 exec_lo, exec_lo, s11
	s_and_saveexec_b32 s10, s9
	s_cbranch_execz .LBB582_225
.LBB582_280:
	v_sub_nc_u32_e32 v13, v41, v4
	s_delay_alu instid0(VALU_DEP_1)
	v_lshlrev_b32_e32 v13, 2, v13
	ds_store_b32 v13, v42
	s_or_b32 exec_lo, exec_lo, s10
	s_and_saveexec_b32 s9, s8
	s_cbranch_execz .LBB582_226
.LBB582_281:
	v_sub_nc_u32_e32 v13, v39, v4
	s_delay_alu instid0(VALU_DEP_1)
	v_lshlrev_b32_e32 v13, 2, v13
	ds_store_b32 v13, v40
	s_or_b32 exec_lo, exec_lo, s9
	s_and_saveexec_b32 s8, s7
	s_cbranch_execz .LBB582_227
.LBB582_282:
	v_sub_nc_u32_e32 v13, v43, v4
	s_delay_alu instid0(VALU_DEP_1)
	v_lshlrev_b32_e32 v13, 2, v13
	ds_store_b32 v13, v44
	s_or_b32 exec_lo, exec_lo, s8
	s_and_saveexec_b32 s7, s6
	s_cbranch_execz .LBB582_228
.LBB582_283:
	v_sub_nc_u32_e32 v13, v47, v4
	s_delay_alu instid0(VALU_DEP_1)
	v_lshlrev_b32_e32 v13, 2, v13
	ds_store_b32 v13, v48
	s_or_b32 exec_lo, exec_lo, s7
	s_and_saveexec_b32 s6, s5
	s_cbranch_execz .LBB582_229
.LBB582_284:
	v_sub_nc_u32_e32 v5, v5, v4
	s_delay_alu instid0(VALU_DEP_1)
	v_lshlrev_b32_e32 v5, 2, v5
	ds_store_b32 v5, v6
	s_or_b32 exec_lo, exec_lo, s6
	s_and_saveexec_b32 s5, s4
	s_cbranch_execz .LBB582_230
.LBB582_285:
	v_sub_nc_u32_e32 v5, v7, v4
	s_delay_alu instid0(VALU_DEP_1)
	v_lshlrev_b32_e32 v5, 2, v5
	ds_store_b32 v5, v8
	s_or_b32 exec_lo, exec_lo, s5
	s_and_saveexec_b32 s4, s3
	s_cbranch_execz .LBB582_231
.LBB582_286:
	v_sub_nc_u32_e32 v5, v37, v4
	s_delay_alu instid0(VALU_DEP_1)
	v_lshlrev_b32_e32 v5, 2, v5
	ds_store_b32 v5, v38
	s_or_b32 exec_lo, exec_lo, s4
	s_and_saveexec_b32 s3, s2
	s_cbranch_execz .LBB582_232
.LBB582_287:
	v_sub_nc_u32_e32 v5, v61, v4
	s_delay_alu instid0(VALU_DEP_1)
	v_lshlrev_b32_e32 v5, 2, v5
	ds_store_b32 v5, v62
	s_or_b32 exec_lo, exec_lo, s3
	s_and_saveexec_b32 s2, s1
	s_cbranch_execnz .LBB582_233
	s_branch .LBB582_234
	.section	.rodata,"a",@progbits
	.p2align	6, 0x0
	.amdhsa_kernel _ZN7rocprim17ROCPRIM_400000_NS6detail17trampoline_kernelINS0_14default_configENS1_29reduce_by_key_config_selectorIiiN6thrust23THRUST_200600_302600_NS4plusIiEEEEZZNS1_33reduce_by_key_impl_wrapped_configILNS1_25lookback_scan_determinismE0ES3_S9_NS6_6detail15normal_iteratorINS6_10device_ptrIiEEEESG_SG_SG_PmS8_NS6_8equal_toIiEEEE10hipError_tPvRmT2_T3_mT4_T5_T6_T7_T8_P12ihipStream_tbENKUlT_T0_E_clISt17integral_constantIbLb0EES10_IbLb1EEEEDaSW_SX_EUlSW_E_NS1_11comp_targetILNS1_3genE9ELNS1_11target_archE1100ELNS1_3gpuE3ELNS1_3repE0EEENS1_30default_config_static_selectorELNS0_4arch9wavefront6targetE0EEEvT1_
		.amdhsa_group_segment_fixed_size 15360
		.amdhsa_private_segment_fixed_size 0
		.amdhsa_kernarg_size 120
		.amdhsa_user_sgpr_count 15
		.amdhsa_user_sgpr_dispatch_ptr 0
		.amdhsa_user_sgpr_queue_ptr 0
		.amdhsa_user_sgpr_kernarg_segment_ptr 1
		.amdhsa_user_sgpr_dispatch_id 0
		.amdhsa_user_sgpr_private_segment_size 0
		.amdhsa_wavefront_size32 1
		.amdhsa_uses_dynamic_stack 0
		.amdhsa_enable_private_segment 0
		.amdhsa_system_sgpr_workgroup_id_x 1
		.amdhsa_system_sgpr_workgroup_id_y 0
		.amdhsa_system_sgpr_workgroup_id_z 0
		.amdhsa_system_sgpr_workgroup_info 0
		.amdhsa_system_vgpr_workitem_id 0
		.amdhsa_next_free_vgpr 86
		.amdhsa_next_free_sgpr 44
		.amdhsa_reserve_vcc 1
		.amdhsa_float_round_mode_32 0
		.amdhsa_float_round_mode_16_64 0
		.amdhsa_float_denorm_mode_32 3
		.amdhsa_float_denorm_mode_16_64 3
		.amdhsa_dx10_clamp 1
		.amdhsa_ieee_mode 1
		.amdhsa_fp16_overflow 0
		.amdhsa_workgroup_processor_mode 1
		.amdhsa_memory_ordered 1
		.amdhsa_forward_progress 0
		.amdhsa_shared_vgpr_count 0
		.amdhsa_exception_fp_ieee_invalid_op 0
		.amdhsa_exception_fp_denorm_src 0
		.amdhsa_exception_fp_ieee_div_zero 0
		.amdhsa_exception_fp_ieee_overflow 0
		.amdhsa_exception_fp_ieee_underflow 0
		.amdhsa_exception_fp_ieee_inexact 0
		.amdhsa_exception_int_div_zero 0
	.end_amdhsa_kernel
	.section	.text._ZN7rocprim17ROCPRIM_400000_NS6detail17trampoline_kernelINS0_14default_configENS1_29reduce_by_key_config_selectorIiiN6thrust23THRUST_200600_302600_NS4plusIiEEEEZZNS1_33reduce_by_key_impl_wrapped_configILNS1_25lookback_scan_determinismE0ES3_S9_NS6_6detail15normal_iteratorINS6_10device_ptrIiEEEESG_SG_SG_PmS8_NS6_8equal_toIiEEEE10hipError_tPvRmT2_T3_mT4_T5_T6_T7_T8_P12ihipStream_tbENKUlT_T0_E_clISt17integral_constantIbLb0EES10_IbLb1EEEEDaSW_SX_EUlSW_E_NS1_11comp_targetILNS1_3genE9ELNS1_11target_archE1100ELNS1_3gpuE3ELNS1_3repE0EEENS1_30default_config_static_selectorELNS0_4arch9wavefront6targetE0EEEvT1_,"axG",@progbits,_ZN7rocprim17ROCPRIM_400000_NS6detail17trampoline_kernelINS0_14default_configENS1_29reduce_by_key_config_selectorIiiN6thrust23THRUST_200600_302600_NS4plusIiEEEEZZNS1_33reduce_by_key_impl_wrapped_configILNS1_25lookback_scan_determinismE0ES3_S9_NS6_6detail15normal_iteratorINS6_10device_ptrIiEEEESG_SG_SG_PmS8_NS6_8equal_toIiEEEE10hipError_tPvRmT2_T3_mT4_T5_T6_T7_T8_P12ihipStream_tbENKUlT_T0_E_clISt17integral_constantIbLb0EES10_IbLb1EEEEDaSW_SX_EUlSW_E_NS1_11comp_targetILNS1_3genE9ELNS1_11target_archE1100ELNS1_3gpuE3ELNS1_3repE0EEENS1_30default_config_static_selectorELNS0_4arch9wavefront6targetE0EEEvT1_,comdat
.Lfunc_end582:
	.size	_ZN7rocprim17ROCPRIM_400000_NS6detail17trampoline_kernelINS0_14default_configENS1_29reduce_by_key_config_selectorIiiN6thrust23THRUST_200600_302600_NS4plusIiEEEEZZNS1_33reduce_by_key_impl_wrapped_configILNS1_25lookback_scan_determinismE0ES3_S9_NS6_6detail15normal_iteratorINS6_10device_ptrIiEEEESG_SG_SG_PmS8_NS6_8equal_toIiEEEE10hipError_tPvRmT2_T3_mT4_T5_T6_T7_T8_P12ihipStream_tbENKUlT_T0_E_clISt17integral_constantIbLb0EES10_IbLb1EEEEDaSW_SX_EUlSW_E_NS1_11comp_targetILNS1_3genE9ELNS1_11target_archE1100ELNS1_3gpuE3ELNS1_3repE0EEENS1_30default_config_static_selectorELNS0_4arch9wavefront6targetE0EEEvT1_, .Lfunc_end582-_ZN7rocprim17ROCPRIM_400000_NS6detail17trampoline_kernelINS0_14default_configENS1_29reduce_by_key_config_selectorIiiN6thrust23THRUST_200600_302600_NS4plusIiEEEEZZNS1_33reduce_by_key_impl_wrapped_configILNS1_25lookback_scan_determinismE0ES3_S9_NS6_6detail15normal_iteratorINS6_10device_ptrIiEEEESG_SG_SG_PmS8_NS6_8equal_toIiEEEE10hipError_tPvRmT2_T3_mT4_T5_T6_T7_T8_P12ihipStream_tbENKUlT_T0_E_clISt17integral_constantIbLb0EES10_IbLb1EEEEDaSW_SX_EUlSW_E_NS1_11comp_targetILNS1_3genE9ELNS1_11target_archE1100ELNS1_3gpuE3ELNS1_3repE0EEENS1_30default_config_static_selectorELNS0_4arch9wavefront6targetE0EEEvT1_
                                        ; -- End function
	.section	.AMDGPU.csdata,"",@progbits
; Kernel info:
; codeLenInByte = 17132
; NumSgprs: 46
; NumVgprs: 86
; ScratchSize: 0
; MemoryBound: 0
; FloatMode: 240
; IeeeMode: 1
; LDSByteSize: 15360 bytes/workgroup (compile time only)
; SGPRBlocks: 5
; VGPRBlocks: 10
; NumSGPRsForWavesPerEU: 46
; NumVGPRsForWavesPerEU: 86
; Occupancy: 16
; WaveLimiterHint : 1
; COMPUTE_PGM_RSRC2:SCRATCH_EN: 0
; COMPUTE_PGM_RSRC2:USER_SGPR: 15
; COMPUTE_PGM_RSRC2:TRAP_HANDLER: 0
; COMPUTE_PGM_RSRC2:TGID_X_EN: 1
; COMPUTE_PGM_RSRC2:TGID_Y_EN: 0
; COMPUTE_PGM_RSRC2:TGID_Z_EN: 0
; COMPUTE_PGM_RSRC2:TIDIG_COMP_CNT: 0
	.section	.text._ZN7rocprim17ROCPRIM_400000_NS6detail17trampoline_kernelINS0_14default_configENS1_29reduce_by_key_config_selectorIiiN6thrust23THRUST_200600_302600_NS4plusIiEEEEZZNS1_33reduce_by_key_impl_wrapped_configILNS1_25lookback_scan_determinismE0ES3_S9_NS6_6detail15normal_iteratorINS6_10device_ptrIiEEEESG_SG_SG_PmS8_NS6_8equal_toIiEEEE10hipError_tPvRmT2_T3_mT4_T5_T6_T7_T8_P12ihipStream_tbENKUlT_T0_E_clISt17integral_constantIbLb0EES10_IbLb1EEEEDaSW_SX_EUlSW_E_NS1_11comp_targetILNS1_3genE8ELNS1_11target_archE1030ELNS1_3gpuE2ELNS1_3repE0EEENS1_30default_config_static_selectorELNS0_4arch9wavefront6targetE0EEEvT1_,"axG",@progbits,_ZN7rocprim17ROCPRIM_400000_NS6detail17trampoline_kernelINS0_14default_configENS1_29reduce_by_key_config_selectorIiiN6thrust23THRUST_200600_302600_NS4plusIiEEEEZZNS1_33reduce_by_key_impl_wrapped_configILNS1_25lookback_scan_determinismE0ES3_S9_NS6_6detail15normal_iteratorINS6_10device_ptrIiEEEESG_SG_SG_PmS8_NS6_8equal_toIiEEEE10hipError_tPvRmT2_T3_mT4_T5_T6_T7_T8_P12ihipStream_tbENKUlT_T0_E_clISt17integral_constantIbLb0EES10_IbLb1EEEEDaSW_SX_EUlSW_E_NS1_11comp_targetILNS1_3genE8ELNS1_11target_archE1030ELNS1_3gpuE2ELNS1_3repE0EEENS1_30default_config_static_selectorELNS0_4arch9wavefront6targetE0EEEvT1_,comdat
	.protected	_ZN7rocprim17ROCPRIM_400000_NS6detail17trampoline_kernelINS0_14default_configENS1_29reduce_by_key_config_selectorIiiN6thrust23THRUST_200600_302600_NS4plusIiEEEEZZNS1_33reduce_by_key_impl_wrapped_configILNS1_25lookback_scan_determinismE0ES3_S9_NS6_6detail15normal_iteratorINS6_10device_ptrIiEEEESG_SG_SG_PmS8_NS6_8equal_toIiEEEE10hipError_tPvRmT2_T3_mT4_T5_T6_T7_T8_P12ihipStream_tbENKUlT_T0_E_clISt17integral_constantIbLb0EES10_IbLb1EEEEDaSW_SX_EUlSW_E_NS1_11comp_targetILNS1_3genE8ELNS1_11target_archE1030ELNS1_3gpuE2ELNS1_3repE0EEENS1_30default_config_static_selectorELNS0_4arch9wavefront6targetE0EEEvT1_ ; -- Begin function _ZN7rocprim17ROCPRIM_400000_NS6detail17trampoline_kernelINS0_14default_configENS1_29reduce_by_key_config_selectorIiiN6thrust23THRUST_200600_302600_NS4plusIiEEEEZZNS1_33reduce_by_key_impl_wrapped_configILNS1_25lookback_scan_determinismE0ES3_S9_NS6_6detail15normal_iteratorINS6_10device_ptrIiEEEESG_SG_SG_PmS8_NS6_8equal_toIiEEEE10hipError_tPvRmT2_T3_mT4_T5_T6_T7_T8_P12ihipStream_tbENKUlT_T0_E_clISt17integral_constantIbLb0EES10_IbLb1EEEEDaSW_SX_EUlSW_E_NS1_11comp_targetILNS1_3genE8ELNS1_11target_archE1030ELNS1_3gpuE2ELNS1_3repE0EEENS1_30default_config_static_selectorELNS0_4arch9wavefront6targetE0EEEvT1_
	.globl	_ZN7rocprim17ROCPRIM_400000_NS6detail17trampoline_kernelINS0_14default_configENS1_29reduce_by_key_config_selectorIiiN6thrust23THRUST_200600_302600_NS4plusIiEEEEZZNS1_33reduce_by_key_impl_wrapped_configILNS1_25lookback_scan_determinismE0ES3_S9_NS6_6detail15normal_iteratorINS6_10device_ptrIiEEEESG_SG_SG_PmS8_NS6_8equal_toIiEEEE10hipError_tPvRmT2_T3_mT4_T5_T6_T7_T8_P12ihipStream_tbENKUlT_T0_E_clISt17integral_constantIbLb0EES10_IbLb1EEEEDaSW_SX_EUlSW_E_NS1_11comp_targetILNS1_3genE8ELNS1_11target_archE1030ELNS1_3gpuE2ELNS1_3repE0EEENS1_30default_config_static_selectorELNS0_4arch9wavefront6targetE0EEEvT1_
	.p2align	8
	.type	_ZN7rocprim17ROCPRIM_400000_NS6detail17trampoline_kernelINS0_14default_configENS1_29reduce_by_key_config_selectorIiiN6thrust23THRUST_200600_302600_NS4plusIiEEEEZZNS1_33reduce_by_key_impl_wrapped_configILNS1_25lookback_scan_determinismE0ES3_S9_NS6_6detail15normal_iteratorINS6_10device_ptrIiEEEESG_SG_SG_PmS8_NS6_8equal_toIiEEEE10hipError_tPvRmT2_T3_mT4_T5_T6_T7_T8_P12ihipStream_tbENKUlT_T0_E_clISt17integral_constantIbLb0EES10_IbLb1EEEEDaSW_SX_EUlSW_E_NS1_11comp_targetILNS1_3genE8ELNS1_11target_archE1030ELNS1_3gpuE2ELNS1_3repE0EEENS1_30default_config_static_selectorELNS0_4arch9wavefront6targetE0EEEvT1_,@function
_ZN7rocprim17ROCPRIM_400000_NS6detail17trampoline_kernelINS0_14default_configENS1_29reduce_by_key_config_selectorIiiN6thrust23THRUST_200600_302600_NS4plusIiEEEEZZNS1_33reduce_by_key_impl_wrapped_configILNS1_25lookback_scan_determinismE0ES3_S9_NS6_6detail15normal_iteratorINS6_10device_ptrIiEEEESG_SG_SG_PmS8_NS6_8equal_toIiEEEE10hipError_tPvRmT2_T3_mT4_T5_T6_T7_T8_P12ihipStream_tbENKUlT_T0_E_clISt17integral_constantIbLb0EES10_IbLb1EEEEDaSW_SX_EUlSW_E_NS1_11comp_targetILNS1_3genE8ELNS1_11target_archE1030ELNS1_3gpuE2ELNS1_3repE0EEENS1_30default_config_static_selectorELNS0_4arch9wavefront6targetE0EEEvT1_: ; @_ZN7rocprim17ROCPRIM_400000_NS6detail17trampoline_kernelINS0_14default_configENS1_29reduce_by_key_config_selectorIiiN6thrust23THRUST_200600_302600_NS4plusIiEEEEZZNS1_33reduce_by_key_impl_wrapped_configILNS1_25lookback_scan_determinismE0ES3_S9_NS6_6detail15normal_iteratorINS6_10device_ptrIiEEEESG_SG_SG_PmS8_NS6_8equal_toIiEEEE10hipError_tPvRmT2_T3_mT4_T5_T6_T7_T8_P12ihipStream_tbENKUlT_T0_E_clISt17integral_constantIbLb0EES10_IbLb1EEEEDaSW_SX_EUlSW_E_NS1_11comp_targetILNS1_3genE8ELNS1_11target_archE1030ELNS1_3gpuE2ELNS1_3repE0EEENS1_30default_config_static_selectorELNS0_4arch9wavefront6targetE0EEEvT1_
; %bb.0:
	.section	.rodata,"a",@progbits
	.p2align	6, 0x0
	.amdhsa_kernel _ZN7rocprim17ROCPRIM_400000_NS6detail17trampoline_kernelINS0_14default_configENS1_29reduce_by_key_config_selectorIiiN6thrust23THRUST_200600_302600_NS4plusIiEEEEZZNS1_33reduce_by_key_impl_wrapped_configILNS1_25lookback_scan_determinismE0ES3_S9_NS6_6detail15normal_iteratorINS6_10device_ptrIiEEEESG_SG_SG_PmS8_NS6_8equal_toIiEEEE10hipError_tPvRmT2_T3_mT4_T5_T6_T7_T8_P12ihipStream_tbENKUlT_T0_E_clISt17integral_constantIbLb0EES10_IbLb1EEEEDaSW_SX_EUlSW_E_NS1_11comp_targetILNS1_3genE8ELNS1_11target_archE1030ELNS1_3gpuE2ELNS1_3repE0EEENS1_30default_config_static_selectorELNS0_4arch9wavefront6targetE0EEEvT1_
		.amdhsa_group_segment_fixed_size 0
		.amdhsa_private_segment_fixed_size 0
		.amdhsa_kernarg_size 120
		.amdhsa_user_sgpr_count 15
		.amdhsa_user_sgpr_dispatch_ptr 0
		.amdhsa_user_sgpr_queue_ptr 0
		.amdhsa_user_sgpr_kernarg_segment_ptr 1
		.amdhsa_user_sgpr_dispatch_id 0
		.amdhsa_user_sgpr_private_segment_size 0
		.amdhsa_wavefront_size32 1
		.amdhsa_uses_dynamic_stack 0
		.amdhsa_enable_private_segment 0
		.amdhsa_system_sgpr_workgroup_id_x 1
		.amdhsa_system_sgpr_workgroup_id_y 0
		.amdhsa_system_sgpr_workgroup_id_z 0
		.amdhsa_system_sgpr_workgroup_info 0
		.amdhsa_system_vgpr_workitem_id 0
		.amdhsa_next_free_vgpr 1
		.amdhsa_next_free_sgpr 1
		.amdhsa_reserve_vcc 0
		.amdhsa_float_round_mode_32 0
		.amdhsa_float_round_mode_16_64 0
		.amdhsa_float_denorm_mode_32 3
		.amdhsa_float_denorm_mode_16_64 3
		.amdhsa_dx10_clamp 1
		.amdhsa_ieee_mode 1
		.amdhsa_fp16_overflow 0
		.amdhsa_workgroup_processor_mode 1
		.amdhsa_memory_ordered 1
		.amdhsa_forward_progress 0
		.amdhsa_shared_vgpr_count 0
		.amdhsa_exception_fp_ieee_invalid_op 0
		.amdhsa_exception_fp_denorm_src 0
		.amdhsa_exception_fp_ieee_div_zero 0
		.amdhsa_exception_fp_ieee_overflow 0
		.amdhsa_exception_fp_ieee_underflow 0
		.amdhsa_exception_fp_ieee_inexact 0
		.amdhsa_exception_int_div_zero 0
	.end_amdhsa_kernel
	.section	.text._ZN7rocprim17ROCPRIM_400000_NS6detail17trampoline_kernelINS0_14default_configENS1_29reduce_by_key_config_selectorIiiN6thrust23THRUST_200600_302600_NS4plusIiEEEEZZNS1_33reduce_by_key_impl_wrapped_configILNS1_25lookback_scan_determinismE0ES3_S9_NS6_6detail15normal_iteratorINS6_10device_ptrIiEEEESG_SG_SG_PmS8_NS6_8equal_toIiEEEE10hipError_tPvRmT2_T3_mT4_T5_T6_T7_T8_P12ihipStream_tbENKUlT_T0_E_clISt17integral_constantIbLb0EES10_IbLb1EEEEDaSW_SX_EUlSW_E_NS1_11comp_targetILNS1_3genE8ELNS1_11target_archE1030ELNS1_3gpuE2ELNS1_3repE0EEENS1_30default_config_static_selectorELNS0_4arch9wavefront6targetE0EEEvT1_,"axG",@progbits,_ZN7rocprim17ROCPRIM_400000_NS6detail17trampoline_kernelINS0_14default_configENS1_29reduce_by_key_config_selectorIiiN6thrust23THRUST_200600_302600_NS4plusIiEEEEZZNS1_33reduce_by_key_impl_wrapped_configILNS1_25lookback_scan_determinismE0ES3_S9_NS6_6detail15normal_iteratorINS6_10device_ptrIiEEEESG_SG_SG_PmS8_NS6_8equal_toIiEEEE10hipError_tPvRmT2_T3_mT4_T5_T6_T7_T8_P12ihipStream_tbENKUlT_T0_E_clISt17integral_constantIbLb0EES10_IbLb1EEEEDaSW_SX_EUlSW_E_NS1_11comp_targetILNS1_3genE8ELNS1_11target_archE1030ELNS1_3gpuE2ELNS1_3repE0EEENS1_30default_config_static_selectorELNS0_4arch9wavefront6targetE0EEEvT1_,comdat
.Lfunc_end583:
	.size	_ZN7rocprim17ROCPRIM_400000_NS6detail17trampoline_kernelINS0_14default_configENS1_29reduce_by_key_config_selectorIiiN6thrust23THRUST_200600_302600_NS4plusIiEEEEZZNS1_33reduce_by_key_impl_wrapped_configILNS1_25lookback_scan_determinismE0ES3_S9_NS6_6detail15normal_iteratorINS6_10device_ptrIiEEEESG_SG_SG_PmS8_NS6_8equal_toIiEEEE10hipError_tPvRmT2_T3_mT4_T5_T6_T7_T8_P12ihipStream_tbENKUlT_T0_E_clISt17integral_constantIbLb0EES10_IbLb1EEEEDaSW_SX_EUlSW_E_NS1_11comp_targetILNS1_3genE8ELNS1_11target_archE1030ELNS1_3gpuE2ELNS1_3repE0EEENS1_30default_config_static_selectorELNS0_4arch9wavefront6targetE0EEEvT1_, .Lfunc_end583-_ZN7rocprim17ROCPRIM_400000_NS6detail17trampoline_kernelINS0_14default_configENS1_29reduce_by_key_config_selectorIiiN6thrust23THRUST_200600_302600_NS4plusIiEEEEZZNS1_33reduce_by_key_impl_wrapped_configILNS1_25lookback_scan_determinismE0ES3_S9_NS6_6detail15normal_iteratorINS6_10device_ptrIiEEEESG_SG_SG_PmS8_NS6_8equal_toIiEEEE10hipError_tPvRmT2_T3_mT4_T5_T6_T7_T8_P12ihipStream_tbENKUlT_T0_E_clISt17integral_constantIbLb0EES10_IbLb1EEEEDaSW_SX_EUlSW_E_NS1_11comp_targetILNS1_3genE8ELNS1_11target_archE1030ELNS1_3gpuE2ELNS1_3repE0EEENS1_30default_config_static_selectorELNS0_4arch9wavefront6targetE0EEEvT1_
                                        ; -- End function
	.section	.AMDGPU.csdata,"",@progbits
; Kernel info:
; codeLenInByte = 0
; NumSgprs: 0
; NumVgprs: 0
; ScratchSize: 0
; MemoryBound: 0
; FloatMode: 240
; IeeeMode: 1
; LDSByteSize: 0 bytes/workgroup (compile time only)
; SGPRBlocks: 0
; VGPRBlocks: 0
; NumSGPRsForWavesPerEU: 1
; NumVGPRsForWavesPerEU: 1
; Occupancy: 16
; WaveLimiterHint : 0
; COMPUTE_PGM_RSRC2:SCRATCH_EN: 0
; COMPUTE_PGM_RSRC2:USER_SGPR: 15
; COMPUTE_PGM_RSRC2:TRAP_HANDLER: 0
; COMPUTE_PGM_RSRC2:TGID_X_EN: 1
; COMPUTE_PGM_RSRC2:TGID_Y_EN: 0
; COMPUTE_PGM_RSRC2:TGID_Z_EN: 0
; COMPUTE_PGM_RSRC2:TIDIG_COMP_CNT: 0
	.section	.text._ZN7rocprim17ROCPRIM_400000_NS6detail17trampoline_kernelINS0_14default_configENS1_29reduce_by_key_config_selectorIiiN6thrust23THRUST_200600_302600_NS4plusIiEEEEZZNS1_33reduce_by_key_impl_wrapped_configILNS1_25lookback_scan_determinismE0ES3_S9_NS6_6detail15normal_iteratorINS6_10device_ptrIiEEEESG_SG_SG_PmS8_22is_equal_div_10_reduceIiEEE10hipError_tPvRmT2_T3_mT4_T5_T6_T7_T8_P12ihipStream_tbENKUlT_T0_E_clISt17integral_constantIbLb0EES11_EEDaSW_SX_EUlSW_E_NS1_11comp_targetILNS1_3genE0ELNS1_11target_archE4294967295ELNS1_3gpuE0ELNS1_3repE0EEENS1_30default_config_static_selectorELNS0_4arch9wavefront6targetE0EEEvT1_,"axG",@progbits,_ZN7rocprim17ROCPRIM_400000_NS6detail17trampoline_kernelINS0_14default_configENS1_29reduce_by_key_config_selectorIiiN6thrust23THRUST_200600_302600_NS4plusIiEEEEZZNS1_33reduce_by_key_impl_wrapped_configILNS1_25lookback_scan_determinismE0ES3_S9_NS6_6detail15normal_iteratorINS6_10device_ptrIiEEEESG_SG_SG_PmS8_22is_equal_div_10_reduceIiEEE10hipError_tPvRmT2_T3_mT4_T5_T6_T7_T8_P12ihipStream_tbENKUlT_T0_E_clISt17integral_constantIbLb0EES11_EEDaSW_SX_EUlSW_E_NS1_11comp_targetILNS1_3genE0ELNS1_11target_archE4294967295ELNS1_3gpuE0ELNS1_3repE0EEENS1_30default_config_static_selectorELNS0_4arch9wavefront6targetE0EEEvT1_,comdat
	.protected	_ZN7rocprim17ROCPRIM_400000_NS6detail17trampoline_kernelINS0_14default_configENS1_29reduce_by_key_config_selectorIiiN6thrust23THRUST_200600_302600_NS4plusIiEEEEZZNS1_33reduce_by_key_impl_wrapped_configILNS1_25lookback_scan_determinismE0ES3_S9_NS6_6detail15normal_iteratorINS6_10device_ptrIiEEEESG_SG_SG_PmS8_22is_equal_div_10_reduceIiEEE10hipError_tPvRmT2_T3_mT4_T5_T6_T7_T8_P12ihipStream_tbENKUlT_T0_E_clISt17integral_constantIbLb0EES11_EEDaSW_SX_EUlSW_E_NS1_11comp_targetILNS1_3genE0ELNS1_11target_archE4294967295ELNS1_3gpuE0ELNS1_3repE0EEENS1_30default_config_static_selectorELNS0_4arch9wavefront6targetE0EEEvT1_ ; -- Begin function _ZN7rocprim17ROCPRIM_400000_NS6detail17trampoline_kernelINS0_14default_configENS1_29reduce_by_key_config_selectorIiiN6thrust23THRUST_200600_302600_NS4plusIiEEEEZZNS1_33reduce_by_key_impl_wrapped_configILNS1_25lookback_scan_determinismE0ES3_S9_NS6_6detail15normal_iteratorINS6_10device_ptrIiEEEESG_SG_SG_PmS8_22is_equal_div_10_reduceIiEEE10hipError_tPvRmT2_T3_mT4_T5_T6_T7_T8_P12ihipStream_tbENKUlT_T0_E_clISt17integral_constantIbLb0EES11_EEDaSW_SX_EUlSW_E_NS1_11comp_targetILNS1_3genE0ELNS1_11target_archE4294967295ELNS1_3gpuE0ELNS1_3repE0EEENS1_30default_config_static_selectorELNS0_4arch9wavefront6targetE0EEEvT1_
	.globl	_ZN7rocprim17ROCPRIM_400000_NS6detail17trampoline_kernelINS0_14default_configENS1_29reduce_by_key_config_selectorIiiN6thrust23THRUST_200600_302600_NS4plusIiEEEEZZNS1_33reduce_by_key_impl_wrapped_configILNS1_25lookback_scan_determinismE0ES3_S9_NS6_6detail15normal_iteratorINS6_10device_ptrIiEEEESG_SG_SG_PmS8_22is_equal_div_10_reduceIiEEE10hipError_tPvRmT2_T3_mT4_T5_T6_T7_T8_P12ihipStream_tbENKUlT_T0_E_clISt17integral_constantIbLb0EES11_EEDaSW_SX_EUlSW_E_NS1_11comp_targetILNS1_3genE0ELNS1_11target_archE4294967295ELNS1_3gpuE0ELNS1_3repE0EEENS1_30default_config_static_selectorELNS0_4arch9wavefront6targetE0EEEvT1_
	.p2align	8
	.type	_ZN7rocprim17ROCPRIM_400000_NS6detail17trampoline_kernelINS0_14default_configENS1_29reduce_by_key_config_selectorIiiN6thrust23THRUST_200600_302600_NS4plusIiEEEEZZNS1_33reduce_by_key_impl_wrapped_configILNS1_25lookback_scan_determinismE0ES3_S9_NS6_6detail15normal_iteratorINS6_10device_ptrIiEEEESG_SG_SG_PmS8_22is_equal_div_10_reduceIiEEE10hipError_tPvRmT2_T3_mT4_T5_T6_T7_T8_P12ihipStream_tbENKUlT_T0_E_clISt17integral_constantIbLb0EES11_EEDaSW_SX_EUlSW_E_NS1_11comp_targetILNS1_3genE0ELNS1_11target_archE4294967295ELNS1_3gpuE0ELNS1_3repE0EEENS1_30default_config_static_selectorELNS0_4arch9wavefront6targetE0EEEvT1_,@function
_ZN7rocprim17ROCPRIM_400000_NS6detail17trampoline_kernelINS0_14default_configENS1_29reduce_by_key_config_selectorIiiN6thrust23THRUST_200600_302600_NS4plusIiEEEEZZNS1_33reduce_by_key_impl_wrapped_configILNS1_25lookback_scan_determinismE0ES3_S9_NS6_6detail15normal_iteratorINS6_10device_ptrIiEEEESG_SG_SG_PmS8_22is_equal_div_10_reduceIiEEE10hipError_tPvRmT2_T3_mT4_T5_T6_T7_T8_P12ihipStream_tbENKUlT_T0_E_clISt17integral_constantIbLb0EES11_EEDaSW_SX_EUlSW_E_NS1_11comp_targetILNS1_3genE0ELNS1_11target_archE4294967295ELNS1_3gpuE0ELNS1_3repE0EEENS1_30default_config_static_selectorELNS0_4arch9wavefront6targetE0EEEvT1_: ; @_ZN7rocprim17ROCPRIM_400000_NS6detail17trampoline_kernelINS0_14default_configENS1_29reduce_by_key_config_selectorIiiN6thrust23THRUST_200600_302600_NS4plusIiEEEEZZNS1_33reduce_by_key_impl_wrapped_configILNS1_25lookback_scan_determinismE0ES3_S9_NS6_6detail15normal_iteratorINS6_10device_ptrIiEEEESG_SG_SG_PmS8_22is_equal_div_10_reduceIiEEE10hipError_tPvRmT2_T3_mT4_T5_T6_T7_T8_P12ihipStream_tbENKUlT_T0_E_clISt17integral_constantIbLb0EES11_EEDaSW_SX_EUlSW_E_NS1_11comp_targetILNS1_3genE0ELNS1_11target_archE4294967295ELNS1_3gpuE0ELNS1_3repE0EEENS1_30default_config_static_selectorELNS0_4arch9wavefront6targetE0EEEvT1_
; %bb.0:
	.section	.rodata,"a",@progbits
	.p2align	6, 0x0
	.amdhsa_kernel _ZN7rocprim17ROCPRIM_400000_NS6detail17trampoline_kernelINS0_14default_configENS1_29reduce_by_key_config_selectorIiiN6thrust23THRUST_200600_302600_NS4plusIiEEEEZZNS1_33reduce_by_key_impl_wrapped_configILNS1_25lookback_scan_determinismE0ES3_S9_NS6_6detail15normal_iteratorINS6_10device_ptrIiEEEESG_SG_SG_PmS8_22is_equal_div_10_reduceIiEEE10hipError_tPvRmT2_T3_mT4_T5_T6_T7_T8_P12ihipStream_tbENKUlT_T0_E_clISt17integral_constantIbLb0EES11_EEDaSW_SX_EUlSW_E_NS1_11comp_targetILNS1_3genE0ELNS1_11target_archE4294967295ELNS1_3gpuE0ELNS1_3repE0EEENS1_30default_config_static_selectorELNS0_4arch9wavefront6targetE0EEEvT1_
		.amdhsa_group_segment_fixed_size 0
		.amdhsa_private_segment_fixed_size 0
		.amdhsa_kernarg_size 120
		.amdhsa_user_sgpr_count 15
		.amdhsa_user_sgpr_dispatch_ptr 0
		.amdhsa_user_sgpr_queue_ptr 0
		.amdhsa_user_sgpr_kernarg_segment_ptr 1
		.amdhsa_user_sgpr_dispatch_id 0
		.amdhsa_user_sgpr_private_segment_size 0
		.amdhsa_wavefront_size32 1
		.amdhsa_uses_dynamic_stack 0
		.amdhsa_enable_private_segment 0
		.amdhsa_system_sgpr_workgroup_id_x 1
		.amdhsa_system_sgpr_workgroup_id_y 0
		.amdhsa_system_sgpr_workgroup_id_z 0
		.amdhsa_system_sgpr_workgroup_info 0
		.amdhsa_system_vgpr_workitem_id 0
		.amdhsa_next_free_vgpr 1
		.amdhsa_next_free_sgpr 1
		.amdhsa_reserve_vcc 0
		.amdhsa_float_round_mode_32 0
		.amdhsa_float_round_mode_16_64 0
		.amdhsa_float_denorm_mode_32 3
		.amdhsa_float_denorm_mode_16_64 3
		.amdhsa_dx10_clamp 1
		.amdhsa_ieee_mode 1
		.amdhsa_fp16_overflow 0
		.amdhsa_workgroup_processor_mode 1
		.amdhsa_memory_ordered 1
		.amdhsa_forward_progress 0
		.amdhsa_shared_vgpr_count 0
		.amdhsa_exception_fp_ieee_invalid_op 0
		.amdhsa_exception_fp_denorm_src 0
		.amdhsa_exception_fp_ieee_div_zero 0
		.amdhsa_exception_fp_ieee_overflow 0
		.amdhsa_exception_fp_ieee_underflow 0
		.amdhsa_exception_fp_ieee_inexact 0
		.amdhsa_exception_int_div_zero 0
	.end_amdhsa_kernel
	.section	.text._ZN7rocprim17ROCPRIM_400000_NS6detail17trampoline_kernelINS0_14default_configENS1_29reduce_by_key_config_selectorIiiN6thrust23THRUST_200600_302600_NS4plusIiEEEEZZNS1_33reduce_by_key_impl_wrapped_configILNS1_25lookback_scan_determinismE0ES3_S9_NS6_6detail15normal_iteratorINS6_10device_ptrIiEEEESG_SG_SG_PmS8_22is_equal_div_10_reduceIiEEE10hipError_tPvRmT2_T3_mT4_T5_T6_T7_T8_P12ihipStream_tbENKUlT_T0_E_clISt17integral_constantIbLb0EES11_EEDaSW_SX_EUlSW_E_NS1_11comp_targetILNS1_3genE0ELNS1_11target_archE4294967295ELNS1_3gpuE0ELNS1_3repE0EEENS1_30default_config_static_selectorELNS0_4arch9wavefront6targetE0EEEvT1_,"axG",@progbits,_ZN7rocprim17ROCPRIM_400000_NS6detail17trampoline_kernelINS0_14default_configENS1_29reduce_by_key_config_selectorIiiN6thrust23THRUST_200600_302600_NS4plusIiEEEEZZNS1_33reduce_by_key_impl_wrapped_configILNS1_25lookback_scan_determinismE0ES3_S9_NS6_6detail15normal_iteratorINS6_10device_ptrIiEEEESG_SG_SG_PmS8_22is_equal_div_10_reduceIiEEE10hipError_tPvRmT2_T3_mT4_T5_T6_T7_T8_P12ihipStream_tbENKUlT_T0_E_clISt17integral_constantIbLb0EES11_EEDaSW_SX_EUlSW_E_NS1_11comp_targetILNS1_3genE0ELNS1_11target_archE4294967295ELNS1_3gpuE0ELNS1_3repE0EEENS1_30default_config_static_selectorELNS0_4arch9wavefront6targetE0EEEvT1_,comdat
.Lfunc_end584:
	.size	_ZN7rocprim17ROCPRIM_400000_NS6detail17trampoline_kernelINS0_14default_configENS1_29reduce_by_key_config_selectorIiiN6thrust23THRUST_200600_302600_NS4plusIiEEEEZZNS1_33reduce_by_key_impl_wrapped_configILNS1_25lookback_scan_determinismE0ES3_S9_NS6_6detail15normal_iteratorINS6_10device_ptrIiEEEESG_SG_SG_PmS8_22is_equal_div_10_reduceIiEEE10hipError_tPvRmT2_T3_mT4_T5_T6_T7_T8_P12ihipStream_tbENKUlT_T0_E_clISt17integral_constantIbLb0EES11_EEDaSW_SX_EUlSW_E_NS1_11comp_targetILNS1_3genE0ELNS1_11target_archE4294967295ELNS1_3gpuE0ELNS1_3repE0EEENS1_30default_config_static_selectorELNS0_4arch9wavefront6targetE0EEEvT1_, .Lfunc_end584-_ZN7rocprim17ROCPRIM_400000_NS6detail17trampoline_kernelINS0_14default_configENS1_29reduce_by_key_config_selectorIiiN6thrust23THRUST_200600_302600_NS4plusIiEEEEZZNS1_33reduce_by_key_impl_wrapped_configILNS1_25lookback_scan_determinismE0ES3_S9_NS6_6detail15normal_iteratorINS6_10device_ptrIiEEEESG_SG_SG_PmS8_22is_equal_div_10_reduceIiEEE10hipError_tPvRmT2_T3_mT4_T5_T6_T7_T8_P12ihipStream_tbENKUlT_T0_E_clISt17integral_constantIbLb0EES11_EEDaSW_SX_EUlSW_E_NS1_11comp_targetILNS1_3genE0ELNS1_11target_archE4294967295ELNS1_3gpuE0ELNS1_3repE0EEENS1_30default_config_static_selectorELNS0_4arch9wavefront6targetE0EEEvT1_
                                        ; -- End function
	.section	.AMDGPU.csdata,"",@progbits
; Kernel info:
; codeLenInByte = 0
; NumSgprs: 0
; NumVgprs: 0
; ScratchSize: 0
; MemoryBound: 0
; FloatMode: 240
; IeeeMode: 1
; LDSByteSize: 0 bytes/workgroup (compile time only)
; SGPRBlocks: 0
; VGPRBlocks: 0
; NumSGPRsForWavesPerEU: 1
; NumVGPRsForWavesPerEU: 1
; Occupancy: 16
; WaveLimiterHint : 0
; COMPUTE_PGM_RSRC2:SCRATCH_EN: 0
; COMPUTE_PGM_RSRC2:USER_SGPR: 15
; COMPUTE_PGM_RSRC2:TRAP_HANDLER: 0
; COMPUTE_PGM_RSRC2:TGID_X_EN: 1
; COMPUTE_PGM_RSRC2:TGID_Y_EN: 0
; COMPUTE_PGM_RSRC2:TGID_Z_EN: 0
; COMPUTE_PGM_RSRC2:TIDIG_COMP_CNT: 0
	.section	.text._ZN7rocprim17ROCPRIM_400000_NS6detail17trampoline_kernelINS0_14default_configENS1_29reduce_by_key_config_selectorIiiN6thrust23THRUST_200600_302600_NS4plusIiEEEEZZNS1_33reduce_by_key_impl_wrapped_configILNS1_25lookback_scan_determinismE0ES3_S9_NS6_6detail15normal_iteratorINS6_10device_ptrIiEEEESG_SG_SG_PmS8_22is_equal_div_10_reduceIiEEE10hipError_tPvRmT2_T3_mT4_T5_T6_T7_T8_P12ihipStream_tbENKUlT_T0_E_clISt17integral_constantIbLb0EES11_EEDaSW_SX_EUlSW_E_NS1_11comp_targetILNS1_3genE5ELNS1_11target_archE942ELNS1_3gpuE9ELNS1_3repE0EEENS1_30default_config_static_selectorELNS0_4arch9wavefront6targetE0EEEvT1_,"axG",@progbits,_ZN7rocprim17ROCPRIM_400000_NS6detail17trampoline_kernelINS0_14default_configENS1_29reduce_by_key_config_selectorIiiN6thrust23THRUST_200600_302600_NS4plusIiEEEEZZNS1_33reduce_by_key_impl_wrapped_configILNS1_25lookback_scan_determinismE0ES3_S9_NS6_6detail15normal_iteratorINS6_10device_ptrIiEEEESG_SG_SG_PmS8_22is_equal_div_10_reduceIiEEE10hipError_tPvRmT2_T3_mT4_T5_T6_T7_T8_P12ihipStream_tbENKUlT_T0_E_clISt17integral_constantIbLb0EES11_EEDaSW_SX_EUlSW_E_NS1_11comp_targetILNS1_3genE5ELNS1_11target_archE942ELNS1_3gpuE9ELNS1_3repE0EEENS1_30default_config_static_selectorELNS0_4arch9wavefront6targetE0EEEvT1_,comdat
	.protected	_ZN7rocprim17ROCPRIM_400000_NS6detail17trampoline_kernelINS0_14default_configENS1_29reduce_by_key_config_selectorIiiN6thrust23THRUST_200600_302600_NS4plusIiEEEEZZNS1_33reduce_by_key_impl_wrapped_configILNS1_25lookback_scan_determinismE0ES3_S9_NS6_6detail15normal_iteratorINS6_10device_ptrIiEEEESG_SG_SG_PmS8_22is_equal_div_10_reduceIiEEE10hipError_tPvRmT2_T3_mT4_T5_T6_T7_T8_P12ihipStream_tbENKUlT_T0_E_clISt17integral_constantIbLb0EES11_EEDaSW_SX_EUlSW_E_NS1_11comp_targetILNS1_3genE5ELNS1_11target_archE942ELNS1_3gpuE9ELNS1_3repE0EEENS1_30default_config_static_selectorELNS0_4arch9wavefront6targetE0EEEvT1_ ; -- Begin function _ZN7rocprim17ROCPRIM_400000_NS6detail17trampoline_kernelINS0_14default_configENS1_29reduce_by_key_config_selectorIiiN6thrust23THRUST_200600_302600_NS4plusIiEEEEZZNS1_33reduce_by_key_impl_wrapped_configILNS1_25lookback_scan_determinismE0ES3_S9_NS6_6detail15normal_iteratorINS6_10device_ptrIiEEEESG_SG_SG_PmS8_22is_equal_div_10_reduceIiEEE10hipError_tPvRmT2_T3_mT4_T5_T6_T7_T8_P12ihipStream_tbENKUlT_T0_E_clISt17integral_constantIbLb0EES11_EEDaSW_SX_EUlSW_E_NS1_11comp_targetILNS1_3genE5ELNS1_11target_archE942ELNS1_3gpuE9ELNS1_3repE0EEENS1_30default_config_static_selectorELNS0_4arch9wavefront6targetE0EEEvT1_
	.globl	_ZN7rocprim17ROCPRIM_400000_NS6detail17trampoline_kernelINS0_14default_configENS1_29reduce_by_key_config_selectorIiiN6thrust23THRUST_200600_302600_NS4plusIiEEEEZZNS1_33reduce_by_key_impl_wrapped_configILNS1_25lookback_scan_determinismE0ES3_S9_NS6_6detail15normal_iteratorINS6_10device_ptrIiEEEESG_SG_SG_PmS8_22is_equal_div_10_reduceIiEEE10hipError_tPvRmT2_T3_mT4_T5_T6_T7_T8_P12ihipStream_tbENKUlT_T0_E_clISt17integral_constantIbLb0EES11_EEDaSW_SX_EUlSW_E_NS1_11comp_targetILNS1_3genE5ELNS1_11target_archE942ELNS1_3gpuE9ELNS1_3repE0EEENS1_30default_config_static_selectorELNS0_4arch9wavefront6targetE0EEEvT1_
	.p2align	8
	.type	_ZN7rocprim17ROCPRIM_400000_NS6detail17trampoline_kernelINS0_14default_configENS1_29reduce_by_key_config_selectorIiiN6thrust23THRUST_200600_302600_NS4plusIiEEEEZZNS1_33reduce_by_key_impl_wrapped_configILNS1_25lookback_scan_determinismE0ES3_S9_NS6_6detail15normal_iteratorINS6_10device_ptrIiEEEESG_SG_SG_PmS8_22is_equal_div_10_reduceIiEEE10hipError_tPvRmT2_T3_mT4_T5_T6_T7_T8_P12ihipStream_tbENKUlT_T0_E_clISt17integral_constantIbLb0EES11_EEDaSW_SX_EUlSW_E_NS1_11comp_targetILNS1_3genE5ELNS1_11target_archE942ELNS1_3gpuE9ELNS1_3repE0EEENS1_30default_config_static_selectorELNS0_4arch9wavefront6targetE0EEEvT1_,@function
_ZN7rocprim17ROCPRIM_400000_NS6detail17trampoline_kernelINS0_14default_configENS1_29reduce_by_key_config_selectorIiiN6thrust23THRUST_200600_302600_NS4plusIiEEEEZZNS1_33reduce_by_key_impl_wrapped_configILNS1_25lookback_scan_determinismE0ES3_S9_NS6_6detail15normal_iteratorINS6_10device_ptrIiEEEESG_SG_SG_PmS8_22is_equal_div_10_reduceIiEEE10hipError_tPvRmT2_T3_mT4_T5_T6_T7_T8_P12ihipStream_tbENKUlT_T0_E_clISt17integral_constantIbLb0EES11_EEDaSW_SX_EUlSW_E_NS1_11comp_targetILNS1_3genE5ELNS1_11target_archE942ELNS1_3gpuE9ELNS1_3repE0EEENS1_30default_config_static_selectorELNS0_4arch9wavefront6targetE0EEEvT1_: ; @_ZN7rocprim17ROCPRIM_400000_NS6detail17trampoline_kernelINS0_14default_configENS1_29reduce_by_key_config_selectorIiiN6thrust23THRUST_200600_302600_NS4plusIiEEEEZZNS1_33reduce_by_key_impl_wrapped_configILNS1_25lookback_scan_determinismE0ES3_S9_NS6_6detail15normal_iteratorINS6_10device_ptrIiEEEESG_SG_SG_PmS8_22is_equal_div_10_reduceIiEEE10hipError_tPvRmT2_T3_mT4_T5_T6_T7_T8_P12ihipStream_tbENKUlT_T0_E_clISt17integral_constantIbLb0EES11_EEDaSW_SX_EUlSW_E_NS1_11comp_targetILNS1_3genE5ELNS1_11target_archE942ELNS1_3gpuE9ELNS1_3repE0EEENS1_30default_config_static_selectorELNS0_4arch9wavefront6targetE0EEEvT1_
; %bb.0:
	.section	.rodata,"a",@progbits
	.p2align	6, 0x0
	.amdhsa_kernel _ZN7rocprim17ROCPRIM_400000_NS6detail17trampoline_kernelINS0_14default_configENS1_29reduce_by_key_config_selectorIiiN6thrust23THRUST_200600_302600_NS4plusIiEEEEZZNS1_33reduce_by_key_impl_wrapped_configILNS1_25lookback_scan_determinismE0ES3_S9_NS6_6detail15normal_iteratorINS6_10device_ptrIiEEEESG_SG_SG_PmS8_22is_equal_div_10_reduceIiEEE10hipError_tPvRmT2_T3_mT4_T5_T6_T7_T8_P12ihipStream_tbENKUlT_T0_E_clISt17integral_constantIbLb0EES11_EEDaSW_SX_EUlSW_E_NS1_11comp_targetILNS1_3genE5ELNS1_11target_archE942ELNS1_3gpuE9ELNS1_3repE0EEENS1_30default_config_static_selectorELNS0_4arch9wavefront6targetE0EEEvT1_
		.amdhsa_group_segment_fixed_size 0
		.amdhsa_private_segment_fixed_size 0
		.amdhsa_kernarg_size 120
		.amdhsa_user_sgpr_count 15
		.amdhsa_user_sgpr_dispatch_ptr 0
		.amdhsa_user_sgpr_queue_ptr 0
		.amdhsa_user_sgpr_kernarg_segment_ptr 1
		.amdhsa_user_sgpr_dispatch_id 0
		.amdhsa_user_sgpr_private_segment_size 0
		.amdhsa_wavefront_size32 1
		.amdhsa_uses_dynamic_stack 0
		.amdhsa_enable_private_segment 0
		.amdhsa_system_sgpr_workgroup_id_x 1
		.amdhsa_system_sgpr_workgroup_id_y 0
		.amdhsa_system_sgpr_workgroup_id_z 0
		.amdhsa_system_sgpr_workgroup_info 0
		.amdhsa_system_vgpr_workitem_id 0
		.amdhsa_next_free_vgpr 1
		.amdhsa_next_free_sgpr 1
		.amdhsa_reserve_vcc 0
		.amdhsa_float_round_mode_32 0
		.amdhsa_float_round_mode_16_64 0
		.amdhsa_float_denorm_mode_32 3
		.amdhsa_float_denorm_mode_16_64 3
		.amdhsa_dx10_clamp 1
		.amdhsa_ieee_mode 1
		.amdhsa_fp16_overflow 0
		.amdhsa_workgroup_processor_mode 1
		.amdhsa_memory_ordered 1
		.amdhsa_forward_progress 0
		.amdhsa_shared_vgpr_count 0
		.amdhsa_exception_fp_ieee_invalid_op 0
		.amdhsa_exception_fp_denorm_src 0
		.amdhsa_exception_fp_ieee_div_zero 0
		.amdhsa_exception_fp_ieee_overflow 0
		.amdhsa_exception_fp_ieee_underflow 0
		.amdhsa_exception_fp_ieee_inexact 0
		.amdhsa_exception_int_div_zero 0
	.end_amdhsa_kernel
	.section	.text._ZN7rocprim17ROCPRIM_400000_NS6detail17trampoline_kernelINS0_14default_configENS1_29reduce_by_key_config_selectorIiiN6thrust23THRUST_200600_302600_NS4plusIiEEEEZZNS1_33reduce_by_key_impl_wrapped_configILNS1_25lookback_scan_determinismE0ES3_S9_NS6_6detail15normal_iteratorINS6_10device_ptrIiEEEESG_SG_SG_PmS8_22is_equal_div_10_reduceIiEEE10hipError_tPvRmT2_T3_mT4_T5_T6_T7_T8_P12ihipStream_tbENKUlT_T0_E_clISt17integral_constantIbLb0EES11_EEDaSW_SX_EUlSW_E_NS1_11comp_targetILNS1_3genE5ELNS1_11target_archE942ELNS1_3gpuE9ELNS1_3repE0EEENS1_30default_config_static_selectorELNS0_4arch9wavefront6targetE0EEEvT1_,"axG",@progbits,_ZN7rocprim17ROCPRIM_400000_NS6detail17trampoline_kernelINS0_14default_configENS1_29reduce_by_key_config_selectorIiiN6thrust23THRUST_200600_302600_NS4plusIiEEEEZZNS1_33reduce_by_key_impl_wrapped_configILNS1_25lookback_scan_determinismE0ES3_S9_NS6_6detail15normal_iteratorINS6_10device_ptrIiEEEESG_SG_SG_PmS8_22is_equal_div_10_reduceIiEEE10hipError_tPvRmT2_T3_mT4_T5_T6_T7_T8_P12ihipStream_tbENKUlT_T0_E_clISt17integral_constantIbLb0EES11_EEDaSW_SX_EUlSW_E_NS1_11comp_targetILNS1_3genE5ELNS1_11target_archE942ELNS1_3gpuE9ELNS1_3repE0EEENS1_30default_config_static_selectorELNS0_4arch9wavefront6targetE0EEEvT1_,comdat
.Lfunc_end585:
	.size	_ZN7rocprim17ROCPRIM_400000_NS6detail17trampoline_kernelINS0_14default_configENS1_29reduce_by_key_config_selectorIiiN6thrust23THRUST_200600_302600_NS4plusIiEEEEZZNS1_33reduce_by_key_impl_wrapped_configILNS1_25lookback_scan_determinismE0ES3_S9_NS6_6detail15normal_iteratorINS6_10device_ptrIiEEEESG_SG_SG_PmS8_22is_equal_div_10_reduceIiEEE10hipError_tPvRmT2_T3_mT4_T5_T6_T7_T8_P12ihipStream_tbENKUlT_T0_E_clISt17integral_constantIbLb0EES11_EEDaSW_SX_EUlSW_E_NS1_11comp_targetILNS1_3genE5ELNS1_11target_archE942ELNS1_3gpuE9ELNS1_3repE0EEENS1_30default_config_static_selectorELNS0_4arch9wavefront6targetE0EEEvT1_, .Lfunc_end585-_ZN7rocprim17ROCPRIM_400000_NS6detail17trampoline_kernelINS0_14default_configENS1_29reduce_by_key_config_selectorIiiN6thrust23THRUST_200600_302600_NS4plusIiEEEEZZNS1_33reduce_by_key_impl_wrapped_configILNS1_25lookback_scan_determinismE0ES3_S9_NS6_6detail15normal_iteratorINS6_10device_ptrIiEEEESG_SG_SG_PmS8_22is_equal_div_10_reduceIiEEE10hipError_tPvRmT2_T3_mT4_T5_T6_T7_T8_P12ihipStream_tbENKUlT_T0_E_clISt17integral_constantIbLb0EES11_EEDaSW_SX_EUlSW_E_NS1_11comp_targetILNS1_3genE5ELNS1_11target_archE942ELNS1_3gpuE9ELNS1_3repE0EEENS1_30default_config_static_selectorELNS0_4arch9wavefront6targetE0EEEvT1_
                                        ; -- End function
	.section	.AMDGPU.csdata,"",@progbits
; Kernel info:
; codeLenInByte = 0
; NumSgprs: 0
; NumVgprs: 0
; ScratchSize: 0
; MemoryBound: 0
; FloatMode: 240
; IeeeMode: 1
; LDSByteSize: 0 bytes/workgroup (compile time only)
; SGPRBlocks: 0
; VGPRBlocks: 0
; NumSGPRsForWavesPerEU: 1
; NumVGPRsForWavesPerEU: 1
; Occupancy: 16
; WaveLimiterHint : 0
; COMPUTE_PGM_RSRC2:SCRATCH_EN: 0
; COMPUTE_PGM_RSRC2:USER_SGPR: 15
; COMPUTE_PGM_RSRC2:TRAP_HANDLER: 0
; COMPUTE_PGM_RSRC2:TGID_X_EN: 1
; COMPUTE_PGM_RSRC2:TGID_Y_EN: 0
; COMPUTE_PGM_RSRC2:TGID_Z_EN: 0
; COMPUTE_PGM_RSRC2:TIDIG_COMP_CNT: 0
	.section	.text._ZN7rocprim17ROCPRIM_400000_NS6detail17trampoline_kernelINS0_14default_configENS1_29reduce_by_key_config_selectorIiiN6thrust23THRUST_200600_302600_NS4plusIiEEEEZZNS1_33reduce_by_key_impl_wrapped_configILNS1_25lookback_scan_determinismE0ES3_S9_NS6_6detail15normal_iteratorINS6_10device_ptrIiEEEESG_SG_SG_PmS8_22is_equal_div_10_reduceIiEEE10hipError_tPvRmT2_T3_mT4_T5_T6_T7_T8_P12ihipStream_tbENKUlT_T0_E_clISt17integral_constantIbLb0EES11_EEDaSW_SX_EUlSW_E_NS1_11comp_targetILNS1_3genE4ELNS1_11target_archE910ELNS1_3gpuE8ELNS1_3repE0EEENS1_30default_config_static_selectorELNS0_4arch9wavefront6targetE0EEEvT1_,"axG",@progbits,_ZN7rocprim17ROCPRIM_400000_NS6detail17trampoline_kernelINS0_14default_configENS1_29reduce_by_key_config_selectorIiiN6thrust23THRUST_200600_302600_NS4plusIiEEEEZZNS1_33reduce_by_key_impl_wrapped_configILNS1_25lookback_scan_determinismE0ES3_S9_NS6_6detail15normal_iteratorINS6_10device_ptrIiEEEESG_SG_SG_PmS8_22is_equal_div_10_reduceIiEEE10hipError_tPvRmT2_T3_mT4_T5_T6_T7_T8_P12ihipStream_tbENKUlT_T0_E_clISt17integral_constantIbLb0EES11_EEDaSW_SX_EUlSW_E_NS1_11comp_targetILNS1_3genE4ELNS1_11target_archE910ELNS1_3gpuE8ELNS1_3repE0EEENS1_30default_config_static_selectorELNS0_4arch9wavefront6targetE0EEEvT1_,comdat
	.protected	_ZN7rocprim17ROCPRIM_400000_NS6detail17trampoline_kernelINS0_14default_configENS1_29reduce_by_key_config_selectorIiiN6thrust23THRUST_200600_302600_NS4plusIiEEEEZZNS1_33reduce_by_key_impl_wrapped_configILNS1_25lookback_scan_determinismE0ES3_S9_NS6_6detail15normal_iteratorINS6_10device_ptrIiEEEESG_SG_SG_PmS8_22is_equal_div_10_reduceIiEEE10hipError_tPvRmT2_T3_mT4_T5_T6_T7_T8_P12ihipStream_tbENKUlT_T0_E_clISt17integral_constantIbLb0EES11_EEDaSW_SX_EUlSW_E_NS1_11comp_targetILNS1_3genE4ELNS1_11target_archE910ELNS1_3gpuE8ELNS1_3repE0EEENS1_30default_config_static_selectorELNS0_4arch9wavefront6targetE0EEEvT1_ ; -- Begin function _ZN7rocprim17ROCPRIM_400000_NS6detail17trampoline_kernelINS0_14default_configENS1_29reduce_by_key_config_selectorIiiN6thrust23THRUST_200600_302600_NS4plusIiEEEEZZNS1_33reduce_by_key_impl_wrapped_configILNS1_25lookback_scan_determinismE0ES3_S9_NS6_6detail15normal_iteratorINS6_10device_ptrIiEEEESG_SG_SG_PmS8_22is_equal_div_10_reduceIiEEE10hipError_tPvRmT2_T3_mT4_T5_T6_T7_T8_P12ihipStream_tbENKUlT_T0_E_clISt17integral_constantIbLb0EES11_EEDaSW_SX_EUlSW_E_NS1_11comp_targetILNS1_3genE4ELNS1_11target_archE910ELNS1_3gpuE8ELNS1_3repE0EEENS1_30default_config_static_selectorELNS0_4arch9wavefront6targetE0EEEvT1_
	.globl	_ZN7rocprim17ROCPRIM_400000_NS6detail17trampoline_kernelINS0_14default_configENS1_29reduce_by_key_config_selectorIiiN6thrust23THRUST_200600_302600_NS4plusIiEEEEZZNS1_33reduce_by_key_impl_wrapped_configILNS1_25lookback_scan_determinismE0ES3_S9_NS6_6detail15normal_iteratorINS6_10device_ptrIiEEEESG_SG_SG_PmS8_22is_equal_div_10_reduceIiEEE10hipError_tPvRmT2_T3_mT4_T5_T6_T7_T8_P12ihipStream_tbENKUlT_T0_E_clISt17integral_constantIbLb0EES11_EEDaSW_SX_EUlSW_E_NS1_11comp_targetILNS1_3genE4ELNS1_11target_archE910ELNS1_3gpuE8ELNS1_3repE0EEENS1_30default_config_static_selectorELNS0_4arch9wavefront6targetE0EEEvT1_
	.p2align	8
	.type	_ZN7rocprim17ROCPRIM_400000_NS6detail17trampoline_kernelINS0_14default_configENS1_29reduce_by_key_config_selectorIiiN6thrust23THRUST_200600_302600_NS4plusIiEEEEZZNS1_33reduce_by_key_impl_wrapped_configILNS1_25lookback_scan_determinismE0ES3_S9_NS6_6detail15normal_iteratorINS6_10device_ptrIiEEEESG_SG_SG_PmS8_22is_equal_div_10_reduceIiEEE10hipError_tPvRmT2_T3_mT4_T5_T6_T7_T8_P12ihipStream_tbENKUlT_T0_E_clISt17integral_constantIbLb0EES11_EEDaSW_SX_EUlSW_E_NS1_11comp_targetILNS1_3genE4ELNS1_11target_archE910ELNS1_3gpuE8ELNS1_3repE0EEENS1_30default_config_static_selectorELNS0_4arch9wavefront6targetE0EEEvT1_,@function
_ZN7rocprim17ROCPRIM_400000_NS6detail17trampoline_kernelINS0_14default_configENS1_29reduce_by_key_config_selectorIiiN6thrust23THRUST_200600_302600_NS4plusIiEEEEZZNS1_33reduce_by_key_impl_wrapped_configILNS1_25lookback_scan_determinismE0ES3_S9_NS6_6detail15normal_iteratorINS6_10device_ptrIiEEEESG_SG_SG_PmS8_22is_equal_div_10_reduceIiEEE10hipError_tPvRmT2_T3_mT4_T5_T6_T7_T8_P12ihipStream_tbENKUlT_T0_E_clISt17integral_constantIbLb0EES11_EEDaSW_SX_EUlSW_E_NS1_11comp_targetILNS1_3genE4ELNS1_11target_archE910ELNS1_3gpuE8ELNS1_3repE0EEENS1_30default_config_static_selectorELNS0_4arch9wavefront6targetE0EEEvT1_: ; @_ZN7rocprim17ROCPRIM_400000_NS6detail17trampoline_kernelINS0_14default_configENS1_29reduce_by_key_config_selectorIiiN6thrust23THRUST_200600_302600_NS4plusIiEEEEZZNS1_33reduce_by_key_impl_wrapped_configILNS1_25lookback_scan_determinismE0ES3_S9_NS6_6detail15normal_iteratorINS6_10device_ptrIiEEEESG_SG_SG_PmS8_22is_equal_div_10_reduceIiEEE10hipError_tPvRmT2_T3_mT4_T5_T6_T7_T8_P12ihipStream_tbENKUlT_T0_E_clISt17integral_constantIbLb0EES11_EEDaSW_SX_EUlSW_E_NS1_11comp_targetILNS1_3genE4ELNS1_11target_archE910ELNS1_3gpuE8ELNS1_3repE0EEENS1_30default_config_static_selectorELNS0_4arch9wavefront6targetE0EEEvT1_
; %bb.0:
	.section	.rodata,"a",@progbits
	.p2align	6, 0x0
	.amdhsa_kernel _ZN7rocprim17ROCPRIM_400000_NS6detail17trampoline_kernelINS0_14default_configENS1_29reduce_by_key_config_selectorIiiN6thrust23THRUST_200600_302600_NS4plusIiEEEEZZNS1_33reduce_by_key_impl_wrapped_configILNS1_25lookback_scan_determinismE0ES3_S9_NS6_6detail15normal_iteratorINS6_10device_ptrIiEEEESG_SG_SG_PmS8_22is_equal_div_10_reduceIiEEE10hipError_tPvRmT2_T3_mT4_T5_T6_T7_T8_P12ihipStream_tbENKUlT_T0_E_clISt17integral_constantIbLb0EES11_EEDaSW_SX_EUlSW_E_NS1_11comp_targetILNS1_3genE4ELNS1_11target_archE910ELNS1_3gpuE8ELNS1_3repE0EEENS1_30default_config_static_selectorELNS0_4arch9wavefront6targetE0EEEvT1_
		.amdhsa_group_segment_fixed_size 0
		.amdhsa_private_segment_fixed_size 0
		.amdhsa_kernarg_size 120
		.amdhsa_user_sgpr_count 15
		.amdhsa_user_sgpr_dispatch_ptr 0
		.amdhsa_user_sgpr_queue_ptr 0
		.amdhsa_user_sgpr_kernarg_segment_ptr 1
		.amdhsa_user_sgpr_dispatch_id 0
		.amdhsa_user_sgpr_private_segment_size 0
		.amdhsa_wavefront_size32 1
		.amdhsa_uses_dynamic_stack 0
		.amdhsa_enable_private_segment 0
		.amdhsa_system_sgpr_workgroup_id_x 1
		.amdhsa_system_sgpr_workgroup_id_y 0
		.amdhsa_system_sgpr_workgroup_id_z 0
		.amdhsa_system_sgpr_workgroup_info 0
		.amdhsa_system_vgpr_workitem_id 0
		.amdhsa_next_free_vgpr 1
		.amdhsa_next_free_sgpr 1
		.amdhsa_reserve_vcc 0
		.amdhsa_float_round_mode_32 0
		.amdhsa_float_round_mode_16_64 0
		.amdhsa_float_denorm_mode_32 3
		.amdhsa_float_denorm_mode_16_64 3
		.amdhsa_dx10_clamp 1
		.amdhsa_ieee_mode 1
		.amdhsa_fp16_overflow 0
		.amdhsa_workgroup_processor_mode 1
		.amdhsa_memory_ordered 1
		.amdhsa_forward_progress 0
		.amdhsa_shared_vgpr_count 0
		.amdhsa_exception_fp_ieee_invalid_op 0
		.amdhsa_exception_fp_denorm_src 0
		.amdhsa_exception_fp_ieee_div_zero 0
		.amdhsa_exception_fp_ieee_overflow 0
		.amdhsa_exception_fp_ieee_underflow 0
		.amdhsa_exception_fp_ieee_inexact 0
		.amdhsa_exception_int_div_zero 0
	.end_amdhsa_kernel
	.section	.text._ZN7rocprim17ROCPRIM_400000_NS6detail17trampoline_kernelINS0_14default_configENS1_29reduce_by_key_config_selectorIiiN6thrust23THRUST_200600_302600_NS4plusIiEEEEZZNS1_33reduce_by_key_impl_wrapped_configILNS1_25lookback_scan_determinismE0ES3_S9_NS6_6detail15normal_iteratorINS6_10device_ptrIiEEEESG_SG_SG_PmS8_22is_equal_div_10_reduceIiEEE10hipError_tPvRmT2_T3_mT4_T5_T6_T7_T8_P12ihipStream_tbENKUlT_T0_E_clISt17integral_constantIbLb0EES11_EEDaSW_SX_EUlSW_E_NS1_11comp_targetILNS1_3genE4ELNS1_11target_archE910ELNS1_3gpuE8ELNS1_3repE0EEENS1_30default_config_static_selectorELNS0_4arch9wavefront6targetE0EEEvT1_,"axG",@progbits,_ZN7rocprim17ROCPRIM_400000_NS6detail17trampoline_kernelINS0_14default_configENS1_29reduce_by_key_config_selectorIiiN6thrust23THRUST_200600_302600_NS4plusIiEEEEZZNS1_33reduce_by_key_impl_wrapped_configILNS1_25lookback_scan_determinismE0ES3_S9_NS6_6detail15normal_iteratorINS6_10device_ptrIiEEEESG_SG_SG_PmS8_22is_equal_div_10_reduceIiEEE10hipError_tPvRmT2_T3_mT4_T5_T6_T7_T8_P12ihipStream_tbENKUlT_T0_E_clISt17integral_constantIbLb0EES11_EEDaSW_SX_EUlSW_E_NS1_11comp_targetILNS1_3genE4ELNS1_11target_archE910ELNS1_3gpuE8ELNS1_3repE0EEENS1_30default_config_static_selectorELNS0_4arch9wavefront6targetE0EEEvT1_,comdat
.Lfunc_end586:
	.size	_ZN7rocprim17ROCPRIM_400000_NS6detail17trampoline_kernelINS0_14default_configENS1_29reduce_by_key_config_selectorIiiN6thrust23THRUST_200600_302600_NS4plusIiEEEEZZNS1_33reduce_by_key_impl_wrapped_configILNS1_25lookback_scan_determinismE0ES3_S9_NS6_6detail15normal_iteratorINS6_10device_ptrIiEEEESG_SG_SG_PmS8_22is_equal_div_10_reduceIiEEE10hipError_tPvRmT2_T3_mT4_T5_T6_T7_T8_P12ihipStream_tbENKUlT_T0_E_clISt17integral_constantIbLb0EES11_EEDaSW_SX_EUlSW_E_NS1_11comp_targetILNS1_3genE4ELNS1_11target_archE910ELNS1_3gpuE8ELNS1_3repE0EEENS1_30default_config_static_selectorELNS0_4arch9wavefront6targetE0EEEvT1_, .Lfunc_end586-_ZN7rocprim17ROCPRIM_400000_NS6detail17trampoline_kernelINS0_14default_configENS1_29reduce_by_key_config_selectorIiiN6thrust23THRUST_200600_302600_NS4plusIiEEEEZZNS1_33reduce_by_key_impl_wrapped_configILNS1_25lookback_scan_determinismE0ES3_S9_NS6_6detail15normal_iteratorINS6_10device_ptrIiEEEESG_SG_SG_PmS8_22is_equal_div_10_reduceIiEEE10hipError_tPvRmT2_T3_mT4_T5_T6_T7_T8_P12ihipStream_tbENKUlT_T0_E_clISt17integral_constantIbLb0EES11_EEDaSW_SX_EUlSW_E_NS1_11comp_targetILNS1_3genE4ELNS1_11target_archE910ELNS1_3gpuE8ELNS1_3repE0EEENS1_30default_config_static_selectorELNS0_4arch9wavefront6targetE0EEEvT1_
                                        ; -- End function
	.section	.AMDGPU.csdata,"",@progbits
; Kernel info:
; codeLenInByte = 0
; NumSgprs: 0
; NumVgprs: 0
; ScratchSize: 0
; MemoryBound: 0
; FloatMode: 240
; IeeeMode: 1
; LDSByteSize: 0 bytes/workgroup (compile time only)
; SGPRBlocks: 0
; VGPRBlocks: 0
; NumSGPRsForWavesPerEU: 1
; NumVGPRsForWavesPerEU: 1
; Occupancy: 16
; WaveLimiterHint : 0
; COMPUTE_PGM_RSRC2:SCRATCH_EN: 0
; COMPUTE_PGM_RSRC2:USER_SGPR: 15
; COMPUTE_PGM_RSRC2:TRAP_HANDLER: 0
; COMPUTE_PGM_RSRC2:TGID_X_EN: 1
; COMPUTE_PGM_RSRC2:TGID_Y_EN: 0
; COMPUTE_PGM_RSRC2:TGID_Z_EN: 0
; COMPUTE_PGM_RSRC2:TIDIG_COMP_CNT: 0
	.section	.text._ZN7rocprim17ROCPRIM_400000_NS6detail17trampoline_kernelINS0_14default_configENS1_29reduce_by_key_config_selectorIiiN6thrust23THRUST_200600_302600_NS4plusIiEEEEZZNS1_33reduce_by_key_impl_wrapped_configILNS1_25lookback_scan_determinismE0ES3_S9_NS6_6detail15normal_iteratorINS6_10device_ptrIiEEEESG_SG_SG_PmS8_22is_equal_div_10_reduceIiEEE10hipError_tPvRmT2_T3_mT4_T5_T6_T7_T8_P12ihipStream_tbENKUlT_T0_E_clISt17integral_constantIbLb0EES11_EEDaSW_SX_EUlSW_E_NS1_11comp_targetILNS1_3genE3ELNS1_11target_archE908ELNS1_3gpuE7ELNS1_3repE0EEENS1_30default_config_static_selectorELNS0_4arch9wavefront6targetE0EEEvT1_,"axG",@progbits,_ZN7rocprim17ROCPRIM_400000_NS6detail17trampoline_kernelINS0_14default_configENS1_29reduce_by_key_config_selectorIiiN6thrust23THRUST_200600_302600_NS4plusIiEEEEZZNS1_33reduce_by_key_impl_wrapped_configILNS1_25lookback_scan_determinismE0ES3_S9_NS6_6detail15normal_iteratorINS6_10device_ptrIiEEEESG_SG_SG_PmS8_22is_equal_div_10_reduceIiEEE10hipError_tPvRmT2_T3_mT4_T5_T6_T7_T8_P12ihipStream_tbENKUlT_T0_E_clISt17integral_constantIbLb0EES11_EEDaSW_SX_EUlSW_E_NS1_11comp_targetILNS1_3genE3ELNS1_11target_archE908ELNS1_3gpuE7ELNS1_3repE0EEENS1_30default_config_static_selectorELNS0_4arch9wavefront6targetE0EEEvT1_,comdat
	.protected	_ZN7rocprim17ROCPRIM_400000_NS6detail17trampoline_kernelINS0_14default_configENS1_29reduce_by_key_config_selectorIiiN6thrust23THRUST_200600_302600_NS4plusIiEEEEZZNS1_33reduce_by_key_impl_wrapped_configILNS1_25lookback_scan_determinismE0ES3_S9_NS6_6detail15normal_iteratorINS6_10device_ptrIiEEEESG_SG_SG_PmS8_22is_equal_div_10_reduceIiEEE10hipError_tPvRmT2_T3_mT4_T5_T6_T7_T8_P12ihipStream_tbENKUlT_T0_E_clISt17integral_constantIbLb0EES11_EEDaSW_SX_EUlSW_E_NS1_11comp_targetILNS1_3genE3ELNS1_11target_archE908ELNS1_3gpuE7ELNS1_3repE0EEENS1_30default_config_static_selectorELNS0_4arch9wavefront6targetE0EEEvT1_ ; -- Begin function _ZN7rocprim17ROCPRIM_400000_NS6detail17trampoline_kernelINS0_14default_configENS1_29reduce_by_key_config_selectorIiiN6thrust23THRUST_200600_302600_NS4plusIiEEEEZZNS1_33reduce_by_key_impl_wrapped_configILNS1_25lookback_scan_determinismE0ES3_S9_NS6_6detail15normal_iteratorINS6_10device_ptrIiEEEESG_SG_SG_PmS8_22is_equal_div_10_reduceIiEEE10hipError_tPvRmT2_T3_mT4_T5_T6_T7_T8_P12ihipStream_tbENKUlT_T0_E_clISt17integral_constantIbLb0EES11_EEDaSW_SX_EUlSW_E_NS1_11comp_targetILNS1_3genE3ELNS1_11target_archE908ELNS1_3gpuE7ELNS1_3repE0EEENS1_30default_config_static_selectorELNS0_4arch9wavefront6targetE0EEEvT1_
	.globl	_ZN7rocprim17ROCPRIM_400000_NS6detail17trampoline_kernelINS0_14default_configENS1_29reduce_by_key_config_selectorIiiN6thrust23THRUST_200600_302600_NS4plusIiEEEEZZNS1_33reduce_by_key_impl_wrapped_configILNS1_25lookback_scan_determinismE0ES3_S9_NS6_6detail15normal_iteratorINS6_10device_ptrIiEEEESG_SG_SG_PmS8_22is_equal_div_10_reduceIiEEE10hipError_tPvRmT2_T3_mT4_T5_T6_T7_T8_P12ihipStream_tbENKUlT_T0_E_clISt17integral_constantIbLb0EES11_EEDaSW_SX_EUlSW_E_NS1_11comp_targetILNS1_3genE3ELNS1_11target_archE908ELNS1_3gpuE7ELNS1_3repE0EEENS1_30default_config_static_selectorELNS0_4arch9wavefront6targetE0EEEvT1_
	.p2align	8
	.type	_ZN7rocprim17ROCPRIM_400000_NS6detail17trampoline_kernelINS0_14default_configENS1_29reduce_by_key_config_selectorIiiN6thrust23THRUST_200600_302600_NS4plusIiEEEEZZNS1_33reduce_by_key_impl_wrapped_configILNS1_25lookback_scan_determinismE0ES3_S9_NS6_6detail15normal_iteratorINS6_10device_ptrIiEEEESG_SG_SG_PmS8_22is_equal_div_10_reduceIiEEE10hipError_tPvRmT2_T3_mT4_T5_T6_T7_T8_P12ihipStream_tbENKUlT_T0_E_clISt17integral_constantIbLb0EES11_EEDaSW_SX_EUlSW_E_NS1_11comp_targetILNS1_3genE3ELNS1_11target_archE908ELNS1_3gpuE7ELNS1_3repE0EEENS1_30default_config_static_selectorELNS0_4arch9wavefront6targetE0EEEvT1_,@function
_ZN7rocprim17ROCPRIM_400000_NS6detail17trampoline_kernelINS0_14default_configENS1_29reduce_by_key_config_selectorIiiN6thrust23THRUST_200600_302600_NS4plusIiEEEEZZNS1_33reduce_by_key_impl_wrapped_configILNS1_25lookback_scan_determinismE0ES3_S9_NS6_6detail15normal_iteratorINS6_10device_ptrIiEEEESG_SG_SG_PmS8_22is_equal_div_10_reduceIiEEE10hipError_tPvRmT2_T3_mT4_T5_T6_T7_T8_P12ihipStream_tbENKUlT_T0_E_clISt17integral_constantIbLb0EES11_EEDaSW_SX_EUlSW_E_NS1_11comp_targetILNS1_3genE3ELNS1_11target_archE908ELNS1_3gpuE7ELNS1_3repE0EEENS1_30default_config_static_selectorELNS0_4arch9wavefront6targetE0EEEvT1_: ; @_ZN7rocprim17ROCPRIM_400000_NS6detail17trampoline_kernelINS0_14default_configENS1_29reduce_by_key_config_selectorIiiN6thrust23THRUST_200600_302600_NS4plusIiEEEEZZNS1_33reduce_by_key_impl_wrapped_configILNS1_25lookback_scan_determinismE0ES3_S9_NS6_6detail15normal_iteratorINS6_10device_ptrIiEEEESG_SG_SG_PmS8_22is_equal_div_10_reduceIiEEE10hipError_tPvRmT2_T3_mT4_T5_T6_T7_T8_P12ihipStream_tbENKUlT_T0_E_clISt17integral_constantIbLb0EES11_EEDaSW_SX_EUlSW_E_NS1_11comp_targetILNS1_3genE3ELNS1_11target_archE908ELNS1_3gpuE7ELNS1_3repE0EEENS1_30default_config_static_selectorELNS0_4arch9wavefront6targetE0EEEvT1_
; %bb.0:
	.section	.rodata,"a",@progbits
	.p2align	6, 0x0
	.amdhsa_kernel _ZN7rocprim17ROCPRIM_400000_NS6detail17trampoline_kernelINS0_14default_configENS1_29reduce_by_key_config_selectorIiiN6thrust23THRUST_200600_302600_NS4plusIiEEEEZZNS1_33reduce_by_key_impl_wrapped_configILNS1_25lookback_scan_determinismE0ES3_S9_NS6_6detail15normal_iteratorINS6_10device_ptrIiEEEESG_SG_SG_PmS8_22is_equal_div_10_reduceIiEEE10hipError_tPvRmT2_T3_mT4_T5_T6_T7_T8_P12ihipStream_tbENKUlT_T0_E_clISt17integral_constantIbLb0EES11_EEDaSW_SX_EUlSW_E_NS1_11comp_targetILNS1_3genE3ELNS1_11target_archE908ELNS1_3gpuE7ELNS1_3repE0EEENS1_30default_config_static_selectorELNS0_4arch9wavefront6targetE0EEEvT1_
		.amdhsa_group_segment_fixed_size 0
		.amdhsa_private_segment_fixed_size 0
		.amdhsa_kernarg_size 120
		.amdhsa_user_sgpr_count 15
		.amdhsa_user_sgpr_dispatch_ptr 0
		.amdhsa_user_sgpr_queue_ptr 0
		.amdhsa_user_sgpr_kernarg_segment_ptr 1
		.amdhsa_user_sgpr_dispatch_id 0
		.amdhsa_user_sgpr_private_segment_size 0
		.amdhsa_wavefront_size32 1
		.amdhsa_uses_dynamic_stack 0
		.amdhsa_enable_private_segment 0
		.amdhsa_system_sgpr_workgroup_id_x 1
		.amdhsa_system_sgpr_workgroup_id_y 0
		.amdhsa_system_sgpr_workgroup_id_z 0
		.amdhsa_system_sgpr_workgroup_info 0
		.amdhsa_system_vgpr_workitem_id 0
		.amdhsa_next_free_vgpr 1
		.amdhsa_next_free_sgpr 1
		.amdhsa_reserve_vcc 0
		.amdhsa_float_round_mode_32 0
		.amdhsa_float_round_mode_16_64 0
		.amdhsa_float_denorm_mode_32 3
		.amdhsa_float_denorm_mode_16_64 3
		.amdhsa_dx10_clamp 1
		.amdhsa_ieee_mode 1
		.amdhsa_fp16_overflow 0
		.amdhsa_workgroup_processor_mode 1
		.amdhsa_memory_ordered 1
		.amdhsa_forward_progress 0
		.amdhsa_shared_vgpr_count 0
		.amdhsa_exception_fp_ieee_invalid_op 0
		.amdhsa_exception_fp_denorm_src 0
		.amdhsa_exception_fp_ieee_div_zero 0
		.amdhsa_exception_fp_ieee_overflow 0
		.amdhsa_exception_fp_ieee_underflow 0
		.amdhsa_exception_fp_ieee_inexact 0
		.amdhsa_exception_int_div_zero 0
	.end_amdhsa_kernel
	.section	.text._ZN7rocprim17ROCPRIM_400000_NS6detail17trampoline_kernelINS0_14default_configENS1_29reduce_by_key_config_selectorIiiN6thrust23THRUST_200600_302600_NS4plusIiEEEEZZNS1_33reduce_by_key_impl_wrapped_configILNS1_25lookback_scan_determinismE0ES3_S9_NS6_6detail15normal_iteratorINS6_10device_ptrIiEEEESG_SG_SG_PmS8_22is_equal_div_10_reduceIiEEE10hipError_tPvRmT2_T3_mT4_T5_T6_T7_T8_P12ihipStream_tbENKUlT_T0_E_clISt17integral_constantIbLb0EES11_EEDaSW_SX_EUlSW_E_NS1_11comp_targetILNS1_3genE3ELNS1_11target_archE908ELNS1_3gpuE7ELNS1_3repE0EEENS1_30default_config_static_selectorELNS0_4arch9wavefront6targetE0EEEvT1_,"axG",@progbits,_ZN7rocprim17ROCPRIM_400000_NS6detail17trampoline_kernelINS0_14default_configENS1_29reduce_by_key_config_selectorIiiN6thrust23THRUST_200600_302600_NS4plusIiEEEEZZNS1_33reduce_by_key_impl_wrapped_configILNS1_25lookback_scan_determinismE0ES3_S9_NS6_6detail15normal_iteratorINS6_10device_ptrIiEEEESG_SG_SG_PmS8_22is_equal_div_10_reduceIiEEE10hipError_tPvRmT2_T3_mT4_T5_T6_T7_T8_P12ihipStream_tbENKUlT_T0_E_clISt17integral_constantIbLb0EES11_EEDaSW_SX_EUlSW_E_NS1_11comp_targetILNS1_3genE3ELNS1_11target_archE908ELNS1_3gpuE7ELNS1_3repE0EEENS1_30default_config_static_selectorELNS0_4arch9wavefront6targetE0EEEvT1_,comdat
.Lfunc_end587:
	.size	_ZN7rocprim17ROCPRIM_400000_NS6detail17trampoline_kernelINS0_14default_configENS1_29reduce_by_key_config_selectorIiiN6thrust23THRUST_200600_302600_NS4plusIiEEEEZZNS1_33reduce_by_key_impl_wrapped_configILNS1_25lookback_scan_determinismE0ES3_S9_NS6_6detail15normal_iteratorINS6_10device_ptrIiEEEESG_SG_SG_PmS8_22is_equal_div_10_reduceIiEEE10hipError_tPvRmT2_T3_mT4_T5_T6_T7_T8_P12ihipStream_tbENKUlT_T0_E_clISt17integral_constantIbLb0EES11_EEDaSW_SX_EUlSW_E_NS1_11comp_targetILNS1_3genE3ELNS1_11target_archE908ELNS1_3gpuE7ELNS1_3repE0EEENS1_30default_config_static_selectorELNS0_4arch9wavefront6targetE0EEEvT1_, .Lfunc_end587-_ZN7rocprim17ROCPRIM_400000_NS6detail17trampoline_kernelINS0_14default_configENS1_29reduce_by_key_config_selectorIiiN6thrust23THRUST_200600_302600_NS4plusIiEEEEZZNS1_33reduce_by_key_impl_wrapped_configILNS1_25lookback_scan_determinismE0ES3_S9_NS6_6detail15normal_iteratorINS6_10device_ptrIiEEEESG_SG_SG_PmS8_22is_equal_div_10_reduceIiEEE10hipError_tPvRmT2_T3_mT4_T5_T6_T7_T8_P12ihipStream_tbENKUlT_T0_E_clISt17integral_constantIbLb0EES11_EEDaSW_SX_EUlSW_E_NS1_11comp_targetILNS1_3genE3ELNS1_11target_archE908ELNS1_3gpuE7ELNS1_3repE0EEENS1_30default_config_static_selectorELNS0_4arch9wavefront6targetE0EEEvT1_
                                        ; -- End function
	.section	.AMDGPU.csdata,"",@progbits
; Kernel info:
; codeLenInByte = 0
; NumSgprs: 0
; NumVgprs: 0
; ScratchSize: 0
; MemoryBound: 0
; FloatMode: 240
; IeeeMode: 1
; LDSByteSize: 0 bytes/workgroup (compile time only)
; SGPRBlocks: 0
; VGPRBlocks: 0
; NumSGPRsForWavesPerEU: 1
; NumVGPRsForWavesPerEU: 1
; Occupancy: 16
; WaveLimiterHint : 0
; COMPUTE_PGM_RSRC2:SCRATCH_EN: 0
; COMPUTE_PGM_RSRC2:USER_SGPR: 15
; COMPUTE_PGM_RSRC2:TRAP_HANDLER: 0
; COMPUTE_PGM_RSRC2:TGID_X_EN: 1
; COMPUTE_PGM_RSRC2:TGID_Y_EN: 0
; COMPUTE_PGM_RSRC2:TGID_Z_EN: 0
; COMPUTE_PGM_RSRC2:TIDIG_COMP_CNT: 0
	.section	.text._ZN7rocprim17ROCPRIM_400000_NS6detail17trampoline_kernelINS0_14default_configENS1_29reduce_by_key_config_selectorIiiN6thrust23THRUST_200600_302600_NS4plusIiEEEEZZNS1_33reduce_by_key_impl_wrapped_configILNS1_25lookback_scan_determinismE0ES3_S9_NS6_6detail15normal_iteratorINS6_10device_ptrIiEEEESG_SG_SG_PmS8_22is_equal_div_10_reduceIiEEE10hipError_tPvRmT2_T3_mT4_T5_T6_T7_T8_P12ihipStream_tbENKUlT_T0_E_clISt17integral_constantIbLb0EES11_EEDaSW_SX_EUlSW_E_NS1_11comp_targetILNS1_3genE2ELNS1_11target_archE906ELNS1_3gpuE6ELNS1_3repE0EEENS1_30default_config_static_selectorELNS0_4arch9wavefront6targetE0EEEvT1_,"axG",@progbits,_ZN7rocprim17ROCPRIM_400000_NS6detail17trampoline_kernelINS0_14default_configENS1_29reduce_by_key_config_selectorIiiN6thrust23THRUST_200600_302600_NS4plusIiEEEEZZNS1_33reduce_by_key_impl_wrapped_configILNS1_25lookback_scan_determinismE0ES3_S9_NS6_6detail15normal_iteratorINS6_10device_ptrIiEEEESG_SG_SG_PmS8_22is_equal_div_10_reduceIiEEE10hipError_tPvRmT2_T3_mT4_T5_T6_T7_T8_P12ihipStream_tbENKUlT_T0_E_clISt17integral_constantIbLb0EES11_EEDaSW_SX_EUlSW_E_NS1_11comp_targetILNS1_3genE2ELNS1_11target_archE906ELNS1_3gpuE6ELNS1_3repE0EEENS1_30default_config_static_selectorELNS0_4arch9wavefront6targetE0EEEvT1_,comdat
	.protected	_ZN7rocprim17ROCPRIM_400000_NS6detail17trampoline_kernelINS0_14default_configENS1_29reduce_by_key_config_selectorIiiN6thrust23THRUST_200600_302600_NS4plusIiEEEEZZNS1_33reduce_by_key_impl_wrapped_configILNS1_25lookback_scan_determinismE0ES3_S9_NS6_6detail15normal_iteratorINS6_10device_ptrIiEEEESG_SG_SG_PmS8_22is_equal_div_10_reduceIiEEE10hipError_tPvRmT2_T3_mT4_T5_T6_T7_T8_P12ihipStream_tbENKUlT_T0_E_clISt17integral_constantIbLb0EES11_EEDaSW_SX_EUlSW_E_NS1_11comp_targetILNS1_3genE2ELNS1_11target_archE906ELNS1_3gpuE6ELNS1_3repE0EEENS1_30default_config_static_selectorELNS0_4arch9wavefront6targetE0EEEvT1_ ; -- Begin function _ZN7rocprim17ROCPRIM_400000_NS6detail17trampoline_kernelINS0_14default_configENS1_29reduce_by_key_config_selectorIiiN6thrust23THRUST_200600_302600_NS4plusIiEEEEZZNS1_33reduce_by_key_impl_wrapped_configILNS1_25lookback_scan_determinismE0ES3_S9_NS6_6detail15normal_iteratorINS6_10device_ptrIiEEEESG_SG_SG_PmS8_22is_equal_div_10_reduceIiEEE10hipError_tPvRmT2_T3_mT4_T5_T6_T7_T8_P12ihipStream_tbENKUlT_T0_E_clISt17integral_constantIbLb0EES11_EEDaSW_SX_EUlSW_E_NS1_11comp_targetILNS1_3genE2ELNS1_11target_archE906ELNS1_3gpuE6ELNS1_3repE0EEENS1_30default_config_static_selectorELNS0_4arch9wavefront6targetE0EEEvT1_
	.globl	_ZN7rocprim17ROCPRIM_400000_NS6detail17trampoline_kernelINS0_14default_configENS1_29reduce_by_key_config_selectorIiiN6thrust23THRUST_200600_302600_NS4plusIiEEEEZZNS1_33reduce_by_key_impl_wrapped_configILNS1_25lookback_scan_determinismE0ES3_S9_NS6_6detail15normal_iteratorINS6_10device_ptrIiEEEESG_SG_SG_PmS8_22is_equal_div_10_reduceIiEEE10hipError_tPvRmT2_T3_mT4_T5_T6_T7_T8_P12ihipStream_tbENKUlT_T0_E_clISt17integral_constantIbLb0EES11_EEDaSW_SX_EUlSW_E_NS1_11comp_targetILNS1_3genE2ELNS1_11target_archE906ELNS1_3gpuE6ELNS1_3repE0EEENS1_30default_config_static_selectorELNS0_4arch9wavefront6targetE0EEEvT1_
	.p2align	8
	.type	_ZN7rocprim17ROCPRIM_400000_NS6detail17trampoline_kernelINS0_14default_configENS1_29reduce_by_key_config_selectorIiiN6thrust23THRUST_200600_302600_NS4plusIiEEEEZZNS1_33reduce_by_key_impl_wrapped_configILNS1_25lookback_scan_determinismE0ES3_S9_NS6_6detail15normal_iteratorINS6_10device_ptrIiEEEESG_SG_SG_PmS8_22is_equal_div_10_reduceIiEEE10hipError_tPvRmT2_T3_mT4_T5_T6_T7_T8_P12ihipStream_tbENKUlT_T0_E_clISt17integral_constantIbLb0EES11_EEDaSW_SX_EUlSW_E_NS1_11comp_targetILNS1_3genE2ELNS1_11target_archE906ELNS1_3gpuE6ELNS1_3repE0EEENS1_30default_config_static_selectorELNS0_4arch9wavefront6targetE0EEEvT1_,@function
_ZN7rocprim17ROCPRIM_400000_NS6detail17trampoline_kernelINS0_14default_configENS1_29reduce_by_key_config_selectorIiiN6thrust23THRUST_200600_302600_NS4plusIiEEEEZZNS1_33reduce_by_key_impl_wrapped_configILNS1_25lookback_scan_determinismE0ES3_S9_NS6_6detail15normal_iteratorINS6_10device_ptrIiEEEESG_SG_SG_PmS8_22is_equal_div_10_reduceIiEEE10hipError_tPvRmT2_T3_mT4_T5_T6_T7_T8_P12ihipStream_tbENKUlT_T0_E_clISt17integral_constantIbLb0EES11_EEDaSW_SX_EUlSW_E_NS1_11comp_targetILNS1_3genE2ELNS1_11target_archE906ELNS1_3gpuE6ELNS1_3repE0EEENS1_30default_config_static_selectorELNS0_4arch9wavefront6targetE0EEEvT1_: ; @_ZN7rocprim17ROCPRIM_400000_NS6detail17trampoline_kernelINS0_14default_configENS1_29reduce_by_key_config_selectorIiiN6thrust23THRUST_200600_302600_NS4plusIiEEEEZZNS1_33reduce_by_key_impl_wrapped_configILNS1_25lookback_scan_determinismE0ES3_S9_NS6_6detail15normal_iteratorINS6_10device_ptrIiEEEESG_SG_SG_PmS8_22is_equal_div_10_reduceIiEEE10hipError_tPvRmT2_T3_mT4_T5_T6_T7_T8_P12ihipStream_tbENKUlT_T0_E_clISt17integral_constantIbLb0EES11_EEDaSW_SX_EUlSW_E_NS1_11comp_targetILNS1_3genE2ELNS1_11target_archE906ELNS1_3gpuE6ELNS1_3repE0EEENS1_30default_config_static_selectorELNS0_4arch9wavefront6targetE0EEEvT1_
; %bb.0:
	.section	.rodata,"a",@progbits
	.p2align	6, 0x0
	.amdhsa_kernel _ZN7rocprim17ROCPRIM_400000_NS6detail17trampoline_kernelINS0_14default_configENS1_29reduce_by_key_config_selectorIiiN6thrust23THRUST_200600_302600_NS4plusIiEEEEZZNS1_33reduce_by_key_impl_wrapped_configILNS1_25lookback_scan_determinismE0ES3_S9_NS6_6detail15normal_iteratorINS6_10device_ptrIiEEEESG_SG_SG_PmS8_22is_equal_div_10_reduceIiEEE10hipError_tPvRmT2_T3_mT4_T5_T6_T7_T8_P12ihipStream_tbENKUlT_T0_E_clISt17integral_constantIbLb0EES11_EEDaSW_SX_EUlSW_E_NS1_11comp_targetILNS1_3genE2ELNS1_11target_archE906ELNS1_3gpuE6ELNS1_3repE0EEENS1_30default_config_static_selectorELNS0_4arch9wavefront6targetE0EEEvT1_
		.amdhsa_group_segment_fixed_size 0
		.amdhsa_private_segment_fixed_size 0
		.amdhsa_kernarg_size 120
		.amdhsa_user_sgpr_count 15
		.amdhsa_user_sgpr_dispatch_ptr 0
		.amdhsa_user_sgpr_queue_ptr 0
		.amdhsa_user_sgpr_kernarg_segment_ptr 1
		.amdhsa_user_sgpr_dispatch_id 0
		.amdhsa_user_sgpr_private_segment_size 0
		.amdhsa_wavefront_size32 1
		.amdhsa_uses_dynamic_stack 0
		.amdhsa_enable_private_segment 0
		.amdhsa_system_sgpr_workgroup_id_x 1
		.amdhsa_system_sgpr_workgroup_id_y 0
		.amdhsa_system_sgpr_workgroup_id_z 0
		.amdhsa_system_sgpr_workgroup_info 0
		.amdhsa_system_vgpr_workitem_id 0
		.amdhsa_next_free_vgpr 1
		.amdhsa_next_free_sgpr 1
		.amdhsa_reserve_vcc 0
		.amdhsa_float_round_mode_32 0
		.amdhsa_float_round_mode_16_64 0
		.amdhsa_float_denorm_mode_32 3
		.amdhsa_float_denorm_mode_16_64 3
		.amdhsa_dx10_clamp 1
		.amdhsa_ieee_mode 1
		.amdhsa_fp16_overflow 0
		.amdhsa_workgroup_processor_mode 1
		.amdhsa_memory_ordered 1
		.amdhsa_forward_progress 0
		.amdhsa_shared_vgpr_count 0
		.amdhsa_exception_fp_ieee_invalid_op 0
		.amdhsa_exception_fp_denorm_src 0
		.amdhsa_exception_fp_ieee_div_zero 0
		.amdhsa_exception_fp_ieee_overflow 0
		.amdhsa_exception_fp_ieee_underflow 0
		.amdhsa_exception_fp_ieee_inexact 0
		.amdhsa_exception_int_div_zero 0
	.end_amdhsa_kernel
	.section	.text._ZN7rocprim17ROCPRIM_400000_NS6detail17trampoline_kernelINS0_14default_configENS1_29reduce_by_key_config_selectorIiiN6thrust23THRUST_200600_302600_NS4plusIiEEEEZZNS1_33reduce_by_key_impl_wrapped_configILNS1_25lookback_scan_determinismE0ES3_S9_NS6_6detail15normal_iteratorINS6_10device_ptrIiEEEESG_SG_SG_PmS8_22is_equal_div_10_reduceIiEEE10hipError_tPvRmT2_T3_mT4_T5_T6_T7_T8_P12ihipStream_tbENKUlT_T0_E_clISt17integral_constantIbLb0EES11_EEDaSW_SX_EUlSW_E_NS1_11comp_targetILNS1_3genE2ELNS1_11target_archE906ELNS1_3gpuE6ELNS1_3repE0EEENS1_30default_config_static_selectorELNS0_4arch9wavefront6targetE0EEEvT1_,"axG",@progbits,_ZN7rocprim17ROCPRIM_400000_NS6detail17trampoline_kernelINS0_14default_configENS1_29reduce_by_key_config_selectorIiiN6thrust23THRUST_200600_302600_NS4plusIiEEEEZZNS1_33reduce_by_key_impl_wrapped_configILNS1_25lookback_scan_determinismE0ES3_S9_NS6_6detail15normal_iteratorINS6_10device_ptrIiEEEESG_SG_SG_PmS8_22is_equal_div_10_reduceIiEEE10hipError_tPvRmT2_T3_mT4_T5_T6_T7_T8_P12ihipStream_tbENKUlT_T0_E_clISt17integral_constantIbLb0EES11_EEDaSW_SX_EUlSW_E_NS1_11comp_targetILNS1_3genE2ELNS1_11target_archE906ELNS1_3gpuE6ELNS1_3repE0EEENS1_30default_config_static_selectorELNS0_4arch9wavefront6targetE0EEEvT1_,comdat
.Lfunc_end588:
	.size	_ZN7rocprim17ROCPRIM_400000_NS6detail17trampoline_kernelINS0_14default_configENS1_29reduce_by_key_config_selectorIiiN6thrust23THRUST_200600_302600_NS4plusIiEEEEZZNS1_33reduce_by_key_impl_wrapped_configILNS1_25lookback_scan_determinismE0ES3_S9_NS6_6detail15normal_iteratorINS6_10device_ptrIiEEEESG_SG_SG_PmS8_22is_equal_div_10_reduceIiEEE10hipError_tPvRmT2_T3_mT4_T5_T6_T7_T8_P12ihipStream_tbENKUlT_T0_E_clISt17integral_constantIbLb0EES11_EEDaSW_SX_EUlSW_E_NS1_11comp_targetILNS1_3genE2ELNS1_11target_archE906ELNS1_3gpuE6ELNS1_3repE0EEENS1_30default_config_static_selectorELNS0_4arch9wavefront6targetE0EEEvT1_, .Lfunc_end588-_ZN7rocprim17ROCPRIM_400000_NS6detail17trampoline_kernelINS0_14default_configENS1_29reduce_by_key_config_selectorIiiN6thrust23THRUST_200600_302600_NS4plusIiEEEEZZNS1_33reduce_by_key_impl_wrapped_configILNS1_25lookback_scan_determinismE0ES3_S9_NS6_6detail15normal_iteratorINS6_10device_ptrIiEEEESG_SG_SG_PmS8_22is_equal_div_10_reduceIiEEE10hipError_tPvRmT2_T3_mT4_T5_T6_T7_T8_P12ihipStream_tbENKUlT_T0_E_clISt17integral_constantIbLb0EES11_EEDaSW_SX_EUlSW_E_NS1_11comp_targetILNS1_3genE2ELNS1_11target_archE906ELNS1_3gpuE6ELNS1_3repE0EEENS1_30default_config_static_selectorELNS0_4arch9wavefront6targetE0EEEvT1_
                                        ; -- End function
	.section	.AMDGPU.csdata,"",@progbits
; Kernel info:
; codeLenInByte = 0
; NumSgprs: 0
; NumVgprs: 0
; ScratchSize: 0
; MemoryBound: 0
; FloatMode: 240
; IeeeMode: 1
; LDSByteSize: 0 bytes/workgroup (compile time only)
; SGPRBlocks: 0
; VGPRBlocks: 0
; NumSGPRsForWavesPerEU: 1
; NumVGPRsForWavesPerEU: 1
; Occupancy: 16
; WaveLimiterHint : 0
; COMPUTE_PGM_RSRC2:SCRATCH_EN: 0
; COMPUTE_PGM_RSRC2:USER_SGPR: 15
; COMPUTE_PGM_RSRC2:TRAP_HANDLER: 0
; COMPUTE_PGM_RSRC2:TGID_X_EN: 1
; COMPUTE_PGM_RSRC2:TGID_Y_EN: 0
; COMPUTE_PGM_RSRC2:TGID_Z_EN: 0
; COMPUTE_PGM_RSRC2:TIDIG_COMP_CNT: 0
	.section	.text._ZN7rocprim17ROCPRIM_400000_NS6detail17trampoline_kernelINS0_14default_configENS1_29reduce_by_key_config_selectorIiiN6thrust23THRUST_200600_302600_NS4plusIiEEEEZZNS1_33reduce_by_key_impl_wrapped_configILNS1_25lookback_scan_determinismE0ES3_S9_NS6_6detail15normal_iteratorINS6_10device_ptrIiEEEESG_SG_SG_PmS8_22is_equal_div_10_reduceIiEEE10hipError_tPvRmT2_T3_mT4_T5_T6_T7_T8_P12ihipStream_tbENKUlT_T0_E_clISt17integral_constantIbLb0EES11_EEDaSW_SX_EUlSW_E_NS1_11comp_targetILNS1_3genE10ELNS1_11target_archE1201ELNS1_3gpuE5ELNS1_3repE0EEENS1_30default_config_static_selectorELNS0_4arch9wavefront6targetE0EEEvT1_,"axG",@progbits,_ZN7rocprim17ROCPRIM_400000_NS6detail17trampoline_kernelINS0_14default_configENS1_29reduce_by_key_config_selectorIiiN6thrust23THRUST_200600_302600_NS4plusIiEEEEZZNS1_33reduce_by_key_impl_wrapped_configILNS1_25lookback_scan_determinismE0ES3_S9_NS6_6detail15normal_iteratorINS6_10device_ptrIiEEEESG_SG_SG_PmS8_22is_equal_div_10_reduceIiEEE10hipError_tPvRmT2_T3_mT4_T5_T6_T7_T8_P12ihipStream_tbENKUlT_T0_E_clISt17integral_constantIbLb0EES11_EEDaSW_SX_EUlSW_E_NS1_11comp_targetILNS1_3genE10ELNS1_11target_archE1201ELNS1_3gpuE5ELNS1_3repE0EEENS1_30default_config_static_selectorELNS0_4arch9wavefront6targetE0EEEvT1_,comdat
	.protected	_ZN7rocprim17ROCPRIM_400000_NS6detail17trampoline_kernelINS0_14default_configENS1_29reduce_by_key_config_selectorIiiN6thrust23THRUST_200600_302600_NS4plusIiEEEEZZNS1_33reduce_by_key_impl_wrapped_configILNS1_25lookback_scan_determinismE0ES3_S9_NS6_6detail15normal_iteratorINS6_10device_ptrIiEEEESG_SG_SG_PmS8_22is_equal_div_10_reduceIiEEE10hipError_tPvRmT2_T3_mT4_T5_T6_T7_T8_P12ihipStream_tbENKUlT_T0_E_clISt17integral_constantIbLb0EES11_EEDaSW_SX_EUlSW_E_NS1_11comp_targetILNS1_3genE10ELNS1_11target_archE1201ELNS1_3gpuE5ELNS1_3repE0EEENS1_30default_config_static_selectorELNS0_4arch9wavefront6targetE0EEEvT1_ ; -- Begin function _ZN7rocprim17ROCPRIM_400000_NS6detail17trampoline_kernelINS0_14default_configENS1_29reduce_by_key_config_selectorIiiN6thrust23THRUST_200600_302600_NS4plusIiEEEEZZNS1_33reduce_by_key_impl_wrapped_configILNS1_25lookback_scan_determinismE0ES3_S9_NS6_6detail15normal_iteratorINS6_10device_ptrIiEEEESG_SG_SG_PmS8_22is_equal_div_10_reduceIiEEE10hipError_tPvRmT2_T3_mT4_T5_T6_T7_T8_P12ihipStream_tbENKUlT_T0_E_clISt17integral_constantIbLb0EES11_EEDaSW_SX_EUlSW_E_NS1_11comp_targetILNS1_3genE10ELNS1_11target_archE1201ELNS1_3gpuE5ELNS1_3repE0EEENS1_30default_config_static_selectorELNS0_4arch9wavefront6targetE0EEEvT1_
	.globl	_ZN7rocprim17ROCPRIM_400000_NS6detail17trampoline_kernelINS0_14default_configENS1_29reduce_by_key_config_selectorIiiN6thrust23THRUST_200600_302600_NS4plusIiEEEEZZNS1_33reduce_by_key_impl_wrapped_configILNS1_25lookback_scan_determinismE0ES3_S9_NS6_6detail15normal_iteratorINS6_10device_ptrIiEEEESG_SG_SG_PmS8_22is_equal_div_10_reduceIiEEE10hipError_tPvRmT2_T3_mT4_T5_T6_T7_T8_P12ihipStream_tbENKUlT_T0_E_clISt17integral_constantIbLb0EES11_EEDaSW_SX_EUlSW_E_NS1_11comp_targetILNS1_3genE10ELNS1_11target_archE1201ELNS1_3gpuE5ELNS1_3repE0EEENS1_30default_config_static_selectorELNS0_4arch9wavefront6targetE0EEEvT1_
	.p2align	8
	.type	_ZN7rocprim17ROCPRIM_400000_NS6detail17trampoline_kernelINS0_14default_configENS1_29reduce_by_key_config_selectorIiiN6thrust23THRUST_200600_302600_NS4plusIiEEEEZZNS1_33reduce_by_key_impl_wrapped_configILNS1_25lookback_scan_determinismE0ES3_S9_NS6_6detail15normal_iteratorINS6_10device_ptrIiEEEESG_SG_SG_PmS8_22is_equal_div_10_reduceIiEEE10hipError_tPvRmT2_T3_mT4_T5_T6_T7_T8_P12ihipStream_tbENKUlT_T0_E_clISt17integral_constantIbLb0EES11_EEDaSW_SX_EUlSW_E_NS1_11comp_targetILNS1_3genE10ELNS1_11target_archE1201ELNS1_3gpuE5ELNS1_3repE0EEENS1_30default_config_static_selectorELNS0_4arch9wavefront6targetE0EEEvT1_,@function
_ZN7rocprim17ROCPRIM_400000_NS6detail17trampoline_kernelINS0_14default_configENS1_29reduce_by_key_config_selectorIiiN6thrust23THRUST_200600_302600_NS4plusIiEEEEZZNS1_33reduce_by_key_impl_wrapped_configILNS1_25lookback_scan_determinismE0ES3_S9_NS6_6detail15normal_iteratorINS6_10device_ptrIiEEEESG_SG_SG_PmS8_22is_equal_div_10_reduceIiEEE10hipError_tPvRmT2_T3_mT4_T5_T6_T7_T8_P12ihipStream_tbENKUlT_T0_E_clISt17integral_constantIbLb0EES11_EEDaSW_SX_EUlSW_E_NS1_11comp_targetILNS1_3genE10ELNS1_11target_archE1201ELNS1_3gpuE5ELNS1_3repE0EEENS1_30default_config_static_selectorELNS0_4arch9wavefront6targetE0EEEvT1_: ; @_ZN7rocprim17ROCPRIM_400000_NS6detail17trampoline_kernelINS0_14default_configENS1_29reduce_by_key_config_selectorIiiN6thrust23THRUST_200600_302600_NS4plusIiEEEEZZNS1_33reduce_by_key_impl_wrapped_configILNS1_25lookback_scan_determinismE0ES3_S9_NS6_6detail15normal_iteratorINS6_10device_ptrIiEEEESG_SG_SG_PmS8_22is_equal_div_10_reduceIiEEE10hipError_tPvRmT2_T3_mT4_T5_T6_T7_T8_P12ihipStream_tbENKUlT_T0_E_clISt17integral_constantIbLb0EES11_EEDaSW_SX_EUlSW_E_NS1_11comp_targetILNS1_3genE10ELNS1_11target_archE1201ELNS1_3gpuE5ELNS1_3repE0EEENS1_30default_config_static_selectorELNS0_4arch9wavefront6targetE0EEEvT1_
; %bb.0:
	.section	.rodata,"a",@progbits
	.p2align	6, 0x0
	.amdhsa_kernel _ZN7rocprim17ROCPRIM_400000_NS6detail17trampoline_kernelINS0_14default_configENS1_29reduce_by_key_config_selectorIiiN6thrust23THRUST_200600_302600_NS4plusIiEEEEZZNS1_33reduce_by_key_impl_wrapped_configILNS1_25lookback_scan_determinismE0ES3_S9_NS6_6detail15normal_iteratorINS6_10device_ptrIiEEEESG_SG_SG_PmS8_22is_equal_div_10_reduceIiEEE10hipError_tPvRmT2_T3_mT4_T5_T6_T7_T8_P12ihipStream_tbENKUlT_T0_E_clISt17integral_constantIbLb0EES11_EEDaSW_SX_EUlSW_E_NS1_11comp_targetILNS1_3genE10ELNS1_11target_archE1201ELNS1_3gpuE5ELNS1_3repE0EEENS1_30default_config_static_selectorELNS0_4arch9wavefront6targetE0EEEvT1_
		.amdhsa_group_segment_fixed_size 0
		.amdhsa_private_segment_fixed_size 0
		.amdhsa_kernarg_size 120
		.amdhsa_user_sgpr_count 15
		.amdhsa_user_sgpr_dispatch_ptr 0
		.amdhsa_user_sgpr_queue_ptr 0
		.amdhsa_user_sgpr_kernarg_segment_ptr 1
		.amdhsa_user_sgpr_dispatch_id 0
		.amdhsa_user_sgpr_private_segment_size 0
		.amdhsa_wavefront_size32 1
		.amdhsa_uses_dynamic_stack 0
		.amdhsa_enable_private_segment 0
		.amdhsa_system_sgpr_workgroup_id_x 1
		.amdhsa_system_sgpr_workgroup_id_y 0
		.amdhsa_system_sgpr_workgroup_id_z 0
		.amdhsa_system_sgpr_workgroup_info 0
		.amdhsa_system_vgpr_workitem_id 0
		.amdhsa_next_free_vgpr 1
		.amdhsa_next_free_sgpr 1
		.amdhsa_reserve_vcc 0
		.amdhsa_float_round_mode_32 0
		.amdhsa_float_round_mode_16_64 0
		.amdhsa_float_denorm_mode_32 3
		.amdhsa_float_denorm_mode_16_64 3
		.amdhsa_dx10_clamp 1
		.amdhsa_ieee_mode 1
		.amdhsa_fp16_overflow 0
		.amdhsa_workgroup_processor_mode 1
		.amdhsa_memory_ordered 1
		.amdhsa_forward_progress 0
		.amdhsa_shared_vgpr_count 0
		.amdhsa_exception_fp_ieee_invalid_op 0
		.amdhsa_exception_fp_denorm_src 0
		.amdhsa_exception_fp_ieee_div_zero 0
		.amdhsa_exception_fp_ieee_overflow 0
		.amdhsa_exception_fp_ieee_underflow 0
		.amdhsa_exception_fp_ieee_inexact 0
		.amdhsa_exception_int_div_zero 0
	.end_amdhsa_kernel
	.section	.text._ZN7rocprim17ROCPRIM_400000_NS6detail17trampoline_kernelINS0_14default_configENS1_29reduce_by_key_config_selectorIiiN6thrust23THRUST_200600_302600_NS4plusIiEEEEZZNS1_33reduce_by_key_impl_wrapped_configILNS1_25lookback_scan_determinismE0ES3_S9_NS6_6detail15normal_iteratorINS6_10device_ptrIiEEEESG_SG_SG_PmS8_22is_equal_div_10_reduceIiEEE10hipError_tPvRmT2_T3_mT4_T5_T6_T7_T8_P12ihipStream_tbENKUlT_T0_E_clISt17integral_constantIbLb0EES11_EEDaSW_SX_EUlSW_E_NS1_11comp_targetILNS1_3genE10ELNS1_11target_archE1201ELNS1_3gpuE5ELNS1_3repE0EEENS1_30default_config_static_selectorELNS0_4arch9wavefront6targetE0EEEvT1_,"axG",@progbits,_ZN7rocprim17ROCPRIM_400000_NS6detail17trampoline_kernelINS0_14default_configENS1_29reduce_by_key_config_selectorIiiN6thrust23THRUST_200600_302600_NS4plusIiEEEEZZNS1_33reduce_by_key_impl_wrapped_configILNS1_25lookback_scan_determinismE0ES3_S9_NS6_6detail15normal_iteratorINS6_10device_ptrIiEEEESG_SG_SG_PmS8_22is_equal_div_10_reduceIiEEE10hipError_tPvRmT2_T3_mT4_T5_T6_T7_T8_P12ihipStream_tbENKUlT_T0_E_clISt17integral_constantIbLb0EES11_EEDaSW_SX_EUlSW_E_NS1_11comp_targetILNS1_3genE10ELNS1_11target_archE1201ELNS1_3gpuE5ELNS1_3repE0EEENS1_30default_config_static_selectorELNS0_4arch9wavefront6targetE0EEEvT1_,comdat
.Lfunc_end589:
	.size	_ZN7rocprim17ROCPRIM_400000_NS6detail17trampoline_kernelINS0_14default_configENS1_29reduce_by_key_config_selectorIiiN6thrust23THRUST_200600_302600_NS4plusIiEEEEZZNS1_33reduce_by_key_impl_wrapped_configILNS1_25lookback_scan_determinismE0ES3_S9_NS6_6detail15normal_iteratorINS6_10device_ptrIiEEEESG_SG_SG_PmS8_22is_equal_div_10_reduceIiEEE10hipError_tPvRmT2_T3_mT4_T5_T6_T7_T8_P12ihipStream_tbENKUlT_T0_E_clISt17integral_constantIbLb0EES11_EEDaSW_SX_EUlSW_E_NS1_11comp_targetILNS1_3genE10ELNS1_11target_archE1201ELNS1_3gpuE5ELNS1_3repE0EEENS1_30default_config_static_selectorELNS0_4arch9wavefront6targetE0EEEvT1_, .Lfunc_end589-_ZN7rocprim17ROCPRIM_400000_NS6detail17trampoline_kernelINS0_14default_configENS1_29reduce_by_key_config_selectorIiiN6thrust23THRUST_200600_302600_NS4plusIiEEEEZZNS1_33reduce_by_key_impl_wrapped_configILNS1_25lookback_scan_determinismE0ES3_S9_NS6_6detail15normal_iteratorINS6_10device_ptrIiEEEESG_SG_SG_PmS8_22is_equal_div_10_reduceIiEEE10hipError_tPvRmT2_T3_mT4_T5_T6_T7_T8_P12ihipStream_tbENKUlT_T0_E_clISt17integral_constantIbLb0EES11_EEDaSW_SX_EUlSW_E_NS1_11comp_targetILNS1_3genE10ELNS1_11target_archE1201ELNS1_3gpuE5ELNS1_3repE0EEENS1_30default_config_static_selectorELNS0_4arch9wavefront6targetE0EEEvT1_
                                        ; -- End function
	.section	.AMDGPU.csdata,"",@progbits
; Kernel info:
; codeLenInByte = 0
; NumSgprs: 0
; NumVgprs: 0
; ScratchSize: 0
; MemoryBound: 0
; FloatMode: 240
; IeeeMode: 1
; LDSByteSize: 0 bytes/workgroup (compile time only)
; SGPRBlocks: 0
; VGPRBlocks: 0
; NumSGPRsForWavesPerEU: 1
; NumVGPRsForWavesPerEU: 1
; Occupancy: 16
; WaveLimiterHint : 0
; COMPUTE_PGM_RSRC2:SCRATCH_EN: 0
; COMPUTE_PGM_RSRC2:USER_SGPR: 15
; COMPUTE_PGM_RSRC2:TRAP_HANDLER: 0
; COMPUTE_PGM_RSRC2:TGID_X_EN: 1
; COMPUTE_PGM_RSRC2:TGID_Y_EN: 0
; COMPUTE_PGM_RSRC2:TGID_Z_EN: 0
; COMPUTE_PGM_RSRC2:TIDIG_COMP_CNT: 0
	.section	.text._ZN7rocprim17ROCPRIM_400000_NS6detail17trampoline_kernelINS0_14default_configENS1_29reduce_by_key_config_selectorIiiN6thrust23THRUST_200600_302600_NS4plusIiEEEEZZNS1_33reduce_by_key_impl_wrapped_configILNS1_25lookback_scan_determinismE0ES3_S9_NS6_6detail15normal_iteratorINS6_10device_ptrIiEEEESG_SG_SG_PmS8_22is_equal_div_10_reduceIiEEE10hipError_tPvRmT2_T3_mT4_T5_T6_T7_T8_P12ihipStream_tbENKUlT_T0_E_clISt17integral_constantIbLb0EES11_EEDaSW_SX_EUlSW_E_NS1_11comp_targetILNS1_3genE10ELNS1_11target_archE1200ELNS1_3gpuE4ELNS1_3repE0EEENS1_30default_config_static_selectorELNS0_4arch9wavefront6targetE0EEEvT1_,"axG",@progbits,_ZN7rocprim17ROCPRIM_400000_NS6detail17trampoline_kernelINS0_14default_configENS1_29reduce_by_key_config_selectorIiiN6thrust23THRUST_200600_302600_NS4plusIiEEEEZZNS1_33reduce_by_key_impl_wrapped_configILNS1_25lookback_scan_determinismE0ES3_S9_NS6_6detail15normal_iteratorINS6_10device_ptrIiEEEESG_SG_SG_PmS8_22is_equal_div_10_reduceIiEEE10hipError_tPvRmT2_T3_mT4_T5_T6_T7_T8_P12ihipStream_tbENKUlT_T0_E_clISt17integral_constantIbLb0EES11_EEDaSW_SX_EUlSW_E_NS1_11comp_targetILNS1_3genE10ELNS1_11target_archE1200ELNS1_3gpuE4ELNS1_3repE0EEENS1_30default_config_static_selectorELNS0_4arch9wavefront6targetE0EEEvT1_,comdat
	.protected	_ZN7rocprim17ROCPRIM_400000_NS6detail17trampoline_kernelINS0_14default_configENS1_29reduce_by_key_config_selectorIiiN6thrust23THRUST_200600_302600_NS4plusIiEEEEZZNS1_33reduce_by_key_impl_wrapped_configILNS1_25lookback_scan_determinismE0ES3_S9_NS6_6detail15normal_iteratorINS6_10device_ptrIiEEEESG_SG_SG_PmS8_22is_equal_div_10_reduceIiEEE10hipError_tPvRmT2_T3_mT4_T5_T6_T7_T8_P12ihipStream_tbENKUlT_T0_E_clISt17integral_constantIbLb0EES11_EEDaSW_SX_EUlSW_E_NS1_11comp_targetILNS1_3genE10ELNS1_11target_archE1200ELNS1_3gpuE4ELNS1_3repE0EEENS1_30default_config_static_selectorELNS0_4arch9wavefront6targetE0EEEvT1_ ; -- Begin function _ZN7rocprim17ROCPRIM_400000_NS6detail17trampoline_kernelINS0_14default_configENS1_29reduce_by_key_config_selectorIiiN6thrust23THRUST_200600_302600_NS4plusIiEEEEZZNS1_33reduce_by_key_impl_wrapped_configILNS1_25lookback_scan_determinismE0ES3_S9_NS6_6detail15normal_iteratorINS6_10device_ptrIiEEEESG_SG_SG_PmS8_22is_equal_div_10_reduceIiEEE10hipError_tPvRmT2_T3_mT4_T5_T6_T7_T8_P12ihipStream_tbENKUlT_T0_E_clISt17integral_constantIbLb0EES11_EEDaSW_SX_EUlSW_E_NS1_11comp_targetILNS1_3genE10ELNS1_11target_archE1200ELNS1_3gpuE4ELNS1_3repE0EEENS1_30default_config_static_selectorELNS0_4arch9wavefront6targetE0EEEvT1_
	.globl	_ZN7rocprim17ROCPRIM_400000_NS6detail17trampoline_kernelINS0_14default_configENS1_29reduce_by_key_config_selectorIiiN6thrust23THRUST_200600_302600_NS4plusIiEEEEZZNS1_33reduce_by_key_impl_wrapped_configILNS1_25lookback_scan_determinismE0ES3_S9_NS6_6detail15normal_iteratorINS6_10device_ptrIiEEEESG_SG_SG_PmS8_22is_equal_div_10_reduceIiEEE10hipError_tPvRmT2_T3_mT4_T5_T6_T7_T8_P12ihipStream_tbENKUlT_T0_E_clISt17integral_constantIbLb0EES11_EEDaSW_SX_EUlSW_E_NS1_11comp_targetILNS1_3genE10ELNS1_11target_archE1200ELNS1_3gpuE4ELNS1_3repE0EEENS1_30default_config_static_selectorELNS0_4arch9wavefront6targetE0EEEvT1_
	.p2align	8
	.type	_ZN7rocprim17ROCPRIM_400000_NS6detail17trampoline_kernelINS0_14default_configENS1_29reduce_by_key_config_selectorIiiN6thrust23THRUST_200600_302600_NS4plusIiEEEEZZNS1_33reduce_by_key_impl_wrapped_configILNS1_25lookback_scan_determinismE0ES3_S9_NS6_6detail15normal_iteratorINS6_10device_ptrIiEEEESG_SG_SG_PmS8_22is_equal_div_10_reduceIiEEE10hipError_tPvRmT2_T3_mT4_T5_T6_T7_T8_P12ihipStream_tbENKUlT_T0_E_clISt17integral_constantIbLb0EES11_EEDaSW_SX_EUlSW_E_NS1_11comp_targetILNS1_3genE10ELNS1_11target_archE1200ELNS1_3gpuE4ELNS1_3repE0EEENS1_30default_config_static_selectorELNS0_4arch9wavefront6targetE0EEEvT1_,@function
_ZN7rocprim17ROCPRIM_400000_NS6detail17trampoline_kernelINS0_14default_configENS1_29reduce_by_key_config_selectorIiiN6thrust23THRUST_200600_302600_NS4plusIiEEEEZZNS1_33reduce_by_key_impl_wrapped_configILNS1_25lookback_scan_determinismE0ES3_S9_NS6_6detail15normal_iteratorINS6_10device_ptrIiEEEESG_SG_SG_PmS8_22is_equal_div_10_reduceIiEEE10hipError_tPvRmT2_T3_mT4_T5_T6_T7_T8_P12ihipStream_tbENKUlT_T0_E_clISt17integral_constantIbLb0EES11_EEDaSW_SX_EUlSW_E_NS1_11comp_targetILNS1_3genE10ELNS1_11target_archE1200ELNS1_3gpuE4ELNS1_3repE0EEENS1_30default_config_static_selectorELNS0_4arch9wavefront6targetE0EEEvT1_: ; @_ZN7rocprim17ROCPRIM_400000_NS6detail17trampoline_kernelINS0_14default_configENS1_29reduce_by_key_config_selectorIiiN6thrust23THRUST_200600_302600_NS4plusIiEEEEZZNS1_33reduce_by_key_impl_wrapped_configILNS1_25lookback_scan_determinismE0ES3_S9_NS6_6detail15normal_iteratorINS6_10device_ptrIiEEEESG_SG_SG_PmS8_22is_equal_div_10_reduceIiEEE10hipError_tPvRmT2_T3_mT4_T5_T6_T7_T8_P12ihipStream_tbENKUlT_T0_E_clISt17integral_constantIbLb0EES11_EEDaSW_SX_EUlSW_E_NS1_11comp_targetILNS1_3genE10ELNS1_11target_archE1200ELNS1_3gpuE4ELNS1_3repE0EEENS1_30default_config_static_selectorELNS0_4arch9wavefront6targetE0EEEvT1_
; %bb.0:
	.section	.rodata,"a",@progbits
	.p2align	6, 0x0
	.amdhsa_kernel _ZN7rocprim17ROCPRIM_400000_NS6detail17trampoline_kernelINS0_14default_configENS1_29reduce_by_key_config_selectorIiiN6thrust23THRUST_200600_302600_NS4plusIiEEEEZZNS1_33reduce_by_key_impl_wrapped_configILNS1_25lookback_scan_determinismE0ES3_S9_NS6_6detail15normal_iteratorINS6_10device_ptrIiEEEESG_SG_SG_PmS8_22is_equal_div_10_reduceIiEEE10hipError_tPvRmT2_T3_mT4_T5_T6_T7_T8_P12ihipStream_tbENKUlT_T0_E_clISt17integral_constantIbLb0EES11_EEDaSW_SX_EUlSW_E_NS1_11comp_targetILNS1_3genE10ELNS1_11target_archE1200ELNS1_3gpuE4ELNS1_3repE0EEENS1_30default_config_static_selectorELNS0_4arch9wavefront6targetE0EEEvT1_
		.amdhsa_group_segment_fixed_size 0
		.amdhsa_private_segment_fixed_size 0
		.amdhsa_kernarg_size 120
		.amdhsa_user_sgpr_count 15
		.amdhsa_user_sgpr_dispatch_ptr 0
		.amdhsa_user_sgpr_queue_ptr 0
		.amdhsa_user_sgpr_kernarg_segment_ptr 1
		.amdhsa_user_sgpr_dispatch_id 0
		.amdhsa_user_sgpr_private_segment_size 0
		.amdhsa_wavefront_size32 1
		.amdhsa_uses_dynamic_stack 0
		.amdhsa_enable_private_segment 0
		.amdhsa_system_sgpr_workgroup_id_x 1
		.amdhsa_system_sgpr_workgroup_id_y 0
		.amdhsa_system_sgpr_workgroup_id_z 0
		.amdhsa_system_sgpr_workgroup_info 0
		.amdhsa_system_vgpr_workitem_id 0
		.amdhsa_next_free_vgpr 1
		.amdhsa_next_free_sgpr 1
		.amdhsa_reserve_vcc 0
		.amdhsa_float_round_mode_32 0
		.amdhsa_float_round_mode_16_64 0
		.amdhsa_float_denorm_mode_32 3
		.amdhsa_float_denorm_mode_16_64 3
		.amdhsa_dx10_clamp 1
		.amdhsa_ieee_mode 1
		.amdhsa_fp16_overflow 0
		.amdhsa_workgroup_processor_mode 1
		.amdhsa_memory_ordered 1
		.amdhsa_forward_progress 0
		.amdhsa_shared_vgpr_count 0
		.amdhsa_exception_fp_ieee_invalid_op 0
		.amdhsa_exception_fp_denorm_src 0
		.amdhsa_exception_fp_ieee_div_zero 0
		.amdhsa_exception_fp_ieee_overflow 0
		.amdhsa_exception_fp_ieee_underflow 0
		.amdhsa_exception_fp_ieee_inexact 0
		.amdhsa_exception_int_div_zero 0
	.end_amdhsa_kernel
	.section	.text._ZN7rocprim17ROCPRIM_400000_NS6detail17trampoline_kernelINS0_14default_configENS1_29reduce_by_key_config_selectorIiiN6thrust23THRUST_200600_302600_NS4plusIiEEEEZZNS1_33reduce_by_key_impl_wrapped_configILNS1_25lookback_scan_determinismE0ES3_S9_NS6_6detail15normal_iteratorINS6_10device_ptrIiEEEESG_SG_SG_PmS8_22is_equal_div_10_reduceIiEEE10hipError_tPvRmT2_T3_mT4_T5_T6_T7_T8_P12ihipStream_tbENKUlT_T0_E_clISt17integral_constantIbLb0EES11_EEDaSW_SX_EUlSW_E_NS1_11comp_targetILNS1_3genE10ELNS1_11target_archE1200ELNS1_3gpuE4ELNS1_3repE0EEENS1_30default_config_static_selectorELNS0_4arch9wavefront6targetE0EEEvT1_,"axG",@progbits,_ZN7rocprim17ROCPRIM_400000_NS6detail17trampoline_kernelINS0_14default_configENS1_29reduce_by_key_config_selectorIiiN6thrust23THRUST_200600_302600_NS4plusIiEEEEZZNS1_33reduce_by_key_impl_wrapped_configILNS1_25lookback_scan_determinismE0ES3_S9_NS6_6detail15normal_iteratorINS6_10device_ptrIiEEEESG_SG_SG_PmS8_22is_equal_div_10_reduceIiEEE10hipError_tPvRmT2_T3_mT4_T5_T6_T7_T8_P12ihipStream_tbENKUlT_T0_E_clISt17integral_constantIbLb0EES11_EEDaSW_SX_EUlSW_E_NS1_11comp_targetILNS1_3genE10ELNS1_11target_archE1200ELNS1_3gpuE4ELNS1_3repE0EEENS1_30default_config_static_selectorELNS0_4arch9wavefront6targetE0EEEvT1_,comdat
.Lfunc_end590:
	.size	_ZN7rocprim17ROCPRIM_400000_NS6detail17trampoline_kernelINS0_14default_configENS1_29reduce_by_key_config_selectorIiiN6thrust23THRUST_200600_302600_NS4plusIiEEEEZZNS1_33reduce_by_key_impl_wrapped_configILNS1_25lookback_scan_determinismE0ES3_S9_NS6_6detail15normal_iteratorINS6_10device_ptrIiEEEESG_SG_SG_PmS8_22is_equal_div_10_reduceIiEEE10hipError_tPvRmT2_T3_mT4_T5_T6_T7_T8_P12ihipStream_tbENKUlT_T0_E_clISt17integral_constantIbLb0EES11_EEDaSW_SX_EUlSW_E_NS1_11comp_targetILNS1_3genE10ELNS1_11target_archE1200ELNS1_3gpuE4ELNS1_3repE0EEENS1_30default_config_static_selectorELNS0_4arch9wavefront6targetE0EEEvT1_, .Lfunc_end590-_ZN7rocprim17ROCPRIM_400000_NS6detail17trampoline_kernelINS0_14default_configENS1_29reduce_by_key_config_selectorIiiN6thrust23THRUST_200600_302600_NS4plusIiEEEEZZNS1_33reduce_by_key_impl_wrapped_configILNS1_25lookback_scan_determinismE0ES3_S9_NS6_6detail15normal_iteratorINS6_10device_ptrIiEEEESG_SG_SG_PmS8_22is_equal_div_10_reduceIiEEE10hipError_tPvRmT2_T3_mT4_T5_T6_T7_T8_P12ihipStream_tbENKUlT_T0_E_clISt17integral_constantIbLb0EES11_EEDaSW_SX_EUlSW_E_NS1_11comp_targetILNS1_3genE10ELNS1_11target_archE1200ELNS1_3gpuE4ELNS1_3repE0EEENS1_30default_config_static_selectorELNS0_4arch9wavefront6targetE0EEEvT1_
                                        ; -- End function
	.section	.AMDGPU.csdata,"",@progbits
; Kernel info:
; codeLenInByte = 0
; NumSgprs: 0
; NumVgprs: 0
; ScratchSize: 0
; MemoryBound: 0
; FloatMode: 240
; IeeeMode: 1
; LDSByteSize: 0 bytes/workgroup (compile time only)
; SGPRBlocks: 0
; VGPRBlocks: 0
; NumSGPRsForWavesPerEU: 1
; NumVGPRsForWavesPerEU: 1
; Occupancy: 16
; WaveLimiterHint : 0
; COMPUTE_PGM_RSRC2:SCRATCH_EN: 0
; COMPUTE_PGM_RSRC2:USER_SGPR: 15
; COMPUTE_PGM_RSRC2:TRAP_HANDLER: 0
; COMPUTE_PGM_RSRC2:TGID_X_EN: 1
; COMPUTE_PGM_RSRC2:TGID_Y_EN: 0
; COMPUTE_PGM_RSRC2:TGID_Z_EN: 0
; COMPUTE_PGM_RSRC2:TIDIG_COMP_CNT: 0
	.section	.text._ZN7rocprim17ROCPRIM_400000_NS6detail17trampoline_kernelINS0_14default_configENS1_29reduce_by_key_config_selectorIiiN6thrust23THRUST_200600_302600_NS4plusIiEEEEZZNS1_33reduce_by_key_impl_wrapped_configILNS1_25lookback_scan_determinismE0ES3_S9_NS6_6detail15normal_iteratorINS6_10device_ptrIiEEEESG_SG_SG_PmS8_22is_equal_div_10_reduceIiEEE10hipError_tPvRmT2_T3_mT4_T5_T6_T7_T8_P12ihipStream_tbENKUlT_T0_E_clISt17integral_constantIbLb0EES11_EEDaSW_SX_EUlSW_E_NS1_11comp_targetILNS1_3genE9ELNS1_11target_archE1100ELNS1_3gpuE3ELNS1_3repE0EEENS1_30default_config_static_selectorELNS0_4arch9wavefront6targetE0EEEvT1_,"axG",@progbits,_ZN7rocprim17ROCPRIM_400000_NS6detail17trampoline_kernelINS0_14default_configENS1_29reduce_by_key_config_selectorIiiN6thrust23THRUST_200600_302600_NS4plusIiEEEEZZNS1_33reduce_by_key_impl_wrapped_configILNS1_25lookback_scan_determinismE0ES3_S9_NS6_6detail15normal_iteratorINS6_10device_ptrIiEEEESG_SG_SG_PmS8_22is_equal_div_10_reduceIiEEE10hipError_tPvRmT2_T3_mT4_T5_T6_T7_T8_P12ihipStream_tbENKUlT_T0_E_clISt17integral_constantIbLb0EES11_EEDaSW_SX_EUlSW_E_NS1_11comp_targetILNS1_3genE9ELNS1_11target_archE1100ELNS1_3gpuE3ELNS1_3repE0EEENS1_30default_config_static_selectorELNS0_4arch9wavefront6targetE0EEEvT1_,comdat
	.protected	_ZN7rocprim17ROCPRIM_400000_NS6detail17trampoline_kernelINS0_14default_configENS1_29reduce_by_key_config_selectorIiiN6thrust23THRUST_200600_302600_NS4plusIiEEEEZZNS1_33reduce_by_key_impl_wrapped_configILNS1_25lookback_scan_determinismE0ES3_S9_NS6_6detail15normal_iteratorINS6_10device_ptrIiEEEESG_SG_SG_PmS8_22is_equal_div_10_reduceIiEEE10hipError_tPvRmT2_T3_mT4_T5_T6_T7_T8_P12ihipStream_tbENKUlT_T0_E_clISt17integral_constantIbLb0EES11_EEDaSW_SX_EUlSW_E_NS1_11comp_targetILNS1_3genE9ELNS1_11target_archE1100ELNS1_3gpuE3ELNS1_3repE0EEENS1_30default_config_static_selectorELNS0_4arch9wavefront6targetE0EEEvT1_ ; -- Begin function _ZN7rocprim17ROCPRIM_400000_NS6detail17trampoline_kernelINS0_14default_configENS1_29reduce_by_key_config_selectorIiiN6thrust23THRUST_200600_302600_NS4plusIiEEEEZZNS1_33reduce_by_key_impl_wrapped_configILNS1_25lookback_scan_determinismE0ES3_S9_NS6_6detail15normal_iteratorINS6_10device_ptrIiEEEESG_SG_SG_PmS8_22is_equal_div_10_reduceIiEEE10hipError_tPvRmT2_T3_mT4_T5_T6_T7_T8_P12ihipStream_tbENKUlT_T0_E_clISt17integral_constantIbLb0EES11_EEDaSW_SX_EUlSW_E_NS1_11comp_targetILNS1_3genE9ELNS1_11target_archE1100ELNS1_3gpuE3ELNS1_3repE0EEENS1_30default_config_static_selectorELNS0_4arch9wavefront6targetE0EEEvT1_
	.globl	_ZN7rocprim17ROCPRIM_400000_NS6detail17trampoline_kernelINS0_14default_configENS1_29reduce_by_key_config_selectorIiiN6thrust23THRUST_200600_302600_NS4plusIiEEEEZZNS1_33reduce_by_key_impl_wrapped_configILNS1_25lookback_scan_determinismE0ES3_S9_NS6_6detail15normal_iteratorINS6_10device_ptrIiEEEESG_SG_SG_PmS8_22is_equal_div_10_reduceIiEEE10hipError_tPvRmT2_T3_mT4_T5_T6_T7_T8_P12ihipStream_tbENKUlT_T0_E_clISt17integral_constantIbLb0EES11_EEDaSW_SX_EUlSW_E_NS1_11comp_targetILNS1_3genE9ELNS1_11target_archE1100ELNS1_3gpuE3ELNS1_3repE0EEENS1_30default_config_static_selectorELNS0_4arch9wavefront6targetE0EEEvT1_
	.p2align	8
	.type	_ZN7rocprim17ROCPRIM_400000_NS6detail17trampoline_kernelINS0_14default_configENS1_29reduce_by_key_config_selectorIiiN6thrust23THRUST_200600_302600_NS4plusIiEEEEZZNS1_33reduce_by_key_impl_wrapped_configILNS1_25lookback_scan_determinismE0ES3_S9_NS6_6detail15normal_iteratorINS6_10device_ptrIiEEEESG_SG_SG_PmS8_22is_equal_div_10_reduceIiEEE10hipError_tPvRmT2_T3_mT4_T5_T6_T7_T8_P12ihipStream_tbENKUlT_T0_E_clISt17integral_constantIbLb0EES11_EEDaSW_SX_EUlSW_E_NS1_11comp_targetILNS1_3genE9ELNS1_11target_archE1100ELNS1_3gpuE3ELNS1_3repE0EEENS1_30default_config_static_selectorELNS0_4arch9wavefront6targetE0EEEvT1_,@function
_ZN7rocprim17ROCPRIM_400000_NS6detail17trampoline_kernelINS0_14default_configENS1_29reduce_by_key_config_selectorIiiN6thrust23THRUST_200600_302600_NS4plusIiEEEEZZNS1_33reduce_by_key_impl_wrapped_configILNS1_25lookback_scan_determinismE0ES3_S9_NS6_6detail15normal_iteratorINS6_10device_ptrIiEEEESG_SG_SG_PmS8_22is_equal_div_10_reduceIiEEE10hipError_tPvRmT2_T3_mT4_T5_T6_T7_T8_P12ihipStream_tbENKUlT_T0_E_clISt17integral_constantIbLb0EES11_EEDaSW_SX_EUlSW_E_NS1_11comp_targetILNS1_3genE9ELNS1_11target_archE1100ELNS1_3gpuE3ELNS1_3repE0EEENS1_30default_config_static_selectorELNS0_4arch9wavefront6targetE0EEEvT1_: ; @_ZN7rocprim17ROCPRIM_400000_NS6detail17trampoline_kernelINS0_14default_configENS1_29reduce_by_key_config_selectorIiiN6thrust23THRUST_200600_302600_NS4plusIiEEEEZZNS1_33reduce_by_key_impl_wrapped_configILNS1_25lookback_scan_determinismE0ES3_S9_NS6_6detail15normal_iteratorINS6_10device_ptrIiEEEESG_SG_SG_PmS8_22is_equal_div_10_reduceIiEEE10hipError_tPvRmT2_T3_mT4_T5_T6_T7_T8_P12ihipStream_tbENKUlT_T0_E_clISt17integral_constantIbLb0EES11_EEDaSW_SX_EUlSW_E_NS1_11comp_targetILNS1_3genE9ELNS1_11target_archE1100ELNS1_3gpuE3ELNS1_3repE0EEENS1_30default_config_static_selectorELNS0_4arch9wavefront6targetE0EEEvT1_
; %bb.0:
	s_clause 0x4
	s_load_b256 s[16:23], s[0:1], 0x0
	s_load_b256 s[24:31], s[0:1], 0x38
	s_load_b128 s[36:39], s[0:1], 0x20
	s_load_b64 s[34:35], s[0:1], 0x68
	s_load_b128 s[40:43], s[0:1], 0x58
	s_mov_b32 s3, 0
	s_mul_i32 s2, s15, 0xf00
	s_waitcnt lgkmcnt(0)
	s_lshl_b64 s[0:1], s[18:19], 2
	s_mul_i32 s4, s28, s27
	s_add_u32 s8, s16, s0
	s_mul_hi_u32 s5, s28, s26
	s_addc_u32 s9, s17, s1
	s_add_u32 s10, s20, s0
	s_mul_i32 s6, s29, s26
	s_addc_u32 s11, s21, s1
	s_add_i32 s4, s5, s4
	s_lshl_b64 s[0:1], s[2:3], 2
	s_add_i32 s4, s4, s6
	s_add_u32 s14, s8, s0
	s_addc_u32 s21, s9, s1
	s_mul_i32 s7, s28, s26
	s_add_u32 s20, s10, s0
	s_addc_u32 s29, s11, s1
	s_add_u32 s16, s7, s15
	s_addc_u32 s17, s4, 0
	s_add_u32 s0, s30, -1
	s_addc_u32 s1, s31, -1
	s_mul_i32 s19, s0, 0xfffff100
	s_cmp_eq_u64 s[16:17], s[0:1]
	s_cselect_b32 s18, -1, 0
	s_cmp_lg_u64 s[16:17], s[0:1]
	s_cselect_b32 s28, -1, 0
	s_and_b32 vcc_lo, exec_lo, s18
	s_cbranch_vccnz .LBB591_2
; %bb.1:
	v_lshlrev_b32_e32 v8, 2, v0
	s_delay_alu instid0(VALU_DEP_1) | instskip(NEXT) | instid1(VALU_DEP_1)
	v_add_co_u32 v1, s0, s14, v8
	v_add_co_ci_u32_e64 v2, null, s21, 0, s0
	s_delay_alu instid0(VALU_DEP_2) | instskip(NEXT) | instid1(VALU_DEP_2)
	v_add_co_u32 v3, vcc_lo, 0x1000, v1
	v_add_co_ci_u32_e32 v4, vcc_lo, 0, v2, vcc_lo
	s_clause 0x7
	flat_load_b32 v9, v[1:2]
	flat_load_b32 v10, v[1:2] offset:1024
	flat_load_b32 v11, v[1:2] offset:2048
	;; [unrolled: 1-line block ×3, first 2 shown]
	flat_load_b32 v13, v[3:4]
	flat_load_b32 v14, v[3:4] offset:1024
	flat_load_b32 v15, v[3:4] offset:2048
	;; [unrolled: 1-line block ×3, first 2 shown]
	v_add_co_u32 v3, vcc_lo, 0x2000, v1
	v_add_co_ci_u32_e32 v4, vcc_lo, 0, v2, vcc_lo
	v_add_co_u32 v1, vcc_lo, 0x3000, v1
	v_add_co_ci_u32_e32 v2, vcc_lo, 0, v2, vcc_lo
	s_clause 0x6
	flat_load_b32 v17, v[3:4]
	flat_load_b32 v18, v[3:4] offset:1024
	flat_load_b32 v19, v[3:4] offset:2048
	;; [unrolled: 1-line block ×3, first 2 shown]
	flat_load_b32 v21, v[1:2]
	flat_load_b32 v22, v[1:2] offset:1024
	flat_load_b32 v25, v[1:2] offset:2048
	v_add_co_u32 v2, s0, s20, v8
	s_delay_alu instid0(VALU_DEP_1) | instskip(SKIP_1) | instid1(VALU_DEP_3)
	v_add_co_ci_u32_e64 v3, null, s29, 0, s0
	v_mad_u32_u24 v1, v0, 56, v8
	v_add_co_u32 v4, vcc_lo, 0x1000, v2
	s_delay_alu instid0(VALU_DEP_3)
	v_add_co_ci_u32_e32 v5, vcc_lo, 0, v3, vcc_lo
	v_add_co_u32 v6, vcc_lo, 0x2000, v2
	v_add_co_ci_u32_e32 v7, vcc_lo, 0, v3, vcc_lo
	v_add_co_u32 v23, vcc_lo, 0x3000, v2
	v_add_co_ci_u32_e32 v24, vcc_lo, 0, v3, vcc_lo
	s_waitcnt vmcnt(13) lgkmcnt(13)
	ds_store_2addr_stride64_b32 v8, v9, v10 offset1:4
	s_waitcnt vmcnt(11) lgkmcnt(12)
	ds_store_2addr_stride64_b32 v8, v11, v12 offset0:8 offset1:12
	s_waitcnt vmcnt(9) lgkmcnt(11)
	ds_store_2addr_stride64_b32 v8, v13, v14 offset0:16 offset1:20
	;; [unrolled: 2-line block ×6, first 2 shown]
	s_waitcnt vmcnt(0) lgkmcnt(7)
	ds_store_b32 v8, v25 offset:14336
	s_waitcnt lgkmcnt(0)
	s_barrier
	buffer_gl0_inv
	ds_load_2addr_b32 v[21:22], v1 offset1:1
	ds_load_2addr_b32 v[19:20], v1 offset0:2 offset1:3
	ds_load_2addr_b32 v[17:18], v1 offset0:4 offset1:5
	;; [unrolled: 1-line block ×6, first 2 shown]
	ds_load_b32 v77, v1 offset:56
	s_waitcnt lgkmcnt(0)
	s_barrier
	buffer_gl0_inv
	s_clause 0xe
	flat_load_b32 v25, v[2:3]
	flat_load_b32 v26, v[2:3] offset:1024
	flat_load_b32 v27, v[2:3] offset:2048
	flat_load_b32 v2, v[2:3] offset:3072
	flat_load_b32 v3, v[4:5]
	flat_load_b32 v28, v[4:5] offset:1024
	flat_load_b32 v29, v[4:5] offset:2048
	flat_load_b32 v4, v[4:5] offset:3072
	;; [unrolled: 4-line block ×3, first 2 shown]
	flat_load_b32 v7, v[23:24]
	flat_load_b32 v32, v[23:24] offset:1024
	flat_load_b32 v23, v[23:24] offset:2048
	s_waitcnt vmcnt(13) lgkmcnt(13)
	ds_store_2addr_stride64_b32 v8, v25, v26 offset1:4
	s_waitcnt vmcnt(11) lgkmcnt(12)
	ds_store_2addr_stride64_b32 v8, v27, v2 offset0:8 offset1:12
	s_waitcnt vmcnt(9) lgkmcnt(11)
	ds_store_2addr_stride64_b32 v8, v3, v28 offset0:16 offset1:20
	s_waitcnt vmcnt(7) lgkmcnt(10)
	ds_store_2addr_stride64_b32 v8, v29, v4 offset0:24 offset1:28
	s_waitcnt vmcnt(5) lgkmcnt(9)
	ds_store_2addr_stride64_b32 v8, v5, v30 offset0:32 offset1:36
	s_waitcnt vmcnt(3) lgkmcnt(8)
	ds_store_2addr_stride64_b32 v8, v31, v6 offset0:40 offset1:44
	s_waitcnt vmcnt(1) lgkmcnt(7)
	ds_store_2addr_stride64_b32 v8, v7, v32 offset0:48 offset1:52
	s_waitcnt vmcnt(0) lgkmcnt(7)
	ds_store_b32 v8, v23 offset:14336
	s_waitcnt lgkmcnt(0)
	s_barrier
	s_and_not1_b32 vcc_lo, exec_lo, s3
	s_add_i32 s19, s19, s40
	s_cbranch_vccz .LBB591_3
	s_branch .LBB591_50
.LBB591_2:
                                        ; implicit-def: $vgpr1
                                        ; implicit-def: $vgpr21
                                        ; implicit-def: $vgpr19
                                        ; implicit-def: $vgpr17
                                        ; implicit-def: $vgpr15
                                        ; implicit-def: $vgpr13
                                        ; implicit-def: $vgpr11
                                        ; implicit-def: $vgpr9
                                        ; implicit-def: $vgpr77
	s_add_i32 s19, s19, s40
.LBB591_3:
	s_delay_alu instid0(SALU_CYCLE_1)
	v_cmp_gt_u32_e32 vcc_lo, s19, v0
                                        ; implicit-def: $vgpr1
	s_and_saveexec_b32 s0, vcc_lo
	s_cbranch_execz .LBB591_5
; %bb.4:
	v_lshlrev_b32_e32 v1, 2, v0
	s_delay_alu instid0(VALU_DEP_1) | instskip(NEXT) | instid1(VALU_DEP_1)
	v_add_co_u32 v1, s1, s14, v1
	v_add_co_ci_u32_e64 v2, null, s21, 0, s1
	flat_load_b32 v1, v[1:2]
.LBB591_5:
	s_or_b32 exec_lo, exec_lo, s0
	v_or_b32_e32 v2, 0x100, v0
                                        ; implicit-def: $vgpr9
	s_delay_alu instid0(VALU_DEP_1) | instskip(NEXT) | instid1(VALU_DEP_1)
	v_cmp_gt_u32_e64 s0, s19, v2
	s_and_saveexec_b32 s1, s0
	s_cbranch_execz .LBB591_7
; %bb.6:
	v_lshlrev_b32_e32 v2, 2, v0
	s_delay_alu instid0(VALU_DEP_1) | instskip(NEXT) | instid1(VALU_DEP_1)
	v_add_co_u32 v2, s2, s14, v2
	v_add_co_ci_u32_e64 v3, null, s21, 0, s2
	flat_load_b32 v9, v[2:3] offset:1024
.LBB591_7:
	s_or_b32 exec_lo, exec_lo, s1
	v_or_b32_e32 v2, 0x200, v0
                                        ; implicit-def: $vgpr10
	s_delay_alu instid0(VALU_DEP_1) | instskip(NEXT) | instid1(VALU_DEP_1)
	v_cmp_gt_u32_e64 s1, s19, v2
	s_and_saveexec_b32 s2, s1
	s_cbranch_execz .LBB591_9
; %bb.8:
	v_lshlrev_b32_e32 v2, 2, v0
	s_delay_alu instid0(VALU_DEP_1) | instskip(NEXT) | instid1(VALU_DEP_1)
	v_add_co_u32 v2, s3, s14, v2
	v_add_co_ci_u32_e64 v3, null, s21, 0, s3
	flat_load_b32 v10, v[2:3] offset:2048
.LBB591_9:
	s_or_b32 exec_lo, exec_lo, s2
	v_or_b32_e32 v2, 0x300, v0
                                        ; implicit-def: $vgpr11
	s_delay_alu instid0(VALU_DEP_1) | instskip(NEXT) | instid1(VALU_DEP_1)
	v_cmp_gt_u32_e64 s2, s19, v2
	s_and_saveexec_b32 s3, s2
	s_cbranch_execz .LBB591_11
; %bb.10:
	v_lshlrev_b32_e32 v2, 2, v0
	s_delay_alu instid0(VALU_DEP_1) | instskip(NEXT) | instid1(VALU_DEP_1)
	v_add_co_u32 v2, s4, s14, v2
	v_add_co_ci_u32_e64 v3, null, s21, 0, s4
	flat_load_b32 v11, v[2:3] offset:3072
.LBB591_11:
	s_or_b32 exec_lo, exec_lo, s3
	v_or_b32_e32 v2, 0x400, v0
                                        ; implicit-def: $vgpr12
	s_delay_alu instid0(VALU_DEP_1) | instskip(SKIP_1) | instid1(VALU_DEP_2)
	v_cmp_gt_u32_e64 s3, s19, v2
	v_lshlrev_b32_e32 v2, 2, v2
	s_and_saveexec_b32 s4, s3
	s_cbranch_execz .LBB591_13
; %bb.12:
	s_delay_alu instid0(VALU_DEP_1) | instskip(NEXT) | instid1(VALU_DEP_1)
	v_add_co_u32 v3, s5, s14, v2
	v_add_co_ci_u32_e64 v4, null, s21, 0, s5
	flat_load_b32 v12, v[3:4]
.LBB591_13:
	s_or_b32 exec_lo, exec_lo, s4
	v_or_b32_e32 v3, 0x500, v0
                                        ; implicit-def: $vgpr13
	s_delay_alu instid0(VALU_DEP_1) | instskip(SKIP_1) | instid1(VALU_DEP_2)
	v_cmp_gt_u32_e64 s4, s19, v3
	v_lshlrev_b32_e32 v3, 2, v3
	s_and_saveexec_b32 s5, s4
	s_cbranch_execz .LBB591_15
; %bb.14:
	s_delay_alu instid0(VALU_DEP_1) | instskip(NEXT) | instid1(VALU_DEP_1)
	v_add_co_u32 v4, s6, s14, v3
	v_add_co_ci_u32_e64 v5, null, s21, 0, s6
	flat_load_b32 v13, v[4:5]
.LBB591_15:
	s_or_b32 exec_lo, exec_lo, s5
	v_or_b32_e32 v4, 0x600, v0
                                        ; implicit-def: $vgpr14
	s_delay_alu instid0(VALU_DEP_1) | instskip(SKIP_1) | instid1(VALU_DEP_2)
	v_cmp_gt_u32_e64 s5, s19, v4
	v_lshlrev_b32_e32 v4, 2, v4
	s_and_saveexec_b32 s6, s5
	s_cbranch_execz .LBB591_17
; %bb.16:
	s_delay_alu instid0(VALU_DEP_1) | instskip(NEXT) | instid1(VALU_DEP_1)
	v_add_co_u32 v5, s7, s14, v4
	v_add_co_ci_u32_e64 v6, null, s21, 0, s7
	flat_load_b32 v14, v[5:6]
.LBB591_17:
	s_or_b32 exec_lo, exec_lo, s6
	v_or_b32_e32 v5, 0x700, v0
                                        ; implicit-def: $vgpr15
	s_delay_alu instid0(VALU_DEP_1) | instskip(SKIP_1) | instid1(VALU_DEP_2)
	v_cmp_gt_u32_e64 s6, s19, v5
	v_lshlrev_b32_e32 v5, 2, v5
	s_and_saveexec_b32 s7, s6
	s_cbranch_execz .LBB591_19
; %bb.18:
	s_delay_alu instid0(VALU_DEP_1) | instskip(NEXT) | instid1(VALU_DEP_1)
	v_add_co_u32 v6, s8, s14, v5
	v_add_co_ci_u32_e64 v7, null, s21, 0, s8
	flat_load_b32 v15, v[6:7]
.LBB591_19:
	s_or_b32 exec_lo, exec_lo, s7
	v_or_b32_e32 v6, 0x800, v0
                                        ; implicit-def: $vgpr16
	s_delay_alu instid0(VALU_DEP_1) | instskip(SKIP_1) | instid1(VALU_DEP_2)
	v_cmp_gt_u32_e64 s7, s19, v6
	v_lshlrev_b32_e32 v6, 2, v6
	s_and_saveexec_b32 s8, s7
	s_cbranch_execz .LBB591_21
; %bb.20:
	s_delay_alu instid0(VALU_DEP_1) | instskip(NEXT) | instid1(VALU_DEP_1)
	v_add_co_u32 v7, s9, s14, v6
	v_add_co_ci_u32_e64 v8, null, s21, 0, s9
	flat_load_b32 v16, v[7:8]
.LBB591_21:
	s_or_b32 exec_lo, exec_lo, s8
	v_or_b32_e32 v7, 0x900, v0
                                        ; implicit-def: $vgpr17
	s_delay_alu instid0(VALU_DEP_1) | instskip(SKIP_1) | instid1(VALU_DEP_2)
	v_cmp_gt_u32_e64 s8, s19, v7
	v_lshlrev_b32_e32 v7, 2, v7
	s_and_saveexec_b32 s9, s8
	s_cbranch_execz .LBB591_23
; %bb.22:
	s_delay_alu instid0(VALU_DEP_1) | instskip(NEXT) | instid1(VALU_DEP_1)
	v_add_co_u32 v17, s10, s14, v7
	v_add_co_ci_u32_e64 v18, null, s21, 0, s10
	flat_load_b32 v17, v[17:18]
.LBB591_23:
	s_or_b32 exec_lo, exec_lo, s9
	v_or_b32_e32 v8, 0xa00, v0
                                        ; implicit-def: $vgpr18
	s_delay_alu instid0(VALU_DEP_1) | instskip(SKIP_1) | instid1(VALU_DEP_2)
	v_cmp_gt_u32_e64 s9, s19, v8
	v_lshlrev_b32_e32 v23, 2, v8
	s_and_saveexec_b32 s10, s9
	s_cbranch_execz .LBB591_25
; %bb.24:
	s_delay_alu instid0(VALU_DEP_1) | instskip(NEXT) | instid1(VALU_DEP_1)
	v_add_co_u32 v18, s11, s14, v23
	v_add_co_ci_u32_e64 v19, null, s21, 0, s11
	flat_load_b32 v18, v[18:19]
.LBB591_25:
	s_or_b32 exec_lo, exec_lo, s10
	v_or_b32_e32 v8, 0xb00, v0
                                        ; implicit-def: $vgpr19
	s_delay_alu instid0(VALU_DEP_1) | instskip(SKIP_1) | instid1(VALU_DEP_2)
	v_cmp_gt_u32_e64 s10, s19, v8
	v_lshlrev_b32_e32 v24, 2, v8
	s_and_saveexec_b32 s11, s10
	s_cbranch_execz .LBB591_27
; %bb.26:
	s_delay_alu instid0(VALU_DEP_1) | instskip(NEXT) | instid1(VALU_DEP_1)
	v_add_co_u32 v19, s12, s14, v24
	v_add_co_ci_u32_e64 v20, null, s21, 0, s12
	flat_load_b32 v19, v[19:20]
.LBB591_27:
	s_or_b32 exec_lo, exec_lo, s11
	v_or_b32_e32 v8, 0xc00, v0
                                        ; implicit-def: $vgpr20
	s_delay_alu instid0(VALU_DEP_1) | instskip(SKIP_1) | instid1(VALU_DEP_2)
	v_cmp_gt_u32_e64 s11, s19, v8
	v_lshlrev_b32_e32 v25, 2, v8
	s_and_saveexec_b32 s12, s11
	s_cbranch_execz .LBB591_29
; %bb.28:
	s_delay_alu instid0(VALU_DEP_1) | instskip(NEXT) | instid1(VALU_DEP_1)
	v_add_co_u32 v20, s13, s14, v25
	v_add_co_ci_u32_e64 v21, null, s21, 0, s13
	flat_load_b32 v20, v[20:21]
.LBB591_29:
	s_or_b32 exec_lo, exec_lo, s12
	v_or_b32_e32 v8, 0xd00, v0
                                        ; implicit-def: $vgpr21
	s_delay_alu instid0(VALU_DEP_1) | instskip(SKIP_1) | instid1(VALU_DEP_2)
	v_cmp_gt_u32_e64 s12, s19, v8
	v_lshlrev_b32_e32 v26, 2, v8
	s_and_saveexec_b32 s13, s12
	s_cbranch_execz .LBB591_31
; %bb.30:
	s_delay_alu instid0(VALU_DEP_1) | instskip(NEXT) | instid1(VALU_DEP_1)
	v_add_co_u32 v21, s30, s14, v26
	v_add_co_ci_u32_e64 v22, null, s21, 0, s30
	flat_load_b32 v21, v[21:22]
.LBB591_31:
	s_or_b32 exec_lo, exec_lo, s13
	v_or_b32_e32 v8, 0xe00, v0
                                        ; implicit-def: $vgpr22
	s_delay_alu instid0(VALU_DEP_1) | instskip(SKIP_1) | instid1(VALU_DEP_2)
	v_cmp_gt_u32_e64 s13, s19, v8
	v_lshlrev_b32_e32 v27, 2, v8
	s_and_saveexec_b32 s30, s13
	s_cbranch_execz .LBB591_33
; %bb.32:
	s_delay_alu instid0(VALU_DEP_1) | instskip(NEXT) | instid1(VALU_DEP_1)
	v_add_co_u32 v28, s31, s14, v27
	v_add_co_ci_u32_e64 v29, null, s21, 0, s31
	flat_load_b32 v22, v[28:29]
.LBB591_33:
	s_or_b32 exec_lo, exec_lo, s30
	v_lshlrev_b32_e32 v8, 2, v0
                                        ; implicit-def: $vgpr28
	s_waitcnt vmcnt(0) lgkmcnt(0)
	ds_store_2addr_stride64_b32 v8, v1, v9 offset1:4
	ds_store_2addr_stride64_b32 v8, v10, v11 offset0:8 offset1:12
	ds_store_2addr_stride64_b32 v8, v12, v13 offset0:16 offset1:20
	;; [unrolled: 1-line block ×6, first 2 shown]
	v_mad_u32_u24 v1, v0, 56, v8
	ds_store_b32 v8, v22 offset:14336
	s_waitcnt lgkmcnt(0)
	s_barrier
	buffer_gl0_inv
	ds_load_2addr_b32 v[21:22], v1 offset1:1
	ds_load_2addr_b32 v[19:20], v1 offset0:2 offset1:3
	ds_load_2addr_b32 v[17:18], v1 offset0:4 offset1:5
	;; [unrolled: 1-line block ×6, first 2 shown]
	ds_load_b32 v77, v1 offset:56
	s_waitcnt lgkmcnt(0)
	s_barrier
	buffer_gl0_inv
	s_and_saveexec_b32 s30, vcc_lo
	s_cbranch_execnz .LBB591_57
; %bb.34:
	s_or_b32 exec_lo, exec_lo, s30
                                        ; implicit-def: $vgpr29
	s_and_saveexec_b32 s30, s0
	s_cbranch_execnz .LBB591_58
.LBB591_35:
	s_or_b32 exec_lo, exec_lo, s30
                                        ; implicit-def: $vgpr30
	s_and_saveexec_b32 s0, s1
	s_cbranch_execnz .LBB591_59
.LBB591_36:
	s_or_b32 exec_lo, exec_lo, s0
                                        ; implicit-def: $vgpr31
	s_and_saveexec_b32 s0, s2
	s_cbranch_execnz .LBB591_60
.LBB591_37:
	s_or_b32 exec_lo, exec_lo, s0
                                        ; implicit-def: $vgpr32
	s_and_saveexec_b32 s0, s3
	s_cbranch_execnz .LBB591_61
.LBB591_38:
	s_or_b32 exec_lo, exec_lo, s0
                                        ; implicit-def: $vgpr2
	s_and_saveexec_b32 s0, s4
	s_cbranch_execnz .LBB591_62
.LBB591_39:
	s_or_b32 exec_lo, exec_lo, s0
                                        ; implicit-def: $vgpr3
	s_and_saveexec_b32 s0, s5
	s_cbranch_execnz .LBB591_63
.LBB591_40:
	s_or_b32 exec_lo, exec_lo, s0
                                        ; implicit-def: $vgpr4
	s_and_saveexec_b32 s0, s6
	s_cbranch_execnz .LBB591_64
.LBB591_41:
	s_or_b32 exec_lo, exec_lo, s0
                                        ; implicit-def: $vgpr5
	s_and_saveexec_b32 s0, s7
	s_cbranch_execnz .LBB591_65
.LBB591_42:
	s_or_b32 exec_lo, exec_lo, s0
                                        ; implicit-def: $vgpr6
	s_and_saveexec_b32 s0, s8
	s_cbranch_execnz .LBB591_66
.LBB591_43:
	s_or_b32 exec_lo, exec_lo, s0
                                        ; implicit-def: $vgpr7
	s_and_saveexec_b32 s0, s9
	s_cbranch_execnz .LBB591_67
.LBB591_44:
	s_or_b32 exec_lo, exec_lo, s0
                                        ; implicit-def: $vgpr23
	s_and_saveexec_b32 s0, s10
	s_cbranch_execnz .LBB591_68
.LBB591_45:
	s_or_b32 exec_lo, exec_lo, s0
                                        ; implicit-def: $vgpr24
	s_and_saveexec_b32 s0, s11
	s_cbranch_execnz .LBB591_69
.LBB591_46:
	s_or_b32 exec_lo, exec_lo, s0
                                        ; implicit-def: $vgpr25
	s_and_saveexec_b32 s0, s12
	s_cbranch_execnz .LBB591_70
.LBB591_47:
	s_or_b32 exec_lo, exec_lo, s0
                                        ; implicit-def: $vgpr26
	s_and_saveexec_b32 s0, s13
	s_cbranch_execz .LBB591_49
.LBB591_48:
	v_add_co_u32 v26, s1, s20, v27
	s_delay_alu instid0(VALU_DEP_1)
	v_add_co_ci_u32_e64 v27, null, s29, 0, s1
	flat_load_b32 v26, v[26:27]
.LBB591_49:
	s_or_b32 exec_lo, exec_lo, s0
	s_waitcnt vmcnt(0) lgkmcnt(0)
	ds_store_2addr_stride64_b32 v8, v28, v29 offset1:4
	ds_store_2addr_stride64_b32 v8, v30, v31 offset0:8 offset1:12
	ds_store_2addr_stride64_b32 v8, v32, v2 offset0:16 offset1:20
	;; [unrolled: 1-line block ×6, first 2 shown]
	ds_store_b32 v8, v26 offset:14336
	s_waitcnt lgkmcnt(0)
	s_barrier
.LBB591_50:
	buffer_gl0_inv
	ds_load_2addr_b32 v[49:50], v1 offset1:1
	ds_load_2addr_b32 v[47:48], v1 offset0:2 offset1:3
	ds_load_2addr_b32 v[45:46], v1 offset0:4 offset1:5
	;; [unrolled: 1-line block ×6, first 2 shown]
	ds_load_b32 v80, v1 offset:56
	s_cmp_eq_u64 s[16:17], 0
	s_waitcnt lgkmcnt(0)
	s_cselect_b32 s20, -1, 0
	s_cmp_lg_u64 s[16:17], 0
	s_barrier
	s_cselect_b32 s29, -1, 0
	s_and_b32 vcc_lo, exec_lo, s28
	buffer_gl0_inv
	s_cbranch_vccz .LBB591_56
; %bb.51:
	s_and_b32 vcc_lo, exec_lo, s29
	s_cbranch_vccz .LBB591_71
; %bb.52:
	v_add_co_u32 v1, s0, -4, s14
	s_delay_alu instid0(VALU_DEP_1)
	v_add_co_ci_u32_e64 v2, null, -1, s21, s0
	v_mul_hi_i32 v3, 0x66666667, v10
	v_mul_hi_i32 v4, 0x66666667, v77
	;; [unrolled: 1-line block ×3, first 2 shown]
	flat_load_b32 v1, v[1:2]
	v_mul_hi_i32 v23, 0x66666667, v12
	v_mul_hi_i32 v24, 0x66666667, v11
	;; [unrolled: 1-line block ×3, first 2 shown]
	v_lshlrev_b32_e32 v2, 2, v0
	v_lshrrev_b32_e32 v6, 31, v3
	v_ashrrev_i32_e32 v3, 2, v3
	v_lshrrev_b32_e32 v7, 31, v4
	v_ashrrev_i32_e32 v4, 2, v4
	;; [unrolled: 2-line block ×3, first 2 shown]
	v_add_nc_u32_e32 v3, v3, v6
	v_mul_hi_i32 v6, 0x66666667, v14
	v_add_nc_u32_e32 v4, v4, v7
	v_lshrrev_b32_e32 v7, 31, v23
	v_add_nc_u32_e32 v5, v5, v8
	v_ashrrev_i32_e32 v8, 2, v23
	v_lshrrev_b32_e32 v23, 31, v24
	v_ashrrev_i32_e32 v24, 2, v24
	v_cmp_ne_u32_e32 vcc_lo, v3, v4
	v_cmp_ne_u32_e64 s0, v5, v3
	v_add_nc_u32_e32 v3, v8, v7
	v_lshrrev_b32_e32 v26, 31, v6
	v_ashrrev_i32_e32 v6, 2, v6
	v_add_nc_u32_e32 v4, v24, v23
	v_mul_hi_i32 v8, 0x66666667, v16
	v_mul_hi_i32 v24, 0x66666667, v15
	v_cmp_ne_u32_e64 s1, v3, v5
	v_mul_hi_i32 v5, 0x66666667, v18
	v_add_nc_u32_e32 v6, v6, v26
	v_lshrrev_b32_e32 v7, 31, v25
	v_ashrrev_i32_e32 v23, 2, v25
	v_cmp_ne_u32_e64 s2, v4, v3
	s_mov_b32 s28, -1
	v_cmp_ne_u32_e64 s3, v6, v4
	v_lshrrev_b32_e32 v4, 31, v8
	v_add_nc_u32_e32 v3, v23, v7
	v_ashrrev_i32_e32 v7, 2, v8
	v_lshrrev_b32_e32 v8, 31, v24
	v_ashrrev_i32_e32 v23, 2, v24
	v_lshrrev_b32_e32 v24, 31, v5
	v_ashrrev_i32_e32 v5, 2, v5
	v_add_nc_u32_e32 v4, v7, v4
	v_cmp_ne_u32_e64 s4, v3, v6
	v_add_nc_u32_e32 v6, v23, v8
	v_mul_hi_i32 v7, 0x66666667, v17
	v_add_nc_u32_e32 v5, v5, v24
	v_cmp_ne_u32_e64 s5, v4, v3
	v_mul_hi_i32 v3, 0x66666667, v20
	v_cmp_ne_u32_e64 s6, v6, v4
	v_mul_hi_i32 v4, 0x66666667, v19
	;; [unrolled: 2-line block ×3, first 2 shown]
	v_mul_hi_i32 v23, 0x66666667, v21
	v_lshrrev_b32_e32 v8, 31, v7
	v_ashrrev_i32_e32 v7, 2, v7
	v_lshrrev_b32_e32 v24, 31, v3
	v_ashrrev_i32_e32 v3, 2, v3
	;; [unrolled: 2-line block ×5, first 2 shown]
	v_add_nc_u32_e32 v7, v7, v8
	v_add_nc_u32_e32 v8, v3, v24
	;; [unrolled: 1-line block ×5, first 2 shown]
	v_cmp_ne_u32_e64 s12, v7, v5
	v_cmp_ne_u32_e64 s8, v8, v7
	;; [unrolled: 1-line block ×5, first 2 shown]
	s_mov_b32 s30, 0
	s_mov_b32 s31, exec_lo
	ds_store_b32 v2, v77
	s_waitcnt vmcnt(0) lgkmcnt(0)
	s_barrier
	buffer_gl0_inv
	v_cmpx_ne_u32_e32 0, v0
	s_cbranch_execz .LBB591_54
; %bb.53:
	v_add_nc_u32_e32 v1, -4, v2
	ds_load_b32 v1, v1
.LBB591_54:
	s_or_b32 exec_lo, exec_lo, s31
	s_waitcnt lgkmcnt(0)
	v_mul_hi_i32 v1, 0x66666667, v1
	v_cndmask_b32_e64 v78, 0, 1, vcc_lo
	v_cndmask_b32_e64 v2, 0, 1, s0
	v_cndmask_b32_e64 v79, 0, 1, s1
	;; [unrolled: 1-line block ×6, first 2 shown]
	v_lshrrev_b32_e32 v4, 31, v1
	v_ashrrev_i32_e32 v1, 2, v1
	v_cndmask_b32_e64 v30, 0, 1, s6
	v_cndmask_b32_e64 v29, 0, 1, s7
	;; [unrolled: 1-line block ×4, first 2 shown]
	v_add_nc_u32_e32 v1, v1, v4
	v_cndmask_b32_e64 v34, 0, 1, s9
	v_cndmask_b32_e64 v33, 0, 1, s10
	;; [unrolled: 1-line block ×3, first 2 shown]
	s_delay_alu instid0(VALU_DEP_4)
	v_cmp_ne_u32_e64 s2, v1, v3
	s_and_b32 vcc_lo, exec_lo, s30
	s_cbranch_vccnz .LBB591_72
.LBB591_55:
                                        ; implicit-def: $sgpr0
	s_branch .LBB591_75
.LBB591_56:
	s_mov_b32 s28, 0
                                        ; implicit-def: $sgpr2
                                        ; implicit-def: $vgpr78
                                        ; implicit-def: $vgpr2
                                        ; implicit-def: $vgpr79
                                        ; implicit-def: $vgpr24
                                        ; implicit-def: $vgpr23
                                        ; implicit-def: $vgpr26
                                        ; implicit-def: $vgpr25
                                        ; implicit-def: $vgpr30
                                        ; implicit-def: $vgpr29
                                        ; implicit-def: $vgpr32
                                        ; implicit-def: $vgpr31
                                        ; implicit-def: $vgpr34
                                        ; implicit-def: $vgpr33
                                        ; implicit-def: $vgpr36
                                        ; implicit-def: $vgpr28
                                        ; implicit-def: $sgpr0
	s_cbranch_execnz .LBB591_76
	s_branch .LBB591_111
.LBB591_57:
	v_add_co_u32 v28, s31, s20, v8
	s_delay_alu instid0(VALU_DEP_1)
	v_add_co_ci_u32_e64 v29, null, s29, 0, s31
	flat_load_b32 v28, v[28:29]
	s_or_b32 exec_lo, exec_lo, s30
                                        ; implicit-def: $vgpr29
	s_and_saveexec_b32 s30, s0
	s_cbranch_execz .LBB591_35
.LBB591_58:
	v_add_co_u32 v29, s0, s20, v8
	s_delay_alu instid0(VALU_DEP_1)
	v_add_co_ci_u32_e64 v30, null, s29, 0, s0
	flat_load_b32 v29, v[29:30] offset:1024
	s_or_b32 exec_lo, exec_lo, s30
                                        ; implicit-def: $vgpr30
	s_and_saveexec_b32 s0, s1
	s_cbranch_execz .LBB591_36
.LBB591_59:
	v_add_co_u32 v30, s1, s20, v8
	s_delay_alu instid0(VALU_DEP_1)
	v_add_co_ci_u32_e64 v31, null, s29, 0, s1
	flat_load_b32 v30, v[30:31] offset:2048
	s_or_b32 exec_lo, exec_lo, s0
                                        ; implicit-def: $vgpr31
	s_and_saveexec_b32 s0, s2
	s_cbranch_execz .LBB591_37
.LBB591_60:
	v_add_co_u32 v31, s1, s20, v8
	s_delay_alu instid0(VALU_DEP_1)
	v_add_co_ci_u32_e64 v32, null, s29, 0, s1
	flat_load_b32 v31, v[31:32] offset:3072
	s_or_b32 exec_lo, exec_lo, s0
                                        ; implicit-def: $vgpr32
	s_and_saveexec_b32 s0, s3
	s_cbranch_execz .LBB591_38
.LBB591_61:
	v_add_co_u32 v32, s1, s20, v2
	s_delay_alu instid0(VALU_DEP_1)
	v_add_co_ci_u32_e64 v33, null, s29, 0, s1
	flat_load_b32 v32, v[32:33]
	s_or_b32 exec_lo, exec_lo, s0
                                        ; implicit-def: $vgpr2
	s_and_saveexec_b32 s0, s4
	s_cbranch_execz .LBB591_39
.LBB591_62:
	v_add_co_u32 v2, s1, s20, v3
	s_delay_alu instid0(VALU_DEP_1)
	v_add_co_ci_u32_e64 v3, null, s29, 0, s1
	flat_load_b32 v2, v[2:3]
	s_or_b32 exec_lo, exec_lo, s0
                                        ; implicit-def: $vgpr3
	s_and_saveexec_b32 s0, s5
	s_cbranch_execz .LBB591_40
.LBB591_63:
	v_add_co_u32 v3, s1, s20, v4
	s_delay_alu instid0(VALU_DEP_1)
	v_add_co_ci_u32_e64 v4, null, s29, 0, s1
	flat_load_b32 v3, v[3:4]
	s_or_b32 exec_lo, exec_lo, s0
                                        ; implicit-def: $vgpr4
	s_and_saveexec_b32 s0, s6
	s_cbranch_execz .LBB591_41
.LBB591_64:
	v_add_co_u32 v4, s1, s20, v5
	s_delay_alu instid0(VALU_DEP_1)
	v_add_co_ci_u32_e64 v5, null, s29, 0, s1
	flat_load_b32 v4, v[4:5]
	s_or_b32 exec_lo, exec_lo, s0
                                        ; implicit-def: $vgpr5
	s_and_saveexec_b32 s0, s7
	s_cbranch_execz .LBB591_42
.LBB591_65:
	v_add_co_u32 v5, s1, s20, v6
	s_delay_alu instid0(VALU_DEP_1)
	v_add_co_ci_u32_e64 v6, null, s29, 0, s1
	flat_load_b32 v5, v[5:6]
	s_or_b32 exec_lo, exec_lo, s0
                                        ; implicit-def: $vgpr6
	s_and_saveexec_b32 s0, s8
	s_cbranch_execz .LBB591_43
.LBB591_66:
	v_add_co_u32 v6, s1, s20, v7
	s_delay_alu instid0(VALU_DEP_1)
	v_add_co_ci_u32_e64 v7, null, s29, 0, s1
	flat_load_b32 v6, v[6:7]
	s_or_b32 exec_lo, exec_lo, s0
                                        ; implicit-def: $vgpr7
	s_and_saveexec_b32 s0, s9
	s_cbranch_execz .LBB591_44
.LBB591_67:
	v_add_co_u32 v33, s1, s20, v23
	s_delay_alu instid0(VALU_DEP_1)
	v_add_co_ci_u32_e64 v34, null, s29, 0, s1
	flat_load_b32 v7, v[33:34]
	s_or_b32 exec_lo, exec_lo, s0
                                        ; implicit-def: $vgpr23
	s_and_saveexec_b32 s0, s10
	s_cbranch_execz .LBB591_45
.LBB591_68:
	v_add_co_u32 v23, s1, s20, v24
	s_delay_alu instid0(VALU_DEP_1)
	v_add_co_ci_u32_e64 v24, null, s29, 0, s1
	flat_load_b32 v23, v[23:24]
	s_or_b32 exec_lo, exec_lo, s0
                                        ; implicit-def: $vgpr24
	s_and_saveexec_b32 s0, s11
	s_cbranch_execz .LBB591_46
.LBB591_69:
	v_add_co_u32 v24, s1, s20, v25
	s_delay_alu instid0(VALU_DEP_1)
	v_add_co_ci_u32_e64 v25, null, s29, 0, s1
	flat_load_b32 v24, v[24:25]
	s_or_b32 exec_lo, exec_lo, s0
                                        ; implicit-def: $vgpr25
	s_and_saveexec_b32 s0, s12
	s_cbranch_execz .LBB591_47
.LBB591_70:
	v_add_co_u32 v25, s1, s20, v26
	s_delay_alu instid0(VALU_DEP_1)
	v_add_co_ci_u32_e64 v26, null, s29, 0, s1
	flat_load_b32 v25, v[25:26]
	s_or_b32 exec_lo, exec_lo, s0
                                        ; implicit-def: $vgpr26
	s_and_saveexec_b32 s0, s13
	s_cbranch_execnz .LBB591_48
	s_branch .LBB591_49
.LBB591_71:
	s_mov_b32 s28, 0
                                        ; implicit-def: $sgpr2
                                        ; implicit-def: $vgpr78
                                        ; implicit-def: $vgpr2
                                        ; implicit-def: $vgpr79
                                        ; implicit-def: $vgpr24
                                        ; implicit-def: $vgpr23
                                        ; implicit-def: $vgpr26
                                        ; implicit-def: $vgpr25
                                        ; implicit-def: $vgpr30
                                        ; implicit-def: $vgpr29
                                        ; implicit-def: $vgpr32
                                        ; implicit-def: $vgpr31
                                        ; implicit-def: $vgpr34
                                        ; implicit-def: $vgpr33
                                        ; implicit-def: $vgpr36
	s_cbranch_execz .LBB591_55
.LBB591_72:
	v_mul_hi_i32 v1, 0x66666667, v10
	v_mul_hi_i32 v2, 0x66666667, v77
	;; [unrolled: 1-line block ×8, first 2 shown]
	v_lshrrev_b32_e32 v6, 31, v1
	v_ashrrev_i32_e32 v7, 2, v1
	v_lshrrev_b32_e32 v8, 31, v2
	v_ashrrev_i32_e32 v2, 2, v2
	;; [unrolled: 2-line block ×3, first 2 shown]
	v_add_nc_u32_e32 v6, v7, v6
	v_lshrrev_b32_e32 v7, 31, v4
	v_add_nc_u32_e32 v2, v2, v8
	v_ashrrev_i32_e32 v4, 2, v4
	v_add_nc_u32_e32 v3, v3, v23
	v_mul_hi_i32 v23, 0x66666667, v14
	v_lshrrev_b32_e32 v8, 31, v5
	v_cmp_ne_u32_e32 vcc_lo, v6, v2
	v_ashrrev_i32_e32 v5, 2, v5
	v_add_nc_u32_e32 v4, v4, v7
	v_mul_hi_i32 v27, 0x66666667, v18
	v_mul_hi_i32 v28, 0x66666667, v17
	v_cndmask_b32_e64 v78, 0, 1, vcc_lo
	v_cmp_ne_u32_e32 vcc_lo, v3, v6
	v_add_nc_u32_e32 v5, v5, v8
	v_lshrrev_b32_e32 v6, 31, v23
	v_ashrrev_i32_e32 v7, 2, v23
	v_lshrrev_b32_e32 v8, 31, v24
	v_cndmask_b32_e64 v2, 0, 1, vcc_lo
	v_cmp_ne_u32_e32 vcc_lo, v4, v3
	v_ashrrev_i32_e32 v23, 2, v24
	v_add_nc_u32_e32 v3, v7, v6
	v_lshrrev_b32_e32 v6, 31, v25
	v_ashrrev_i32_e32 v7, 2, v25
	v_cndmask_b32_e64 v79, 0, 1, vcc_lo
	v_cmp_ne_u32_e32 vcc_lo, v5, v4
	v_add_nc_u32_e32 v4, v23, v8
	v_lshrrev_b32_e32 v8, 31, v26
	v_ashrrev_i32_e32 v25, 2, v26
	v_lshlrev_b32_e32 v1, 2, v0
	v_cndmask_b32_e64 v24, 0, 1, vcc_lo
	v_cmp_ne_u32_e32 vcc_lo, v3, v5
	s_mov_b32 s0, exec_lo
	v_add_nc_u32_e32 v5, v25, v8
	v_lshrrev_b32_e32 v8, 31, v28
	ds_store_b32 v1, v77
	v_cndmask_b32_e64 v23, 0, 1, vcc_lo
	v_cmp_ne_u32_e32 vcc_lo, v4, v3
	v_add_nc_u32_e32 v3, v7, v6
	v_lshrrev_b32_e32 v6, 31, v27
	v_ashrrev_i32_e32 v7, 2, v27
	v_ashrrev_i32_e32 v27, 2, v28
	v_cndmask_b32_e64 v26, 0, 1, vcc_lo
	v_cmp_ne_u32_e32 vcc_lo, v3, v4
	s_waitcnt lgkmcnt(0)
	v_add_nc_u32_e32 v4, v7, v6
	v_mul_hi_i32 v6, 0x66666667, v20
	v_mul_hi_i32 v7, 0x66666667, v19
	v_cndmask_b32_e64 v25, 0, 1, vcc_lo
	v_cmp_ne_u32_e32 vcc_lo, v5, v3
	v_add_nc_u32_e32 v3, v27, v8
	s_barrier
	buffer_gl0_inv
                                        ; implicit-def: $sgpr2
	v_cndmask_b32_e64 v30, 0, 1, vcc_lo
	v_cmp_ne_u32_e32 vcc_lo, v4, v5
	v_lshrrev_b32_e32 v8, 31, v6
	v_ashrrev_i32_e32 v6, 2, v6
	v_mul_hi_i32 v5, 0x66666667, v22
	v_lshrrev_b32_e32 v27, 31, v7
	v_cndmask_b32_e64 v29, 0, 1, vcc_lo
	v_cmp_ne_u32_e32 vcc_lo, v3, v4
	v_ashrrev_i32_e32 v7, 2, v7
	v_add_nc_u32_e32 v6, v6, v8
	v_mul_hi_i32 v4, 0x66666667, v21
	v_cndmask_b32_e64 v32, 0, 1, vcc_lo
	v_lshrrev_b32_e32 v28, 31, v5
	v_ashrrev_i32_e32 v5, 2, v5
	v_add_nc_u32_e32 v7, v7, v27
	v_cmp_ne_u32_e32 vcc_lo, v6, v3
	v_lshrrev_b32_e32 v8, 31, v4
	v_ashrrev_i32_e32 v4, 2, v4
	v_add_nc_u32_e32 v5, v5, v28
	v_cndmask_b32_e64 v31, 0, 1, vcc_lo
	v_cmp_ne_u32_e32 vcc_lo, v7, v6
	s_delay_alu instid0(VALU_DEP_4) | instskip(SKIP_3) | instid1(VALU_DEP_4)
	v_add_nc_u32_e32 v3, v4, v8
	v_cndmask_b32_e64 v34, 0, 1, vcc_lo
	v_cmp_ne_u32_e32 vcc_lo, v5, v7
	v_cndmask_b32_e64 v33, 0, 1, vcc_lo
	v_cmp_ne_u32_e32 vcc_lo, v3, v5
	v_cndmask_b32_e64 v36, 0, 1, vcc_lo
	v_cmpx_ne_u32_e32 0, v0
	s_xor_b32 s0, exec_lo, s0
	s_cbranch_execz .LBB591_74
; %bb.73:
	v_add_nc_u32_e32 v1, -4, v1
	s_or_b32 s28, s28, exec_lo
	ds_load_b32 v1, v1
	s_waitcnt lgkmcnt(0)
	v_mul_hi_i32 v1, 0x66666667, v1
	s_delay_alu instid0(VALU_DEP_1) | instskip(SKIP_1) | instid1(VALU_DEP_1)
	v_lshrrev_b32_e32 v4, 31, v1
	v_ashrrev_i32_e32 v1, 2, v1
	v_add_nc_u32_e32 v1, v1, v4
	s_delay_alu instid0(VALU_DEP_1)
	v_cmp_ne_u32_e32 vcc_lo, v1, v3
	s_and_b32 s2, vcc_lo, exec_lo
.LBB591_74:
	s_or_b32 exec_lo, exec_lo, s0
	s_mov_b32 s0, 1
.LBB591_75:
	v_mov_b32_e32 v28, v2
	s_branch .LBB591_111
.LBB591_76:
	s_mul_hi_u32 s0, s16, 0xfffff100
	s_mul_i32 s1, s17, 0xfffff100
	s_sub_i32 s0, s0, s16
	s_mul_i32 s2, s16, 0xfffff100
	v_mul_u32_u24_e32 v3, 15, v0
	v_mad_u32_u24 v27, v0, 15, 14
	s_add_i32 s1, s0, s1
	s_add_u32 s0, s2, s40
	s_addc_u32 s1, s1, s41
	s_and_b32 vcc_lo, exec_lo, s29
	s_cbranch_vccz .LBB591_191
; %bb.77:
	v_add_co_u32 v1, s2, -4, s14
	s_delay_alu instid0(VALU_DEP_1)
	v_add_co_ci_u32_e64 v2, null, -1, s21, s2
	v_lshlrev_b32_e32 v4, 2, v0
	v_mov_b32_e32 v78, 0
	s_mov_b32 s2, exec_lo
	flat_load_b32 v5, v[1:2]
	v_mov_b32_e32 v2, 0
	ds_store_b32 v4, v77
	v_mov_b32_e32 v28, v2
	s_delay_alu instid0(VALU_DEP_1)
	v_cmpx_gt_u64_e64 s[0:1], v[27:28]
; %bb.78:
	v_mul_hi_i32 v1, 0x66666667, v10
	v_mul_hi_i32 v6, 0x66666667, v77
	s_delay_alu instid0(VALU_DEP_2) | instskip(SKIP_1) | instid1(VALU_DEP_3)
	v_lshrrev_b32_e32 v7, 31, v1
	v_ashrrev_i32_e32 v1, 2, v1
	v_lshrrev_b32_e32 v8, 31, v6
	v_ashrrev_i32_e32 v6, 2, v6
	s_delay_alu instid0(VALU_DEP_3) | instskip(NEXT) | instid1(VALU_DEP_2)
	v_add_nc_u32_e32 v1, v1, v7
	v_add_nc_u32_e32 v6, v6, v8
	s_delay_alu instid0(VALU_DEP_1)
	v_cmp_ne_u32_e32 vcc_lo, v1, v6
	v_cndmask_b32_e64 v78, 0, 1, vcc_lo
; %bb.79:
	s_or_b32 exec_lo, exec_lo, s2
	v_add_nc_u32_e32 v1, 13, v3
	s_mov_b32 s2, exec_lo
	s_delay_alu instid0(VALU_DEP_1)
	v_cmpx_gt_u64_e64 s[0:1], v[1:2]
; %bb.80:
	v_mul_hi_i32 v1, 0x66666667, v9
	v_mul_hi_i32 v2, 0x66666667, v10
	s_delay_alu instid0(VALU_DEP_2) | instskip(SKIP_1) | instid1(VALU_DEP_3)
	v_lshrrev_b32_e32 v6, 31, v1
	v_ashrrev_i32_e32 v1, 2, v1
	v_lshrrev_b32_e32 v7, 31, v2
	v_ashrrev_i32_e32 v2, 2, v2
	s_delay_alu instid0(VALU_DEP_3) | instskip(NEXT) | instid1(VALU_DEP_2)
	v_add_nc_u32_e32 v1, v1, v6
	v_add_nc_u32_e32 v2, v2, v7
	s_delay_alu instid0(VALU_DEP_1)
	v_cmp_ne_u32_e32 vcc_lo, v1, v2
	v_cndmask_b32_e64 v2, 0, 1, vcc_lo
; %bb.81:
	s_or_b32 exec_lo, exec_lo, s2
	v_dual_mov_b32 v24, 0 :: v_dual_add_nc_u32 v23, 12, v3
	v_mov_b32_e32 v79, 0
	s_mov_b32 s2, exec_lo
	s_delay_alu instid0(VALU_DEP_2)
	v_cmpx_gt_u64_e64 s[0:1], v[23:24]
; %bb.82:
	v_mul_hi_i32 v1, 0x66666667, v12
	v_mul_hi_i32 v6, 0x66666667, v9
	s_delay_alu instid0(VALU_DEP_2) | instskip(SKIP_1) | instid1(VALU_DEP_3)
	v_lshrrev_b32_e32 v7, 31, v1
	v_ashrrev_i32_e32 v1, 2, v1
	v_lshrrev_b32_e32 v8, 31, v6
	v_ashrrev_i32_e32 v6, 2, v6
	s_delay_alu instid0(VALU_DEP_3) | instskip(NEXT) | instid1(VALU_DEP_2)
	v_add_nc_u32_e32 v1, v1, v7
	v_add_nc_u32_e32 v6, v6, v8
	s_delay_alu instid0(VALU_DEP_1)
	v_cmp_ne_u32_e32 vcc_lo, v1, v6
	v_cndmask_b32_e64 v79, 0, 1, vcc_lo
; %bb.83:
	s_or_b32 exec_lo, exec_lo, s2
	v_add_nc_u32_e32 v23, 11, v3
	s_mov_b32 s2, exec_lo
	s_delay_alu instid0(VALU_DEP_1)
	v_cmpx_gt_u64_e64 s[0:1], v[23:24]
; %bb.84:
	v_mul_hi_i32 v1, 0x66666667, v11
	v_mul_hi_i32 v6, 0x66666667, v12
	s_delay_alu instid0(VALU_DEP_2) | instskip(SKIP_1) | instid1(VALU_DEP_3)
	v_lshrrev_b32_e32 v7, 31, v1
	v_ashrrev_i32_e32 v1, 2, v1
	v_lshrrev_b32_e32 v8, 31, v6
	v_ashrrev_i32_e32 v6, 2, v6
	s_delay_alu instid0(VALU_DEP_3) | instskip(NEXT) | instid1(VALU_DEP_2)
	v_add_nc_u32_e32 v1, v1, v7
	v_add_nc_u32_e32 v6, v6, v8
	s_delay_alu instid0(VALU_DEP_1)
	v_cmp_ne_u32_e32 vcc_lo, v1, v6
	v_cndmask_b32_e64 v24, 0, 1, vcc_lo
; %bb.85:
	s_or_b32 exec_lo, exec_lo, s2
	v_dual_mov_b32 v26, 0 :: v_dual_add_nc_u32 v25, 10, v3
	v_mov_b32_e32 v23, 0
	s_mov_b32 s2, exec_lo
	s_delay_alu instid0(VALU_DEP_2)
	;; [unrolled: 41-line block ×6, first 2 shown]
	v_cmpx_gt_u64_e64 s[0:1], v[35:36]
; %bb.102:
	v_mul_hi_i32 v1, 0x66666667, v22
	v_mul_hi_i32 v6, 0x66666667, v19
	s_delay_alu instid0(VALU_DEP_2) | instskip(SKIP_1) | instid1(VALU_DEP_3)
	v_lshrrev_b32_e32 v7, 31, v1
	v_ashrrev_i32_e32 v1, 2, v1
	v_lshrrev_b32_e32 v8, 31, v6
	v_ashrrev_i32_e32 v6, 2, v6
	s_delay_alu instid0(VALU_DEP_3) | instskip(NEXT) | instid1(VALU_DEP_2)
	v_add_nc_u32_e32 v1, v1, v7
	v_add_nc_u32_e32 v6, v6, v8
	s_delay_alu instid0(VALU_DEP_1)
	v_cmp_ne_u32_e32 vcc_lo, v1, v6
	v_cndmask_b32_e64 v33, 0, 1, vcc_lo
; %bb.103:
	s_or_b32 exec_lo, exec_lo, s2
	v_add_nc_u32_e32 v35, 1, v3
	s_mov_b32 s2, exec_lo
	s_delay_alu instid0(VALU_DEP_1)
	v_cmpx_gt_u64_e64 s[0:1], v[35:36]
; %bb.104:
	v_mul_hi_i32 v1, 0x66666667, v21
	v_mul_hi_i32 v6, 0x66666667, v22
	s_delay_alu instid0(VALU_DEP_2) | instskip(SKIP_1) | instid1(VALU_DEP_3)
	v_lshrrev_b32_e32 v7, 31, v1
	v_ashrrev_i32_e32 v1, 2, v1
	v_lshrrev_b32_e32 v8, 31, v6
	v_ashrrev_i32_e32 v6, 2, v6
	s_delay_alu instid0(VALU_DEP_3) | instskip(NEXT) | instid1(VALU_DEP_2)
	v_add_nc_u32_e32 v1, v1, v7
	v_add_nc_u32_e32 v6, v6, v8
	s_delay_alu instid0(VALU_DEP_1)
	v_cmp_ne_u32_e32 vcc_lo, v1, v6
	v_cndmask_b32_e64 v36, 0, 1, vcc_lo
; %bb.105:
	s_or_b32 exec_lo, exec_lo, s2
	s_mov_b32 s2, 0
	s_mov_b32 s3, exec_lo
	s_waitcnt vmcnt(0) lgkmcnt(0)
	s_barrier
	buffer_gl0_inv
	v_cmpx_ne_u32_e32 0, v0
	s_cbranch_execz .LBB591_107
; %bb.106:
	v_add_nc_u32_e32 v1, -4, v4
	ds_load_b32 v5, v1
.LBB591_107:
	s_or_b32 exec_lo, exec_lo, s3
	v_mov_b32_e32 v4, 0
	s_mov_b32 s3, exec_lo
	s_delay_alu instid0(VALU_DEP_1)
	v_cmpx_gt_u64_e64 s[0:1], v[3:4]
	s_cbranch_execz .LBB591_109
; %bb.108:
	s_waitcnt lgkmcnt(0)
	v_mul_hi_i32 v1, 0x66666667, v5
	v_mul_hi_i32 v4, 0x66666667, v21
	s_delay_alu instid0(VALU_DEP_2) | instskip(SKIP_1) | instid1(VALU_DEP_3)
	v_lshrrev_b32_e32 v5, 31, v1
	v_ashrrev_i32_e32 v1, 2, v1
	v_lshrrev_b32_e32 v6, 31, v4
	v_ashrrev_i32_e32 v4, 2, v4
	s_delay_alu instid0(VALU_DEP_3) | instskip(NEXT) | instid1(VALU_DEP_2)
	v_add_nc_u32_e32 v1, v1, v5
	v_add_nc_u32_e32 v4, v4, v6
	s_delay_alu instid0(VALU_DEP_1)
	v_cmp_ne_u32_e32 vcc_lo, v1, v4
	s_and_b32 s2, vcc_lo, exec_lo
.LBB591_109:
	s_or_b32 exec_lo, exec_lo, s3
	s_mov_b32 s28, -1
.LBB591_110:
                                        ; implicit-def: $vgpr28
                                        ; implicit-def: $sgpr0
.LBB591_111:
	v_mov_b32_e32 v27, s0
	s_and_saveexec_b32 s0, s28
.LBB591_112:
	v_cndmask_b32_e64 v27, 0, 1, s2
	v_mov_b32_e32 v28, v2
.LBB591_113:
	s_or_b32 exec_lo, exec_lo, s0
	s_delay_alu instid0(VALU_DEP_1)
	v_add3_u32 v1, v36, v27, v33
	v_cmp_eq_u32_e64 s12, 0, v36
	v_cmp_eq_u32_e64 s11, 0, v33
	;; [unrolled: 1-line block ×4, first 2 shown]
	v_add3_u32 v84, v1, v34, v31
	v_cmp_eq_u32_e64 s8, 0, v32
	v_cmp_eq_u32_e64 s7, 0, v29
	;; [unrolled: 1-line block ×9, first 2 shown]
	v_cmp_eq_u32_e32 vcc_lo, 0, v78
	v_mbcnt_lo_u32_b32 v81, -1, 0
	v_lshrrev_b32_e32 v82, 5, v0
	v_or_b32_e32 v83, 31, v0
	s_cmp_eq_u64 s[26:27], 0
	s_cselect_b32 s16, -1, 0
	s_cmp_lg_u32 s15, 0
	s_cbranch_scc0 .LBB591_139
; %bb.114:
	v_cndmask_b32_e64 v1, 0, v49, s12
	v_add3_u32 v2, v84, v32, v29
	s_delay_alu instid0(VALU_DEP_2) | instskip(NEXT) | instid1(VALU_DEP_2)
	v_add_nc_u32_e32 v1, v1, v50
	v_add3_u32 v2, v2, v30, v25
	s_delay_alu instid0(VALU_DEP_2) | instskip(NEXT) | instid1(VALU_DEP_2)
	v_cndmask_b32_e64 v1, 0, v1, s11
	v_add3_u32 v2, v2, v26, v23
	s_delay_alu instid0(VALU_DEP_2) | instskip(NEXT) | instid1(VALU_DEP_2)
	v_add_nc_u32_e32 v1, v1, v47
	v_add3_u32 v2, v2, v24, v79
	s_delay_alu instid0(VALU_DEP_2) | instskip(NEXT) | instid1(VALU_DEP_2)
	v_cndmask_b32_e64 v1, 0, v1, s10
	v_add3_u32 v2, v2, v28, v78
	s_delay_alu instid0(VALU_DEP_2) | instskip(SKIP_1) | instid1(VALU_DEP_2)
	v_add_nc_u32_e32 v1, v1, v48
	s_waitcnt lgkmcnt(0)
	v_mov_b32_dpp v5, v2 row_shr:1 row_mask:0xf bank_mask:0xf
	s_delay_alu instid0(VALU_DEP_2) | instskip(NEXT) | instid1(VALU_DEP_1)
	v_cndmask_b32_e64 v1, 0, v1, s9
	v_add_nc_u32_e32 v1, v1, v45
	s_delay_alu instid0(VALU_DEP_1) | instskip(NEXT) | instid1(VALU_DEP_1)
	v_cndmask_b32_e64 v1, 0, v1, s8
	v_add_nc_u32_e32 v1, v1, v46
	s_delay_alu instid0(VALU_DEP_1) | instskip(NEXT) | instid1(VALU_DEP_1)
	;; [unrolled: 3-line block ×9, first 2 shown]
	v_cndmask_b32_e64 v1, 0, v1, s0
	v_add_nc_u32_e32 v1, v1, v38
	s_delay_alu instid0(VALU_DEP_1) | instskip(SKIP_1) | instid1(VALU_DEP_2)
	v_cndmask_b32_e32 v1, 0, v1, vcc_lo
	v_cmp_eq_u32_e32 vcc_lo, 0, v2
	v_add_nc_u32_e32 v1, v1, v80
	s_delay_alu instid0(VALU_DEP_1) | instskip(NEXT) | instid1(VALU_DEP_1)
	v_mov_b32_dpp v3, v1 row_shr:1 row_mask:0xf bank_mask:0xf
	v_dual_cndmask_b32 v3, 0, v3 :: v_dual_and_b32 v4, 15, v81
	s_delay_alu instid0(VALU_DEP_1) | instskip(SKIP_2) | instid1(VALU_DEP_4)
	v_cmp_eq_u32_e32 vcc_lo, 0, v4
	v_cmp_lt_u32_e64 s13, 1, v4
	v_cndmask_b32_e64 v5, v5, 0, vcc_lo
	v_cndmask_b32_e64 v3, v3, 0, vcc_lo
	s_delay_alu instid0(VALU_DEP_2) | instskip(NEXT) | instid1(VALU_DEP_2)
	v_add_nc_u32_e32 v2, v5, v2
	v_add_nc_u32_e32 v1, v3, v1
	s_delay_alu instid0(VALU_DEP_2) | instskip(SKIP_1) | instid1(VALU_DEP_3)
	v_mov_b32_dpp v3, v2 row_shr:2 row_mask:0xf bank_mask:0xf
	v_cmp_eq_u32_e32 vcc_lo, 0, v2
	v_mov_b32_dpp v5, v1 row_shr:2 row_mask:0xf bank_mask:0xf
	s_delay_alu instid0(VALU_DEP_3) | instskip(SKIP_2) | instid1(VALU_DEP_2)
	v_cndmask_b32_e64 v3, 0, v3, s13
	s_and_b32 vcc_lo, s13, vcc_lo
	v_cmp_lt_u32_e64 s13, 3, v4
	v_dual_cndmask_b32 v5, 0, v5 :: v_dual_add_nc_u32 v2, v2, v3
	s_delay_alu instid0(VALU_DEP_1) | instskip(NEXT) | instid1(VALU_DEP_2)
	v_add_nc_u32_e32 v1, v5, v1
	v_mov_b32_dpp v3, v2 row_shr:4 row_mask:0xf bank_mask:0xf
	v_cmp_eq_u32_e32 vcc_lo, 0, v2
	s_delay_alu instid0(VALU_DEP_3) | instskip(NEXT) | instid1(VALU_DEP_3)
	v_mov_b32_dpp v5, v1 row_shr:4 row_mask:0xf bank_mask:0xf
	v_cndmask_b32_e64 v3, 0, v3, s13
	s_and_b32 vcc_lo, s13, vcc_lo
	v_cmp_lt_u32_e64 s13, 7, v4
	s_delay_alu instid0(VALU_DEP_2) | instskip(NEXT) | instid1(VALU_DEP_1)
	v_dual_cndmask_b32 v5, 0, v5 :: v_dual_add_nc_u32 v2, v3, v2
	v_add_nc_u32_e32 v1, v1, v5
	v_bfe_i32 v5, v81, 4, 1
	s_delay_alu instid0(VALU_DEP_3) | instskip(SKIP_1) | instid1(VALU_DEP_4)
	v_cmp_eq_u32_e32 vcc_lo, 0, v2
	v_mov_b32_dpp v3, v2 row_shr:8 row_mask:0xf bank_mask:0xf
	v_mov_b32_dpp v4, v1 row_shr:8 row_mask:0xf bank_mask:0xf
	s_and_b32 vcc_lo, s13, vcc_lo
	s_delay_alu instid0(VALU_DEP_2) | instskip(SKIP_1) | instid1(VALU_DEP_2)
	v_cndmask_b32_e64 v3, 0, v3, s13
	s_mov_b32 s13, exec_lo
	v_cndmask_b32_e32 v4, 0, v4, vcc_lo
	s_delay_alu instid0(VALU_DEP_1) | instskip(NEXT) | instid1(VALU_DEP_3)
	v_add_nc_u32_e32 v4, v4, v1
	v_add_nc_u32_e32 v1, v3, v2
	ds_swizzle_b32 v2, v4 offset:swizzle(BROADCAST,32,15)
	ds_swizzle_b32 v3, v1 offset:swizzle(BROADCAST,32,15)
	v_cmp_eq_u32_e32 vcc_lo, 0, v1
	s_waitcnt lgkmcnt(0)
	v_dual_cndmask_b32 v2, 0, v2 :: v_dual_and_b32 v3, v5, v3
	s_delay_alu instid0(VALU_DEP_1) | instskip(NEXT) | instid1(VALU_DEP_2)
	v_and_b32_e32 v2, v5, v2
	v_add_nc_u32_e32 v1, v3, v1
	v_lshlrev_b32_e32 v3, 3, v82
	s_delay_alu instid0(VALU_DEP_3)
	v_add_nc_u32_e32 v2, v2, v4
	v_cmpx_eq_u32_e64 v83, v0
	s_cbranch_execz .LBB591_116
; %bb.115:
	ds_store_b64 v3, v[1:2] offset:2064
.LBB591_116:
	s_or_b32 exec_lo, exec_lo, s13
	s_delay_alu instid0(SALU_CYCLE_1)
	s_mov_b32 s14, exec_lo
	s_waitcnt lgkmcnt(0)
	s_barrier
	buffer_gl0_inv
	v_cmpx_gt_u32_e32 8, v0
	s_cbranch_execz .LBB591_118
; %bb.117:
	v_lshlrev_b32_e32 v6, 3, v0
	v_and_b32_e32 v8, 7, v81
	ds_load_b64 v[4:5], v6 offset:2064
	v_cmp_lt_u32_e64 s13, 1, v8
	s_waitcnt lgkmcnt(0)
	v_mov_b32_dpp v7, v5 row_shr:1 row_mask:0xf bank_mask:0xf
	v_cmp_eq_u32_e32 vcc_lo, 0, v4
	v_mov_b32_dpp v35, v4 row_shr:1 row_mask:0xf bank_mask:0xf
	s_delay_alu instid0(VALU_DEP_3) | instskip(SKIP_1) | instid1(VALU_DEP_3)
	v_cndmask_b32_e32 v7, 0, v7, vcc_lo
	v_cmp_eq_u32_e32 vcc_lo, 0, v8
	v_cndmask_b32_e64 v35, v35, 0, vcc_lo
	s_delay_alu instid0(VALU_DEP_3) | instskip(NEXT) | instid1(VALU_DEP_2)
	v_cndmask_b32_e64 v7, v7, 0, vcc_lo
	v_add_nc_u32_e32 v4, v35, v4
	s_delay_alu instid0(VALU_DEP_2) | instskip(NEXT) | instid1(VALU_DEP_2)
	v_add_nc_u32_e32 v5, v7, v5
	v_mov_b32_dpp v7, v4 row_shr:2 row_mask:0xf bank_mask:0xf
	v_cmp_eq_u32_e32 vcc_lo, 0, v4
	s_delay_alu instid0(VALU_DEP_3) | instskip(NEXT) | instid1(VALU_DEP_3)
	v_mov_b32_dpp v35, v5 row_shr:2 row_mask:0xf bank_mask:0xf
	v_cndmask_b32_e64 v7, 0, v7, s13
	s_and_b32 vcc_lo, s13, vcc_lo
	s_delay_alu instid0(VALU_DEP_2) | instskip(SKIP_1) | instid1(VALU_DEP_3)
	v_cndmask_b32_e32 v35, 0, v35, vcc_lo
	v_cmp_lt_u32_e64 s13, 3, v8
	v_add_nc_u32_e32 v4, v7, v4
	s_delay_alu instid0(VALU_DEP_3) | instskip(NEXT) | instid1(VALU_DEP_2)
	v_add_nc_u32_e32 v5, v35, v5
	v_cmp_eq_u32_e32 vcc_lo, 0, v4
	v_mov_b32_dpp v7, v4 row_shr:4 row_mask:0xf bank_mask:0xf
	s_delay_alu instid0(VALU_DEP_3) | instskip(SKIP_1) | instid1(VALU_DEP_2)
	v_mov_b32_dpp v8, v5 row_shr:4 row_mask:0xf bank_mask:0xf
	s_and_b32 vcc_lo, s13, vcc_lo
	v_cndmask_b32_e64 v7, 0, v7, s13
	s_delay_alu instid0(VALU_DEP_2) | instskip(NEXT) | instid1(VALU_DEP_2)
	v_cndmask_b32_e32 v8, 0, v8, vcc_lo
	v_add_nc_u32_e32 v4, v7, v4
	s_delay_alu instid0(VALU_DEP_2)
	v_add_nc_u32_e32 v5, v8, v5
	ds_store_b64 v6, v[4:5] offset:2064
.LBB591_118:
	s_or_b32 exec_lo, exec_lo, s14
	v_cmp_gt_u32_e32 vcc_lo, 32, v0
	v_dual_mov_b32 v51, 0 :: v_dual_mov_b32 v52, 0
	s_mov_b32 s14, exec_lo
	s_waitcnt lgkmcnt(0)
	s_barrier
	buffer_gl0_inv
	v_cmpx_lt_u32_e32 31, v0
	s_cbranch_execz .LBB591_120
; %bb.119:
	ds_load_b64 v[51:52], v3 offset:2056
	v_cmp_eq_u32_e64 s13, 0, v1
	s_waitcnt lgkmcnt(0)
	s_delay_alu instid0(VALU_DEP_1) | instskip(SKIP_1) | instid1(VALU_DEP_2)
	v_cndmask_b32_e64 v3, 0, v52, s13
	v_add_nc_u32_e32 v1, v51, v1
	v_add_nc_u32_e32 v2, v3, v2
.LBB591_120:
	s_or_b32 exec_lo, exec_lo, s14
	v_add_nc_u32_e32 v3, -1, v81
	s_delay_alu instid0(VALU_DEP_1) | instskip(NEXT) | instid1(VALU_DEP_1)
	v_cmp_gt_i32_e64 s13, 0, v3
	v_cndmask_b32_e64 v3, v3, v81, s13
	v_cmp_eq_u32_e64 s13, 0, v81
	s_delay_alu instid0(VALU_DEP_2)
	v_lshlrev_b32_e32 v3, 2, v3
	ds_bpermute_b32 v35, v3, v1
	ds_bpermute_b32 v57, v3, v2
	s_and_saveexec_b32 s17, vcc_lo
	s_cbranch_execz .LBB591_138
; %bb.121:
	v_mov_b32_e32 v4, 0
	ds_load_b64 v[1:2], v4 offset:2120
	s_waitcnt lgkmcnt(0)
	v_readfirstlane_b32 s21, v2
	s_and_saveexec_b32 s14, s13
	s_cbranch_execz .LBB591_123
; %bb.122:
	s_add_i32 s26, s15, 32
	s_mov_b32 s27, 0
	v_mov_b32_e32 v3, 1
	s_lshl_b64 s[28:29], s[26:27], 4
	s_mov_b32 s30, s27
	s_add_u32 s28, s24, s28
	s_addc_u32 s29, s25, s29
	s_and_b32 s31, s21, 0xff000000
	s_and_b32 s41, s21, 0xff0000
	s_mov_b32 s40, s27
	v_dual_mov_b32 v5, s28 :: v_dual_mov_b32 v6, s29
	s_or_b64 s[30:31], s[40:41], s[30:31]
	s_and_b32 s41, s21, 0xff00
	s_delay_alu instid0(SALU_CYCLE_1) | instskip(SKIP_1) | instid1(SALU_CYCLE_1)
	s_or_b64 s[30:31], s[30:31], s[40:41]
	s_and_b32 s41, s21, 0xff
	s_or_b64 s[26:27], s[30:31], s[40:41]
	s_delay_alu instid0(SALU_CYCLE_1)
	v_mov_b32_e32 v2, s27
	;;#ASMSTART
	global_store_dwordx4 v[5:6], v[1:4] off	
s_waitcnt vmcnt(0)
	;;#ASMEND
.LBB591_123:
	s_or_b32 exec_lo, exec_lo, s14
	v_xad_u32 v53, v81, -1, s15
	s_mov_b32 s26, 0
	s_mov_b32 s14, exec_lo
	s_delay_alu instid0(VALU_DEP_1) | instskip(NEXT) | instid1(VALU_DEP_1)
	v_add_nc_u32_e32 v3, 32, v53
	v_lshlrev_b64 v[2:3], 4, v[3:4]
	s_delay_alu instid0(VALU_DEP_1) | instskip(NEXT) | instid1(VALU_DEP_2)
	v_add_co_u32 v2, vcc_lo, s24, v2
	v_add_co_ci_u32_e32 v3, vcc_lo, s25, v3, vcc_lo
	;;#ASMSTART
	global_load_dwordx4 v[5:8], v[2:3] off glc	
s_waitcnt vmcnt(0)
	;;#ASMEND
	v_and_b32_e32 v4, 0xff, v6
	v_and_b32_e32 v8, 0xff00, v6
	;; [unrolled: 1-line block ×3, first 2 shown]
	v_or3_b32 v5, v5, 0, 0
	v_and_b32_e32 v6, 0xff000000, v6
	s_delay_alu instid0(VALU_DEP_4) | instskip(SKIP_1) | instid1(VALU_DEP_4)
	v_or3_b32 v4, 0, v4, v8
	v_and_b32_e32 v8, 0xff, v7
	v_or3_b32 v5, v5, 0, 0
	s_delay_alu instid0(VALU_DEP_3) | instskip(NEXT) | instid1(VALU_DEP_3)
	v_or3_b32 v6, v4, v54, v6
	v_cmpx_eq_u16_e32 0, v8
	s_cbranch_execz .LBB591_126
.LBB591_124:                            ; =>This Inner Loop Header: Depth=1
	;;#ASMSTART
	global_load_dwordx4 v[5:8], v[2:3] off glc	
s_waitcnt vmcnt(0)
	;;#ASMEND
	v_and_b32_e32 v4, 0xff, v7
	s_delay_alu instid0(VALU_DEP_1) | instskip(SKIP_1) | instid1(SALU_CYCLE_1)
	v_cmp_ne_u16_e32 vcc_lo, 0, v4
	s_or_b32 s26, vcc_lo, s26
	s_and_not1_b32 exec_lo, exec_lo, s26
	s_cbranch_execnz .LBB591_124
; %bb.125:
	s_or_b32 exec_lo, exec_lo, s26
.LBB591_126:
	s_delay_alu instid0(SALU_CYCLE_1)
	s_or_b32 exec_lo, exec_lo, s14
	v_cmp_ne_u32_e32 vcc_lo, 31, v81
	v_and_b32_e32 v3, 0xff, v7
	v_lshlrev_b32_e64 v58, v81, -1
	v_add_nc_u32_e32 v60, 2, v81
	v_add_nc_u32_e32 v62, 4, v81
	v_add_co_ci_u32_e32 v2, vcc_lo, 0, v81, vcc_lo
	v_cmp_eq_u16_e32 vcc_lo, 2, v3
	v_add_nc_u32_e32 v64, 8, v81
	v_add_nc_u32_e32 v66, 16, v81
	v_and_or_b32 v8, vcc_lo, v58, 0x80000000
	v_cmp_gt_u32_e32 vcc_lo, 30, v81
	s_delay_alu instid0(VALU_DEP_2) | instskip(SKIP_2) | instid1(VALU_DEP_3)
	v_ctz_i32_b32_e32 v8, v8
	v_cndmask_b32_e64 v54, 0, 1, vcc_lo
	v_cmp_eq_u32_e32 vcc_lo, 0, v5
	v_cmp_lt_u32_e64 s14, v81, v8
	s_delay_alu instid0(VALU_DEP_3) | instskip(NEXT) | instid1(VALU_DEP_2)
	v_lshlrev_b32_e32 v54, 1, v54
	s_and_b32 vcc_lo, s14, vcc_lo
	v_lshlrev_b32_e32 v2, 2, v2
	s_delay_alu instid0(VALU_DEP_2)
	v_add_lshl_u32 v59, v54, v81, 2
	ds_bpermute_b32 v3, v2, v6
	s_waitcnt lgkmcnt(0)
	v_cndmask_b32_e32 v3, 0, v3, vcc_lo
	ds_bpermute_b32 v4, v2, v5
	v_cmp_gt_u32_e32 vcc_lo, 28, v81
	v_add_nc_u32_e32 v3, v3, v6
	ds_bpermute_b32 v6, v59, v3
	s_waitcnt lgkmcnt(1)
	v_cndmask_b32_e64 v4, 0, v4, s14
	s_delay_alu instid0(VALU_DEP_1) | instskip(SKIP_1) | instid1(VALU_DEP_2)
	v_add_nc_u32_e32 v4, v4, v5
	v_cndmask_b32_e64 v5, 0, 1, vcc_lo
	v_cmp_eq_u32_e32 vcc_lo, 0, v4
	ds_bpermute_b32 v54, v59, v4
	s_waitcnt lgkmcnt(1)
	v_dual_cndmask_b32 v6, 0, v6 :: v_dual_lshlrev_b32 v5, 2, v5
	v_cmp_gt_u32_e32 vcc_lo, v60, v8
	s_delay_alu instid0(VALU_DEP_2) | instskip(NEXT) | instid1(VALU_DEP_3)
	v_add_lshl_u32 v61, v5, v81, 2
	v_cndmask_b32_e64 v6, v6, 0, vcc_lo
	s_delay_alu instid0(VALU_DEP_1) | instskip(SKIP_4) | instid1(VALU_DEP_2)
	v_add_nc_u32_e32 v3, v6, v3
	ds_bpermute_b32 v5, v61, v3
	s_waitcnt lgkmcnt(1)
	v_cndmask_b32_e64 v6, v54, 0, vcc_lo
	v_cmp_gt_u32_e32 vcc_lo, 24, v81
	v_add_nc_u32_e32 v4, v4, v6
	v_cndmask_b32_e64 v54, 0, 1, vcc_lo
	ds_bpermute_b32 v6, v61, v4
	v_cmp_eq_u32_e32 vcc_lo, 0, v4
	v_lshlrev_b32_e32 v54, 3, v54
	s_delay_alu instid0(VALU_DEP_1) | instskip(SKIP_3) | instid1(VALU_DEP_2)
	v_add_lshl_u32 v63, v54, v81, 2
	s_waitcnt lgkmcnt(1)
	v_cndmask_b32_e32 v5, 0, v5, vcc_lo
	v_cmp_gt_u32_e32 vcc_lo, v62, v8
	v_cndmask_b32_e64 v5, v5, 0, vcc_lo
	s_delay_alu instid0(VALU_DEP_1)
	v_add_nc_u32_e32 v3, v3, v5
	s_waitcnt lgkmcnt(0)
	v_cndmask_b32_e64 v6, v6, 0, vcc_lo
	v_cmp_gt_u32_e32 vcc_lo, 16, v81
	ds_bpermute_b32 v5, v63, v3
	v_add_nc_u32_e32 v4, v4, v6
	v_cndmask_b32_e64 v54, 0, 1, vcc_lo
	ds_bpermute_b32 v6, v63, v4
	v_cmp_eq_u32_e32 vcc_lo, 0, v4
	v_lshlrev_b32_e32 v54, 4, v54
	s_delay_alu instid0(VALU_DEP_1) | instskip(SKIP_3) | instid1(VALU_DEP_2)
	v_add_lshl_u32 v65, v54, v81, 2
	s_waitcnt lgkmcnt(1)
	v_dual_mov_b32 v54, 0 :: v_dual_cndmask_b32 v5, 0, v5
	v_cmp_gt_u32_e32 vcc_lo, v64, v8
	v_cndmask_b32_e64 v5, v5, 0, vcc_lo
	s_delay_alu instid0(VALU_DEP_1)
	v_add_nc_u32_e32 v3, v3, v5
	s_waitcnt lgkmcnt(0)
	v_cndmask_b32_e64 v5, v6, 0, vcc_lo
	ds_bpermute_b32 v6, v65, v3
	v_add_nc_u32_e32 v4, v4, v5
	ds_bpermute_b32 v5, v65, v4
	v_cmp_eq_u32_e32 vcc_lo, 0, v4
	s_waitcnt lgkmcnt(1)
	v_cndmask_b32_e32 v6, 0, v6, vcc_lo
	v_cmp_gt_u32_e32 vcc_lo, v66, v8
	s_delay_alu instid0(VALU_DEP_2) | instskip(SKIP_2) | instid1(VALU_DEP_2)
	v_cndmask_b32_e64 v6, v6, 0, vcc_lo
	s_waitcnt lgkmcnt(0)
	v_cndmask_b32_e64 v5, v5, 0, vcc_lo
	v_add_nc_u32_e32 v6, v6, v3
	s_delay_alu instid0(VALU_DEP_2)
	v_add_nc_u32_e32 v5, v5, v4
	s_branch .LBB591_128
.LBB591_127:                            ;   in Loop: Header=BB591_128 Depth=1
	s_or_b32 exec_lo, exec_lo, s14
	v_and_b32_e32 v8, 0xff, v7
	ds_bpermute_b32 v55, v2, v5
	v_subrev_nc_u32_e32 v53, 32, v53
	v_cmp_eq_u16_e32 vcc_lo, 2, v8
	ds_bpermute_b32 v8, v2, v6
	v_and_or_b32 v56, vcc_lo, v58, 0x80000000
	v_cmp_eq_u32_e32 vcc_lo, 0, v5
	s_delay_alu instid0(VALU_DEP_2) | instskip(NEXT) | instid1(VALU_DEP_1)
	v_ctz_i32_b32_e32 v56, v56
	v_cmp_lt_u32_e64 s14, v81, v56
	s_delay_alu instid0(VALU_DEP_1) | instskip(SKIP_4) | instid1(VALU_DEP_2)
	s_and_b32 vcc_lo, s14, vcc_lo
	s_waitcnt lgkmcnt(1)
	v_cndmask_b32_e64 v55, 0, v55, s14
	s_waitcnt lgkmcnt(0)
	v_cndmask_b32_e32 v8, 0, v8, vcc_lo
	v_add_nc_u32_e32 v5, v55, v5
	s_delay_alu instid0(VALU_DEP_2)
	v_add_nc_u32_e32 v6, v8, v6
	ds_bpermute_b32 v55, v59, v5
	ds_bpermute_b32 v8, v59, v6
	v_cmp_eq_u32_e32 vcc_lo, 0, v5
	s_waitcnt lgkmcnt(0)
	v_cndmask_b32_e32 v8, 0, v8, vcc_lo
	v_cmp_gt_u32_e32 vcc_lo, v60, v56
	v_cndmask_b32_e64 v55, v55, 0, vcc_lo
	s_delay_alu instid0(VALU_DEP_1) | instskip(NEXT) | instid1(VALU_DEP_4)
	v_add_nc_u32_e32 v5, v5, v55
	v_cndmask_b32_e64 v8, v8, 0, vcc_lo
	ds_bpermute_b32 v55, v61, v5
	v_add_nc_u32_e32 v6, v8, v6
	v_cmp_eq_u32_e32 vcc_lo, 0, v5
	ds_bpermute_b32 v8, v61, v6
	s_waitcnt lgkmcnt(0)
	v_cndmask_b32_e32 v8, 0, v8, vcc_lo
	v_cmp_gt_u32_e32 vcc_lo, v62, v56
	v_cndmask_b32_e64 v55, v55, 0, vcc_lo
	s_delay_alu instid0(VALU_DEP_1) | instskip(NEXT) | instid1(VALU_DEP_4)
	v_add_nc_u32_e32 v5, v5, v55
	v_cndmask_b32_e64 v8, v8, 0, vcc_lo
	ds_bpermute_b32 v55, v63, v5
	v_add_nc_u32_e32 v6, v6, v8
	v_cmp_eq_u32_e32 vcc_lo, 0, v5
	ds_bpermute_b32 v8, v63, v6
	;; [unrolled: 11-line block ×3, first 2 shown]
	s_waitcnt lgkmcnt(0)
	v_cndmask_b32_e32 v8, 0, v8, vcc_lo
	v_cmp_gt_u32_e32 vcc_lo, v66, v56
	s_delay_alu instid0(VALU_DEP_2) | instskip(NEXT) | instid1(VALU_DEP_1)
	v_cndmask_b32_e64 v8, v8, 0, vcc_lo
	v_add_nc_u32_e32 v6, v8, v6
	v_cndmask_b32_e64 v8, v55, 0, vcc_lo
	v_cmp_eq_u32_e32 vcc_lo, 0, v3
	s_delay_alu instid0(VALU_DEP_2) | instskip(NEXT) | instid1(VALU_DEP_4)
	v_add3_u32 v5, v5, v3, v8
	v_cndmask_b32_e32 v6, 0, v6, vcc_lo
	s_delay_alu instid0(VALU_DEP_1)
	v_add_nc_u32_e32 v6, v6, v4
.LBB591_128:                            ; =>This Loop Header: Depth=1
                                        ;     Child Loop BB591_131 Depth 2
	s_delay_alu instid0(VALU_DEP_1) | instskip(NEXT) | instid1(VALU_DEP_1)
	v_dual_mov_b32 v4, v6 :: v_dual_and_b32 v3, 0xff, v7
	v_cmp_ne_u16_e32 vcc_lo, 2, v3
	v_cndmask_b32_e64 v3, 0, 1, vcc_lo
	;;#ASMSTART
	;;#ASMEND
	s_delay_alu instid0(VALU_DEP_1)
	v_cmp_ne_u32_e32 vcc_lo, 0, v3
	v_mov_b32_e32 v3, v5
	s_cmp_lg_u32 vcc_lo, exec_lo
	s_cbranch_scc1 .LBB591_133
; %bb.129:                              ;   in Loop: Header=BB591_128 Depth=1
	v_lshlrev_b64 v[5:6], 4, v[53:54]
	s_mov_b32 s14, exec_lo
	s_delay_alu instid0(VALU_DEP_1) | instskip(NEXT) | instid1(VALU_DEP_2)
	v_add_co_u32 v55, vcc_lo, s24, v5
	v_add_co_ci_u32_e32 v56, vcc_lo, s25, v6, vcc_lo
	;;#ASMSTART
	global_load_dwordx4 v[5:8], v[55:56] off glc	
s_waitcnt vmcnt(0)
	;;#ASMEND
	v_and_b32_e32 v8, 0xff, v6
	v_and_b32_e32 v67, 0xff00, v6
	;; [unrolled: 1-line block ×3, first 2 shown]
	v_or3_b32 v5, v5, 0, 0
	v_and_b32_e32 v6, 0xff000000, v6
	s_delay_alu instid0(VALU_DEP_4) | instskip(SKIP_1) | instid1(VALU_DEP_4)
	v_or3_b32 v8, 0, v8, v67
	v_and_b32_e32 v67, 0xff, v7
	v_or3_b32 v5, v5, 0, 0
	s_delay_alu instid0(VALU_DEP_3) | instskip(NEXT) | instid1(VALU_DEP_3)
	v_or3_b32 v6, v8, v68, v6
	v_cmpx_eq_u16_e32 0, v67
	s_cbranch_execz .LBB591_127
; %bb.130:                              ;   in Loop: Header=BB591_128 Depth=1
	s_mov_b32 s26, 0
.LBB591_131:                            ;   Parent Loop BB591_128 Depth=1
                                        ; =>  This Inner Loop Header: Depth=2
	;;#ASMSTART
	global_load_dwordx4 v[5:8], v[55:56] off glc	
s_waitcnt vmcnt(0)
	;;#ASMEND
	v_and_b32_e32 v8, 0xff, v7
	s_delay_alu instid0(VALU_DEP_1) | instskip(SKIP_1) | instid1(SALU_CYCLE_1)
	v_cmp_ne_u16_e32 vcc_lo, 0, v8
	s_or_b32 s26, vcc_lo, s26
	s_and_not1_b32 exec_lo, exec_lo, s26
	s_cbranch_execnz .LBB591_131
; %bb.132:                              ;   in Loop: Header=BB591_128 Depth=1
	s_or_b32 exec_lo, exec_lo, s26
	s_branch .LBB591_127
.LBB591_133:                            ;   in Loop: Header=BB591_128 Depth=1
                                        ; implicit-def: $vgpr6
                                        ; implicit-def: $vgpr5
                                        ; implicit-def: $vgpr7
	s_cbranch_execz .LBB591_128
; %bb.134:
	s_and_saveexec_b32 s14, s13
	s_cbranch_execz .LBB591_136
; %bb.135:
	v_cmp_eq_u32_e32 vcc_lo, 0, v1
	s_mov_b32 s27, 0
	s_add_i32 s26, s15, 32
	v_add_nc_u32_e32 v5, v3, v1
	s_lshl_b64 s[26:27], s[26:27], 4
	v_cndmask_b32_e32 v2, 0, v4, vcc_lo
	s_add_u32 s26, s24, s26
	s_addc_u32 s27, s25, s27
	v_mov_b32_e32 v8, 0
	s_delay_alu instid0(VALU_DEP_2) | instskip(NEXT) | instid1(VALU_DEP_1)
	v_add_nc_u32_e32 v2, s21, v2
	v_and_b32_e32 v6, 0xff000000, v2
	v_and_b32_e32 v7, 0xff0000, v2
	s_delay_alu instid0(VALU_DEP_1) | instskip(SKIP_3) | instid1(VALU_DEP_1)
	v_or_b32_e32 v6, v7, v6
	v_mov_b32_e32 v7, 2
	v_and_b32_e32 v53, 0xff00, v2
	v_and_b32_e32 v2, 0xff, v2
	v_or3_b32 v6, v6, v53, v2
	v_mov_b32_e32 v2, s21
	v_dual_mov_b32 v54, s27 :: v_dual_mov_b32 v53, s26
	;;#ASMSTART
	global_store_dwordx4 v[53:54], v[5:8] off	
s_waitcnt vmcnt(0)
	;;#ASMEND
	ds_store_b128 v8, v[1:4] offset:2048
.LBB591_136:
	s_or_b32 exec_lo, exec_lo, s14
	v_cmp_eq_u32_e32 vcc_lo, 0, v0
	s_and_b32 exec_lo, exec_lo, vcc_lo
	s_cbranch_execz .LBB591_138
; %bb.137:
	v_mov_b32_e32 v1, 0
	ds_store_b64 v1, v[3:4] offset:2120
.LBB591_138:
	s_or_b32 exec_lo, exec_lo, s17
	s_waitcnt lgkmcnt(1)
	v_cndmask_b32_e64 v4, v35, v51, s13
	s_waitcnt lgkmcnt(0)
	s_barrier
	buffer_gl0_inv
	v_cndmask_b32_e64 v5, v57, v52, s13
	v_cmp_eq_u32_e32 vcc_lo, 0, v4
	v_mov_b32_e32 v3, 0
	v_cmp_eq_u32_e64 s13, 0, v27
	ds_load_b64 v[1:2], v3 offset:2120
	s_waitcnt lgkmcnt(0)
	s_barrier
	buffer_gl0_inv
	v_cndmask_b32_e32 v6, 0, v2, vcc_lo
	v_cmp_eq_u32_e32 vcc_lo, 0, v0
	s_delay_alu instid0(VALU_DEP_2) | instskip(NEXT) | instid1(VALU_DEP_1)
	v_add_nc_u32_e32 v5, v6, v5
	v_cndmask_b32_e32 v68, v5, v2, vcc_lo
	s_delay_alu instid0(VALU_DEP_1) | instskip(NEXT) | instid1(VALU_DEP_1)
	v_cndmask_b32_e64 v2, 0, v68, s13
	v_add_nc_u32_e32 v74, v2, v49
	s_delay_alu instid0(VALU_DEP_1) | instskip(NEXT) | instid1(VALU_DEP_1)
	v_cndmask_b32_e64 v2, 0, v74, s12
	v_add_nc_u32_e32 v70, v2, v50
	;; [unrolled: 3-line block ×6, first 2 shown]
	v_cndmask_b32_e64 v2, v4, 0, vcc_lo
	s_delay_alu instid0(VALU_DEP_2) | instskip(NEXT) | instid1(VALU_DEP_2)
	v_cndmask_b32_e64 v4, 0, v54, s7
	v_add_nc_u32_e32 v67, v1, v2
	s_delay_alu instid0(VALU_DEP_2) | instskip(NEXT) | instid1(VALU_DEP_2)
	v_add_nc_u32_e32 v58, v4, v43
	v_add_nc_u32_e32 v73, v67, v27
	s_delay_alu instid0(VALU_DEP_2) | instskip(NEXT) | instid1(VALU_DEP_2)
	v_cndmask_b32_e64 v1, 0, v58, s6
	v_add_nc_u32_e32 v69, v73, v36
	s_delay_alu instid0(VALU_DEP_2) | instskip(NEXT) | instid1(VALU_DEP_2)
	v_add_nc_u32_e32 v62, v1, v44
	v_add_nc_u32_e32 v65, v69, v33
	s_delay_alu instid0(VALU_DEP_2) | instskip(NEXT) | instid1(VALU_DEP_2)
	v_cndmask_b32_e64 v1, 0, v62, s5
	v_add_nc_u32_e32 v59, v65, v34
	s_delay_alu instid0(VALU_DEP_2) | instskip(NEXT) | instid1(VALU_DEP_2)
	v_add_nc_u32_e32 v6, v1, v41
	v_add_nc_u32_e32 v55, v59, v31
	s_delay_alu instid0(VALU_DEP_2) | instskip(NEXT) | instid1(VALU_DEP_2)
	v_cndmask_b32_e64 v1, 0, v6, s4
	v_add_nc_u32_e32 v53, v55, v32
	s_delay_alu instid0(VALU_DEP_2) | instskip(NEXT) | instid1(VALU_DEP_2)
	v_add_nc_u32_e32 v8, v1, v42
	v_add_nc_u32_e32 v57, v53, v29
	s_delay_alu instid0(VALU_DEP_2) | instskip(NEXT) | instid1(VALU_DEP_2)
	v_cndmask_b32_e64 v1, 0, v8, s3
	v_add_nc_u32_e32 v61, v57, v30
	s_delay_alu instid0(VALU_DEP_2) | instskip(SKIP_3) | instid1(VALU_DEP_2)
	v_add_nc_u32_e32 v52, v1, v39
	ds_load_b128 v[1:4], v3 offset:2048
	v_add_nc_u32_e32 v5, v61, v25
	v_cndmask_b32_e64 v35, 0, v52, s2
	v_add_nc_u32_e32 v7, v5, v26
	s_delay_alu instid0(VALU_DEP_2) | instskip(NEXT) | instid1(VALU_DEP_2)
	v_add_nc_u32_e32 v76, v35, v40
	v_add_nc_u32_e32 v51, v7, v23
	s_delay_alu instid0(VALU_DEP_2) | instskip(NEXT) | instid1(VALU_DEP_2)
	v_cndmask_b32_e64 v35, 0, v76, s1
	v_add_nc_u32_e32 v75, v51, v24
	s_delay_alu instid0(VALU_DEP_2) | instskip(SKIP_2) | instid1(VALU_DEP_3)
	v_add_nc_u32_e32 v72, v35, v37
	s_waitcnt lgkmcnt(0)
	v_cmp_eq_u32_e32 vcc_lo, 0, v1
	v_add_nc_u32_e32 v71, v75, v79
	s_delay_alu instid0(VALU_DEP_3) | instskip(SKIP_1) | instid1(VALU_DEP_3)
	v_cndmask_b32_e64 v35, 0, v72, s0
	v_cndmask_b32_e32 v4, 0, v4, vcc_lo
	v_add_nc_u32_e32 v63, v71, v28
	s_delay_alu instid0(VALU_DEP_3) | instskip(NEXT) | instid1(VALU_DEP_3)
	v_add_nc_u32_e32 v64, v35, v38
	v_add_nc_u32_e32 v35, v4, v2
	s_branch .LBB591_151
.LBB591_139:
                                        ; implicit-def: $vgpr1
                                        ; implicit-def: $vgpr35
                                        ; implicit-def: $vgpr67_vgpr68
                                        ; implicit-def: $vgpr73_vgpr74
                                        ; implicit-def: $vgpr69_vgpr70
                                        ; implicit-def: $vgpr65_vgpr66
                                        ; implicit-def: $vgpr59_vgpr60
                                        ; implicit-def: $vgpr55_vgpr56
                                        ; implicit-def: $vgpr53_vgpr54
                                        ; implicit-def: $vgpr57_vgpr58
                                        ; implicit-def: $vgpr61_vgpr62
                                        ; implicit-def: $vgpr5_vgpr6
                                        ; implicit-def: $vgpr7_vgpr8
                                        ; implicit-def: $vgpr51_vgpr52
                                        ; implicit-def: $vgpr75_vgpr76
                                        ; implicit-def: $vgpr71_vgpr72
                                        ; implicit-def: $vgpr63_vgpr64
	s_cbranch_execz .LBB591_151
; %bb.140:
	s_and_b32 s0, s16, exec_lo
	v_mov_b32_e32 v35, v49
	s_cselect_b32 s1, 0, s35
	s_cselect_b32 s0, 0, s34
	s_delay_alu instid0(SALU_CYCLE_1)
	s_cmp_eq_u64 s[0:1], 0
	s_cbranch_scc1 .LBB591_142
; %bb.141:
	v_mov_b32_e32 v1, 0
	global_load_b32 v35, v1, s[0:1]
.LBB591_142:
	v_cmp_eq_u32_e64 s6, 0, v36
	v_cmp_eq_u32_e64 s7, 0, v33
	;; [unrolled: 1-line block ×5, first 2 shown]
	v_cndmask_b32_e64 v1, 0, v49, s6
	v_cmp_eq_u32_e64 s11, 0, v29
	v_cmp_eq_u32_e64 s5, 0, v30
	;; [unrolled: 1-line block ×4, first 2 shown]
	v_add_nc_u32_e32 v1, v1, v50
	v_cmp_eq_u32_e64 s2, 0, v23
	v_add3_u32 v2, v84, v32, v29
	v_cmp_eq_u32_e64 s1, 0, v24
	v_cmp_eq_u32_e32 vcc_lo, 0, v79
	v_cndmask_b32_e64 v1, 0, v1, s7
	v_cmp_eq_u32_e64 s0, 0, v28
	v_add3_u32 v2, v2, v30, v25
	v_cmp_eq_u32_e64 s12, 0, v78
	v_and_b32_e32 v4, 15, v81
	v_add_nc_u32_e32 v1, v1, v47
	s_delay_alu instid0(VALU_DEP_4) | instskip(NEXT) | instid1(VALU_DEP_3)
	v_add3_u32 v2, v2, v26, v23
	v_cmp_lt_u32_e64 s13, 1, v4
	s_delay_alu instid0(VALU_DEP_3) | instskip(NEXT) | instid1(VALU_DEP_3)
	v_cndmask_b32_e64 v1, 0, v1, s8
	v_add3_u32 v2, v2, v24, v79
	s_delay_alu instid0(VALU_DEP_2) | instskip(NEXT) | instid1(VALU_DEP_2)
	v_add_nc_u32_e32 v1, v1, v48
	v_add3_u32 v2, v2, v28, v78
	s_delay_alu instid0(VALU_DEP_2) | instskip(SKIP_1) | instid1(VALU_DEP_2)
	v_cndmask_b32_e64 v1, 0, v1, s9
	s_waitcnt lgkmcnt(0)
	v_mov_b32_dpp v5, v2 row_shr:1 row_mask:0xf bank_mask:0xf
	s_delay_alu instid0(VALU_DEP_2) | instskip(NEXT) | instid1(VALU_DEP_1)
	v_add_nc_u32_e32 v1, v1, v45
	v_cndmask_b32_e64 v1, 0, v1, s10
	s_delay_alu instid0(VALU_DEP_1) | instskip(NEXT) | instid1(VALU_DEP_1)
	v_add_nc_u32_e32 v1, v1, v46
	v_cndmask_b32_e64 v1, 0, v1, s11
	s_delay_alu instid0(VALU_DEP_1) | instskip(NEXT) | instid1(VALU_DEP_1)
	;; [unrolled: 3-line block ×7, first 2 shown]
	v_add_nc_u32_e32 v1, v1, v40
	v_cndmask_b32_e32 v1, 0, v1, vcc_lo
	s_delay_alu instid0(VALU_DEP_1) | instskip(NEXT) | instid1(VALU_DEP_1)
	v_add_nc_u32_e32 v1, v1, v37
	v_cndmask_b32_e64 v1, 0, v1, s0
	s_delay_alu instid0(VALU_DEP_1) | instskip(NEXT) | instid1(VALU_DEP_1)
	v_add_nc_u32_e32 v1, v1, v38
	v_cndmask_b32_e64 v1, 0, v1, s12
	v_cmp_eq_u32_e64 s12, 0, v2
	s_delay_alu instid0(VALU_DEP_2) | instskip(NEXT) | instid1(VALU_DEP_1)
	v_add_nc_u32_e32 v1, v1, v80
	v_mov_b32_dpp v3, v1 row_shr:1 row_mask:0xf bank_mask:0xf
	s_delay_alu instid0(VALU_DEP_1) | instskip(SKIP_1) | instid1(VALU_DEP_1)
	v_cndmask_b32_e64 v3, 0, v3, s12
	v_cmp_eq_u32_e64 s12, 0, v4
	v_cndmask_b32_e64 v5, v5, 0, s12
	s_delay_alu instid0(VALU_DEP_3) | instskip(NEXT) | instid1(VALU_DEP_2)
	v_cndmask_b32_e64 v3, v3, 0, s12
	v_add_nc_u32_e32 v2, v5, v2
	s_delay_alu instid0(VALU_DEP_2) | instskip(NEXT) | instid1(VALU_DEP_2)
	v_add_nc_u32_e32 v1, v3, v1
	v_mov_b32_dpp v3, v2 row_shr:2 row_mask:0xf bank_mask:0xf
	v_cmp_eq_u32_e64 s12, 0, v2
	s_delay_alu instid0(VALU_DEP_3) | instskip(NEXT) | instid1(VALU_DEP_3)
	v_mov_b32_dpp v5, v1 row_shr:2 row_mask:0xf bank_mask:0xf
	v_cndmask_b32_e64 v3, 0, v3, s13
	s_delay_alu instid0(VALU_DEP_3) | instskip(SKIP_1) | instid1(VALU_DEP_3)
	s_and_b32 s12, s13, s12
	v_cmp_lt_u32_e64 s13, 3, v4
	v_cndmask_b32_e64 v5, 0, v5, s12
	s_delay_alu instid0(VALU_DEP_3) | instskip(NEXT) | instid1(VALU_DEP_2)
	v_add_nc_u32_e32 v2, v2, v3
	v_add_nc_u32_e32 v1, v5, v1
	s_delay_alu instid0(VALU_DEP_2) | instskip(SKIP_1) | instid1(VALU_DEP_3)
	v_mov_b32_dpp v3, v2 row_shr:4 row_mask:0xf bank_mask:0xf
	v_cmp_eq_u32_e64 s12, 0, v2
	v_mov_b32_dpp v5, v1 row_shr:4 row_mask:0xf bank_mask:0xf
	s_delay_alu instid0(VALU_DEP_3) | instskip(NEXT) | instid1(VALU_DEP_3)
	v_cndmask_b32_e64 v3, 0, v3, s13
	s_and_b32 s12, s13, s12
	v_cmp_lt_u32_e64 s13, 7, v4
	s_delay_alu instid0(VALU_DEP_3) | instskip(NEXT) | instid1(VALU_DEP_3)
	v_cndmask_b32_e64 v5, 0, v5, s12
	v_add_nc_u32_e32 v2, v3, v2
	s_delay_alu instid0(VALU_DEP_2) | instskip(SKIP_1) | instid1(VALU_DEP_3)
	v_add_nc_u32_e32 v1, v1, v5
	v_bfe_i32 v5, v81, 4, 1
	v_cmp_eq_u32_e64 s12, 0, v2
	v_mov_b32_dpp v3, v2 row_shr:8 row_mask:0xf bank_mask:0xf
	s_delay_alu instid0(VALU_DEP_4) | instskip(NEXT) | instid1(VALU_DEP_3)
	v_mov_b32_dpp v4, v1 row_shr:8 row_mask:0xf bank_mask:0xf
	s_and_b32 s12, s13, s12
	s_delay_alu instid0(VALU_DEP_2) | instskip(SKIP_1) | instid1(VALU_DEP_2)
	v_cndmask_b32_e64 v3, 0, v3, s13
	s_mov_b32 s13, exec_lo
	v_cndmask_b32_e64 v4, 0, v4, s12
	s_delay_alu instid0(VALU_DEP_1) | instskip(NEXT) | instid1(VALU_DEP_3)
	v_add_nc_u32_e32 v4, v4, v1
	v_add_nc_u32_e32 v1, v3, v2
	ds_swizzle_b32 v2, v4 offset:swizzle(BROADCAST,32,15)
	ds_swizzle_b32 v3, v1 offset:swizzle(BROADCAST,32,15)
	v_cmp_eq_u32_e64 s12, 0, v1
	s_waitcnt lgkmcnt(1)
	s_delay_alu instid0(VALU_DEP_1) | instskip(SKIP_2) | instid1(VALU_DEP_2)
	v_cndmask_b32_e64 v2, 0, v2, s12
	s_waitcnt lgkmcnt(0)
	v_and_b32_e32 v3, v5, v3
	v_and_b32_e32 v2, v5, v2
	s_delay_alu instid0(VALU_DEP_2) | instskip(NEXT) | instid1(VALU_DEP_2)
	v_add_nc_u32_e32 v1, v3, v1
	v_add_nc_u32_e32 v2, v2, v4
	v_lshlrev_b32_e32 v4, 3, v82
	v_cmpx_eq_u32_e64 v83, v0
	s_cbranch_execz .LBB591_144
; %bb.143:
	ds_store_b64 v4, v[1:2] offset:2064
.LBB591_144:
	s_or_b32 exec_lo, exec_lo, s13
	s_delay_alu instid0(SALU_CYCLE_1)
	s_mov_b32 s14, exec_lo
	s_waitcnt vmcnt(0) lgkmcnt(0)
	s_barrier
	buffer_gl0_inv
	v_cmpx_gt_u32_e32 8, v0
	s_cbranch_execz .LBB591_146
; %bb.145:
	v_lshlrev_b32_e32 v3, 3, v0
	v_and_b32_e32 v8, 7, v81
	ds_load_b64 v[5:6], v3 offset:2064
	v_cmp_lt_u32_e64 s13, 1, v8
	s_waitcnt lgkmcnt(0)
	v_mov_b32_dpp v7, v6 row_shr:1 row_mask:0xf bank_mask:0xf
	v_cmp_eq_u32_e64 s12, 0, v5
	v_mov_b32_dpp v51, v5 row_shr:1 row_mask:0xf bank_mask:0xf
	s_delay_alu instid0(VALU_DEP_2) | instskip(SKIP_1) | instid1(VALU_DEP_1)
	v_cndmask_b32_e64 v7, 0, v7, s12
	v_cmp_eq_u32_e64 s12, 0, v8
	v_cndmask_b32_e64 v51, v51, 0, s12
	s_delay_alu instid0(VALU_DEP_3) | instskip(NEXT) | instid1(VALU_DEP_2)
	v_cndmask_b32_e64 v7, v7, 0, s12
	v_add_nc_u32_e32 v5, v51, v5
	s_delay_alu instid0(VALU_DEP_2) | instskip(NEXT) | instid1(VALU_DEP_2)
	v_add_nc_u32_e32 v6, v7, v6
	v_mov_b32_dpp v7, v5 row_shr:2 row_mask:0xf bank_mask:0xf
	v_cmp_eq_u32_e64 s12, 0, v5
	s_delay_alu instid0(VALU_DEP_3) | instskip(NEXT) | instid1(VALU_DEP_3)
	v_mov_b32_dpp v51, v6 row_shr:2 row_mask:0xf bank_mask:0xf
	v_cndmask_b32_e64 v7, 0, v7, s13
	s_delay_alu instid0(VALU_DEP_3) | instskip(SKIP_1) | instid1(VALU_DEP_3)
	s_and_b32 s12, s13, s12
	v_cmp_lt_u32_e64 s13, 3, v8
	v_cndmask_b32_e64 v51, 0, v51, s12
	s_delay_alu instid0(VALU_DEP_3) | instskip(NEXT) | instid1(VALU_DEP_2)
	v_add_nc_u32_e32 v5, v7, v5
	v_add_nc_u32_e32 v6, v51, v6
	s_delay_alu instid0(VALU_DEP_2) | instskip(SKIP_1) | instid1(VALU_DEP_3)
	v_cmp_eq_u32_e64 s12, 0, v5
	v_mov_b32_dpp v7, v5 row_shr:4 row_mask:0xf bank_mask:0xf
	v_mov_b32_dpp v8, v6 row_shr:4 row_mask:0xf bank_mask:0xf
	s_delay_alu instid0(VALU_DEP_3) | instskip(NEXT) | instid1(VALU_DEP_2)
	s_and_b32 s12, s13, s12
	v_cndmask_b32_e64 v7, 0, v7, s13
	s_delay_alu instid0(VALU_DEP_2) | instskip(NEXT) | instid1(VALU_DEP_2)
	v_cndmask_b32_e64 v8, 0, v8, s12
	v_add_nc_u32_e32 v5, v7, v5
	s_delay_alu instid0(VALU_DEP_2)
	v_add_nc_u32_e32 v6, v8, v6
	ds_store_b64 v3, v[5:6] offset:2064
.LBB591_146:
	s_or_b32 exec_lo, exec_lo, s14
	v_mov_b32_e32 v7, 0
	v_mov_b32_e32 v3, 0
	;; [unrolled: 1-line block ×3, first 2 shown]
	s_mov_b32 s13, exec_lo
	s_waitcnt lgkmcnt(0)
	s_barrier
	buffer_gl0_inv
	v_cmpx_lt_u32_e32 31, v0
	s_cbranch_execz .LBB591_148
; %bb.147:
	ds_load_b64 v[3:4], v4 offset:2056
	s_waitcnt lgkmcnt(0)
	v_cmp_eq_u32_e64 s12, 0, v3
	s_delay_alu instid0(VALU_DEP_1) | instskip(NEXT) | instid1(VALU_DEP_1)
	v_cndmask_b32_e64 v5, 0, v35, s12
	v_add_nc_u32_e32 v5, v5, v4
.LBB591_148:
	s_or_b32 exec_lo, exec_lo, s13
	v_add_nc_u32_e32 v4, -1, v81
	v_cmp_eq_u32_e64 s13, 0, v27
	s_delay_alu instid0(VALU_DEP_2) | instskip(NEXT) | instid1(VALU_DEP_1)
	v_cmp_gt_i32_e64 s12, 0, v4
	v_cndmask_b32_e64 v4, v4, v81, s12
	v_cmp_eq_u32_e64 s12, 0, v1
	v_add_nc_u32_e32 v1, v3, v1
	s_delay_alu instid0(VALU_DEP_3) | instskip(NEXT) | instid1(VALU_DEP_3)
	v_lshlrev_b32_e32 v4, 2, v4
	v_cndmask_b32_e64 v6, 0, v5, s12
	v_cmp_eq_u32_e64 s12, 0, v81
	ds_bpermute_b32 v1, v4, v1
	v_add_nc_u32_e32 v2, v6, v2
	ds_bpermute_b32 v2, v4, v2
	s_waitcnt lgkmcnt(1)
	v_cndmask_b32_e64 v1, v1, v3, s12
	s_waitcnt lgkmcnt(0)
	v_cndmask_b32_e64 v2, v2, v5, s12
	v_cmp_eq_u32_e64 s12, 0, v0
	s_delay_alu instid0(VALU_DEP_1) | instskip(SKIP_1) | instid1(VALU_DEP_2)
	v_cndmask_b32_e64 v68, v2, v35, s12
	v_cndmask_b32_e64 v67, v1, 0, s12
	;; [unrolled: 1-line block ×3, first 2 shown]
	s_delay_alu instid0(VALU_DEP_2) | instskip(NEXT) | instid1(VALU_DEP_2)
	v_add_nc_u32_e32 v73, v67, v27
	v_add_nc_u32_e32 v74, v2, v49
	s_delay_alu instid0(VALU_DEP_2) | instskip(NEXT) | instid1(VALU_DEP_2)
	v_add_nc_u32_e32 v69, v73, v36
	v_cndmask_b32_e64 v2, 0, v74, s6
	s_delay_alu instid0(VALU_DEP_2) | instskip(NEXT) | instid1(VALU_DEP_2)
	v_add_nc_u32_e32 v65, v69, v33
	v_add_nc_u32_e32 v70, v2, v50
	s_delay_alu instid0(VALU_DEP_2) | instskip(NEXT) | instid1(VALU_DEP_2)
	v_add_nc_u32_e32 v59, v65, v34
	v_cndmask_b32_e64 v2, 0, v70, s7
	s_delay_alu instid0(VALU_DEP_2) | instskip(NEXT) | instid1(VALU_DEP_2)
	v_add_nc_u32_e32 v55, v59, v31
	v_add_nc_u32_e32 v66, v2, v47
	s_delay_alu instid0(VALU_DEP_2) | instskip(NEXT) | instid1(VALU_DEP_2)
	v_add_nc_u32_e32 v53, v55, v32
	v_cndmask_b32_e64 v2, 0, v66, s8
	s_delay_alu instid0(VALU_DEP_2) | instskip(NEXT) | instid1(VALU_DEP_2)
	v_add_nc_u32_e32 v57, v53, v29
	v_add_nc_u32_e32 v60, v2, v48
	s_delay_alu instid0(VALU_DEP_2) | instskip(NEXT) | instid1(VALU_DEP_2)
	v_add_nc_u32_e32 v61, v57, v30
	v_cndmask_b32_e64 v2, 0, v60, s9
	s_delay_alu instid0(VALU_DEP_2) | instskip(NEXT) | instid1(VALU_DEP_2)
	v_add_nc_u32_e32 v5, v61, v25
	v_add_nc_u32_e32 v56, v2, v45
	s_delay_alu instid0(VALU_DEP_1) | instskip(NEXT) | instid1(VALU_DEP_1)
	v_cndmask_b32_e64 v2, 0, v56, s10
	v_add_nc_u32_e32 v54, v2, v46
	s_delay_alu instid0(VALU_DEP_1) | instskip(NEXT) | instid1(VALU_DEP_1)
	v_cndmask_b32_e64 v2, 0, v54, s11
	v_add_nc_u32_e32 v58, v2, v43
	s_delay_alu instid0(VALU_DEP_1) | instskip(NEXT) | instid1(VALU_DEP_1)
	v_cndmask_b32_e64 v1, 0, v58, s5
	v_add_nc_u32_e32 v62, v1, v44
	s_delay_alu instid0(VALU_DEP_1) | instskip(NEXT) | instid1(VALU_DEP_1)
	v_cndmask_b32_e64 v1, 0, v62, s4
	v_add_nc_u32_e32 v6, v1, v41
	s_delay_alu instid0(VALU_DEP_1) | instskip(NEXT) | instid1(VALU_DEP_1)
	v_cndmask_b32_e64 v1, 0, v6, s3
	v_add_nc_u32_e32 v8, v1, v42
	s_delay_alu instid0(VALU_DEP_1) | instskip(NEXT) | instid1(VALU_DEP_1)
	v_cndmask_b32_e64 v1, 0, v8, s2
	v_add_nc_u32_e32 v52, v1, v39
	ds_load_b64 v[1:2], v7 offset:2120
	v_add_nc_u32_e32 v7, v5, v26
	v_cndmask_b32_e64 v3, 0, v52, s1
	s_delay_alu instid0(VALU_DEP_2) | instskip(NEXT) | instid1(VALU_DEP_2)
	v_add_nc_u32_e32 v51, v7, v23
	v_add_nc_u32_e32 v76, v3, v40
	s_delay_alu instid0(VALU_DEP_2) | instskip(NEXT) | instid1(VALU_DEP_2)
	v_add_nc_u32_e32 v75, v51, v24
	v_cndmask_b32_e32 v3, 0, v76, vcc_lo
	s_delay_alu instid0(VALU_DEP_2) | instskip(NEXT) | instid1(VALU_DEP_2)
	v_add_nc_u32_e32 v71, v75, v79
	v_add_nc_u32_e32 v72, v3, v37
	s_waitcnt lgkmcnt(0)
	v_cmp_eq_u32_e32 vcc_lo, 0, v1
	s_delay_alu instid0(VALU_DEP_3) | instskip(NEXT) | instid1(VALU_DEP_3)
	v_add_nc_u32_e32 v63, v71, v28
	v_cndmask_b32_e64 v3, 0, v72, s0
	v_cndmask_b32_e32 v4, 0, v35, vcc_lo
	s_delay_alu instid0(VALU_DEP_2) | instskip(NEXT) | instid1(VALU_DEP_2)
	v_add_nc_u32_e32 v64, v3, v38
	v_add_nc_u32_e32 v35, v4, v2
	s_and_saveexec_b32 s0, s12
	s_cbranch_execz .LBB591_150
; %bb.149:
	s_delay_alu instid0(VALU_DEP_1)
	v_and_b32_e32 v2, 0xff000000, v35
	v_dual_mov_b32 v4, 0 :: v_dual_and_b32 v3, 0xff0000, v35
	s_add_u32 s2, s24, 0x200
	v_and_b32_e32 v37, 0xff00, v35
	s_addc_u32 s3, s25, 0
	v_and_b32_e32 v38, 0xff, v35
	v_or_b32_e32 v2, v3, v2
	v_mov_b32_e32 v3, 2
	s_delay_alu instid0(VALU_DEP_2)
	v_or3_b32 v2, v2, v37, v38
	v_dual_mov_b32 v38, s3 :: v_dual_mov_b32 v37, s2
	;;#ASMSTART
	global_store_dwordx4 v[37:38], v[1:4] off	
s_waitcnt vmcnt(0)
	;;#ASMEND
.LBB591_150:
	s_or_b32 exec_lo, exec_lo, s0
	v_mov_b32_e32 v3, 0
.LBB591_151:
	v_mov_b32_e32 v37, 0
	s_and_b32 s0, s16, exec_lo
	v_mov_b32_e32 v38, 0
	s_cselect_b32 s1, 0, s43
	s_cselect_b32 s0, 0, s42
	s_waitcnt lgkmcnt(0)
	s_cmp_eq_u64 s[0:1], 0
	s_barrier
	buffer_gl0_inv
	s_cbranch_scc1 .LBB591_153
; %bb.152:
	v_mov_b32_e32 v2, 0
	global_load_b64 v[37:38], v2, s[0:1]
.LBB591_153:
	v_cmp_eq_u32_e32 vcc_lo, 0, v27
	v_cmp_ne_u32_e64 s14, 0, v27
	v_cmp_ne_u32_e64 s13, 0, v36
	;; [unrolled: 1-line block ×4, first 2 shown]
	v_cndmask_b32_e64 v2, 1, 2, vcc_lo
	v_cmp_eq_u32_e32 vcc_lo, 0, v36
	v_cmp_ne_u32_e64 s10, 0, v31
	v_cmp_ne_u32_e64 s9, 0, v32
	;; [unrolled: 1-line block ×4, first 2 shown]
	v_cndmask_b32_e64 v4, 1, 2, vcc_lo
	v_cmp_eq_u32_e32 vcc_lo, 0, v33
	v_cmp_ne_u32_e64 s8, 0, v25
	v_cmp_ne_u32_e64 s6, 0, v26
	;; [unrolled: 1-line block ×3, first 2 shown]
	v_and_b32_e32 v2, v4, v2
	v_cndmask_b32_e64 v39, 1, 2, vcc_lo
	v_cmp_eq_u32_e32 vcc_lo, 0, v34
	v_cmp_ne_u32_e64 s3, 0, v24
	v_cmp_ne_u32_e64 s2, 0, v79
	;; [unrolled: 1-line block ×3, first 2 shown]
	v_and_b32_e32 v2, v2, v39
	v_cndmask_b32_e64 v4, 1, 2, vcc_lo
	v_cmp_eq_u32_e32 vcc_lo, 0, v31
	v_cmp_ne_u32_e64 s0, 0, v78
	s_mov_b32 s16, -1
	s_delay_alu instid0(VALU_DEP_3) | instskip(SKIP_2) | instid1(VALU_DEP_2)
	v_and_b32_e32 v2, v2, v4
	v_cndmask_b32_e64 v39, 1, 2, vcc_lo
	v_cmp_eq_u32_e32 vcc_lo, 0, v32
	v_and_b32_e32 v2, v2, v39
	v_cndmask_b32_e64 v4, 1, 2, vcc_lo
	v_cmp_eq_u32_e32 vcc_lo, 0, v29
	s_waitcnt vmcnt(0)
	v_lshlrev_b64 v[39:40], 2, v[37:38]
	s_delay_alu instid0(VALU_DEP_3) | instskip(SKIP_2) | instid1(VALU_DEP_2)
	v_and_b32_e32 v2, v2, v4
	v_cndmask_b32_e64 v41, 1, 2, vcc_lo
	v_cmp_eq_u32_e32 vcc_lo, 0, v30
	v_and_b32_e32 v2, v2, v41
	v_cndmask_b32_e64 v42, 1, 2, vcc_lo
	v_cmp_eq_u32_e32 vcc_lo, 0, v25
	s_delay_alu instid0(VALU_DEP_2) | instskip(SKIP_2) | instid1(VALU_DEP_2)
	v_and_b32_e32 v2, v2, v42
	v_cndmask_b32_e64 v41, 1, 2, vcc_lo
	v_cmp_eq_u32_e32 vcc_lo, 0, v26
	v_and_b32_e32 v2, v2, v41
	v_cndmask_b32_e64 v42, 1, 2, vcc_lo
	v_cmp_eq_u32_e32 vcc_lo, 0, v23
	s_delay_alu instid0(VALU_DEP_2) | instskip(SKIP_2) | instid1(VALU_DEP_2)
	;; [unrolled: 7-line block ×3, first 2 shown]
	v_and_b32_e32 v2, v2, v43
	v_cndmask_b32_e64 v44, 1, 2, vcc_lo
	v_cmp_eq_u32_e32 vcc_lo, 0, v28
	v_and_b32_e32 v44, v2, v44
	v_cndmask_b32_e64 v45, 1, 2, vcc_lo
	v_mov_b32_e32 v4, 0
	s_delay_alu instid0(VALU_DEP_1) | instskip(SKIP_2) | instid1(VALU_DEP_2)
	v_lshlrev_b64 v[41:42], 2, v[3:4]
	v_add_co_u32 v4, vcc_lo, s22, v39
	v_add_co_ci_u32_e32 v43, vcc_lo, s23, v40, vcc_lo
	v_add_co_u32 v2, vcc_lo, v4, v41
	s_delay_alu instid0(VALU_DEP_2) | instskip(SKIP_4) | instid1(VALU_DEP_2)
	v_add_co_ci_u32_e32 v4, vcc_lo, v43, v42, vcc_lo
	v_and_b32_e32 v43, v44, v45
	v_cmp_eq_u32_e32 vcc_lo, 0, v78
	v_cndmask_b32_e64 v44, 1, 2, vcc_lo
	v_cmp_gt_u32_e32 vcc_lo, 0x100, v1
	v_and_b32_e32 v43, v43, v44
	s_delay_alu instid0(VALU_DEP_1)
	v_cmp_gt_i16_e64 s15, 2, v43
	s_cbranch_vccz .LBB591_160
; %bb.154:
	s_delay_alu instid0(VALU_DEP_1)
	s_and_saveexec_b32 s16, s15
	s_cbranch_execz .LBB591_159
; %bb.155:
	s_mov_b32 s17, 0
	s_mov_b32 s15, exec_lo
	v_cmpx_ne_u16_e32 1, v43
	s_xor_b32 s15, exec_lo, s15
	s_cbranch_execnz .LBB591_225
; %bb.156:
	s_and_not1_saveexec_b32 s15, s15
	s_cbranch_execnz .LBB591_241
.LBB591_157:
	s_or_b32 exec_lo, exec_lo, s15
	s_delay_alu instid0(SALU_CYCLE_1)
	s_and_b32 exec_lo, exec_lo, s17
	s_cbranch_execz .LBB591_159
.LBB591_158:
	v_sub_nc_u32_e32 v44, v63, v3
	v_mov_b32_e32 v45, 0
	s_delay_alu instid0(VALU_DEP_1) | instskip(NEXT) | instid1(VALU_DEP_1)
	v_lshlrev_b64 v[44:45], 2, v[44:45]
	v_add_co_u32 v44, vcc_lo, v2, v44
	s_delay_alu instid0(VALU_DEP_2)
	v_add_co_ci_u32_e32 v45, vcc_lo, v4, v45, vcc_lo
	global_store_b32 v[44:45], v77, off
.LBB591_159:
	s_or_b32 exec_lo, exec_lo, s16
	s_mov_b32 s16, 0
.LBB591_160:
	s_delay_alu instid0(SALU_CYCLE_1)
	s_and_b32 vcc_lo, exec_lo, s16
	s_cbranch_vccz .LBB591_170
; %bb.161:
	s_mov_b32 s15, exec_lo
	v_cmpx_gt_i16_e32 2, v43
	s_cbranch_execz .LBB591_166
; %bb.162:
	s_mov_b32 s17, 0
	s_mov_b32 s16, exec_lo
	v_cmpx_ne_u16_e32 1, v43
	s_xor_b32 s16, exec_lo, s16
	s_cbranch_execnz .LBB591_242
; %bb.163:
	s_and_not1_saveexec_b32 s0, s16
	s_cbranch_execnz .LBB591_258
.LBB591_164:
	s_or_b32 exec_lo, exec_lo, s0
	s_delay_alu instid0(SALU_CYCLE_1)
	s_and_b32 exec_lo, exec_lo, s17
	s_cbranch_execz .LBB591_166
.LBB591_165:
	v_sub_nc_u32_e32 v9, v63, v3
	s_delay_alu instid0(VALU_DEP_1)
	v_lshlrev_b32_e32 v9, 2, v9
	ds_store_b32 v9, v77
.LBB591_166:
	s_or_b32 exec_lo, exec_lo, s15
	s_delay_alu instid0(SALU_CYCLE_1)
	s_mov_b32 s1, exec_lo
	s_waitcnt lgkmcnt(0)
	s_waitcnt_vscnt null, 0x0
	s_barrier
	buffer_gl0_inv
	v_cmpx_lt_u32_e64 v0, v1
	s_cbranch_execz .LBB591_169
; %bb.167:
	v_dual_mov_b32 v10, 0 :: v_dual_lshlrev_b32 v11, 2, v0
	v_mov_b32_e32 v9, v0
	s_mov_b32 s2, 0
	.p2align	6
.LBB591_168:                            ; =>This Inner Loop Header: Depth=1
	ds_load_b32 v14, v11
	v_lshlrev_b64 v[12:13], 2, v[9:10]
	v_add_nc_u32_e32 v9, 0x100, v9
	v_add_nc_u32_e32 v11, 0x400, v11
	s_delay_alu instid0(VALU_DEP_2) | instskip(NEXT) | instid1(VALU_DEP_4)
	v_cmp_ge_u32_e32 vcc_lo, v9, v1
	v_add_co_u32 v12, s0, v2, v12
	s_delay_alu instid0(VALU_DEP_1)
	v_add_co_ci_u32_e64 v13, s0, v4, v13, s0
	s_or_b32 s2, vcc_lo, s2
	s_waitcnt lgkmcnt(0)
	global_store_b32 v[12:13], v14, off
	s_and_not1_b32 exec_lo, exec_lo, s2
	s_cbranch_execnz .LBB591_168
.LBB591_169:
	s_or_b32 exec_lo, exec_lo, s1
.LBB591_170:
	s_cmpk_lg_i32 s19, 0xf00
	v_cmp_eq_u32_e32 vcc_lo, 0, v0
	s_cselect_b32 s0, -1, 0
	v_cndmask_b32_e64 v4, 0, 1, s20
	s_and_b32 s0, s18, s0
	v_mad_i32_i24 v10, v0, -15, s19
	v_cndmask_b32_e64 v9, 0, 1, s0
	s_mul_hi_u32 s0, s19, 0x88888889
	s_and_b32 s1, vcc_lo, s20
	s_lshr_b32 s0, s0, 3
	v_sub_nc_u32_e32 v2, v1, v4
	v_cndmask_b32_e64 v11, v27, 0, s1
	v_cmp_eq_u32_e32 vcc_lo, s0, v0
	v_cmp_ne_u32_e64 s0, 0, v10
	s_mov_b32 s16, -1
	s_waitcnt_vscnt null, 0x0
	s_barrier
	s_and_b32 vcc_lo, s18, vcc_lo
	v_add_nc_u32_e32 v2, v2, v9
	v_cndmask_b32_e64 v9, 1, v11, s0
	v_cmp_ne_u32_e64 s0, 1, v10
	buffer_gl0_inv
	v_cndmask_b32_e64 v12, 1, v36, s0
	v_cmp_ne_u32_e64 s0, 14, v10
	s_delay_alu instid0(VALU_DEP_2) | instskip(NEXT) | instid1(VALU_DEP_2)
	v_cndmask_b32_e32 v17, v36, v12, vcc_lo
	v_cndmask_b32_e64 v13, 1, v78, s0
	v_cmp_ne_u32_e64 s0, 2, v10
	s_delay_alu instid0(VALU_DEP_3) | instskip(NEXT) | instid1(VALU_DEP_3)
	v_cmp_ne_u32_e64 s13, 0, v17
	v_cndmask_b32_e32 v16, v78, v13, vcc_lo
	s_delay_alu instid0(VALU_DEP_3) | instskip(SKIP_1) | instid1(VALU_DEP_2)
	v_cndmask_b32_e64 v14, 1, v33, s0
	v_cmp_ne_u32_e64 s0, 3, v10
	v_dual_cndmask_b32 v13, v11, v9 :: v_dual_cndmask_b32 v14, v33, v14
	s_delay_alu instid0(VALU_DEP_2) | instskip(SKIP_1) | instid1(VALU_DEP_3)
	v_cndmask_b32_e64 v15, 1, v34, s0
	v_cmp_ne_u32_e64 s0, 4, v10
	v_cmp_ne_u32_e64 s14, 0, v13
	s_delay_alu instid0(VALU_DEP_4) | instskip(NEXT) | instid1(VALU_DEP_3)
	v_cmp_ne_u32_e64 s12, 0, v14
	v_cndmask_b32_e64 v9, 1, v31, s0
	v_cmp_ne_u32_e64 s0, 5, v10
	s_delay_alu instid0(VALU_DEP_1) | instskip(SKIP_1) | instid1(VALU_DEP_2)
	v_cndmask_b32_e64 v11, 1, v32, s0
	v_cmp_eq_u32_e64 s0, 0, v13
	v_cndmask_b32_e32 v27, v32, v11, vcc_lo
	s_delay_alu instid0(VALU_DEP_2) | instskip(SKIP_1) | instid1(VALU_DEP_3)
	v_cndmask_b32_e64 v12, 1, 2, s0
	v_cmp_eq_u32_e64 s0, 0, v17
	v_cmp_ne_u32_e64 s9, 0, v27
	s_delay_alu instid0(VALU_DEP_2) | instskip(SKIP_1) | instid1(VALU_DEP_1)
	v_cndmask_b32_e64 v18, 1, 2, s0
	v_cmp_ne_u32_e64 s0, 6, v10
	v_cndmask_b32_e64 v19, 1, v29, s0
	v_cmp_eq_u32_e64 s0, 0, v14
	s_delay_alu instid0(VALU_DEP_2) | instskip(NEXT) | instid1(VALU_DEP_2)
	v_dual_cndmask_b32 v19, v29, v19 :: v_dual_and_b32 v12, v18, v12
	v_cndmask_b32_e64 v18, 1, 2, s0
	v_cmp_ne_u32_e64 s0, 7, v10
	v_cndmask_b32_e32 v15, v34, v15, vcc_lo
	s_delay_alu instid0(VALU_DEP_4) | instskip(NEXT) | instid1(VALU_DEP_4)
	v_cmp_ne_u32_e64 s8, 0, v19
	v_and_b32_e32 v12, v12, v18
	s_delay_alu instid0(VALU_DEP_4) | instskip(SKIP_2) | instid1(VALU_DEP_2)
	v_cndmask_b32_e64 v20, 1, v30, s0
	v_cmp_ne_u32_e64 s0, 8, v10
	v_cmp_ne_u32_e64 s11, 0, v15
	v_cndmask_b32_e64 v21, 1, v25, s0
	v_cmp_eq_u32_e64 s0, 0, v15
	s_delay_alu instid0(VALU_DEP_1) | instskip(SKIP_2) | instid1(VALU_DEP_3)
	v_cndmask_b32_e64 v18, 1, 2, s0
	v_cndmask_b32_e32 v22, v31, v9, vcc_lo
	v_cmp_ne_u32_e64 s0, 9, v10
	v_and_b32_e32 v11, v12, v18
	s_delay_alu instid0(VALU_DEP_3) | instskip(NEXT) | instid1(VALU_DEP_3)
	v_cmp_ne_u32_e64 s10, 0, v22
	v_cndmask_b32_e64 v9, 1, v26, s0
	v_cmp_eq_u32_e64 s0, 0, v22
	s_delay_alu instid0(VALU_DEP_1) | instskip(SKIP_1) | instid1(VALU_DEP_2)
	v_cndmask_b32_e64 v12, 1, 2, s0
	v_cmp_ne_u32_e64 s0, 10, v10
	v_and_b32_e32 v11, v11, v12
	s_delay_alu instid0(VALU_DEP_2) | instskip(SKIP_1) | instid1(VALU_DEP_2)
	v_cndmask_b32_e64 v18, 1, v23, s0
	v_cmp_ne_u32_e64 s0, 12, v10
	v_dual_cndmask_b32 v21, v25, v21 :: v_dual_cndmask_b32 v18, v23, v18
	s_delay_alu instid0(VALU_DEP_2)
	v_cndmask_b32_e64 v31, 1, v79, s0
	v_cmp_eq_u32_e64 s0, 0, v27
	v_cndmask_b32_e32 v20, v30, v20, vcc_lo
	v_cndmask_b32_e32 v23, v26, v9, vcc_lo
	v_cmp_ne_u32_e64 s6, 0, v21
	v_cmp_ne_u32_e64 s4, 0, v18
	v_cndmask_b32_e64 v12, 1, 2, s0
	v_cmp_ne_u32_e64 s0, 13, v10
	s_delay_alu instid0(VALU_DEP_1) | instskip(SKIP_1) | instid1(VALU_DEP_2)
	v_cndmask_b32_e64 v29, 1, v28, s0
	v_cmp_eq_u32_e64 s0, 0, v19
	v_dual_cndmask_b32 v28, v28, v29 :: v_dual_and_b32 v11, v11, v12
	s_delay_alu instid0(VALU_DEP_2) | instskip(SKIP_4) | instid1(VALU_DEP_4)
	v_cndmask_b32_e64 v12, 1, 2, s0
	v_cmp_ne_u32_e64 s0, 11, v10
	v_cndmask_b32_e32 v29, v79, v31, vcc_lo
	v_cmp_ne_u32_e64 s7, 0, v20
	v_cmp_ne_u32_e64 s1, 0, v28
	v_cndmask_b32_e64 v10, 1, v24, s0
	v_cmp_eq_u32_e64 s0, 0, v20
	v_cmp_ne_u32_e64 s2, 0, v29
	s_delay_alu instid0(VALU_DEP_3) | instskip(NEXT) | instid1(VALU_DEP_3)
	v_dual_cndmask_b32 v24, v24, v10 :: v_dual_and_b32 v11, v11, v12
	v_cndmask_b32_e64 v12, 1, 2, s0
	v_cmp_eq_u32_e32 vcc_lo, 0, v21
	v_cmp_ne_u32_e64 s0, 0, v16
	s_delay_alu instid0(VALU_DEP_4) | instskip(NEXT) | instid1(VALU_DEP_4)
	v_cmp_ne_u32_e64 s3, 0, v24
	v_and_b32_e32 v9, v11, v12
	v_cndmask_b32_e64 v10, 1, 2, vcc_lo
	v_add_co_u32 v11, vcc_lo, s36, v39
	v_add_co_ci_u32_e32 v12, vcc_lo, s37, v40, vcc_lo
	v_cmp_eq_u32_e32 vcc_lo, 0, v23
	s_delay_alu instid0(VALU_DEP_4)
	v_and_b32_e32 v25, v9, v10
	v_cndmask_b32_e64 v26, 1, 2, vcc_lo
	v_add_co_u32 v9, vcc_lo, v11, v41
	v_add_co_ci_u32_e32 v10, vcc_lo, v12, v42, vcc_lo
	v_lshlrev_b32_e32 v11, 2, v4
	v_cmp_eq_u32_e32 vcc_lo, 0, v18
	v_and_b32_e32 v12, v25, v26
	v_add_nc_u32_e32 v4, v3, v4
	v_cmp_ne_u32_e64 s5, 0, v23
	v_cndmask_b32_e64 v25, 1, 2, vcc_lo
	v_add_co_u32 v11, vcc_lo, v11, v9
	v_add_co_ci_u32_e32 v26, vcc_lo, 0, v10, vcc_lo
	v_cmp_eq_u32_e32 vcc_lo, 0, v24
	s_delay_alu instid0(VALU_DEP_4) | instskip(SKIP_4) | instid1(VALU_DEP_4)
	v_and_b32_e32 v25, v12, v25
	v_cndmask_b32_e64 v30, 1, 2, vcc_lo
	v_add_co_u32 v11, vcc_lo, v11, -4
	v_add_co_ci_u32_e32 v12, vcc_lo, -1, v26, vcc_lo
	v_cmp_eq_u32_e32 vcc_lo, 0, v29
	v_and_b32_e32 v25, v25, v30
	v_cndmask_b32_e64 v26, 1, 2, vcc_lo
	v_cmp_eq_u32_e32 vcc_lo, 0, v28
	s_delay_alu instid0(VALU_DEP_2) | instskip(SKIP_2) | instid1(VALU_DEP_2)
	v_and_b32_e32 v13, v25, v26
	v_cndmask_b32_e64 v14, 1, 2, vcc_lo
	v_cmp_eq_u32_e32 vcc_lo, 0, v16
	v_and_b32_e32 v13, v13, v14
	v_cndmask_b32_e64 v14, 1, 2, vcc_lo
	v_cmp_gt_u32_e32 vcc_lo, 0x100, v2
	s_delay_alu instid0(VALU_DEP_2) | instskip(NEXT) | instid1(VALU_DEP_1)
	v_and_b32_e32 v13, v13, v14
	v_cmp_gt_i16_e64 s15, 2, v13
	s_cbranch_vccnz .LBB591_174
; %bb.171:
	s_and_b32 vcc_lo, exec_lo, s16
	s_cbranch_vccnz .LBB591_180
.LBB591_172:
	v_cmp_eq_u32_e32 vcc_lo, 0xff, v0
	s_and_b32 s0, vcc_lo, s18
	s_delay_alu instid0(SALU_CYCLE_1)
	s_and_saveexec_b32 s1, s0
	s_cbranch_execnz .LBB591_189
.LBB591_173:
	s_nop 0
	s_sendmsg sendmsg(MSG_DEALLOC_VGPRS)
	s_endpgm
.LBB591_174:
	s_delay_alu instid0(VALU_DEP_1)
	s_and_saveexec_b32 s16, s15
	s_cbranch_execz .LBB591_179
; %bb.175:
	s_mov_b32 s17, 0
	s_mov_b32 s15, exec_lo
	v_cmpx_ne_u16_e32 1, v13
	s_xor_b32 s15, exec_lo, s15
	s_cbranch_execnz .LBB591_259
; %bb.176:
	s_and_not1_saveexec_b32 s15, s15
	s_cbranch_execnz .LBB591_275
.LBB591_177:
	s_or_b32 exec_lo, exec_lo, s15
	s_delay_alu instid0(SALU_CYCLE_1)
	s_and_b32 exec_lo, exec_lo, s17
	s_cbranch_execz .LBB591_179
.LBB591_178:
	v_sub_nc_u32_e32 v14, v63, v4
	v_mov_b32_e32 v15, 0
	s_delay_alu instid0(VALU_DEP_1) | instskip(NEXT) | instid1(VALU_DEP_1)
	v_lshlrev_b64 v[14:15], 2, v[14:15]
	v_add_co_u32 v14, vcc_lo, v11, v14
	s_delay_alu instid0(VALU_DEP_2)
	v_add_co_ci_u32_e32 v15, vcc_lo, v12, v15, vcc_lo
	global_store_b32 v[14:15], v64, off
.LBB591_179:
	s_or_b32 exec_lo, exec_lo, s16
	s_branch .LBB591_172
.LBB591_180:
	s_mov_b32 s15, exec_lo
	v_cmpx_gt_i16_e32 2, v13
	s_cbranch_execz .LBB591_185
; %bb.181:
	s_mov_b32 s17, 0
	s_mov_b32 s16, exec_lo
	v_cmpx_ne_u16_e32 1, v13
	s_xor_b32 s16, exec_lo, s16
	s_cbranch_execnz .LBB591_276
; %bb.182:
	s_and_not1_saveexec_b32 s0, s16
	s_cbranch_execnz .LBB591_292
.LBB591_183:
	s_or_b32 exec_lo, exec_lo, s0
	s_delay_alu instid0(SALU_CYCLE_1)
	s_and_b32 exec_lo, exec_lo, s17
	s_cbranch_execz .LBB591_185
.LBB591_184:
	v_sub_nc_u32_e32 v4, v63, v4
	s_delay_alu instid0(VALU_DEP_1)
	v_lshlrev_b32_e32 v4, 2, v4
	ds_store_b32 v4, v64
.LBB591_185:
	s_or_b32 exec_lo, exec_lo, s15
	s_delay_alu instid0(SALU_CYCLE_1)
	s_mov_b32 s1, exec_lo
	s_waitcnt lgkmcnt(0)
	s_waitcnt_vscnt null, 0x0
	s_barrier
	buffer_gl0_inv
	v_cmpx_lt_u32_e64 v0, v2
	s_cbranch_execz .LBB591_188
; %bb.186:
	v_dual_mov_b32 v5, 0 :: v_dual_lshlrev_b32 v6, 2, v0
	v_mov_b32_e32 v4, v0
	s_mov_b32 s2, 0
	.p2align	6
.LBB591_187:                            ; =>This Inner Loop Header: Depth=1
	ds_load_b32 v13, v6
	v_lshlrev_b64 v[7:8], 2, v[4:5]
	v_add_nc_u32_e32 v4, 0x100, v4
	v_add_nc_u32_e32 v6, 0x400, v6
	s_delay_alu instid0(VALU_DEP_2) | instskip(NEXT) | instid1(VALU_DEP_4)
	v_cmp_ge_u32_e32 vcc_lo, v4, v2
	v_add_co_u32 v7, s0, v11, v7
	s_delay_alu instid0(VALU_DEP_1)
	v_add_co_ci_u32_e64 v8, s0, v12, v8, s0
	s_or_b32 s2, vcc_lo, s2
	s_waitcnt lgkmcnt(0)
	global_store_b32 v[7:8], v13, off
	s_and_not1_b32 exec_lo, exec_lo, s2
	s_cbranch_execnz .LBB591_187
.LBB591_188:
	s_or_b32 exec_lo, exec_lo, s1
	v_cmp_eq_u32_e32 vcc_lo, 0xff, v0
	s_and_b32 s0, vcc_lo, s18
	s_delay_alu instid0(SALU_CYCLE_1)
	s_and_saveexec_b32 s1, s0
	s_cbranch_execz .LBB591_173
.LBB591_189:
	v_add_co_u32 v0, s0, v1, v3
	s_delay_alu instid0(VALU_DEP_1) | instskip(SKIP_1) | instid1(VALU_DEP_3)
	v_add_co_ci_u32_e64 v4, null, 0, 0, s0
	v_mov_b32_e32 v2, 0
	v_add_co_u32 v3, vcc_lo, v0, v37
	s_delay_alu instid0(VALU_DEP_3)
	v_add_co_ci_u32_e32 v4, vcc_lo, v4, v38, vcc_lo
	s_cmpk_lg_i32 s19, 0xf00
	global_store_b64 v2, v[3:4], s[38:39]
	s_cbranch_scc1 .LBB591_173
; %bb.190:
	v_lshlrev_b64 v[0:1], 2, v[1:2]
	s_delay_alu instid0(VALU_DEP_1) | instskip(NEXT) | instid1(VALU_DEP_2)
	v_add_co_u32 v0, vcc_lo, v9, v0
	v_add_co_ci_u32_e32 v1, vcc_lo, v10, v1, vcc_lo
	global_store_b32 v[0:1], v35, off offset:-4
	s_nop 0
	s_sendmsg sendmsg(MSG_DEALLOC_VGPRS)
	s_endpgm
.LBB591_191:
                                        ; implicit-def: $sgpr2
                                        ; implicit-def: $vgpr78
                                        ; implicit-def: $vgpr2
                                        ; implicit-def: $vgpr79
                                        ; implicit-def: $vgpr24
                                        ; implicit-def: $vgpr23
                                        ; implicit-def: $vgpr26
                                        ; implicit-def: $vgpr25
                                        ; implicit-def: $vgpr30
                                        ; implicit-def: $vgpr29
                                        ; implicit-def: $vgpr32
                                        ; implicit-def: $vgpr31
                                        ; implicit-def: $vgpr34
                                        ; implicit-def: $vgpr33
                                        ; implicit-def: $vgpr36
	s_cbranch_execz .LBB591_110
; %bb.192:
	v_dual_mov_b32 v28, 0 :: v_dual_lshlrev_b32 v1, 2, v0
	v_mov_b32_e32 v78, 0
	s_mov_b32 s2, exec_lo
	ds_store_b32 v1, v77
	v_cmpx_gt_u64_e64 s[0:1], v[27:28]
	s_cbranch_execz .LBB591_194
; %bb.193:
	v_mul_hi_i32 v2, 0x66666667, v10
	v_mul_hi_i32 v4, 0x66666667, v77
	s_waitcnt lgkmcnt(1)
	s_delay_alu instid0(VALU_DEP_2) | instskip(SKIP_1) | instid1(VALU_DEP_3)
	v_lshrrev_b32_e32 v5, 31, v2
	v_ashrrev_i32_e32 v2, 2, v2
	v_lshrrev_b32_e32 v6, 31, v4
	v_ashrrev_i32_e32 v4, 2, v4
	s_delay_alu instid0(VALU_DEP_3) | instskip(NEXT) | instid1(VALU_DEP_2)
	v_add_nc_u32_e32 v2, v2, v5
	v_add_nc_u32_e32 v4, v4, v6
	s_delay_alu instid0(VALU_DEP_1)
	v_cmp_ne_u32_e32 vcc_lo, v2, v4
	v_cndmask_b32_e64 v78, 0, 1, vcc_lo
.LBB591_194:
	s_or_b32 exec_lo, exec_lo, s2
	v_add_nc_u32_e32 v27, 13, v3
	s_mov_b32 s2, exec_lo
	s_delay_alu instid0(VALU_DEP_1)
	v_cmpx_gt_u64_e64 s[0:1], v[27:28]
	s_cbranch_execz .LBB591_196
; %bb.195:
	v_mul_hi_i32 v2, 0x66666667, v9
	v_mul_hi_i32 v4, 0x66666667, v10
	s_waitcnt lgkmcnt(1)
	s_delay_alu instid0(VALU_DEP_2) | instskip(SKIP_1) | instid1(VALU_DEP_3)
	v_lshrrev_b32_e32 v5, 31, v2
	v_ashrrev_i32_e32 v2, 2, v2
	v_lshrrev_b32_e32 v6, 31, v4
	v_ashrrev_i32_e32 v4, 2, v4
	s_delay_alu instid0(VALU_DEP_3) | instskip(NEXT) | instid1(VALU_DEP_2)
	v_add_nc_u32_e32 v2, v2, v5
	v_add_nc_u32_e32 v4, v4, v6
	s_delay_alu instid0(VALU_DEP_1)
	v_cmp_ne_u32_e32 vcc_lo, v2, v4
	v_cndmask_b32_e64 v28, 0, 1, vcc_lo
.LBB591_196:
	s_or_b32 exec_lo, exec_lo, s2
	v_dual_mov_b32 v24, 0 :: v_dual_add_nc_u32 v23, 12, v3
	v_mov_b32_e32 v79, 0
	s_mov_b32 s2, exec_lo
	s_delay_alu instid0(VALU_DEP_2)
	v_cmpx_gt_u64_e64 s[0:1], v[23:24]
	s_cbranch_execz .LBB591_198
; %bb.197:
	v_mul_hi_i32 v2, 0x66666667, v12
	v_mul_hi_i32 v4, 0x66666667, v9
	s_waitcnt lgkmcnt(1)
	s_delay_alu instid0(VALU_DEP_2) | instskip(SKIP_1) | instid1(VALU_DEP_3)
	v_lshrrev_b32_e32 v5, 31, v2
	v_ashrrev_i32_e32 v2, 2, v2
	v_lshrrev_b32_e32 v6, 31, v4
	v_ashrrev_i32_e32 v4, 2, v4
	s_delay_alu instid0(VALU_DEP_3) | instskip(NEXT) | instid1(VALU_DEP_2)
	v_add_nc_u32_e32 v2, v2, v5
	v_add_nc_u32_e32 v4, v4, v6
	s_delay_alu instid0(VALU_DEP_1)
	v_cmp_ne_u32_e32 vcc_lo, v2, v4
	v_cndmask_b32_e64 v79, 0, 1, vcc_lo
.LBB591_198:
	s_or_b32 exec_lo, exec_lo, s2
	v_add_nc_u32_e32 v23, 11, v3
	s_mov_b32 s2, exec_lo
	s_delay_alu instid0(VALU_DEP_1)
	v_cmpx_gt_u64_e64 s[0:1], v[23:24]
	s_cbranch_execz .LBB591_200
; %bb.199:
	v_mul_hi_i32 v2, 0x66666667, v11
	v_mul_hi_i32 v4, 0x66666667, v12
	s_waitcnt lgkmcnt(1)
	s_delay_alu instid0(VALU_DEP_2) | instskip(SKIP_1) | instid1(VALU_DEP_3)
	v_lshrrev_b32_e32 v5, 31, v2
	v_ashrrev_i32_e32 v2, 2, v2
	v_lshrrev_b32_e32 v6, 31, v4
	v_ashrrev_i32_e32 v4, 2, v4
	s_delay_alu instid0(VALU_DEP_3) | instskip(NEXT) | instid1(VALU_DEP_2)
	v_add_nc_u32_e32 v2, v2, v5
	v_add_nc_u32_e32 v4, v4, v6
	s_delay_alu instid0(VALU_DEP_1)
	v_cmp_ne_u32_e32 vcc_lo, v2, v4
	v_cndmask_b32_e64 v24, 0, 1, vcc_lo
.LBB591_200:
	s_or_b32 exec_lo, exec_lo, s2
	v_dual_mov_b32 v26, 0 :: v_dual_add_nc_u32 v25, 10, v3
	v_mov_b32_e32 v23, 0
	s_mov_b32 s2, exec_lo
	s_delay_alu instid0(VALU_DEP_2)
	;; [unrolled: 45-line block ×6, first 2 shown]
	v_cmpx_gt_u64_e64 s[0:1], v[35:36]
	s_cbranch_execz .LBB591_218
; %bb.217:
	v_mul_hi_i32 v2, 0x66666667, v22
	v_mul_hi_i32 v4, 0x66666667, v19
	s_waitcnt lgkmcnt(1)
	s_delay_alu instid0(VALU_DEP_2) | instskip(SKIP_1) | instid1(VALU_DEP_3)
	v_lshrrev_b32_e32 v5, 31, v2
	v_ashrrev_i32_e32 v2, 2, v2
	v_lshrrev_b32_e32 v6, 31, v4
	v_ashrrev_i32_e32 v4, 2, v4
	s_delay_alu instid0(VALU_DEP_3) | instskip(NEXT) | instid1(VALU_DEP_2)
	v_add_nc_u32_e32 v2, v2, v5
	v_add_nc_u32_e32 v4, v4, v6
	s_delay_alu instid0(VALU_DEP_1)
	v_cmp_ne_u32_e32 vcc_lo, v2, v4
	v_cndmask_b32_e64 v33, 0, 1, vcc_lo
.LBB591_218:
	s_or_b32 exec_lo, exec_lo, s2
	v_add_nc_u32_e32 v35, 1, v3
	s_mov_b32 s2, exec_lo
	s_delay_alu instid0(VALU_DEP_1)
	v_cmpx_gt_u64_e64 s[0:1], v[35:36]
	s_cbranch_execz .LBB591_220
; %bb.219:
	v_mul_hi_i32 v2, 0x66666667, v21
	v_mul_hi_i32 v4, 0x66666667, v22
	s_waitcnt lgkmcnt(1)
	s_delay_alu instid0(VALU_DEP_2) | instskip(SKIP_1) | instid1(VALU_DEP_3)
	v_lshrrev_b32_e32 v5, 31, v2
	v_ashrrev_i32_e32 v2, 2, v2
	v_lshrrev_b32_e32 v6, 31, v4
	v_ashrrev_i32_e32 v4, 2, v4
	s_delay_alu instid0(VALU_DEP_3) | instskip(NEXT) | instid1(VALU_DEP_2)
	v_add_nc_u32_e32 v2, v2, v5
	v_add_nc_u32_e32 v4, v4, v6
	s_delay_alu instid0(VALU_DEP_1)
	v_cmp_ne_u32_e32 vcc_lo, v2, v4
	v_cndmask_b32_e64 v36, 0, 1, vcc_lo
.LBB591_220:
	s_or_b32 exec_lo, exec_lo, s2
	s_mov_b32 s4, 0
	s_mov_b32 s3, exec_lo
	s_waitcnt lgkmcnt(0)
	s_barrier
	buffer_gl0_inv
                                        ; implicit-def: $sgpr2
	v_cmpx_ne_u32_e32 0, v0
	s_cbranch_execz .LBB591_224
; %bb.221:
	v_mov_b32_e32 v4, 0
	s_delay_alu instid0(VALU_DEP_1)
	v_cmp_gt_u64_e32 vcc_lo, s[0:1], v[3:4]
	s_and_saveexec_b32 s0, vcc_lo
	s_cbranch_execz .LBB591_223
; %bb.222:
	v_add_nc_u32_e32 v1, -4, v1
	v_mul_hi_i32 v2, 0x66666667, v21
	ds_load_b32 v1, v1
	v_lshrrev_b32_e32 v3, 31, v2
	v_ashrrev_i32_e32 v2, 2, v2
	s_delay_alu instid0(VALU_DEP_1) | instskip(SKIP_2) | instid1(VALU_DEP_1)
	v_add_nc_u32_e32 v2, v2, v3
	s_waitcnt lgkmcnt(0)
	v_mul_hi_i32 v1, 0x66666667, v1
	v_lshrrev_b32_e32 v4, 31, v1
	v_ashrrev_i32_e32 v1, 2, v1
	s_delay_alu instid0(VALU_DEP_1) | instskip(NEXT) | instid1(VALU_DEP_1)
	v_add_nc_u32_e32 v1, v1, v4
	v_cmp_ne_u32_e32 vcc_lo, v1, v2
	s_and_b32 s4, vcc_lo, exec_lo
.LBB591_223:
	s_or_b32 exec_lo, exec_lo, s0
	s_delay_alu instid0(SALU_CYCLE_1)
	s_and_b32 s2, s4, exec_lo
	s_or_b32 s28, s28, exec_lo
.LBB591_224:
	s_or_b32 exec_lo, exec_lo, s3
	v_mov_b32_e32 v2, v28
	s_mov_b32 s0, 1
	s_delay_alu instid0(SALU_CYCLE_1)
	v_mov_b32_e32 v27, s0
	s_and_saveexec_b32 s0, s28
	s_cbranch_execnz .LBB591_112
	s_branch .LBB591_113
.LBB591_225:
	s_and_saveexec_b32 s17, s14
	s_cbranch_execnz .LBB591_293
; %bb.226:
	s_or_b32 exec_lo, exec_lo, s17
	s_and_saveexec_b32 s17, s13
	s_cbranch_execnz .LBB591_294
.LBB591_227:
	s_or_b32 exec_lo, exec_lo, s17
	s_and_saveexec_b32 s17, s12
	s_cbranch_execnz .LBB591_295
.LBB591_228:
	s_or_b32 exec_lo, exec_lo, s17
	s_and_saveexec_b32 s17, s11
	s_cbranch_execnz .LBB591_296
.LBB591_229:
	s_or_b32 exec_lo, exec_lo, s17
	s_and_saveexec_b32 s17, s10
	s_cbranch_execnz .LBB591_297
.LBB591_230:
	s_or_b32 exec_lo, exec_lo, s17
	s_and_saveexec_b32 s17, s9
	s_cbranch_execnz .LBB591_298
.LBB591_231:
	s_or_b32 exec_lo, exec_lo, s17
	s_and_saveexec_b32 s17, s7
	s_cbranch_execnz .LBB591_299
.LBB591_232:
	s_or_b32 exec_lo, exec_lo, s17
	s_and_saveexec_b32 s17, s5
	s_cbranch_execnz .LBB591_300
.LBB591_233:
	s_or_b32 exec_lo, exec_lo, s17
	s_and_saveexec_b32 s17, s8
	s_cbranch_execnz .LBB591_301
.LBB591_234:
	s_or_b32 exec_lo, exec_lo, s17
	s_and_saveexec_b32 s17, s6
	s_cbranch_execnz .LBB591_302
.LBB591_235:
	s_or_b32 exec_lo, exec_lo, s17
	s_and_saveexec_b32 s17, s4
	s_cbranch_execnz .LBB591_303
.LBB591_236:
	s_or_b32 exec_lo, exec_lo, s17
	s_and_saveexec_b32 s17, s3
	s_cbranch_execnz .LBB591_304
.LBB591_237:
	s_or_b32 exec_lo, exec_lo, s17
	s_and_saveexec_b32 s17, s2
	s_cbranch_execnz .LBB591_305
.LBB591_238:
	s_or_b32 exec_lo, exec_lo, s17
	s_and_saveexec_b32 s17, s1
	s_cbranch_execz .LBB591_240
.LBB591_239:
	v_sub_nc_u32_e32 v44, v71, v3
	v_mov_b32_e32 v45, 0
	s_delay_alu instid0(VALU_DEP_1) | instskip(NEXT) | instid1(VALU_DEP_1)
	v_lshlrev_b64 v[44:45], 2, v[44:45]
	v_add_co_u32 v44, vcc_lo, v2, v44
	s_delay_alu instid0(VALU_DEP_2)
	v_add_co_ci_u32_e32 v45, vcc_lo, v4, v45, vcc_lo
	global_store_b32 v[44:45], v10, off
.LBB591_240:
	s_or_b32 exec_lo, exec_lo, s17
	s_delay_alu instid0(SALU_CYCLE_1)
	s_and_b32 s17, s0, exec_lo
	s_and_not1_saveexec_b32 s15, s15
	s_cbranch_execz .LBB591_157
.LBB591_241:
	v_sub_nc_u32_e32 v44, v67, v3
	v_mov_b32_e32 v45, 0
	s_or_b32 s17, s17, exec_lo
	s_delay_alu instid0(VALU_DEP_1) | instskip(SKIP_1) | instid1(VALU_DEP_1)
	v_lshlrev_b64 v[46:47], 2, v[44:45]
	v_sub_nc_u32_e32 v44, v73, v3
	v_lshlrev_b64 v[48:49], 2, v[44:45]
	v_sub_nc_u32_e32 v44, v69, v3
	s_delay_alu instid0(VALU_DEP_4) | instskip(SKIP_1) | instid1(VALU_DEP_3)
	v_add_co_u32 v46, vcc_lo, v2, v46
	v_add_co_ci_u32_e32 v47, vcc_lo, v4, v47, vcc_lo
	v_lshlrev_b64 v[80:81], 2, v[44:45]
	v_sub_nc_u32_e32 v44, v65, v3
	v_add_co_u32 v48, vcc_lo, v2, v48
	v_add_co_ci_u32_e32 v49, vcc_lo, v4, v49, vcc_lo
	global_store_b32 v[46:47], v21, off
	v_lshlrev_b64 v[46:47], 2, v[44:45]
	v_sub_nc_u32_e32 v44, v59, v3
	global_store_b32 v[48:49], v22, off
	v_add_co_u32 v48, vcc_lo, v2, v80
	v_add_co_ci_u32_e32 v49, vcc_lo, v4, v81, vcc_lo
	v_lshlrev_b64 v[80:81], 2, v[44:45]
	v_sub_nc_u32_e32 v44, v55, v3
	v_add_co_u32 v46, vcc_lo, v2, v46
	v_add_co_ci_u32_e32 v47, vcc_lo, v4, v47, vcc_lo
	s_delay_alu instid0(VALU_DEP_3) | instskip(SKIP_3) | instid1(VALU_DEP_3)
	v_lshlrev_b64 v[82:83], 2, v[44:45]
	v_sub_nc_u32_e32 v44, v53, v3
	v_add_co_u32 v80, vcc_lo, v2, v80
	v_add_co_ci_u32_e32 v81, vcc_lo, v4, v81, vcc_lo
	v_lshlrev_b64 v[84:85], 2, v[44:45]
	v_sub_nc_u32_e32 v44, v57, v3
	v_add_co_u32 v82, vcc_lo, v2, v82
	v_add_co_ci_u32_e32 v83, vcc_lo, v4, v83, vcc_lo
	s_clause 0x3
	global_store_b32 v[48:49], v19, off
	global_store_b32 v[46:47], v20, off
	;; [unrolled: 1-line block ×4, first 2 shown]
	v_lshlrev_b64 v[46:47], 2, v[44:45]
	v_sub_nc_u32_e32 v44, v61, v3
	v_add_co_u32 v48, vcc_lo, v2, v84
	v_add_co_ci_u32_e32 v49, vcc_lo, v4, v85, vcc_lo
	s_delay_alu instid0(VALU_DEP_3) | instskip(SKIP_3) | instid1(VALU_DEP_3)
	v_lshlrev_b64 v[80:81], 2, v[44:45]
	v_sub_nc_u32_e32 v44, v5, v3
	v_add_co_u32 v46, vcc_lo, v2, v46
	v_add_co_ci_u32_e32 v47, vcc_lo, v4, v47, vcc_lo
	v_lshlrev_b64 v[82:83], 2, v[44:45]
	v_sub_nc_u32_e32 v44, v7, v3
	v_add_co_u32 v80, vcc_lo, v2, v80
	v_add_co_ci_u32_e32 v81, vcc_lo, v4, v81, vcc_lo
	s_delay_alu instid0(VALU_DEP_3)
	v_lshlrev_b64 v[84:85], 2, v[44:45]
	v_sub_nc_u32_e32 v44, v51, v3
	v_add_co_u32 v82, vcc_lo, v2, v82
	v_add_co_ci_u32_e32 v83, vcc_lo, v4, v83, vcc_lo
	s_clause 0x3
	global_store_b32 v[48:49], v15, off
	global_store_b32 v[46:47], v16, off
	;; [unrolled: 1-line block ×4, first 2 shown]
	v_lshlrev_b64 v[46:47], 2, v[44:45]
	v_sub_nc_u32_e32 v44, v75, v3
	v_add_co_u32 v48, vcc_lo, v2, v84
	v_add_co_ci_u32_e32 v49, vcc_lo, v4, v85, vcc_lo
	s_delay_alu instid0(VALU_DEP_3) | instskip(SKIP_3) | instid1(VALU_DEP_3)
	v_lshlrev_b64 v[80:81], 2, v[44:45]
	v_sub_nc_u32_e32 v44, v71, v3
	v_add_co_u32 v46, vcc_lo, v2, v46
	v_add_co_ci_u32_e32 v47, vcc_lo, v4, v47, vcc_lo
	v_lshlrev_b64 v[44:45], 2, v[44:45]
	v_add_co_u32 v80, vcc_lo, v2, v80
	v_add_co_ci_u32_e32 v81, vcc_lo, v4, v81, vcc_lo
	s_clause 0x2
	global_store_b32 v[48:49], v11, off
	global_store_b32 v[46:47], v12, off
	;; [unrolled: 1-line block ×3, first 2 shown]
	v_add_co_u32 v44, vcc_lo, v2, v44
	v_add_co_ci_u32_e32 v45, vcc_lo, v4, v45, vcc_lo
	global_store_b32 v[44:45], v10, off
	s_or_b32 exec_lo, exec_lo, s15
	s_delay_alu instid0(SALU_CYCLE_1)
	s_and_b32 exec_lo, exec_lo, s17
	s_cbranch_execnz .LBB591_158
	s_branch .LBB591_159
.LBB591_242:
	s_and_saveexec_b32 s17, s14
	s_cbranch_execnz .LBB591_306
; %bb.243:
	s_or_b32 exec_lo, exec_lo, s17
	s_and_saveexec_b32 s14, s13
	s_cbranch_execnz .LBB591_307
.LBB591_244:
	s_or_b32 exec_lo, exec_lo, s14
	s_and_saveexec_b32 s13, s12
	s_cbranch_execnz .LBB591_308
.LBB591_245:
	s_or_b32 exec_lo, exec_lo, s13
	s_and_saveexec_b32 s12, s11
	s_cbranch_execnz .LBB591_309
.LBB591_246:
	s_or_b32 exec_lo, exec_lo, s12
	s_and_saveexec_b32 s11, s10
	s_cbranch_execnz .LBB591_310
.LBB591_247:
	s_or_b32 exec_lo, exec_lo, s11
	s_and_saveexec_b32 s10, s9
	s_cbranch_execnz .LBB591_311
.LBB591_248:
	s_or_b32 exec_lo, exec_lo, s10
	s_and_saveexec_b32 s9, s7
	s_cbranch_execnz .LBB591_312
.LBB591_249:
	s_or_b32 exec_lo, exec_lo, s9
	s_and_saveexec_b32 s7, s5
	s_cbranch_execnz .LBB591_313
.LBB591_250:
	s_or_b32 exec_lo, exec_lo, s7
	s_and_saveexec_b32 s5, s8
	s_cbranch_execnz .LBB591_314
.LBB591_251:
	s_or_b32 exec_lo, exec_lo, s5
	s_and_saveexec_b32 s5, s6
	s_cbranch_execnz .LBB591_315
.LBB591_252:
	s_or_b32 exec_lo, exec_lo, s5
	s_and_saveexec_b32 s5, s4
	s_cbranch_execnz .LBB591_316
.LBB591_253:
	s_or_b32 exec_lo, exec_lo, s5
	s_and_saveexec_b32 s4, s3
	s_cbranch_execnz .LBB591_317
.LBB591_254:
	s_or_b32 exec_lo, exec_lo, s4
	s_and_saveexec_b32 s3, s2
	s_cbranch_execnz .LBB591_318
.LBB591_255:
	s_or_b32 exec_lo, exec_lo, s3
	s_and_saveexec_b32 s2, s1
	s_cbranch_execz .LBB591_257
.LBB591_256:
	v_sub_nc_u32_e32 v9, v71, v3
	s_delay_alu instid0(VALU_DEP_1)
	v_lshlrev_b32_e32 v9, 2, v9
	ds_store_b32 v9, v10
.LBB591_257:
	s_or_b32 exec_lo, exec_lo, s2
	s_delay_alu instid0(SALU_CYCLE_1)
	s_and_b32 s17, s0, exec_lo
                                        ; implicit-def: $vgpr21
                                        ; implicit-def: $vgpr19
                                        ; implicit-def: $vgpr17
                                        ; implicit-def: $vgpr15
                                        ; implicit-def: $vgpr13
                                        ; implicit-def: $vgpr11
                                        ; implicit-def: $vgpr9
	s_and_not1_saveexec_b32 s0, s16
	s_cbranch_execz .LBB591_164
.LBB591_258:
	v_sub_nc_u32_e32 v43, v67, v3
	v_sub_nc_u32_e32 v46, v65, v3
	;; [unrolled: 1-line block ×4, first 2 shown]
	s_or_b32 s17, s17, exec_lo
	v_lshlrev_b32_e32 v43, 2, v43
	v_lshlrev_b32_e32 v46, 2, v46
	;; [unrolled: 1-line block ×4, first 2 shown]
	ds_store_b32 v43, v21
	ds_store_b32 v44, v22
	;; [unrolled: 1-line block ×3, first 2 shown]
	v_sub_nc_u32_e32 v19, v59, v3
	ds_store_b32 v46, v20
	v_sub_nc_u32_e32 v20, v55, v3
	v_sub_nc_u32_e32 v21, v53, v3
	v_sub_nc_u32_e32 v22, v57, v3
	v_lshlrev_b32_e32 v19, 2, v19
	v_sub_nc_u32_e32 v43, v61, v3
	v_lshlrev_b32_e32 v20, 2, v20
	v_lshlrev_b32_e32 v21, 2, v21
	;; [unrolled: 1-line block ×3, first 2 shown]
	ds_store_b32 v19, v17
	v_lshlrev_b32_e32 v17, 2, v43
	ds_store_b32 v20, v18
	ds_store_b32 v21, v15
	;; [unrolled: 1-line block ×3, first 2 shown]
	v_sub_nc_u32_e32 v15, v5, v3
	v_sub_nc_u32_e32 v18, v71, v3
	;; [unrolled: 1-line block ×3, first 2 shown]
	ds_store_b32 v17, v13
	v_sub_nc_u32_e32 v13, v7, v3
	v_lshlrev_b32_e32 v15, 2, v15
	v_sub_nc_u32_e32 v17, v75, v3
	v_lshlrev_b32_e32 v16, 2, v16
	s_delay_alu instid0(VALU_DEP_4)
	v_lshlrev_b32_e32 v13, 2, v13
	ds_store_b32 v15, v14
	v_lshlrev_b32_e32 v14, 2, v18
	v_lshlrev_b32_e32 v17, 2, v17
	ds_store_b32 v13, v11
	ds_store_b32 v16, v12
	;; [unrolled: 1-line block ×4, first 2 shown]
	s_or_b32 exec_lo, exec_lo, s0
	s_delay_alu instid0(SALU_CYCLE_1)
	s_and_b32 exec_lo, exec_lo, s17
	s_cbranch_execnz .LBB591_165
	s_branch .LBB591_166
.LBB591_259:
	s_and_saveexec_b32 s17, s14
	s_cbranch_execnz .LBB591_319
; %bb.260:
	s_or_b32 exec_lo, exec_lo, s17
	s_and_saveexec_b32 s17, s13
	s_cbranch_execnz .LBB591_320
.LBB591_261:
	s_or_b32 exec_lo, exec_lo, s17
	s_and_saveexec_b32 s17, s12
	s_cbranch_execnz .LBB591_321
.LBB591_262:
	s_or_b32 exec_lo, exec_lo, s17
	s_and_saveexec_b32 s17, s11
	s_cbranch_execnz .LBB591_322
.LBB591_263:
	s_or_b32 exec_lo, exec_lo, s17
	s_and_saveexec_b32 s17, s10
	s_cbranch_execnz .LBB591_323
.LBB591_264:
	s_or_b32 exec_lo, exec_lo, s17
	s_and_saveexec_b32 s17, s9
	s_cbranch_execnz .LBB591_324
.LBB591_265:
	s_or_b32 exec_lo, exec_lo, s17
	s_and_saveexec_b32 s17, s8
	s_cbranch_execnz .LBB591_325
.LBB591_266:
	s_or_b32 exec_lo, exec_lo, s17
	s_and_saveexec_b32 s17, s7
	s_cbranch_execnz .LBB591_326
.LBB591_267:
	s_or_b32 exec_lo, exec_lo, s17
	s_and_saveexec_b32 s17, s6
	s_cbranch_execnz .LBB591_327
.LBB591_268:
	s_or_b32 exec_lo, exec_lo, s17
	s_and_saveexec_b32 s17, s5
	s_cbranch_execnz .LBB591_328
.LBB591_269:
	s_or_b32 exec_lo, exec_lo, s17
	s_and_saveexec_b32 s17, s4
	s_cbranch_execnz .LBB591_329
.LBB591_270:
	s_or_b32 exec_lo, exec_lo, s17
	s_and_saveexec_b32 s17, s3
	s_cbranch_execnz .LBB591_330
.LBB591_271:
	s_or_b32 exec_lo, exec_lo, s17
	s_and_saveexec_b32 s17, s2
	s_cbranch_execnz .LBB591_331
.LBB591_272:
	s_or_b32 exec_lo, exec_lo, s17
	s_and_saveexec_b32 s17, s1
	s_cbranch_execz .LBB591_274
.LBB591_273:
	v_sub_nc_u32_e32 v14, v71, v4
	v_mov_b32_e32 v15, 0
	s_delay_alu instid0(VALU_DEP_1) | instskip(NEXT) | instid1(VALU_DEP_1)
	v_lshlrev_b64 v[14:15], 2, v[14:15]
	v_add_co_u32 v14, vcc_lo, v11, v14
	s_delay_alu instid0(VALU_DEP_2)
	v_add_co_ci_u32_e32 v15, vcc_lo, v12, v15, vcc_lo
	global_store_b32 v[14:15], v72, off
.LBB591_274:
	s_or_b32 exec_lo, exec_lo, s17
	s_delay_alu instid0(SALU_CYCLE_1)
	s_and_b32 s17, s0, exec_lo
	s_and_not1_saveexec_b32 s15, s15
	s_cbranch_execz .LBB591_177
.LBB591_275:
	v_sub_nc_u32_e32 v14, v67, v4
	v_mov_b32_e32 v15, 0
	s_or_b32 s17, s17, exec_lo
	s_delay_alu instid0(VALU_DEP_1) | instskip(SKIP_1) | instid1(VALU_DEP_1)
	v_lshlrev_b64 v[16:17], 2, v[14:15]
	v_sub_nc_u32_e32 v14, v73, v4
	v_lshlrev_b64 v[18:19], 2, v[14:15]
	v_sub_nc_u32_e32 v14, v69, v4
	s_delay_alu instid0(VALU_DEP_4) | instskip(SKIP_1) | instid1(VALU_DEP_3)
	v_add_co_u32 v16, vcc_lo, v11, v16
	v_add_co_ci_u32_e32 v17, vcc_lo, v12, v17, vcc_lo
	v_lshlrev_b64 v[20:21], 2, v[14:15]
	v_sub_nc_u32_e32 v14, v65, v4
	v_add_co_u32 v18, vcc_lo, v11, v18
	v_add_co_ci_u32_e32 v19, vcc_lo, v12, v19, vcc_lo
	global_store_b32 v[16:17], v68, off
	v_lshlrev_b64 v[16:17], 2, v[14:15]
	v_sub_nc_u32_e32 v14, v59, v4
	global_store_b32 v[18:19], v74, off
	v_add_co_u32 v18, vcc_lo, v11, v20
	v_add_co_ci_u32_e32 v19, vcc_lo, v12, v21, vcc_lo
	v_lshlrev_b64 v[20:21], 2, v[14:15]
	v_sub_nc_u32_e32 v14, v55, v4
	v_add_co_u32 v16, vcc_lo, v11, v16
	v_add_co_ci_u32_e32 v17, vcc_lo, v12, v17, vcc_lo
	s_delay_alu instid0(VALU_DEP_3) | instskip(SKIP_3) | instid1(VALU_DEP_3)
	v_lshlrev_b64 v[22:23], 2, v[14:15]
	v_sub_nc_u32_e32 v14, v53, v4
	v_add_co_u32 v20, vcc_lo, v11, v20
	v_add_co_ci_u32_e32 v21, vcc_lo, v12, v21, vcc_lo
	v_lshlrev_b64 v[24:25], 2, v[14:15]
	v_sub_nc_u32_e32 v14, v57, v4
	v_add_co_u32 v22, vcc_lo, v11, v22
	v_add_co_ci_u32_e32 v23, vcc_lo, v12, v23, vcc_lo
	s_clause 0x3
	global_store_b32 v[18:19], v70, off
	global_store_b32 v[16:17], v66, off
	;; [unrolled: 1-line block ×4, first 2 shown]
	v_lshlrev_b64 v[16:17], 2, v[14:15]
	v_sub_nc_u32_e32 v14, v61, v4
	v_add_co_u32 v18, vcc_lo, v11, v24
	v_add_co_ci_u32_e32 v19, vcc_lo, v12, v25, vcc_lo
	s_delay_alu instid0(VALU_DEP_3) | instskip(SKIP_3) | instid1(VALU_DEP_3)
	v_lshlrev_b64 v[20:21], 2, v[14:15]
	v_sub_nc_u32_e32 v14, v5, v4
	v_add_co_u32 v16, vcc_lo, v11, v16
	v_add_co_ci_u32_e32 v17, vcc_lo, v12, v17, vcc_lo
	v_lshlrev_b64 v[22:23], 2, v[14:15]
	v_sub_nc_u32_e32 v14, v7, v4
	v_add_co_u32 v20, vcc_lo, v11, v20
	v_add_co_ci_u32_e32 v21, vcc_lo, v12, v21, vcc_lo
	s_delay_alu instid0(VALU_DEP_3)
	v_lshlrev_b64 v[24:25], 2, v[14:15]
	v_sub_nc_u32_e32 v14, v51, v4
	v_add_co_u32 v22, vcc_lo, v11, v22
	v_add_co_ci_u32_e32 v23, vcc_lo, v12, v23, vcc_lo
	s_clause 0x3
	global_store_b32 v[18:19], v54, off
	global_store_b32 v[16:17], v58, off
	;; [unrolled: 1-line block ×4, first 2 shown]
	v_lshlrev_b64 v[16:17], 2, v[14:15]
	v_sub_nc_u32_e32 v14, v75, v4
	v_add_co_u32 v18, vcc_lo, v11, v24
	v_add_co_ci_u32_e32 v19, vcc_lo, v12, v25, vcc_lo
	s_delay_alu instid0(VALU_DEP_3) | instskip(SKIP_3) | instid1(VALU_DEP_3)
	v_lshlrev_b64 v[20:21], 2, v[14:15]
	v_sub_nc_u32_e32 v14, v71, v4
	v_add_co_u32 v16, vcc_lo, v11, v16
	v_add_co_ci_u32_e32 v17, vcc_lo, v12, v17, vcc_lo
	v_lshlrev_b64 v[14:15], 2, v[14:15]
	v_add_co_u32 v20, vcc_lo, v11, v20
	v_add_co_ci_u32_e32 v21, vcc_lo, v12, v21, vcc_lo
	s_clause 0x2
	global_store_b32 v[18:19], v8, off
	global_store_b32 v[16:17], v52, off
	;; [unrolled: 1-line block ×3, first 2 shown]
	v_add_co_u32 v14, vcc_lo, v11, v14
	v_add_co_ci_u32_e32 v15, vcc_lo, v12, v15, vcc_lo
	global_store_b32 v[14:15], v72, off
	s_or_b32 exec_lo, exec_lo, s15
	s_delay_alu instid0(SALU_CYCLE_1)
	s_and_b32 exec_lo, exec_lo, s17
	s_cbranch_execnz .LBB591_178
	s_branch .LBB591_179
.LBB591_276:
	s_and_saveexec_b32 s17, s14
	s_cbranch_execnz .LBB591_332
; %bb.277:
	s_or_b32 exec_lo, exec_lo, s17
	s_and_saveexec_b32 s14, s13
	s_cbranch_execnz .LBB591_333
.LBB591_278:
	s_or_b32 exec_lo, exec_lo, s14
	s_and_saveexec_b32 s13, s12
	s_cbranch_execnz .LBB591_334
.LBB591_279:
	s_or_b32 exec_lo, exec_lo, s13
	s_and_saveexec_b32 s12, s11
	s_cbranch_execnz .LBB591_335
.LBB591_280:
	s_or_b32 exec_lo, exec_lo, s12
	s_and_saveexec_b32 s11, s10
	s_cbranch_execnz .LBB591_336
.LBB591_281:
	s_or_b32 exec_lo, exec_lo, s11
	s_and_saveexec_b32 s10, s9
	s_cbranch_execnz .LBB591_337
.LBB591_282:
	s_or_b32 exec_lo, exec_lo, s10
	s_and_saveexec_b32 s9, s8
	s_cbranch_execnz .LBB591_338
.LBB591_283:
	s_or_b32 exec_lo, exec_lo, s9
	s_and_saveexec_b32 s8, s7
	s_cbranch_execnz .LBB591_339
.LBB591_284:
	s_or_b32 exec_lo, exec_lo, s8
	s_and_saveexec_b32 s7, s6
	s_cbranch_execnz .LBB591_340
.LBB591_285:
	s_or_b32 exec_lo, exec_lo, s7
	s_and_saveexec_b32 s6, s5
	s_cbranch_execnz .LBB591_341
.LBB591_286:
	s_or_b32 exec_lo, exec_lo, s6
	s_and_saveexec_b32 s5, s4
	s_cbranch_execnz .LBB591_342
.LBB591_287:
	s_or_b32 exec_lo, exec_lo, s5
	s_and_saveexec_b32 s4, s3
	s_cbranch_execnz .LBB591_343
.LBB591_288:
	s_or_b32 exec_lo, exec_lo, s4
	s_and_saveexec_b32 s3, s2
	s_cbranch_execnz .LBB591_344
.LBB591_289:
	s_or_b32 exec_lo, exec_lo, s3
	s_and_saveexec_b32 s2, s1
	s_cbranch_execz .LBB591_291
.LBB591_290:
	v_sub_nc_u32_e32 v5, v71, v4
	s_delay_alu instid0(VALU_DEP_1)
	v_lshlrev_b32_e32 v5, 2, v5
	ds_store_b32 v5, v72
.LBB591_291:
	s_or_b32 exec_lo, exec_lo, s2
	s_delay_alu instid0(SALU_CYCLE_1)
	s_and_b32 s17, s0, exec_lo
                                        ; implicit-def: $vgpr67_vgpr68
                                        ; implicit-def: $vgpr73_vgpr74
                                        ; implicit-def: $vgpr69_vgpr70
                                        ; implicit-def: $vgpr65_vgpr66
                                        ; implicit-def: $vgpr59_vgpr60
                                        ; implicit-def: $vgpr55_vgpr56
                                        ; implicit-def: $vgpr53_vgpr54
                                        ; implicit-def: $vgpr57_vgpr58
                                        ; implicit-def: $vgpr61_vgpr62
                                        ; implicit-def: $vgpr5_vgpr6
                                        ; implicit-def: $vgpr7_vgpr8
                                        ; implicit-def: $vgpr51_vgpr52
                                        ; implicit-def: $vgpr75_vgpr76
                                        ; implicit-def: $vgpr71_vgpr72
	s_and_not1_saveexec_b32 s0, s16
	s_cbranch_execz .LBB591_183
.LBB591_292:
	v_sub_nc_u32_e32 v13, v67, v4
	v_sub_nc_u32_e32 v14, v73, v4
	;; [unrolled: 1-line block ×5, first 2 shown]
	v_lshlrev_b32_e32 v13, 2, v13
	v_lshlrev_b32_e32 v14, 2, v14
	;; [unrolled: 1-line block ×4, first 2 shown]
	v_sub_nc_u32_e32 v5, v5, v4
	ds_store_b32 v13, v68
	ds_store_b32 v14, v74
	ds_store_b32 v15, v70
	v_sub_nc_u32_e32 v13, v59, v4
	v_sub_nc_u32_e32 v14, v55, v4
	;; [unrolled: 1-line block ×3, first 2 shown]
	ds_store_b32 v16, v66
	v_sub_nc_u32_e32 v16, v57, v4
	v_lshlrev_b32_e32 v13, 2, v13
	v_lshlrev_b32_e32 v14, 2, v14
	;; [unrolled: 1-line block ×3, first 2 shown]
	v_sub_nc_u32_e32 v7, v7, v4
	v_lshlrev_b32_e32 v16, 2, v16
	ds_store_b32 v13, v60
	v_lshlrev_b32_e32 v13, 2, v17
	ds_store_b32 v14, v56
	ds_store_b32 v15, v54
	;; [unrolled: 1-line block ×3, first 2 shown]
	v_lshlrev_b32_e32 v5, 2, v5
	v_sub_nc_u32_e32 v15, v71, v4
	v_sub_nc_u32_e32 v14, v75, v4
	ds_store_b32 v13, v62
	v_sub_nc_u32_e32 v13, v51, v4
	v_lshlrev_b32_e32 v7, 2, v7
	ds_store_b32 v5, v6
	v_lshlrev_b32_e32 v5, 2, v15
	v_lshlrev_b32_e32 v14, 2, v14
	;; [unrolled: 1-line block ×3, first 2 shown]
	s_or_b32 s17, s17, exec_lo
	ds_store_b32 v7, v8
	ds_store_b32 v13, v52
	;; [unrolled: 1-line block ×4, first 2 shown]
	s_or_b32 exec_lo, exec_lo, s0
	s_delay_alu instid0(SALU_CYCLE_1)
	s_and_b32 exec_lo, exec_lo, s17
	s_cbranch_execnz .LBB591_184
	s_branch .LBB591_185
.LBB591_293:
	v_sub_nc_u32_e32 v44, v67, v3
	v_mov_b32_e32 v45, 0
	s_delay_alu instid0(VALU_DEP_1) | instskip(NEXT) | instid1(VALU_DEP_1)
	v_lshlrev_b64 v[44:45], 2, v[44:45]
	v_add_co_u32 v44, vcc_lo, v2, v44
	s_delay_alu instid0(VALU_DEP_2)
	v_add_co_ci_u32_e32 v45, vcc_lo, v4, v45, vcc_lo
	global_store_b32 v[44:45], v21, off
	s_or_b32 exec_lo, exec_lo, s17
	s_and_saveexec_b32 s17, s13
	s_cbranch_execz .LBB591_227
.LBB591_294:
	v_sub_nc_u32_e32 v44, v73, v3
	v_mov_b32_e32 v45, 0
	s_delay_alu instid0(VALU_DEP_1) | instskip(NEXT) | instid1(VALU_DEP_1)
	v_lshlrev_b64 v[44:45], 2, v[44:45]
	v_add_co_u32 v44, vcc_lo, v2, v44
	s_delay_alu instid0(VALU_DEP_2)
	v_add_co_ci_u32_e32 v45, vcc_lo, v4, v45, vcc_lo
	global_store_b32 v[44:45], v22, off
	s_or_b32 exec_lo, exec_lo, s17
	s_and_saveexec_b32 s17, s12
	s_cbranch_execz .LBB591_228
.LBB591_295:
	v_sub_nc_u32_e32 v44, v69, v3
	v_mov_b32_e32 v45, 0
	s_delay_alu instid0(VALU_DEP_1) | instskip(NEXT) | instid1(VALU_DEP_1)
	v_lshlrev_b64 v[44:45], 2, v[44:45]
	v_add_co_u32 v44, vcc_lo, v2, v44
	s_delay_alu instid0(VALU_DEP_2)
	v_add_co_ci_u32_e32 v45, vcc_lo, v4, v45, vcc_lo
	global_store_b32 v[44:45], v19, off
	s_or_b32 exec_lo, exec_lo, s17
	s_and_saveexec_b32 s17, s11
	s_cbranch_execz .LBB591_229
.LBB591_296:
	v_sub_nc_u32_e32 v44, v65, v3
	v_mov_b32_e32 v45, 0
	s_delay_alu instid0(VALU_DEP_1) | instskip(NEXT) | instid1(VALU_DEP_1)
	v_lshlrev_b64 v[44:45], 2, v[44:45]
	v_add_co_u32 v44, vcc_lo, v2, v44
	s_delay_alu instid0(VALU_DEP_2)
	v_add_co_ci_u32_e32 v45, vcc_lo, v4, v45, vcc_lo
	global_store_b32 v[44:45], v20, off
	s_or_b32 exec_lo, exec_lo, s17
	s_and_saveexec_b32 s17, s10
	s_cbranch_execz .LBB591_230
.LBB591_297:
	v_sub_nc_u32_e32 v44, v59, v3
	v_mov_b32_e32 v45, 0
	s_delay_alu instid0(VALU_DEP_1) | instskip(NEXT) | instid1(VALU_DEP_1)
	v_lshlrev_b64 v[44:45], 2, v[44:45]
	v_add_co_u32 v44, vcc_lo, v2, v44
	s_delay_alu instid0(VALU_DEP_2)
	v_add_co_ci_u32_e32 v45, vcc_lo, v4, v45, vcc_lo
	global_store_b32 v[44:45], v17, off
	s_or_b32 exec_lo, exec_lo, s17
	s_and_saveexec_b32 s17, s9
	s_cbranch_execz .LBB591_231
.LBB591_298:
	v_sub_nc_u32_e32 v44, v55, v3
	v_mov_b32_e32 v45, 0
	s_delay_alu instid0(VALU_DEP_1) | instskip(NEXT) | instid1(VALU_DEP_1)
	v_lshlrev_b64 v[44:45], 2, v[44:45]
	v_add_co_u32 v44, vcc_lo, v2, v44
	s_delay_alu instid0(VALU_DEP_2)
	v_add_co_ci_u32_e32 v45, vcc_lo, v4, v45, vcc_lo
	global_store_b32 v[44:45], v18, off
	s_or_b32 exec_lo, exec_lo, s17
	s_and_saveexec_b32 s17, s7
	s_cbranch_execz .LBB591_232
.LBB591_299:
	v_sub_nc_u32_e32 v44, v53, v3
	v_mov_b32_e32 v45, 0
	s_delay_alu instid0(VALU_DEP_1) | instskip(NEXT) | instid1(VALU_DEP_1)
	v_lshlrev_b64 v[44:45], 2, v[44:45]
	v_add_co_u32 v44, vcc_lo, v2, v44
	s_delay_alu instid0(VALU_DEP_2)
	v_add_co_ci_u32_e32 v45, vcc_lo, v4, v45, vcc_lo
	global_store_b32 v[44:45], v15, off
	s_or_b32 exec_lo, exec_lo, s17
	s_and_saveexec_b32 s17, s5
	s_cbranch_execz .LBB591_233
.LBB591_300:
	v_sub_nc_u32_e32 v44, v57, v3
	v_mov_b32_e32 v45, 0
	s_delay_alu instid0(VALU_DEP_1) | instskip(NEXT) | instid1(VALU_DEP_1)
	v_lshlrev_b64 v[44:45], 2, v[44:45]
	v_add_co_u32 v44, vcc_lo, v2, v44
	s_delay_alu instid0(VALU_DEP_2)
	v_add_co_ci_u32_e32 v45, vcc_lo, v4, v45, vcc_lo
	global_store_b32 v[44:45], v16, off
	s_or_b32 exec_lo, exec_lo, s17
	s_and_saveexec_b32 s17, s8
	s_cbranch_execz .LBB591_234
.LBB591_301:
	v_sub_nc_u32_e32 v44, v61, v3
	v_mov_b32_e32 v45, 0
	s_delay_alu instid0(VALU_DEP_1) | instskip(NEXT) | instid1(VALU_DEP_1)
	v_lshlrev_b64 v[44:45], 2, v[44:45]
	v_add_co_u32 v44, vcc_lo, v2, v44
	s_delay_alu instid0(VALU_DEP_2)
	v_add_co_ci_u32_e32 v45, vcc_lo, v4, v45, vcc_lo
	global_store_b32 v[44:45], v13, off
	s_or_b32 exec_lo, exec_lo, s17
	s_and_saveexec_b32 s17, s6
	s_cbranch_execz .LBB591_235
.LBB591_302:
	v_sub_nc_u32_e32 v44, v5, v3
	v_mov_b32_e32 v45, 0
	s_delay_alu instid0(VALU_DEP_1) | instskip(NEXT) | instid1(VALU_DEP_1)
	v_lshlrev_b64 v[44:45], 2, v[44:45]
	v_add_co_u32 v44, vcc_lo, v2, v44
	s_delay_alu instid0(VALU_DEP_2)
	v_add_co_ci_u32_e32 v45, vcc_lo, v4, v45, vcc_lo
	global_store_b32 v[44:45], v14, off
	s_or_b32 exec_lo, exec_lo, s17
	s_and_saveexec_b32 s17, s4
	s_cbranch_execz .LBB591_236
.LBB591_303:
	v_sub_nc_u32_e32 v44, v7, v3
	v_mov_b32_e32 v45, 0
	s_delay_alu instid0(VALU_DEP_1) | instskip(NEXT) | instid1(VALU_DEP_1)
	v_lshlrev_b64 v[44:45], 2, v[44:45]
	v_add_co_u32 v44, vcc_lo, v2, v44
	s_delay_alu instid0(VALU_DEP_2)
	v_add_co_ci_u32_e32 v45, vcc_lo, v4, v45, vcc_lo
	global_store_b32 v[44:45], v11, off
	s_or_b32 exec_lo, exec_lo, s17
	s_and_saveexec_b32 s17, s3
	s_cbranch_execz .LBB591_237
.LBB591_304:
	v_sub_nc_u32_e32 v44, v51, v3
	v_mov_b32_e32 v45, 0
	s_delay_alu instid0(VALU_DEP_1) | instskip(NEXT) | instid1(VALU_DEP_1)
	v_lshlrev_b64 v[44:45], 2, v[44:45]
	v_add_co_u32 v44, vcc_lo, v2, v44
	s_delay_alu instid0(VALU_DEP_2)
	v_add_co_ci_u32_e32 v45, vcc_lo, v4, v45, vcc_lo
	global_store_b32 v[44:45], v12, off
	s_or_b32 exec_lo, exec_lo, s17
	s_and_saveexec_b32 s17, s2
	s_cbranch_execz .LBB591_238
.LBB591_305:
	v_sub_nc_u32_e32 v44, v75, v3
	v_mov_b32_e32 v45, 0
	s_delay_alu instid0(VALU_DEP_1) | instskip(NEXT) | instid1(VALU_DEP_1)
	v_lshlrev_b64 v[44:45], 2, v[44:45]
	v_add_co_u32 v44, vcc_lo, v2, v44
	s_delay_alu instid0(VALU_DEP_2)
	v_add_co_ci_u32_e32 v45, vcc_lo, v4, v45, vcc_lo
	global_store_b32 v[44:45], v9, off
	s_or_b32 exec_lo, exec_lo, s17
	s_and_saveexec_b32 s17, s1
	s_cbranch_execnz .LBB591_239
	s_branch .LBB591_240
.LBB591_306:
	v_sub_nc_u32_e32 v43, v67, v3
	s_delay_alu instid0(VALU_DEP_1)
	v_lshlrev_b32_e32 v43, 2, v43
	ds_store_b32 v43, v21
	s_or_b32 exec_lo, exec_lo, s17
	s_and_saveexec_b32 s14, s13
	s_cbranch_execz .LBB591_244
.LBB591_307:
	v_sub_nc_u32_e32 v21, v73, v3
	s_delay_alu instid0(VALU_DEP_1)
	v_lshlrev_b32_e32 v21, 2, v21
	ds_store_b32 v21, v22
	s_or_b32 exec_lo, exec_lo, s14
	s_and_saveexec_b32 s13, s12
	s_cbranch_execz .LBB591_245
.LBB591_308:
	v_sub_nc_u32_e32 v21, v69, v3
	s_delay_alu instid0(VALU_DEP_1)
	v_lshlrev_b32_e32 v21, 2, v21
	ds_store_b32 v21, v19
	s_or_b32 exec_lo, exec_lo, s13
	s_and_saveexec_b32 s12, s11
	s_cbranch_execz .LBB591_246
.LBB591_309:
	v_sub_nc_u32_e32 v19, v65, v3
	s_delay_alu instid0(VALU_DEP_1)
	v_lshlrev_b32_e32 v19, 2, v19
	ds_store_b32 v19, v20
	s_or_b32 exec_lo, exec_lo, s12
	s_and_saveexec_b32 s11, s10
	s_cbranch_execz .LBB591_247
.LBB591_310:
	v_sub_nc_u32_e32 v19, v59, v3
	s_delay_alu instid0(VALU_DEP_1)
	v_lshlrev_b32_e32 v19, 2, v19
	ds_store_b32 v19, v17
	s_or_b32 exec_lo, exec_lo, s11
	s_and_saveexec_b32 s10, s9
	s_cbranch_execz .LBB591_248
.LBB591_311:
	v_sub_nc_u32_e32 v17, v55, v3
	s_delay_alu instid0(VALU_DEP_1)
	v_lshlrev_b32_e32 v17, 2, v17
	ds_store_b32 v17, v18
	s_or_b32 exec_lo, exec_lo, s10
	s_and_saveexec_b32 s9, s7
	s_cbranch_execz .LBB591_249
.LBB591_312:
	v_sub_nc_u32_e32 v17, v53, v3
	s_delay_alu instid0(VALU_DEP_1)
	v_lshlrev_b32_e32 v17, 2, v17
	ds_store_b32 v17, v15
	s_or_b32 exec_lo, exec_lo, s9
	s_and_saveexec_b32 s7, s5
	s_cbranch_execz .LBB591_250
.LBB591_313:
	v_sub_nc_u32_e32 v15, v57, v3
	s_delay_alu instid0(VALU_DEP_1)
	v_lshlrev_b32_e32 v15, 2, v15
	ds_store_b32 v15, v16
	s_or_b32 exec_lo, exec_lo, s7
	s_and_saveexec_b32 s5, s8
	s_cbranch_execz .LBB591_251
.LBB591_314:
	v_sub_nc_u32_e32 v15, v61, v3
	s_delay_alu instid0(VALU_DEP_1)
	v_lshlrev_b32_e32 v15, 2, v15
	ds_store_b32 v15, v13
	s_or_b32 exec_lo, exec_lo, s5
	s_and_saveexec_b32 s5, s6
	s_cbranch_execz .LBB591_252
.LBB591_315:
	v_sub_nc_u32_e32 v13, v5, v3
	s_delay_alu instid0(VALU_DEP_1)
	v_lshlrev_b32_e32 v13, 2, v13
	ds_store_b32 v13, v14
	s_or_b32 exec_lo, exec_lo, s5
	s_and_saveexec_b32 s5, s4
	s_cbranch_execz .LBB591_253
.LBB591_316:
	v_sub_nc_u32_e32 v13, v7, v3
	s_delay_alu instid0(VALU_DEP_1)
	v_lshlrev_b32_e32 v13, 2, v13
	ds_store_b32 v13, v11
	s_or_b32 exec_lo, exec_lo, s5
	s_and_saveexec_b32 s4, s3
	s_cbranch_execz .LBB591_254
.LBB591_317:
	v_sub_nc_u32_e32 v11, v51, v3
	s_delay_alu instid0(VALU_DEP_1)
	v_lshlrev_b32_e32 v11, 2, v11
	ds_store_b32 v11, v12
	s_or_b32 exec_lo, exec_lo, s4
	s_and_saveexec_b32 s3, s2
	s_cbranch_execz .LBB591_255
.LBB591_318:
	v_sub_nc_u32_e32 v11, v75, v3
	s_delay_alu instid0(VALU_DEP_1)
	v_lshlrev_b32_e32 v11, 2, v11
	ds_store_b32 v11, v9
	s_or_b32 exec_lo, exec_lo, s3
	s_and_saveexec_b32 s2, s1
	s_cbranch_execnz .LBB591_256
	s_branch .LBB591_257
.LBB591_319:
	v_sub_nc_u32_e32 v14, v67, v4
	v_mov_b32_e32 v15, 0
	s_delay_alu instid0(VALU_DEP_1) | instskip(NEXT) | instid1(VALU_DEP_1)
	v_lshlrev_b64 v[14:15], 2, v[14:15]
	v_add_co_u32 v14, vcc_lo, v11, v14
	s_delay_alu instid0(VALU_DEP_2)
	v_add_co_ci_u32_e32 v15, vcc_lo, v12, v15, vcc_lo
	global_store_b32 v[14:15], v68, off
	s_or_b32 exec_lo, exec_lo, s17
	s_and_saveexec_b32 s17, s13
	s_cbranch_execz .LBB591_261
.LBB591_320:
	v_sub_nc_u32_e32 v14, v73, v4
	v_mov_b32_e32 v15, 0
	s_delay_alu instid0(VALU_DEP_1) | instskip(NEXT) | instid1(VALU_DEP_1)
	v_lshlrev_b64 v[14:15], 2, v[14:15]
	v_add_co_u32 v14, vcc_lo, v11, v14
	s_delay_alu instid0(VALU_DEP_2)
	v_add_co_ci_u32_e32 v15, vcc_lo, v12, v15, vcc_lo
	global_store_b32 v[14:15], v74, off
	s_or_b32 exec_lo, exec_lo, s17
	s_and_saveexec_b32 s17, s12
	s_cbranch_execz .LBB591_262
.LBB591_321:
	v_sub_nc_u32_e32 v14, v69, v4
	v_mov_b32_e32 v15, 0
	s_delay_alu instid0(VALU_DEP_1) | instskip(NEXT) | instid1(VALU_DEP_1)
	v_lshlrev_b64 v[14:15], 2, v[14:15]
	v_add_co_u32 v14, vcc_lo, v11, v14
	s_delay_alu instid0(VALU_DEP_2)
	v_add_co_ci_u32_e32 v15, vcc_lo, v12, v15, vcc_lo
	global_store_b32 v[14:15], v70, off
	s_or_b32 exec_lo, exec_lo, s17
	s_and_saveexec_b32 s17, s11
	s_cbranch_execz .LBB591_263
.LBB591_322:
	v_sub_nc_u32_e32 v14, v65, v4
	v_mov_b32_e32 v15, 0
	s_delay_alu instid0(VALU_DEP_1) | instskip(NEXT) | instid1(VALU_DEP_1)
	v_lshlrev_b64 v[14:15], 2, v[14:15]
	v_add_co_u32 v14, vcc_lo, v11, v14
	s_delay_alu instid0(VALU_DEP_2)
	v_add_co_ci_u32_e32 v15, vcc_lo, v12, v15, vcc_lo
	global_store_b32 v[14:15], v66, off
	s_or_b32 exec_lo, exec_lo, s17
	s_and_saveexec_b32 s17, s10
	s_cbranch_execz .LBB591_264
.LBB591_323:
	v_sub_nc_u32_e32 v14, v59, v4
	v_mov_b32_e32 v15, 0
	s_delay_alu instid0(VALU_DEP_1) | instskip(NEXT) | instid1(VALU_DEP_1)
	v_lshlrev_b64 v[14:15], 2, v[14:15]
	v_add_co_u32 v14, vcc_lo, v11, v14
	s_delay_alu instid0(VALU_DEP_2)
	v_add_co_ci_u32_e32 v15, vcc_lo, v12, v15, vcc_lo
	global_store_b32 v[14:15], v60, off
	s_or_b32 exec_lo, exec_lo, s17
	s_and_saveexec_b32 s17, s9
	s_cbranch_execz .LBB591_265
.LBB591_324:
	v_sub_nc_u32_e32 v14, v55, v4
	v_mov_b32_e32 v15, 0
	s_delay_alu instid0(VALU_DEP_1) | instskip(NEXT) | instid1(VALU_DEP_1)
	v_lshlrev_b64 v[14:15], 2, v[14:15]
	v_add_co_u32 v14, vcc_lo, v11, v14
	s_delay_alu instid0(VALU_DEP_2)
	v_add_co_ci_u32_e32 v15, vcc_lo, v12, v15, vcc_lo
	global_store_b32 v[14:15], v56, off
	s_or_b32 exec_lo, exec_lo, s17
	s_and_saveexec_b32 s17, s8
	s_cbranch_execz .LBB591_266
.LBB591_325:
	v_sub_nc_u32_e32 v14, v53, v4
	v_mov_b32_e32 v15, 0
	s_delay_alu instid0(VALU_DEP_1) | instskip(NEXT) | instid1(VALU_DEP_1)
	v_lshlrev_b64 v[14:15], 2, v[14:15]
	v_add_co_u32 v14, vcc_lo, v11, v14
	s_delay_alu instid0(VALU_DEP_2)
	v_add_co_ci_u32_e32 v15, vcc_lo, v12, v15, vcc_lo
	global_store_b32 v[14:15], v54, off
	s_or_b32 exec_lo, exec_lo, s17
	s_and_saveexec_b32 s17, s7
	s_cbranch_execz .LBB591_267
.LBB591_326:
	v_sub_nc_u32_e32 v14, v57, v4
	v_mov_b32_e32 v15, 0
	s_delay_alu instid0(VALU_DEP_1) | instskip(NEXT) | instid1(VALU_DEP_1)
	v_lshlrev_b64 v[14:15], 2, v[14:15]
	v_add_co_u32 v14, vcc_lo, v11, v14
	s_delay_alu instid0(VALU_DEP_2)
	v_add_co_ci_u32_e32 v15, vcc_lo, v12, v15, vcc_lo
	global_store_b32 v[14:15], v58, off
	s_or_b32 exec_lo, exec_lo, s17
	s_and_saveexec_b32 s17, s6
	s_cbranch_execz .LBB591_268
.LBB591_327:
	v_sub_nc_u32_e32 v14, v61, v4
	v_mov_b32_e32 v15, 0
	s_delay_alu instid0(VALU_DEP_1) | instskip(NEXT) | instid1(VALU_DEP_1)
	v_lshlrev_b64 v[14:15], 2, v[14:15]
	v_add_co_u32 v14, vcc_lo, v11, v14
	s_delay_alu instid0(VALU_DEP_2)
	v_add_co_ci_u32_e32 v15, vcc_lo, v12, v15, vcc_lo
	global_store_b32 v[14:15], v62, off
	s_or_b32 exec_lo, exec_lo, s17
	s_and_saveexec_b32 s17, s5
	s_cbranch_execz .LBB591_269
.LBB591_328:
	v_sub_nc_u32_e32 v14, v5, v4
	v_mov_b32_e32 v15, 0
	s_delay_alu instid0(VALU_DEP_1) | instskip(NEXT) | instid1(VALU_DEP_1)
	v_lshlrev_b64 v[14:15], 2, v[14:15]
	v_add_co_u32 v14, vcc_lo, v11, v14
	s_delay_alu instid0(VALU_DEP_2)
	v_add_co_ci_u32_e32 v15, vcc_lo, v12, v15, vcc_lo
	global_store_b32 v[14:15], v6, off
	s_or_b32 exec_lo, exec_lo, s17
	s_and_saveexec_b32 s17, s4
	s_cbranch_execz .LBB591_270
.LBB591_329:
	v_sub_nc_u32_e32 v14, v7, v4
	v_mov_b32_e32 v15, 0
	s_delay_alu instid0(VALU_DEP_1) | instskip(NEXT) | instid1(VALU_DEP_1)
	v_lshlrev_b64 v[14:15], 2, v[14:15]
	v_add_co_u32 v14, vcc_lo, v11, v14
	s_delay_alu instid0(VALU_DEP_2)
	v_add_co_ci_u32_e32 v15, vcc_lo, v12, v15, vcc_lo
	global_store_b32 v[14:15], v8, off
	s_or_b32 exec_lo, exec_lo, s17
	s_and_saveexec_b32 s17, s3
	s_cbranch_execz .LBB591_271
.LBB591_330:
	v_sub_nc_u32_e32 v14, v51, v4
	v_mov_b32_e32 v15, 0
	s_delay_alu instid0(VALU_DEP_1) | instskip(NEXT) | instid1(VALU_DEP_1)
	v_lshlrev_b64 v[14:15], 2, v[14:15]
	v_add_co_u32 v14, vcc_lo, v11, v14
	s_delay_alu instid0(VALU_DEP_2)
	v_add_co_ci_u32_e32 v15, vcc_lo, v12, v15, vcc_lo
	global_store_b32 v[14:15], v52, off
	s_or_b32 exec_lo, exec_lo, s17
	s_and_saveexec_b32 s17, s2
	s_cbranch_execz .LBB591_272
.LBB591_331:
	v_sub_nc_u32_e32 v14, v75, v4
	v_mov_b32_e32 v15, 0
	s_delay_alu instid0(VALU_DEP_1) | instskip(NEXT) | instid1(VALU_DEP_1)
	v_lshlrev_b64 v[14:15], 2, v[14:15]
	v_add_co_u32 v14, vcc_lo, v11, v14
	s_delay_alu instid0(VALU_DEP_2)
	v_add_co_ci_u32_e32 v15, vcc_lo, v12, v15, vcc_lo
	global_store_b32 v[14:15], v76, off
	s_or_b32 exec_lo, exec_lo, s17
	s_and_saveexec_b32 s17, s1
	s_cbranch_execnz .LBB591_273
	s_branch .LBB591_274
.LBB591_332:
	v_sub_nc_u32_e32 v13, v67, v4
	s_delay_alu instid0(VALU_DEP_1)
	v_lshlrev_b32_e32 v13, 2, v13
	ds_store_b32 v13, v68
	s_or_b32 exec_lo, exec_lo, s17
	s_and_saveexec_b32 s14, s13
	s_cbranch_execz .LBB591_278
.LBB591_333:
	v_sub_nc_u32_e32 v13, v73, v4
	s_delay_alu instid0(VALU_DEP_1)
	v_lshlrev_b32_e32 v13, 2, v13
	ds_store_b32 v13, v74
	s_or_b32 exec_lo, exec_lo, s14
	s_and_saveexec_b32 s13, s12
	s_cbranch_execz .LBB591_279
.LBB591_334:
	v_sub_nc_u32_e32 v13, v69, v4
	s_delay_alu instid0(VALU_DEP_1)
	v_lshlrev_b32_e32 v13, 2, v13
	ds_store_b32 v13, v70
	s_or_b32 exec_lo, exec_lo, s13
	s_and_saveexec_b32 s12, s11
	s_cbranch_execz .LBB591_280
.LBB591_335:
	v_sub_nc_u32_e32 v13, v65, v4
	s_delay_alu instid0(VALU_DEP_1)
	v_lshlrev_b32_e32 v13, 2, v13
	ds_store_b32 v13, v66
	s_or_b32 exec_lo, exec_lo, s12
	s_and_saveexec_b32 s11, s10
	s_cbranch_execz .LBB591_281
.LBB591_336:
	v_sub_nc_u32_e32 v13, v59, v4
	s_delay_alu instid0(VALU_DEP_1)
	v_lshlrev_b32_e32 v13, 2, v13
	ds_store_b32 v13, v60
	s_or_b32 exec_lo, exec_lo, s11
	s_and_saveexec_b32 s10, s9
	s_cbranch_execz .LBB591_282
.LBB591_337:
	v_sub_nc_u32_e32 v13, v55, v4
	s_delay_alu instid0(VALU_DEP_1)
	v_lshlrev_b32_e32 v13, 2, v13
	ds_store_b32 v13, v56
	s_or_b32 exec_lo, exec_lo, s10
	s_and_saveexec_b32 s9, s8
	s_cbranch_execz .LBB591_283
.LBB591_338:
	v_sub_nc_u32_e32 v13, v53, v4
	s_delay_alu instid0(VALU_DEP_1)
	v_lshlrev_b32_e32 v13, 2, v13
	ds_store_b32 v13, v54
	s_or_b32 exec_lo, exec_lo, s9
	s_and_saveexec_b32 s8, s7
	s_cbranch_execz .LBB591_284
.LBB591_339:
	v_sub_nc_u32_e32 v13, v57, v4
	s_delay_alu instid0(VALU_DEP_1)
	v_lshlrev_b32_e32 v13, 2, v13
	ds_store_b32 v13, v58
	s_or_b32 exec_lo, exec_lo, s8
	s_and_saveexec_b32 s7, s6
	s_cbranch_execz .LBB591_285
.LBB591_340:
	v_sub_nc_u32_e32 v13, v61, v4
	s_delay_alu instid0(VALU_DEP_1)
	v_lshlrev_b32_e32 v13, 2, v13
	ds_store_b32 v13, v62
	s_or_b32 exec_lo, exec_lo, s7
	s_and_saveexec_b32 s6, s5
	s_cbranch_execz .LBB591_286
.LBB591_341:
	v_sub_nc_u32_e32 v5, v5, v4
	s_delay_alu instid0(VALU_DEP_1)
	v_lshlrev_b32_e32 v5, 2, v5
	ds_store_b32 v5, v6
	s_or_b32 exec_lo, exec_lo, s6
	s_and_saveexec_b32 s5, s4
	s_cbranch_execz .LBB591_287
.LBB591_342:
	v_sub_nc_u32_e32 v5, v7, v4
	s_delay_alu instid0(VALU_DEP_1)
	v_lshlrev_b32_e32 v5, 2, v5
	ds_store_b32 v5, v8
	s_or_b32 exec_lo, exec_lo, s5
	s_and_saveexec_b32 s4, s3
	s_cbranch_execz .LBB591_288
.LBB591_343:
	v_sub_nc_u32_e32 v5, v51, v4
	s_delay_alu instid0(VALU_DEP_1)
	v_lshlrev_b32_e32 v5, 2, v5
	ds_store_b32 v5, v52
	s_or_b32 exec_lo, exec_lo, s4
	s_and_saveexec_b32 s3, s2
	s_cbranch_execz .LBB591_289
.LBB591_344:
	v_sub_nc_u32_e32 v5, v75, v4
	s_delay_alu instid0(VALU_DEP_1)
	v_lshlrev_b32_e32 v5, 2, v5
	ds_store_b32 v5, v76
	s_or_b32 exec_lo, exec_lo, s3
	s_and_saveexec_b32 s2, s1
	s_cbranch_execnz .LBB591_290
	s_branch .LBB591_291
	.section	.rodata,"a",@progbits
	.p2align	6, 0x0
	.amdhsa_kernel _ZN7rocprim17ROCPRIM_400000_NS6detail17trampoline_kernelINS0_14default_configENS1_29reduce_by_key_config_selectorIiiN6thrust23THRUST_200600_302600_NS4plusIiEEEEZZNS1_33reduce_by_key_impl_wrapped_configILNS1_25lookback_scan_determinismE0ES3_S9_NS6_6detail15normal_iteratorINS6_10device_ptrIiEEEESG_SG_SG_PmS8_22is_equal_div_10_reduceIiEEE10hipError_tPvRmT2_T3_mT4_T5_T6_T7_T8_P12ihipStream_tbENKUlT_T0_E_clISt17integral_constantIbLb0EES11_EEDaSW_SX_EUlSW_E_NS1_11comp_targetILNS1_3genE9ELNS1_11target_archE1100ELNS1_3gpuE3ELNS1_3repE0EEENS1_30default_config_static_selectorELNS0_4arch9wavefront6targetE0EEEvT1_
		.amdhsa_group_segment_fixed_size 15360
		.amdhsa_private_segment_fixed_size 0
		.amdhsa_kernarg_size 120
		.amdhsa_user_sgpr_count 15
		.amdhsa_user_sgpr_dispatch_ptr 0
		.amdhsa_user_sgpr_queue_ptr 0
		.amdhsa_user_sgpr_kernarg_segment_ptr 1
		.amdhsa_user_sgpr_dispatch_id 0
		.amdhsa_user_sgpr_private_segment_size 0
		.amdhsa_wavefront_size32 1
		.amdhsa_uses_dynamic_stack 0
		.amdhsa_enable_private_segment 0
		.amdhsa_system_sgpr_workgroup_id_x 1
		.amdhsa_system_sgpr_workgroup_id_y 0
		.amdhsa_system_sgpr_workgroup_id_z 0
		.amdhsa_system_sgpr_workgroup_info 0
		.amdhsa_system_vgpr_workitem_id 0
		.amdhsa_next_free_vgpr 86
		.amdhsa_next_free_sgpr 44
		.amdhsa_reserve_vcc 1
		.amdhsa_float_round_mode_32 0
		.amdhsa_float_round_mode_16_64 0
		.amdhsa_float_denorm_mode_32 3
		.amdhsa_float_denorm_mode_16_64 3
		.amdhsa_dx10_clamp 1
		.amdhsa_ieee_mode 1
		.amdhsa_fp16_overflow 0
		.amdhsa_workgroup_processor_mode 1
		.amdhsa_memory_ordered 1
		.amdhsa_forward_progress 0
		.amdhsa_shared_vgpr_count 0
		.amdhsa_exception_fp_ieee_invalid_op 0
		.amdhsa_exception_fp_denorm_src 0
		.amdhsa_exception_fp_ieee_div_zero 0
		.amdhsa_exception_fp_ieee_overflow 0
		.amdhsa_exception_fp_ieee_underflow 0
		.amdhsa_exception_fp_ieee_inexact 0
		.amdhsa_exception_int_div_zero 0
	.end_amdhsa_kernel
	.section	.text._ZN7rocprim17ROCPRIM_400000_NS6detail17trampoline_kernelINS0_14default_configENS1_29reduce_by_key_config_selectorIiiN6thrust23THRUST_200600_302600_NS4plusIiEEEEZZNS1_33reduce_by_key_impl_wrapped_configILNS1_25lookback_scan_determinismE0ES3_S9_NS6_6detail15normal_iteratorINS6_10device_ptrIiEEEESG_SG_SG_PmS8_22is_equal_div_10_reduceIiEEE10hipError_tPvRmT2_T3_mT4_T5_T6_T7_T8_P12ihipStream_tbENKUlT_T0_E_clISt17integral_constantIbLb0EES11_EEDaSW_SX_EUlSW_E_NS1_11comp_targetILNS1_3genE9ELNS1_11target_archE1100ELNS1_3gpuE3ELNS1_3repE0EEENS1_30default_config_static_selectorELNS0_4arch9wavefront6targetE0EEEvT1_,"axG",@progbits,_ZN7rocprim17ROCPRIM_400000_NS6detail17trampoline_kernelINS0_14default_configENS1_29reduce_by_key_config_selectorIiiN6thrust23THRUST_200600_302600_NS4plusIiEEEEZZNS1_33reduce_by_key_impl_wrapped_configILNS1_25lookback_scan_determinismE0ES3_S9_NS6_6detail15normal_iteratorINS6_10device_ptrIiEEEESG_SG_SG_PmS8_22is_equal_div_10_reduceIiEEE10hipError_tPvRmT2_T3_mT4_T5_T6_T7_T8_P12ihipStream_tbENKUlT_T0_E_clISt17integral_constantIbLb0EES11_EEDaSW_SX_EUlSW_E_NS1_11comp_targetILNS1_3genE9ELNS1_11target_archE1100ELNS1_3gpuE3ELNS1_3repE0EEENS1_30default_config_static_selectorELNS0_4arch9wavefront6targetE0EEEvT1_,comdat
.Lfunc_end591:
	.size	_ZN7rocprim17ROCPRIM_400000_NS6detail17trampoline_kernelINS0_14default_configENS1_29reduce_by_key_config_selectorIiiN6thrust23THRUST_200600_302600_NS4plusIiEEEEZZNS1_33reduce_by_key_impl_wrapped_configILNS1_25lookback_scan_determinismE0ES3_S9_NS6_6detail15normal_iteratorINS6_10device_ptrIiEEEESG_SG_SG_PmS8_22is_equal_div_10_reduceIiEEE10hipError_tPvRmT2_T3_mT4_T5_T6_T7_T8_P12ihipStream_tbENKUlT_T0_E_clISt17integral_constantIbLb0EES11_EEDaSW_SX_EUlSW_E_NS1_11comp_targetILNS1_3genE9ELNS1_11target_archE1100ELNS1_3gpuE3ELNS1_3repE0EEENS1_30default_config_static_selectorELNS0_4arch9wavefront6targetE0EEEvT1_, .Lfunc_end591-_ZN7rocprim17ROCPRIM_400000_NS6detail17trampoline_kernelINS0_14default_configENS1_29reduce_by_key_config_selectorIiiN6thrust23THRUST_200600_302600_NS4plusIiEEEEZZNS1_33reduce_by_key_impl_wrapped_configILNS1_25lookback_scan_determinismE0ES3_S9_NS6_6detail15normal_iteratorINS6_10device_ptrIiEEEESG_SG_SG_PmS8_22is_equal_div_10_reduceIiEEE10hipError_tPvRmT2_T3_mT4_T5_T6_T7_T8_P12ihipStream_tbENKUlT_T0_E_clISt17integral_constantIbLb0EES11_EEDaSW_SX_EUlSW_E_NS1_11comp_targetILNS1_3genE9ELNS1_11target_archE1100ELNS1_3gpuE3ELNS1_3repE0EEENS1_30default_config_static_selectorELNS0_4arch9wavefront6targetE0EEEvT1_
                                        ; -- End function
	.section	.AMDGPU.csdata,"",@progbits
; Kernel info:
; codeLenInByte = 19988
; NumSgprs: 46
; NumVgprs: 86
; ScratchSize: 0
; MemoryBound: 0
; FloatMode: 240
; IeeeMode: 1
; LDSByteSize: 15360 bytes/workgroup (compile time only)
; SGPRBlocks: 5
; VGPRBlocks: 10
; NumSGPRsForWavesPerEU: 46
; NumVGPRsForWavesPerEU: 86
; Occupancy: 16
; WaveLimiterHint : 1
; COMPUTE_PGM_RSRC2:SCRATCH_EN: 0
; COMPUTE_PGM_RSRC2:USER_SGPR: 15
; COMPUTE_PGM_RSRC2:TRAP_HANDLER: 0
; COMPUTE_PGM_RSRC2:TGID_X_EN: 1
; COMPUTE_PGM_RSRC2:TGID_Y_EN: 0
; COMPUTE_PGM_RSRC2:TGID_Z_EN: 0
; COMPUTE_PGM_RSRC2:TIDIG_COMP_CNT: 0
	.section	.text._ZN7rocprim17ROCPRIM_400000_NS6detail17trampoline_kernelINS0_14default_configENS1_29reduce_by_key_config_selectorIiiN6thrust23THRUST_200600_302600_NS4plusIiEEEEZZNS1_33reduce_by_key_impl_wrapped_configILNS1_25lookback_scan_determinismE0ES3_S9_NS6_6detail15normal_iteratorINS6_10device_ptrIiEEEESG_SG_SG_PmS8_22is_equal_div_10_reduceIiEEE10hipError_tPvRmT2_T3_mT4_T5_T6_T7_T8_P12ihipStream_tbENKUlT_T0_E_clISt17integral_constantIbLb0EES11_EEDaSW_SX_EUlSW_E_NS1_11comp_targetILNS1_3genE8ELNS1_11target_archE1030ELNS1_3gpuE2ELNS1_3repE0EEENS1_30default_config_static_selectorELNS0_4arch9wavefront6targetE0EEEvT1_,"axG",@progbits,_ZN7rocprim17ROCPRIM_400000_NS6detail17trampoline_kernelINS0_14default_configENS1_29reduce_by_key_config_selectorIiiN6thrust23THRUST_200600_302600_NS4plusIiEEEEZZNS1_33reduce_by_key_impl_wrapped_configILNS1_25lookback_scan_determinismE0ES3_S9_NS6_6detail15normal_iteratorINS6_10device_ptrIiEEEESG_SG_SG_PmS8_22is_equal_div_10_reduceIiEEE10hipError_tPvRmT2_T3_mT4_T5_T6_T7_T8_P12ihipStream_tbENKUlT_T0_E_clISt17integral_constantIbLb0EES11_EEDaSW_SX_EUlSW_E_NS1_11comp_targetILNS1_3genE8ELNS1_11target_archE1030ELNS1_3gpuE2ELNS1_3repE0EEENS1_30default_config_static_selectorELNS0_4arch9wavefront6targetE0EEEvT1_,comdat
	.protected	_ZN7rocprim17ROCPRIM_400000_NS6detail17trampoline_kernelINS0_14default_configENS1_29reduce_by_key_config_selectorIiiN6thrust23THRUST_200600_302600_NS4plusIiEEEEZZNS1_33reduce_by_key_impl_wrapped_configILNS1_25lookback_scan_determinismE0ES3_S9_NS6_6detail15normal_iteratorINS6_10device_ptrIiEEEESG_SG_SG_PmS8_22is_equal_div_10_reduceIiEEE10hipError_tPvRmT2_T3_mT4_T5_T6_T7_T8_P12ihipStream_tbENKUlT_T0_E_clISt17integral_constantIbLb0EES11_EEDaSW_SX_EUlSW_E_NS1_11comp_targetILNS1_3genE8ELNS1_11target_archE1030ELNS1_3gpuE2ELNS1_3repE0EEENS1_30default_config_static_selectorELNS0_4arch9wavefront6targetE0EEEvT1_ ; -- Begin function _ZN7rocprim17ROCPRIM_400000_NS6detail17trampoline_kernelINS0_14default_configENS1_29reduce_by_key_config_selectorIiiN6thrust23THRUST_200600_302600_NS4plusIiEEEEZZNS1_33reduce_by_key_impl_wrapped_configILNS1_25lookback_scan_determinismE0ES3_S9_NS6_6detail15normal_iteratorINS6_10device_ptrIiEEEESG_SG_SG_PmS8_22is_equal_div_10_reduceIiEEE10hipError_tPvRmT2_T3_mT4_T5_T6_T7_T8_P12ihipStream_tbENKUlT_T0_E_clISt17integral_constantIbLb0EES11_EEDaSW_SX_EUlSW_E_NS1_11comp_targetILNS1_3genE8ELNS1_11target_archE1030ELNS1_3gpuE2ELNS1_3repE0EEENS1_30default_config_static_selectorELNS0_4arch9wavefront6targetE0EEEvT1_
	.globl	_ZN7rocprim17ROCPRIM_400000_NS6detail17trampoline_kernelINS0_14default_configENS1_29reduce_by_key_config_selectorIiiN6thrust23THRUST_200600_302600_NS4plusIiEEEEZZNS1_33reduce_by_key_impl_wrapped_configILNS1_25lookback_scan_determinismE0ES3_S9_NS6_6detail15normal_iteratorINS6_10device_ptrIiEEEESG_SG_SG_PmS8_22is_equal_div_10_reduceIiEEE10hipError_tPvRmT2_T3_mT4_T5_T6_T7_T8_P12ihipStream_tbENKUlT_T0_E_clISt17integral_constantIbLb0EES11_EEDaSW_SX_EUlSW_E_NS1_11comp_targetILNS1_3genE8ELNS1_11target_archE1030ELNS1_3gpuE2ELNS1_3repE0EEENS1_30default_config_static_selectorELNS0_4arch9wavefront6targetE0EEEvT1_
	.p2align	8
	.type	_ZN7rocprim17ROCPRIM_400000_NS6detail17trampoline_kernelINS0_14default_configENS1_29reduce_by_key_config_selectorIiiN6thrust23THRUST_200600_302600_NS4plusIiEEEEZZNS1_33reduce_by_key_impl_wrapped_configILNS1_25lookback_scan_determinismE0ES3_S9_NS6_6detail15normal_iteratorINS6_10device_ptrIiEEEESG_SG_SG_PmS8_22is_equal_div_10_reduceIiEEE10hipError_tPvRmT2_T3_mT4_T5_T6_T7_T8_P12ihipStream_tbENKUlT_T0_E_clISt17integral_constantIbLb0EES11_EEDaSW_SX_EUlSW_E_NS1_11comp_targetILNS1_3genE8ELNS1_11target_archE1030ELNS1_3gpuE2ELNS1_3repE0EEENS1_30default_config_static_selectorELNS0_4arch9wavefront6targetE0EEEvT1_,@function
_ZN7rocprim17ROCPRIM_400000_NS6detail17trampoline_kernelINS0_14default_configENS1_29reduce_by_key_config_selectorIiiN6thrust23THRUST_200600_302600_NS4plusIiEEEEZZNS1_33reduce_by_key_impl_wrapped_configILNS1_25lookback_scan_determinismE0ES3_S9_NS6_6detail15normal_iteratorINS6_10device_ptrIiEEEESG_SG_SG_PmS8_22is_equal_div_10_reduceIiEEE10hipError_tPvRmT2_T3_mT4_T5_T6_T7_T8_P12ihipStream_tbENKUlT_T0_E_clISt17integral_constantIbLb0EES11_EEDaSW_SX_EUlSW_E_NS1_11comp_targetILNS1_3genE8ELNS1_11target_archE1030ELNS1_3gpuE2ELNS1_3repE0EEENS1_30default_config_static_selectorELNS0_4arch9wavefront6targetE0EEEvT1_: ; @_ZN7rocprim17ROCPRIM_400000_NS6detail17trampoline_kernelINS0_14default_configENS1_29reduce_by_key_config_selectorIiiN6thrust23THRUST_200600_302600_NS4plusIiEEEEZZNS1_33reduce_by_key_impl_wrapped_configILNS1_25lookback_scan_determinismE0ES3_S9_NS6_6detail15normal_iteratorINS6_10device_ptrIiEEEESG_SG_SG_PmS8_22is_equal_div_10_reduceIiEEE10hipError_tPvRmT2_T3_mT4_T5_T6_T7_T8_P12ihipStream_tbENKUlT_T0_E_clISt17integral_constantIbLb0EES11_EEDaSW_SX_EUlSW_E_NS1_11comp_targetILNS1_3genE8ELNS1_11target_archE1030ELNS1_3gpuE2ELNS1_3repE0EEENS1_30default_config_static_selectorELNS0_4arch9wavefront6targetE0EEEvT1_
; %bb.0:
	.section	.rodata,"a",@progbits
	.p2align	6, 0x0
	.amdhsa_kernel _ZN7rocprim17ROCPRIM_400000_NS6detail17trampoline_kernelINS0_14default_configENS1_29reduce_by_key_config_selectorIiiN6thrust23THRUST_200600_302600_NS4plusIiEEEEZZNS1_33reduce_by_key_impl_wrapped_configILNS1_25lookback_scan_determinismE0ES3_S9_NS6_6detail15normal_iteratorINS6_10device_ptrIiEEEESG_SG_SG_PmS8_22is_equal_div_10_reduceIiEEE10hipError_tPvRmT2_T3_mT4_T5_T6_T7_T8_P12ihipStream_tbENKUlT_T0_E_clISt17integral_constantIbLb0EES11_EEDaSW_SX_EUlSW_E_NS1_11comp_targetILNS1_3genE8ELNS1_11target_archE1030ELNS1_3gpuE2ELNS1_3repE0EEENS1_30default_config_static_selectorELNS0_4arch9wavefront6targetE0EEEvT1_
		.amdhsa_group_segment_fixed_size 0
		.amdhsa_private_segment_fixed_size 0
		.amdhsa_kernarg_size 120
		.amdhsa_user_sgpr_count 15
		.amdhsa_user_sgpr_dispatch_ptr 0
		.amdhsa_user_sgpr_queue_ptr 0
		.amdhsa_user_sgpr_kernarg_segment_ptr 1
		.amdhsa_user_sgpr_dispatch_id 0
		.amdhsa_user_sgpr_private_segment_size 0
		.amdhsa_wavefront_size32 1
		.amdhsa_uses_dynamic_stack 0
		.amdhsa_enable_private_segment 0
		.amdhsa_system_sgpr_workgroup_id_x 1
		.amdhsa_system_sgpr_workgroup_id_y 0
		.amdhsa_system_sgpr_workgroup_id_z 0
		.amdhsa_system_sgpr_workgroup_info 0
		.amdhsa_system_vgpr_workitem_id 0
		.amdhsa_next_free_vgpr 1
		.amdhsa_next_free_sgpr 1
		.amdhsa_reserve_vcc 0
		.amdhsa_float_round_mode_32 0
		.amdhsa_float_round_mode_16_64 0
		.amdhsa_float_denorm_mode_32 3
		.amdhsa_float_denorm_mode_16_64 3
		.amdhsa_dx10_clamp 1
		.amdhsa_ieee_mode 1
		.amdhsa_fp16_overflow 0
		.amdhsa_workgroup_processor_mode 1
		.amdhsa_memory_ordered 1
		.amdhsa_forward_progress 0
		.amdhsa_shared_vgpr_count 0
		.amdhsa_exception_fp_ieee_invalid_op 0
		.amdhsa_exception_fp_denorm_src 0
		.amdhsa_exception_fp_ieee_div_zero 0
		.amdhsa_exception_fp_ieee_overflow 0
		.amdhsa_exception_fp_ieee_underflow 0
		.amdhsa_exception_fp_ieee_inexact 0
		.amdhsa_exception_int_div_zero 0
	.end_amdhsa_kernel
	.section	.text._ZN7rocprim17ROCPRIM_400000_NS6detail17trampoline_kernelINS0_14default_configENS1_29reduce_by_key_config_selectorIiiN6thrust23THRUST_200600_302600_NS4plusIiEEEEZZNS1_33reduce_by_key_impl_wrapped_configILNS1_25lookback_scan_determinismE0ES3_S9_NS6_6detail15normal_iteratorINS6_10device_ptrIiEEEESG_SG_SG_PmS8_22is_equal_div_10_reduceIiEEE10hipError_tPvRmT2_T3_mT4_T5_T6_T7_T8_P12ihipStream_tbENKUlT_T0_E_clISt17integral_constantIbLb0EES11_EEDaSW_SX_EUlSW_E_NS1_11comp_targetILNS1_3genE8ELNS1_11target_archE1030ELNS1_3gpuE2ELNS1_3repE0EEENS1_30default_config_static_selectorELNS0_4arch9wavefront6targetE0EEEvT1_,"axG",@progbits,_ZN7rocprim17ROCPRIM_400000_NS6detail17trampoline_kernelINS0_14default_configENS1_29reduce_by_key_config_selectorIiiN6thrust23THRUST_200600_302600_NS4plusIiEEEEZZNS1_33reduce_by_key_impl_wrapped_configILNS1_25lookback_scan_determinismE0ES3_S9_NS6_6detail15normal_iteratorINS6_10device_ptrIiEEEESG_SG_SG_PmS8_22is_equal_div_10_reduceIiEEE10hipError_tPvRmT2_T3_mT4_T5_T6_T7_T8_P12ihipStream_tbENKUlT_T0_E_clISt17integral_constantIbLb0EES11_EEDaSW_SX_EUlSW_E_NS1_11comp_targetILNS1_3genE8ELNS1_11target_archE1030ELNS1_3gpuE2ELNS1_3repE0EEENS1_30default_config_static_selectorELNS0_4arch9wavefront6targetE0EEEvT1_,comdat
.Lfunc_end592:
	.size	_ZN7rocprim17ROCPRIM_400000_NS6detail17trampoline_kernelINS0_14default_configENS1_29reduce_by_key_config_selectorIiiN6thrust23THRUST_200600_302600_NS4plusIiEEEEZZNS1_33reduce_by_key_impl_wrapped_configILNS1_25lookback_scan_determinismE0ES3_S9_NS6_6detail15normal_iteratorINS6_10device_ptrIiEEEESG_SG_SG_PmS8_22is_equal_div_10_reduceIiEEE10hipError_tPvRmT2_T3_mT4_T5_T6_T7_T8_P12ihipStream_tbENKUlT_T0_E_clISt17integral_constantIbLb0EES11_EEDaSW_SX_EUlSW_E_NS1_11comp_targetILNS1_3genE8ELNS1_11target_archE1030ELNS1_3gpuE2ELNS1_3repE0EEENS1_30default_config_static_selectorELNS0_4arch9wavefront6targetE0EEEvT1_, .Lfunc_end592-_ZN7rocprim17ROCPRIM_400000_NS6detail17trampoline_kernelINS0_14default_configENS1_29reduce_by_key_config_selectorIiiN6thrust23THRUST_200600_302600_NS4plusIiEEEEZZNS1_33reduce_by_key_impl_wrapped_configILNS1_25lookback_scan_determinismE0ES3_S9_NS6_6detail15normal_iteratorINS6_10device_ptrIiEEEESG_SG_SG_PmS8_22is_equal_div_10_reduceIiEEE10hipError_tPvRmT2_T3_mT4_T5_T6_T7_T8_P12ihipStream_tbENKUlT_T0_E_clISt17integral_constantIbLb0EES11_EEDaSW_SX_EUlSW_E_NS1_11comp_targetILNS1_3genE8ELNS1_11target_archE1030ELNS1_3gpuE2ELNS1_3repE0EEENS1_30default_config_static_selectorELNS0_4arch9wavefront6targetE0EEEvT1_
                                        ; -- End function
	.section	.AMDGPU.csdata,"",@progbits
; Kernel info:
; codeLenInByte = 0
; NumSgprs: 0
; NumVgprs: 0
; ScratchSize: 0
; MemoryBound: 0
; FloatMode: 240
; IeeeMode: 1
; LDSByteSize: 0 bytes/workgroup (compile time only)
; SGPRBlocks: 0
; VGPRBlocks: 0
; NumSGPRsForWavesPerEU: 1
; NumVGPRsForWavesPerEU: 1
; Occupancy: 16
; WaveLimiterHint : 0
; COMPUTE_PGM_RSRC2:SCRATCH_EN: 0
; COMPUTE_PGM_RSRC2:USER_SGPR: 15
; COMPUTE_PGM_RSRC2:TRAP_HANDLER: 0
; COMPUTE_PGM_RSRC2:TGID_X_EN: 1
; COMPUTE_PGM_RSRC2:TGID_Y_EN: 0
; COMPUTE_PGM_RSRC2:TGID_Z_EN: 0
; COMPUTE_PGM_RSRC2:TIDIG_COMP_CNT: 0
	.section	.text._ZN7rocprim17ROCPRIM_400000_NS6detail17trampoline_kernelINS0_14default_configENS1_29reduce_by_key_config_selectorIiiN6thrust23THRUST_200600_302600_NS4plusIiEEEEZZNS1_33reduce_by_key_impl_wrapped_configILNS1_25lookback_scan_determinismE0ES3_S9_NS6_6detail15normal_iteratorINS6_10device_ptrIiEEEESG_SG_SG_PmS8_22is_equal_div_10_reduceIiEEE10hipError_tPvRmT2_T3_mT4_T5_T6_T7_T8_P12ihipStream_tbENKUlT_T0_E_clISt17integral_constantIbLb1EES11_EEDaSW_SX_EUlSW_E_NS1_11comp_targetILNS1_3genE0ELNS1_11target_archE4294967295ELNS1_3gpuE0ELNS1_3repE0EEENS1_30default_config_static_selectorELNS0_4arch9wavefront6targetE0EEEvT1_,"axG",@progbits,_ZN7rocprim17ROCPRIM_400000_NS6detail17trampoline_kernelINS0_14default_configENS1_29reduce_by_key_config_selectorIiiN6thrust23THRUST_200600_302600_NS4plusIiEEEEZZNS1_33reduce_by_key_impl_wrapped_configILNS1_25lookback_scan_determinismE0ES3_S9_NS6_6detail15normal_iteratorINS6_10device_ptrIiEEEESG_SG_SG_PmS8_22is_equal_div_10_reduceIiEEE10hipError_tPvRmT2_T3_mT4_T5_T6_T7_T8_P12ihipStream_tbENKUlT_T0_E_clISt17integral_constantIbLb1EES11_EEDaSW_SX_EUlSW_E_NS1_11comp_targetILNS1_3genE0ELNS1_11target_archE4294967295ELNS1_3gpuE0ELNS1_3repE0EEENS1_30default_config_static_selectorELNS0_4arch9wavefront6targetE0EEEvT1_,comdat
	.protected	_ZN7rocprim17ROCPRIM_400000_NS6detail17trampoline_kernelINS0_14default_configENS1_29reduce_by_key_config_selectorIiiN6thrust23THRUST_200600_302600_NS4plusIiEEEEZZNS1_33reduce_by_key_impl_wrapped_configILNS1_25lookback_scan_determinismE0ES3_S9_NS6_6detail15normal_iteratorINS6_10device_ptrIiEEEESG_SG_SG_PmS8_22is_equal_div_10_reduceIiEEE10hipError_tPvRmT2_T3_mT4_T5_T6_T7_T8_P12ihipStream_tbENKUlT_T0_E_clISt17integral_constantIbLb1EES11_EEDaSW_SX_EUlSW_E_NS1_11comp_targetILNS1_3genE0ELNS1_11target_archE4294967295ELNS1_3gpuE0ELNS1_3repE0EEENS1_30default_config_static_selectorELNS0_4arch9wavefront6targetE0EEEvT1_ ; -- Begin function _ZN7rocprim17ROCPRIM_400000_NS6detail17trampoline_kernelINS0_14default_configENS1_29reduce_by_key_config_selectorIiiN6thrust23THRUST_200600_302600_NS4plusIiEEEEZZNS1_33reduce_by_key_impl_wrapped_configILNS1_25lookback_scan_determinismE0ES3_S9_NS6_6detail15normal_iteratorINS6_10device_ptrIiEEEESG_SG_SG_PmS8_22is_equal_div_10_reduceIiEEE10hipError_tPvRmT2_T3_mT4_T5_T6_T7_T8_P12ihipStream_tbENKUlT_T0_E_clISt17integral_constantIbLb1EES11_EEDaSW_SX_EUlSW_E_NS1_11comp_targetILNS1_3genE0ELNS1_11target_archE4294967295ELNS1_3gpuE0ELNS1_3repE0EEENS1_30default_config_static_selectorELNS0_4arch9wavefront6targetE0EEEvT1_
	.globl	_ZN7rocprim17ROCPRIM_400000_NS6detail17trampoline_kernelINS0_14default_configENS1_29reduce_by_key_config_selectorIiiN6thrust23THRUST_200600_302600_NS4plusIiEEEEZZNS1_33reduce_by_key_impl_wrapped_configILNS1_25lookback_scan_determinismE0ES3_S9_NS6_6detail15normal_iteratorINS6_10device_ptrIiEEEESG_SG_SG_PmS8_22is_equal_div_10_reduceIiEEE10hipError_tPvRmT2_T3_mT4_T5_T6_T7_T8_P12ihipStream_tbENKUlT_T0_E_clISt17integral_constantIbLb1EES11_EEDaSW_SX_EUlSW_E_NS1_11comp_targetILNS1_3genE0ELNS1_11target_archE4294967295ELNS1_3gpuE0ELNS1_3repE0EEENS1_30default_config_static_selectorELNS0_4arch9wavefront6targetE0EEEvT1_
	.p2align	8
	.type	_ZN7rocprim17ROCPRIM_400000_NS6detail17trampoline_kernelINS0_14default_configENS1_29reduce_by_key_config_selectorIiiN6thrust23THRUST_200600_302600_NS4plusIiEEEEZZNS1_33reduce_by_key_impl_wrapped_configILNS1_25lookback_scan_determinismE0ES3_S9_NS6_6detail15normal_iteratorINS6_10device_ptrIiEEEESG_SG_SG_PmS8_22is_equal_div_10_reduceIiEEE10hipError_tPvRmT2_T3_mT4_T5_T6_T7_T8_P12ihipStream_tbENKUlT_T0_E_clISt17integral_constantIbLb1EES11_EEDaSW_SX_EUlSW_E_NS1_11comp_targetILNS1_3genE0ELNS1_11target_archE4294967295ELNS1_3gpuE0ELNS1_3repE0EEENS1_30default_config_static_selectorELNS0_4arch9wavefront6targetE0EEEvT1_,@function
_ZN7rocprim17ROCPRIM_400000_NS6detail17trampoline_kernelINS0_14default_configENS1_29reduce_by_key_config_selectorIiiN6thrust23THRUST_200600_302600_NS4plusIiEEEEZZNS1_33reduce_by_key_impl_wrapped_configILNS1_25lookback_scan_determinismE0ES3_S9_NS6_6detail15normal_iteratorINS6_10device_ptrIiEEEESG_SG_SG_PmS8_22is_equal_div_10_reduceIiEEE10hipError_tPvRmT2_T3_mT4_T5_T6_T7_T8_P12ihipStream_tbENKUlT_T0_E_clISt17integral_constantIbLb1EES11_EEDaSW_SX_EUlSW_E_NS1_11comp_targetILNS1_3genE0ELNS1_11target_archE4294967295ELNS1_3gpuE0ELNS1_3repE0EEENS1_30default_config_static_selectorELNS0_4arch9wavefront6targetE0EEEvT1_: ; @_ZN7rocprim17ROCPRIM_400000_NS6detail17trampoline_kernelINS0_14default_configENS1_29reduce_by_key_config_selectorIiiN6thrust23THRUST_200600_302600_NS4plusIiEEEEZZNS1_33reduce_by_key_impl_wrapped_configILNS1_25lookback_scan_determinismE0ES3_S9_NS6_6detail15normal_iteratorINS6_10device_ptrIiEEEESG_SG_SG_PmS8_22is_equal_div_10_reduceIiEEE10hipError_tPvRmT2_T3_mT4_T5_T6_T7_T8_P12ihipStream_tbENKUlT_T0_E_clISt17integral_constantIbLb1EES11_EEDaSW_SX_EUlSW_E_NS1_11comp_targetILNS1_3genE0ELNS1_11target_archE4294967295ELNS1_3gpuE0ELNS1_3repE0EEENS1_30default_config_static_selectorELNS0_4arch9wavefront6targetE0EEEvT1_
; %bb.0:
	.section	.rodata,"a",@progbits
	.p2align	6, 0x0
	.amdhsa_kernel _ZN7rocprim17ROCPRIM_400000_NS6detail17trampoline_kernelINS0_14default_configENS1_29reduce_by_key_config_selectorIiiN6thrust23THRUST_200600_302600_NS4plusIiEEEEZZNS1_33reduce_by_key_impl_wrapped_configILNS1_25lookback_scan_determinismE0ES3_S9_NS6_6detail15normal_iteratorINS6_10device_ptrIiEEEESG_SG_SG_PmS8_22is_equal_div_10_reduceIiEEE10hipError_tPvRmT2_T3_mT4_T5_T6_T7_T8_P12ihipStream_tbENKUlT_T0_E_clISt17integral_constantIbLb1EES11_EEDaSW_SX_EUlSW_E_NS1_11comp_targetILNS1_3genE0ELNS1_11target_archE4294967295ELNS1_3gpuE0ELNS1_3repE0EEENS1_30default_config_static_selectorELNS0_4arch9wavefront6targetE0EEEvT1_
		.amdhsa_group_segment_fixed_size 0
		.amdhsa_private_segment_fixed_size 0
		.amdhsa_kernarg_size 120
		.amdhsa_user_sgpr_count 15
		.amdhsa_user_sgpr_dispatch_ptr 0
		.amdhsa_user_sgpr_queue_ptr 0
		.amdhsa_user_sgpr_kernarg_segment_ptr 1
		.amdhsa_user_sgpr_dispatch_id 0
		.amdhsa_user_sgpr_private_segment_size 0
		.amdhsa_wavefront_size32 1
		.amdhsa_uses_dynamic_stack 0
		.amdhsa_enable_private_segment 0
		.amdhsa_system_sgpr_workgroup_id_x 1
		.amdhsa_system_sgpr_workgroup_id_y 0
		.amdhsa_system_sgpr_workgroup_id_z 0
		.amdhsa_system_sgpr_workgroup_info 0
		.amdhsa_system_vgpr_workitem_id 0
		.amdhsa_next_free_vgpr 1
		.amdhsa_next_free_sgpr 1
		.amdhsa_reserve_vcc 0
		.amdhsa_float_round_mode_32 0
		.amdhsa_float_round_mode_16_64 0
		.amdhsa_float_denorm_mode_32 3
		.amdhsa_float_denorm_mode_16_64 3
		.amdhsa_dx10_clamp 1
		.amdhsa_ieee_mode 1
		.amdhsa_fp16_overflow 0
		.amdhsa_workgroup_processor_mode 1
		.amdhsa_memory_ordered 1
		.amdhsa_forward_progress 0
		.amdhsa_shared_vgpr_count 0
		.amdhsa_exception_fp_ieee_invalid_op 0
		.amdhsa_exception_fp_denorm_src 0
		.amdhsa_exception_fp_ieee_div_zero 0
		.amdhsa_exception_fp_ieee_overflow 0
		.amdhsa_exception_fp_ieee_underflow 0
		.amdhsa_exception_fp_ieee_inexact 0
		.amdhsa_exception_int_div_zero 0
	.end_amdhsa_kernel
	.section	.text._ZN7rocprim17ROCPRIM_400000_NS6detail17trampoline_kernelINS0_14default_configENS1_29reduce_by_key_config_selectorIiiN6thrust23THRUST_200600_302600_NS4plusIiEEEEZZNS1_33reduce_by_key_impl_wrapped_configILNS1_25lookback_scan_determinismE0ES3_S9_NS6_6detail15normal_iteratorINS6_10device_ptrIiEEEESG_SG_SG_PmS8_22is_equal_div_10_reduceIiEEE10hipError_tPvRmT2_T3_mT4_T5_T6_T7_T8_P12ihipStream_tbENKUlT_T0_E_clISt17integral_constantIbLb1EES11_EEDaSW_SX_EUlSW_E_NS1_11comp_targetILNS1_3genE0ELNS1_11target_archE4294967295ELNS1_3gpuE0ELNS1_3repE0EEENS1_30default_config_static_selectorELNS0_4arch9wavefront6targetE0EEEvT1_,"axG",@progbits,_ZN7rocprim17ROCPRIM_400000_NS6detail17trampoline_kernelINS0_14default_configENS1_29reduce_by_key_config_selectorIiiN6thrust23THRUST_200600_302600_NS4plusIiEEEEZZNS1_33reduce_by_key_impl_wrapped_configILNS1_25lookback_scan_determinismE0ES3_S9_NS6_6detail15normal_iteratorINS6_10device_ptrIiEEEESG_SG_SG_PmS8_22is_equal_div_10_reduceIiEEE10hipError_tPvRmT2_T3_mT4_T5_T6_T7_T8_P12ihipStream_tbENKUlT_T0_E_clISt17integral_constantIbLb1EES11_EEDaSW_SX_EUlSW_E_NS1_11comp_targetILNS1_3genE0ELNS1_11target_archE4294967295ELNS1_3gpuE0ELNS1_3repE0EEENS1_30default_config_static_selectorELNS0_4arch9wavefront6targetE0EEEvT1_,comdat
.Lfunc_end593:
	.size	_ZN7rocprim17ROCPRIM_400000_NS6detail17trampoline_kernelINS0_14default_configENS1_29reduce_by_key_config_selectorIiiN6thrust23THRUST_200600_302600_NS4plusIiEEEEZZNS1_33reduce_by_key_impl_wrapped_configILNS1_25lookback_scan_determinismE0ES3_S9_NS6_6detail15normal_iteratorINS6_10device_ptrIiEEEESG_SG_SG_PmS8_22is_equal_div_10_reduceIiEEE10hipError_tPvRmT2_T3_mT4_T5_T6_T7_T8_P12ihipStream_tbENKUlT_T0_E_clISt17integral_constantIbLb1EES11_EEDaSW_SX_EUlSW_E_NS1_11comp_targetILNS1_3genE0ELNS1_11target_archE4294967295ELNS1_3gpuE0ELNS1_3repE0EEENS1_30default_config_static_selectorELNS0_4arch9wavefront6targetE0EEEvT1_, .Lfunc_end593-_ZN7rocprim17ROCPRIM_400000_NS6detail17trampoline_kernelINS0_14default_configENS1_29reduce_by_key_config_selectorIiiN6thrust23THRUST_200600_302600_NS4plusIiEEEEZZNS1_33reduce_by_key_impl_wrapped_configILNS1_25lookback_scan_determinismE0ES3_S9_NS6_6detail15normal_iteratorINS6_10device_ptrIiEEEESG_SG_SG_PmS8_22is_equal_div_10_reduceIiEEE10hipError_tPvRmT2_T3_mT4_T5_T6_T7_T8_P12ihipStream_tbENKUlT_T0_E_clISt17integral_constantIbLb1EES11_EEDaSW_SX_EUlSW_E_NS1_11comp_targetILNS1_3genE0ELNS1_11target_archE4294967295ELNS1_3gpuE0ELNS1_3repE0EEENS1_30default_config_static_selectorELNS0_4arch9wavefront6targetE0EEEvT1_
                                        ; -- End function
	.section	.AMDGPU.csdata,"",@progbits
; Kernel info:
; codeLenInByte = 0
; NumSgprs: 0
; NumVgprs: 0
; ScratchSize: 0
; MemoryBound: 0
; FloatMode: 240
; IeeeMode: 1
; LDSByteSize: 0 bytes/workgroup (compile time only)
; SGPRBlocks: 0
; VGPRBlocks: 0
; NumSGPRsForWavesPerEU: 1
; NumVGPRsForWavesPerEU: 1
; Occupancy: 16
; WaveLimiterHint : 0
; COMPUTE_PGM_RSRC2:SCRATCH_EN: 0
; COMPUTE_PGM_RSRC2:USER_SGPR: 15
; COMPUTE_PGM_RSRC2:TRAP_HANDLER: 0
; COMPUTE_PGM_RSRC2:TGID_X_EN: 1
; COMPUTE_PGM_RSRC2:TGID_Y_EN: 0
; COMPUTE_PGM_RSRC2:TGID_Z_EN: 0
; COMPUTE_PGM_RSRC2:TIDIG_COMP_CNT: 0
	.section	.text._ZN7rocprim17ROCPRIM_400000_NS6detail17trampoline_kernelINS0_14default_configENS1_29reduce_by_key_config_selectorIiiN6thrust23THRUST_200600_302600_NS4plusIiEEEEZZNS1_33reduce_by_key_impl_wrapped_configILNS1_25lookback_scan_determinismE0ES3_S9_NS6_6detail15normal_iteratorINS6_10device_ptrIiEEEESG_SG_SG_PmS8_22is_equal_div_10_reduceIiEEE10hipError_tPvRmT2_T3_mT4_T5_T6_T7_T8_P12ihipStream_tbENKUlT_T0_E_clISt17integral_constantIbLb1EES11_EEDaSW_SX_EUlSW_E_NS1_11comp_targetILNS1_3genE5ELNS1_11target_archE942ELNS1_3gpuE9ELNS1_3repE0EEENS1_30default_config_static_selectorELNS0_4arch9wavefront6targetE0EEEvT1_,"axG",@progbits,_ZN7rocprim17ROCPRIM_400000_NS6detail17trampoline_kernelINS0_14default_configENS1_29reduce_by_key_config_selectorIiiN6thrust23THRUST_200600_302600_NS4plusIiEEEEZZNS1_33reduce_by_key_impl_wrapped_configILNS1_25lookback_scan_determinismE0ES3_S9_NS6_6detail15normal_iteratorINS6_10device_ptrIiEEEESG_SG_SG_PmS8_22is_equal_div_10_reduceIiEEE10hipError_tPvRmT2_T3_mT4_T5_T6_T7_T8_P12ihipStream_tbENKUlT_T0_E_clISt17integral_constantIbLb1EES11_EEDaSW_SX_EUlSW_E_NS1_11comp_targetILNS1_3genE5ELNS1_11target_archE942ELNS1_3gpuE9ELNS1_3repE0EEENS1_30default_config_static_selectorELNS0_4arch9wavefront6targetE0EEEvT1_,comdat
	.protected	_ZN7rocprim17ROCPRIM_400000_NS6detail17trampoline_kernelINS0_14default_configENS1_29reduce_by_key_config_selectorIiiN6thrust23THRUST_200600_302600_NS4plusIiEEEEZZNS1_33reduce_by_key_impl_wrapped_configILNS1_25lookback_scan_determinismE0ES3_S9_NS6_6detail15normal_iteratorINS6_10device_ptrIiEEEESG_SG_SG_PmS8_22is_equal_div_10_reduceIiEEE10hipError_tPvRmT2_T3_mT4_T5_T6_T7_T8_P12ihipStream_tbENKUlT_T0_E_clISt17integral_constantIbLb1EES11_EEDaSW_SX_EUlSW_E_NS1_11comp_targetILNS1_3genE5ELNS1_11target_archE942ELNS1_3gpuE9ELNS1_3repE0EEENS1_30default_config_static_selectorELNS0_4arch9wavefront6targetE0EEEvT1_ ; -- Begin function _ZN7rocprim17ROCPRIM_400000_NS6detail17trampoline_kernelINS0_14default_configENS1_29reduce_by_key_config_selectorIiiN6thrust23THRUST_200600_302600_NS4plusIiEEEEZZNS1_33reduce_by_key_impl_wrapped_configILNS1_25lookback_scan_determinismE0ES3_S9_NS6_6detail15normal_iteratorINS6_10device_ptrIiEEEESG_SG_SG_PmS8_22is_equal_div_10_reduceIiEEE10hipError_tPvRmT2_T3_mT4_T5_T6_T7_T8_P12ihipStream_tbENKUlT_T0_E_clISt17integral_constantIbLb1EES11_EEDaSW_SX_EUlSW_E_NS1_11comp_targetILNS1_3genE5ELNS1_11target_archE942ELNS1_3gpuE9ELNS1_3repE0EEENS1_30default_config_static_selectorELNS0_4arch9wavefront6targetE0EEEvT1_
	.globl	_ZN7rocprim17ROCPRIM_400000_NS6detail17trampoline_kernelINS0_14default_configENS1_29reduce_by_key_config_selectorIiiN6thrust23THRUST_200600_302600_NS4plusIiEEEEZZNS1_33reduce_by_key_impl_wrapped_configILNS1_25lookback_scan_determinismE0ES3_S9_NS6_6detail15normal_iteratorINS6_10device_ptrIiEEEESG_SG_SG_PmS8_22is_equal_div_10_reduceIiEEE10hipError_tPvRmT2_T3_mT4_T5_T6_T7_T8_P12ihipStream_tbENKUlT_T0_E_clISt17integral_constantIbLb1EES11_EEDaSW_SX_EUlSW_E_NS1_11comp_targetILNS1_3genE5ELNS1_11target_archE942ELNS1_3gpuE9ELNS1_3repE0EEENS1_30default_config_static_selectorELNS0_4arch9wavefront6targetE0EEEvT1_
	.p2align	8
	.type	_ZN7rocprim17ROCPRIM_400000_NS6detail17trampoline_kernelINS0_14default_configENS1_29reduce_by_key_config_selectorIiiN6thrust23THRUST_200600_302600_NS4plusIiEEEEZZNS1_33reduce_by_key_impl_wrapped_configILNS1_25lookback_scan_determinismE0ES3_S9_NS6_6detail15normal_iteratorINS6_10device_ptrIiEEEESG_SG_SG_PmS8_22is_equal_div_10_reduceIiEEE10hipError_tPvRmT2_T3_mT4_T5_T6_T7_T8_P12ihipStream_tbENKUlT_T0_E_clISt17integral_constantIbLb1EES11_EEDaSW_SX_EUlSW_E_NS1_11comp_targetILNS1_3genE5ELNS1_11target_archE942ELNS1_3gpuE9ELNS1_3repE0EEENS1_30default_config_static_selectorELNS0_4arch9wavefront6targetE0EEEvT1_,@function
_ZN7rocprim17ROCPRIM_400000_NS6detail17trampoline_kernelINS0_14default_configENS1_29reduce_by_key_config_selectorIiiN6thrust23THRUST_200600_302600_NS4plusIiEEEEZZNS1_33reduce_by_key_impl_wrapped_configILNS1_25lookback_scan_determinismE0ES3_S9_NS6_6detail15normal_iteratorINS6_10device_ptrIiEEEESG_SG_SG_PmS8_22is_equal_div_10_reduceIiEEE10hipError_tPvRmT2_T3_mT4_T5_T6_T7_T8_P12ihipStream_tbENKUlT_T0_E_clISt17integral_constantIbLb1EES11_EEDaSW_SX_EUlSW_E_NS1_11comp_targetILNS1_3genE5ELNS1_11target_archE942ELNS1_3gpuE9ELNS1_3repE0EEENS1_30default_config_static_selectorELNS0_4arch9wavefront6targetE0EEEvT1_: ; @_ZN7rocprim17ROCPRIM_400000_NS6detail17trampoline_kernelINS0_14default_configENS1_29reduce_by_key_config_selectorIiiN6thrust23THRUST_200600_302600_NS4plusIiEEEEZZNS1_33reduce_by_key_impl_wrapped_configILNS1_25lookback_scan_determinismE0ES3_S9_NS6_6detail15normal_iteratorINS6_10device_ptrIiEEEESG_SG_SG_PmS8_22is_equal_div_10_reduceIiEEE10hipError_tPvRmT2_T3_mT4_T5_T6_T7_T8_P12ihipStream_tbENKUlT_T0_E_clISt17integral_constantIbLb1EES11_EEDaSW_SX_EUlSW_E_NS1_11comp_targetILNS1_3genE5ELNS1_11target_archE942ELNS1_3gpuE9ELNS1_3repE0EEENS1_30default_config_static_selectorELNS0_4arch9wavefront6targetE0EEEvT1_
; %bb.0:
	.section	.rodata,"a",@progbits
	.p2align	6, 0x0
	.amdhsa_kernel _ZN7rocprim17ROCPRIM_400000_NS6detail17trampoline_kernelINS0_14default_configENS1_29reduce_by_key_config_selectorIiiN6thrust23THRUST_200600_302600_NS4plusIiEEEEZZNS1_33reduce_by_key_impl_wrapped_configILNS1_25lookback_scan_determinismE0ES3_S9_NS6_6detail15normal_iteratorINS6_10device_ptrIiEEEESG_SG_SG_PmS8_22is_equal_div_10_reduceIiEEE10hipError_tPvRmT2_T3_mT4_T5_T6_T7_T8_P12ihipStream_tbENKUlT_T0_E_clISt17integral_constantIbLb1EES11_EEDaSW_SX_EUlSW_E_NS1_11comp_targetILNS1_3genE5ELNS1_11target_archE942ELNS1_3gpuE9ELNS1_3repE0EEENS1_30default_config_static_selectorELNS0_4arch9wavefront6targetE0EEEvT1_
		.amdhsa_group_segment_fixed_size 0
		.amdhsa_private_segment_fixed_size 0
		.amdhsa_kernarg_size 120
		.amdhsa_user_sgpr_count 15
		.amdhsa_user_sgpr_dispatch_ptr 0
		.amdhsa_user_sgpr_queue_ptr 0
		.amdhsa_user_sgpr_kernarg_segment_ptr 1
		.amdhsa_user_sgpr_dispatch_id 0
		.amdhsa_user_sgpr_private_segment_size 0
		.amdhsa_wavefront_size32 1
		.amdhsa_uses_dynamic_stack 0
		.amdhsa_enable_private_segment 0
		.amdhsa_system_sgpr_workgroup_id_x 1
		.amdhsa_system_sgpr_workgroup_id_y 0
		.amdhsa_system_sgpr_workgroup_id_z 0
		.amdhsa_system_sgpr_workgroup_info 0
		.amdhsa_system_vgpr_workitem_id 0
		.amdhsa_next_free_vgpr 1
		.amdhsa_next_free_sgpr 1
		.amdhsa_reserve_vcc 0
		.amdhsa_float_round_mode_32 0
		.amdhsa_float_round_mode_16_64 0
		.amdhsa_float_denorm_mode_32 3
		.amdhsa_float_denorm_mode_16_64 3
		.amdhsa_dx10_clamp 1
		.amdhsa_ieee_mode 1
		.amdhsa_fp16_overflow 0
		.amdhsa_workgroup_processor_mode 1
		.amdhsa_memory_ordered 1
		.amdhsa_forward_progress 0
		.amdhsa_shared_vgpr_count 0
		.amdhsa_exception_fp_ieee_invalid_op 0
		.amdhsa_exception_fp_denorm_src 0
		.amdhsa_exception_fp_ieee_div_zero 0
		.amdhsa_exception_fp_ieee_overflow 0
		.amdhsa_exception_fp_ieee_underflow 0
		.amdhsa_exception_fp_ieee_inexact 0
		.amdhsa_exception_int_div_zero 0
	.end_amdhsa_kernel
	.section	.text._ZN7rocprim17ROCPRIM_400000_NS6detail17trampoline_kernelINS0_14default_configENS1_29reduce_by_key_config_selectorIiiN6thrust23THRUST_200600_302600_NS4plusIiEEEEZZNS1_33reduce_by_key_impl_wrapped_configILNS1_25lookback_scan_determinismE0ES3_S9_NS6_6detail15normal_iteratorINS6_10device_ptrIiEEEESG_SG_SG_PmS8_22is_equal_div_10_reduceIiEEE10hipError_tPvRmT2_T3_mT4_T5_T6_T7_T8_P12ihipStream_tbENKUlT_T0_E_clISt17integral_constantIbLb1EES11_EEDaSW_SX_EUlSW_E_NS1_11comp_targetILNS1_3genE5ELNS1_11target_archE942ELNS1_3gpuE9ELNS1_3repE0EEENS1_30default_config_static_selectorELNS0_4arch9wavefront6targetE0EEEvT1_,"axG",@progbits,_ZN7rocprim17ROCPRIM_400000_NS6detail17trampoline_kernelINS0_14default_configENS1_29reduce_by_key_config_selectorIiiN6thrust23THRUST_200600_302600_NS4plusIiEEEEZZNS1_33reduce_by_key_impl_wrapped_configILNS1_25lookback_scan_determinismE0ES3_S9_NS6_6detail15normal_iteratorINS6_10device_ptrIiEEEESG_SG_SG_PmS8_22is_equal_div_10_reduceIiEEE10hipError_tPvRmT2_T3_mT4_T5_T6_T7_T8_P12ihipStream_tbENKUlT_T0_E_clISt17integral_constantIbLb1EES11_EEDaSW_SX_EUlSW_E_NS1_11comp_targetILNS1_3genE5ELNS1_11target_archE942ELNS1_3gpuE9ELNS1_3repE0EEENS1_30default_config_static_selectorELNS0_4arch9wavefront6targetE0EEEvT1_,comdat
.Lfunc_end594:
	.size	_ZN7rocprim17ROCPRIM_400000_NS6detail17trampoline_kernelINS0_14default_configENS1_29reduce_by_key_config_selectorIiiN6thrust23THRUST_200600_302600_NS4plusIiEEEEZZNS1_33reduce_by_key_impl_wrapped_configILNS1_25lookback_scan_determinismE0ES3_S9_NS6_6detail15normal_iteratorINS6_10device_ptrIiEEEESG_SG_SG_PmS8_22is_equal_div_10_reduceIiEEE10hipError_tPvRmT2_T3_mT4_T5_T6_T7_T8_P12ihipStream_tbENKUlT_T0_E_clISt17integral_constantIbLb1EES11_EEDaSW_SX_EUlSW_E_NS1_11comp_targetILNS1_3genE5ELNS1_11target_archE942ELNS1_3gpuE9ELNS1_3repE0EEENS1_30default_config_static_selectorELNS0_4arch9wavefront6targetE0EEEvT1_, .Lfunc_end594-_ZN7rocprim17ROCPRIM_400000_NS6detail17trampoline_kernelINS0_14default_configENS1_29reduce_by_key_config_selectorIiiN6thrust23THRUST_200600_302600_NS4plusIiEEEEZZNS1_33reduce_by_key_impl_wrapped_configILNS1_25lookback_scan_determinismE0ES3_S9_NS6_6detail15normal_iteratorINS6_10device_ptrIiEEEESG_SG_SG_PmS8_22is_equal_div_10_reduceIiEEE10hipError_tPvRmT2_T3_mT4_T5_T6_T7_T8_P12ihipStream_tbENKUlT_T0_E_clISt17integral_constantIbLb1EES11_EEDaSW_SX_EUlSW_E_NS1_11comp_targetILNS1_3genE5ELNS1_11target_archE942ELNS1_3gpuE9ELNS1_3repE0EEENS1_30default_config_static_selectorELNS0_4arch9wavefront6targetE0EEEvT1_
                                        ; -- End function
	.section	.AMDGPU.csdata,"",@progbits
; Kernel info:
; codeLenInByte = 0
; NumSgprs: 0
; NumVgprs: 0
; ScratchSize: 0
; MemoryBound: 0
; FloatMode: 240
; IeeeMode: 1
; LDSByteSize: 0 bytes/workgroup (compile time only)
; SGPRBlocks: 0
; VGPRBlocks: 0
; NumSGPRsForWavesPerEU: 1
; NumVGPRsForWavesPerEU: 1
; Occupancy: 16
; WaveLimiterHint : 0
; COMPUTE_PGM_RSRC2:SCRATCH_EN: 0
; COMPUTE_PGM_RSRC2:USER_SGPR: 15
; COMPUTE_PGM_RSRC2:TRAP_HANDLER: 0
; COMPUTE_PGM_RSRC2:TGID_X_EN: 1
; COMPUTE_PGM_RSRC2:TGID_Y_EN: 0
; COMPUTE_PGM_RSRC2:TGID_Z_EN: 0
; COMPUTE_PGM_RSRC2:TIDIG_COMP_CNT: 0
	.section	.text._ZN7rocprim17ROCPRIM_400000_NS6detail17trampoline_kernelINS0_14default_configENS1_29reduce_by_key_config_selectorIiiN6thrust23THRUST_200600_302600_NS4plusIiEEEEZZNS1_33reduce_by_key_impl_wrapped_configILNS1_25lookback_scan_determinismE0ES3_S9_NS6_6detail15normal_iteratorINS6_10device_ptrIiEEEESG_SG_SG_PmS8_22is_equal_div_10_reduceIiEEE10hipError_tPvRmT2_T3_mT4_T5_T6_T7_T8_P12ihipStream_tbENKUlT_T0_E_clISt17integral_constantIbLb1EES11_EEDaSW_SX_EUlSW_E_NS1_11comp_targetILNS1_3genE4ELNS1_11target_archE910ELNS1_3gpuE8ELNS1_3repE0EEENS1_30default_config_static_selectorELNS0_4arch9wavefront6targetE0EEEvT1_,"axG",@progbits,_ZN7rocprim17ROCPRIM_400000_NS6detail17trampoline_kernelINS0_14default_configENS1_29reduce_by_key_config_selectorIiiN6thrust23THRUST_200600_302600_NS4plusIiEEEEZZNS1_33reduce_by_key_impl_wrapped_configILNS1_25lookback_scan_determinismE0ES3_S9_NS6_6detail15normal_iteratorINS6_10device_ptrIiEEEESG_SG_SG_PmS8_22is_equal_div_10_reduceIiEEE10hipError_tPvRmT2_T3_mT4_T5_T6_T7_T8_P12ihipStream_tbENKUlT_T0_E_clISt17integral_constantIbLb1EES11_EEDaSW_SX_EUlSW_E_NS1_11comp_targetILNS1_3genE4ELNS1_11target_archE910ELNS1_3gpuE8ELNS1_3repE0EEENS1_30default_config_static_selectorELNS0_4arch9wavefront6targetE0EEEvT1_,comdat
	.protected	_ZN7rocprim17ROCPRIM_400000_NS6detail17trampoline_kernelINS0_14default_configENS1_29reduce_by_key_config_selectorIiiN6thrust23THRUST_200600_302600_NS4plusIiEEEEZZNS1_33reduce_by_key_impl_wrapped_configILNS1_25lookback_scan_determinismE0ES3_S9_NS6_6detail15normal_iteratorINS6_10device_ptrIiEEEESG_SG_SG_PmS8_22is_equal_div_10_reduceIiEEE10hipError_tPvRmT2_T3_mT4_T5_T6_T7_T8_P12ihipStream_tbENKUlT_T0_E_clISt17integral_constantIbLb1EES11_EEDaSW_SX_EUlSW_E_NS1_11comp_targetILNS1_3genE4ELNS1_11target_archE910ELNS1_3gpuE8ELNS1_3repE0EEENS1_30default_config_static_selectorELNS0_4arch9wavefront6targetE0EEEvT1_ ; -- Begin function _ZN7rocprim17ROCPRIM_400000_NS6detail17trampoline_kernelINS0_14default_configENS1_29reduce_by_key_config_selectorIiiN6thrust23THRUST_200600_302600_NS4plusIiEEEEZZNS1_33reduce_by_key_impl_wrapped_configILNS1_25lookback_scan_determinismE0ES3_S9_NS6_6detail15normal_iteratorINS6_10device_ptrIiEEEESG_SG_SG_PmS8_22is_equal_div_10_reduceIiEEE10hipError_tPvRmT2_T3_mT4_T5_T6_T7_T8_P12ihipStream_tbENKUlT_T0_E_clISt17integral_constantIbLb1EES11_EEDaSW_SX_EUlSW_E_NS1_11comp_targetILNS1_3genE4ELNS1_11target_archE910ELNS1_3gpuE8ELNS1_3repE0EEENS1_30default_config_static_selectorELNS0_4arch9wavefront6targetE0EEEvT1_
	.globl	_ZN7rocprim17ROCPRIM_400000_NS6detail17trampoline_kernelINS0_14default_configENS1_29reduce_by_key_config_selectorIiiN6thrust23THRUST_200600_302600_NS4plusIiEEEEZZNS1_33reduce_by_key_impl_wrapped_configILNS1_25lookback_scan_determinismE0ES3_S9_NS6_6detail15normal_iteratorINS6_10device_ptrIiEEEESG_SG_SG_PmS8_22is_equal_div_10_reduceIiEEE10hipError_tPvRmT2_T3_mT4_T5_T6_T7_T8_P12ihipStream_tbENKUlT_T0_E_clISt17integral_constantIbLb1EES11_EEDaSW_SX_EUlSW_E_NS1_11comp_targetILNS1_3genE4ELNS1_11target_archE910ELNS1_3gpuE8ELNS1_3repE0EEENS1_30default_config_static_selectorELNS0_4arch9wavefront6targetE0EEEvT1_
	.p2align	8
	.type	_ZN7rocprim17ROCPRIM_400000_NS6detail17trampoline_kernelINS0_14default_configENS1_29reduce_by_key_config_selectorIiiN6thrust23THRUST_200600_302600_NS4plusIiEEEEZZNS1_33reduce_by_key_impl_wrapped_configILNS1_25lookback_scan_determinismE0ES3_S9_NS6_6detail15normal_iteratorINS6_10device_ptrIiEEEESG_SG_SG_PmS8_22is_equal_div_10_reduceIiEEE10hipError_tPvRmT2_T3_mT4_T5_T6_T7_T8_P12ihipStream_tbENKUlT_T0_E_clISt17integral_constantIbLb1EES11_EEDaSW_SX_EUlSW_E_NS1_11comp_targetILNS1_3genE4ELNS1_11target_archE910ELNS1_3gpuE8ELNS1_3repE0EEENS1_30default_config_static_selectorELNS0_4arch9wavefront6targetE0EEEvT1_,@function
_ZN7rocprim17ROCPRIM_400000_NS6detail17trampoline_kernelINS0_14default_configENS1_29reduce_by_key_config_selectorIiiN6thrust23THRUST_200600_302600_NS4plusIiEEEEZZNS1_33reduce_by_key_impl_wrapped_configILNS1_25lookback_scan_determinismE0ES3_S9_NS6_6detail15normal_iteratorINS6_10device_ptrIiEEEESG_SG_SG_PmS8_22is_equal_div_10_reduceIiEEE10hipError_tPvRmT2_T3_mT4_T5_T6_T7_T8_P12ihipStream_tbENKUlT_T0_E_clISt17integral_constantIbLb1EES11_EEDaSW_SX_EUlSW_E_NS1_11comp_targetILNS1_3genE4ELNS1_11target_archE910ELNS1_3gpuE8ELNS1_3repE0EEENS1_30default_config_static_selectorELNS0_4arch9wavefront6targetE0EEEvT1_: ; @_ZN7rocprim17ROCPRIM_400000_NS6detail17trampoline_kernelINS0_14default_configENS1_29reduce_by_key_config_selectorIiiN6thrust23THRUST_200600_302600_NS4plusIiEEEEZZNS1_33reduce_by_key_impl_wrapped_configILNS1_25lookback_scan_determinismE0ES3_S9_NS6_6detail15normal_iteratorINS6_10device_ptrIiEEEESG_SG_SG_PmS8_22is_equal_div_10_reduceIiEEE10hipError_tPvRmT2_T3_mT4_T5_T6_T7_T8_P12ihipStream_tbENKUlT_T0_E_clISt17integral_constantIbLb1EES11_EEDaSW_SX_EUlSW_E_NS1_11comp_targetILNS1_3genE4ELNS1_11target_archE910ELNS1_3gpuE8ELNS1_3repE0EEENS1_30default_config_static_selectorELNS0_4arch9wavefront6targetE0EEEvT1_
; %bb.0:
	.section	.rodata,"a",@progbits
	.p2align	6, 0x0
	.amdhsa_kernel _ZN7rocprim17ROCPRIM_400000_NS6detail17trampoline_kernelINS0_14default_configENS1_29reduce_by_key_config_selectorIiiN6thrust23THRUST_200600_302600_NS4plusIiEEEEZZNS1_33reduce_by_key_impl_wrapped_configILNS1_25lookback_scan_determinismE0ES3_S9_NS6_6detail15normal_iteratorINS6_10device_ptrIiEEEESG_SG_SG_PmS8_22is_equal_div_10_reduceIiEEE10hipError_tPvRmT2_T3_mT4_T5_T6_T7_T8_P12ihipStream_tbENKUlT_T0_E_clISt17integral_constantIbLb1EES11_EEDaSW_SX_EUlSW_E_NS1_11comp_targetILNS1_3genE4ELNS1_11target_archE910ELNS1_3gpuE8ELNS1_3repE0EEENS1_30default_config_static_selectorELNS0_4arch9wavefront6targetE0EEEvT1_
		.amdhsa_group_segment_fixed_size 0
		.amdhsa_private_segment_fixed_size 0
		.amdhsa_kernarg_size 120
		.amdhsa_user_sgpr_count 15
		.amdhsa_user_sgpr_dispatch_ptr 0
		.amdhsa_user_sgpr_queue_ptr 0
		.amdhsa_user_sgpr_kernarg_segment_ptr 1
		.amdhsa_user_sgpr_dispatch_id 0
		.amdhsa_user_sgpr_private_segment_size 0
		.amdhsa_wavefront_size32 1
		.amdhsa_uses_dynamic_stack 0
		.amdhsa_enable_private_segment 0
		.amdhsa_system_sgpr_workgroup_id_x 1
		.amdhsa_system_sgpr_workgroup_id_y 0
		.amdhsa_system_sgpr_workgroup_id_z 0
		.amdhsa_system_sgpr_workgroup_info 0
		.amdhsa_system_vgpr_workitem_id 0
		.amdhsa_next_free_vgpr 1
		.amdhsa_next_free_sgpr 1
		.amdhsa_reserve_vcc 0
		.amdhsa_float_round_mode_32 0
		.amdhsa_float_round_mode_16_64 0
		.amdhsa_float_denorm_mode_32 3
		.amdhsa_float_denorm_mode_16_64 3
		.amdhsa_dx10_clamp 1
		.amdhsa_ieee_mode 1
		.amdhsa_fp16_overflow 0
		.amdhsa_workgroup_processor_mode 1
		.amdhsa_memory_ordered 1
		.amdhsa_forward_progress 0
		.amdhsa_shared_vgpr_count 0
		.amdhsa_exception_fp_ieee_invalid_op 0
		.amdhsa_exception_fp_denorm_src 0
		.amdhsa_exception_fp_ieee_div_zero 0
		.amdhsa_exception_fp_ieee_overflow 0
		.amdhsa_exception_fp_ieee_underflow 0
		.amdhsa_exception_fp_ieee_inexact 0
		.amdhsa_exception_int_div_zero 0
	.end_amdhsa_kernel
	.section	.text._ZN7rocprim17ROCPRIM_400000_NS6detail17trampoline_kernelINS0_14default_configENS1_29reduce_by_key_config_selectorIiiN6thrust23THRUST_200600_302600_NS4plusIiEEEEZZNS1_33reduce_by_key_impl_wrapped_configILNS1_25lookback_scan_determinismE0ES3_S9_NS6_6detail15normal_iteratorINS6_10device_ptrIiEEEESG_SG_SG_PmS8_22is_equal_div_10_reduceIiEEE10hipError_tPvRmT2_T3_mT4_T5_T6_T7_T8_P12ihipStream_tbENKUlT_T0_E_clISt17integral_constantIbLb1EES11_EEDaSW_SX_EUlSW_E_NS1_11comp_targetILNS1_3genE4ELNS1_11target_archE910ELNS1_3gpuE8ELNS1_3repE0EEENS1_30default_config_static_selectorELNS0_4arch9wavefront6targetE0EEEvT1_,"axG",@progbits,_ZN7rocprim17ROCPRIM_400000_NS6detail17trampoline_kernelINS0_14default_configENS1_29reduce_by_key_config_selectorIiiN6thrust23THRUST_200600_302600_NS4plusIiEEEEZZNS1_33reduce_by_key_impl_wrapped_configILNS1_25lookback_scan_determinismE0ES3_S9_NS6_6detail15normal_iteratorINS6_10device_ptrIiEEEESG_SG_SG_PmS8_22is_equal_div_10_reduceIiEEE10hipError_tPvRmT2_T3_mT4_T5_T6_T7_T8_P12ihipStream_tbENKUlT_T0_E_clISt17integral_constantIbLb1EES11_EEDaSW_SX_EUlSW_E_NS1_11comp_targetILNS1_3genE4ELNS1_11target_archE910ELNS1_3gpuE8ELNS1_3repE0EEENS1_30default_config_static_selectorELNS0_4arch9wavefront6targetE0EEEvT1_,comdat
.Lfunc_end595:
	.size	_ZN7rocprim17ROCPRIM_400000_NS6detail17trampoline_kernelINS0_14default_configENS1_29reduce_by_key_config_selectorIiiN6thrust23THRUST_200600_302600_NS4plusIiEEEEZZNS1_33reduce_by_key_impl_wrapped_configILNS1_25lookback_scan_determinismE0ES3_S9_NS6_6detail15normal_iteratorINS6_10device_ptrIiEEEESG_SG_SG_PmS8_22is_equal_div_10_reduceIiEEE10hipError_tPvRmT2_T3_mT4_T5_T6_T7_T8_P12ihipStream_tbENKUlT_T0_E_clISt17integral_constantIbLb1EES11_EEDaSW_SX_EUlSW_E_NS1_11comp_targetILNS1_3genE4ELNS1_11target_archE910ELNS1_3gpuE8ELNS1_3repE0EEENS1_30default_config_static_selectorELNS0_4arch9wavefront6targetE0EEEvT1_, .Lfunc_end595-_ZN7rocprim17ROCPRIM_400000_NS6detail17trampoline_kernelINS0_14default_configENS1_29reduce_by_key_config_selectorIiiN6thrust23THRUST_200600_302600_NS4plusIiEEEEZZNS1_33reduce_by_key_impl_wrapped_configILNS1_25lookback_scan_determinismE0ES3_S9_NS6_6detail15normal_iteratorINS6_10device_ptrIiEEEESG_SG_SG_PmS8_22is_equal_div_10_reduceIiEEE10hipError_tPvRmT2_T3_mT4_T5_T6_T7_T8_P12ihipStream_tbENKUlT_T0_E_clISt17integral_constantIbLb1EES11_EEDaSW_SX_EUlSW_E_NS1_11comp_targetILNS1_3genE4ELNS1_11target_archE910ELNS1_3gpuE8ELNS1_3repE0EEENS1_30default_config_static_selectorELNS0_4arch9wavefront6targetE0EEEvT1_
                                        ; -- End function
	.section	.AMDGPU.csdata,"",@progbits
; Kernel info:
; codeLenInByte = 0
; NumSgprs: 0
; NumVgprs: 0
; ScratchSize: 0
; MemoryBound: 0
; FloatMode: 240
; IeeeMode: 1
; LDSByteSize: 0 bytes/workgroup (compile time only)
; SGPRBlocks: 0
; VGPRBlocks: 0
; NumSGPRsForWavesPerEU: 1
; NumVGPRsForWavesPerEU: 1
; Occupancy: 16
; WaveLimiterHint : 0
; COMPUTE_PGM_RSRC2:SCRATCH_EN: 0
; COMPUTE_PGM_RSRC2:USER_SGPR: 15
; COMPUTE_PGM_RSRC2:TRAP_HANDLER: 0
; COMPUTE_PGM_RSRC2:TGID_X_EN: 1
; COMPUTE_PGM_RSRC2:TGID_Y_EN: 0
; COMPUTE_PGM_RSRC2:TGID_Z_EN: 0
; COMPUTE_PGM_RSRC2:TIDIG_COMP_CNT: 0
	.section	.text._ZN7rocprim17ROCPRIM_400000_NS6detail17trampoline_kernelINS0_14default_configENS1_29reduce_by_key_config_selectorIiiN6thrust23THRUST_200600_302600_NS4plusIiEEEEZZNS1_33reduce_by_key_impl_wrapped_configILNS1_25lookback_scan_determinismE0ES3_S9_NS6_6detail15normal_iteratorINS6_10device_ptrIiEEEESG_SG_SG_PmS8_22is_equal_div_10_reduceIiEEE10hipError_tPvRmT2_T3_mT4_T5_T6_T7_T8_P12ihipStream_tbENKUlT_T0_E_clISt17integral_constantIbLb1EES11_EEDaSW_SX_EUlSW_E_NS1_11comp_targetILNS1_3genE3ELNS1_11target_archE908ELNS1_3gpuE7ELNS1_3repE0EEENS1_30default_config_static_selectorELNS0_4arch9wavefront6targetE0EEEvT1_,"axG",@progbits,_ZN7rocprim17ROCPRIM_400000_NS6detail17trampoline_kernelINS0_14default_configENS1_29reduce_by_key_config_selectorIiiN6thrust23THRUST_200600_302600_NS4plusIiEEEEZZNS1_33reduce_by_key_impl_wrapped_configILNS1_25lookback_scan_determinismE0ES3_S9_NS6_6detail15normal_iteratorINS6_10device_ptrIiEEEESG_SG_SG_PmS8_22is_equal_div_10_reduceIiEEE10hipError_tPvRmT2_T3_mT4_T5_T6_T7_T8_P12ihipStream_tbENKUlT_T0_E_clISt17integral_constantIbLb1EES11_EEDaSW_SX_EUlSW_E_NS1_11comp_targetILNS1_3genE3ELNS1_11target_archE908ELNS1_3gpuE7ELNS1_3repE0EEENS1_30default_config_static_selectorELNS0_4arch9wavefront6targetE0EEEvT1_,comdat
	.protected	_ZN7rocprim17ROCPRIM_400000_NS6detail17trampoline_kernelINS0_14default_configENS1_29reduce_by_key_config_selectorIiiN6thrust23THRUST_200600_302600_NS4plusIiEEEEZZNS1_33reduce_by_key_impl_wrapped_configILNS1_25lookback_scan_determinismE0ES3_S9_NS6_6detail15normal_iteratorINS6_10device_ptrIiEEEESG_SG_SG_PmS8_22is_equal_div_10_reduceIiEEE10hipError_tPvRmT2_T3_mT4_T5_T6_T7_T8_P12ihipStream_tbENKUlT_T0_E_clISt17integral_constantIbLb1EES11_EEDaSW_SX_EUlSW_E_NS1_11comp_targetILNS1_3genE3ELNS1_11target_archE908ELNS1_3gpuE7ELNS1_3repE0EEENS1_30default_config_static_selectorELNS0_4arch9wavefront6targetE0EEEvT1_ ; -- Begin function _ZN7rocprim17ROCPRIM_400000_NS6detail17trampoline_kernelINS0_14default_configENS1_29reduce_by_key_config_selectorIiiN6thrust23THRUST_200600_302600_NS4plusIiEEEEZZNS1_33reduce_by_key_impl_wrapped_configILNS1_25lookback_scan_determinismE0ES3_S9_NS6_6detail15normal_iteratorINS6_10device_ptrIiEEEESG_SG_SG_PmS8_22is_equal_div_10_reduceIiEEE10hipError_tPvRmT2_T3_mT4_T5_T6_T7_T8_P12ihipStream_tbENKUlT_T0_E_clISt17integral_constantIbLb1EES11_EEDaSW_SX_EUlSW_E_NS1_11comp_targetILNS1_3genE3ELNS1_11target_archE908ELNS1_3gpuE7ELNS1_3repE0EEENS1_30default_config_static_selectorELNS0_4arch9wavefront6targetE0EEEvT1_
	.globl	_ZN7rocprim17ROCPRIM_400000_NS6detail17trampoline_kernelINS0_14default_configENS1_29reduce_by_key_config_selectorIiiN6thrust23THRUST_200600_302600_NS4plusIiEEEEZZNS1_33reduce_by_key_impl_wrapped_configILNS1_25lookback_scan_determinismE0ES3_S9_NS6_6detail15normal_iteratorINS6_10device_ptrIiEEEESG_SG_SG_PmS8_22is_equal_div_10_reduceIiEEE10hipError_tPvRmT2_T3_mT4_T5_T6_T7_T8_P12ihipStream_tbENKUlT_T0_E_clISt17integral_constantIbLb1EES11_EEDaSW_SX_EUlSW_E_NS1_11comp_targetILNS1_3genE3ELNS1_11target_archE908ELNS1_3gpuE7ELNS1_3repE0EEENS1_30default_config_static_selectorELNS0_4arch9wavefront6targetE0EEEvT1_
	.p2align	8
	.type	_ZN7rocprim17ROCPRIM_400000_NS6detail17trampoline_kernelINS0_14default_configENS1_29reduce_by_key_config_selectorIiiN6thrust23THRUST_200600_302600_NS4plusIiEEEEZZNS1_33reduce_by_key_impl_wrapped_configILNS1_25lookback_scan_determinismE0ES3_S9_NS6_6detail15normal_iteratorINS6_10device_ptrIiEEEESG_SG_SG_PmS8_22is_equal_div_10_reduceIiEEE10hipError_tPvRmT2_T3_mT4_T5_T6_T7_T8_P12ihipStream_tbENKUlT_T0_E_clISt17integral_constantIbLb1EES11_EEDaSW_SX_EUlSW_E_NS1_11comp_targetILNS1_3genE3ELNS1_11target_archE908ELNS1_3gpuE7ELNS1_3repE0EEENS1_30default_config_static_selectorELNS0_4arch9wavefront6targetE0EEEvT1_,@function
_ZN7rocprim17ROCPRIM_400000_NS6detail17trampoline_kernelINS0_14default_configENS1_29reduce_by_key_config_selectorIiiN6thrust23THRUST_200600_302600_NS4plusIiEEEEZZNS1_33reduce_by_key_impl_wrapped_configILNS1_25lookback_scan_determinismE0ES3_S9_NS6_6detail15normal_iteratorINS6_10device_ptrIiEEEESG_SG_SG_PmS8_22is_equal_div_10_reduceIiEEE10hipError_tPvRmT2_T3_mT4_T5_T6_T7_T8_P12ihipStream_tbENKUlT_T0_E_clISt17integral_constantIbLb1EES11_EEDaSW_SX_EUlSW_E_NS1_11comp_targetILNS1_3genE3ELNS1_11target_archE908ELNS1_3gpuE7ELNS1_3repE0EEENS1_30default_config_static_selectorELNS0_4arch9wavefront6targetE0EEEvT1_: ; @_ZN7rocprim17ROCPRIM_400000_NS6detail17trampoline_kernelINS0_14default_configENS1_29reduce_by_key_config_selectorIiiN6thrust23THRUST_200600_302600_NS4plusIiEEEEZZNS1_33reduce_by_key_impl_wrapped_configILNS1_25lookback_scan_determinismE0ES3_S9_NS6_6detail15normal_iteratorINS6_10device_ptrIiEEEESG_SG_SG_PmS8_22is_equal_div_10_reduceIiEEE10hipError_tPvRmT2_T3_mT4_T5_T6_T7_T8_P12ihipStream_tbENKUlT_T0_E_clISt17integral_constantIbLb1EES11_EEDaSW_SX_EUlSW_E_NS1_11comp_targetILNS1_3genE3ELNS1_11target_archE908ELNS1_3gpuE7ELNS1_3repE0EEENS1_30default_config_static_selectorELNS0_4arch9wavefront6targetE0EEEvT1_
; %bb.0:
	.section	.rodata,"a",@progbits
	.p2align	6, 0x0
	.amdhsa_kernel _ZN7rocprim17ROCPRIM_400000_NS6detail17trampoline_kernelINS0_14default_configENS1_29reduce_by_key_config_selectorIiiN6thrust23THRUST_200600_302600_NS4plusIiEEEEZZNS1_33reduce_by_key_impl_wrapped_configILNS1_25lookback_scan_determinismE0ES3_S9_NS6_6detail15normal_iteratorINS6_10device_ptrIiEEEESG_SG_SG_PmS8_22is_equal_div_10_reduceIiEEE10hipError_tPvRmT2_T3_mT4_T5_T6_T7_T8_P12ihipStream_tbENKUlT_T0_E_clISt17integral_constantIbLb1EES11_EEDaSW_SX_EUlSW_E_NS1_11comp_targetILNS1_3genE3ELNS1_11target_archE908ELNS1_3gpuE7ELNS1_3repE0EEENS1_30default_config_static_selectorELNS0_4arch9wavefront6targetE0EEEvT1_
		.amdhsa_group_segment_fixed_size 0
		.amdhsa_private_segment_fixed_size 0
		.amdhsa_kernarg_size 120
		.amdhsa_user_sgpr_count 15
		.amdhsa_user_sgpr_dispatch_ptr 0
		.amdhsa_user_sgpr_queue_ptr 0
		.amdhsa_user_sgpr_kernarg_segment_ptr 1
		.amdhsa_user_sgpr_dispatch_id 0
		.amdhsa_user_sgpr_private_segment_size 0
		.amdhsa_wavefront_size32 1
		.amdhsa_uses_dynamic_stack 0
		.amdhsa_enable_private_segment 0
		.amdhsa_system_sgpr_workgroup_id_x 1
		.amdhsa_system_sgpr_workgroup_id_y 0
		.amdhsa_system_sgpr_workgroup_id_z 0
		.amdhsa_system_sgpr_workgroup_info 0
		.amdhsa_system_vgpr_workitem_id 0
		.amdhsa_next_free_vgpr 1
		.amdhsa_next_free_sgpr 1
		.amdhsa_reserve_vcc 0
		.amdhsa_float_round_mode_32 0
		.amdhsa_float_round_mode_16_64 0
		.amdhsa_float_denorm_mode_32 3
		.amdhsa_float_denorm_mode_16_64 3
		.amdhsa_dx10_clamp 1
		.amdhsa_ieee_mode 1
		.amdhsa_fp16_overflow 0
		.amdhsa_workgroup_processor_mode 1
		.amdhsa_memory_ordered 1
		.amdhsa_forward_progress 0
		.amdhsa_shared_vgpr_count 0
		.amdhsa_exception_fp_ieee_invalid_op 0
		.amdhsa_exception_fp_denorm_src 0
		.amdhsa_exception_fp_ieee_div_zero 0
		.amdhsa_exception_fp_ieee_overflow 0
		.amdhsa_exception_fp_ieee_underflow 0
		.amdhsa_exception_fp_ieee_inexact 0
		.amdhsa_exception_int_div_zero 0
	.end_amdhsa_kernel
	.section	.text._ZN7rocprim17ROCPRIM_400000_NS6detail17trampoline_kernelINS0_14default_configENS1_29reduce_by_key_config_selectorIiiN6thrust23THRUST_200600_302600_NS4plusIiEEEEZZNS1_33reduce_by_key_impl_wrapped_configILNS1_25lookback_scan_determinismE0ES3_S9_NS6_6detail15normal_iteratorINS6_10device_ptrIiEEEESG_SG_SG_PmS8_22is_equal_div_10_reduceIiEEE10hipError_tPvRmT2_T3_mT4_T5_T6_T7_T8_P12ihipStream_tbENKUlT_T0_E_clISt17integral_constantIbLb1EES11_EEDaSW_SX_EUlSW_E_NS1_11comp_targetILNS1_3genE3ELNS1_11target_archE908ELNS1_3gpuE7ELNS1_3repE0EEENS1_30default_config_static_selectorELNS0_4arch9wavefront6targetE0EEEvT1_,"axG",@progbits,_ZN7rocprim17ROCPRIM_400000_NS6detail17trampoline_kernelINS0_14default_configENS1_29reduce_by_key_config_selectorIiiN6thrust23THRUST_200600_302600_NS4plusIiEEEEZZNS1_33reduce_by_key_impl_wrapped_configILNS1_25lookback_scan_determinismE0ES3_S9_NS6_6detail15normal_iteratorINS6_10device_ptrIiEEEESG_SG_SG_PmS8_22is_equal_div_10_reduceIiEEE10hipError_tPvRmT2_T3_mT4_T5_T6_T7_T8_P12ihipStream_tbENKUlT_T0_E_clISt17integral_constantIbLb1EES11_EEDaSW_SX_EUlSW_E_NS1_11comp_targetILNS1_3genE3ELNS1_11target_archE908ELNS1_3gpuE7ELNS1_3repE0EEENS1_30default_config_static_selectorELNS0_4arch9wavefront6targetE0EEEvT1_,comdat
.Lfunc_end596:
	.size	_ZN7rocprim17ROCPRIM_400000_NS6detail17trampoline_kernelINS0_14default_configENS1_29reduce_by_key_config_selectorIiiN6thrust23THRUST_200600_302600_NS4plusIiEEEEZZNS1_33reduce_by_key_impl_wrapped_configILNS1_25lookback_scan_determinismE0ES3_S9_NS6_6detail15normal_iteratorINS6_10device_ptrIiEEEESG_SG_SG_PmS8_22is_equal_div_10_reduceIiEEE10hipError_tPvRmT2_T3_mT4_T5_T6_T7_T8_P12ihipStream_tbENKUlT_T0_E_clISt17integral_constantIbLb1EES11_EEDaSW_SX_EUlSW_E_NS1_11comp_targetILNS1_3genE3ELNS1_11target_archE908ELNS1_3gpuE7ELNS1_3repE0EEENS1_30default_config_static_selectorELNS0_4arch9wavefront6targetE0EEEvT1_, .Lfunc_end596-_ZN7rocprim17ROCPRIM_400000_NS6detail17trampoline_kernelINS0_14default_configENS1_29reduce_by_key_config_selectorIiiN6thrust23THRUST_200600_302600_NS4plusIiEEEEZZNS1_33reduce_by_key_impl_wrapped_configILNS1_25lookback_scan_determinismE0ES3_S9_NS6_6detail15normal_iteratorINS6_10device_ptrIiEEEESG_SG_SG_PmS8_22is_equal_div_10_reduceIiEEE10hipError_tPvRmT2_T3_mT4_T5_T6_T7_T8_P12ihipStream_tbENKUlT_T0_E_clISt17integral_constantIbLb1EES11_EEDaSW_SX_EUlSW_E_NS1_11comp_targetILNS1_3genE3ELNS1_11target_archE908ELNS1_3gpuE7ELNS1_3repE0EEENS1_30default_config_static_selectorELNS0_4arch9wavefront6targetE0EEEvT1_
                                        ; -- End function
	.section	.AMDGPU.csdata,"",@progbits
; Kernel info:
; codeLenInByte = 0
; NumSgprs: 0
; NumVgprs: 0
; ScratchSize: 0
; MemoryBound: 0
; FloatMode: 240
; IeeeMode: 1
; LDSByteSize: 0 bytes/workgroup (compile time only)
; SGPRBlocks: 0
; VGPRBlocks: 0
; NumSGPRsForWavesPerEU: 1
; NumVGPRsForWavesPerEU: 1
; Occupancy: 16
; WaveLimiterHint : 0
; COMPUTE_PGM_RSRC2:SCRATCH_EN: 0
; COMPUTE_PGM_RSRC2:USER_SGPR: 15
; COMPUTE_PGM_RSRC2:TRAP_HANDLER: 0
; COMPUTE_PGM_RSRC2:TGID_X_EN: 1
; COMPUTE_PGM_RSRC2:TGID_Y_EN: 0
; COMPUTE_PGM_RSRC2:TGID_Z_EN: 0
; COMPUTE_PGM_RSRC2:TIDIG_COMP_CNT: 0
	.section	.text._ZN7rocprim17ROCPRIM_400000_NS6detail17trampoline_kernelINS0_14default_configENS1_29reduce_by_key_config_selectorIiiN6thrust23THRUST_200600_302600_NS4plusIiEEEEZZNS1_33reduce_by_key_impl_wrapped_configILNS1_25lookback_scan_determinismE0ES3_S9_NS6_6detail15normal_iteratorINS6_10device_ptrIiEEEESG_SG_SG_PmS8_22is_equal_div_10_reduceIiEEE10hipError_tPvRmT2_T3_mT4_T5_T6_T7_T8_P12ihipStream_tbENKUlT_T0_E_clISt17integral_constantIbLb1EES11_EEDaSW_SX_EUlSW_E_NS1_11comp_targetILNS1_3genE2ELNS1_11target_archE906ELNS1_3gpuE6ELNS1_3repE0EEENS1_30default_config_static_selectorELNS0_4arch9wavefront6targetE0EEEvT1_,"axG",@progbits,_ZN7rocprim17ROCPRIM_400000_NS6detail17trampoline_kernelINS0_14default_configENS1_29reduce_by_key_config_selectorIiiN6thrust23THRUST_200600_302600_NS4plusIiEEEEZZNS1_33reduce_by_key_impl_wrapped_configILNS1_25lookback_scan_determinismE0ES3_S9_NS6_6detail15normal_iteratorINS6_10device_ptrIiEEEESG_SG_SG_PmS8_22is_equal_div_10_reduceIiEEE10hipError_tPvRmT2_T3_mT4_T5_T6_T7_T8_P12ihipStream_tbENKUlT_T0_E_clISt17integral_constantIbLb1EES11_EEDaSW_SX_EUlSW_E_NS1_11comp_targetILNS1_3genE2ELNS1_11target_archE906ELNS1_3gpuE6ELNS1_3repE0EEENS1_30default_config_static_selectorELNS0_4arch9wavefront6targetE0EEEvT1_,comdat
	.protected	_ZN7rocprim17ROCPRIM_400000_NS6detail17trampoline_kernelINS0_14default_configENS1_29reduce_by_key_config_selectorIiiN6thrust23THRUST_200600_302600_NS4plusIiEEEEZZNS1_33reduce_by_key_impl_wrapped_configILNS1_25lookback_scan_determinismE0ES3_S9_NS6_6detail15normal_iteratorINS6_10device_ptrIiEEEESG_SG_SG_PmS8_22is_equal_div_10_reduceIiEEE10hipError_tPvRmT2_T3_mT4_T5_T6_T7_T8_P12ihipStream_tbENKUlT_T0_E_clISt17integral_constantIbLb1EES11_EEDaSW_SX_EUlSW_E_NS1_11comp_targetILNS1_3genE2ELNS1_11target_archE906ELNS1_3gpuE6ELNS1_3repE0EEENS1_30default_config_static_selectorELNS0_4arch9wavefront6targetE0EEEvT1_ ; -- Begin function _ZN7rocprim17ROCPRIM_400000_NS6detail17trampoline_kernelINS0_14default_configENS1_29reduce_by_key_config_selectorIiiN6thrust23THRUST_200600_302600_NS4plusIiEEEEZZNS1_33reduce_by_key_impl_wrapped_configILNS1_25lookback_scan_determinismE0ES3_S9_NS6_6detail15normal_iteratorINS6_10device_ptrIiEEEESG_SG_SG_PmS8_22is_equal_div_10_reduceIiEEE10hipError_tPvRmT2_T3_mT4_T5_T6_T7_T8_P12ihipStream_tbENKUlT_T0_E_clISt17integral_constantIbLb1EES11_EEDaSW_SX_EUlSW_E_NS1_11comp_targetILNS1_3genE2ELNS1_11target_archE906ELNS1_3gpuE6ELNS1_3repE0EEENS1_30default_config_static_selectorELNS0_4arch9wavefront6targetE0EEEvT1_
	.globl	_ZN7rocprim17ROCPRIM_400000_NS6detail17trampoline_kernelINS0_14default_configENS1_29reduce_by_key_config_selectorIiiN6thrust23THRUST_200600_302600_NS4plusIiEEEEZZNS1_33reduce_by_key_impl_wrapped_configILNS1_25lookback_scan_determinismE0ES3_S9_NS6_6detail15normal_iteratorINS6_10device_ptrIiEEEESG_SG_SG_PmS8_22is_equal_div_10_reduceIiEEE10hipError_tPvRmT2_T3_mT4_T5_T6_T7_T8_P12ihipStream_tbENKUlT_T0_E_clISt17integral_constantIbLb1EES11_EEDaSW_SX_EUlSW_E_NS1_11comp_targetILNS1_3genE2ELNS1_11target_archE906ELNS1_3gpuE6ELNS1_3repE0EEENS1_30default_config_static_selectorELNS0_4arch9wavefront6targetE0EEEvT1_
	.p2align	8
	.type	_ZN7rocprim17ROCPRIM_400000_NS6detail17trampoline_kernelINS0_14default_configENS1_29reduce_by_key_config_selectorIiiN6thrust23THRUST_200600_302600_NS4plusIiEEEEZZNS1_33reduce_by_key_impl_wrapped_configILNS1_25lookback_scan_determinismE0ES3_S9_NS6_6detail15normal_iteratorINS6_10device_ptrIiEEEESG_SG_SG_PmS8_22is_equal_div_10_reduceIiEEE10hipError_tPvRmT2_T3_mT4_T5_T6_T7_T8_P12ihipStream_tbENKUlT_T0_E_clISt17integral_constantIbLb1EES11_EEDaSW_SX_EUlSW_E_NS1_11comp_targetILNS1_3genE2ELNS1_11target_archE906ELNS1_3gpuE6ELNS1_3repE0EEENS1_30default_config_static_selectorELNS0_4arch9wavefront6targetE0EEEvT1_,@function
_ZN7rocprim17ROCPRIM_400000_NS6detail17trampoline_kernelINS0_14default_configENS1_29reduce_by_key_config_selectorIiiN6thrust23THRUST_200600_302600_NS4plusIiEEEEZZNS1_33reduce_by_key_impl_wrapped_configILNS1_25lookback_scan_determinismE0ES3_S9_NS6_6detail15normal_iteratorINS6_10device_ptrIiEEEESG_SG_SG_PmS8_22is_equal_div_10_reduceIiEEE10hipError_tPvRmT2_T3_mT4_T5_T6_T7_T8_P12ihipStream_tbENKUlT_T0_E_clISt17integral_constantIbLb1EES11_EEDaSW_SX_EUlSW_E_NS1_11comp_targetILNS1_3genE2ELNS1_11target_archE906ELNS1_3gpuE6ELNS1_3repE0EEENS1_30default_config_static_selectorELNS0_4arch9wavefront6targetE0EEEvT1_: ; @_ZN7rocprim17ROCPRIM_400000_NS6detail17trampoline_kernelINS0_14default_configENS1_29reduce_by_key_config_selectorIiiN6thrust23THRUST_200600_302600_NS4plusIiEEEEZZNS1_33reduce_by_key_impl_wrapped_configILNS1_25lookback_scan_determinismE0ES3_S9_NS6_6detail15normal_iteratorINS6_10device_ptrIiEEEESG_SG_SG_PmS8_22is_equal_div_10_reduceIiEEE10hipError_tPvRmT2_T3_mT4_T5_T6_T7_T8_P12ihipStream_tbENKUlT_T0_E_clISt17integral_constantIbLb1EES11_EEDaSW_SX_EUlSW_E_NS1_11comp_targetILNS1_3genE2ELNS1_11target_archE906ELNS1_3gpuE6ELNS1_3repE0EEENS1_30default_config_static_selectorELNS0_4arch9wavefront6targetE0EEEvT1_
; %bb.0:
	.section	.rodata,"a",@progbits
	.p2align	6, 0x0
	.amdhsa_kernel _ZN7rocprim17ROCPRIM_400000_NS6detail17trampoline_kernelINS0_14default_configENS1_29reduce_by_key_config_selectorIiiN6thrust23THRUST_200600_302600_NS4plusIiEEEEZZNS1_33reduce_by_key_impl_wrapped_configILNS1_25lookback_scan_determinismE0ES3_S9_NS6_6detail15normal_iteratorINS6_10device_ptrIiEEEESG_SG_SG_PmS8_22is_equal_div_10_reduceIiEEE10hipError_tPvRmT2_T3_mT4_T5_T6_T7_T8_P12ihipStream_tbENKUlT_T0_E_clISt17integral_constantIbLb1EES11_EEDaSW_SX_EUlSW_E_NS1_11comp_targetILNS1_3genE2ELNS1_11target_archE906ELNS1_3gpuE6ELNS1_3repE0EEENS1_30default_config_static_selectorELNS0_4arch9wavefront6targetE0EEEvT1_
		.amdhsa_group_segment_fixed_size 0
		.amdhsa_private_segment_fixed_size 0
		.amdhsa_kernarg_size 120
		.amdhsa_user_sgpr_count 15
		.amdhsa_user_sgpr_dispatch_ptr 0
		.amdhsa_user_sgpr_queue_ptr 0
		.amdhsa_user_sgpr_kernarg_segment_ptr 1
		.amdhsa_user_sgpr_dispatch_id 0
		.amdhsa_user_sgpr_private_segment_size 0
		.amdhsa_wavefront_size32 1
		.amdhsa_uses_dynamic_stack 0
		.amdhsa_enable_private_segment 0
		.amdhsa_system_sgpr_workgroup_id_x 1
		.amdhsa_system_sgpr_workgroup_id_y 0
		.amdhsa_system_sgpr_workgroup_id_z 0
		.amdhsa_system_sgpr_workgroup_info 0
		.amdhsa_system_vgpr_workitem_id 0
		.amdhsa_next_free_vgpr 1
		.amdhsa_next_free_sgpr 1
		.amdhsa_reserve_vcc 0
		.amdhsa_float_round_mode_32 0
		.amdhsa_float_round_mode_16_64 0
		.amdhsa_float_denorm_mode_32 3
		.amdhsa_float_denorm_mode_16_64 3
		.amdhsa_dx10_clamp 1
		.amdhsa_ieee_mode 1
		.amdhsa_fp16_overflow 0
		.amdhsa_workgroup_processor_mode 1
		.amdhsa_memory_ordered 1
		.amdhsa_forward_progress 0
		.amdhsa_shared_vgpr_count 0
		.amdhsa_exception_fp_ieee_invalid_op 0
		.amdhsa_exception_fp_denorm_src 0
		.amdhsa_exception_fp_ieee_div_zero 0
		.amdhsa_exception_fp_ieee_overflow 0
		.amdhsa_exception_fp_ieee_underflow 0
		.amdhsa_exception_fp_ieee_inexact 0
		.amdhsa_exception_int_div_zero 0
	.end_amdhsa_kernel
	.section	.text._ZN7rocprim17ROCPRIM_400000_NS6detail17trampoline_kernelINS0_14default_configENS1_29reduce_by_key_config_selectorIiiN6thrust23THRUST_200600_302600_NS4plusIiEEEEZZNS1_33reduce_by_key_impl_wrapped_configILNS1_25lookback_scan_determinismE0ES3_S9_NS6_6detail15normal_iteratorINS6_10device_ptrIiEEEESG_SG_SG_PmS8_22is_equal_div_10_reduceIiEEE10hipError_tPvRmT2_T3_mT4_T5_T6_T7_T8_P12ihipStream_tbENKUlT_T0_E_clISt17integral_constantIbLb1EES11_EEDaSW_SX_EUlSW_E_NS1_11comp_targetILNS1_3genE2ELNS1_11target_archE906ELNS1_3gpuE6ELNS1_3repE0EEENS1_30default_config_static_selectorELNS0_4arch9wavefront6targetE0EEEvT1_,"axG",@progbits,_ZN7rocprim17ROCPRIM_400000_NS6detail17trampoline_kernelINS0_14default_configENS1_29reduce_by_key_config_selectorIiiN6thrust23THRUST_200600_302600_NS4plusIiEEEEZZNS1_33reduce_by_key_impl_wrapped_configILNS1_25lookback_scan_determinismE0ES3_S9_NS6_6detail15normal_iteratorINS6_10device_ptrIiEEEESG_SG_SG_PmS8_22is_equal_div_10_reduceIiEEE10hipError_tPvRmT2_T3_mT4_T5_T6_T7_T8_P12ihipStream_tbENKUlT_T0_E_clISt17integral_constantIbLb1EES11_EEDaSW_SX_EUlSW_E_NS1_11comp_targetILNS1_3genE2ELNS1_11target_archE906ELNS1_3gpuE6ELNS1_3repE0EEENS1_30default_config_static_selectorELNS0_4arch9wavefront6targetE0EEEvT1_,comdat
.Lfunc_end597:
	.size	_ZN7rocprim17ROCPRIM_400000_NS6detail17trampoline_kernelINS0_14default_configENS1_29reduce_by_key_config_selectorIiiN6thrust23THRUST_200600_302600_NS4plusIiEEEEZZNS1_33reduce_by_key_impl_wrapped_configILNS1_25lookback_scan_determinismE0ES3_S9_NS6_6detail15normal_iteratorINS6_10device_ptrIiEEEESG_SG_SG_PmS8_22is_equal_div_10_reduceIiEEE10hipError_tPvRmT2_T3_mT4_T5_T6_T7_T8_P12ihipStream_tbENKUlT_T0_E_clISt17integral_constantIbLb1EES11_EEDaSW_SX_EUlSW_E_NS1_11comp_targetILNS1_3genE2ELNS1_11target_archE906ELNS1_3gpuE6ELNS1_3repE0EEENS1_30default_config_static_selectorELNS0_4arch9wavefront6targetE0EEEvT1_, .Lfunc_end597-_ZN7rocprim17ROCPRIM_400000_NS6detail17trampoline_kernelINS0_14default_configENS1_29reduce_by_key_config_selectorIiiN6thrust23THRUST_200600_302600_NS4plusIiEEEEZZNS1_33reduce_by_key_impl_wrapped_configILNS1_25lookback_scan_determinismE0ES3_S9_NS6_6detail15normal_iteratorINS6_10device_ptrIiEEEESG_SG_SG_PmS8_22is_equal_div_10_reduceIiEEE10hipError_tPvRmT2_T3_mT4_T5_T6_T7_T8_P12ihipStream_tbENKUlT_T0_E_clISt17integral_constantIbLb1EES11_EEDaSW_SX_EUlSW_E_NS1_11comp_targetILNS1_3genE2ELNS1_11target_archE906ELNS1_3gpuE6ELNS1_3repE0EEENS1_30default_config_static_selectorELNS0_4arch9wavefront6targetE0EEEvT1_
                                        ; -- End function
	.section	.AMDGPU.csdata,"",@progbits
; Kernel info:
; codeLenInByte = 0
; NumSgprs: 0
; NumVgprs: 0
; ScratchSize: 0
; MemoryBound: 0
; FloatMode: 240
; IeeeMode: 1
; LDSByteSize: 0 bytes/workgroup (compile time only)
; SGPRBlocks: 0
; VGPRBlocks: 0
; NumSGPRsForWavesPerEU: 1
; NumVGPRsForWavesPerEU: 1
; Occupancy: 16
; WaveLimiterHint : 0
; COMPUTE_PGM_RSRC2:SCRATCH_EN: 0
; COMPUTE_PGM_RSRC2:USER_SGPR: 15
; COMPUTE_PGM_RSRC2:TRAP_HANDLER: 0
; COMPUTE_PGM_RSRC2:TGID_X_EN: 1
; COMPUTE_PGM_RSRC2:TGID_Y_EN: 0
; COMPUTE_PGM_RSRC2:TGID_Z_EN: 0
; COMPUTE_PGM_RSRC2:TIDIG_COMP_CNT: 0
	.section	.text._ZN7rocprim17ROCPRIM_400000_NS6detail17trampoline_kernelINS0_14default_configENS1_29reduce_by_key_config_selectorIiiN6thrust23THRUST_200600_302600_NS4plusIiEEEEZZNS1_33reduce_by_key_impl_wrapped_configILNS1_25lookback_scan_determinismE0ES3_S9_NS6_6detail15normal_iteratorINS6_10device_ptrIiEEEESG_SG_SG_PmS8_22is_equal_div_10_reduceIiEEE10hipError_tPvRmT2_T3_mT4_T5_T6_T7_T8_P12ihipStream_tbENKUlT_T0_E_clISt17integral_constantIbLb1EES11_EEDaSW_SX_EUlSW_E_NS1_11comp_targetILNS1_3genE10ELNS1_11target_archE1201ELNS1_3gpuE5ELNS1_3repE0EEENS1_30default_config_static_selectorELNS0_4arch9wavefront6targetE0EEEvT1_,"axG",@progbits,_ZN7rocprim17ROCPRIM_400000_NS6detail17trampoline_kernelINS0_14default_configENS1_29reduce_by_key_config_selectorIiiN6thrust23THRUST_200600_302600_NS4plusIiEEEEZZNS1_33reduce_by_key_impl_wrapped_configILNS1_25lookback_scan_determinismE0ES3_S9_NS6_6detail15normal_iteratorINS6_10device_ptrIiEEEESG_SG_SG_PmS8_22is_equal_div_10_reduceIiEEE10hipError_tPvRmT2_T3_mT4_T5_T6_T7_T8_P12ihipStream_tbENKUlT_T0_E_clISt17integral_constantIbLb1EES11_EEDaSW_SX_EUlSW_E_NS1_11comp_targetILNS1_3genE10ELNS1_11target_archE1201ELNS1_3gpuE5ELNS1_3repE0EEENS1_30default_config_static_selectorELNS0_4arch9wavefront6targetE0EEEvT1_,comdat
	.protected	_ZN7rocprim17ROCPRIM_400000_NS6detail17trampoline_kernelINS0_14default_configENS1_29reduce_by_key_config_selectorIiiN6thrust23THRUST_200600_302600_NS4plusIiEEEEZZNS1_33reduce_by_key_impl_wrapped_configILNS1_25lookback_scan_determinismE0ES3_S9_NS6_6detail15normal_iteratorINS6_10device_ptrIiEEEESG_SG_SG_PmS8_22is_equal_div_10_reduceIiEEE10hipError_tPvRmT2_T3_mT4_T5_T6_T7_T8_P12ihipStream_tbENKUlT_T0_E_clISt17integral_constantIbLb1EES11_EEDaSW_SX_EUlSW_E_NS1_11comp_targetILNS1_3genE10ELNS1_11target_archE1201ELNS1_3gpuE5ELNS1_3repE0EEENS1_30default_config_static_selectorELNS0_4arch9wavefront6targetE0EEEvT1_ ; -- Begin function _ZN7rocprim17ROCPRIM_400000_NS6detail17trampoline_kernelINS0_14default_configENS1_29reduce_by_key_config_selectorIiiN6thrust23THRUST_200600_302600_NS4plusIiEEEEZZNS1_33reduce_by_key_impl_wrapped_configILNS1_25lookback_scan_determinismE0ES3_S9_NS6_6detail15normal_iteratorINS6_10device_ptrIiEEEESG_SG_SG_PmS8_22is_equal_div_10_reduceIiEEE10hipError_tPvRmT2_T3_mT4_T5_T6_T7_T8_P12ihipStream_tbENKUlT_T0_E_clISt17integral_constantIbLb1EES11_EEDaSW_SX_EUlSW_E_NS1_11comp_targetILNS1_3genE10ELNS1_11target_archE1201ELNS1_3gpuE5ELNS1_3repE0EEENS1_30default_config_static_selectorELNS0_4arch9wavefront6targetE0EEEvT1_
	.globl	_ZN7rocprim17ROCPRIM_400000_NS6detail17trampoline_kernelINS0_14default_configENS1_29reduce_by_key_config_selectorIiiN6thrust23THRUST_200600_302600_NS4plusIiEEEEZZNS1_33reduce_by_key_impl_wrapped_configILNS1_25lookback_scan_determinismE0ES3_S9_NS6_6detail15normal_iteratorINS6_10device_ptrIiEEEESG_SG_SG_PmS8_22is_equal_div_10_reduceIiEEE10hipError_tPvRmT2_T3_mT4_T5_T6_T7_T8_P12ihipStream_tbENKUlT_T0_E_clISt17integral_constantIbLb1EES11_EEDaSW_SX_EUlSW_E_NS1_11comp_targetILNS1_3genE10ELNS1_11target_archE1201ELNS1_3gpuE5ELNS1_3repE0EEENS1_30default_config_static_selectorELNS0_4arch9wavefront6targetE0EEEvT1_
	.p2align	8
	.type	_ZN7rocprim17ROCPRIM_400000_NS6detail17trampoline_kernelINS0_14default_configENS1_29reduce_by_key_config_selectorIiiN6thrust23THRUST_200600_302600_NS4plusIiEEEEZZNS1_33reduce_by_key_impl_wrapped_configILNS1_25lookback_scan_determinismE0ES3_S9_NS6_6detail15normal_iteratorINS6_10device_ptrIiEEEESG_SG_SG_PmS8_22is_equal_div_10_reduceIiEEE10hipError_tPvRmT2_T3_mT4_T5_T6_T7_T8_P12ihipStream_tbENKUlT_T0_E_clISt17integral_constantIbLb1EES11_EEDaSW_SX_EUlSW_E_NS1_11comp_targetILNS1_3genE10ELNS1_11target_archE1201ELNS1_3gpuE5ELNS1_3repE0EEENS1_30default_config_static_selectorELNS0_4arch9wavefront6targetE0EEEvT1_,@function
_ZN7rocprim17ROCPRIM_400000_NS6detail17trampoline_kernelINS0_14default_configENS1_29reduce_by_key_config_selectorIiiN6thrust23THRUST_200600_302600_NS4plusIiEEEEZZNS1_33reduce_by_key_impl_wrapped_configILNS1_25lookback_scan_determinismE0ES3_S9_NS6_6detail15normal_iteratorINS6_10device_ptrIiEEEESG_SG_SG_PmS8_22is_equal_div_10_reduceIiEEE10hipError_tPvRmT2_T3_mT4_T5_T6_T7_T8_P12ihipStream_tbENKUlT_T0_E_clISt17integral_constantIbLb1EES11_EEDaSW_SX_EUlSW_E_NS1_11comp_targetILNS1_3genE10ELNS1_11target_archE1201ELNS1_3gpuE5ELNS1_3repE0EEENS1_30default_config_static_selectorELNS0_4arch9wavefront6targetE0EEEvT1_: ; @_ZN7rocprim17ROCPRIM_400000_NS6detail17trampoline_kernelINS0_14default_configENS1_29reduce_by_key_config_selectorIiiN6thrust23THRUST_200600_302600_NS4plusIiEEEEZZNS1_33reduce_by_key_impl_wrapped_configILNS1_25lookback_scan_determinismE0ES3_S9_NS6_6detail15normal_iteratorINS6_10device_ptrIiEEEESG_SG_SG_PmS8_22is_equal_div_10_reduceIiEEE10hipError_tPvRmT2_T3_mT4_T5_T6_T7_T8_P12ihipStream_tbENKUlT_T0_E_clISt17integral_constantIbLb1EES11_EEDaSW_SX_EUlSW_E_NS1_11comp_targetILNS1_3genE10ELNS1_11target_archE1201ELNS1_3gpuE5ELNS1_3repE0EEENS1_30default_config_static_selectorELNS0_4arch9wavefront6targetE0EEEvT1_
; %bb.0:
	.section	.rodata,"a",@progbits
	.p2align	6, 0x0
	.amdhsa_kernel _ZN7rocprim17ROCPRIM_400000_NS6detail17trampoline_kernelINS0_14default_configENS1_29reduce_by_key_config_selectorIiiN6thrust23THRUST_200600_302600_NS4plusIiEEEEZZNS1_33reduce_by_key_impl_wrapped_configILNS1_25lookback_scan_determinismE0ES3_S9_NS6_6detail15normal_iteratorINS6_10device_ptrIiEEEESG_SG_SG_PmS8_22is_equal_div_10_reduceIiEEE10hipError_tPvRmT2_T3_mT4_T5_T6_T7_T8_P12ihipStream_tbENKUlT_T0_E_clISt17integral_constantIbLb1EES11_EEDaSW_SX_EUlSW_E_NS1_11comp_targetILNS1_3genE10ELNS1_11target_archE1201ELNS1_3gpuE5ELNS1_3repE0EEENS1_30default_config_static_selectorELNS0_4arch9wavefront6targetE0EEEvT1_
		.amdhsa_group_segment_fixed_size 0
		.amdhsa_private_segment_fixed_size 0
		.amdhsa_kernarg_size 120
		.amdhsa_user_sgpr_count 15
		.amdhsa_user_sgpr_dispatch_ptr 0
		.amdhsa_user_sgpr_queue_ptr 0
		.amdhsa_user_sgpr_kernarg_segment_ptr 1
		.amdhsa_user_sgpr_dispatch_id 0
		.amdhsa_user_sgpr_private_segment_size 0
		.amdhsa_wavefront_size32 1
		.amdhsa_uses_dynamic_stack 0
		.amdhsa_enable_private_segment 0
		.amdhsa_system_sgpr_workgroup_id_x 1
		.amdhsa_system_sgpr_workgroup_id_y 0
		.amdhsa_system_sgpr_workgroup_id_z 0
		.amdhsa_system_sgpr_workgroup_info 0
		.amdhsa_system_vgpr_workitem_id 0
		.amdhsa_next_free_vgpr 1
		.amdhsa_next_free_sgpr 1
		.amdhsa_reserve_vcc 0
		.amdhsa_float_round_mode_32 0
		.amdhsa_float_round_mode_16_64 0
		.amdhsa_float_denorm_mode_32 3
		.amdhsa_float_denorm_mode_16_64 3
		.amdhsa_dx10_clamp 1
		.amdhsa_ieee_mode 1
		.amdhsa_fp16_overflow 0
		.amdhsa_workgroup_processor_mode 1
		.amdhsa_memory_ordered 1
		.amdhsa_forward_progress 0
		.amdhsa_shared_vgpr_count 0
		.amdhsa_exception_fp_ieee_invalid_op 0
		.amdhsa_exception_fp_denorm_src 0
		.amdhsa_exception_fp_ieee_div_zero 0
		.amdhsa_exception_fp_ieee_overflow 0
		.amdhsa_exception_fp_ieee_underflow 0
		.amdhsa_exception_fp_ieee_inexact 0
		.amdhsa_exception_int_div_zero 0
	.end_amdhsa_kernel
	.section	.text._ZN7rocprim17ROCPRIM_400000_NS6detail17trampoline_kernelINS0_14default_configENS1_29reduce_by_key_config_selectorIiiN6thrust23THRUST_200600_302600_NS4plusIiEEEEZZNS1_33reduce_by_key_impl_wrapped_configILNS1_25lookback_scan_determinismE0ES3_S9_NS6_6detail15normal_iteratorINS6_10device_ptrIiEEEESG_SG_SG_PmS8_22is_equal_div_10_reduceIiEEE10hipError_tPvRmT2_T3_mT4_T5_T6_T7_T8_P12ihipStream_tbENKUlT_T0_E_clISt17integral_constantIbLb1EES11_EEDaSW_SX_EUlSW_E_NS1_11comp_targetILNS1_3genE10ELNS1_11target_archE1201ELNS1_3gpuE5ELNS1_3repE0EEENS1_30default_config_static_selectorELNS0_4arch9wavefront6targetE0EEEvT1_,"axG",@progbits,_ZN7rocprim17ROCPRIM_400000_NS6detail17trampoline_kernelINS0_14default_configENS1_29reduce_by_key_config_selectorIiiN6thrust23THRUST_200600_302600_NS4plusIiEEEEZZNS1_33reduce_by_key_impl_wrapped_configILNS1_25lookback_scan_determinismE0ES3_S9_NS6_6detail15normal_iteratorINS6_10device_ptrIiEEEESG_SG_SG_PmS8_22is_equal_div_10_reduceIiEEE10hipError_tPvRmT2_T3_mT4_T5_T6_T7_T8_P12ihipStream_tbENKUlT_T0_E_clISt17integral_constantIbLb1EES11_EEDaSW_SX_EUlSW_E_NS1_11comp_targetILNS1_3genE10ELNS1_11target_archE1201ELNS1_3gpuE5ELNS1_3repE0EEENS1_30default_config_static_selectorELNS0_4arch9wavefront6targetE0EEEvT1_,comdat
.Lfunc_end598:
	.size	_ZN7rocprim17ROCPRIM_400000_NS6detail17trampoline_kernelINS0_14default_configENS1_29reduce_by_key_config_selectorIiiN6thrust23THRUST_200600_302600_NS4plusIiEEEEZZNS1_33reduce_by_key_impl_wrapped_configILNS1_25lookback_scan_determinismE0ES3_S9_NS6_6detail15normal_iteratorINS6_10device_ptrIiEEEESG_SG_SG_PmS8_22is_equal_div_10_reduceIiEEE10hipError_tPvRmT2_T3_mT4_T5_T6_T7_T8_P12ihipStream_tbENKUlT_T0_E_clISt17integral_constantIbLb1EES11_EEDaSW_SX_EUlSW_E_NS1_11comp_targetILNS1_3genE10ELNS1_11target_archE1201ELNS1_3gpuE5ELNS1_3repE0EEENS1_30default_config_static_selectorELNS0_4arch9wavefront6targetE0EEEvT1_, .Lfunc_end598-_ZN7rocprim17ROCPRIM_400000_NS6detail17trampoline_kernelINS0_14default_configENS1_29reduce_by_key_config_selectorIiiN6thrust23THRUST_200600_302600_NS4plusIiEEEEZZNS1_33reduce_by_key_impl_wrapped_configILNS1_25lookback_scan_determinismE0ES3_S9_NS6_6detail15normal_iteratorINS6_10device_ptrIiEEEESG_SG_SG_PmS8_22is_equal_div_10_reduceIiEEE10hipError_tPvRmT2_T3_mT4_T5_T6_T7_T8_P12ihipStream_tbENKUlT_T0_E_clISt17integral_constantIbLb1EES11_EEDaSW_SX_EUlSW_E_NS1_11comp_targetILNS1_3genE10ELNS1_11target_archE1201ELNS1_3gpuE5ELNS1_3repE0EEENS1_30default_config_static_selectorELNS0_4arch9wavefront6targetE0EEEvT1_
                                        ; -- End function
	.section	.AMDGPU.csdata,"",@progbits
; Kernel info:
; codeLenInByte = 0
; NumSgprs: 0
; NumVgprs: 0
; ScratchSize: 0
; MemoryBound: 0
; FloatMode: 240
; IeeeMode: 1
; LDSByteSize: 0 bytes/workgroup (compile time only)
; SGPRBlocks: 0
; VGPRBlocks: 0
; NumSGPRsForWavesPerEU: 1
; NumVGPRsForWavesPerEU: 1
; Occupancy: 16
; WaveLimiterHint : 0
; COMPUTE_PGM_RSRC2:SCRATCH_EN: 0
; COMPUTE_PGM_RSRC2:USER_SGPR: 15
; COMPUTE_PGM_RSRC2:TRAP_HANDLER: 0
; COMPUTE_PGM_RSRC2:TGID_X_EN: 1
; COMPUTE_PGM_RSRC2:TGID_Y_EN: 0
; COMPUTE_PGM_RSRC2:TGID_Z_EN: 0
; COMPUTE_PGM_RSRC2:TIDIG_COMP_CNT: 0
	.section	.text._ZN7rocprim17ROCPRIM_400000_NS6detail17trampoline_kernelINS0_14default_configENS1_29reduce_by_key_config_selectorIiiN6thrust23THRUST_200600_302600_NS4plusIiEEEEZZNS1_33reduce_by_key_impl_wrapped_configILNS1_25lookback_scan_determinismE0ES3_S9_NS6_6detail15normal_iteratorINS6_10device_ptrIiEEEESG_SG_SG_PmS8_22is_equal_div_10_reduceIiEEE10hipError_tPvRmT2_T3_mT4_T5_T6_T7_T8_P12ihipStream_tbENKUlT_T0_E_clISt17integral_constantIbLb1EES11_EEDaSW_SX_EUlSW_E_NS1_11comp_targetILNS1_3genE10ELNS1_11target_archE1200ELNS1_3gpuE4ELNS1_3repE0EEENS1_30default_config_static_selectorELNS0_4arch9wavefront6targetE0EEEvT1_,"axG",@progbits,_ZN7rocprim17ROCPRIM_400000_NS6detail17trampoline_kernelINS0_14default_configENS1_29reduce_by_key_config_selectorIiiN6thrust23THRUST_200600_302600_NS4plusIiEEEEZZNS1_33reduce_by_key_impl_wrapped_configILNS1_25lookback_scan_determinismE0ES3_S9_NS6_6detail15normal_iteratorINS6_10device_ptrIiEEEESG_SG_SG_PmS8_22is_equal_div_10_reduceIiEEE10hipError_tPvRmT2_T3_mT4_T5_T6_T7_T8_P12ihipStream_tbENKUlT_T0_E_clISt17integral_constantIbLb1EES11_EEDaSW_SX_EUlSW_E_NS1_11comp_targetILNS1_3genE10ELNS1_11target_archE1200ELNS1_3gpuE4ELNS1_3repE0EEENS1_30default_config_static_selectorELNS0_4arch9wavefront6targetE0EEEvT1_,comdat
	.protected	_ZN7rocprim17ROCPRIM_400000_NS6detail17trampoline_kernelINS0_14default_configENS1_29reduce_by_key_config_selectorIiiN6thrust23THRUST_200600_302600_NS4plusIiEEEEZZNS1_33reduce_by_key_impl_wrapped_configILNS1_25lookback_scan_determinismE0ES3_S9_NS6_6detail15normal_iteratorINS6_10device_ptrIiEEEESG_SG_SG_PmS8_22is_equal_div_10_reduceIiEEE10hipError_tPvRmT2_T3_mT4_T5_T6_T7_T8_P12ihipStream_tbENKUlT_T0_E_clISt17integral_constantIbLb1EES11_EEDaSW_SX_EUlSW_E_NS1_11comp_targetILNS1_3genE10ELNS1_11target_archE1200ELNS1_3gpuE4ELNS1_3repE0EEENS1_30default_config_static_selectorELNS0_4arch9wavefront6targetE0EEEvT1_ ; -- Begin function _ZN7rocprim17ROCPRIM_400000_NS6detail17trampoline_kernelINS0_14default_configENS1_29reduce_by_key_config_selectorIiiN6thrust23THRUST_200600_302600_NS4plusIiEEEEZZNS1_33reduce_by_key_impl_wrapped_configILNS1_25lookback_scan_determinismE0ES3_S9_NS6_6detail15normal_iteratorINS6_10device_ptrIiEEEESG_SG_SG_PmS8_22is_equal_div_10_reduceIiEEE10hipError_tPvRmT2_T3_mT4_T5_T6_T7_T8_P12ihipStream_tbENKUlT_T0_E_clISt17integral_constantIbLb1EES11_EEDaSW_SX_EUlSW_E_NS1_11comp_targetILNS1_3genE10ELNS1_11target_archE1200ELNS1_3gpuE4ELNS1_3repE0EEENS1_30default_config_static_selectorELNS0_4arch9wavefront6targetE0EEEvT1_
	.globl	_ZN7rocprim17ROCPRIM_400000_NS6detail17trampoline_kernelINS0_14default_configENS1_29reduce_by_key_config_selectorIiiN6thrust23THRUST_200600_302600_NS4plusIiEEEEZZNS1_33reduce_by_key_impl_wrapped_configILNS1_25lookback_scan_determinismE0ES3_S9_NS6_6detail15normal_iteratorINS6_10device_ptrIiEEEESG_SG_SG_PmS8_22is_equal_div_10_reduceIiEEE10hipError_tPvRmT2_T3_mT4_T5_T6_T7_T8_P12ihipStream_tbENKUlT_T0_E_clISt17integral_constantIbLb1EES11_EEDaSW_SX_EUlSW_E_NS1_11comp_targetILNS1_3genE10ELNS1_11target_archE1200ELNS1_3gpuE4ELNS1_3repE0EEENS1_30default_config_static_selectorELNS0_4arch9wavefront6targetE0EEEvT1_
	.p2align	8
	.type	_ZN7rocprim17ROCPRIM_400000_NS6detail17trampoline_kernelINS0_14default_configENS1_29reduce_by_key_config_selectorIiiN6thrust23THRUST_200600_302600_NS4plusIiEEEEZZNS1_33reduce_by_key_impl_wrapped_configILNS1_25lookback_scan_determinismE0ES3_S9_NS6_6detail15normal_iteratorINS6_10device_ptrIiEEEESG_SG_SG_PmS8_22is_equal_div_10_reduceIiEEE10hipError_tPvRmT2_T3_mT4_T5_T6_T7_T8_P12ihipStream_tbENKUlT_T0_E_clISt17integral_constantIbLb1EES11_EEDaSW_SX_EUlSW_E_NS1_11comp_targetILNS1_3genE10ELNS1_11target_archE1200ELNS1_3gpuE4ELNS1_3repE0EEENS1_30default_config_static_selectorELNS0_4arch9wavefront6targetE0EEEvT1_,@function
_ZN7rocprim17ROCPRIM_400000_NS6detail17trampoline_kernelINS0_14default_configENS1_29reduce_by_key_config_selectorIiiN6thrust23THRUST_200600_302600_NS4plusIiEEEEZZNS1_33reduce_by_key_impl_wrapped_configILNS1_25lookback_scan_determinismE0ES3_S9_NS6_6detail15normal_iteratorINS6_10device_ptrIiEEEESG_SG_SG_PmS8_22is_equal_div_10_reduceIiEEE10hipError_tPvRmT2_T3_mT4_T5_T6_T7_T8_P12ihipStream_tbENKUlT_T0_E_clISt17integral_constantIbLb1EES11_EEDaSW_SX_EUlSW_E_NS1_11comp_targetILNS1_3genE10ELNS1_11target_archE1200ELNS1_3gpuE4ELNS1_3repE0EEENS1_30default_config_static_selectorELNS0_4arch9wavefront6targetE0EEEvT1_: ; @_ZN7rocprim17ROCPRIM_400000_NS6detail17trampoline_kernelINS0_14default_configENS1_29reduce_by_key_config_selectorIiiN6thrust23THRUST_200600_302600_NS4plusIiEEEEZZNS1_33reduce_by_key_impl_wrapped_configILNS1_25lookback_scan_determinismE0ES3_S9_NS6_6detail15normal_iteratorINS6_10device_ptrIiEEEESG_SG_SG_PmS8_22is_equal_div_10_reduceIiEEE10hipError_tPvRmT2_T3_mT4_T5_T6_T7_T8_P12ihipStream_tbENKUlT_T0_E_clISt17integral_constantIbLb1EES11_EEDaSW_SX_EUlSW_E_NS1_11comp_targetILNS1_3genE10ELNS1_11target_archE1200ELNS1_3gpuE4ELNS1_3repE0EEENS1_30default_config_static_selectorELNS0_4arch9wavefront6targetE0EEEvT1_
; %bb.0:
	.section	.rodata,"a",@progbits
	.p2align	6, 0x0
	.amdhsa_kernel _ZN7rocprim17ROCPRIM_400000_NS6detail17trampoline_kernelINS0_14default_configENS1_29reduce_by_key_config_selectorIiiN6thrust23THRUST_200600_302600_NS4plusIiEEEEZZNS1_33reduce_by_key_impl_wrapped_configILNS1_25lookback_scan_determinismE0ES3_S9_NS6_6detail15normal_iteratorINS6_10device_ptrIiEEEESG_SG_SG_PmS8_22is_equal_div_10_reduceIiEEE10hipError_tPvRmT2_T3_mT4_T5_T6_T7_T8_P12ihipStream_tbENKUlT_T0_E_clISt17integral_constantIbLb1EES11_EEDaSW_SX_EUlSW_E_NS1_11comp_targetILNS1_3genE10ELNS1_11target_archE1200ELNS1_3gpuE4ELNS1_3repE0EEENS1_30default_config_static_selectorELNS0_4arch9wavefront6targetE0EEEvT1_
		.amdhsa_group_segment_fixed_size 0
		.amdhsa_private_segment_fixed_size 0
		.amdhsa_kernarg_size 120
		.amdhsa_user_sgpr_count 15
		.amdhsa_user_sgpr_dispatch_ptr 0
		.amdhsa_user_sgpr_queue_ptr 0
		.amdhsa_user_sgpr_kernarg_segment_ptr 1
		.amdhsa_user_sgpr_dispatch_id 0
		.amdhsa_user_sgpr_private_segment_size 0
		.amdhsa_wavefront_size32 1
		.amdhsa_uses_dynamic_stack 0
		.amdhsa_enable_private_segment 0
		.amdhsa_system_sgpr_workgroup_id_x 1
		.amdhsa_system_sgpr_workgroup_id_y 0
		.amdhsa_system_sgpr_workgroup_id_z 0
		.amdhsa_system_sgpr_workgroup_info 0
		.amdhsa_system_vgpr_workitem_id 0
		.amdhsa_next_free_vgpr 1
		.amdhsa_next_free_sgpr 1
		.amdhsa_reserve_vcc 0
		.amdhsa_float_round_mode_32 0
		.amdhsa_float_round_mode_16_64 0
		.amdhsa_float_denorm_mode_32 3
		.amdhsa_float_denorm_mode_16_64 3
		.amdhsa_dx10_clamp 1
		.amdhsa_ieee_mode 1
		.amdhsa_fp16_overflow 0
		.amdhsa_workgroup_processor_mode 1
		.amdhsa_memory_ordered 1
		.amdhsa_forward_progress 0
		.amdhsa_shared_vgpr_count 0
		.amdhsa_exception_fp_ieee_invalid_op 0
		.amdhsa_exception_fp_denorm_src 0
		.amdhsa_exception_fp_ieee_div_zero 0
		.amdhsa_exception_fp_ieee_overflow 0
		.amdhsa_exception_fp_ieee_underflow 0
		.amdhsa_exception_fp_ieee_inexact 0
		.amdhsa_exception_int_div_zero 0
	.end_amdhsa_kernel
	.section	.text._ZN7rocprim17ROCPRIM_400000_NS6detail17trampoline_kernelINS0_14default_configENS1_29reduce_by_key_config_selectorIiiN6thrust23THRUST_200600_302600_NS4plusIiEEEEZZNS1_33reduce_by_key_impl_wrapped_configILNS1_25lookback_scan_determinismE0ES3_S9_NS6_6detail15normal_iteratorINS6_10device_ptrIiEEEESG_SG_SG_PmS8_22is_equal_div_10_reduceIiEEE10hipError_tPvRmT2_T3_mT4_T5_T6_T7_T8_P12ihipStream_tbENKUlT_T0_E_clISt17integral_constantIbLb1EES11_EEDaSW_SX_EUlSW_E_NS1_11comp_targetILNS1_3genE10ELNS1_11target_archE1200ELNS1_3gpuE4ELNS1_3repE0EEENS1_30default_config_static_selectorELNS0_4arch9wavefront6targetE0EEEvT1_,"axG",@progbits,_ZN7rocprim17ROCPRIM_400000_NS6detail17trampoline_kernelINS0_14default_configENS1_29reduce_by_key_config_selectorIiiN6thrust23THRUST_200600_302600_NS4plusIiEEEEZZNS1_33reduce_by_key_impl_wrapped_configILNS1_25lookback_scan_determinismE0ES3_S9_NS6_6detail15normal_iteratorINS6_10device_ptrIiEEEESG_SG_SG_PmS8_22is_equal_div_10_reduceIiEEE10hipError_tPvRmT2_T3_mT4_T5_T6_T7_T8_P12ihipStream_tbENKUlT_T0_E_clISt17integral_constantIbLb1EES11_EEDaSW_SX_EUlSW_E_NS1_11comp_targetILNS1_3genE10ELNS1_11target_archE1200ELNS1_3gpuE4ELNS1_3repE0EEENS1_30default_config_static_selectorELNS0_4arch9wavefront6targetE0EEEvT1_,comdat
.Lfunc_end599:
	.size	_ZN7rocprim17ROCPRIM_400000_NS6detail17trampoline_kernelINS0_14default_configENS1_29reduce_by_key_config_selectorIiiN6thrust23THRUST_200600_302600_NS4plusIiEEEEZZNS1_33reduce_by_key_impl_wrapped_configILNS1_25lookback_scan_determinismE0ES3_S9_NS6_6detail15normal_iteratorINS6_10device_ptrIiEEEESG_SG_SG_PmS8_22is_equal_div_10_reduceIiEEE10hipError_tPvRmT2_T3_mT4_T5_T6_T7_T8_P12ihipStream_tbENKUlT_T0_E_clISt17integral_constantIbLb1EES11_EEDaSW_SX_EUlSW_E_NS1_11comp_targetILNS1_3genE10ELNS1_11target_archE1200ELNS1_3gpuE4ELNS1_3repE0EEENS1_30default_config_static_selectorELNS0_4arch9wavefront6targetE0EEEvT1_, .Lfunc_end599-_ZN7rocprim17ROCPRIM_400000_NS6detail17trampoline_kernelINS0_14default_configENS1_29reduce_by_key_config_selectorIiiN6thrust23THRUST_200600_302600_NS4plusIiEEEEZZNS1_33reduce_by_key_impl_wrapped_configILNS1_25lookback_scan_determinismE0ES3_S9_NS6_6detail15normal_iteratorINS6_10device_ptrIiEEEESG_SG_SG_PmS8_22is_equal_div_10_reduceIiEEE10hipError_tPvRmT2_T3_mT4_T5_T6_T7_T8_P12ihipStream_tbENKUlT_T0_E_clISt17integral_constantIbLb1EES11_EEDaSW_SX_EUlSW_E_NS1_11comp_targetILNS1_3genE10ELNS1_11target_archE1200ELNS1_3gpuE4ELNS1_3repE0EEENS1_30default_config_static_selectorELNS0_4arch9wavefront6targetE0EEEvT1_
                                        ; -- End function
	.section	.AMDGPU.csdata,"",@progbits
; Kernel info:
; codeLenInByte = 0
; NumSgprs: 0
; NumVgprs: 0
; ScratchSize: 0
; MemoryBound: 0
; FloatMode: 240
; IeeeMode: 1
; LDSByteSize: 0 bytes/workgroup (compile time only)
; SGPRBlocks: 0
; VGPRBlocks: 0
; NumSGPRsForWavesPerEU: 1
; NumVGPRsForWavesPerEU: 1
; Occupancy: 16
; WaveLimiterHint : 0
; COMPUTE_PGM_RSRC2:SCRATCH_EN: 0
; COMPUTE_PGM_RSRC2:USER_SGPR: 15
; COMPUTE_PGM_RSRC2:TRAP_HANDLER: 0
; COMPUTE_PGM_RSRC2:TGID_X_EN: 1
; COMPUTE_PGM_RSRC2:TGID_Y_EN: 0
; COMPUTE_PGM_RSRC2:TGID_Z_EN: 0
; COMPUTE_PGM_RSRC2:TIDIG_COMP_CNT: 0
	.section	.text._ZN7rocprim17ROCPRIM_400000_NS6detail17trampoline_kernelINS0_14default_configENS1_29reduce_by_key_config_selectorIiiN6thrust23THRUST_200600_302600_NS4plusIiEEEEZZNS1_33reduce_by_key_impl_wrapped_configILNS1_25lookback_scan_determinismE0ES3_S9_NS6_6detail15normal_iteratorINS6_10device_ptrIiEEEESG_SG_SG_PmS8_22is_equal_div_10_reduceIiEEE10hipError_tPvRmT2_T3_mT4_T5_T6_T7_T8_P12ihipStream_tbENKUlT_T0_E_clISt17integral_constantIbLb1EES11_EEDaSW_SX_EUlSW_E_NS1_11comp_targetILNS1_3genE9ELNS1_11target_archE1100ELNS1_3gpuE3ELNS1_3repE0EEENS1_30default_config_static_selectorELNS0_4arch9wavefront6targetE0EEEvT1_,"axG",@progbits,_ZN7rocprim17ROCPRIM_400000_NS6detail17trampoline_kernelINS0_14default_configENS1_29reduce_by_key_config_selectorIiiN6thrust23THRUST_200600_302600_NS4plusIiEEEEZZNS1_33reduce_by_key_impl_wrapped_configILNS1_25lookback_scan_determinismE0ES3_S9_NS6_6detail15normal_iteratorINS6_10device_ptrIiEEEESG_SG_SG_PmS8_22is_equal_div_10_reduceIiEEE10hipError_tPvRmT2_T3_mT4_T5_T6_T7_T8_P12ihipStream_tbENKUlT_T0_E_clISt17integral_constantIbLb1EES11_EEDaSW_SX_EUlSW_E_NS1_11comp_targetILNS1_3genE9ELNS1_11target_archE1100ELNS1_3gpuE3ELNS1_3repE0EEENS1_30default_config_static_selectorELNS0_4arch9wavefront6targetE0EEEvT1_,comdat
	.protected	_ZN7rocprim17ROCPRIM_400000_NS6detail17trampoline_kernelINS0_14default_configENS1_29reduce_by_key_config_selectorIiiN6thrust23THRUST_200600_302600_NS4plusIiEEEEZZNS1_33reduce_by_key_impl_wrapped_configILNS1_25lookback_scan_determinismE0ES3_S9_NS6_6detail15normal_iteratorINS6_10device_ptrIiEEEESG_SG_SG_PmS8_22is_equal_div_10_reduceIiEEE10hipError_tPvRmT2_T3_mT4_T5_T6_T7_T8_P12ihipStream_tbENKUlT_T0_E_clISt17integral_constantIbLb1EES11_EEDaSW_SX_EUlSW_E_NS1_11comp_targetILNS1_3genE9ELNS1_11target_archE1100ELNS1_3gpuE3ELNS1_3repE0EEENS1_30default_config_static_selectorELNS0_4arch9wavefront6targetE0EEEvT1_ ; -- Begin function _ZN7rocprim17ROCPRIM_400000_NS6detail17trampoline_kernelINS0_14default_configENS1_29reduce_by_key_config_selectorIiiN6thrust23THRUST_200600_302600_NS4plusIiEEEEZZNS1_33reduce_by_key_impl_wrapped_configILNS1_25lookback_scan_determinismE0ES3_S9_NS6_6detail15normal_iteratorINS6_10device_ptrIiEEEESG_SG_SG_PmS8_22is_equal_div_10_reduceIiEEE10hipError_tPvRmT2_T3_mT4_T5_T6_T7_T8_P12ihipStream_tbENKUlT_T0_E_clISt17integral_constantIbLb1EES11_EEDaSW_SX_EUlSW_E_NS1_11comp_targetILNS1_3genE9ELNS1_11target_archE1100ELNS1_3gpuE3ELNS1_3repE0EEENS1_30default_config_static_selectorELNS0_4arch9wavefront6targetE0EEEvT1_
	.globl	_ZN7rocprim17ROCPRIM_400000_NS6detail17trampoline_kernelINS0_14default_configENS1_29reduce_by_key_config_selectorIiiN6thrust23THRUST_200600_302600_NS4plusIiEEEEZZNS1_33reduce_by_key_impl_wrapped_configILNS1_25lookback_scan_determinismE0ES3_S9_NS6_6detail15normal_iteratorINS6_10device_ptrIiEEEESG_SG_SG_PmS8_22is_equal_div_10_reduceIiEEE10hipError_tPvRmT2_T3_mT4_T5_T6_T7_T8_P12ihipStream_tbENKUlT_T0_E_clISt17integral_constantIbLb1EES11_EEDaSW_SX_EUlSW_E_NS1_11comp_targetILNS1_3genE9ELNS1_11target_archE1100ELNS1_3gpuE3ELNS1_3repE0EEENS1_30default_config_static_selectorELNS0_4arch9wavefront6targetE0EEEvT1_
	.p2align	8
	.type	_ZN7rocprim17ROCPRIM_400000_NS6detail17trampoline_kernelINS0_14default_configENS1_29reduce_by_key_config_selectorIiiN6thrust23THRUST_200600_302600_NS4plusIiEEEEZZNS1_33reduce_by_key_impl_wrapped_configILNS1_25lookback_scan_determinismE0ES3_S9_NS6_6detail15normal_iteratorINS6_10device_ptrIiEEEESG_SG_SG_PmS8_22is_equal_div_10_reduceIiEEE10hipError_tPvRmT2_T3_mT4_T5_T6_T7_T8_P12ihipStream_tbENKUlT_T0_E_clISt17integral_constantIbLb1EES11_EEDaSW_SX_EUlSW_E_NS1_11comp_targetILNS1_3genE9ELNS1_11target_archE1100ELNS1_3gpuE3ELNS1_3repE0EEENS1_30default_config_static_selectorELNS0_4arch9wavefront6targetE0EEEvT1_,@function
_ZN7rocprim17ROCPRIM_400000_NS6detail17trampoline_kernelINS0_14default_configENS1_29reduce_by_key_config_selectorIiiN6thrust23THRUST_200600_302600_NS4plusIiEEEEZZNS1_33reduce_by_key_impl_wrapped_configILNS1_25lookback_scan_determinismE0ES3_S9_NS6_6detail15normal_iteratorINS6_10device_ptrIiEEEESG_SG_SG_PmS8_22is_equal_div_10_reduceIiEEE10hipError_tPvRmT2_T3_mT4_T5_T6_T7_T8_P12ihipStream_tbENKUlT_T0_E_clISt17integral_constantIbLb1EES11_EEDaSW_SX_EUlSW_E_NS1_11comp_targetILNS1_3genE9ELNS1_11target_archE1100ELNS1_3gpuE3ELNS1_3repE0EEENS1_30default_config_static_selectorELNS0_4arch9wavefront6targetE0EEEvT1_: ; @_ZN7rocprim17ROCPRIM_400000_NS6detail17trampoline_kernelINS0_14default_configENS1_29reduce_by_key_config_selectorIiiN6thrust23THRUST_200600_302600_NS4plusIiEEEEZZNS1_33reduce_by_key_impl_wrapped_configILNS1_25lookback_scan_determinismE0ES3_S9_NS6_6detail15normal_iteratorINS6_10device_ptrIiEEEESG_SG_SG_PmS8_22is_equal_div_10_reduceIiEEE10hipError_tPvRmT2_T3_mT4_T5_T6_T7_T8_P12ihipStream_tbENKUlT_T0_E_clISt17integral_constantIbLb1EES11_EEDaSW_SX_EUlSW_E_NS1_11comp_targetILNS1_3genE9ELNS1_11target_archE1100ELNS1_3gpuE3ELNS1_3repE0EEENS1_30default_config_static_selectorELNS0_4arch9wavefront6targetE0EEEvT1_
; %bb.0:
	s_clause 0x4
	s_load_b256 s[12:19], s[0:1], 0x0
	s_load_b128 s[28:31], s[0:1], 0x20
	s_load_b256 s[20:27], s[0:1], 0x38
	s_load_b64 s[34:35], s[0:1], 0x68
	s_load_b128 s[36:39], s[0:1], 0x58
	v_cmp_ne_u32_e64 s3, 0, v0
	v_cmp_eq_u32_e64 s2, 0, v0
	s_delay_alu instid0(VALU_DEP_1)
	s_and_saveexec_b32 s4, s2
	s_cbranch_execz .LBB600_4
; %bb.1:
	s_mov_b32 s6, exec_lo
	s_mov_b32 s5, exec_lo
	v_mbcnt_lo_u32_b32 v1, s6, 0
                                        ; implicit-def: $vgpr2
	s_delay_alu instid0(VALU_DEP_1)
	v_cmpx_eq_u32_e32 0, v1
	s_cbranch_execz .LBB600_3
; %bb.2:
	s_load_b64 s[0:1], s[0:1], 0x70
	s_bcnt1_i32_b32 s6, s6
	s_delay_alu instid0(SALU_CYCLE_1)
	v_dual_mov_b32 v2, 0 :: v_dual_mov_b32 v3, s6
	s_waitcnt lgkmcnt(0)
	global_atomic_add_u32 v2, v2, v3, s[0:1] glc
.LBB600_3:
	s_or_b32 exec_lo, exec_lo, s5
	s_waitcnt vmcnt(0)
	v_readfirstlane_b32 s0, v2
	s_delay_alu instid0(VALU_DEP_1)
	v_dual_mov_b32 v2, 0 :: v_dual_add_nc_u32 v1, s0, v1
	ds_store_b32 v2, v1
.LBB600_4:
	s_or_b32 exec_lo, exec_lo, s4
	v_mov_b32_e32 v2, 0
	s_waitcnt lgkmcnt(0)
	s_barrier
	buffer_gl0_inv
	s_lshl_b64 s[4:5], s[14:15], 2
	ds_load_b32 v1, v2
	s_add_u32 s9, s12, s4
	s_mul_i32 s1, s24, s23
	s_mul_hi_u32 s6, s24, s22
	s_addc_u32 s10, s13, s5
	s_add_u32 s11, s16, s4
	s_mul_i32 s7, s25, s22
	s_addc_u32 s12, s17, s5
	s_add_i32 s1, s6, s1
	s_mul_i32 s8, s24, s22
	s_add_i32 s1, s1, s7
	s_mov_b32 s0, 0
	s_waitcnt lgkmcnt(0)
	s_barrier
	buffer_gl0_inv
	v_readfirstlane_b32 s33, v1
	v_mul_lo_u32 v1, 0xf00, v1
	s_delay_alu instid0(VALU_DEP_2) | instskip(SKIP_3) | instid1(VALU_DEP_1)
	s_add_u32 s24, s8, s33
	s_addc_u32 s25, s1, 0
	s_add_u32 s4, s26, -1
	s_addc_u32 s5, s27, -1
	v_lshlrev_b64 v[3:4], 2, v[1:2]
	s_cmp_eq_u64 s[24:25], s[4:5]
	s_mul_i32 s26, s4, 0xfffff100
	s_cselect_b32 s17, -1, 0
	s_cmp_lg_u64 s[24:25], s[4:5]
	s_delay_alu instid0(VALU_DEP_1)
	v_add_co_u32 v1, vcc_lo, s9, v3
	v_add_co_ci_u32_e32 v2, vcc_lo, s10, v4, vcc_lo
	v_add_co_u32 v3, vcc_lo, s11, v3
	v_add_co_ci_u32_e32 v4, vcc_lo, s12, v4, vcc_lo
	s_cselect_b32 s40, -1, 0
	s_and_b32 vcc_lo, exec_lo, s17
	s_cbranch_vccnz .LBB600_6
; %bb.5:
	v_lshlrev_b32_e32 v29, 2, v0
	s_delay_alu instid0(VALU_DEP_1) | instskip(SKIP_1) | instid1(VALU_DEP_2)
	v_add_co_u32 v5, vcc_lo, v1, v29
	v_add_co_ci_u32_e32 v6, vcc_lo, 0, v2, vcc_lo
	v_add_co_u32 v7, vcc_lo, 0x1000, v5
	s_delay_alu instid0(VALU_DEP_2)
	v_add_co_ci_u32_e32 v8, vcc_lo, 0, v6, vcc_lo
	s_clause 0x7
	flat_load_b32 v9, v[5:6]
	flat_load_b32 v10, v[5:6] offset:1024
	flat_load_b32 v11, v[5:6] offset:2048
	flat_load_b32 v12, v[5:6] offset:3072
	flat_load_b32 v13, v[7:8]
	flat_load_b32 v14, v[7:8] offset:1024
	flat_load_b32 v15, v[7:8] offset:2048
	;; [unrolled: 1-line block ×3, first 2 shown]
	v_add_co_u32 v7, vcc_lo, 0x2000, v5
	v_add_co_ci_u32_e32 v8, vcc_lo, 0, v6, vcc_lo
	v_add_co_u32 v5, vcc_lo, 0x3000, v5
	v_add_co_ci_u32_e32 v6, vcc_lo, 0, v6, vcc_lo
	s_clause 0x6
	flat_load_b32 v17, v[7:8]
	flat_load_b32 v18, v[7:8] offset:1024
	flat_load_b32 v19, v[7:8] offset:2048
	;; [unrolled: 1-line block ×3, first 2 shown]
	flat_load_b32 v20, v[5:6]
	flat_load_b32 v21, v[5:6] offset:1024
	flat_load_b32 v22, v[5:6] offset:2048
	v_add_co_u32 v6, vcc_lo, v3, v29
	v_add_co_ci_u32_e32 v7, vcc_lo, 0, v4, vcc_lo
	v_mad_u32_u24 v5, v0, 56, v29
	s_delay_alu instid0(VALU_DEP_3) | instskip(NEXT) | instid1(VALU_DEP_3)
	v_add_co_u32 v23, vcc_lo, 0x1000, v6
	v_add_co_ci_u32_e32 v24, vcc_lo, 0, v7, vcc_lo
	v_add_co_u32 v25, vcc_lo, 0x2000, v6
	v_add_co_ci_u32_e32 v26, vcc_lo, 0, v7, vcc_lo
	;; [unrolled: 2-line block ×3, first 2 shown]
	s_waitcnt vmcnt(13) lgkmcnt(13)
	ds_store_2addr_stride64_b32 v29, v9, v10 offset1:4
	s_waitcnt vmcnt(11) lgkmcnt(12)
	ds_store_2addr_stride64_b32 v29, v11, v12 offset0:8 offset1:12
	s_waitcnt vmcnt(9) lgkmcnt(11)
	ds_store_2addr_stride64_b32 v29, v13, v14 offset0:16 offset1:20
	;; [unrolled: 2-line block ×6, first 2 shown]
	s_waitcnt vmcnt(0) lgkmcnt(7)
	ds_store_b32 v29, v22 offset:14336
	s_waitcnt lgkmcnt(0)
	s_barrier
	buffer_gl0_inv
	ds_load_2addr_b32 v[21:22], v5 offset1:1
	ds_load_2addr_b32 v[19:20], v5 offset0:2 offset1:3
	ds_load_2addr_b32 v[17:18], v5 offset0:4 offset1:5
	;; [unrolled: 1-line block ×6, first 2 shown]
	ds_load_b32 v77, v5 offset:56
	s_waitcnt lgkmcnt(0)
	s_barrier
	buffer_gl0_inv
	s_clause 0xe
	flat_load_b32 v8, v[6:7]
	flat_load_b32 v30, v[6:7] offset:1024
	flat_load_b32 v31, v[6:7] offset:2048
	flat_load_b32 v6, v[6:7] offset:3072
	flat_load_b32 v7, v[23:24]
	flat_load_b32 v32, v[23:24] offset:1024
	flat_load_b32 v33, v[23:24] offset:2048
	flat_load_b32 v23, v[23:24] offset:3072
	;; [unrolled: 4-line block ×3, first 2 shown]
	flat_load_b32 v26, v[27:28]
	flat_load_b32 v36, v[27:28] offset:1024
	flat_load_b32 v27, v[27:28] offset:2048
	s_waitcnt vmcnt(13) lgkmcnt(13)
	ds_store_2addr_stride64_b32 v29, v8, v30 offset1:4
	s_waitcnt vmcnt(11) lgkmcnt(12)
	ds_store_2addr_stride64_b32 v29, v31, v6 offset0:8 offset1:12
	s_waitcnt vmcnt(9) lgkmcnt(11)
	ds_store_2addr_stride64_b32 v29, v7, v32 offset0:16 offset1:20
	;; [unrolled: 2-line block ×6, first 2 shown]
	s_waitcnt vmcnt(0) lgkmcnt(7)
	ds_store_b32 v29, v27 offset:14336
	s_waitcnt lgkmcnt(0)
	s_barrier
	s_and_not1_b32 vcc_lo, exec_lo, s0
	s_add_i32 s26, s26, s36
	s_cbranch_vccz .LBB600_7
	s_branch .LBB600_54
.LBB600_6:
                                        ; implicit-def: $vgpr5
                                        ; implicit-def: $vgpr21
                                        ; implicit-def: $vgpr19
                                        ; implicit-def: $vgpr17
                                        ; implicit-def: $vgpr15
                                        ; implicit-def: $vgpr13
                                        ; implicit-def: $vgpr11
                                        ; implicit-def: $vgpr9
                                        ; implicit-def: $vgpr77
	s_add_i32 s26, s26, s36
.LBB600_7:
	s_delay_alu instid0(SALU_CYCLE_1)
	v_cmp_gt_u32_e32 vcc_lo, s26, v0
                                        ; implicit-def: $vgpr5
	s_and_saveexec_b32 s1, vcc_lo
	s_cbranch_execz .LBB600_9
; %bb.8:
	v_lshlrev_b32_e32 v5, 2, v0
	s_delay_alu instid0(VALU_DEP_1) | instskip(NEXT) | instid1(VALU_DEP_1)
	v_add_co_u32 v5, s0, v1, v5
	v_add_co_ci_u32_e64 v6, s0, 0, v2, s0
	flat_load_b32 v5, v[5:6]
.LBB600_9:
	s_or_b32 exec_lo, exec_lo, s1
	v_or_b32_e32 v6, 0x100, v0
                                        ; implicit-def: $vgpr9
	s_delay_alu instid0(VALU_DEP_1) | instskip(NEXT) | instid1(VALU_DEP_1)
	v_cmp_gt_u32_e64 s0, s26, v6
	s_and_saveexec_b32 s4, s0
	s_cbranch_execz .LBB600_11
; %bb.10:
	v_lshlrev_b32_e32 v6, 2, v0
	s_delay_alu instid0(VALU_DEP_1) | instskip(NEXT) | instid1(VALU_DEP_1)
	v_add_co_u32 v6, s1, v1, v6
	v_add_co_ci_u32_e64 v7, s1, 0, v2, s1
	flat_load_b32 v9, v[6:7] offset:1024
.LBB600_11:
	s_or_b32 exec_lo, exec_lo, s4
	v_or_b32_e32 v6, 0x200, v0
                                        ; implicit-def: $vgpr10
	s_delay_alu instid0(VALU_DEP_1) | instskip(NEXT) | instid1(VALU_DEP_1)
	v_cmp_gt_u32_e64 s1, s26, v6
	s_and_saveexec_b32 s5, s1
	s_cbranch_execz .LBB600_13
; %bb.12:
	v_lshlrev_b32_e32 v6, 2, v0
	s_delay_alu instid0(VALU_DEP_1) | instskip(NEXT) | instid1(VALU_DEP_1)
	v_add_co_u32 v6, s4, v1, v6
	v_add_co_ci_u32_e64 v7, s4, 0, v2, s4
	flat_load_b32 v10, v[6:7] offset:2048
.LBB600_13:
	s_or_b32 exec_lo, exec_lo, s5
	v_or_b32_e32 v6, 0x300, v0
                                        ; implicit-def: $vgpr11
	s_delay_alu instid0(VALU_DEP_1) | instskip(NEXT) | instid1(VALU_DEP_1)
	v_cmp_gt_u32_e64 s4, s26, v6
	s_and_saveexec_b32 s6, s4
	s_cbranch_execz .LBB600_15
; %bb.14:
	v_lshlrev_b32_e32 v6, 2, v0
	s_delay_alu instid0(VALU_DEP_1) | instskip(NEXT) | instid1(VALU_DEP_1)
	v_add_co_u32 v6, s5, v1, v6
	v_add_co_ci_u32_e64 v7, s5, 0, v2, s5
	flat_load_b32 v11, v[6:7] offset:3072
.LBB600_15:
	s_or_b32 exec_lo, exec_lo, s6
	v_or_b32_e32 v6, 0x400, v0
                                        ; implicit-def: $vgpr12
	s_delay_alu instid0(VALU_DEP_1) | instskip(NEXT) | instid1(VALU_DEP_1)
	v_cmp_gt_u32_e64 s5, s26, v6
	s_and_saveexec_b32 s7, s5
	s_cbranch_execz .LBB600_17
; %bb.16:
	v_lshlrev_b32_e32 v7, 2, v6
	s_delay_alu instid0(VALU_DEP_1) | instskip(NEXT) | instid1(VALU_DEP_1)
	v_add_co_u32 v7, s6, v1, v7
	v_add_co_ci_u32_e64 v8, s6, 0, v2, s6
	flat_load_b32 v12, v[7:8]
.LBB600_17:
	s_or_b32 exec_lo, exec_lo, s7
	v_or_b32_e32 v7, 0x500, v0
                                        ; implicit-def: $vgpr13
	s_delay_alu instid0(VALU_DEP_1) | instskip(NEXT) | instid1(VALU_DEP_1)
	v_cmp_gt_u32_e64 s6, s26, v7
	s_and_saveexec_b32 s8, s6
	s_cbranch_execz .LBB600_19
; %bb.18:
	v_lshlrev_b32_e32 v8, 2, v7
	s_delay_alu instid0(VALU_DEP_1) | instskip(NEXT) | instid1(VALU_DEP_1)
	v_add_co_u32 v13, s7, v1, v8
	v_add_co_ci_u32_e64 v14, s7, 0, v2, s7
	flat_load_b32 v13, v[13:14]
.LBB600_19:
	s_or_b32 exec_lo, exec_lo, s8
	v_or_b32_e32 v8, 0x600, v0
                                        ; implicit-def: $vgpr14
	s_delay_alu instid0(VALU_DEP_1) | instskip(NEXT) | instid1(VALU_DEP_1)
	v_cmp_gt_u32_e64 s7, s26, v8
	s_and_saveexec_b32 s9, s7
	s_cbranch_execz .LBB600_21
; %bb.20:
	v_lshlrev_b32_e32 v14, 2, v8
	s_delay_alu instid0(VALU_DEP_1) | instskip(NEXT) | instid1(VALU_DEP_1)
	v_add_co_u32 v14, s8, v1, v14
	v_add_co_ci_u32_e64 v15, s8, 0, v2, s8
	flat_load_b32 v14, v[14:15]
.LBB600_21:
	s_or_b32 exec_lo, exec_lo, s9
	v_or_b32_e32 v23, 0x700, v0
                                        ; implicit-def: $vgpr15
	s_delay_alu instid0(VALU_DEP_1) | instskip(NEXT) | instid1(VALU_DEP_1)
	v_cmp_gt_u32_e64 s8, s26, v23
	s_and_saveexec_b32 s10, s8
	s_cbranch_execz .LBB600_23
; %bb.22:
	v_lshlrev_b32_e32 v15, 2, v23
	s_delay_alu instid0(VALU_DEP_1) | instskip(NEXT) | instid1(VALU_DEP_1)
	v_add_co_u32 v15, s9, v1, v15
	v_add_co_ci_u32_e64 v16, s9, 0, v2, s9
	flat_load_b32 v15, v[15:16]
.LBB600_23:
	s_or_b32 exec_lo, exec_lo, s10
	v_or_b32_e32 v24, 0x800, v0
                                        ; implicit-def: $vgpr16
	s_delay_alu instid0(VALU_DEP_1) | instskip(NEXT) | instid1(VALU_DEP_1)
	v_cmp_gt_u32_e64 s9, s26, v24
	s_and_saveexec_b32 s11, s9
	s_cbranch_execz .LBB600_25
; %bb.24:
	v_lshlrev_b32_e32 v16, 2, v24
	s_delay_alu instid0(VALU_DEP_1) | instskip(NEXT) | instid1(VALU_DEP_1)
	v_add_co_u32 v16, s10, v1, v16
	v_add_co_ci_u32_e64 v17, s10, 0, v2, s10
	flat_load_b32 v16, v[16:17]
.LBB600_25:
	s_or_b32 exec_lo, exec_lo, s11
	v_or_b32_e32 v26, 0x900, v0
                                        ; implicit-def: $vgpr17
	s_delay_alu instid0(VALU_DEP_1) | instskip(NEXT) | instid1(VALU_DEP_1)
	v_cmp_gt_u32_e64 s10, s26, v26
	s_and_saveexec_b32 s12, s10
	s_cbranch_execz .LBB600_27
; %bb.26:
	v_lshlrev_b32_e32 v17, 2, v26
	s_delay_alu instid0(VALU_DEP_1) | instskip(NEXT) | instid1(VALU_DEP_1)
	v_add_co_u32 v17, s11, v1, v17
	v_add_co_ci_u32_e64 v18, s11, 0, v2, s11
	flat_load_b32 v17, v[17:18]
.LBB600_27:
	s_or_b32 exec_lo, exec_lo, s12
	v_or_b32_e32 v27, 0xa00, v0
                                        ; implicit-def: $vgpr18
	s_delay_alu instid0(VALU_DEP_1) | instskip(NEXT) | instid1(VALU_DEP_1)
	v_cmp_gt_u32_e64 s11, s26, v27
	s_and_saveexec_b32 s13, s11
	s_cbranch_execz .LBB600_29
; %bb.28:
	v_lshlrev_b32_e32 v18, 2, v27
	s_delay_alu instid0(VALU_DEP_1) | instskip(NEXT) | instid1(VALU_DEP_1)
	v_add_co_u32 v18, s12, v1, v18
	v_add_co_ci_u32_e64 v19, s12, 0, v2, s12
	flat_load_b32 v18, v[18:19]
.LBB600_29:
	s_or_b32 exec_lo, exec_lo, s13
	v_or_b32_e32 v28, 0xb00, v0
                                        ; implicit-def: $vgpr19
	s_delay_alu instid0(VALU_DEP_1) | instskip(NEXT) | instid1(VALU_DEP_1)
	v_cmp_gt_u32_e64 s12, s26, v28
	s_and_saveexec_b32 s14, s12
	s_cbranch_execz .LBB600_31
; %bb.30:
	v_lshlrev_b32_e32 v19, 2, v28
	s_delay_alu instid0(VALU_DEP_1) | instskip(NEXT) | instid1(VALU_DEP_1)
	v_add_co_u32 v19, s13, v1, v19
	v_add_co_ci_u32_e64 v20, s13, 0, v2, s13
	flat_load_b32 v19, v[19:20]
.LBB600_31:
	s_or_b32 exec_lo, exec_lo, s14
	v_or_b32_e32 v29, 0xc00, v0
                                        ; implicit-def: $vgpr20
	s_delay_alu instid0(VALU_DEP_1) | instskip(NEXT) | instid1(VALU_DEP_1)
	v_cmp_gt_u32_e64 s13, s26, v29
	s_and_saveexec_b32 s15, s13
	s_cbranch_execz .LBB600_33
; %bb.32:
	v_lshlrev_b32_e32 v20, 2, v29
	s_delay_alu instid0(VALU_DEP_1) | instskip(NEXT) | instid1(VALU_DEP_1)
	v_add_co_u32 v20, s14, v1, v20
	v_add_co_ci_u32_e64 v21, s14, 0, v2, s14
	flat_load_b32 v20, v[20:21]
.LBB600_33:
	s_or_b32 exec_lo, exec_lo, s15
	v_or_b32_e32 v30, 0xd00, v0
                                        ; implicit-def: $vgpr21
	s_delay_alu instid0(VALU_DEP_1) | instskip(NEXT) | instid1(VALU_DEP_1)
	v_cmp_gt_u32_e64 s14, s26, v30
	s_and_saveexec_b32 s16, s14
	s_cbranch_execz .LBB600_35
; %bb.34:
	v_lshlrev_b32_e32 v21, 2, v30
	s_delay_alu instid0(VALU_DEP_1) | instskip(NEXT) | instid1(VALU_DEP_1)
	v_add_co_u32 v21, s15, v1, v21
	v_add_co_ci_u32_e64 v22, s15, 0, v2, s15
	flat_load_b32 v21, v[21:22]
.LBB600_35:
	s_or_b32 exec_lo, exec_lo, s16
	v_or_b32_e32 v31, 0xe00, v0
                                        ; implicit-def: $vgpr22
	s_delay_alu instid0(VALU_DEP_1) | instskip(NEXT) | instid1(VALU_DEP_1)
	v_cmp_gt_u32_e64 s15, s26, v31
	s_and_saveexec_b32 s27, s15
	s_cbranch_execz .LBB600_37
; %bb.36:
	v_lshlrev_b32_e32 v22, 2, v31
	s_delay_alu instid0(VALU_DEP_1) | instskip(NEXT) | instid1(VALU_DEP_1)
	v_add_co_u32 v32, s16, v1, v22
	v_add_co_ci_u32_e64 v33, s16, 0, v2, s16
	flat_load_b32 v22, v[32:33]
.LBB600_37:
	s_or_b32 exec_lo, exec_lo, s27
	v_lshlrev_b32_e32 v25, 2, v0
                                        ; implicit-def: $vgpr32
	s_waitcnt vmcnt(0) lgkmcnt(0)
	ds_store_2addr_stride64_b32 v25, v5, v9 offset1:4
	ds_store_2addr_stride64_b32 v25, v10, v11 offset0:8 offset1:12
	ds_store_2addr_stride64_b32 v25, v12, v13 offset0:16 offset1:20
	;; [unrolled: 1-line block ×6, first 2 shown]
	v_mad_u32_u24 v5, v0, 56, v25
	ds_store_b32 v25, v22 offset:14336
	s_waitcnt lgkmcnt(0)
	s_barrier
	buffer_gl0_inv
	ds_load_2addr_b32 v[21:22], v5 offset1:1
	ds_load_2addr_b32 v[19:20], v5 offset0:2 offset1:3
	ds_load_2addr_b32 v[17:18], v5 offset0:4 offset1:5
	;; [unrolled: 1-line block ×6, first 2 shown]
	ds_load_b32 v77, v5 offset:56
	s_waitcnt lgkmcnt(0)
	s_barrier
	buffer_gl0_inv
	s_and_saveexec_b32 s16, vcc_lo
	s_cbranch_execnz .LBB600_61
; %bb.38:
	s_or_b32 exec_lo, exec_lo, s16
                                        ; implicit-def: $vgpr33
	s_and_saveexec_b32 s16, s0
	s_cbranch_execnz .LBB600_62
.LBB600_39:
	s_or_b32 exec_lo, exec_lo, s16
                                        ; implicit-def: $vgpr34
	s_and_saveexec_b32 s0, s1
	s_cbranch_execnz .LBB600_63
.LBB600_40:
	s_or_b32 exec_lo, exec_lo, s0
                                        ; implicit-def: $vgpr35
	s_and_saveexec_b32 s0, s4
	s_cbranch_execnz .LBB600_64
.LBB600_41:
	s_or_b32 exec_lo, exec_lo, s0
                                        ; implicit-def: $vgpr36
	s_and_saveexec_b32 s0, s5
	s_cbranch_execnz .LBB600_65
.LBB600_42:
	s_or_b32 exec_lo, exec_lo, s0
                                        ; implicit-def: $vgpr6
	s_and_saveexec_b32 s0, s6
	s_cbranch_execnz .LBB600_66
.LBB600_43:
	s_or_b32 exec_lo, exec_lo, s0
                                        ; implicit-def: $vgpr7
	s_and_saveexec_b32 s0, s7
	s_cbranch_execnz .LBB600_67
.LBB600_44:
	s_or_b32 exec_lo, exec_lo, s0
                                        ; implicit-def: $vgpr8
	s_and_saveexec_b32 s0, s8
	s_cbranch_execnz .LBB600_68
.LBB600_45:
	s_or_b32 exec_lo, exec_lo, s0
                                        ; implicit-def: $vgpr23
	s_and_saveexec_b32 s0, s9
	s_cbranch_execnz .LBB600_69
.LBB600_46:
	s_or_b32 exec_lo, exec_lo, s0
                                        ; implicit-def: $vgpr24
	s_and_saveexec_b32 s0, s10
	s_cbranch_execnz .LBB600_70
.LBB600_47:
	s_or_b32 exec_lo, exec_lo, s0
                                        ; implicit-def: $vgpr26
	s_and_saveexec_b32 s0, s11
	s_cbranch_execnz .LBB600_71
.LBB600_48:
	s_or_b32 exec_lo, exec_lo, s0
                                        ; implicit-def: $vgpr27
	s_and_saveexec_b32 s0, s12
	s_cbranch_execnz .LBB600_72
.LBB600_49:
	s_or_b32 exec_lo, exec_lo, s0
                                        ; implicit-def: $vgpr28
	s_and_saveexec_b32 s0, s13
	s_cbranch_execnz .LBB600_73
.LBB600_50:
	s_or_b32 exec_lo, exec_lo, s0
                                        ; implicit-def: $vgpr29
	s_and_saveexec_b32 s0, s14
	s_cbranch_execnz .LBB600_74
.LBB600_51:
	s_or_b32 exec_lo, exec_lo, s0
                                        ; implicit-def: $vgpr30
	s_and_saveexec_b32 s0, s15
	s_cbranch_execz .LBB600_53
.LBB600_52:
	v_lshlrev_b32_e32 v30, 2, v31
	s_delay_alu instid0(VALU_DEP_1)
	v_add_co_u32 v3, vcc_lo, v3, v30
	v_add_co_ci_u32_e32 v4, vcc_lo, 0, v4, vcc_lo
	flat_load_b32 v30, v[3:4]
.LBB600_53:
	s_or_b32 exec_lo, exec_lo, s0
	s_waitcnt vmcnt(0) lgkmcnt(0)
	ds_store_2addr_stride64_b32 v25, v32, v33 offset1:4
	ds_store_2addr_stride64_b32 v25, v34, v35 offset0:8 offset1:12
	ds_store_2addr_stride64_b32 v25, v36, v6 offset0:16 offset1:20
	;; [unrolled: 1-line block ×6, first 2 shown]
	ds_store_b32 v25, v30 offset:14336
	s_waitcnt lgkmcnt(0)
	s_barrier
.LBB600_54:
	buffer_gl0_inv
	ds_load_2addr_b32 v[49:50], v5 offset1:1
	ds_load_2addr_b32 v[47:48], v5 offset0:2 offset1:3
	ds_load_2addr_b32 v[45:46], v5 offset0:4 offset1:5
	;; [unrolled: 1-line block ×6, first 2 shown]
	ds_load_b32 v79, v5 offset:56
	s_cmp_eq_u64 s[24:25], 0
	s_waitcnt lgkmcnt(0)
	s_cselect_b32 s27, -1, 0
	s_cmp_lg_u64 s[24:25], 0
	s_barrier
	s_cselect_b32 s16, -1, 0
	s_and_b32 vcc_lo, exec_lo, s40
	buffer_gl0_inv
	s_cbranch_vccz .LBB600_60
; %bb.55:
	s_and_b32 vcc_lo, exec_lo, s16
	s_cbranch_vccz .LBB600_75
; %bb.56:
	v_add_co_u32 v3, vcc_lo, -4, v1
	v_add_co_ci_u32_e32 v4, vcc_lo, -1, v2, vcc_lo
	v_mul_hi_i32 v5, 0x66666667, v77
	v_mul_hi_i32 v6, 0x66666667, v9
	;; [unrolled: 1-line block ×3, first 2 shown]
	flat_load_b32 v3, v[3:4]
	v_mul_hi_i32 v4, 0x66666667, v10
	v_mul_hi_i32 v26, 0x66666667, v11
	v_mul_hi_i32 v27, 0x66666667, v13
	s_mov_b32 s15, -1
	v_lshrrev_b32_e32 v23, 31, v5
	v_ashrrev_i32_e32 v5, 2, v5
	v_lshrrev_b32_e32 v24, 31, v6
	v_ashrrev_i32_e32 v6, 2, v6
	v_lshrrev_b32_e32 v7, 31, v4
	v_ashrrev_i32_e32 v8, 2, v4
	v_add_nc_u32_e32 v5, v5, v23
	v_lshrrev_b32_e32 v23, 31, v25
	v_add_nc_u32_e32 v6, v6, v24
	v_ashrrev_i32_e32 v24, 2, v25
	v_add_nc_u32_e32 v7, v8, v7
	v_mul_hi_i32 v8, 0x66666667, v14
	v_lshrrev_b32_e32 v25, 31, v26
	v_ashrrev_i32_e32 v26, 2, v26
	v_lshlrev_b32_e32 v4, 2, v0
	v_cmp_ne_u32_e32 vcc_lo, v7, v5
	v_add_nc_u32_e32 v5, v24, v23
	v_cmp_ne_u32_e64 s0, v6, v7
	v_add_nc_u32_e32 v7, v26, v25
	v_lshrrev_b32_e32 v28, 31, v8
	v_ashrrev_i32_e32 v8, 2, v8
	v_mul_hi_i32 v24, 0x66666667, v16
	v_mul_hi_i32 v26, 0x66666667, v15
	v_cmp_ne_u32_e64 s1, v5, v6
	v_mul_hi_i32 v6, 0x66666667, v18
	v_add_nc_u32_e32 v8, v8, v28
	v_lshrrev_b32_e32 v23, 31, v27
	v_ashrrev_i32_e32 v25, 2, v27
	v_cmp_ne_u32_e64 s4, v7, v5
	ds_store_b32 v4, v77
	v_cmp_ne_u32_e64 s5, v8, v7
	v_lshrrev_b32_e32 v7, 31, v24
	v_add_nc_u32_e32 v5, v25, v23
	v_ashrrev_i32_e32 v23, 2, v24
	v_lshrrev_b32_e32 v24, 31, v26
	v_ashrrev_i32_e32 v25, 2, v26
	v_lshrrev_b32_e32 v26, 31, v6
	v_ashrrev_i32_e32 v6, 2, v6
	v_add_nc_u32_e32 v7, v23, v7
	v_cmp_ne_u32_e64 s6, v5, v8
	v_add_nc_u32_e32 v8, v25, v24
	v_mul_hi_i32 v23, 0x66666667, v17
	v_add_nc_u32_e32 v6, v6, v26
	v_cmp_ne_u32_e64 s7, v7, v5
	v_mul_hi_i32 v5, 0x66666667, v20
	v_cmp_ne_u32_e64 s8, v8, v7
	v_mul_hi_i32 v7, 0x66666667, v19
	;; [unrolled: 2-line block ×3, first 2 shown]
	v_mul_hi_i32 v25, 0x66666667, v21
	v_lshrrev_b32_e32 v24, 31, v23
	v_ashrrev_i32_e32 v23, 2, v23
	v_lshrrev_b32_e32 v26, 31, v5
	v_ashrrev_i32_e32 v5, 2, v5
	;; [unrolled: 2-line block ×5, first 2 shown]
	v_add_nc_u32_e32 v23, v23, v24
	v_add_nc_u32_e32 v24, v5, v26
	;; [unrolled: 1-line block ×5, first 2 shown]
	v_cmp_ne_u32_e64 s14, v23, v6
	v_cmp_ne_u32_e64 s10, v24, v23
	;; [unrolled: 1-line block ×5, first 2 shown]
	s_waitcnt vmcnt(0) lgkmcnt(0)
	s_barrier
	buffer_gl0_inv
	s_and_saveexec_b32 s40, s3
	s_cbranch_execz .LBB600_58
; %bb.57:
	v_add_nc_u32_e32 v3, -4, v4
	ds_load_b32 v3, v3
.LBB600_58:
	s_or_b32 exec_lo, exec_lo, s40
	s_waitcnt lgkmcnt(0)
	v_mul_hi_i32 v3, 0x66666667, v3
	v_cndmask_b32_e64 v78, 0, 1, vcc_lo
	v_cndmask_b32_e64 v24, 0, 1, s0
	v_cndmask_b32_e64 v23, 0, 1, s1
	;; [unrolled: 1-line block ×6, first 2 shown]
	v_lshrrev_b32_e32 v4, 31, v3
	v_ashrrev_i32_e32 v3, 2, v3
	v_cndmask_b32_e64 v30, 0, 1, s8
	v_cndmask_b32_e64 v29, 0, 1, s9
	v_cndmask_b32_e64 v32, 0, 1, s14
	v_cndmask_b32_e64 v31, 0, 1, s10
	v_add_nc_u32_e32 v3, v3, v4
	v_cndmask_b32_e64 v34, 0, 1, s11
	v_cndmask_b32_e64 v33, 0, 1, s12
	;; [unrolled: 1-line block ×3, first 2 shown]
	s_delay_alu instid0(VALU_DEP_4)
	v_cmp_ne_u32_e64 s4, v3, v5
.LBB600_59:
                                        ; implicit-def: $sgpr0
	s_branch .LBB600_114
.LBB600_60:
	s_mov_b32 s15, 0
                                        ; implicit-def: $sgpr4
                                        ; implicit-def: $vgpr78
                                        ; implicit-def: $vgpr24
                                        ; implicit-def: $vgpr23
                                        ; implicit-def: $vgpr26
                                        ; implicit-def: $vgpr25
                                        ; implicit-def: $vgpr28
                                        ; implicit-def: $vgpr27
                                        ; implicit-def: $vgpr30
                                        ; implicit-def: $vgpr29
                                        ; implicit-def: $vgpr32
                                        ; implicit-def: $vgpr31
                                        ; implicit-def: $vgpr34
                                        ; implicit-def: $vgpr33
                                        ; implicit-def: $vgpr36
                                        ; implicit-def: $sgpr0
	s_cbranch_execnz .LBB600_79
	s_branch .LBB600_114
.LBB600_61:
	v_add_co_u32 v32, vcc_lo, v3, v25
	v_add_co_ci_u32_e32 v33, vcc_lo, 0, v4, vcc_lo
	flat_load_b32 v32, v[32:33]
	s_or_b32 exec_lo, exec_lo, s16
                                        ; implicit-def: $vgpr33
	s_and_saveexec_b32 s16, s0
	s_cbranch_execz .LBB600_39
.LBB600_62:
	v_add_co_u32 v33, vcc_lo, v3, v25
	v_add_co_ci_u32_e32 v34, vcc_lo, 0, v4, vcc_lo
	flat_load_b32 v33, v[33:34] offset:1024
	s_or_b32 exec_lo, exec_lo, s16
                                        ; implicit-def: $vgpr34
	s_and_saveexec_b32 s0, s1
	s_cbranch_execz .LBB600_40
.LBB600_63:
	v_add_co_u32 v34, vcc_lo, v3, v25
	v_add_co_ci_u32_e32 v35, vcc_lo, 0, v4, vcc_lo
	flat_load_b32 v34, v[34:35] offset:2048
	s_or_b32 exec_lo, exec_lo, s0
                                        ; implicit-def: $vgpr35
	s_and_saveexec_b32 s0, s4
	s_cbranch_execz .LBB600_41
.LBB600_64:
	v_add_co_u32 v35, vcc_lo, v3, v25
	v_add_co_ci_u32_e32 v36, vcc_lo, 0, v4, vcc_lo
	flat_load_b32 v35, v[35:36] offset:3072
	s_or_b32 exec_lo, exec_lo, s0
                                        ; implicit-def: $vgpr36
	s_and_saveexec_b32 s0, s5
	s_cbranch_execz .LBB600_42
.LBB600_65:
	v_lshlrev_b32_e32 v6, 2, v6
	s_delay_alu instid0(VALU_DEP_1)
	v_add_co_u32 v36, vcc_lo, v3, v6
	v_add_co_ci_u32_e32 v37, vcc_lo, 0, v4, vcc_lo
	flat_load_b32 v36, v[36:37]
	s_or_b32 exec_lo, exec_lo, s0
                                        ; implicit-def: $vgpr6
	s_and_saveexec_b32 s0, s6
	s_cbranch_execz .LBB600_43
.LBB600_66:
	v_lshlrev_b32_e32 v6, 2, v7
	s_delay_alu instid0(VALU_DEP_1)
	v_add_co_u32 v6, vcc_lo, v3, v6
	v_add_co_ci_u32_e32 v7, vcc_lo, 0, v4, vcc_lo
	flat_load_b32 v6, v[6:7]
	s_or_b32 exec_lo, exec_lo, s0
                                        ; implicit-def: $vgpr7
	s_and_saveexec_b32 s0, s7
	s_cbranch_execz .LBB600_44
.LBB600_67:
	v_lshlrev_b32_e32 v7, 2, v8
	s_delay_alu instid0(VALU_DEP_1)
	v_add_co_u32 v7, vcc_lo, v3, v7
	v_add_co_ci_u32_e32 v8, vcc_lo, 0, v4, vcc_lo
	flat_load_b32 v7, v[7:8]
	s_or_b32 exec_lo, exec_lo, s0
                                        ; implicit-def: $vgpr8
	s_and_saveexec_b32 s0, s8
	s_cbranch_execz .LBB600_45
.LBB600_68:
	v_lshlrev_b32_e32 v8, 2, v23
	s_delay_alu instid0(VALU_DEP_1)
	v_add_co_u32 v37, vcc_lo, v3, v8
	v_add_co_ci_u32_e32 v38, vcc_lo, 0, v4, vcc_lo
	flat_load_b32 v8, v[37:38]
	s_or_b32 exec_lo, exec_lo, s0
                                        ; implicit-def: $vgpr23
	s_and_saveexec_b32 s0, s9
	s_cbranch_execz .LBB600_46
.LBB600_69:
	v_lshlrev_b32_e32 v23, 2, v24
	s_delay_alu instid0(VALU_DEP_1)
	v_add_co_u32 v23, vcc_lo, v3, v23
	v_add_co_ci_u32_e32 v24, vcc_lo, 0, v4, vcc_lo
	flat_load_b32 v23, v[23:24]
	s_or_b32 exec_lo, exec_lo, s0
                                        ; implicit-def: $vgpr24
	s_and_saveexec_b32 s0, s10
	s_cbranch_execz .LBB600_47
.LBB600_70:
	v_lshlrev_b32_e32 v24, 2, v26
	s_delay_alu instid0(VALU_DEP_1)
	v_add_co_u32 v37, vcc_lo, v3, v24
	v_add_co_ci_u32_e32 v38, vcc_lo, 0, v4, vcc_lo
	flat_load_b32 v24, v[37:38]
	s_or_b32 exec_lo, exec_lo, s0
                                        ; implicit-def: $vgpr26
	s_and_saveexec_b32 s0, s11
	s_cbranch_execz .LBB600_48
.LBB600_71:
	v_lshlrev_b32_e32 v26, 2, v27
	s_delay_alu instid0(VALU_DEP_1)
	v_add_co_u32 v26, vcc_lo, v3, v26
	v_add_co_ci_u32_e32 v27, vcc_lo, 0, v4, vcc_lo
	flat_load_b32 v26, v[26:27]
	s_or_b32 exec_lo, exec_lo, s0
                                        ; implicit-def: $vgpr27
	s_and_saveexec_b32 s0, s12
	s_cbranch_execz .LBB600_49
.LBB600_72:
	v_lshlrev_b32_e32 v27, 2, v28
	s_delay_alu instid0(VALU_DEP_1)
	v_add_co_u32 v27, vcc_lo, v3, v27
	v_add_co_ci_u32_e32 v28, vcc_lo, 0, v4, vcc_lo
	flat_load_b32 v27, v[27:28]
	s_or_b32 exec_lo, exec_lo, s0
                                        ; implicit-def: $vgpr28
	s_and_saveexec_b32 s0, s13
	s_cbranch_execz .LBB600_50
.LBB600_73:
	v_lshlrev_b32_e32 v28, 2, v29
	s_delay_alu instid0(VALU_DEP_1)
	v_add_co_u32 v28, vcc_lo, v3, v28
	v_add_co_ci_u32_e32 v29, vcc_lo, 0, v4, vcc_lo
	flat_load_b32 v28, v[28:29]
	s_or_b32 exec_lo, exec_lo, s0
                                        ; implicit-def: $vgpr29
	s_and_saveexec_b32 s0, s14
	s_cbranch_execz .LBB600_51
.LBB600_74:
	v_lshlrev_b32_e32 v29, 2, v30
	s_delay_alu instid0(VALU_DEP_1)
	v_add_co_u32 v29, vcc_lo, v3, v29
	v_add_co_ci_u32_e32 v30, vcc_lo, 0, v4, vcc_lo
	flat_load_b32 v29, v[29:30]
	s_or_b32 exec_lo, exec_lo, s0
                                        ; implicit-def: $vgpr30
	s_and_saveexec_b32 s0, s15
	s_cbranch_execnz .LBB600_52
	s_branch .LBB600_53
.LBB600_75:
	s_mov_b32 s15, 0
                                        ; implicit-def: $sgpr4
                                        ; implicit-def: $vgpr78
                                        ; implicit-def: $vgpr24
                                        ; implicit-def: $vgpr23
                                        ; implicit-def: $vgpr26
                                        ; implicit-def: $vgpr25
                                        ; implicit-def: $vgpr28
                                        ; implicit-def: $vgpr27
                                        ; implicit-def: $vgpr30
                                        ; implicit-def: $vgpr29
                                        ; implicit-def: $vgpr32
                                        ; implicit-def: $vgpr31
                                        ; implicit-def: $vgpr34
                                        ; implicit-def: $vgpr33
                                        ; implicit-def: $vgpr36
	s_cbranch_execz .LBB600_59
; %bb.76:
	v_mul_hi_i32 v3, 0x66666667, v10
	v_mul_hi_i32 v4, 0x66666667, v77
	;; [unrolled: 1-line block ×8, first 2 shown]
	v_lshrrev_b32_e32 v8, 31, v3
	v_ashrrev_i32_e32 v23, 2, v3
	v_lshrrev_b32_e32 v24, 31, v4
	v_ashrrev_i32_e32 v4, 2, v4
	v_lshrrev_b32_e32 v25, 31, v5
	v_ashrrev_i32_e32 v5, 2, v5
	v_add_nc_u32_e32 v8, v23, v8
	v_lshrrev_b32_e32 v23, 31, v6
	v_add_nc_u32_e32 v4, v4, v24
	v_ashrrev_i32_e32 v6, 2, v6
	v_add_nc_u32_e32 v5, v5, v25
	v_lshrrev_b32_e32 v25, 31, v7
	v_ashrrev_i32_e32 v7, 2, v7
	v_cmp_ne_u32_e32 vcc_lo, v8, v4
	v_add_nc_u32_e32 v4, v6, v23
	v_mul_hi_i32 v29, 0x66666667, v15
	v_mul_hi_i32 v30, 0x66666667, v18
	v_add_nc_u32_e32 v6, v7, v25
	v_cndmask_b32_e64 v78, 0, 1, vcc_lo
	v_cmp_ne_u32_e32 vcc_lo, v5, v8
	v_lshrrev_b32_e32 v7, 31, v26
	v_ashrrev_i32_e32 v8, 2, v26
	v_lshrrev_b32_e32 v25, 31, v27
	v_ashrrev_i32_e32 v27, 2, v27
	v_cndmask_b32_e64 v24, 0, 1, vcc_lo
	v_cmp_ne_u32_e32 vcc_lo, v4, v5
	v_mul_hi_i32 v31, 0x66666667, v17
	v_lshlrev_b32_e32 v3, 2, v0
	v_add_nc_u32_e32 v5, v27, v25
	v_lshrrev_b32_e32 v27, 31, v29
	v_cndmask_b32_e64 v23, 0, 1, vcc_lo
	v_cmp_ne_u32_e32 vcc_lo, v6, v4
	v_add_nc_u32_e32 v4, v8, v7
	v_lshrrev_b32_e32 v7, 31, v28
	v_ashrrev_i32_e32 v8, 2, v28
	v_ashrrev_i32_e32 v29, 2, v29
	v_cndmask_b32_e64 v26, 0, 1, vcc_lo
	v_cmp_ne_u32_e32 vcc_lo, v4, v6
	ds_store_b32 v3, v77
	s_waitcnt lgkmcnt(0)
	v_add_nc_u32_e32 v6, v29, v27
	v_lshrrev_b32_e32 v29, 31, v31
	v_cndmask_b32_e64 v25, 0, 1, vcc_lo
	v_cmp_ne_u32_e32 vcc_lo, v5, v4
	v_add_nc_u32_e32 v4, v8, v7
	v_lshrrev_b32_e32 v7, 31, v30
	v_ashrrev_i32_e32 v8, 2, v30
	v_ashrrev_i32_e32 v31, 2, v31
	v_cndmask_b32_e64 v28, 0, 1, vcc_lo
	v_cmp_ne_u32_e32 vcc_lo, v4, v5
	s_barrier
	v_add_nc_u32_e32 v5, v8, v7
	v_mul_hi_i32 v7, 0x66666667, v20
	v_mul_hi_i32 v8, 0x66666667, v19
	v_cndmask_b32_e64 v27, 0, 1, vcc_lo
	v_cmp_ne_u32_e32 vcc_lo, v6, v4
	v_add_nc_u32_e32 v4, v31, v29
	buffer_gl0_inv
                                        ; implicit-def: $sgpr4
	v_cndmask_b32_e64 v30, 0, 1, vcc_lo
	v_cmp_ne_u32_e32 vcc_lo, v5, v6
	v_lshrrev_b32_e32 v31, 31, v7
	v_ashrrev_i32_e32 v7, 2, v7
	v_mul_hi_i32 v6, 0x66666667, v22
	v_lshrrev_b32_e32 v33, 31, v8
	v_cndmask_b32_e64 v29, 0, 1, vcc_lo
	v_cmp_ne_u32_e32 vcc_lo, v4, v5
	v_ashrrev_i32_e32 v8, 2, v8
	v_add_nc_u32_e32 v7, v7, v31
	v_mul_hi_i32 v5, 0x66666667, v21
	v_cndmask_b32_e64 v32, 0, 1, vcc_lo
	v_lshrrev_b32_e32 v34, 31, v6
	v_ashrrev_i32_e32 v6, 2, v6
	v_add_nc_u32_e32 v8, v8, v33
	v_cmp_ne_u32_e32 vcc_lo, v7, v4
	v_lshrrev_b32_e32 v35, 31, v5
	v_ashrrev_i32_e32 v5, 2, v5
	v_add_nc_u32_e32 v6, v6, v34
	v_cndmask_b32_e64 v31, 0, 1, vcc_lo
	v_cmp_ne_u32_e32 vcc_lo, v8, v7
	s_delay_alu instid0(VALU_DEP_4) | instskip(SKIP_3) | instid1(VALU_DEP_4)
	v_add_nc_u32_e32 v4, v5, v35
	v_cndmask_b32_e64 v34, 0, 1, vcc_lo
	v_cmp_ne_u32_e32 vcc_lo, v6, v8
	v_cndmask_b32_e64 v33, 0, 1, vcc_lo
	v_cmp_ne_u32_e32 vcc_lo, v4, v6
	v_cndmask_b32_e64 v36, 0, 1, vcc_lo
	s_and_saveexec_b32 s0, s3
	s_delay_alu instid0(SALU_CYCLE_1)
	s_xor_b32 s0, exec_lo, s0
	s_cbranch_execz .LBB600_78
; %bb.77:
	v_add_nc_u32_e32 v3, -4, v3
	s_or_b32 s15, s15, exec_lo
	ds_load_b32 v3, v3
	s_waitcnt lgkmcnt(0)
	v_mul_hi_i32 v3, 0x66666667, v3
	s_delay_alu instid0(VALU_DEP_1) | instskip(SKIP_1) | instid1(VALU_DEP_1)
	v_lshrrev_b32_e32 v5, 31, v3
	v_ashrrev_i32_e32 v3, 2, v3
	v_add_nc_u32_e32 v3, v3, v5
	s_delay_alu instid0(VALU_DEP_1)
	v_cmp_ne_u32_e32 vcc_lo, v3, v4
	s_and_b32 s4, vcc_lo, exec_lo
.LBB600_78:
	s_or_b32 exec_lo, exec_lo, s0
	s_mov_b32 s0, 1
	s_branch .LBB600_114
.LBB600_79:
	s_mul_hi_u32 s0, s24, 0xfffff100
	s_mul_i32 s1, s25, 0xfffff100
	s_sub_i32 s0, s0, s24
	s_mul_i32 s4, s24, 0xfffff100
	s_add_i32 s1, s0, s1
	s_add_u32 s0, s4, s36
	s_addc_u32 s1, s1, s37
	s_and_b32 vcc_lo, exec_lo, s16
	s_cbranch_vccz .LBB600_199
; %bb.80:
	v_add_co_u32 v1, vcc_lo, -4, v1
	v_add_co_ci_u32_e32 v2, vcc_lo, -1, v2, vcc_lo
	v_mad_u32_u24 v23, v0, 15, 14
	v_mov_b32_e32 v24, 0
	v_mov_b32_e32 v78, 0
	flat_load_b32 v3, v[1:2]
	v_lshlrev_b32_e32 v2, 2, v0
	v_mul_u32_u24_e32 v1, 15, v0
	s_mov_b32 s4, exec_lo
	ds_store_b32 v2, v77
	v_cmpx_gt_u64_e64 s[0:1], v[23:24]
; %bb.81:
	v_mul_hi_i32 v4, 0x66666667, v10
	v_mul_hi_i32 v5, 0x66666667, v77
	s_delay_alu instid0(VALU_DEP_2) | instskip(SKIP_1) | instid1(VALU_DEP_3)
	v_lshrrev_b32_e32 v6, 31, v4
	v_ashrrev_i32_e32 v4, 2, v4
	v_lshrrev_b32_e32 v7, 31, v5
	v_ashrrev_i32_e32 v5, 2, v5
	s_delay_alu instid0(VALU_DEP_3) | instskip(NEXT) | instid1(VALU_DEP_2)
	v_add_nc_u32_e32 v4, v4, v6
	v_add_nc_u32_e32 v5, v5, v7
	s_delay_alu instid0(VALU_DEP_1)
	v_cmp_ne_u32_e32 vcc_lo, v4, v5
	v_cndmask_b32_e64 v78, 0, 1, vcc_lo
; %bb.82:
	s_or_b32 exec_lo, exec_lo, s4
	v_add_nc_u32_e32 v23, 13, v1
	s_mov_b32 s4, exec_lo
	s_delay_alu instid0(VALU_DEP_1)
	v_cmpx_gt_u64_e64 s[0:1], v[23:24]
; %bb.83:
	v_mul_hi_i32 v4, 0x66666667, v9
	v_mul_hi_i32 v5, 0x66666667, v10
	s_delay_alu instid0(VALU_DEP_2) | instskip(SKIP_1) | instid1(VALU_DEP_3)
	v_lshrrev_b32_e32 v6, 31, v4
	v_ashrrev_i32_e32 v4, 2, v4
	v_lshrrev_b32_e32 v7, 31, v5
	v_ashrrev_i32_e32 v5, 2, v5
	s_delay_alu instid0(VALU_DEP_3) | instskip(NEXT) | instid1(VALU_DEP_2)
	v_add_nc_u32_e32 v4, v4, v6
	v_add_nc_u32_e32 v5, v5, v7
	s_delay_alu instid0(VALU_DEP_1)
	v_cmp_ne_u32_e32 vcc_lo, v4, v5
	v_cndmask_b32_e64 v24, 0, 1, vcc_lo
; %bb.84:
	s_or_b32 exec_lo, exec_lo, s4
	v_dual_mov_b32 v26, 0 :: v_dual_add_nc_u32 v25, 12, v1
	v_mov_b32_e32 v23, 0
	s_mov_b32 s4, exec_lo
	s_delay_alu instid0(VALU_DEP_2)
	v_cmpx_gt_u64_e64 s[0:1], v[25:26]
; %bb.85:
	v_mul_hi_i32 v4, 0x66666667, v12
	v_mul_hi_i32 v5, 0x66666667, v9
	s_delay_alu instid0(VALU_DEP_2) | instskip(SKIP_1) | instid1(VALU_DEP_3)
	v_lshrrev_b32_e32 v6, 31, v4
	v_ashrrev_i32_e32 v4, 2, v4
	v_lshrrev_b32_e32 v7, 31, v5
	v_ashrrev_i32_e32 v5, 2, v5
	s_delay_alu instid0(VALU_DEP_3) | instskip(NEXT) | instid1(VALU_DEP_2)
	v_add_nc_u32_e32 v4, v4, v6
	v_add_nc_u32_e32 v5, v5, v7
	s_delay_alu instid0(VALU_DEP_1)
	v_cmp_ne_u32_e32 vcc_lo, v4, v5
	v_cndmask_b32_e64 v23, 0, 1, vcc_lo
; %bb.86:
	s_or_b32 exec_lo, exec_lo, s4
	v_add_nc_u32_e32 v25, 11, v1
	s_mov_b32 s4, exec_lo
	s_delay_alu instid0(VALU_DEP_1)
	v_cmpx_gt_u64_e64 s[0:1], v[25:26]
; %bb.87:
	v_mul_hi_i32 v4, 0x66666667, v11
	v_mul_hi_i32 v5, 0x66666667, v12
	s_delay_alu instid0(VALU_DEP_2) | instskip(SKIP_1) | instid1(VALU_DEP_3)
	v_lshrrev_b32_e32 v6, 31, v4
	v_ashrrev_i32_e32 v4, 2, v4
	v_lshrrev_b32_e32 v7, 31, v5
	v_ashrrev_i32_e32 v5, 2, v5
	s_delay_alu instid0(VALU_DEP_3) | instskip(NEXT) | instid1(VALU_DEP_2)
	v_add_nc_u32_e32 v4, v4, v6
	v_add_nc_u32_e32 v5, v5, v7
	s_delay_alu instid0(VALU_DEP_1)
	v_cmp_ne_u32_e32 vcc_lo, v4, v5
	v_cndmask_b32_e64 v26, 0, 1, vcc_lo
; %bb.88:
	s_or_b32 exec_lo, exec_lo, s4
	v_dual_mov_b32 v28, 0 :: v_dual_add_nc_u32 v27, 10, v1
	v_mov_b32_e32 v25, 0
	s_mov_b32 s4, exec_lo
	s_delay_alu instid0(VALU_DEP_2)
	v_cmpx_gt_u64_e64 s[0:1], v[27:28]
; %bb.89:
	v_mul_hi_i32 v4, 0x66666667, v14
	v_mul_hi_i32 v5, 0x66666667, v11
	s_delay_alu instid0(VALU_DEP_2) | instskip(SKIP_1) | instid1(VALU_DEP_3)
	v_lshrrev_b32_e32 v6, 31, v4
	v_ashrrev_i32_e32 v4, 2, v4
	v_lshrrev_b32_e32 v7, 31, v5
	v_ashrrev_i32_e32 v5, 2, v5
	s_delay_alu instid0(VALU_DEP_3) | instskip(NEXT) | instid1(VALU_DEP_2)
	v_add_nc_u32_e32 v4, v4, v6
	v_add_nc_u32_e32 v5, v5, v7
	s_delay_alu instid0(VALU_DEP_1)
	v_cmp_ne_u32_e32 vcc_lo, v4, v5
	v_cndmask_b32_e64 v25, 0, 1, vcc_lo
; %bb.90:
	s_or_b32 exec_lo, exec_lo, s4
	v_add_nc_u32_e32 v27, 9, v1
	s_mov_b32 s4, exec_lo
	s_delay_alu instid0(VALU_DEP_1)
	v_cmpx_gt_u64_e64 s[0:1], v[27:28]
; %bb.91:
	v_mul_hi_i32 v4, 0x66666667, v13
	v_mul_hi_i32 v5, 0x66666667, v14
	s_delay_alu instid0(VALU_DEP_2) | instskip(SKIP_1) | instid1(VALU_DEP_3)
	v_lshrrev_b32_e32 v6, 31, v4
	v_ashrrev_i32_e32 v4, 2, v4
	v_lshrrev_b32_e32 v7, 31, v5
	v_ashrrev_i32_e32 v5, 2, v5
	s_delay_alu instid0(VALU_DEP_3) | instskip(NEXT) | instid1(VALU_DEP_2)
	v_add_nc_u32_e32 v4, v4, v6
	v_add_nc_u32_e32 v5, v5, v7
	s_delay_alu instid0(VALU_DEP_1)
	v_cmp_ne_u32_e32 vcc_lo, v4, v5
	v_cndmask_b32_e64 v28, 0, 1, vcc_lo
; %bb.92:
	s_or_b32 exec_lo, exec_lo, s4
	v_dual_mov_b32 v30, 0 :: v_dual_add_nc_u32 v29, 8, v1
	v_mov_b32_e32 v27, 0
	s_mov_b32 s4, exec_lo
	s_delay_alu instid0(VALU_DEP_2)
	v_cmpx_gt_u64_e64 s[0:1], v[29:30]
; %bb.93:
	v_mul_hi_i32 v4, 0x66666667, v16
	v_mul_hi_i32 v5, 0x66666667, v13
	s_delay_alu instid0(VALU_DEP_2) | instskip(SKIP_1) | instid1(VALU_DEP_3)
	v_lshrrev_b32_e32 v6, 31, v4
	v_ashrrev_i32_e32 v4, 2, v4
	v_lshrrev_b32_e32 v7, 31, v5
	v_ashrrev_i32_e32 v5, 2, v5
	s_delay_alu instid0(VALU_DEP_3) | instskip(NEXT) | instid1(VALU_DEP_2)
	v_add_nc_u32_e32 v4, v4, v6
	v_add_nc_u32_e32 v5, v5, v7
	s_delay_alu instid0(VALU_DEP_1)
	v_cmp_ne_u32_e32 vcc_lo, v4, v5
	v_cndmask_b32_e64 v27, 0, 1, vcc_lo
; %bb.94:
	s_or_b32 exec_lo, exec_lo, s4
	v_add_nc_u32_e32 v29, 7, v1
	s_mov_b32 s4, exec_lo
	s_delay_alu instid0(VALU_DEP_1)
	v_cmpx_gt_u64_e64 s[0:1], v[29:30]
; %bb.95:
	v_mul_hi_i32 v4, 0x66666667, v15
	v_mul_hi_i32 v5, 0x66666667, v16
	s_delay_alu instid0(VALU_DEP_2) | instskip(SKIP_1) | instid1(VALU_DEP_3)
	v_lshrrev_b32_e32 v6, 31, v4
	v_ashrrev_i32_e32 v4, 2, v4
	v_lshrrev_b32_e32 v7, 31, v5
	v_ashrrev_i32_e32 v5, 2, v5
	s_delay_alu instid0(VALU_DEP_3) | instskip(NEXT) | instid1(VALU_DEP_2)
	v_add_nc_u32_e32 v4, v4, v6
	v_add_nc_u32_e32 v5, v5, v7
	s_delay_alu instid0(VALU_DEP_1)
	v_cmp_ne_u32_e32 vcc_lo, v4, v5
	v_cndmask_b32_e64 v30, 0, 1, vcc_lo
; %bb.96:
	s_or_b32 exec_lo, exec_lo, s4
	v_dual_mov_b32 v32, 0 :: v_dual_add_nc_u32 v31, 6, v1
	v_mov_b32_e32 v29, 0
	s_mov_b32 s4, exec_lo
	s_delay_alu instid0(VALU_DEP_2)
	v_cmpx_gt_u64_e64 s[0:1], v[31:32]
; %bb.97:
	v_mul_hi_i32 v4, 0x66666667, v18
	v_mul_hi_i32 v5, 0x66666667, v15
	s_delay_alu instid0(VALU_DEP_2) | instskip(SKIP_1) | instid1(VALU_DEP_3)
	v_lshrrev_b32_e32 v6, 31, v4
	v_ashrrev_i32_e32 v4, 2, v4
	v_lshrrev_b32_e32 v7, 31, v5
	v_ashrrev_i32_e32 v5, 2, v5
	s_delay_alu instid0(VALU_DEP_3) | instskip(NEXT) | instid1(VALU_DEP_2)
	v_add_nc_u32_e32 v4, v4, v6
	v_add_nc_u32_e32 v5, v5, v7
	s_delay_alu instid0(VALU_DEP_1)
	v_cmp_ne_u32_e32 vcc_lo, v4, v5
	v_cndmask_b32_e64 v29, 0, 1, vcc_lo
; %bb.98:
	s_or_b32 exec_lo, exec_lo, s4
	v_add_nc_u32_e32 v31, 5, v1
	s_mov_b32 s4, exec_lo
	s_delay_alu instid0(VALU_DEP_1)
	v_cmpx_gt_u64_e64 s[0:1], v[31:32]
; %bb.99:
	v_mul_hi_i32 v4, 0x66666667, v17
	v_mul_hi_i32 v5, 0x66666667, v18
	s_delay_alu instid0(VALU_DEP_2) | instskip(SKIP_1) | instid1(VALU_DEP_3)
	v_lshrrev_b32_e32 v6, 31, v4
	v_ashrrev_i32_e32 v4, 2, v4
	v_lshrrev_b32_e32 v7, 31, v5
	v_ashrrev_i32_e32 v5, 2, v5
	s_delay_alu instid0(VALU_DEP_3) | instskip(NEXT) | instid1(VALU_DEP_2)
	v_add_nc_u32_e32 v4, v4, v6
	v_add_nc_u32_e32 v5, v5, v7
	s_delay_alu instid0(VALU_DEP_1)
	v_cmp_ne_u32_e32 vcc_lo, v4, v5
	v_cndmask_b32_e64 v32, 0, 1, vcc_lo
; %bb.100:
	s_or_b32 exec_lo, exec_lo, s4
	v_dual_mov_b32 v34, 0 :: v_dual_add_nc_u32 v33, 4, v1
	v_mov_b32_e32 v31, 0
	s_mov_b32 s4, exec_lo
	s_delay_alu instid0(VALU_DEP_2)
	v_cmpx_gt_u64_e64 s[0:1], v[33:34]
; %bb.101:
	v_mul_hi_i32 v4, 0x66666667, v20
	v_mul_hi_i32 v5, 0x66666667, v17
	s_delay_alu instid0(VALU_DEP_2) | instskip(SKIP_1) | instid1(VALU_DEP_3)
	v_lshrrev_b32_e32 v6, 31, v4
	v_ashrrev_i32_e32 v4, 2, v4
	v_lshrrev_b32_e32 v7, 31, v5
	v_ashrrev_i32_e32 v5, 2, v5
	s_delay_alu instid0(VALU_DEP_3) | instskip(NEXT) | instid1(VALU_DEP_2)
	v_add_nc_u32_e32 v4, v4, v6
	v_add_nc_u32_e32 v5, v5, v7
	s_delay_alu instid0(VALU_DEP_1)
	v_cmp_ne_u32_e32 vcc_lo, v4, v5
	v_cndmask_b32_e64 v31, 0, 1, vcc_lo
; %bb.102:
	s_or_b32 exec_lo, exec_lo, s4
	v_add_nc_u32_e32 v33, 3, v1
	s_mov_b32 s4, exec_lo
	s_delay_alu instid0(VALU_DEP_1)
	v_cmpx_gt_u64_e64 s[0:1], v[33:34]
; %bb.103:
	v_mul_hi_i32 v4, 0x66666667, v19
	v_mul_hi_i32 v5, 0x66666667, v20
	s_delay_alu instid0(VALU_DEP_2) | instskip(SKIP_1) | instid1(VALU_DEP_3)
	v_lshrrev_b32_e32 v6, 31, v4
	v_ashrrev_i32_e32 v4, 2, v4
	v_lshrrev_b32_e32 v7, 31, v5
	v_ashrrev_i32_e32 v5, 2, v5
	s_delay_alu instid0(VALU_DEP_3) | instskip(NEXT) | instid1(VALU_DEP_2)
	v_add_nc_u32_e32 v4, v4, v6
	v_add_nc_u32_e32 v5, v5, v7
	s_delay_alu instid0(VALU_DEP_1)
	v_cmp_ne_u32_e32 vcc_lo, v4, v5
	v_cndmask_b32_e64 v34, 0, 1, vcc_lo
; %bb.104:
	s_or_b32 exec_lo, exec_lo, s4
	v_dual_mov_b32 v36, 0 :: v_dual_add_nc_u32 v35, 2, v1
	v_mov_b32_e32 v33, 0
	s_mov_b32 s4, exec_lo
	s_delay_alu instid0(VALU_DEP_2)
	v_cmpx_gt_u64_e64 s[0:1], v[35:36]
; %bb.105:
	v_mul_hi_i32 v4, 0x66666667, v22
	v_mul_hi_i32 v5, 0x66666667, v19
	s_delay_alu instid0(VALU_DEP_2) | instskip(SKIP_1) | instid1(VALU_DEP_3)
	v_lshrrev_b32_e32 v6, 31, v4
	v_ashrrev_i32_e32 v4, 2, v4
	v_lshrrev_b32_e32 v7, 31, v5
	v_ashrrev_i32_e32 v5, 2, v5
	s_delay_alu instid0(VALU_DEP_3) | instskip(NEXT) | instid1(VALU_DEP_2)
	v_add_nc_u32_e32 v4, v4, v6
	v_add_nc_u32_e32 v5, v5, v7
	s_delay_alu instid0(VALU_DEP_1)
	v_cmp_ne_u32_e32 vcc_lo, v4, v5
	v_cndmask_b32_e64 v33, 0, 1, vcc_lo
; %bb.106:
	s_or_b32 exec_lo, exec_lo, s4
	v_add_nc_u32_e32 v35, 1, v1
	s_mov_b32 s4, exec_lo
	s_delay_alu instid0(VALU_DEP_1)
	v_cmpx_gt_u64_e64 s[0:1], v[35:36]
; %bb.107:
	v_mul_hi_i32 v4, 0x66666667, v21
	v_mul_hi_i32 v5, 0x66666667, v22
	s_delay_alu instid0(VALU_DEP_2) | instskip(SKIP_1) | instid1(VALU_DEP_3)
	v_lshrrev_b32_e32 v6, 31, v4
	v_ashrrev_i32_e32 v4, 2, v4
	v_lshrrev_b32_e32 v7, 31, v5
	v_ashrrev_i32_e32 v5, 2, v5
	s_delay_alu instid0(VALU_DEP_3) | instskip(NEXT) | instid1(VALU_DEP_2)
	v_add_nc_u32_e32 v4, v4, v6
	v_add_nc_u32_e32 v5, v5, v7
	s_delay_alu instid0(VALU_DEP_1)
	v_cmp_ne_u32_e32 vcc_lo, v4, v5
	v_cndmask_b32_e64 v36, 0, 1, vcc_lo
; %bb.108:
	s_or_b32 exec_lo, exec_lo, s4
	s_waitcnt vmcnt(0) lgkmcnt(0)
	s_barrier
	buffer_gl0_inv
	s_and_saveexec_b32 s4, s3
	s_cbranch_execz .LBB600_110
; %bb.109:
	v_add_nc_u32_e32 v2, -4, v2
	ds_load_b32 v3, v2
.LBB600_110:
	s_or_b32 exec_lo, exec_lo, s4
	v_mov_b32_e32 v2, 0
	s_mov_b32 s5, 0
	s_mov_b32 s4, 0
	s_mov_b32 s6, exec_lo
	s_delay_alu instid0(VALU_DEP_1)
	v_cmpx_gt_u64_e64 s[0:1], v[1:2]
	s_cbranch_execz .LBB600_112
; %bb.111:
	s_waitcnt lgkmcnt(0)
	v_mul_hi_i32 v1, 0x66666667, v3
	v_mul_hi_i32 v2, 0x66666667, v21
	s_delay_alu instid0(VALU_DEP_2) | instskip(SKIP_1) | instid1(VALU_DEP_3)
	v_lshrrev_b32_e32 v3, 31, v1
	v_ashrrev_i32_e32 v1, 2, v1
	v_lshrrev_b32_e32 v4, 31, v2
	v_ashrrev_i32_e32 v2, 2, v2
	s_delay_alu instid0(VALU_DEP_3) | instskip(NEXT) | instid1(VALU_DEP_2)
	v_add_nc_u32_e32 v1, v1, v3
	v_add_nc_u32_e32 v2, v2, v4
	s_delay_alu instid0(VALU_DEP_1)
	v_cmp_ne_u32_e32 vcc_lo, v1, v2
	s_and_b32 s4, vcc_lo, exec_lo
.LBB600_112:
	s_or_b32 exec_lo, exec_lo, s6
	s_mov_b32 s15, -1
	s_and_b32 vcc_lo, exec_lo, s5
	s_cbranch_vccnz .LBB600_200
.LBB600_113:
                                        ; implicit-def: $sgpr0
.LBB600_114:
	v_mov_b32_e32 v35, s0
	s_and_saveexec_b32 s0, s15
.LBB600_115:
	s_delay_alu instid0(VALU_DEP_2)
	v_cndmask_b32_e64 v35, 0, 1, s4
.LBB600_116:
	s_or_b32 exec_lo, exec_lo, s0
	s_delay_alu instid0(VALU_DEP_1)
	v_add3_u32 v1, v36, v35, v33
	v_cmp_eq_u32_e64 s13, 0, v36
	v_cmp_eq_u32_e64 s12, 0, v33
	;; [unrolled: 1-line block ×4, first 2 shown]
	v_add3_u32 v84, v1, v34, v31
	v_cmp_eq_u32_e64 s9, 0, v32
	v_cmp_eq_u32_e64 s8, 0, v29
	v_cmp_eq_u32_e64 s7, 0, v30
	v_cmp_eq_u32_e64 s6, 0, v27
	v_cmp_eq_u32_e64 s5, 0, v28
	v_cmp_eq_u32_e64 s4, 0, v25
	v_cmp_eq_u32_e64 s3, 0, v26
	v_cmp_eq_u32_e64 s1, 0, v23
	v_cmp_eq_u32_e64 s0, 0, v24
	v_cmp_eq_u32_e32 vcc_lo, 0, v78
	v_mbcnt_lo_u32_b32 v81, -1, 0
	v_lshrrev_b32_e32 v82, 5, v0
	v_or_b32_e32 v83, 31, v0
	s_cmp_eq_u64 s[22:23], 0
	s_cselect_b32 s16, -1, 0
	s_cmp_lg_u32 s33, 0
	s_cbranch_scc0 .LBB600_147
; %bb.117:
	v_cndmask_b32_e64 v1, 0, v49, s13
	v_add3_u32 v2, v84, v32, v29
	s_delay_alu instid0(VALU_DEP_2) | instskip(NEXT) | instid1(VALU_DEP_2)
	v_add_nc_u32_e32 v1, v1, v50
	v_add3_u32 v2, v2, v30, v27
	s_delay_alu instid0(VALU_DEP_2) | instskip(NEXT) | instid1(VALU_DEP_2)
	v_cndmask_b32_e64 v1, 0, v1, s12
	v_add3_u32 v2, v2, v28, v25
	s_delay_alu instid0(VALU_DEP_2) | instskip(NEXT) | instid1(VALU_DEP_2)
	v_add_nc_u32_e32 v1, v1, v47
	v_add3_u32 v2, v2, v26, v23
	s_delay_alu instid0(VALU_DEP_2) | instskip(NEXT) | instid1(VALU_DEP_2)
	v_cndmask_b32_e64 v1, 0, v1, s11
	v_add3_u32 v2, v2, v24, v78
	s_delay_alu instid0(VALU_DEP_2) | instskip(NEXT) | instid1(VALU_DEP_2)
	v_add_nc_u32_e32 v1, v1, v48
	v_mov_b32_dpp v5, v2 row_shr:1 row_mask:0xf bank_mask:0xf
	s_delay_alu instid0(VALU_DEP_2) | instskip(NEXT) | instid1(VALU_DEP_1)
	v_cndmask_b32_e64 v1, 0, v1, s10
	v_add_nc_u32_e32 v1, v1, v45
	s_delay_alu instid0(VALU_DEP_1) | instskip(NEXT) | instid1(VALU_DEP_1)
	v_cndmask_b32_e64 v1, 0, v1, s9
	v_add_nc_u32_e32 v1, v1, v46
	s_delay_alu instid0(VALU_DEP_1) | instskip(NEXT) | instid1(VALU_DEP_1)
	;; [unrolled: 3-line block ×9, first 2 shown]
	v_cndmask_b32_e64 v1, 0, v1, s0
	v_add_nc_u32_e32 v1, v1, v38
	s_delay_alu instid0(VALU_DEP_1) | instskip(SKIP_1) | instid1(VALU_DEP_2)
	v_cndmask_b32_e32 v1, 0, v1, vcc_lo
	v_cmp_eq_u32_e32 vcc_lo, 0, v2
	v_add_nc_u32_e32 v1, v1, v79
	s_waitcnt lgkmcnt(0)
	s_delay_alu instid0(VALU_DEP_1) | instskip(NEXT) | instid1(VALU_DEP_1)
	v_mov_b32_dpp v3, v1 row_shr:1 row_mask:0xf bank_mask:0xf
	v_dual_cndmask_b32 v3, 0, v3 :: v_dual_and_b32 v4, 15, v81
	s_delay_alu instid0(VALU_DEP_1) | instskip(SKIP_2) | instid1(VALU_DEP_4)
	v_cmp_eq_u32_e32 vcc_lo, 0, v4
	v_cmp_lt_u32_e64 s14, 1, v4
	v_cndmask_b32_e64 v5, v5, 0, vcc_lo
	v_cndmask_b32_e64 v3, v3, 0, vcc_lo
	s_delay_alu instid0(VALU_DEP_2) | instskip(NEXT) | instid1(VALU_DEP_2)
	v_add_nc_u32_e32 v2, v5, v2
	v_add_nc_u32_e32 v1, v3, v1
	s_delay_alu instid0(VALU_DEP_2) | instskip(SKIP_1) | instid1(VALU_DEP_3)
	v_mov_b32_dpp v3, v2 row_shr:2 row_mask:0xf bank_mask:0xf
	v_cmp_eq_u32_e32 vcc_lo, 0, v2
	v_mov_b32_dpp v5, v1 row_shr:2 row_mask:0xf bank_mask:0xf
	s_delay_alu instid0(VALU_DEP_3) | instskip(SKIP_2) | instid1(VALU_DEP_2)
	v_cndmask_b32_e64 v3, 0, v3, s14
	s_and_b32 vcc_lo, s14, vcc_lo
	v_cmp_lt_u32_e64 s14, 3, v4
	v_dual_cndmask_b32 v5, 0, v5 :: v_dual_add_nc_u32 v2, v2, v3
	s_delay_alu instid0(VALU_DEP_1) | instskip(NEXT) | instid1(VALU_DEP_2)
	v_add_nc_u32_e32 v1, v5, v1
	v_mov_b32_dpp v3, v2 row_shr:4 row_mask:0xf bank_mask:0xf
	v_cmp_eq_u32_e32 vcc_lo, 0, v2
	s_delay_alu instid0(VALU_DEP_3) | instskip(NEXT) | instid1(VALU_DEP_3)
	v_mov_b32_dpp v5, v1 row_shr:4 row_mask:0xf bank_mask:0xf
	v_cndmask_b32_e64 v3, 0, v3, s14
	s_and_b32 vcc_lo, s14, vcc_lo
	v_cmp_lt_u32_e64 s14, 7, v4
	s_delay_alu instid0(VALU_DEP_2) | instskip(NEXT) | instid1(VALU_DEP_1)
	v_dual_cndmask_b32 v5, 0, v5 :: v_dual_add_nc_u32 v2, v3, v2
	v_add_nc_u32_e32 v1, v1, v5
	v_bfe_i32 v5, v81, 4, 1
	s_delay_alu instid0(VALU_DEP_3) | instskip(SKIP_1) | instid1(VALU_DEP_4)
	v_cmp_eq_u32_e32 vcc_lo, 0, v2
	v_mov_b32_dpp v3, v2 row_shr:8 row_mask:0xf bank_mask:0xf
	v_mov_b32_dpp v4, v1 row_shr:8 row_mask:0xf bank_mask:0xf
	s_and_b32 vcc_lo, s14, vcc_lo
	s_delay_alu instid0(VALU_DEP_2) | instskip(SKIP_1) | instid1(VALU_DEP_2)
	v_cndmask_b32_e64 v3, 0, v3, s14
	s_mov_b32 s14, exec_lo
	v_cndmask_b32_e32 v4, 0, v4, vcc_lo
	s_delay_alu instid0(VALU_DEP_1) | instskip(NEXT) | instid1(VALU_DEP_3)
	v_add_nc_u32_e32 v4, v4, v1
	v_add_nc_u32_e32 v1, v3, v2
	ds_swizzle_b32 v2, v4 offset:swizzle(BROADCAST,32,15)
	ds_swizzle_b32 v3, v1 offset:swizzle(BROADCAST,32,15)
	v_cmp_eq_u32_e32 vcc_lo, 0, v1
	s_waitcnt lgkmcnt(0)
	v_dual_cndmask_b32 v2, 0, v2 :: v_dual_and_b32 v3, v5, v3
	s_delay_alu instid0(VALU_DEP_1) | instskip(NEXT) | instid1(VALU_DEP_2)
	v_and_b32_e32 v2, v5, v2
	v_add_nc_u32_e32 v1, v3, v1
	v_lshlrev_b32_e32 v3, 3, v82
	s_delay_alu instid0(VALU_DEP_3)
	v_add_nc_u32_e32 v2, v2, v4
	v_cmpx_eq_u32_e64 v83, v0
	s_cbranch_execz .LBB600_119
; %bb.118:
	ds_store_b64 v3, v[1:2] offset:2064
.LBB600_119:
	s_or_b32 exec_lo, exec_lo, s14
	s_delay_alu instid0(SALU_CYCLE_1)
	s_mov_b32 s15, exec_lo
	s_waitcnt lgkmcnt(0)
	s_barrier
	buffer_gl0_inv
	v_cmpx_gt_u32_e32 8, v0
	s_cbranch_execz .LBB600_121
; %bb.120:
	v_lshlrev_b32_e32 v6, 3, v0
	v_and_b32_e32 v8, 7, v81
	ds_load_b64 v[4:5], v6 offset:2064
	v_cmp_lt_u32_e64 s14, 1, v8
	s_waitcnt lgkmcnt(0)
	v_mov_b32_dpp v7, v5 row_shr:1 row_mask:0xf bank_mask:0xf
	v_cmp_eq_u32_e32 vcc_lo, 0, v4
	v_mov_b32_dpp v51, v4 row_shr:1 row_mask:0xf bank_mask:0xf
	s_delay_alu instid0(VALU_DEP_3) | instskip(SKIP_1) | instid1(VALU_DEP_3)
	v_cndmask_b32_e32 v7, 0, v7, vcc_lo
	v_cmp_eq_u32_e32 vcc_lo, 0, v8
	v_cndmask_b32_e64 v51, v51, 0, vcc_lo
	s_delay_alu instid0(VALU_DEP_3) | instskip(NEXT) | instid1(VALU_DEP_2)
	v_cndmask_b32_e64 v7, v7, 0, vcc_lo
	v_add_nc_u32_e32 v4, v51, v4
	s_delay_alu instid0(VALU_DEP_2) | instskip(NEXT) | instid1(VALU_DEP_2)
	v_add_nc_u32_e32 v5, v7, v5
	v_mov_b32_dpp v7, v4 row_shr:2 row_mask:0xf bank_mask:0xf
	v_cmp_eq_u32_e32 vcc_lo, 0, v4
	s_delay_alu instid0(VALU_DEP_3) | instskip(NEXT) | instid1(VALU_DEP_3)
	v_mov_b32_dpp v51, v5 row_shr:2 row_mask:0xf bank_mask:0xf
	v_cndmask_b32_e64 v7, 0, v7, s14
	s_and_b32 vcc_lo, s14, vcc_lo
	s_delay_alu instid0(VALU_DEP_2) | instskip(SKIP_1) | instid1(VALU_DEP_3)
	v_cndmask_b32_e32 v51, 0, v51, vcc_lo
	v_cmp_lt_u32_e64 s14, 3, v8
	v_add_nc_u32_e32 v4, v7, v4
	s_delay_alu instid0(VALU_DEP_3) | instskip(NEXT) | instid1(VALU_DEP_2)
	v_add_nc_u32_e32 v5, v51, v5
	v_cmp_eq_u32_e32 vcc_lo, 0, v4
	v_mov_b32_dpp v7, v4 row_shr:4 row_mask:0xf bank_mask:0xf
	s_delay_alu instid0(VALU_DEP_3) | instskip(SKIP_1) | instid1(VALU_DEP_2)
	v_mov_b32_dpp v8, v5 row_shr:4 row_mask:0xf bank_mask:0xf
	s_and_b32 vcc_lo, s14, vcc_lo
	v_cndmask_b32_e64 v7, 0, v7, s14
	s_delay_alu instid0(VALU_DEP_2) | instskip(NEXT) | instid1(VALU_DEP_2)
	v_cndmask_b32_e32 v8, 0, v8, vcc_lo
	v_add_nc_u32_e32 v4, v7, v4
	s_delay_alu instid0(VALU_DEP_2)
	v_add_nc_u32_e32 v5, v8, v5
	ds_store_b64 v6, v[4:5] offset:2064
.LBB600_121:
	s_or_b32 exec_lo, exec_lo, s15
	v_cmp_gt_u32_e32 vcc_lo, 32, v0
	v_dual_mov_b32 v51, 0 :: v_dual_mov_b32 v52, 0
	s_mov_b32 s15, exec_lo
	s_waitcnt lgkmcnt(0)
	s_barrier
	buffer_gl0_inv
	v_cmpx_lt_u32_e32 31, v0
	s_cbranch_execz .LBB600_123
; %bb.122:
	ds_load_b64 v[51:52], v3 offset:2056
	v_cmp_eq_u32_e64 s14, 0, v1
	s_waitcnt lgkmcnt(0)
	s_delay_alu instid0(VALU_DEP_1) | instskip(SKIP_1) | instid1(VALU_DEP_2)
	v_cndmask_b32_e64 v3, 0, v52, s14
	v_add_nc_u32_e32 v1, v51, v1
	v_add_nc_u32_e32 v2, v3, v2
.LBB600_123:
	s_or_b32 exec_lo, exec_lo, s15
	v_add_nc_u32_e32 v3, -1, v81
	s_delay_alu instid0(VALU_DEP_1) | instskip(NEXT) | instid1(VALU_DEP_1)
	v_cmp_gt_i32_e64 s14, 0, v3
	v_cndmask_b32_e64 v3, v3, v81, s14
	v_cmp_eq_u32_e64 s14, 0, v81
	s_delay_alu instid0(VALU_DEP_2)
	v_lshlrev_b32_e32 v3, 2, v3
	ds_bpermute_b32 v57, v3, v1
	ds_bpermute_b32 v58, v3, v2
	s_and_saveexec_b32 s22, vcc_lo
	s_cbranch_execz .LBB600_146
; %bb.124:
	v_mov_b32_e32 v4, 0
	ds_load_b64 v[1:2], v4 offset:2120
	s_waitcnt lgkmcnt(0)
	v_readfirstlane_b32 s23, v2
	s_and_saveexec_b32 s15, s14
	s_cbranch_execz .LBB600_126
; %bb.125:
	s_add_i32 s24, s33, 32
	s_mov_b32 s25, 0
	v_mov_b32_e32 v3, 1
	s_lshl_b64 s[36:37], s[24:25], 4
	s_mov_b32 s40, s25
	s_add_u32 s36, s20, s36
	s_addc_u32 s37, s21, s37
	s_and_b32 s41, s23, 0xff000000
	s_and_b32 s43, s23, 0xff0000
	s_mov_b32 s42, s25
	v_dual_mov_b32 v5, s36 :: v_dual_mov_b32 v6, s37
	s_or_b64 s[40:41], s[42:43], s[40:41]
	s_and_b32 s43, s23, 0xff00
	s_delay_alu instid0(SALU_CYCLE_1) | instskip(SKIP_1) | instid1(SALU_CYCLE_1)
	s_or_b64 s[40:41], s[40:41], s[42:43]
	s_and_b32 s43, s23, 0xff
	s_or_b64 s[24:25], s[40:41], s[42:43]
	s_delay_alu instid0(SALU_CYCLE_1)
	v_mov_b32_e32 v2, s25
	;;#ASMSTART
	global_store_dwordx4 v[5:6], v[1:4] off	
s_waitcnt vmcnt(0)
	;;#ASMEND
.LBB600_126:
	s_or_b32 exec_lo, exec_lo, s15
	v_xad_u32 v53, v81, -1, s33
	s_mov_b32 s24, 0
	s_mov_b32 s15, exec_lo
	s_delay_alu instid0(VALU_DEP_1) | instskip(NEXT) | instid1(VALU_DEP_1)
	v_add_nc_u32_e32 v3, 32, v53
	v_lshlrev_b64 v[2:3], 4, v[3:4]
	s_delay_alu instid0(VALU_DEP_1) | instskip(NEXT) | instid1(VALU_DEP_2)
	v_add_co_u32 v2, vcc_lo, s20, v2
	v_add_co_ci_u32_e32 v3, vcc_lo, s21, v3, vcc_lo
	;;#ASMSTART
	global_load_dwordx4 v[5:8], v[2:3] off glc	
s_waitcnt vmcnt(0)
	;;#ASMEND
	v_and_b32_e32 v4, 0xff, v6
	v_and_b32_e32 v8, 0xff00, v6
	;; [unrolled: 1-line block ×3, first 2 shown]
	v_or3_b32 v5, v5, 0, 0
	v_and_b32_e32 v6, 0xff000000, v6
	s_delay_alu instid0(VALU_DEP_4) | instskip(SKIP_1) | instid1(VALU_DEP_4)
	v_or3_b32 v4, 0, v4, v8
	v_and_b32_e32 v8, 0xff, v7
	v_or3_b32 v5, v5, 0, 0
	s_delay_alu instid0(VALU_DEP_3) | instskip(NEXT) | instid1(VALU_DEP_3)
	v_or3_b32 v6, v4, v54, v6
	v_cmpx_eq_u16_e32 0, v8
	s_cbranch_execz .LBB600_132
; %bb.127:
	s_mov_b32 s25, 1
	.p2align	6
.LBB600_128:                            ; =>This Loop Header: Depth=1
                                        ;     Child Loop BB600_129 Depth 2
	s_delay_alu instid0(SALU_CYCLE_1)
	s_max_u32 s36, s25, 1
.LBB600_129:                            ;   Parent Loop BB600_128 Depth=1
                                        ; =>  This Inner Loop Header: Depth=2
	s_delay_alu instid0(SALU_CYCLE_1)
	s_add_i32 s36, s36, -1
	s_sleep 1
	s_cmp_eq_u32 s36, 0
	s_cbranch_scc0 .LBB600_129
; %bb.130:                              ;   in Loop: Header=BB600_128 Depth=1
	;;#ASMSTART
	global_load_dwordx4 v[5:8], v[2:3] off glc	
s_waitcnt vmcnt(0)
	;;#ASMEND
	v_and_b32_e32 v4, 0xff, v7
	s_cmp_lt_u32 s25, 32
	s_cselect_b32 s36, -1, 0
	s_delay_alu instid0(VALU_DEP_1) | instskip(SKIP_3) | instid1(SALU_CYCLE_1)
	v_cmp_ne_u16_e32 vcc_lo, 0, v4
	s_cmp_lg_u32 s36, 0
	s_addc_u32 s25, s25, 0
	s_or_b32 s24, vcc_lo, s24
	s_and_not1_b32 exec_lo, exec_lo, s24
	s_cbranch_execnz .LBB600_128
; %bb.131:
	s_or_b32 exec_lo, exec_lo, s24
.LBB600_132:
	s_delay_alu instid0(SALU_CYCLE_1)
	s_or_b32 exec_lo, exec_lo, s15
	v_cmp_ne_u32_e32 vcc_lo, 31, v81
	v_and_b32_e32 v3, 0xff, v7
	v_lshlrev_b32_e64 v59, v81, -1
	v_add_nc_u32_e32 v61, 2, v81
	v_add_nc_u32_e32 v63, 4, v81
	v_add_co_ci_u32_e32 v2, vcc_lo, 0, v81, vcc_lo
	v_cmp_eq_u16_e32 vcc_lo, 2, v3
	v_add_nc_u32_e32 v65, 8, v81
	v_add_nc_u32_e32 v67, 16, v81
	v_and_or_b32 v8, vcc_lo, v59, 0x80000000
	v_cmp_gt_u32_e32 vcc_lo, 30, v81
	s_delay_alu instid0(VALU_DEP_2) | instskip(SKIP_2) | instid1(VALU_DEP_3)
	v_ctz_i32_b32_e32 v8, v8
	v_cndmask_b32_e64 v54, 0, 1, vcc_lo
	v_cmp_eq_u32_e32 vcc_lo, 0, v5
	v_cmp_lt_u32_e64 s15, v81, v8
	s_delay_alu instid0(VALU_DEP_3) | instskip(NEXT) | instid1(VALU_DEP_2)
	v_lshlrev_b32_e32 v54, 1, v54
	s_and_b32 vcc_lo, s15, vcc_lo
	v_lshlrev_b32_e32 v2, 2, v2
	s_delay_alu instid0(VALU_DEP_2)
	v_add_lshl_u32 v60, v54, v81, 2
	ds_bpermute_b32 v3, v2, v6
	s_waitcnt lgkmcnt(0)
	v_cndmask_b32_e32 v3, 0, v3, vcc_lo
	ds_bpermute_b32 v4, v2, v5
	v_cmp_gt_u32_e32 vcc_lo, 28, v81
	v_add_nc_u32_e32 v3, v3, v6
	ds_bpermute_b32 v6, v60, v3
	s_waitcnt lgkmcnt(1)
	v_cndmask_b32_e64 v4, 0, v4, s15
	s_delay_alu instid0(VALU_DEP_1) | instskip(SKIP_1) | instid1(VALU_DEP_2)
	v_add_nc_u32_e32 v4, v4, v5
	v_cndmask_b32_e64 v5, 0, 1, vcc_lo
	v_cmp_eq_u32_e32 vcc_lo, 0, v4
	ds_bpermute_b32 v54, v60, v4
	s_waitcnt lgkmcnt(1)
	v_dual_cndmask_b32 v6, 0, v6 :: v_dual_lshlrev_b32 v5, 2, v5
	v_cmp_gt_u32_e32 vcc_lo, v61, v8
	s_delay_alu instid0(VALU_DEP_2) | instskip(NEXT) | instid1(VALU_DEP_3)
	v_add_lshl_u32 v62, v5, v81, 2
	v_cndmask_b32_e64 v6, v6, 0, vcc_lo
	s_delay_alu instid0(VALU_DEP_1) | instskip(SKIP_4) | instid1(VALU_DEP_2)
	v_add_nc_u32_e32 v3, v6, v3
	ds_bpermute_b32 v5, v62, v3
	s_waitcnt lgkmcnt(1)
	v_cndmask_b32_e64 v6, v54, 0, vcc_lo
	v_cmp_gt_u32_e32 vcc_lo, 24, v81
	v_add_nc_u32_e32 v4, v4, v6
	v_cndmask_b32_e64 v54, 0, 1, vcc_lo
	ds_bpermute_b32 v6, v62, v4
	v_cmp_eq_u32_e32 vcc_lo, 0, v4
	v_lshlrev_b32_e32 v54, 3, v54
	s_delay_alu instid0(VALU_DEP_1) | instskip(SKIP_3) | instid1(VALU_DEP_2)
	v_add_lshl_u32 v64, v54, v81, 2
	s_waitcnt lgkmcnt(1)
	v_cndmask_b32_e32 v5, 0, v5, vcc_lo
	v_cmp_gt_u32_e32 vcc_lo, v63, v8
	v_cndmask_b32_e64 v5, v5, 0, vcc_lo
	s_delay_alu instid0(VALU_DEP_1)
	v_add_nc_u32_e32 v3, v3, v5
	s_waitcnt lgkmcnt(0)
	v_cndmask_b32_e64 v6, v6, 0, vcc_lo
	v_cmp_gt_u32_e32 vcc_lo, 16, v81
	ds_bpermute_b32 v5, v64, v3
	v_add_nc_u32_e32 v4, v4, v6
	v_cndmask_b32_e64 v54, 0, 1, vcc_lo
	ds_bpermute_b32 v6, v64, v4
	v_cmp_eq_u32_e32 vcc_lo, 0, v4
	v_lshlrev_b32_e32 v54, 4, v54
	s_delay_alu instid0(VALU_DEP_1) | instskip(SKIP_3) | instid1(VALU_DEP_2)
	v_add_lshl_u32 v66, v54, v81, 2
	s_waitcnt lgkmcnt(1)
	v_dual_mov_b32 v54, 0 :: v_dual_cndmask_b32 v5, 0, v5
	v_cmp_gt_u32_e32 vcc_lo, v65, v8
	v_cndmask_b32_e64 v5, v5, 0, vcc_lo
	s_delay_alu instid0(VALU_DEP_1)
	v_add_nc_u32_e32 v3, v3, v5
	s_waitcnt lgkmcnt(0)
	v_cndmask_b32_e64 v5, v6, 0, vcc_lo
	ds_bpermute_b32 v6, v66, v3
	v_add_nc_u32_e32 v4, v4, v5
	ds_bpermute_b32 v5, v66, v4
	v_cmp_eq_u32_e32 vcc_lo, 0, v4
	s_waitcnt lgkmcnt(1)
	v_cndmask_b32_e32 v6, 0, v6, vcc_lo
	v_cmp_gt_u32_e32 vcc_lo, v67, v8
	s_delay_alu instid0(VALU_DEP_2) | instskip(SKIP_2) | instid1(VALU_DEP_2)
	v_cndmask_b32_e64 v6, v6, 0, vcc_lo
	s_waitcnt lgkmcnt(0)
	v_cndmask_b32_e64 v5, v5, 0, vcc_lo
	v_add_nc_u32_e32 v6, v6, v3
	s_delay_alu instid0(VALU_DEP_2)
	v_add_nc_u32_e32 v5, v5, v4
	s_branch .LBB600_134
.LBB600_133:                            ;   in Loop: Header=BB600_134 Depth=1
	s_or_b32 exec_lo, exec_lo, s15
	v_and_b32_e32 v8, 0xff, v7
	ds_bpermute_b32 v55, v2, v5
	v_subrev_nc_u32_e32 v53, 32, v53
	v_cmp_eq_u16_e32 vcc_lo, 2, v8
	ds_bpermute_b32 v8, v2, v6
	v_and_or_b32 v56, vcc_lo, v59, 0x80000000
	v_cmp_eq_u32_e32 vcc_lo, 0, v5
	s_delay_alu instid0(VALU_DEP_2) | instskip(NEXT) | instid1(VALU_DEP_1)
	v_ctz_i32_b32_e32 v56, v56
	v_cmp_lt_u32_e64 s15, v81, v56
	s_delay_alu instid0(VALU_DEP_1) | instskip(SKIP_4) | instid1(VALU_DEP_2)
	s_and_b32 vcc_lo, s15, vcc_lo
	s_waitcnt lgkmcnt(1)
	v_cndmask_b32_e64 v55, 0, v55, s15
	s_waitcnt lgkmcnt(0)
	v_cndmask_b32_e32 v8, 0, v8, vcc_lo
	v_add_nc_u32_e32 v5, v55, v5
	s_delay_alu instid0(VALU_DEP_2)
	v_add_nc_u32_e32 v6, v8, v6
	ds_bpermute_b32 v55, v60, v5
	ds_bpermute_b32 v8, v60, v6
	v_cmp_eq_u32_e32 vcc_lo, 0, v5
	s_waitcnt lgkmcnt(0)
	v_cndmask_b32_e32 v8, 0, v8, vcc_lo
	v_cmp_gt_u32_e32 vcc_lo, v61, v56
	v_cndmask_b32_e64 v55, v55, 0, vcc_lo
	s_delay_alu instid0(VALU_DEP_1) | instskip(NEXT) | instid1(VALU_DEP_4)
	v_add_nc_u32_e32 v5, v5, v55
	v_cndmask_b32_e64 v8, v8, 0, vcc_lo
	ds_bpermute_b32 v55, v62, v5
	v_add_nc_u32_e32 v6, v8, v6
	v_cmp_eq_u32_e32 vcc_lo, 0, v5
	ds_bpermute_b32 v8, v62, v6
	s_waitcnt lgkmcnt(0)
	v_cndmask_b32_e32 v8, 0, v8, vcc_lo
	v_cmp_gt_u32_e32 vcc_lo, v63, v56
	v_cndmask_b32_e64 v55, v55, 0, vcc_lo
	s_delay_alu instid0(VALU_DEP_1) | instskip(NEXT) | instid1(VALU_DEP_4)
	v_add_nc_u32_e32 v5, v5, v55
	v_cndmask_b32_e64 v8, v8, 0, vcc_lo
	ds_bpermute_b32 v55, v64, v5
	v_add_nc_u32_e32 v6, v6, v8
	v_cmp_eq_u32_e32 vcc_lo, 0, v5
	ds_bpermute_b32 v8, v64, v6
	;; [unrolled: 11-line block ×3, first 2 shown]
	s_waitcnt lgkmcnt(0)
	v_cndmask_b32_e32 v8, 0, v8, vcc_lo
	v_cmp_gt_u32_e32 vcc_lo, v67, v56
	s_delay_alu instid0(VALU_DEP_2) | instskip(NEXT) | instid1(VALU_DEP_1)
	v_cndmask_b32_e64 v8, v8, 0, vcc_lo
	v_add_nc_u32_e32 v6, v8, v6
	v_cndmask_b32_e64 v8, v55, 0, vcc_lo
	v_cmp_eq_u32_e32 vcc_lo, 0, v3
	s_delay_alu instid0(VALU_DEP_2) | instskip(NEXT) | instid1(VALU_DEP_4)
	v_add3_u32 v5, v5, v3, v8
	v_cndmask_b32_e32 v6, 0, v6, vcc_lo
	s_delay_alu instid0(VALU_DEP_1)
	v_add_nc_u32_e32 v6, v6, v4
.LBB600_134:                            ; =>This Loop Header: Depth=1
                                        ;     Child Loop BB600_137 Depth 2
                                        ;       Child Loop BB600_138 Depth 3
	s_delay_alu instid0(VALU_DEP_1) | instskip(NEXT) | instid1(VALU_DEP_1)
	v_dual_mov_b32 v4, v6 :: v_dual_and_b32 v3, 0xff, v7
	v_cmp_ne_u16_e32 vcc_lo, 2, v3
	v_cndmask_b32_e64 v3, 0, 1, vcc_lo
	;;#ASMSTART
	;;#ASMEND
	s_delay_alu instid0(VALU_DEP_1)
	v_cmp_ne_u32_e32 vcc_lo, 0, v3
	v_mov_b32_e32 v3, v5
	s_cmp_lg_u32 vcc_lo, exec_lo
	s_cbranch_scc1 .LBB600_141
; %bb.135:                              ;   in Loop: Header=BB600_134 Depth=1
	v_lshlrev_b64 v[5:6], 4, v[53:54]
	s_mov_b32 s15, exec_lo
	s_delay_alu instid0(VALU_DEP_1) | instskip(NEXT) | instid1(VALU_DEP_2)
	v_add_co_u32 v55, vcc_lo, s20, v5
	v_add_co_ci_u32_e32 v56, vcc_lo, s21, v6, vcc_lo
	;;#ASMSTART
	global_load_dwordx4 v[5:8], v[55:56] off glc	
s_waitcnt vmcnt(0)
	;;#ASMEND
	v_and_b32_e32 v8, 0xff, v6
	v_and_b32_e32 v68, 0xff00, v6
	;; [unrolled: 1-line block ×3, first 2 shown]
	v_or3_b32 v5, v5, 0, 0
	v_and_b32_e32 v6, 0xff000000, v6
	s_delay_alu instid0(VALU_DEP_4) | instskip(SKIP_1) | instid1(VALU_DEP_4)
	v_or3_b32 v8, 0, v8, v68
	v_and_b32_e32 v68, 0xff, v7
	v_or3_b32 v5, v5, 0, 0
	s_delay_alu instid0(VALU_DEP_3) | instskip(NEXT) | instid1(VALU_DEP_3)
	v_or3_b32 v6, v8, v69, v6
	v_cmpx_eq_u16_e32 0, v68
	s_cbranch_execz .LBB600_133
; %bb.136:                              ;   in Loop: Header=BB600_134 Depth=1
	s_mov_b32 s25, 1
	s_mov_b32 s24, 0
	.p2align	6
.LBB600_137:                            ;   Parent Loop BB600_134 Depth=1
                                        ; =>  This Loop Header: Depth=2
                                        ;       Child Loop BB600_138 Depth 3
	s_max_u32 s36, s25, 1
.LBB600_138:                            ;   Parent Loop BB600_134 Depth=1
                                        ;     Parent Loop BB600_137 Depth=2
                                        ; =>    This Inner Loop Header: Depth=3
	s_delay_alu instid0(SALU_CYCLE_1)
	s_add_i32 s36, s36, -1
	s_sleep 1
	s_cmp_eq_u32 s36, 0
	s_cbranch_scc0 .LBB600_138
; %bb.139:                              ;   in Loop: Header=BB600_137 Depth=2
	;;#ASMSTART
	global_load_dwordx4 v[5:8], v[55:56] off glc	
s_waitcnt vmcnt(0)
	;;#ASMEND
	v_and_b32_e32 v8, 0xff, v7
	s_cmp_lt_u32 s25, 32
	s_cselect_b32 s36, -1, 0
	s_delay_alu instid0(SALU_CYCLE_1) | instskip(NEXT) | instid1(VALU_DEP_1)
	s_cmp_lg_u32 s36, 0
	v_cmp_ne_u16_e32 vcc_lo, 0, v8
	s_addc_u32 s25, s25, 0
	s_or_b32 s24, vcc_lo, s24
	s_delay_alu instid0(SALU_CYCLE_1)
	s_and_not1_b32 exec_lo, exec_lo, s24
	s_cbranch_execnz .LBB600_137
; %bb.140:                              ;   in Loop: Header=BB600_134 Depth=1
	s_or_b32 exec_lo, exec_lo, s24
	s_branch .LBB600_133
.LBB600_141:                            ;   in Loop: Header=BB600_134 Depth=1
                                        ; implicit-def: $vgpr6
                                        ; implicit-def: $vgpr5
                                        ; implicit-def: $vgpr7
	s_cbranch_execz .LBB600_134
; %bb.142:
	s_and_saveexec_b32 s15, s14
	s_cbranch_execz .LBB600_144
; %bb.143:
	v_cmp_eq_u32_e32 vcc_lo, 0, v1
	s_mov_b32 s25, 0
	s_add_i32 s24, s33, 32
	v_add_nc_u32_e32 v5, v3, v1
	s_lshl_b64 s[24:25], s[24:25], 4
	v_cndmask_b32_e32 v2, 0, v4, vcc_lo
	s_add_u32 s24, s20, s24
	s_addc_u32 s25, s21, s25
	v_mov_b32_e32 v8, 0
	s_delay_alu instid0(VALU_DEP_2) | instskip(NEXT) | instid1(VALU_DEP_1)
	v_add_nc_u32_e32 v2, s23, v2
	v_and_b32_e32 v6, 0xff000000, v2
	v_and_b32_e32 v7, 0xff0000, v2
	s_delay_alu instid0(VALU_DEP_1) | instskip(SKIP_3) | instid1(VALU_DEP_1)
	v_or_b32_e32 v6, v7, v6
	v_mov_b32_e32 v7, 2
	v_and_b32_e32 v53, 0xff00, v2
	v_and_b32_e32 v2, 0xff, v2
	v_or3_b32 v6, v6, v53, v2
	v_mov_b32_e32 v2, s23
	v_dual_mov_b32 v54, s25 :: v_dual_mov_b32 v53, s24
	;;#ASMSTART
	global_store_dwordx4 v[53:54], v[5:8] off	
s_waitcnt vmcnt(0)
	;;#ASMEND
	ds_store_b128 v8, v[1:4] offset:2048
.LBB600_144:
	s_or_b32 exec_lo, exec_lo, s15
	s_delay_alu instid0(SALU_CYCLE_1)
	s_and_b32 exec_lo, exec_lo, s2
	s_cbranch_execz .LBB600_146
; %bb.145:
	v_mov_b32_e32 v1, 0
	ds_store_b64 v1, v[3:4] offset:2120
.LBB600_146:
	s_or_b32 exec_lo, exec_lo, s22
	s_waitcnt lgkmcnt(1)
	v_cndmask_b32_e64 v4, v57, v51, s14
	s_waitcnt lgkmcnt(0)
	s_barrier
	buffer_gl0_inv
	v_cndmask_b32_e64 v5, v58, v52, s14
	v_cmp_eq_u32_e32 vcc_lo, 0, v4
	v_mov_b32_e32 v3, 0
	ds_load_b64 v[1:2], v3 offset:2120
	s_waitcnt lgkmcnt(0)
	s_barrier
	buffer_gl0_inv
	v_cndmask_b32_e32 v6, 0, v2, vcc_lo
	v_cmp_eq_u32_e32 vcc_lo, 0, v35
	s_delay_alu instid0(VALU_DEP_2) | instskip(NEXT) | instid1(VALU_DEP_1)
	v_add_nc_u32_e32 v5, v6, v5
	v_cndmask_b32_e64 v68, v5, v2, s2
	s_delay_alu instid0(VALU_DEP_1) | instskip(NEXT) | instid1(VALU_DEP_1)
	v_cndmask_b32_e32 v2, 0, v68, vcc_lo
	v_add_nc_u32_e32 v74, v2, v49
	s_delay_alu instid0(VALU_DEP_1) | instskip(NEXT) | instid1(VALU_DEP_1)
	v_cndmask_b32_e64 v2, 0, v74, s13
	v_add_nc_u32_e32 v70, v2, v50
	s_delay_alu instid0(VALU_DEP_1) | instskip(NEXT) | instid1(VALU_DEP_1)
	v_cndmask_b32_e64 v2, 0, v70, s12
	;; [unrolled: 3-line block ×5, first 2 shown]
	v_add_nc_u32_e32 v54, v2, v46
	v_cndmask_b32_e64 v2, v4, 0, s2
	s_delay_alu instid0(VALU_DEP_2) | instskip(NEXT) | instid1(VALU_DEP_2)
	v_cndmask_b32_e64 v4, 0, v54, s8
	v_add_nc_u32_e32 v67, v1, v2
	s_delay_alu instid0(VALU_DEP_2) | instskip(NEXT) | instid1(VALU_DEP_1)
	v_add_nc_u32_e32 v58, v4, v43
	v_cndmask_b32_e64 v1, 0, v58, s7
	s_delay_alu instid0(VALU_DEP_1) | instskip(NEXT) | instid1(VALU_DEP_1)
	v_add_nc_u32_e32 v62, v1, v44
	v_cndmask_b32_e64 v1, 0, v62, s6
	s_delay_alu instid0(VALU_DEP_1) | instskip(NEXT) | instid1(VALU_DEP_1)
	;; [unrolled: 3-line block ×3, first 2 shown]
	v_add_nc_u32_e32 v8, v1, v42
	v_cndmask_b32_e64 v1, 0, v8, s4
	s_delay_alu instid0(VALU_DEP_1) | instskip(SKIP_2) | instid1(VALU_DEP_1)
	v_add_nc_u32_e32 v52, v1, v39
	ds_load_b128 v[1:4], v3 offset:2048
	v_cndmask_b32_e64 v51, 0, v52, s3
	v_add_nc_u32_e32 v76, v51, v40
	s_delay_alu instid0(VALU_DEP_1) | instskip(NEXT) | instid1(VALU_DEP_1)
	v_cndmask_b32_e64 v63, 0, v76, s1
	v_add_nc_u32_e32 v72, v63, v37
	s_waitcnt lgkmcnt(0)
	v_cmp_eq_u32_e32 vcc_lo, 0, v1
	s_delay_alu instid0(VALU_DEP_2) | instskip(SKIP_1) | instid1(VALU_DEP_2)
	v_cndmask_b32_e64 v64, 0, v72, s0
	v_dual_cndmask_b32 v4, 0, v4 :: v_dual_add_nc_u32 v73, v67, v35
	v_add_nc_u32_e32 v64, v64, v38
	s_delay_alu instid0(VALU_DEP_2) | instskip(NEXT) | instid1(VALU_DEP_3)
	v_add_nc_u32_e32 v80, v4, v2
	v_add_nc_u32_e32 v69, v73, v36
	s_delay_alu instid0(VALU_DEP_1) | instskip(NEXT) | instid1(VALU_DEP_1)
	v_add_nc_u32_e32 v65, v69, v33
	v_add_nc_u32_e32 v59, v65, v34
	s_delay_alu instid0(VALU_DEP_1) | instskip(NEXT) | instid1(VALU_DEP_1)
	v_add_nc_u32_e32 v55, v59, v31
	v_add_nc_u32_e32 v53, v55, v32
	s_delay_alu instid0(VALU_DEP_1) | instskip(NEXT) | instid1(VALU_DEP_1)
	v_add_nc_u32_e32 v57, v53, v29
	v_add_nc_u32_e32 v61, v57, v30
	s_delay_alu instid0(VALU_DEP_1) | instskip(NEXT) | instid1(VALU_DEP_1)
	v_add_nc_u32_e32 v5, v61, v27
	v_add_nc_u32_e32 v7, v5, v28
	s_delay_alu instid0(VALU_DEP_1) | instskip(NEXT) | instid1(VALU_DEP_1)
	v_add_nc_u32_e32 v51, v7, v25
	v_add_nc_u32_e32 v75, v51, v26
	s_delay_alu instid0(VALU_DEP_1) | instskip(NEXT) | instid1(VALU_DEP_1)
	v_add_nc_u32_e32 v71, v75, v23
	v_add_nc_u32_e32 v63, v71, v24
	s_branch .LBB600_159
.LBB600_147:
                                        ; implicit-def: $vgpr1
                                        ; implicit-def: $vgpr80
                                        ; implicit-def: $vgpr67_vgpr68
                                        ; implicit-def: $vgpr73_vgpr74
                                        ; implicit-def: $vgpr69_vgpr70
                                        ; implicit-def: $vgpr65_vgpr66
                                        ; implicit-def: $vgpr59_vgpr60
                                        ; implicit-def: $vgpr55_vgpr56
                                        ; implicit-def: $vgpr53_vgpr54
                                        ; implicit-def: $vgpr57_vgpr58
                                        ; implicit-def: $vgpr61_vgpr62
                                        ; implicit-def: $vgpr5_vgpr6
                                        ; implicit-def: $vgpr7_vgpr8
                                        ; implicit-def: $vgpr51_vgpr52
                                        ; implicit-def: $vgpr75_vgpr76
                                        ; implicit-def: $vgpr71_vgpr72
                                        ; implicit-def: $vgpr63_vgpr64
	s_cbranch_execz .LBB600_159
; %bb.148:
	s_and_b32 s0, s16, exec_lo
	v_mov_b32_e32 v63, v49
	s_cselect_b32 s1, 0, s35
	s_cselect_b32 s0, 0, s34
	s_delay_alu instid0(SALU_CYCLE_1)
	s_cmp_eq_u64 s[0:1], 0
	s_cbranch_scc1 .LBB600_150
; %bb.149:
	v_mov_b32_e32 v1, 0
	global_load_b32 v63, v1, s[0:1]
.LBB600_150:
	v_cmp_eq_u32_e64 s7, 0, v36
	v_cmp_eq_u32_e64 s8, 0, v33
	;; [unrolled: 1-line block ×5, first 2 shown]
	v_cndmask_b32_e64 v1, 0, v49, s7
	v_cmp_eq_u32_e64 s12, 0, v29
	v_cmp_eq_u32_e64 s6, 0, v30
	;; [unrolled: 1-line block ×4, first 2 shown]
	v_add_nc_u32_e32 v1, v1, v50
	v_cmp_eq_u32_e64 s3, 0, v25
	v_add3_u32 v2, v84, v32, v29
	v_cmp_eq_u32_e64 s1, 0, v26
	v_cmp_eq_u32_e32 vcc_lo, 0, v23
	v_cndmask_b32_e64 v1, 0, v1, s8
	v_cmp_eq_u32_e64 s0, 0, v24
	v_add3_u32 v2, v2, v30, v27
	v_cmp_eq_u32_e64 s13, 0, v78
	v_and_b32_e32 v4, 15, v81
	v_add_nc_u32_e32 v1, v1, v47
	s_delay_alu instid0(VALU_DEP_4) | instskip(NEXT) | instid1(VALU_DEP_3)
	v_add3_u32 v2, v2, v28, v25
	v_cmp_lt_u32_e64 s14, 1, v4
	s_delay_alu instid0(VALU_DEP_3) | instskip(NEXT) | instid1(VALU_DEP_3)
	v_cndmask_b32_e64 v1, 0, v1, s9
	v_add3_u32 v2, v2, v26, v23
	s_delay_alu instid0(VALU_DEP_2) | instskip(NEXT) | instid1(VALU_DEP_2)
	v_add_nc_u32_e32 v1, v1, v48
	v_add3_u32 v2, v2, v24, v78
	s_delay_alu instid0(VALU_DEP_2) | instskip(NEXT) | instid1(VALU_DEP_2)
	v_cndmask_b32_e64 v1, 0, v1, s10
	v_mov_b32_dpp v5, v2 row_shr:1 row_mask:0xf bank_mask:0xf
	s_delay_alu instid0(VALU_DEP_2) | instskip(NEXT) | instid1(VALU_DEP_1)
	v_add_nc_u32_e32 v1, v1, v45
	v_cndmask_b32_e64 v1, 0, v1, s11
	s_delay_alu instid0(VALU_DEP_1) | instskip(NEXT) | instid1(VALU_DEP_1)
	v_add_nc_u32_e32 v1, v1, v46
	v_cndmask_b32_e64 v1, 0, v1, s12
	s_delay_alu instid0(VALU_DEP_1) | instskip(NEXT) | instid1(VALU_DEP_1)
	;; [unrolled: 3-line block ×7, first 2 shown]
	v_add_nc_u32_e32 v1, v1, v40
	v_cndmask_b32_e32 v1, 0, v1, vcc_lo
	s_delay_alu instid0(VALU_DEP_1) | instskip(NEXT) | instid1(VALU_DEP_1)
	v_add_nc_u32_e32 v1, v1, v37
	v_cndmask_b32_e64 v1, 0, v1, s0
	s_delay_alu instid0(VALU_DEP_1) | instskip(NEXT) | instid1(VALU_DEP_1)
	v_add_nc_u32_e32 v1, v1, v38
	v_cndmask_b32_e64 v1, 0, v1, s13
	v_cmp_eq_u32_e64 s13, 0, v2
	s_delay_alu instid0(VALU_DEP_2) | instskip(SKIP_1) | instid1(VALU_DEP_1)
	v_add_nc_u32_e32 v1, v1, v79
	s_waitcnt lgkmcnt(0)
	v_mov_b32_dpp v3, v1 row_shr:1 row_mask:0xf bank_mask:0xf
	s_delay_alu instid0(VALU_DEP_1) | instskip(SKIP_1) | instid1(VALU_DEP_1)
	v_cndmask_b32_e64 v3, 0, v3, s13
	v_cmp_eq_u32_e64 s13, 0, v4
	v_cndmask_b32_e64 v5, v5, 0, s13
	s_delay_alu instid0(VALU_DEP_3) | instskip(NEXT) | instid1(VALU_DEP_2)
	v_cndmask_b32_e64 v3, v3, 0, s13
	v_add_nc_u32_e32 v2, v5, v2
	s_delay_alu instid0(VALU_DEP_2) | instskip(NEXT) | instid1(VALU_DEP_2)
	v_add_nc_u32_e32 v1, v3, v1
	v_mov_b32_dpp v3, v2 row_shr:2 row_mask:0xf bank_mask:0xf
	v_cmp_eq_u32_e64 s13, 0, v2
	s_delay_alu instid0(VALU_DEP_3) | instskip(NEXT) | instid1(VALU_DEP_3)
	v_mov_b32_dpp v5, v1 row_shr:2 row_mask:0xf bank_mask:0xf
	v_cndmask_b32_e64 v3, 0, v3, s14
	s_delay_alu instid0(VALU_DEP_3) | instskip(SKIP_1) | instid1(VALU_DEP_3)
	s_and_b32 s13, s14, s13
	v_cmp_lt_u32_e64 s14, 3, v4
	v_cndmask_b32_e64 v5, 0, v5, s13
	s_delay_alu instid0(VALU_DEP_3) | instskip(NEXT) | instid1(VALU_DEP_2)
	v_add_nc_u32_e32 v2, v2, v3
	v_add_nc_u32_e32 v1, v5, v1
	s_delay_alu instid0(VALU_DEP_2) | instskip(SKIP_1) | instid1(VALU_DEP_3)
	v_mov_b32_dpp v3, v2 row_shr:4 row_mask:0xf bank_mask:0xf
	v_cmp_eq_u32_e64 s13, 0, v2
	v_mov_b32_dpp v5, v1 row_shr:4 row_mask:0xf bank_mask:0xf
	s_delay_alu instid0(VALU_DEP_3) | instskip(NEXT) | instid1(VALU_DEP_3)
	v_cndmask_b32_e64 v3, 0, v3, s14
	s_and_b32 s13, s14, s13
	v_cmp_lt_u32_e64 s14, 7, v4
	s_delay_alu instid0(VALU_DEP_3) | instskip(NEXT) | instid1(VALU_DEP_3)
	v_cndmask_b32_e64 v5, 0, v5, s13
	v_add_nc_u32_e32 v2, v3, v2
	s_delay_alu instid0(VALU_DEP_2) | instskip(SKIP_1) | instid1(VALU_DEP_3)
	v_add_nc_u32_e32 v1, v1, v5
	v_bfe_i32 v5, v81, 4, 1
	v_cmp_eq_u32_e64 s13, 0, v2
	v_mov_b32_dpp v3, v2 row_shr:8 row_mask:0xf bank_mask:0xf
	s_delay_alu instid0(VALU_DEP_4) | instskip(NEXT) | instid1(VALU_DEP_3)
	v_mov_b32_dpp v4, v1 row_shr:8 row_mask:0xf bank_mask:0xf
	s_and_b32 s13, s14, s13
	s_delay_alu instid0(VALU_DEP_2) | instskip(SKIP_1) | instid1(VALU_DEP_2)
	v_cndmask_b32_e64 v3, 0, v3, s14
	s_mov_b32 s14, exec_lo
	v_cndmask_b32_e64 v4, 0, v4, s13
	s_delay_alu instid0(VALU_DEP_1) | instskip(NEXT) | instid1(VALU_DEP_3)
	v_add_nc_u32_e32 v4, v4, v1
	v_add_nc_u32_e32 v1, v3, v2
	ds_swizzle_b32 v2, v4 offset:swizzle(BROADCAST,32,15)
	ds_swizzle_b32 v3, v1 offset:swizzle(BROADCAST,32,15)
	v_cmp_eq_u32_e64 s13, 0, v1
	s_waitcnt lgkmcnt(1)
	s_delay_alu instid0(VALU_DEP_1) | instskip(SKIP_2) | instid1(VALU_DEP_2)
	v_cndmask_b32_e64 v2, 0, v2, s13
	s_waitcnt lgkmcnt(0)
	v_and_b32_e32 v3, v5, v3
	v_and_b32_e32 v2, v5, v2
	s_delay_alu instid0(VALU_DEP_2) | instskip(NEXT) | instid1(VALU_DEP_2)
	v_add_nc_u32_e32 v1, v3, v1
	v_add_nc_u32_e32 v2, v2, v4
	v_cmpx_eq_u32_e64 v83, v0
	s_cbranch_execz .LBB600_152
; %bb.151:
	v_lshlrev_b32_e32 v3, 3, v82
	ds_store_b64 v3, v[1:2] offset:2064
.LBB600_152:
	s_or_b32 exec_lo, exec_lo, s14
	s_delay_alu instid0(SALU_CYCLE_1)
	s_mov_b32 s15, exec_lo
	s_waitcnt vmcnt(0) lgkmcnt(0)
	s_barrier
	buffer_gl0_inv
	v_cmpx_gt_u32_e32 8, v0
	s_cbranch_execz .LBB600_154
; %bb.153:
	v_lshlrev_b32_e32 v5, 3, v0
	v_and_b32_e32 v7, 7, v81
	ds_load_b64 v[3:4], v5 offset:2064
	v_cmp_lt_u32_e64 s14, 1, v7
	s_waitcnt lgkmcnt(0)
	v_mov_b32_dpp v6, v4 row_shr:1 row_mask:0xf bank_mask:0xf
	v_cmp_eq_u32_e64 s13, 0, v3
	v_mov_b32_dpp v8, v3 row_shr:1 row_mask:0xf bank_mask:0xf
	s_delay_alu instid0(VALU_DEP_2) | instskip(SKIP_1) | instid1(VALU_DEP_1)
	v_cndmask_b32_e64 v6, 0, v6, s13
	v_cmp_eq_u32_e64 s13, 0, v7
	v_cndmask_b32_e64 v8, v8, 0, s13
	s_delay_alu instid0(VALU_DEP_3) | instskip(NEXT) | instid1(VALU_DEP_2)
	v_cndmask_b32_e64 v6, v6, 0, s13
	v_add_nc_u32_e32 v3, v8, v3
	s_delay_alu instid0(VALU_DEP_2) | instskip(NEXT) | instid1(VALU_DEP_2)
	v_add_nc_u32_e32 v4, v6, v4
	v_mov_b32_dpp v6, v3 row_shr:2 row_mask:0xf bank_mask:0xf
	v_cmp_eq_u32_e64 s13, 0, v3
	s_delay_alu instid0(VALU_DEP_3) | instskip(NEXT) | instid1(VALU_DEP_3)
	v_mov_b32_dpp v8, v4 row_shr:2 row_mask:0xf bank_mask:0xf
	v_cndmask_b32_e64 v6, 0, v6, s14
	s_delay_alu instid0(VALU_DEP_3) | instskip(SKIP_1) | instid1(VALU_DEP_3)
	s_and_b32 s13, s14, s13
	v_cmp_lt_u32_e64 s14, 3, v7
	v_cndmask_b32_e64 v8, 0, v8, s13
	s_delay_alu instid0(VALU_DEP_3) | instskip(NEXT) | instid1(VALU_DEP_2)
	v_add_nc_u32_e32 v3, v6, v3
	v_add_nc_u32_e32 v4, v8, v4
	s_delay_alu instid0(VALU_DEP_2) | instskip(SKIP_1) | instid1(VALU_DEP_3)
	v_cmp_eq_u32_e64 s13, 0, v3
	v_mov_b32_dpp v6, v3 row_shr:4 row_mask:0xf bank_mask:0xf
	v_mov_b32_dpp v7, v4 row_shr:4 row_mask:0xf bank_mask:0xf
	s_delay_alu instid0(VALU_DEP_3) | instskip(NEXT) | instid1(VALU_DEP_2)
	s_and_b32 s13, s14, s13
	v_cndmask_b32_e64 v6, 0, v6, s14
	s_delay_alu instid0(VALU_DEP_2) | instskip(NEXT) | instid1(VALU_DEP_2)
	v_cndmask_b32_e64 v7, 0, v7, s13
	v_add_nc_u32_e32 v3, v6, v3
	s_delay_alu instid0(VALU_DEP_2)
	v_add_nc_u32_e32 v4, v7, v4
	ds_store_b64 v5, v[3:4] offset:2064
.LBB600_154:
	s_or_b32 exec_lo, exec_lo, s15
	v_dual_mov_b32 v7, 0 :: v_dual_mov_b32 v4, v63
	v_mov_b32_e32 v3, 0
	s_mov_b32 s14, exec_lo
	s_waitcnt lgkmcnt(0)
	s_barrier
	buffer_gl0_inv
	v_cmpx_lt_u32_e32 31, v0
	s_cbranch_execz .LBB600_156
; %bb.155:
	v_lshlrev_b32_e32 v3, 3, v82
	ds_load_b64 v[3:4], v3 offset:2056
	s_waitcnt lgkmcnt(0)
	v_cmp_eq_u32_e64 s13, 0, v3
	s_delay_alu instid0(VALU_DEP_1) | instskip(NEXT) | instid1(VALU_DEP_1)
	v_cndmask_b32_e64 v5, 0, v63, s13
	v_add_nc_u32_e32 v4, v5, v4
.LBB600_156:
	s_or_b32 exec_lo, exec_lo, s14
	v_add_nc_u32_e32 v5, -1, v81
	s_delay_alu instid0(VALU_DEP_1) | instskip(NEXT) | instid1(VALU_DEP_1)
	v_cmp_gt_i32_e64 s13, 0, v5
	v_cndmask_b32_e64 v5, v5, v81, s13
	v_cmp_eq_u32_e64 s13, 0, v1
	v_add_nc_u32_e32 v1, v3, v1
	s_delay_alu instid0(VALU_DEP_3) | instskip(NEXT) | instid1(VALU_DEP_3)
	v_lshlrev_b32_e32 v5, 2, v5
	v_cndmask_b32_e64 v6, 0, v4, s13
	v_cmp_eq_u32_e64 s13, 0, v81
	ds_bpermute_b32 v1, v5, v1
	v_add_nc_u32_e32 v2, v6, v2
	ds_bpermute_b32 v2, v5, v2
	s_waitcnt lgkmcnt(1)
	v_cndmask_b32_e64 v1, v1, v3, s13
	s_delay_alu instid0(VALU_DEP_1) | instskip(SKIP_3) | instid1(VALU_DEP_3)
	v_cndmask_b32_e64 v67, v1, 0, s2
	s_waitcnt lgkmcnt(0)
	v_cndmask_b32_e64 v2, v2, v4, s13
	v_cmp_eq_u32_e64 s13, 0, v35
	v_add_nc_u32_e32 v73, v67, v35
	s_delay_alu instid0(VALU_DEP_3) | instskip(NEXT) | instid1(VALU_DEP_2)
	v_cndmask_b32_e64 v68, v2, v63, s2
	v_add_nc_u32_e32 v69, v73, v36
	s_delay_alu instid0(VALU_DEP_2) | instskip(NEXT) | instid1(VALU_DEP_2)
	v_cndmask_b32_e64 v2, 0, v68, s13
	v_add_nc_u32_e32 v65, v69, v33
	s_delay_alu instid0(VALU_DEP_2) | instskip(NEXT) | instid1(VALU_DEP_2)
	v_add_nc_u32_e32 v74, v2, v49
	v_add_nc_u32_e32 v59, v65, v34
	s_delay_alu instid0(VALU_DEP_2) | instskip(NEXT) | instid1(VALU_DEP_2)
	v_cndmask_b32_e64 v2, 0, v74, s7
	v_add_nc_u32_e32 v55, v59, v31
	s_delay_alu instid0(VALU_DEP_2) | instskip(NEXT) | instid1(VALU_DEP_2)
	v_add_nc_u32_e32 v70, v2, v50
	;; [unrolled: 6-line block ×3, first 2 shown]
	v_add_nc_u32_e32 v61, v57, v30
	s_delay_alu instid0(VALU_DEP_2) | instskip(NEXT) | instid1(VALU_DEP_2)
	v_cndmask_b32_e64 v2, 0, v66, s9
	v_add_nc_u32_e32 v5, v61, v27
	s_delay_alu instid0(VALU_DEP_2) | instskip(NEXT) | instid1(VALU_DEP_1)
	v_add_nc_u32_e32 v60, v2, v48
	v_cndmask_b32_e64 v2, 0, v60, s10
	s_delay_alu instid0(VALU_DEP_1) | instskip(NEXT) | instid1(VALU_DEP_1)
	v_add_nc_u32_e32 v56, v2, v45
	v_cndmask_b32_e64 v2, 0, v56, s11
	s_delay_alu instid0(VALU_DEP_1) | instskip(NEXT) | instid1(VALU_DEP_1)
	v_add_nc_u32_e32 v54, v2, v46
	v_cndmask_b32_e64 v2, 0, v54, s12
	s_delay_alu instid0(VALU_DEP_1) | instskip(NEXT) | instid1(VALU_DEP_1)
	v_add_nc_u32_e32 v58, v2, v43
	v_cndmask_b32_e64 v1, 0, v58, s6
	s_delay_alu instid0(VALU_DEP_1) | instskip(NEXT) | instid1(VALU_DEP_1)
	v_add_nc_u32_e32 v62, v1, v44
	v_cndmask_b32_e64 v1, 0, v62, s5
	s_delay_alu instid0(VALU_DEP_1) | instskip(NEXT) | instid1(VALU_DEP_1)
	v_add_nc_u32_e32 v6, v1, v41
	v_cndmask_b32_e64 v1, 0, v6, s4
	s_delay_alu instid0(VALU_DEP_1) | instskip(NEXT) | instid1(VALU_DEP_1)
	v_add_nc_u32_e32 v8, v1, v42
	v_cndmask_b32_e64 v1, 0, v8, s3
	s_delay_alu instid0(VALU_DEP_1) | instskip(SKIP_3) | instid1(VALU_DEP_2)
	v_add_nc_u32_e32 v52, v1, v39
	ds_load_b64 v[1:2], v7 offset:2120
	v_add_nc_u32_e32 v7, v5, v28
	v_cndmask_b32_e64 v3, 0, v52, s1
	v_add_nc_u32_e32 v51, v7, v25
	s_delay_alu instid0(VALU_DEP_2) | instskip(NEXT) | instid1(VALU_DEP_2)
	v_add_nc_u32_e32 v76, v3, v40
	v_add_nc_u32_e32 v75, v51, v26
	s_delay_alu instid0(VALU_DEP_2) | instskip(NEXT) | instid1(VALU_DEP_2)
	v_cndmask_b32_e32 v3, 0, v76, vcc_lo
	v_add_nc_u32_e32 v71, v75, v23
	s_delay_alu instid0(VALU_DEP_2) | instskip(SKIP_2) | instid1(VALU_DEP_2)
	v_add_nc_u32_e32 v72, v3, v37
	s_waitcnt lgkmcnt(0)
	v_cmp_eq_u32_e32 vcc_lo, 0, v1
	v_cndmask_b32_e64 v3, 0, v72, s0
	v_dual_cndmask_b32 v4, 0, v63 :: v_dual_add_nc_u32 v63, v71, v24
	s_delay_alu instid0(VALU_DEP_2) | instskip(NEXT) | instid1(VALU_DEP_2)
	v_add_nc_u32_e32 v64, v3, v38
	v_add_nc_u32_e32 v80, v4, v2
	s_and_saveexec_b32 s0, s2
	s_cbranch_execz .LBB600_158
; %bb.157:
	s_delay_alu instid0(VALU_DEP_1)
	v_and_b32_e32 v2, 0xff000000, v80
	v_dual_mov_b32 v4, 0 :: v_dual_and_b32 v3, 0xff0000, v80
	s_add_u32 s4, s20, 0x200
	v_and_b32_e32 v37, 0xff00, v80
	s_addc_u32 s5, s21, 0
	v_and_b32_e32 v38, 0xff, v80
	v_or_b32_e32 v2, v3, v2
	v_mov_b32_e32 v3, 2
	s_delay_alu instid0(VALU_DEP_2)
	v_or3_b32 v2, v2, v37, v38
	v_dual_mov_b32 v38, s5 :: v_dual_mov_b32 v37, s4
	;;#ASMSTART
	global_store_dwordx4 v[37:38], v[1:4] off	
s_waitcnt vmcnt(0)
	;;#ASMEND
.LBB600_158:
	s_or_b32 exec_lo, exec_lo, s0
	v_mov_b32_e32 v3, 0
.LBB600_159:
	v_mov_b32_e32 v37, 0
	s_and_b32 s0, s16, exec_lo
	v_mov_b32_e32 v38, 0
	s_cselect_b32 s1, 0, s39
	s_cselect_b32 s0, 0, s38
	s_waitcnt lgkmcnt(0)
	s_cmp_eq_u64 s[0:1], 0
	s_barrier
	buffer_gl0_inv
	s_cbranch_scc1 .LBB600_161
; %bb.160:
	v_mov_b32_e32 v2, 0
	global_load_b64 v[37:38], v2, s[0:1]
.LBB600_161:
	v_cmp_eq_u32_e32 vcc_lo, 0, v35
	v_cmp_ne_u32_e64 s15, 0, v35
	v_cmp_ne_u32_e64 s14, 0, v36
	;; [unrolled: 1-line block ×4, first 2 shown]
	v_cndmask_b32_e64 v2, 1, 2, vcc_lo
	v_cmp_eq_u32_e32 vcc_lo, 0, v36
	v_cmp_ne_u32_e64 s11, 0, v31
	v_cmp_ne_u32_e64 s10, 0, v32
	v_cmp_ne_u32_e64 s8, 0, v29
	v_cmp_ne_u32_e64 s6, 0, v30
	v_cndmask_b32_e64 v4, 1, 2, vcc_lo
	v_cmp_eq_u32_e32 vcc_lo, 0, v33
	v_cmp_ne_u32_e64 s9, 0, v27
	v_cmp_ne_u32_e64 s7, 0, v28
	v_cmp_ne_u32_e64 s5, 0, v25
	v_and_b32_e32 v2, v4, v2
	v_cndmask_b32_e64 v39, 1, 2, vcc_lo
	v_cmp_eq_u32_e32 vcc_lo, 0, v34
	v_cmp_ne_u32_e64 s4, 0, v26
	v_cmp_ne_u32_e64 s3, 0, v23
	;; [unrolled: 1-line block ×3, first 2 shown]
	v_and_b32_e32 v2, v2, v39
	v_cndmask_b32_e64 v4, 1, 2, vcc_lo
	v_cmp_eq_u32_e32 vcc_lo, 0, v31
	v_cmp_ne_u32_e64 s0, 0, v78
	s_delay_alu instid0(VALU_DEP_3) | instskip(SKIP_2) | instid1(VALU_DEP_2)
	v_and_b32_e32 v2, v2, v4
	v_cndmask_b32_e64 v39, 1, 2, vcc_lo
	v_cmp_eq_u32_e32 vcc_lo, 0, v32
	v_and_b32_e32 v2, v2, v39
	v_cndmask_b32_e64 v4, 1, 2, vcc_lo
	v_cmp_eq_u32_e32 vcc_lo, 0, v29
	s_waitcnt vmcnt(0)
	v_lshlrev_b64 v[39:40], 2, v[37:38]
	s_delay_alu instid0(VALU_DEP_3) | instskip(SKIP_2) | instid1(VALU_DEP_2)
	v_and_b32_e32 v2, v2, v4
	v_cndmask_b32_e64 v41, 1, 2, vcc_lo
	v_cmp_eq_u32_e32 vcc_lo, 0, v30
	v_and_b32_e32 v2, v2, v41
	v_cndmask_b32_e64 v42, 1, 2, vcc_lo
	v_cmp_eq_u32_e32 vcc_lo, 0, v27
	s_delay_alu instid0(VALU_DEP_2) | instskip(SKIP_2) | instid1(VALU_DEP_2)
	v_and_b32_e32 v2, v2, v42
	v_cndmask_b32_e64 v41, 1, 2, vcc_lo
	v_cmp_eq_u32_e32 vcc_lo, 0, v28
	v_and_b32_e32 v2, v2, v41
	v_cndmask_b32_e64 v42, 1, 2, vcc_lo
	v_cmp_eq_u32_e32 vcc_lo, 0, v25
	s_delay_alu instid0(VALU_DEP_2) | instskip(SKIP_2) | instid1(VALU_DEP_2)
	;; [unrolled: 7-line block ×3, first 2 shown]
	v_and_b32_e32 v2, v2, v43
	v_cndmask_b32_e64 v44, 1, 2, vcc_lo
	v_cmp_eq_u32_e32 vcc_lo, 0, v24
	v_and_b32_e32 v44, v2, v44
	v_cndmask_b32_e64 v45, 1, 2, vcc_lo
	v_mov_b32_e32 v4, 0
	s_delay_alu instid0(VALU_DEP_1) | instskip(SKIP_3) | instid1(VALU_DEP_2)
	v_lshlrev_b64 v[41:42], 2, v[3:4]
	v_add_co_u32 v4, vcc_lo, s18, v39
	v_add_co_ci_u32_e32 v43, vcc_lo, s19, v40, vcc_lo
	s_mov_b32 s18, -1
	v_add_co_u32 v2, vcc_lo, v4, v41
	s_delay_alu instid0(VALU_DEP_2) | instskip(SKIP_4) | instid1(VALU_DEP_2)
	v_add_co_ci_u32_e32 v4, vcc_lo, v43, v42, vcc_lo
	v_and_b32_e32 v43, v44, v45
	v_cmp_eq_u32_e32 vcc_lo, 0, v78
	v_cndmask_b32_e64 v44, 1, 2, vcc_lo
	v_cmp_gt_u32_e32 vcc_lo, 0x100, v1
	v_and_b32_e32 v43, v43, v44
	s_delay_alu instid0(VALU_DEP_1)
	v_cmp_gt_i16_e64 s16, 2, v43
	s_cbranch_vccz .LBB600_168
; %bb.162:
	s_delay_alu instid0(VALU_DEP_1)
	s_and_saveexec_b32 s18, s16
	s_cbranch_execz .LBB600_167
; %bb.163:
	s_mov_b32 s19, 0
	s_mov_b32 s16, exec_lo
	v_cmpx_ne_u16_e32 1, v43
	s_xor_b32 s16, exec_lo, s16
	s_cbranch_execnz .LBB600_233
; %bb.164:
	s_and_not1_saveexec_b32 s16, s16
	s_cbranch_execnz .LBB600_249
.LBB600_165:
	s_or_b32 exec_lo, exec_lo, s16
	s_delay_alu instid0(SALU_CYCLE_1)
	s_and_b32 exec_lo, exec_lo, s19
	s_cbranch_execz .LBB600_167
.LBB600_166:
	v_sub_nc_u32_e32 v44, v63, v3
	v_mov_b32_e32 v45, 0
	s_delay_alu instid0(VALU_DEP_1) | instskip(NEXT) | instid1(VALU_DEP_1)
	v_lshlrev_b64 v[44:45], 2, v[44:45]
	v_add_co_u32 v44, vcc_lo, v2, v44
	s_delay_alu instid0(VALU_DEP_2)
	v_add_co_ci_u32_e32 v45, vcc_lo, v4, v45, vcc_lo
	global_store_b32 v[44:45], v77, off
.LBB600_167:
	s_or_b32 exec_lo, exec_lo, s18
	s_mov_b32 s18, 0
.LBB600_168:
	s_delay_alu instid0(SALU_CYCLE_1)
	s_and_b32 vcc_lo, exec_lo, s18
	s_cbranch_vccz .LBB600_178
; %bb.169:
	s_mov_b32 s16, exec_lo
	v_cmpx_gt_i16_e32 2, v43
	s_cbranch_execz .LBB600_174
; %bb.170:
	s_mov_b32 s19, 0
	s_mov_b32 s18, exec_lo
	v_cmpx_ne_u16_e32 1, v43
	s_xor_b32 s18, exec_lo, s18
	s_cbranch_execnz .LBB600_250
; %bb.171:
	s_and_not1_saveexec_b32 s0, s18
	s_cbranch_execnz .LBB600_266
.LBB600_172:
	s_or_b32 exec_lo, exec_lo, s0
	s_delay_alu instid0(SALU_CYCLE_1)
	s_and_b32 exec_lo, exec_lo, s19
	s_cbranch_execz .LBB600_174
.LBB600_173:
	v_sub_nc_u32_e32 v9, v63, v3
	s_delay_alu instid0(VALU_DEP_1)
	v_lshlrev_b32_e32 v9, 2, v9
	ds_store_b32 v9, v77
.LBB600_174:
	s_or_b32 exec_lo, exec_lo, s16
	s_delay_alu instid0(SALU_CYCLE_1)
	s_mov_b32 s1, exec_lo
	s_waitcnt lgkmcnt(0)
	s_waitcnt_vscnt null, 0x0
	s_barrier
	buffer_gl0_inv
	v_cmpx_lt_u32_e64 v0, v1
	s_cbranch_execz .LBB600_177
; %bb.175:
	v_dual_mov_b32 v10, 0 :: v_dual_lshlrev_b32 v11, 2, v0
	v_mov_b32_e32 v9, v0
	s_mov_b32 s3, 0
	.p2align	6
.LBB600_176:                            ; =>This Inner Loop Header: Depth=1
	ds_load_b32 v14, v11
	v_lshlrev_b64 v[12:13], 2, v[9:10]
	v_add_nc_u32_e32 v9, 0x100, v9
	v_add_nc_u32_e32 v11, 0x400, v11
	s_delay_alu instid0(VALU_DEP_2) | instskip(NEXT) | instid1(VALU_DEP_4)
	v_cmp_ge_u32_e32 vcc_lo, v9, v1
	v_add_co_u32 v12, s0, v2, v12
	s_delay_alu instid0(VALU_DEP_1)
	v_add_co_ci_u32_e64 v13, s0, v4, v13, s0
	s_or_b32 s3, vcc_lo, s3
	s_waitcnt lgkmcnt(0)
	global_store_b32 v[12:13], v14, off
	s_and_not1_b32 exec_lo, exec_lo, s3
	s_cbranch_execnz .LBB600_176
.LBB600_177:
	s_or_b32 exec_lo, exec_lo, s1
.LBB600_178:
	s_cmpk_lg_i32 s26, 0xf00
	v_cndmask_b32_e64 v4, 0, 1, s27
	s_cselect_b32 s0, -1, 0
	v_mad_i32_i24 v10, v0, -15, s26
	s_and_b32 s0, s0, s17
	s_and_b32 s1, s2, s27
	v_cndmask_b32_e64 v9, 0, 1, s0
	s_mul_hi_u32 s0, s26, 0x88888889
	v_sub_nc_u32_e32 v2, v1, v4
	s_lshr_b32 s0, s0, 3
	v_cndmask_b32_e64 v11, v35, 0, s1
	v_cmp_eq_u32_e32 vcc_lo, s0, v0
	v_cmp_ne_u32_e64 s0, 0, v10
	s_mov_b32 s16, -1
	s_waitcnt_vscnt null, 0x0
	s_barrier
	s_and_b32 vcc_lo, vcc_lo, s17
	v_add_nc_u32_e32 v2, v2, v9
	v_cndmask_b32_e64 v9, 1, v11, s0
	v_cmp_ne_u32_e64 s0, 1, v10
	buffer_gl0_inv
	v_cndmask_b32_e64 v12, 1, v36, s0
	v_cmp_ne_u32_e64 s0, 14, v10
	s_delay_alu instid0(VALU_DEP_2) | instskip(NEXT) | instid1(VALU_DEP_2)
	v_cndmask_b32_e32 v17, v36, v12, vcc_lo
	v_cndmask_b32_e64 v13, 1, v78, s0
	v_cmp_ne_u32_e64 s0, 2, v10
	s_delay_alu instid0(VALU_DEP_3) | instskip(NEXT) | instid1(VALU_DEP_3)
	v_cmp_ne_u32_e64 s13, 0, v17
	v_cndmask_b32_e32 v16, v78, v13, vcc_lo
	s_delay_alu instid0(VALU_DEP_3) | instskip(SKIP_1) | instid1(VALU_DEP_2)
	v_cndmask_b32_e64 v14, 1, v33, s0
	v_cmp_ne_u32_e64 s0, 3, v10
	v_dual_cndmask_b32 v13, v11, v9 :: v_dual_cndmask_b32 v14, v33, v14
	s_delay_alu instid0(VALU_DEP_2) | instskip(SKIP_1) | instid1(VALU_DEP_3)
	v_cndmask_b32_e64 v15, 1, v34, s0
	v_cmp_ne_u32_e64 s0, 4, v10
	v_cmp_ne_u32_e64 s14, 0, v13
	s_delay_alu instid0(VALU_DEP_4) | instskip(NEXT) | instid1(VALU_DEP_3)
	v_cmp_ne_u32_e64 s12, 0, v14
	v_cndmask_b32_e64 v9, 1, v31, s0
	v_cmp_ne_u32_e64 s0, 5, v10
	s_delay_alu instid0(VALU_DEP_1) | instskip(SKIP_1) | instid1(VALU_DEP_1)
	v_cndmask_b32_e64 v11, 1, v32, s0
	v_cmp_eq_u32_e64 s0, 0, v13
	v_cndmask_b32_e64 v12, 1, 2, s0
	v_cmp_eq_u32_e64 s0, 0, v17
	s_delay_alu instid0(VALU_DEP_1) | instskip(SKIP_1) | instid1(VALU_DEP_1)
	v_cndmask_b32_e64 v18, 1, 2, s0
	v_cmp_ne_u32_e64 s0, 6, v10
	v_cndmask_b32_e64 v19, 1, v29, s0
	v_cmp_eq_u32_e64 s0, 0, v14
	s_delay_alu instid0(VALU_DEP_2) | instskip(NEXT) | instid1(VALU_DEP_2)
	v_dual_cndmask_b32 v19, v29, v19 :: v_dual_and_b32 v12, v18, v12
	v_cndmask_b32_e64 v18, 1, 2, s0
	v_cmp_ne_u32_e64 s0, 7, v10
	v_cndmask_b32_e32 v15, v34, v15, vcc_lo
	s_delay_alu instid0(VALU_DEP_4) | instskip(NEXT) | instid1(VALU_DEP_4)
	v_cmp_ne_u32_e64 s8, 0, v19
	v_and_b32_e32 v12, v12, v18
	s_delay_alu instid0(VALU_DEP_4) | instskip(SKIP_2) | instid1(VALU_DEP_2)
	v_cndmask_b32_e64 v20, 1, v30, s0
	v_cmp_ne_u32_e64 s0, 8, v10
	v_cmp_ne_u32_e64 s11, 0, v15
	v_cndmask_b32_e64 v21, 1, v27, s0
	v_cmp_eq_u32_e64 s0, 0, v15
	s_delay_alu instid0(VALU_DEP_2) | instskip(NEXT) | instid1(VALU_DEP_2)
	v_dual_cndmask_b32 v20, v30, v20 :: v_dual_cndmask_b32 v21, v27, v21
	v_cndmask_b32_e64 v18, 1, 2, s0
	v_cndmask_b32_e32 v22, v31, v9, vcc_lo
	v_cmp_ne_u32_e64 s0, 9, v10
	v_cndmask_b32_e32 v31, v32, v11, vcc_lo
	v_cmp_ne_u32_e64 s7, 0, v20
	v_and_b32_e32 v11, v12, v18
	v_cmp_ne_u32_e64 s10, 0, v22
	v_cndmask_b32_e64 v9, 1, v28, s0
	v_cmp_eq_u32_e64 s0, 0, v22
	v_cmp_ne_u32_e64 s9, 0, v31
	v_cmp_ne_u32_e64 s6, 0, v21
	s_delay_alu instid0(VALU_DEP_3) | instskip(SKIP_1) | instid1(VALU_DEP_2)
	v_cndmask_b32_e64 v12, 1, 2, s0
	v_cmp_ne_u32_e64 s0, 10, v10
	v_and_b32_e32 v11, v11, v12
	s_delay_alu instid0(VALU_DEP_2) | instskip(SKIP_1) | instid1(VALU_DEP_2)
	v_cndmask_b32_e64 v18, 1, v25, s0
	v_cmp_ne_u32_e64 s0, 12, v10
	v_cndmask_b32_e32 v18, v25, v18, vcc_lo
	s_delay_alu instid0(VALU_DEP_2) | instskip(SKIP_2) | instid1(VALU_DEP_4)
	v_cndmask_b32_e64 v32, 1, v23, s0
	v_cmp_eq_u32_e64 s0, 0, v31
	v_cndmask_b32_e32 v25, v28, v9, vcc_lo
	v_cmp_ne_u32_e64 s4, 0, v18
	s_delay_alu instid0(VALU_DEP_4) | instskip(NEXT) | instid1(VALU_DEP_4)
	v_cndmask_b32_e32 v23, v23, v32, vcc_lo
	v_cndmask_b32_e64 v12, 1, 2, s0
	v_cmp_ne_u32_e64 s0, 13, v10
	s_delay_alu instid0(VALU_DEP_3) | instskip(NEXT) | instid1(VALU_DEP_2)
	v_cmp_ne_u32_e64 s2, 0, v23
	v_cndmask_b32_e64 v29, 1, v24, s0
	v_cmp_eq_u32_e64 s0, 0, v19
	s_delay_alu instid0(VALU_DEP_2) | instskip(NEXT) | instid1(VALU_DEP_2)
	v_dual_cndmask_b32 v24, v24, v29 :: v_dual_and_b32 v11, v11, v12
	v_cndmask_b32_e64 v12, 1, 2, s0
	v_cmp_ne_u32_e64 s0, 11, v10
	s_delay_alu instid0(VALU_DEP_3) | instskip(NEXT) | instid1(VALU_DEP_2)
	v_cmp_ne_u32_e64 s1, 0, v24
	v_cndmask_b32_e64 v10, 1, v26, s0
	v_cmp_eq_u32_e64 s0, 0, v20
	s_delay_alu instid0(VALU_DEP_2) | instskip(NEXT) | instid1(VALU_DEP_2)
	v_dual_cndmask_b32 v26, v26, v10 :: v_dual_and_b32 v11, v11, v12
	v_cndmask_b32_e64 v12, 1, 2, s0
	v_cmp_eq_u32_e32 vcc_lo, 0, v21
	v_cmp_ne_u32_e64 s0, 0, v16
	s_delay_alu instid0(VALU_DEP_4) | instskip(NEXT) | instid1(VALU_DEP_4)
	v_cmp_ne_u32_e64 s3, 0, v26
	v_and_b32_e32 v9, v11, v12
	v_cndmask_b32_e64 v10, 1, 2, vcc_lo
	v_add_co_u32 v11, vcc_lo, s28, v39
	v_add_co_ci_u32_e32 v12, vcc_lo, s29, v40, vcc_lo
	v_cmp_eq_u32_e32 vcc_lo, 0, v25
	s_delay_alu instid0(VALU_DEP_4)
	v_and_b32_e32 v27, v9, v10
	v_cndmask_b32_e64 v28, 1, 2, vcc_lo
	v_add_co_u32 v9, vcc_lo, v11, v41
	v_add_co_ci_u32_e32 v10, vcc_lo, v12, v42, vcc_lo
	v_lshlrev_b32_e32 v11, 2, v4
	v_cmp_eq_u32_e32 vcc_lo, 0, v18
	v_and_b32_e32 v12, v27, v28
	v_add_nc_u32_e32 v4, v3, v4
	v_cmp_ne_u32_e64 s5, 0, v25
	v_cndmask_b32_e64 v27, 1, 2, vcc_lo
	v_add_co_u32 v11, vcc_lo, v11, v9
	v_add_co_ci_u32_e32 v28, vcc_lo, 0, v10, vcc_lo
	v_cmp_eq_u32_e32 vcc_lo, 0, v26
	s_delay_alu instid0(VALU_DEP_4) | instskip(SKIP_4) | instid1(VALU_DEP_4)
	v_and_b32_e32 v27, v12, v27
	v_cndmask_b32_e64 v29, 1, 2, vcc_lo
	v_add_co_u32 v11, vcc_lo, v11, -4
	v_add_co_ci_u32_e32 v12, vcc_lo, -1, v28, vcc_lo
	v_cmp_eq_u32_e32 vcc_lo, 0, v23
	v_and_b32_e32 v27, v27, v29
	v_cndmask_b32_e64 v28, 1, 2, vcc_lo
	v_cmp_eq_u32_e32 vcc_lo, 0, v24
	s_delay_alu instid0(VALU_DEP_2) | instskip(SKIP_2) | instid1(VALU_DEP_2)
	v_and_b32_e32 v13, v27, v28
	v_cndmask_b32_e64 v14, 1, 2, vcc_lo
	v_cmp_eq_u32_e32 vcc_lo, 0, v16
	v_and_b32_e32 v13, v13, v14
	v_cndmask_b32_e64 v14, 1, 2, vcc_lo
	v_cmp_gt_u32_e32 vcc_lo, 0x100, v2
	s_delay_alu instid0(VALU_DEP_2) | instskip(NEXT) | instid1(VALU_DEP_1)
	v_and_b32_e32 v13, v13, v14
	v_cmp_gt_i16_e64 s15, 2, v13
	s_cbranch_vccnz .LBB600_182
; %bb.179:
	s_and_b32 vcc_lo, exec_lo, s16
	s_cbranch_vccnz .LBB600_188
.LBB600_180:
	v_cmp_eq_u32_e32 vcc_lo, 0xff, v0
	s_and_b32 s0, vcc_lo, s17
	s_delay_alu instid0(SALU_CYCLE_1)
	s_and_saveexec_b32 s1, s0
	s_cbranch_execnz .LBB600_197
.LBB600_181:
	s_nop 0
	s_sendmsg sendmsg(MSG_DEALLOC_VGPRS)
	s_endpgm
.LBB600_182:
	s_delay_alu instid0(VALU_DEP_1)
	s_and_saveexec_b32 s16, s15
	s_cbranch_execz .LBB600_187
; %bb.183:
	s_mov_b32 s18, 0
	s_mov_b32 s15, exec_lo
	v_cmpx_ne_u16_e32 1, v13
	s_xor_b32 s15, exec_lo, s15
	s_cbranch_execnz .LBB600_267
; %bb.184:
	s_and_not1_saveexec_b32 s15, s15
	s_cbranch_execnz .LBB600_283
.LBB600_185:
	s_or_b32 exec_lo, exec_lo, s15
	s_delay_alu instid0(SALU_CYCLE_1)
	s_and_b32 exec_lo, exec_lo, s18
	s_cbranch_execz .LBB600_187
.LBB600_186:
	v_sub_nc_u32_e32 v14, v63, v4
	v_mov_b32_e32 v15, 0
	s_delay_alu instid0(VALU_DEP_1) | instskip(NEXT) | instid1(VALU_DEP_1)
	v_lshlrev_b64 v[14:15], 2, v[14:15]
	v_add_co_u32 v14, vcc_lo, v11, v14
	s_delay_alu instid0(VALU_DEP_2)
	v_add_co_ci_u32_e32 v15, vcc_lo, v12, v15, vcc_lo
	global_store_b32 v[14:15], v64, off
.LBB600_187:
	s_or_b32 exec_lo, exec_lo, s16
	s_branch .LBB600_180
.LBB600_188:
	s_mov_b32 s15, exec_lo
	v_cmpx_gt_i16_e32 2, v13
	s_cbranch_execz .LBB600_193
; %bb.189:
	s_mov_b32 s18, 0
	s_mov_b32 s16, exec_lo
	v_cmpx_ne_u16_e32 1, v13
	s_xor_b32 s16, exec_lo, s16
	s_cbranch_execnz .LBB600_284
; %bb.190:
	s_and_not1_saveexec_b32 s0, s16
	s_cbranch_execnz .LBB600_300
.LBB600_191:
	s_or_b32 exec_lo, exec_lo, s0
	s_delay_alu instid0(SALU_CYCLE_1)
	s_and_b32 exec_lo, exec_lo, s18
	s_cbranch_execz .LBB600_193
.LBB600_192:
	v_sub_nc_u32_e32 v4, v63, v4
	s_delay_alu instid0(VALU_DEP_1)
	v_lshlrev_b32_e32 v4, 2, v4
	ds_store_b32 v4, v64
.LBB600_193:
	s_or_b32 exec_lo, exec_lo, s15
	s_delay_alu instid0(SALU_CYCLE_1)
	s_mov_b32 s1, exec_lo
	s_waitcnt lgkmcnt(0)
	s_waitcnt_vscnt null, 0x0
	s_barrier
	buffer_gl0_inv
	v_cmpx_lt_u32_e64 v0, v2
	s_cbranch_execz .LBB600_196
; %bb.194:
	v_dual_mov_b32 v5, 0 :: v_dual_lshlrev_b32 v6, 2, v0
	v_mov_b32_e32 v4, v0
	s_mov_b32 s2, 0
	.p2align	6
.LBB600_195:                            ; =>This Inner Loop Header: Depth=1
	ds_load_b32 v13, v6
	v_lshlrev_b64 v[7:8], 2, v[4:5]
	v_add_nc_u32_e32 v4, 0x100, v4
	v_add_nc_u32_e32 v6, 0x400, v6
	s_delay_alu instid0(VALU_DEP_2) | instskip(NEXT) | instid1(VALU_DEP_4)
	v_cmp_ge_u32_e32 vcc_lo, v4, v2
	v_add_co_u32 v7, s0, v11, v7
	s_delay_alu instid0(VALU_DEP_1)
	v_add_co_ci_u32_e64 v8, s0, v12, v8, s0
	s_or_b32 s2, vcc_lo, s2
	s_waitcnt lgkmcnt(0)
	global_store_b32 v[7:8], v13, off
	s_and_not1_b32 exec_lo, exec_lo, s2
	s_cbranch_execnz .LBB600_195
.LBB600_196:
	s_or_b32 exec_lo, exec_lo, s1
	v_cmp_eq_u32_e32 vcc_lo, 0xff, v0
	s_and_b32 s0, vcc_lo, s17
	s_delay_alu instid0(SALU_CYCLE_1)
	s_and_saveexec_b32 s1, s0
	s_cbranch_execz .LBB600_181
.LBB600_197:
	v_add_co_u32 v0, s0, v1, v3
	s_delay_alu instid0(VALU_DEP_1) | instskip(SKIP_1) | instid1(VALU_DEP_3)
	v_add_co_ci_u32_e64 v4, null, 0, 0, s0
	v_mov_b32_e32 v2, 0
	v_add_co_u32 v3, vcc_lo, v0, v37
	s_delay_alu instid0(VALU_DEP_3)
	v_add_co_ci_u32_e32 v4, vcc_lo, v4, v38, vcc_lo
	s_cmpk_lg_i32 s26, 0xf00
	global_store_b64 v2, v[3:4], s[30:31]
	s_cbranch_scc1 .LBB600_181
; %bb.198:
	v_lshlrev_b64 v[0:1], 2, v[1:2]
	s_delay_alu instid0(VALU_DEP_1) | instskip(NEXT) | instid1(VALU_DEP_2)
	v_add_co_u32 v0, vcc_lo, v9, v0
	v_add_co_ci_u32_e32 v1, vcc_lo, v10, v1, vcc_lo
	global_store_b32 v[0:1], v80, off offset:-4
	s_nop 0
	s_sendmsg sendmsg(MSG_DEALLOC_VGPRS)
	s_endpgm
.LBB600_199:
                                        ; implicit-def: $sgpr4
                                        ; implicit-def: $vgpr78
                                        ; implicit-def: $vgpr24
                                        ; implicit-def: $vgpr23
                                        ; implicit-def: $vgpr26
                                        ; implicit-def: $vgpr25
                                        ; implicit-def: $vgpr28
                                        ; implicit-def: $vgpr27
                                        ; implicit-def: $vgpr30
                                        ; implicit-def: $vgpr29
                                        ; implicit-def: $vgpr32
                                        ; implicit-def: $vgpr31
                                        ; implicit-def: $vgpr34
                                        ; implicit-def: $vgpr33
                                        ; implicit-def: $vgpr36
	s_cbranch_execz .LBB600_113
.LBB600_200:
	v_mad_u32_u24 v23, v0, 15, 14
	s_waitcnt lgkmcnt(0)
	v_dual_mov_b32 v24, 0 :: v_dual_lshlrev_b32 v3, 2, v0
	v_mul_u32_u24_e32 v1, 15, v0
	v_mov_b32_e32 v78, 0
	s_mov_b32 s4, exec_lo
	ds_store_b32 v3, v77
	v_cmpx_gt_u64_e64 s[0:1], v[23:24]
; %bb.201:
	v_mul_hi_i32 v2, 0x66666667, v10
	v_mul_hi_i32 v4, 0x66666667, v77
	s_delay_alu instid0(VALU_DEP_2) | instskip(SKIP_1) | instid1(VALU_DEP_3)
	v_lshrrev_b32_e32 v5, 31, v2
	v_ashrrev_i32_e32 v2, 2, v2
	v_lshrrev_b32_e32 v6, 31, v4
	v_ashrrev_i32_e32 v4, 2, v4
	s_delay_alu instid0(VALU_DEP_3) | instskip(NEXT) | instid1(VALU_DEP_2)
	v_add_nc_u32_e32 v2, v2, v5
	v_add_nc_u32_e32 v4, v4, v6
	s_delay_alu instid0(VALU_DEP_1)
	v_cmp_ne_u32_e32 vcc_lo, v2, v4
	v_cndmask_b32_e64 v78, 0, 1, vcc_lo
; %bb.202:
	s_or_b32 exec_lo, exec_lo, s4
	v_add_nc_u32_e32 v23, 13, v1
	s_mov_b32 s4, exec_lo
	s_delay_alu instid0(VALU_DEP_1)
	v_cmpx_gt_u64_e64 s[0:1], v[23:24]
; %bb.203:
	v_mul_hi_i32 v2, 0x66666667, v9
	v_mul_hi_i32 v4, 0x66666667, v10
	s_delay_alu instid0(VALU_DEP_2) | instskip(SKIP_1) | instid1(VALU_DEP_3)
	v_lshrrev_b32_e32 v5, 31, v2
	v_ashrrev_i32_e32 v2, 2, v2
	v_lshrrev_b32_e32 v6, 31, v4
	v_ashrrev_i32_e32 v4, 2, v4
	s_delay_alu instid0(VALU_DEP_3) | instskip(NEXT) | instid1(VALU_DEP_2)
	v_add_nc_u32_e32 v2, v2, v5
	v_add_nc_u32_e32 v4, v4, v6
	s_delay_alu instid0(VALU_DEP_1)
	v_cmp_ne_u32_e32 vcc_lo, v2, v4
	v_cndmask_b32_e64 v24, 0, 1, vcc_lo
; %bb.204:
	s_or_b32 exec_lo, exec_lo, s4
	v_dual_mov_b32 v26, 0 :: v_dual_add_nc_u32 v25, 12, v1
	v_mov_b32_e32 v23, 0
	s_mov_b32 s4, exec_lo
	s_delay_alu instid0(VALU_DEP_2)
	v_cmpx_gt_u64_e64 s[0:1], v[25:26]
; %bb.205:
	v_mul_hi_i32 v2, 0x66666667, v12
	v_mul_hi_i32 v4, 0x66666667, v9
	s_delay_alu instid0(VALU_DEP_2) | instskip(SKIP_1) | instid1(VALU_DEP_3)
	v_lshrrev_b32_e32 v5, 31, v2
	v_ashrrev_i32_e32 v2, 2, v2
	v_lshrrev_b32_e32 v6, 31, v4
	v_ashrrev_i32_e32 v4, 2, v4
	s_delay_alu instid0(VALU_DEP_3) | instskip(NEXT) | instid1(VALU_DEP_2)
	v_add_nc_u32_e32 v2, v2, v5
	v_add_nc_u32_e32 v4, v4, v6
	s_delay_alu instid0(VALU_DEP_1)
	v_cmp_ne_u32_e32 vcc_lo, v2, v4
	v_cndmask_b32_e64 v23, 0, 1, vcc_lo
; %bb.206:
	s_or_b32 exec_lo, exec_lo, s4
	v_add_nc_u32_e32 v25, 11, v1
	s_mov_b32 s4, exec_lo
	s_delay_alu instid0(VALU_DEP_1)
	v_cmpx_gt_u64_e64 s[0:1], v[25:26]
; %bb.207:
	v_mul_hi_i32 v2, 0x66666667, v11
	v_mul_hi_i32 v4, 0x66666667, v12
	s_delay_alu instid0(VALU_DEP_2) | instskip(SKIP_1) | instid1(VALU_DEP_3)
	v_lshrrev_b32_e32 v5, 31, v2
	v_ashrrev_i32_e32 v2, 2, v2
	v_lshrrev_b32_e32 v6, 31, v4
	v_ashrrev_i32_e32 v4, 2, v4
	s_delay_alu instid0(VALU_DEP_3) | instskip(NEXT) | instid1(VALU_DEP_2)
	v_add_nc_u32_e32 v2, v2, v5
	v_add_nc_u32_e32 v4, v4, v6
	s_delay_alu instid0(VALU_DEP_1)
	v_cmp_ne_u32_e32 vcc_lo, v2, v4
	v_cndmask_b32_e64 v26, 0, 1, vcc_lo
; %bb.208:
	s_or_b32 exec_lo, exec_lo, s4
	v_dual_mov_b32 v28, 0 :: v_dual_add_nc_u32 v27, 10, v1
	v_mov_b32_e32 v25, 0
	s_mov_b32 s4, exec_lo
	s_delay_alu instid0(VALU_DEP_2)
	;; [unrolled: 41-line block ×6, first 2 shown]
	v_cmpx_gt_u64_e64 s[0:1], v[35:36]
; %bb.225:
	v_mul_hi_i32 v2, 0x66666667, v22
	v_mul_hi_i32 v4, 0x66666667, v19
	s_delay_alu instid0(VALU_DEP_2) | instskip(SKIP_1) | instid1(VALU_DEP_3)
	v_lshrrev_b32_e32 v5, 31, v2
	v_ashrrev_i32_e32 v2, 2, v2
	v_lshrrev_b32_e32 v6, 31, v4
	v_ashrrev_i32_e32 v4, 2, v4
	s_delay_alu instid0(VALU_DEP_3) | instskip(NEXT) | instid1(VALU_DEP_2)
	v_add_nc_u32_e32 v2, v2, v5
	v_add_nc_u32_e32 v4, v4, v6
	s_delay_alu instid0(VALU_DEP_1)
	v_cmp_ne_u32_e32 vcc_lo, v2, v4
	v_cndmask_b32_e64 v33, 0, 1, vcc_lo
; %bb.226:
	s_or_b32 exec_lo, exec_lo, s4
	v_add_nc_u32_e32 v35, 1, v1
	s_mov_b32 s4, exec_lo
	s_delay_alu instid0(VALU_DEP_1)
	v_cmpx_gt_u64_e64 s[0:1], v[35:36]
; %bb.227:
	v_mul_hi_i32 v2, 0x66666667, v21
	v_mul_hi_i32 v4, 0x66666667, v22
	s_delay_alu instid0(VALU_DEP_2) | instskip(SKIP_1) | instid1(VALU_DEP_3)
	v_lshrrev_b32_e32 v5, 31, v2
	v_ashrrev_i32_e32 v2, 2, v2
	v_lshrrev_b32_e32 v6, 31, v4
	v_ashrrev_i32_e32 v4, 2, v4
	s_delay_alu instid0(VALU_DEP_3) | instskip(NEXT) | instid1(VALU_DEP_2)
	v_add_nc_u32_e32 v2, v2, v5
	v_add_nc_u32_e32 v4, v4, v6
	s_delay_alu instid0(VALU_DEP_1)
	v_cmp_ne_u32_e32 vcc_lo, v2, v4
	v_cndmask_b32_e64 v36, 0, 1, vcc_lo
; %bb.228:
	s_or_b32 exec_lo, exec_lo, s4
	s_waitcnt lgkmcnt(0)
	s_barrier
	buffer_gl0_inv
                                        ; implicit-def: $sgpr4
	s_and_saveexec_b32 s5, s3
	s_cbranch_execz .LBB600_232
; %bb.229:
	v_mov_b32_e32 v2, 0
	s_delay_alu instid0(VALU_DEP_1)
	v_cmp_gt_u64_e32 vcc_lo, s[0:1], v[1:2]
	s_mov_b32 s1, 0
	s_and_saveexec_b32 s0, vcc_lo
	s_cbranch_execz .LBB600_231
; %bb.230:
	v_add_nc_u32_e32 v1, -4, v3
	v_mul_hi_i32 v2, 0x66666667, v21
	ds_load_b32 v1, v1
	v_lshrrev_b32_e32 v3, 31, v2
	v_ashrrev_i32_e32 v2, 2, v2
	s_delay_alu instid0(VALU_DEP_1) | instskip(SKIP_2) | instid1(VALU_DEP_1)
	v_add_nc_u32_e32 v2, v2, v3
	s_waitcnt lgkmcnt(0)
	v_mul_hi_i32 v1, 0x66666667, v1
	v_lshrrev_b32_e32 v4, 31, v1
	v_ashrrev_i32_e32 v1, 2, v1
	s_delay_alu instid0(VALU_DEP_1) | instskip(NEXT) | instid1(VALU_DEP_1)
	v_add_nc_u32_e32 v1, v1, v4
	v_cmp_ne_u32_e32 vcc_lo, v1, v2
	s_and_b32 s1, vcc_lo, exec_lo
.LBB600_231:
	s_or_b32 exec_lo, exec_lo, s0
	s_delay_alu instid0(SALU_CYCLE_1)
	s_and_b32 s4, s1, exec_lo
	s_or_b32 s15, s15, exec_lo
.LBB600_232:
	s_or_b32 exec_lo, exec_lo, s5
	s_mov_b32 s0, 1
	s_delay_alu instid0(SALU_CYCLE_1)
	v_mov_b32_e32 v35, s0
	s_and_saveexec_b32 s0, s15
	s_cbranch_execnz .LBB600_115
	s_branch .LBB600_116
.LBB600_233:
	s_and_saveexec_b32 s19, s15
	s_cbranch_execnz .LBB600_301
; %bb.234:
	s_or_b32 exec_lo, exec_lo, s19
	s_and_saveexec_b32 s19, s14
	s_cbranch_execnz .LBB600_302
.LBB600_235:
	s_or_b32 exec_lo, exec_lo, s19
	s_and_saveexec_b32 s19, s13
	s_cbranch_execnz .LBB600_303
.LBB600_236:
	s_or_b32 exec_lo, exec_lo, s19
	s_and_saveexec_b32 s19, s12
	s_cbranch_execnz .LBB600_304
.LBB600_237:
	s_or_b32 exec_lo, exec_lo, s19
	s_and_saveexec_b32 s19, s11
	s_cbranch_execnz .LBB600_305
.LBB600_238:
	s_or_b32 exec_lo, exec_lo, s19
	s_and_saveexec_b32 s19, s10
	s_cbranch_execnz .LBB600_306
.LBB600_239:
	s_or_b32 exec_lo, exec_lo, s19
	s_and_saveexec_b32 s19, s8
	s_cbranch_execnz .LBB600_307
.LBB600_240:
	s_or_b32 exec_lo, exec_lo, s19
	s_and_saveexec_b32 s19, s6
	s_cbranch_execnz .LBB600_308
.LBB600_241:
	s_or_b32 exec_lo, exec_lo, s19
	s_and_saveexec_b32 s19, s9
	s_cbranch_execnz .LBB600_309
.LBB600_242:
	s_or_b32 exec_lo, exec_lo, s19
	s_and_saveexec_b32 s19, s7
	s_cbranch_execnz .LBB600_310
.LBB600_243:
	s_or_b32 exec_lo, exec_lo, s19
	s_and_saveexec_b32 s19, s5
	s_cbranch_execnz .LBB600_311
.LBB600_244:
	s_or_b32 exec_lo, exec_lo, s19
	s_and_saveexec_b32 s19, s4
	s_cbranch_execnz .LBB600_312
.LBB600_245:
	s_or_b32 exec_lo, exec_lo, s19
	s_and_saveexec_b32 s19, s3
	s_cbranch_execnz .LBB600_313
.LBB600_246:
	s_or_b32 exec_lo, exec_lo, s19
	s_and_saveexec_b32 s19, s1
	s_cbranch_execz .LBB600_248
.LBB600_247:
	v_sub_nc_u32_e32 v44, v71, v3
	v_mov_b32_e32 v45, 0
	s_delay_alu instid0(VALU_DEP_1) | instskip(NEXT) | instid1(VALU_DEP_1)
	v_lshlrev_b64 v[44:45], 2, v[44:45]
	v_add_co_u32 v44, vcc_lo, v2, v44
	s_delay_alu instid0(VALU_DEP_2)
	v_add_co_ci_u32_e32 v45, vcc_lo, v4, v45, vcc_lo
	global_store_b32 v[44:45], v10, off
.LBB600_248:
	s_or_b32 exec_lo, exec_lo, s19
	s_delay_alu instid0(SALU_CYCLE_1)
	s_and_b32 s19, s0, exec_lo
	s_and_not1_saveexec_b32 s16, s16
	s_cbranch_execz .LBB600_165
.LBB600_249:
	v_sub_nc_u32_e32 v44, v67, v3
	v_mov_b32_e32 v45, 0
	s_or_b32 s19, s19, exec_lo
	s_delay_alu instid0(VALU_DEP_1) | instskip(SKIP_1) | instid1(VALU_DEP_1)
	v_lshlrev_b64 v[46:47], 2, v[44:45]
	v_sub_nc_u32_e32 v44, v73, v3
	v_lshlrev_b64 v[48:49], 2, v[44:45]
	v_sub_nc_u32_e32 v44, v69, v3
	s_delay_alu instid0(VALU_DEP_4) | instskip(SKIP_1) | instid1(VALU_DEP_3)
	v_add_co_u32 v46, vcc_lo, v2, v46
	v_add_co_ci_u32_e32 v47, vcc_lo, v4, v47, vcc_lo
	v_lshlrev_b64 v[81:82], 2, v[44:45]
	v_sub_nc_u32_e32 v44, v65, v3
	v_add_co_u32 v48, vcc_lo, v2, v48
	v_add_co_ci_u32_e32 v49, vcc_lo, v4, v49, vcc_lo
	global_store_b32 v[46:47], v21, off
	v_lshlrev_b64 v[46:47], 2, v[44:45]
	v_sub_nc_u32_e32 v44, v59, v3
	global_store_b32 v[48:49], v22, off
	v_add_co_u32 v48, vcc_lo, v2, v81
	v_add_co_ci_u32_e32 v49, vcc_lo, v4, v82, vcc_lo
	v_lshlrev_b64 v[81:82], 2, v[44:45]
	v_sub_nc_u32_e32 v44, v55, v3
	v_add_co_u32 v46, vcc_lo, v2, v46
	v_add_co_ci_u32_e32 v47, vcc_lo, v4, v47, vcc_lo
	s_delay_alu instid0(VALU_DEP_3) | instskip(SKIP_3) | instid1(VALU_DEP_3)
	v_lshlrev_b64 v[83:84], 2, v[44:45]
	v_sub_nc_u32_e32 v44, v53, v3
	v_add_co_u32 v81, vcc_lo, v2, v81
	v_add_co_ci_u32_e32 v82, vcc_lo, v4, v82, vcc_lo
	v_lshlrev_b64 v[85:86], 2, v[44:45]
	v_sub_nc_u32_e32 v44, v57, v3
	v_add_co_u32 v83, vcc_lo, v2, v83
	v_add_co_ci_u32_e32 v84, vcc_lo, v4, v84, vcc_lo
	s_clause 0x3
	global_store_b32 v[48:49], v19, off
	global_store_b32 v[46:47], v20, off
	;; [unrolled: 1-line block ×4, first 2 shown]
	v_lshlrev_b64 v[46:47], 2, v[44:45]
	v_sub_nc_u32_e32 v44, v61, v3
	v_add_co_u32 v48, vcc_lo, v2, v85
	v_add_co_ci_u32_e32 v49, vcc_lo, v4, v86, vcc_lo
	s_delay_alu instid0(VALU_DEP_3) | instskip(SKIP_3) | instid1(VALU_DEP_3)
	v_lshlrev_b64 v[81:82], 2, v[44:45]
	v_sub_nc_u32_e32 v44, v5, v3
	v_add_co_u32 v46, vcc_lo, v2, v46
	v_add_co_ci_u32_e32 v47, vcc_lo, v4, v47, vcc_lo
	v_lshlrev_b64 v[83:84], 2, v[44:45]
	v_sub_nc_u32_e32 v44, v7, v3
	v_add_co_u32 v81, vcc_lo, v2, v81
	v_add_co_ci_u32_e32 v82, vcc_lo, v4, v82, vcc_lo
	s_delay_alu instid0(VALU_DEP_3)
	v_lshlrev_b64 v[85:86], 2, v[44:45]
	v_sub_nc_u32_e32 v44, v51, v3
	v_add_co_u32 v83, vcc_lo, v2, v83
	v_add_co_ci_u32_e32 v84, vcc_lo, v4, v84, vcc_lo
	s_clause 0x3
	global_store_b32 v[48:49], v15, off
	global_store_b32 v[46:47], v16, off
	;; [unrolled: 1-line block ×4, first 2 shown]
	v_lshlrev_b64 v[46:47], 2, v[44:45]
	v_sub_nc_u32_e32 v44, v75, v3
	v_add_co_u32 v48, vcc_lo, v2, v85
	v_add_co_ci_u32_e32 v49, vcc_lo, v4, v86, vcc_lo
	s_delay_alu instid0(VALU_DEP_3) | instskip(SKIP_3) | instid1(VALU_DEP_3)
	v_lshlrev_b64 v[81:82], 2, v[44:45]
	v_sub_nc_u32_e32 v44, v71, v3
	v_add_co_u32 v46, vcc_lo, v2, v46
	v_add_co_ci_u32_e32 v47, vcc_lo, v4, v47, vcc_lo
	v_lshlrev_b64 v[44:45], 2, v[44:45]
	v_add_co_u32 v81, vcc_lo, v2, v81
	v_add_co_ci_u32_e32 v82, vcc_lo, v4, v82, vcc_lo
	s_clause 0x2
	global_store_b32 v[48:49], v11, off
	global_store_b32 v[46:47], v12, off
	global_store_b32 v[81:82], v9, off
	v_add_co_u32 v44, vcc_lo, v2, v44
	v_add_co_ci_u32_e32 v45, vcc_lo, v4, v45, vcc_lo
	global_store_b32 v[44:45], v10, off
	s_or_b32 exec_lo, exec_lo, s16
	s_delay_alu instid0(SALU_CYCLE_1)
	s_and_b32 exec_lo, exec_lo, s19
	s_cbranch_execnz .LBB600_166
	s_branch .LBB600_167
.LBB600_250:
	s_and_saveexec_b32 s19, s15
	s_cbranch_execnz .LBB600_314
; %bb.251:
	s_or_b32 exec_lo, exec_lo, s19
	s_and_saveexec_b32 s15, s14
	s_cbranch_execnz .LBB600_315
.LBB600_252:
	s_or_b32 exec_lo, exec_lo, s15
	s_and_saveexec_b32 s14, s13
	s_cbranch_execnz .LBB600_316
.LBB600_253:
	s_or_b32 exec_lo, exec_lo, s14
	s_and_saveexec_b32 s13, s12
	s_cbranch_execnz .LBB600_317
.LBB600_254:
	s_or_b32 exec_lo, exec_lo, s13
	s_and_saveexec_b32 s12, s11
	s_cbranch_execnz .LBB600_318
.LBB600_255:
	s_or_b32 exec_lo, exec_lo, s12
	s_and_saveexec_b32 s11, s10
	s_cbranch_execnz .LBB600_319
.LBB600_256:
	s_or_b32 exec_lo, exec_lo, s11
	s_and_saveexec_b32 s10, s8
	s_cbranch_execnz .LBB600_320
.LBB600_257:
	s_or_b32 exec_lo, exec_lo, s10
	s_and_saveexec_b32 s8, s6
	s_cbranch_execnz .LBB600_321
.LBB600_258:
	s_or_b32 exec_lo, exec_lo, s8
	s_and_saveexec_b32 s6, s9
	s_cbranch_execnz .LBB600_322
.LBB600_259:
	s_or_b32 exec_lo, exec_lo, s6
	s_and_saveexec_b32 s6, s7
	s_cbranch_execnz .LBB600_323
.LBB600_260:
	s_or_b32 exec_lo, exec_lo, s6
	s_and_saveexec_b32 s6, s5
	s_cbranch_execnz .LBB600_324
.LBB600_261:
	s_or_b32 exec_lo, exec_lo, s6
	s_and_saveexec_b32 s5, s4
	s_cbranch_execnz .LBB600_325
.LBB600_262:
	s_or_b32 exec_lo, exec_lo, s5
	s_and_saveexec_b32 s4, s3
	s_cbranch_execnz .LBB600_326
.LBB600_263:
	s_or_b32 exec_lo, exec_lo, s4
	s_and_saveexec_b32 s3, s1
	s_cbranch_execz .LBB600_265
.LBB600_264:
	v_sub_nc_u32_e32 v9, v71, v3
	s_delay_alu instid0(VALU_DEP_1)
	v_lshlrev_b32_e32 v9, 2, v9
	ds_store_b32 v9, v10
.LBB600_265:
	s_or_b32 exec_lo, exec_lo, s3
	s_delay_alu instid0(SALU_CYCLE_1)
	s_and_b32 s19, s0, exec_lo
                                        ; implicit-def: $vgpr21
                                        ; implicit-def: $vgpr19
                                        ; implicit-def: $vgpr17
                                        ; implicit-def: $vgpr15
                                        ; implicit-def: $vgpr13
                                        ; implicit-def: $vgpr11
                                        ; implicit-def: $vgpr9
	s_and_not1_saveexec_b32 s0, s18
	s_cbranch_execz .LBB600_172
.LBB600_266:
	v_sub_nc_u32_e32 v43, v67, v3
	v_sub_nc_u32_e32 v46, v65, v3
	;; [unrolled: 1-line block ×4, first 2 shown]
	s_or_b32 s19, s19, exec_lo
	v_lshlrev_b32_e32 v43, 2, v43
	v_lshlrev_b32_e32 v46, 2, v46
	;; [unrolled: 1-line block ×4, first 2 shown]
	ds_store_b32 v43, v21
	ds_store_b32 v44, v22
	;; [unrolled: 1-line block ×3, first 2 shown]
	v_sub_nc_u32_e32 v19, v59, v3
	ds_store_b32 v46, v20
	v_sub_nc_u32_e32 v20, v55, v3
	v_sub_nc_u32_e32 v21, v53, v3
	;; [unrolled: 1-line block ×3, first 2 shown]
	v_lshlrev_b32_e32 v19, 2, v19
	v_sub_nc_u32_e32 v43, v61, v3
	v_lshlrev_b32_e32 v20, 2, v20
	v_lshlrev_b32_e32 v21, 2, v21
	;; [unrolled: 1-line block ×3, first 2 shown]
	ds_store_b32 v19, v17
	v_lshlrev_b32_e32 v17, 2, v43
	ds_store_b32 v20, v18
	ds_store_b32 v21, v15
	;; [unrolled: 1-line block ×3, first 2 shown]
	v_sub_nc_u32_e32 v15, v5, v3
	v_sub_nc_u32_e32 v18, v71, v3
	;; [unrolled: 1-line block ×3, first 2 shown]
	ds_store_b32 v17, v13
	v_sub_nc_u32_e32 v13, v7, v3
	v_lshlrev_b32_e32 v15, 2, v15
	v_sub_nc_u32_e32 v17, v75, v3
	v_lshlrev_b32_e32 v16, 2, v16
	s_delay_alu instid0(VALU_DEP_4)
	v_lshlrev_b32_e32 v13, 2, v13
	ds_store_b32 v15, v14
	v_lshlrev_b32_e32 v14, 2, v18
	v_lshlrev_b32_e32 v17, 2, v17
	ds_store_b32 v13, v11
	ds_store_b32 v16, v12
	;; [unrolled: 1-line block ×4, first 2 shown]
	s_or_b32 exec_lo, exec_lo, s0
	s_delay_alu instid0(SALU_CYCLE_1)
	s_and_b32 exec_lo, exec_lo, s19
	s_cbranch_execnz .LBB600_173
	s_branch .LBB600_174
.LBB600_267:
	s_and_saveexec_b32 s18, s14
	s_cbranch_execnz .LBB600_327
; %bb.268:
	s_or_b32 exec_lo, exec_lo, s18
	s_and_saveexec_b32 s18, s13
	s_cbranch_execnz .LBB600_328
.LBB600_269:
	s_or_b32 exec_lo, exec_lo, s18
	s_and_saveexec_b32 s18, s12
	s_cbranch_execnz .LBB600_329
.LBB600_270:
	s_or_b32 exec_lo, exec_lo, s18
	s_and_saveexec_b32 s18, s11
	s_cbranch_execnz .LBB600_330
.LBB600_271:
	s_or_b32 exec_lo, exec_lo, s18
	s_and_saveexec_b32 s18, s10
	s_cbranch_execnz .LBB600_331
.LBB600_272:
	s_or_b32 exec_lo, exec_lo, s18
	s_and_saveexec_b32 s18, s9
	s_cbranch_execnz .LBB600_332
.LBB600_273:
	s_or_b32 exec_lo, exec_lo, s18
	s_and_saveexec_b32 s18, s8
	s_cbranch_execnz .LBB600_333
.LBB600_274:
	s_or_b32 exec_lo, exec_lo, s18
	s_and_saveexec_b32 s18, s7
	s_cbranch_execnz .LBB600_334
.LBB600_275:
	s_or_b32 exec_lo, exec_lo, s18
	s_and_saveexec_b32 s18, s6
	s_cbranch_execnz .LBB600_335
.LBB600_276:
	s_or_b32 exec_lo, exec_lo, s18
	s_and_saveexec_b32 s18, s5
	s_cbranch_execnz .LBB600_336
.LBB600_277:
	s_or_b32 exec_lo, exec_lo, s18
	s_and_saveexec_b32 s18, s4
	s_cbranch_execnz .LBB600_337
.LBB600_278:
	s_or_b32 exec_lo, exec_lo, s18
	s_and_saveexec_b32 s18, s3
	s_cbranch_execnz .LBB600_338
.LBB600_279:
	s_or_b32 exec_lo, exec_lo, s18
	s_and_saveexec_b32 s18, s2
	s_cbranch_execnz .LBB600_339
.LBB600_280:
	s_or_b32 exec_lo, exec_lo, s18
	s_and_saveexec_b32 s18, s1
	s_cbranch_execz .LBB600_282
.LBB600_281:
	v_sub_nc_u32_e32 v14, v71, v4
	v_mov_b32_e32 v15, 0
	s_delay_alu instid0(VALU_DEP_1) | instskip(NEXT) | instid1(VALU_DEP_1)
	v_lshlrev_b64 v[14:15], 2, v[14:15]
	v_add_co_u32 v14, vcc_lo, v11, v14
	s_delay_alu instid0(VALU_DEP_2)
	v_add_co_ci_u32_e32 v15, vcc_lo, v12, v15, vcc_lo
	global_store_b32 v[14:15], v72, off
.LBB600_282:
	s_or_b32 exec_lo, exec_lo, s18
	s_delay_alu instid0(SALU_CYCLE_1)
	s_and_b32 s18, s0, exec_lo
	s_and_not1_saveexec_b32 s15, s15
	s_cbranch_execz .LBB600_185
.LBB600_283:
	v_sub_nc_u32_e32 v14, v67, v4
	v_mov_b32_e32 v15, 0
	s_or_b32 s18, s18, exec_lo
	s_delay_alu instid0(VALU_DEP_1) | instskip(SKIP_1) | instid1(VALU_DEP_1)
	v_lshlrev_b64 v[16:17], 2, v[14:15]
	v_sub_nc_u32_e32 v14, v73, v4
	v_lshlrev_b64 v[18:19], 2, v[14:15]
	v_sub_nc_u32_e32 v14, v69, v4
	s_delay_alu instid0(VALU_DEP_4) | instskip(SKIP_1) | instid1(VALU_DEP_3)
	v_add_co_u32 v16, vcc_lo, v11, v16
	v_add_co_ci_u32_e32 v17, vcc_lo, v12, v17, vcc_lo
	v_lshlrev_b64 v[20:21], 2, v[14:15]
	v_sub_nc_u32_e32 v14, v65, v4
	v_add_co_u32 v18, vcc_lo, v11, v18
	v_add_co_ci_u32_e32 v19, vcc_lo, v12, v19, vcc_lo
	global_store_b32 v[16:17], v68, off
	v_lshlrev_b64 v[16:17], 2, v[14:15]
	v_sub_nc_u32_e32 v14, v59, v4
	global_store_b32 v[18:19], v74, off
	v_add_co_u32 v18, vcc_lo, v11, v20
	v_add_co_ci_u32_e32 v19, vcc_lo, v12, v21, vcc_lo
	v_lshlrev_b64 v[20:21], 2, v[14:15]
	v_sub_nc_u32_e32 v14, v55, v4
	v_add_co_u32 v16, vcc_lo, v11, v16
	v_add_co_ci_u32_e32 v17, vcc_lo, v12, v17, vcc_lo
	s_delay_alu instid0(VALU_DEP_3) | instskip(SKIP_3) | instid1(VALU_DEP_3)
	v_lshlrev_b64 v[22:23], 2, v[14:15]
	v_sub_nc_u32_e32 v14, v53, v4
	v_add_co_u32 v20, vcc_lo, v11, v20
	v_add_co_ci_u32_e32 v21, vcc_lo, v12, v21, vcc_lo
	v_lshlrev_b64 v[24:25], 2, v[14:15]
	v_sub_nc_u32_e32 v14, v57, v4
	v_add_co_u32 v22, vcc_lo, v11, v22
	v_add_co_ci_u32_e32 v23, vcc_lo, v12, v23, vcc_lo
	s_clause 0x3
	global_store_b32 v[18:19], v70, off
	global_store_b32 v[16:17], v66, off
	;; [unrolled: 1-line block ×4, first 2 shown]
	v_lshlrev_b64 v[16:17], 2, v[14:15]
	v_sub_nc_u32_e32 v14, v61, v4
	v_add_co_u32 v18, vcc_lo, v11, v24
	v_add_co_ci_u32_e32 v19, vcc_lo, v12, v25, vcc_lo
	s_delay_alu instid0(VALU_DEP_3) | instskip(SKIP_3) | instid1(VALU_DEP_3)
	v_lshlrev_b64 v[20:21], 2, v[14:15]
	v_sub_nc_u32_e32 v14, v5, v4
	v_add_co_u32 v16, vcc_lo, v11, v16
	v_add_co_ci_u32_e32 v17, vcc_lo, v12, v17, vcc_lo
	v_lshlrev_b64 v[22:23], 2, v[14:15]
	v_sub_nc_u32_e32 v14, v7, v4
	v_add_co_u32 v20, vcc_lo, v11, v20
	v_add_co_ci_u32_e32 v21, vcc_lo, v12, v21, vcc_lo
	s_delay_alu instid0(VALU_DEP_3)
	v_lshlrev_b64 v[24:25], 2, v[14:15]
	v_sub_nc_u32_e32 v14, v51, v4
	v_add_co_u32 v22, vcc_lo, v11, v22
	v_add_co_ci_u32_e32 v23, vcc_lo, v12, v23, vcc_lo
	s_clause 0x3
	global_store_b32 v[18:19], v54, off
	global_store_b32 v[16:17], v58, off
	global_store_b32 v[20:21], v62, off
	global_store_b32 v[22:23], v6, off
	v_lshlrev_b64 v[16:17], 2, v[14:15]
	v_sub_nc_u32_e32 v14, v75, v4
	v_add_co_u32 v18, vcc_lo, v11, v24
	v_add_co_ci_u32_e32 v19, vcc_lo, v12, v25, vcc_lo
	s_delay_alu instid0(VALU_DEP_3) | instskip(SKIP_3) | instid1(VALU_DEP_3)
	v_lshlrev_b64 v[20:21], 2, v[14:15]
	v_sub_nc_u32_e32 v14, v71, v4
	v_add_co_u32 v16, vcc_lo, v11, v16
	v_add_co_ci_u32_e32 v17, vcc_lo, v12, v17, vcc_lo
	v_lshlrev_b64 v[14:15], 2, v[14:15]
	v_add_co_u32 v20, vcc_lo, v11, v20
	v_add_co_ci_u32_e32 v21, vcc_lo, v12, v21, vcc_lo
	s_clause 0x2
	global_store_b32 v[18:19], v8, off
	global_store_b32 v[16:17], v52, off
	global_store_b32 v[20:21], v76, off
	v_add_co_u32 v14, vcc_lo, v11, v14
	v_add_co_ci_u32_e32 v15, vcc_lo, v12, v15, vcc_lo
	global_store_b32 v[14:15], v72, off
	s_or_b32 exec_lo, exec_lo, s15
	s_delay_alu instid0(SALU_CYCLE_1)
	s_and_b32 exec_lo, exec_lo, s18
	s_cbranch_execnz .LBB600_186
	s_branch .LBB600_187
.LBB600_284:
	s_and_saveexec_b32 s18, s14
	s_cbranch_execnz .LBB600_340
; %bb.285:
	s_or_b32 exec_lo, exec_lo, s18
	s_and_saveexec_b32 s14, s13
	s_cbranch_execnz .LBB600_341
.LBB600_286:
	s_or_b32 exec_lo, exec_lo, s14
	s_and_saveexec_b32 s13, s12
	s_cbranch_execnz .LBB600_342
.LBB600_287:
	s_or_b32 exec_lo, exec_lo, s13
	s_and_saveexec_b32 s12, s11
	s_cbranch_execnz .LBB600_343
.LBB600_288:
	s_or_b32 exec_lo, exec_lo, s12
	s_and_saveexec_b32 s11, s10
	s_cbranch_execnz .LBB600_344
.LBB600_289:
	s_or_b32 exec_lo, exec_lo, s11
	s_and_saveexec_b32 s10, s9
	s_cbranch_execnz .LBB600_345
.LBB600_290:
	s_or_b32 exec_lo, exec_lo, s10
	s_and_saveexec_b32 s9, s8
	s_cbranch_execnz .LBB600_346
.LBB600_291:
	s_or_b32 exec_lo, exec_lo, s9
	s_and_saveexec_b32 s8, s7
	s_cbranch_execnz .LBB600_347
.LBB600_292:
	s_or_b32 exec_lo, exec_lo, s8
	s_and_saveexec_b32 s7, s6
	s_cbranch_execnz .LBB600_348
.LBB600_293:
	s_or_b32 exec_lo, exec_lo, s7
	s_and_saveexec_b32 s6, s5
	s_cbranch_execnz .LBB600_349
.LBB600_294:
	s_or_b32 exec_lo, exec_lo, s6
	s_and_saveexec_b32 s5, s4
	s_cbranch_execnz .LBB600_350
.LBB600_295:
	s_or_b32 exec_lo, exec_lo, s5
	s_and_saveexec_b32 s4, s3
	s_cbranch_execnz .LBB600_351
.LBB600_296:
	s_or_b32 exec_lo, exec_lo, s4
	s_and_saveexec_b32 s3, s2
	s_cbranch_execnz .LBB600_352
.LBB600_297:
	s_or_b32 exec_lo, exec_lo, s3
	s_and_saveexec_b32 s2, s1
	s_cbranch_execz .LBB600_299
.LBB600_298:
	v_sub_nc_u32_e32 v5, v71, v4
	s_delay_alu instid0(VALU_DEP_1)
	v_lshlrev_b32_e32 v5, 2, v5
	ds_store_b32 v5, v72
.LBB600_299:
	s_or_b32 exec_lo, exec_lo, s2
	s_delay_alu instid0(SALU_CYCLE_1)
	s_and_b32 s18, s0, exec_lo
                                        ; implicit-def: $vgpr67_vgpr68
                                        ; implicit-def: $vgpr73_vgpr74
                                        ; implicit-def: $vgpr69_vgpr70
                                        ; implicit-def: $vgpr65_vgpr66
                                        ; implicit-def: $vgpr59_vgpr60
                                        ; implicit-def: $vgpr55_vgpr56
                                        ; implicit-def: $vgpr53_vgpr54
                                        ; implicit-def: $vgpr57_vgpr58
                                        ; implicit-def: $vgpr61_vgpr62
                                        ; implicit-def: $vgpr5_vgpr6
                                        ; implicit-def: $vgpr7_vgpr8
                                        ; implicit-def: $vgpr51_vgpr52
                                        ; implicit-def: $vgpr75_vgpr76
                                        ; implicit-def: $vgpr71_vgpr72
	s_and_not1_saveexec_b32 s0, s16
	s_cbranch_execz .LBB600_191
.LBB600_300:
	v_sub_nc_u32_e32 v13, v67, v4
	v_sub_nc_u32_e32 v14, v73, v4
	;; [unrolled: 1-line block ×5, first 2 shown]
	v_lshlrev_b32_e32 v13, 2, v13
	v_lshlrev_b32_e32 v14, 2, v14
	;; [unrolled: 1-line block ×4, first 2 shown]
	v_sub_nc_u32_e32 v5, v5, v4
	ds_store_b32 v13, v68
	ds_store_b32 v14, v74
	;; [unrolled: 1-line block ×3, first 2 shown]
	v_sub_nc_u32_e32 v13, v59, v4
	v_sub_nc_u32_e32 v14, v55, v4
	;; [unrolled: 1-line block ×3, first 2 shown]
	ds_store_b32 v16, v66
	v_sub_nc_u32_e32 v16, v57, v4
	v_lshlrev_b32_e32 v13, 2, v13
	v_lshlrev_b32_e32 v14, 2, v14
	;; [unrolled: 1-line block ×3, first 2 shown]
	v_sub_nc_u32_e32 v7, v7, v4
	v_lshlrev_b32_e32 v16, 2, v16
	ds_store_b32 v13, v60
	v_lshlrev_b32_e32 v13, 2, v17
	ds_store_b32 v14, v56
	ds_store_b32 v15, v54
	;; [unrolled: 1-line block ×3, first 2 shown]
	v_lshlrev_b32_e32 v5, 2, v5
	v_sub_nc_u32_e32 v15, v71, v4
	v_sub_nc_u32_e32 v14, v75, v4
	ds_store_b32 v13, v62
	v_sub_nc_u32_e32 v13, v51, v4
	v_lshlrev_b32_e32 v7, 2, v7
	ds_store_b32 v5, v6
	v_lshlrev_b32_e32 v5, 2, v15
	v_lshlrev_b32_e32 v14, 2, v14
	;; [unrolled: 1-line block ×3, first 2 shown]
	s_or_b32 s18, s18, exec_lo
	ds_store_b32 v7, v8
	ds_store_b32 v13, v52
	;; [unrolled: 1-line block ×4, first 2 shown]
	s_or_b32 exec_lo, exec_lo, s0
	s_delay_alu instid0(SALU_CYCLE_1)
	s_and_b32 exec_lo, exec_lo, s18
	s_cbranch_execnz .LBB600_192
	s_branch .LBB600_193
.LBB600_301:
	v_sub_nc_u32_e32 v44, v67, v3
	v_mov_b32_e32 v45, 0
	s_delay_alu instid0(VALU_DEP_1) | instskip(NEXT) | instid1(VALU_DEP_1)
	v_lshlrev_b64 v[44:45], 2, v[44:45]
	v_add_co_u32 v44, vcc_lo, v2, v44
	s_delay_alu instid0(VALU_DEP_2)
	v_add_co_ci_u32_e32 v45, vcc_lo, v4, v45, vcc_lo
	global_store_b32 v[44:45], v21, off
	s_or_b32 exec_lo, exec_lo, s19
	s_and_saveexec_b32 s19, s14
	s_cbranch_execz .LBB600_235
.LBB600_302:
	v_sub_nc_u32_e32 v44, v73, v3
	v_mov_b32_e32 v45, 0
	s_delay_alu instid0(VALU_DEP_1) | instskip(NEXT) | instid1(VALU_DEP_1)
	v_lshlrev_b64 v[44:45], 2, v[44:45]
	v_add_co_u32 v44, vcc_lo, v2, v44
	s_delay_alu instid0(VALU_DEP_2)
	v_add_co_ci_u32_e32 v45, vcc_lo, v4, v45, vcc_lo
	global_store_b32 v[44:45], v22, off
	s_or_b32 exec_lo, exec_lo, s19
	s_and_saveexec_b32 s19, s13
	s_cbranch_execz .LBB600_236
.LBB600_303:
	v_sub_nc_u32_e32 v44, v69, v3
	v_mov_b32_e32 v45, 0
	s_delay_alu instid0(VALU_DEP_1) | instskip(NEXT) | instid1(VALU_DEP_1)
	v_lshlrev_b64 v[44:45], 2, v[44:45]
	v_add_co_u32 v44, vcc_lo, v2, v44
	s_delay_alu instid0(VALU_DEP_2)
	v_add_co_ci_u32_e32 v45, vcc_lo, v4, v45, vcc_lo
	global_store_b32 v[44:45], v19, off
	s_or_b32 exec_lo, exec_lo, s19
	s_and_saveexec_b32 s19, s12
	s_cbranch_execz .LBB600_237
.LBB600_304:
	v_sub_nc_u32_e32 v44, v65, v3
	v_mov_b32_e32 v45, 0
	s_delay_alu instid0(VALU_DEP_1) | instskip(NEXT) | instid1(VALU_DEP_1)
	v_lshlrev_b64 v[44:45], 2, v[44:45]
	v_add_co_u32 v44, vcc_lo, v2, v44
	s_delay_alu instid0(VALU_DEP_2)
	v_add_co_ci_u32_e32 v45, vcc_lo, v4, v45, vcc_lo
	global_store_b32 v[44:45], v20, off
	s_or_b32 exec_lo, exec_lo, s19
	s_and_saveexec_b32 s19, s11
	s_cbranch_execz .LBB600_238
.LBB600_305:
	v_sub_nc_u32_e32 v44, v59, v3
	v_mov_b32_e32 v45, 0
	s_delay_alu instid0(VALU_DEP_1) | instskip(NEXT) | instid1(VALU_DEP_1)
	v_lshlrev_b64 v[44:45], 2, v[44:45]
	v_add_co_u32 v44, vcc_lo, v2, v44
	s_delay_alu instid0(VALU_DEP_2)
	v_add_co_ci_u32_e32 v45, vcc_lo, v4, v45, vcc_lo
	global_store_b32 v[44:45], v17, off
	s_or_b32 exec_lo, exec_lo, s19
	s_and_saveexec_b32 s19, s10
	s_cbranch_execz .LBB600_239
.LBB600_306:
	v_sub_nc_u32_e32 v44, v55, v3
	v_mov_b32_e32 v45, 0
	s_delay_alu instid0(VALU_DEP_1) | instskip(NEXT) | instid1(VALU_DEP_1)
	v_lshlrev_b64 v[44:45], 2, v[44:45]
	v_add_co_u32 v44, vcc_lo, v2, v44
	s_delay_alu instid0(VALU_DEP_2)
	v_add_co_ci_u32_e32 v45, vcc_lo, v4, v45, vcc_lo
	global_store_b32 v[44:45], v18, off
	s_or_b32 exec_lo, exec_lo, s19
	s_and_saveexec_b32 s19, s8
	s_cbranch_execz .LBB600_240
.LBB600_307:
	v_sub_nc_u32_e32 v44, v53, v3
	v_mov_b32_e32 v45, 0
	s_delay_alu instid0(VALU_DEP_1) | instskip(NEXT) | instid1(VALU_DEP_1)
	v_lshlrev_b64 v[44:45], 2, v[44:45]
	v_add_co_u32 v44, vcc_lo, v2, v44
	s_delay_alu instid0(VALU_DEP_2)
	v_add_co_ci_u32_e32 v45, vcc_lo, v4, v45, vcc_lo
	global_store_b32 v[44:45], v15, off
	s_or_b32 exec_lo, exec_lo, s19
	s_and_saveexec_b32 s19, s6
	s_cbranch_execz .LBB600_241
.LBB600_308:
	v_sub_nc_u32_e32 v44, v57, v3
	v_mov_b32_e32 v45, 0
	s_delay_alu instid0(VALU_DEP_1) | instskip(NEXT) | instid1(VALU_DEP_1)
	v_lshlrev_b64 v[44:45], 2, v[44:45]
	v_add_co_u32 v44, vcc_lo, v2, v44
	s_delay_alu instid0(VALU_DEP_2)
	v_add_co_ci_u32_e32 v45, vcc_lo, v4, v45, vcc_lo
	global_store_b32 v[44:45], v16, off
	s_or_b32 exec_lo, exec_lo, s19
	s_and_saveexec_b32 s19, s9
	s_cbranch_execz .LBB600_242
.LBB600_309:
	v_sub_nc_u32_e32 v44, v61, v3
	v_mov_b32_e32 v45, 0
	s_delay_alu instid0(VALU_DEP_1) | instskip(NEXT) | instid1(VALU_DEP_1)
	v_lshlrev_b64 v[44:45], 2, v[44:45]
	v_add_co_u32 v44, vcc_lo, v2, v44
	s_delay_alu instid0(VALU_DEP_2)
	v_add_co_ci_u32_e32 v45, vcc_lo, v4, v45, vcc_lo
	global_store_b32 v[44:45], v13, off
	s_or_b32 exec_lo, exec_lo, s19
	s_and_saveexec_b32 s19, s7
	s_cbranch_execz .LBB600_243
.LBB600_310:
	v_sub_nc_u32_e32 v44, v5, v3
	v_mov_b32_e32 v45, 0
	s_delay_alu instid0(VALU_DEP_1) | instskip(NEXT) | instid1(VALU_DEP_1)
	v_lshlrev_b64 v[44:45], 2, v[44:45]
	v_add_co_u32 v44, vcc_lo, v2, v44
	s_delay_alu instid0(VALU_DEP_2)
	v_add_co_ci_u32_e32 v45, vcc_lo, v4, v45, vcc_lo
	global_store_b32 v[44:45], v14, off
	s_or_b32 exec_lo, exec_lo, s19
	s_and_saveexec_b32 s19, s5
	s_cbranch_execz .LBB600_244
.LBB600_311:
	v_sub_nc_u32_e32 v44, v7, v3
	v_mov_b32_e32 v45, 0
	s_delay_alu instid0(VALU_DEP_1) | instskip(NEXT) | instid1(VALU_DEP_1)
	v_lshlrev_b64 v[44:45], 2, v[44:45]
	v_add_co_u32 v44, vcc_lo, v2, v44
	s_delay_alu instid0(VALU_DEP_2)
	v_add_co_ci_u32_e32 v45, vcc_lo, v4, v45, vcc_lo
	global_store_b32 v[44:45], v11, off
	s_or_b32 exec_lo, exec_lo, s19
	s_and_saveexec_b32 s19, s4
	s_cbranch_execz .LBB600_245
.LBB600_312:
	v_sub_nc_u32_e32 v44, v51, v3
	v_mov_b32_e32 v45, 0
	s_delay_alu instid0(VALU_DEP_1) | instskip(NEXT) | instid1(VALU_DEP_1)
	v_lshlrev_b64 v[44:45], 2, v[44:45]
	v_add_co_u32 v44, vcc_lo, v2, v44
	s_delay_alu instid0(VALU_DEP_2)
	v_add_co_ci_u32_e32 v45, vcc_lo, v4, v45, vcc_lo
	global_store_b32 v[44:45], v12, off
	s_or_b32 exec_lo, exec_lo, s19
	s_and_saveexec_b32 s19, s3
	s_cbranch_execz .LBB600_246
.LBB600_313:
	v_sub_nc_u32_e32 v44, v75, v3
	v_mov_b32_e32 v45, 0
	s_delay_alu instid0(VALU_DEP_1) | instskip(NEXT) | instid1(VALU_DEP_1)
	v_lshlrev_b64 v[44:45], 2, v[44:45]
	v_add_co_u32 v44, vcc_lo, v2, v44
	s_delay_alu instid0(VALU_DEP_2)
	v_add_co_ci_u32_e32 v45, vcc_lo, v4, v45, vcc_lo
	global_store_b32 v[44:45], v9, off
	s_or_b32 exec_lo, exec_lo, s19
	s_and_saveexec_b32 s19, s1
	s_cbranch_execnz .LBB600_247
	s_branch .LBB600_248
.LBB600_314:
	v_sub_nc_u32_e32 v43, v67, v3
	s_delay_alu instid0(VALU_DEP_1)
	v_lshlrev_b32_e32 v43, 2, v43
	ds_store_b32 v43, v21
	s_or_b32 exec_lo, exec_lo, s19
	s_and_saveexec_b32 s15, s14
	s_cbranch_execz .LBB600_252
.LBB600_315:
	v_sub_nc_u32_e32 v21, v73, v3
	s_delay_alu instid0(VALU_DEP_1)
	v_lshlrev_b32_e32 v21, 2, v21
	ds_store_b32 v21, v22
	s_or_b32 exec_lo, exec_lo, s15
	s_and_saveexec_b32 s14, s13
	s_cbranch_execz .LBB600_253
.LBB600_316:
	v_sub_nc_u32_e32 v21, v69, v3
	s_delay_alu instid0(VALU_DEP_1)
	v_lshlrev_b32_e32 v21, 2, v21
	ds_store_b32 v21, v19
	s_or_b32 exec_lo, exec_lo, s14
	s_and_saveexec_b32 s13, s12
	s_cbranch_execz .LBB600_254
.LBB600_317:
	v_sub_nc_u32_e32 v19, v65, v3
	s_delay_alu instid0(VALU_DEP_1)
	v_lshlrev_b32_e32 v19, 2, v19
	ds_store_b32 v19, v20
	s_or_b32 exec_lo, exec_lo, s13
	s_and_saveexec_b32 s12, s11
	s_cbranch_execz .LBB600_255
.LBB600_318:
	v_sub_nc_u32_e32 v19, v59, v3
	s_delay_alu instid0(VALU_DEP_1)
	v_lshlrev_b32_e32 v19, 2, v19
	ds_store_b32 v19, v17
	s_or_b32 exec_lo, exec_lo, s12
	s_and_saveexec_b32 s11, s10
	s_cbranch_execz .LBB600_256
.LBB600_319:
	v_sub_nc_u32_e32 v17, v55, v3
	s_delay_alu instid0(VALU_DEP_1)
	v_lshlrev_b32_e32 v17, 2, v17
	ds_store_b32 v17, v18
	s_or_b32 exec_lo, exec_lo, s11
	s_and_saveexec_b32 s10, s8
	s_cbranch_execz .LBB600_257
.LBB600_320:
	v_sub_nc_u32_e32 v17, v53, v3
	s_delay_alu instid0(VALU_DEP_1)
	v_lshlrev_b32_e32 v17, 2, v17
	ds_store_b32 v17, v15
	s_or_b32 exec_lo, exec_lo, s10
	s_and_saveexec_b32 s8, s6
	s_cbranch_execz .LBB600_258
.LBB600_321:
	v_sub_nc_u32_e32 v15, v57, v3
	s_delay_alu instid0(VALU_DEP_1)
	v_lshlrev_b32_e32 v15, 2, v15
	ds_store_b32 v15, v16
	s_or_b32 exec_lo, exec_lo, s8
	s_and_saveexec_b32 s6, s9
	s_cbranch_execz .LBB600_259
.LBB600_322:
	v_sub_nc_u32_e32 v15, v61, v3
	s_delay_alu instid0(VALU_DEP_1)
	v_lshlrev_b32_e32 v15, 2, v15
	ds_store_b32 v15, v13
	s_or_b32 exec_lo, exec_lo, s6
	s_and_saveexec_b32 s6, s7
	s_cbranch_execz .LBB600_260
.LBB600_323:
	v_sub_nc_u32_e32 v13, v5, v3
	s_delay_alu instid0(VALU_DEP_1)
	v_lshlrev_b32_e32 v13, 2, v13
	ds_store_b32 v13, v14
	s_or_b32 exec_lo, exec_lo, s6
	s_and_saveexec_b32 s6, s5
	s_cbranch_execz .LBB600_261
.LBB600_324:
	v_sub_nc_u32_e32 v13, v7, v3
	s_delay_alu instid0(VALU_DEP_1)
	v_lshlrev_b32_e32 v13, 2, v13
	ds_store_b32 v13, v11
	s_or_b32 exec_lo, exec_lo, s6
	s_and_saveexec_b32 s5, s4
	s_cbranch_execz .LBB600_262
.LBB600_325:
	v_sub_nc_u32_e32 v11, v51, v3
	s_delay_alu instid0(VALU_DEP_1)
	v_lshlrev_b32_e32 v11, 2, v11
	ds_store_b32 v11, v12
	s_or_b32 exec_lo, exec_lo, s5
	s_and_saveexec_b32 s4, s3
	s_cbranch_execz .LBB600_263
.LBB600_326:
	v_sub_nc_u32_e32 v11, v75, v3
	s_delay_alu instid0(VALU_DEP_1)
	v_lshlrev_b32_e32 v11, 2, v11
	ds_store_b32 v11, v9
	s_or_b32 exec_lo, exec_lo, s4
	s_and_saveexec_b32 s3, s1
	s_cbranch_execnz .LBB600_264
	s_branch .LBB600_265
.LBB600_327:
	v_sub_nc_u32_e32 v14, v67, v4
	v_mov_b32_e32 v15, 0
	s_delay_alu instid0(VALU_DEP_1) | instskip(NEXT) | instid1(VALU_DEP_1)
	v_lshlrev_b64 v[14:15], 2, v[14:15]
	v_add_co_u32 v14, vcc_lo, v11, v14
	s_delay_alu instid0(VALU_DEP_2)
	v_add_co_ci_u32_e32 v15, vcc_lo, v12, v15, vcc_lo
	global_store_b32 v[14:15], v68, off
	s_or_b32 exec_lo, exec_lo, s18
	s_and_saveexec_b32 s18, s13
	s_cbranch_execz .LBB600_269
.LBB600_328:
	v_sub_nc_u32_e32 v14, v73, v4
	v_mov_b32_e32 v15, 0
	s_delay_alu instid0(VALU_DEP_1) | instskip(NEXT) | instid1(VALU_DEP_1)
	v_lshlrev_b64 v[14:15], 2, v[14:15]
	v_add_co_u32 v14, vcc_lo, v11, v14
	s_delay_alu instid0(VALU_DEP_2)
	v_add_co_ci_u32_e32 v15, vcc_lo, v12, v15, vcc_lo
	global_store_b32 v[14:15], v74, off
	s_or_b32 exec_lo, exec_lo, s18
	s_and_saveexec_b32 s18, s12
	s_cbranch_execz .LBB600_270
.LBB600_329:
	v_sub_nc_u32_e32 v14, v69, v4
	v_mov_b32_e32 v15, 0
	s_delay_alu instid0(VALU_DEP_1) | instskip(NEXT) | instid1(VALU_DEP_1)
	v_lshlrev_b64 v[14:15], 2, v[14:15]
	v_add_co_u32 v14, vcc_lo, v11, v14
	s_delay_alu instid0(VALU_DEP_2)
	v_add_co_ci_u32_e32 v15, vcc_lo, v12, v15, vcc_lo
	global_store_b32 v[14:15], v70, off
	s_or_b32 exec_lo, exec_lo, s18
	s_and_saveexec_b32 s18, s11
	s_cbranch_execz .LBB600_271
.LBB600_330:
	v_sub_nc_u32_e32 v14, v65, v4
	v_mov_b32_e32 v15, 0
	s_delay_alu instid0(VALU_DEP_1) | instskip(NEXT) | instid1(VALU_DEP_1)
	v_lshlrev_b64 v[14:15], 2, v[14:15]
	v_add_co_u32 v14, vcc_lo, v11, v14
	s_delay_alu instid0(VALU_DEP_2)
	v_add_co_ci_u32_e32 v15, vcc_lo, v12, v15, vcc_lo
	global_store_b32 v[14:15], v66, off
	s_or_b32 exec_lo, exec_lo, s18
	s_and_saveexec_b32 s18, s10
	s_cbranch_execz .LBB600_272
.LBB600_331:
	v_sub_nc_u32_e32 v14, v59, v4
	v_mov_b32_e32 v15, 0
	s_delay_alu instid0(VALU_DEP_1) | instskip(NEXT) | instid1(VALU_DEP_1)
	v_lshlrev_b64 v[14:15], 2, v[14:15]
	v_add_co_u32 v14, vcc_lo, v11, v14
	s_delay_alu instid0(VALU_DEP_2)
	v_add_co_ci_u32_e32 v15, vcc_lo, v12, v15, vcc_lo
	global_store_b32 v[14:15], v60, off
	s_or_b32 exec_lo, exec_lo, s18
	s_and_saveexec_b32 s18, s9
	s_cbranch_execz .LBB600_273
.LBB600_332:
	v_sub_nc_u32_e32 v14, v55, v4
	v_mov_b32_e32 v15, 0
	s_delay_alu instid0(VALU_DEP_1) | instskip(NEXT) | instid1(VALU_DEP_1)
	v_lshlrev_b64 v[14:15], 2, v[14:15]
	v_add_co_u32 v14, vcc_lo, v11, v14
	s_delay_alu instid0(VALU_DEP_2)
	v_add_co_ci_u32_e32 v15, vcc_lo, v12, v15, vcc_lo
	global_store_b32 v[14:15], v56, off
	s_or_b32 exec_lo, exec_lo, s18
	s_and_saveexec_b32 s18, s8
	s_cbranch_execz .LBB600_274
.LBB600_333:
	v_sub_nc_u32_e32 v14, v53, v4
	v_mov_b32_e32 v15, 0
	s_delay_alu instid0(VALU_DEP_1) | instskip(NEXT) | instid1(VALU_DEP_1)
	v_lshlrev_b64 v[14:15], 2, v[14:15]
	v_add_co_u32 v14, vcc_lo, v11, v14
	s_delay_alu instid0(VALU_DEP_2)
	v_add_co_ci_u32_e32 v15, vcc_lo, v12, v15, vcc_lo
	global_store_b32 v[14:15], v54, off
	s_or_b32 exec_lo, exec_lo, s18
	s_and_saveexec_b32 s18, s7
	s_cbranch_execz .LBB600_275
.LBB600_334:
	v_sub_nc_u32_e32 v14, v57, v4
	v_mov_b32_e32 v15, 0
	s_delay_alu instid0(VALU_DEP_1) | instskip(NEXT) | instid1(VALU_DEP_1)
	v_lshlrev_b64 v[14:15], 2, v[14:15]
	v_add_co_u32 v14, vcc_lo, v11, v14
	s_delay_alu instid0(VALU_DEP_2)
	v_add_co_ci_u32_e32 v15, vcc_lo, v12, v15, vcc_lo
	global_store_b32 v[14:15], v58, off
	s_or_b32 exec_lo, exec_lo, s18
	s_and_saveexec_b32 s18, s6
	s_cbranch_execz .LBB600_276
.LBB600_335:
	v_sub_nc_u32_e32 v14, v61, v4
	v_mov_b32_e32 v15, 0
	s_delay_alu instid0(VALU_DEP_1) | instskip(NEXT) | instid1(VALU_DEP_1)
	v_lshlrev_b64 v[14:15], 2, v[14:15]
	v_add_co_u32 v14, vcc_lo, v11, v14
	s_delay_alu instid0(VALU_DEP_2)
	v_add_co_ci_u32_e32 v15, vcc_lo, v12, v15, vcc_lo
	global_store_b32 v[14:15], v62, off
	s_or_b32 exec_lo, exec_lo, s18
	s_and_saveexec_b32 s18, s5
	s_cbranch_execz .LBB600_277
.LBB600_336:
	v_sub_nc_u32_e32 v14, v5, v4
	v_mov_b32_e32 v15, 0
	s_delay_alu instid0(VALU_DEP_1) | instskip(NEXT) | instid1(VALU_DEP_1)
	v_lshlrev_b64 v[14:15], 2, v[14:15]
	v_add_co_u32 v14, vcc_lo, v11, v14
	s_delay_alu instid0(VALU_DEP_2)
	v_add_co_ci_u32_e32 v15, vcc_lo, v12, v15, vcc_lo
	global_store_b32 v[14:15], v6, off
	s_or_b32 exec_lo, exec_lo, s18
	s_and_saveexec_b32 s18, s4
	s_cbranch_execz .LBB600_278
.LBB600_337:
	v_sub_nc_u32_e32 v14, v7, v4
	v_mov_b32_e32 v15, 0
	s_delay_alu instid0(VALU_DEP_1) | instskip(NEXT) | instid1(VALU_DEP_1)
	v_lshlrev_b64 v[14:15], 2, v[14:15]
	v_add_co_u32 v14, vcc_lo, v11, v14
	s_delay_alu instid0(VALU_DEP_2)
	v_add_co_ci_u32_e32 v15, vcc_lo, v12, v15, vcc_lo
	global_store_b32 v[14:15], v8, off
	s_or_b32 exec_lo, exec_lo, s18
	s_and_saveexec_b32 s18, s3
	s_cbranch_execz .LBB600_279
.LBB600_338:
	v_sub_nc_u32_e32 v14, v51, v4
	v_mov_b32_e32 v15, 0
	s_delay_alu instid0(VALU_DEP_1) | instskip(NEXT) | instid1(VALU_DEP_1)
	v_lshlrev_b64 v[14:15], 2, v[14:15]
	v_add_co_u32 v14, vcc_lo, v11, v14
	s_delay_alu instid0(VALU_DEP_2)
	v_add_co_ci_u32_e32 v15, vcc_lo, v12, v15, vcc_lo
	global_store_b32 v[14:15], v52, off
	s_or_b32 exec_lo, exec_lo, s18
	s_and_saveexec_b32 s18, s2
	s_cbranch_execz .LBB600_280
.LBB600_339:
	v_sub_nc_u32_e32 v14, v75, v4
	v_mov_b32_e32 v15, 0
	s_delay_alu instid0(VALU_DEP_1) | instskip(NEXT) | instid1(VALU_DEP_1)
	v_lshlrev_b64 v[14:15], 2, v[14:15]
	v_add_co_u32 v14, vcc_lo, v11, v14
	s_delay_alu instid0(VALU_DEP_2)
	v_add_co_ci_u32_e32 v15, vcc_lo, v12, v15, vcc_lo
	global_store_b32 v[14:15], v76, off
	s_or_b32 exec_lo, exec_lo, s18
	s_and_saveexec_b32 s18, s1
	s_cbranch_execnz .LBB600_281
	s_branch .LBB600_282
.LBB600_340:
	v_sub_nc_u32_e32 v13, v67, v4
	s_delay_alu instid0(VALU_DEP_1)
	v_lshlrev_b32_e32 v13, 2, v13
	ds_store_b32 v13, v68
	s_or_b32 exec_lo, exec_lo, s18
	s_and_saveexec_b32 s14, s13
	s_cbranch_execz .LBB600_286
.LBB600_341:
	v_sub_nc_u32_e32 v13, v73, v4
	s_delay_alu instid0(VALU_DEP_1)
	v_lshlrev_b32_e32 v13, 2, v13
	ds_store_b32 v13, v74
	s_or_b32 exec_lo, exec_lo, s14
	s_and_saveexec_b32 s13, s12
	s_cbranch_execz .LBB600_287
.LBB600_342:
	v_sub_nc_u32_e32 v13, v69, v4
	s_delay_alu instid0(VALU_DEP_1)
	v_lshlrev_b32_e32 v13, 2, v13
	ds_store_b32 v13, v70
	s_or_b32 exec_lo, exec_lo, s13
	s_and_saveexec_b32 s12, s11
	s_cbranch_execz .LBB600_288
.LBB600_343:
	v_sub_nc_u32_e32 v13, v65, v4
	s_delay_alu instid0(VALU_DEP_1)
	v_lshlrev_b32_e32 v13, 2, v13
	ds_store_b32 v13, v66
	s_or_b32 exec_lo, exec_lo, s12
	s_and_saveexec_b32 s11, s10
	s_cbranch_execz .LBB600_289
.LBB600_344:
	v_sub_nc_u32_e32 v13, v59, v4
	s_delay_alu instid0(VALU_DEP_1)
	v_lshlrev_b32_e32 v13, 2, v13
	ds_store_b32 v13, v60
	s_or_b32 exec_lo, exec_lo, s11
	s_and_saveexec_b32 s10, s9
	s_cbranch_execz .LBB600_290
.LBB600_345:
	v_sub_nc_u32_e32 v13, v55, v4
	s_delay_alu instid0(VALU_DEP_1)
	v_lshlrev_b32_e32 v13, 2, v13
	ds_store_b32 v13, v56
	s_or_b32 exec_lo, exec_lo, s10
	s_and_saveexec_b32 s9, s8
	s_cbranch_execz .LBB600_291
.LBB600_346:
	v_sub_nc_u32_e32 v13, v53, v4
	s_delay_alu instid0(VALU_DEP_1)
	v_lshlrev_b32_e32 v13, 2, v13
	ds_store_b32 v13, v54
	s_or_b32 exec_lo, exec_lo, s9
	s_and_saveexec_b32 s8, s7
	s_cbranch_execz .LBB600_292
.LBB600_347:
	v_sub_nc_u32_e32 v13, v57, v4
	s_delay_alu instid0(VALU_DEP_1)
	v_lshlrev_b32_e32 v13, 2, v13
	ds_store_b32 v13, v58
	s_or_b32 exec_lo, exec_lo, s8
	s_and_saveexec_b32 s7, s6
	s_cbranch_execz .LBB600_293
.LBB600_348:
	v_sub_nc_u32_e32 v13, v61, v4
	s_delay_alu instid0(VALU_DEP_1)
	v_lshlrev_b32_e32 v13, 2, v13
	ds_store_b32 v13, v62
	s_or_b32 exec_lo, exec_lo, s7
	s_and_saveexec_b32 s6, s5
	s_cbranch_execz .LBB600_294
.LBB600_349:
	v_sub_nc_u32_e32 v5, v5, v4
	s_delay_alu instid0(VALU_DEP_1)
	v_lshlrev_b32_e32 v5, 2, v5
	ds_store_b32 v5, v6
	s_or_b32 exec_lo, exec_lo, s6
	s_and_saveexec_b32 s5, s4
	s_cbranch_execz .LBB600_295
.LBB600_350:
	v_sub_nc_u32_e32 v5, v7, v4
	s_delay_alu instid0(VALU_DEP_1)
	v_lshlrev_b32_e32 v5, 2, v5
	ds_store_b32 v5, v8
	s_or_b32 exec_lo, exec_lo, s5
	s_and_saveexec_b32 s4, s3
	s_cbranch_execz .LBB600_296
.LBB600_351:
	v_sub_nc_u32_e32 v5, v51, v4
	s_delay_alu instid0(VALU_DEP_1)
	v_lshlrev_b32_e32 v5, 2, v5
	ds_store_b32 v5, v52
	s_or_b32 exec_lo, exec_lo, s4
	s_and_saveexec_b32 s3, s2
	s_cbranch_execz .LBB600_297
.LBB600_352:
	v_sub_nc_u32_e32 v5, v75, v4
	s_delay_alu instid0(VALU_DEP_1)
	v_lshlrev_b32_e32 v5, 2, v5
	ds_store_b32 v5, v76
	s_or_b32 exec_lo, exec_lo, s3
	s_and_saveexec_b32 s2, s1
	s_cbranch_execnz .LBB600_298
	s_branch .LBB600_299
	.section	.rodata,"a",@progbits
	.p2align	6, 0x0
	.amdhsa_kernel _ZN7rocprim17ROCPRIM_400000_NS6detail17trampoline_kernelINS0_14default_configENS1_29reduce_by_key_config_selectorIiiN6thrust23THRUST_200600_302600_NS4plusIiEEEEZZNS1_33reduce_by_key_impl_wrapped_configILNS1_25lookback_scan_determinismE0ES3_S9_NS6_6detail15normal_iteratorINS6_10device_ptrIiEEEESG_SG_SG_PmS8_22is_equal_div_10_reduceIiEEE10hipError_tPvRmT2_T3_mT4_T5_T6_T7_T8_P12ihipStream_tbENKUlT_T0_E_clISt17integral_constantIbLb1EES11_EEDaSW_SX_EUlSW_E_NS1_11comp_targetILNS1_3genE9ELNS1_11target_archE1100ELNS1_3gpuE3ELNS1_3repE0EEENS1_30default_config_static_selectorELNS0_4arch9wavefront6targetE0EEEvT1_
		.amdhsa_group_segment_fixed_size 15360
		.amdhsa_private_segment_fixed_size 0
		.amdhsa_kernarg_size 120
		.amdhsa_user_sgpr_count 15
		.amdhsa_user_sgpr_dispatch_ptr 0
		.amdhsa_user_sgpr_queue_ptr 0
		.amdhsa_user_sgpr_kernarg_segment_ptr 1
		.amdhsa_user_sgpr_dispatch_id 0
		.amdhsa_user_sgpr_private_segment_size 0
		.amdhsa_wavefront_size32 1
		.amdhsa_uses_dynamic_stack 0
		.amdhsa_enable_private_segment 0
		.amdhsa_system_sgpr_workgroup_id_x 1
		.amdhsa_system_sgpr_workgroup_id_y 0
		.amdhsa_system_sgpr_workgroup_id_z 0
		.amdhsa_system_sgpr_workgroup_info 0
		.amdhsa_system_vgpr_workitem_id 0
		.amdhsa_next_free_vgpr 87
		.amdhsa_next_free_sgpr 44
		.amdhsa_reserve_vcc 1
		.amdhsa_float_round_mode_32 0
		.amdhsa_float_round_mode_16_64 0
		.amdhsa_float_denorm_mode_32 3
		.amdhsa_float_denorm_mode_16_64 3
		.amdhsa_dx10_clamp 1
		.amdhsa_ieee_mode 1
		.amdhsa_fp16_overflow 0
		.amdhsa_workgroup_processor_mode 1
		.amdhsa_memory_ordered 1
		.amdhsa_forward_progress 0
		.amdhsa_shared_vgpr_count 0
		.amdhsa_exception_fp_ieee_invalid_op 0
		.amdhsa_exception_fp_denorm_src 0
		.amdhsa_exception_fp_ieee_div_zero 0
		.amdhsa_exception_fp_ieee_overflow 0
		.amdhsa_exception_fp_ieee_underflow 0
		.amdhsa_exception_fp_ieee_inexact 0
		.amdhsa_exception_int_div_zero 0
	.end_amdhsa_kernel
	.section	.text._ZN7rocprim17ROCPRIM_400000_NS6detail17trampoline_kernelINS0_14default_configENS1_29reduce_by_key_config_selectorIiiN6thrust23THRUST_200600_302600_NS4plusIiEEEEZZNS1_33reduce_by_key_impl_wrapped_configILNS1_25lookback_scan_determinismE0ES3_S9_NS6_6detail15normal_iteratorINS6_10device_ptrIiEEEESG_SG_SG_PmS8_22is_equal_div_10_reduceIiEEE10hipError_tPvRmT2_T3_mT4_T5_T6_T7_T8_P12ihipStream_tbENKUlT_T0_E_clISt17integral_constantIbLb1EES11_EEDaSW_SX_EUlSW_E_NS1_11comp_targetILNS1_3genE9ELNS1_11target_archE1100ELNS1_3gpuE3ELNS1_3repE0EEENS1_30default_config_static_selectorELNS0_4arch9wavefront6targetE0EEEvT1_,"axG",@progbits,_ZN7rocprim17ROCPRIM_400000_NS6detail17trampoline_kernelINS0_14default_configENS1_29reduce_by_key_config_selectorIiiN6thrust23THRUST_200600_302600_NS4plusIiEEEEZZNS1_33reduce_by_key_impl_wrapped_configILNS1_25lookback_scan_determinismE0ES3_S9_NS6_6detail15normal_iteratorINS6_10device_ptrIiEEEESG_SG_SG_PmS8_22is_equal_div_10_reduceIiEEE10hipError_tPvRmT2_T3_mT4_T5_T6_T7_T8_P12ihipStream_tbENKUlT_T0_E_clISt17integral_constantIbLb1EES11_EEDaSW_SX_EUlSW_E_NS1_11comp_targetILNS1_3genE9ELNS1_11target_archE1100ELNS1_3gpuE3ELNS1_3repE0EEENS1_30default_config_static_selectorELNS0_4arch9wavefront6targetE0EEEvT1_,comdat
.Lfunc_end600:
	.size	_ZN7rocprim17ROCPRIM_400000_NS6detail17trampoline_kernelINS0_14default_configENS1_29reduce_by_key_config_selectorIiiN6thrust23THRUST_200600_302600_NS4plusIiEEEEZZNS1_33reduce_by_key_impl_wrapped_configILNS1_25lookback_scan_determinismE0ES3_S9_NS6_6detail15normal_iteratorINS6_10device_ptrIiEEEESG_SG_SG_PmS8_22is_equal_div_10_reduceIiEEE10hipError_tPvRmT2_T3_mT4_T5_T6_T7_T8_P12ihipStream_tbENKUlT_T0_E_clISt17integral_constantIbLb1EES11_EEDaSW_SX_EUlSW_E_NS1_11comp_targetILNS1_3genE9ELNS1_11target_archE1100ELNS1_3gpuE3ELNS1_3repE0EEENS1_30default_config_static_selectorELNS0_4arch9wavefront6targetE0EEEvT1_, .Lfunc_end600-_ZN7rocprim17ROCPRIM_400000_NS6detail17trampoline_kernelINS0_14default_configENS1_29reduce_by_key_config_selectorIiiN6thrust23THRUST_200600_302600_NS4plusIiEEEEZZNS1_33reduce_by_key_impl_wrapped_configILNS1_25lookback_scan_determinismE0ES3_S9_NS6_6detail15normal_iteratorINS6_10device_ptrIiEEEESG_SG_SG_PmS8_22is_equal_div_10_reduceIiEEE10hipError_tPvRmT2_T3_mT4_T5_T6_T7_T8_P12ihipStream_tbENKUlT_T0_E_clISt17integral_constantIbLb1EES11_EEDaSW_SX_EUlSW_E_NS1_11comp_targetILNS1_3genE9ELNS1_11target_archE1100ELNS1_3gpuE3ELNS1_3repE0EEENS1_30default_config_static_selectorELNS0_4arch9wavefront6targetE0EEEvT1_
                                        ; -- End function
	.section	.AMDGPU.csdata,"",@progbits
; Kernel info:
; codeLenInByte = 20080
; NumSgprs: 46
; NumVgprs: 87
; ScratchSize: 0
; MemoryBound: 0
; FloatMode: 240
; IeeeMode: 1
; LDSByteSize: 15360 bytes/workgroup (compile time only)
; SGPRBlocks: 5
; VGPRBlocks: 10
; NumSGPRsForWavesPerEU: 46
; NumVGPRsForWavesPerEU: 87
; Occupancy: 16
; WaveLimiterHint : 1
; COMPUTE_PGM_RSRC2:SCRATCH_EN: 0
; COMPUTE_PGM_RSRC2:USER_SGPR: 15
; COMPUTE_PGM_RSRC2:TRAP_HANDLER: 0
; COMPUTE_PGM_RSRC2:TGID_X_EN: 1
; COMPUTE_PGM_RSRC2:TGID_Y_EN: 0
; COMPUTE_PGM_RSRC2:TGID_Z_EN: 0
; COMPUTE_PGM_RSRC2:TIDIG_COMP_CNT: 0
	.section	.text._ZN7rocprim17ROCPRIM_400000_NS6detail17trampoline_kernelINS0_14default_configENS1_29reduce_by_key_config_selectorIiiN6thrust23THRUST_200600_302600_NS4plusIiEEEEZZNS1_33reduce_by_key_impl_wrapped_configILNS1_25lookback_scan_determinismE0ES3_S9_NS6_6detail15normal_iteratorINS6_10device_ptrIiEEEESG_SG_SG_PmS8_22is_equal_div_10_reduceIiEEE10hipError_tPvRmT2_T3_mT4_T5_T6_T7_T8_P12ihipStream_tbENKUlT_T0_E_clISt17integral_constantIbLb1EES11_EEDaSW_SX_EUlSW_E_NS1_11comp_targetILNS1_3genE8ELNS1_11target_archE1030ELNS1_3gpuE2ELNS1_3repE0EEENS1_30default_config_static_selectorELNS0_4arch9wavefront6targetE0EEEvT1_,"axG",@progbits,_ZN7rocprim17ROCPRIM_400000_NS6detail17trampoline_kernelINS0_14default_configENS1_29reduce_by_key_config_selectorIiiN6thrust23THRUST_200600_302600_NS4plusIiEEEEZZNS1_33reduce_by_key_impl_wrapped_configILNS1_25lookback_scan_determinismE0ES3_S9_NS6_6detail15normal_iteratorINS6_10device_ptrIiEEEESG_SG_SG_PmS8_22is_equal_div_10_reduceIiEEE10hipError_tPvRmT2_T3_mT4_T5_T6_T7_T8_P12ihipStream_tbENKUlT_T0_E_clISt17integral_constantIbLb1EES11_EEDaSW_SX_EUlSW_E_NS1_11comp_targetILNS1_3genE8ELNS1_11target_archE1030ELNS1_3gpuE2ELNS1_3repE0EEENS1_30default_config_static_selectorELNS0_4arch9wavefront6targetE0EEEvT1_,comdat
	.protected	_ZN7rocprim17ROCPRIM_400000_NS6detail17trampoline_kernelINS0_14default_configENS1_29reduce_by_key_config_selectorIiiN6thrust23THRUST_200600_302600_NS4plusIiEEEEZZNS1_33reduce_by_key_impl_wrapped_configILNS1_25lookback_scan_determinismE0ES3_S9_NS6_6detail15normal_iteratorINS6_10device_ptrIiEEEESG_SG_SG_PmS8_22is_equal_div_10_reduceIiEEE10hipError_tPvRmT2_T3_mT4_T5_T6_T7_T8_P12ihipStream_tbENKUlT_T0_E_clISt17integral_constantIbLb1EES11_EEDaSW_SX_EUlSW_E_NS1_11comp_targetILNS1_3genE8ELNS1_11target_archE1030ELNS1_3gpuE2ELNS1_3repE0EEENS1_30default_config_static_selectorELNS0_4arch9wavefront6targetE0EEEvT1_ ; -- Begin function _ZN7rocprim17ROCPRIM_400000_NS6detail17trampoline_kernelINS0_14default_configENS1_29reduce_by_key_config_selectorIiiN6thrust23THRUST_200600_302600_NS4plusIiEEEEZZNS1_33reduce_by_key_impl_wrapped_configILNS1_25lookback_scan_determinismE0ES3_S9_NS6_6detail15normal_iteratorINS6_10device_ptrIiEEEESG_SG_SG_PmS8_22is_equal_div_10_reduceIiEEE10hipError_tPvRmT2_T3_mT4_T5_T6_T7_T8_P12ihipStream_tbENKUlT_T0_E_clISt17integral_constantIbLb1EES11_EEDaSW_SX_EUlSW_E_NS1_11comp_targetILNS1_3genE8ELNS1_11target_archE1030ELNS1_3gpuE2ELNS1_3repE0EEENS1_30default_config_static_selectorELNS0_4arch9wavefront6targetE0EEEvT1_
	.globl	_ZN7rocprim17ROCPRIM_400000_NS6detail17trampoline_kernelINS0_14default_configENS1_29reduce_by_key_config_selectorIiiN6thrust23THRUST_200600_302600_NS4plusIiEEEEZZNS1_33reduce_by_key_impl_wrapped_configILNS1_25lookback_scan_determinismE0ES3_S9_NS6_6detail15normal_iteratorINS6_10device_ptrIiEEEESG_SG_SG_PmS8_22is_equal_div_10_reduceIiEEE10hipError_tPvRmT2_T3_mT4_T5_T6_T7_T8_P12ihipStream_tbENKUlT_T0_E_clISt17integral_constantIbLb1EES11_EEDaSW_SX_EUlSW_E_NS1_11comp_targetILNS1_3genE8ELNS1_11target_archE1030ELNS1_3gpuE2ELNS1_3repE0EEENS1_30default_config_static_selectorELNS0_4arch9wavefront6targetE0EEEvT1_
	.p2align	8
	.type	_ZN7rocprim17ROCPRIM_400000_NS6detail17trampoline_kernelINS0_14default_configENS1_29reduce_by_key_config_selectorIiiN6thrust23THRUST_200600_302600_NS4plusIiEEEEZZNS1_33reduce_by_key_impl_wrapped_configILNS1_25lookback_scan_determinismE0ES3_S9_NS6_6detail15normal_iteratorINS6_10device_ptrIiEEEESG_SG_SG_PmS8_22is_equal_div_10_reduceIiEEE10hipError_tPvRmT2_T3_mT4_T5_T6_T7_T8_P12ihipStream_tbENKUlT_T0_E_clISt17integral_constantIbLb1EES11_EEDaSW_SX_EUlSW_E_NS1_11comp_targetILNS1_3genE8ELNS1_11target_archE1030ELNS1_3gpuE2ELNS1_3repE0EEENS1_30default_config_static_selectorELNS0_4arch9wavefront6targetE0EEEvT1_,@function
_ZN7rocprim17ROCPRIM_400000_NS6detail17trampoline_kernelINS0_14default_configENS1_29reduce_by_key_config_selectorIiiN6thrust23THRUST_200600_302600_NS4plusIiEEEEZZNS1_33reduce_by_key_impl_wrapped_configILNS1_25lookback_scan_determinismE0ES3_S9_NS6_6detail15normal_iteratorINS6_10device_ptrIiEEEESG_SG_SG_PmS8_22is_equal_div_10_reduceIiEEE10hipError_tPvRmT2_T3_mT4_T5_T6_T7_T8_P12ihipStream_tbENKUlT_T0_E_clISt17integral_constantIbLb1EES11_EEDaSW_SX_EUlSW_E_NS1_11comp_targetILNS1_3genE8ELNS1_11target_archE1030ELNS1_3gpuE2ELNS1_3repE0EEENS1_30default_config_static_selectorELNS0_4arch9wavefront6targetE0EEEvT1_: ; @_ZN7rocprim17ROCPRIM_400000_NS6detail17trampoline_kernelINS0_14default_configENS1_29reduce_by_key_config_selectorIiiN6thrust23THRUST_200600_302600_NS4plusIiEEEEZZNS1_33reduce_by_key_impl_wrapped_configILNS1_25lookback_scan_determinismE0ES3_S9_NS6_6detail15normal_iteratorINS6_10device_ptrIiEEEESG_SG_SG_PmS8_22is_equal_div_10_reduceIiEEE10hipError_tPvRmT2_T3_mT4_T5_T6_T7_T8_P12ihipStream_tbENKUlT_T0_E_clISt17integral_constantIbLb1EES11_EEDaSW_SX_EUlSW_E_NS1_11comp_targetILNS1_3genE8ELNS1_11target_archE1030ELNS1_3gpuE2ELNS1_3repE0EEENS1_30default_config_static_selectorELNS0_4arch9wavefront6targetE0EEEvT1_
; %bb.0:
	.section	.rodata,"a",@progbits
	.p2align	6, 0x0
	.amdhsa_kernel _ZN7rocprim17ROCPRIM_400000_NS6detail17trampoline_kernelINS0_14default_configENS1_29reduce_by_key_config_selectorIiiN6thrust23THRUST_200600_302600_NS4plusIiEEEEZZNS1_33reduce_by_key_impl_wrapped_configILNS1_25lookback_scan_determinismE0ES3_S9_NS6_6detail15normal_iteratorINS6_10device_ptrIiEEEESG_SG_SG_PmS8_22is_equal_div_10_reduceIiEEE10hipError_tPvRmT2_T3_mT4_T5_T6_T7_T8_P12ihipStream_tbENKUlT_T0_E_clISt17integral_constantIbLb1EES11_EEDaSW_SX_EUlSW_E_NS1_11comp_targetILNS1_3genE8ELNS1_11target_archE1030ELNS1_3gpuE2ELNS1_3repE0EEENS1_30default_config_static_selectorELNS0_4arch9wavefront6targetE0EEEvT1_
		.amdhsa_group_segment_fixed_size 0
		.amdhsa_private_segment_fixed_size 0
		.amdhsa_kernarg_size 120
		.amdhsa_user_sgpr_count 15
		.amdhsa_user_sgpr_dispatch_ptr 0
		.amdhsa_user_sgpr_queue_ptr 0
		.amdhsa_user_sgpr_kernarg_segment_ptr 1
		.amdhsa_user_sgpr_dispatch_id 0
		.amdhsa_user_sgpr_private_segment_size 0
		.amdhsa_wavefront_size32 1
		.amdhsa_uses_dynamic_stack 0
		.amdhsa_enable_private_segment 0
		.amdhsa_system_sgpr_workgroup_id_x 1
		.amdhsa_system_sgpr_workgroup_id_y 0
		.amdhsa_system_sgpr_workgroup_id_z 0
		.amdhsa_system_sgpr_workgroup_info 0
		.amdhsa_system_vgpr_workitem_id 0
		.amdhsa_next_free_vgpr 1
		.amdhsa_next_free_sgpr 1
		.amdhsa_reserve_vcc 0
		.amdhsa_float_round_mode_32 0
		.amdhsa_float_round_mode_16_64 0
		.amdhsa_float_denorm_mode_32 3
		.amdhsa_float_denorm_mode_16_64 3
		.amdhsa_dx10_clamp 1
		.amdhsa_ieee_mode 1
		.amdhsa_fp16_overflow 0
		.amdhsa_workgroup_processor_mode 1
		.amdhsa_memory_ordered 1
		.amdhsa_forward_progress 0
		.amdhsa_shared_vgpr_count 0
		.amdhsa_exception_fp_ieee_invalid_op 0
		.amdhsa_exception_fp_denorm_src 0
		.amdhsa_exception_fp_ieee_div_zero 0
		.amdhsa_exception_fp_ieee_overflow 0
		.amdhsa_exception_fp_ieee_underflow 0
		.amdhsa_exception_fp_ieee_inexact 0
		.amdhsa_exception_int_div_zero 0
	.end_amdhsa_kernel
	.section	.text._ZN7rocprim17ROCPRIM_400000_NS6detail17trampoline_kernelINS0_14default_configENS1_29reduce_by_key_config_selectorIiiN6thrust23THRUST_200600_302600_NS4plusIiEEEEZZNS1_33reduce_by_key_impl_wrapped_configILNS1_25lookback_scan_determinismE0ES3_S9_NS6_6detail15normal_iteratorINS6_10device_ptrIiEEEESG_SG_SG_PmS8_22is_equal_div_10_reduceIiEEE10hipError_tPvRmT2_T3_mT4_T5_T6_T7_T8_P12ihipStream_tbENKUlT_T0_E_clISt17integral_constantIbLb1EES11_EEDaSW_SX_EUlSW_E_NS1_11comp_targetILNS1_3genE8ELNS1_11target_archE1030ELNS1_3gpuE2ELNS1_3repE0EEENS1_30default_config_static_selectorELNS0_4arch9wavefront6targetE0EEEvT1_,"axG",@progbits,_ZN7rocprim17ROCPRIM_400000_NS6detail17trampoline_kernelINS0_14default_configENS1_29reduce_by_key_config_selectorIiiN6thrust23THRUST_200600_302600_NS4plusIiEEEEZZNS1_33reduce_by_key_impl_wrapped_configILNS1_25lookback_scan_determinismE0ES3_S9_NS6_6detail15normal_iteratorINS6_10device_ptrIiEEEESG_SG_SG_PmS8_22is_equal_div_10_reduceIiEEE10hipError_tPvRmT2_T3_mT4_T5_T6_T7_T8_P12ihipStream_tbENKUlT_T0_E_clISt17integral_constantIbLb1EES11_EEDaSW_SX_EUlSW_E_NS1_11comp_targetILNS1_3genE8ELNS1_11target_archE1030ELNS1_3gpuE2ELNS1_3repE0EEENS1_30default_config_static_selectorELNS0_4arch9wavefront6targetE0EEEvT1_,comdat
.Lfunc_end601:
	.size	_ZN7rocprim17ROCPRIM_400000_NS6detail17trampoline_kernelINS0_14default_configENS1_29reduce_by_key_config_selectorIiiN6thrust23THRUST_200600_302600_NS4plusIiEEEEZZNS1_33reduce_by_key_impl_wrapped_configILNS1_25lookback_scan_determinismE0ES3_S9_NS6_6detail15normal_iteratorINS6_10device_ptrIiEEEESG_SG_SG_PmS8_22is_equal_div_10_reduceIiEEE10hipError_tPvRmT2_T3_mT4_T5_T6_T7_T8_P12ihipStream_tbENKUlT_T0_E_clISt17integral_constantIbLb1EES11_EEDaSW_SX_EUlSW_E_NS1_11comp_targetILNS1_3genE8ELNS1_11target_archE1030ELNS1_3gpuE2ELNS1_3repE0EEENS1_30default_config_static_selectorELNS0_4arch9wavefront6targetE0EEEvT1_, .Lfunc_end601-_ZN7rocprim17ROCPRIM_400000_NS6detail17trampoline_kernelINS0_14default_configENS1_29reduce_by_key_config_selectorIiiN6thrust23THRUST_200600_302600_NS4plusIiEEEEZZNS1_33reduce_by_key_impl_wrapped_configILNS1_25lookback_scan_determinismE0ES3_S9_NS6_6detail15normal_iteratorINS6_10device_ptrIiEEEESG_SG_SG_PmS8_22is_equal_div_10_reduceIiEEE10hipError_tPvRmT2_T3_mT4_T5_T6_T7_T8_P12ihipStream_tbENKUlT_T0_E_clISt17integral_constantIbLb1EES11_EEDaSW_SX_EUlSW_E_NS1_11comp_targetILNS1_3genE8ELNS1_11target_archE1030ELNS1_3gpuE2ELNS1_3repE0EEENS1_30default_config_static_selectorELNS0_4arch9wavefront6targetE0EEEvT1_
                                        ; -- End function
	.section	.AMDGPU.csdata,"",@progbits
; Kernel info:
; codeLenInByte = 0
; NumSgprs: 0
; NumVgprs: 0
; ScratchSize: 0
; MemoryBound: 0
; FloatMode: 240
; IeeeMode: 1
; LDSByteSize: 0 bytes/workgroup (compile time only)
; SGPRBlocks: 0
; VGPRBlocks: 0
; NumSGPRsForWavesPerEU: 1
; NumVGPRsForWavesPerEU: 1
; Occupancy: 16
; WaveLimiterHint : 0
; COMPUTE_PGM_RSRC2:SCRATCH_EN: 0
; COMPUTE_PGM_RSRC2:USER_SGPR: 15
; COMPUTE_PGM_RSRC2:TRAP_HANDLER: 0
; COMPUTE_PGM_RSRC2:TGID_X_EN: 1
; COMPUTE_PGM_RSRC2:TGID_Y_EN: 0
; COMPUTE_PGM_RSRC2:TGID_Z_EN: 0
; COMPUTE_PGM_RSRC2:TIDIG_COMP_CNT: 0
	.section	.text._ZN7rocprim17ROCPRIM_400000_NS6detail17trampoline_kernelINS0_14default_configENS1_29reduce_by_key_config_selectorIiiN6thrust23THRUST_200600_302600_NS4plusIiEEEEZZNS1_33reduce_by_key_impl_wrapped_configILNS1_25lookback_scan_determinismE0ES3_S9_NS6_6detail15normal_iteratorINS6_10device_ptrIiEEEESG_SG_SG_PmS8_22is_equal_div_10_reduceIiEEE10hipError_tPvRmT2_T3_mT4_T5_T6_T7_T8_P12ihipStream_tbENKUlT_T0_E_clISt17integral_constantIbLb1EES10_IbLb0EEEEDaSW_SX_EUlSW_E_NS1_11comp_targetILNS1_3genE0ELNS1_11target_archE4294967295ELNS1_3gpuE0ELNS1_3repE0EEENS1_30default_config_static_selectorELNS0_4arch9wavefront6targetE0EEEvT1_,"axG",@progbits,_ZN7rocprim17ROCPRIM_400000_NS6detail17trampoline_kernelINS0_14default_configENS1_29reduce_by_key_config_selectorIiiN6thrust23THRUST_200600_302600_NS4plusIiEEEEZZNS1_33reduce_by_key_impl_wrapped_configILNS1_25lookback_scan_determinismE0ES3_S9_NS6_6detail15normal_iteratorINS6_10device_ptrIiEEEESG_SG_SG_PmS8_22is_equal_div_10_reduceIiEEE10hipError_tPvRmT2_T3_mT4_T5_T6_T7_T8_P12ihipStream_tbENKUlT_T0_E_clISt17integral_constantIbLb1EES10_IbLb0EEEEDaSW_SX_EUlSW_E_NS1_11comp_targetILNS1_3genE0ELNS1_11target_archE4294967295ELNS1_3gpuE0ELNS1_3repE0EEENS1_30default_config_static_selectorELNS0_4arch9wavefront6targetE0EEEvT1_,comdat
	.protected	_ZN7rocprim17ROCPRIM_400000_NS6detail17trampoline_kernelINS0_14default_configENS1_29reduce_by_key_config_selectorIiiN6thrust23THRUST_200600_302600_NS4plusIiEEEEZZNS1_33reduce_by_key_impl_wrapped_configILNS1_25lookback_scan_determinismE0ES3_S9_NS6_6detail15normal_iteratorINS6_10device_ptrIiEEEESG_SG_SG_PmS8_22is_equal_div_10_reduceIiEEE10hipError_tPvRmT2_T3_mT4_T5_T6_T7_T8_P12ihipStream_tbENKUlT_T0_E_clISt17integral_constantIbLb1EES10_IbLb0EEEEDaSW_SX_EUlSW_E_NS1_11comp_targetILNS1_3genE0ELNS1_11target_archE4294967295ELNS1_3gpuE0ELNS1_3repE0EEENS1_30default_config_static_selectorELNS0_4arch9wavefront6targetE0EEEvT1_ ; -- Begin function _ZN7rocprim17ROCPRIM_400000_NS6detail17trampoline_kernelINS0_14default_configENS1_29reduce_by_key_config_selectorIiiN6thrust23THRUST_200600_302600_NS4plusIiEEEEZZNS1_33reduce_by_key_impl_wrapped_configILNS1_25lookback_scan_determinismE0ES3_S9_NS6_6detail15normal_iteratorINS6_10device_ptrIiEEEESG_SG_SG_PmS8_22is_equal_div_10_reduceIiEEE10hipError_tPvRmT2_T3_mT4_T5_T6_T7_T8_P12ihipStream_tbENKUlT_T0_E_clISt17integral_constantIbLb1EES10_IbLb0EEEEDaSW_SX_EUlSW_E_NS1_11comp_targetILNS1_3genE0ELNS1_11target_archE4294967295ELNS1_3gpuE0ELNS1_3repE0EEENS1_30default_config_static_selectorELNS0_4arch9wavefront6targetE0EEEvT1_
	.globl	_ZN7rocprim17ROCPRIM_400000_NS6detail17trampoline_kernelINS0_14default_configENS1_29reduce_by_key_config_selectorIiiN6thrust23THRUST_200600_302600_NS4plusIiEEEEZZNS1_33reduce_by_key_impl_wrapped_configILNS1_25lookback_scan_determinismE0ES3_S9_NS6_6detail15normal_iteratorINS6_10device_ptrIiEEEESG_SG_SG_PmS8_22is_equal_div_10_reduceIiEEE10hipError_tPvRmT2_T3_mT4_T5_T6_T7_T8_P12ihipStream_tbENKUlT_T0_E_clISt17integral_constantIbLb1EES10_IbLb0EEEEDaSW_SX_EUlSW_E_NS1_11comp_targetILNS1_3genE0ELNS1_11target_archE4294967295ELNS1_3gpuE0ELNS1_3repE0EEENS1_30default_config_static_selectorELNS0_4arch9wavefront6targetE0EEEvT1_
	.p2align	8
	.type	_ZN7rocprim17ROCPRIM_400000_NS6detail17trampoline_kernelINS0_14default_configENS1_29reduce_by_key_config_selectorIiiN6thrust23THRUST_200600_302600_NS4plusIiEEEEZZNS1_33reduce_by_key_impl_wrapped_configILNS1_25lookback_scan_determinismE0ES3_S9_NS6_6detail15normal_iteratorINS6_10device_ptrIiEEEESG_SG_SG_PmS8_22is_equal_div_10_reduceIiEEE10hipError_tPvRmT2_T3_mT4_T5_T6_T7_T8_P12ihipStream_tbENKUlT_T0_E_clISt17integral_constantIbLb1EES10_IbLb0EEEEDaSW_SX_EUlSW_E_NS1_11comp_targetILNS1_3genE0ELNS1_11target_archE4294967295ELNS1_3gpuE0ELNS1_3repE0EEENS1_30default_config_static_selectorELNS0_4arch9wavefront6targetE0EEEvT1_,@function
_ZN7rocprim17ROCPRIM_400000_NS6detail17trampoline_kernelINS0_14default_configENS1_29reduce_by_key_config_selectorIiiN6thrust23THRUST_200600_302600_NS4plusIiEEEEZZNS1_33reduce_by_key_impl_wrapped_configILNS1_25lookback_scan_determinismE0ES3_S9_NS6_6detail15normal_iteratorINS6_10device_ptrIiEEEESG_SG_SG_PmS8_22is_equal_div_10_reduceIiEEE10hipError_tPvRmT2_T3_mT4_T5_T6_T7_T8_P12ihipStream_tbENKUlT_T0_E_clISt17integral_constantIbLb1EES10_IbLb0EEEEDaSW_SX_EUlSW_E_NS1_11comp_targetILNS1_3genE0ELNS1_11target_archE4294967295ELNS1_3gpuE0ELNS1_3repE0EEENS1_30default_config_static_selectorELNS0_4arch9wavefront6targetE0EEEvT1_: ; @_ZN7rocprim17ROCPRIM_400000_NS6detail17trampoline_kernelINS0_14default_configENS1_29reduce_by_key_config_selectorIiiN6thrust23THRUST_200600_302600_NS4plusIiEEEEZZNS1_33reduce_by_key_impl_wrapped_configILNS1_25lookback_scan_determinismE0ES3_S9_NS6_6detail15normal_iteratorINS6_10device_ptrIiEEEESG_SG_SG_PmS8_22is_equal_div_10_reduceIiEEE10hipError_tPvRmT2_T3_mT4_T5_T6_T7_T8_P12ihipStream_tbENKUlT_T0_E_clISt17integral_constantIbLb1EES10_IbLb0EEEEDaSW_SX_EUlSW_E_NS1_11comp_targetILNS1_3genE0ELNS1_11target_archE4294967295ELNS1_3gpuE0ELNS1_3repE0EEENS1_30default_config_static_selectorELNS0_4arch9wavefront6targetE0EEEvT1_
; %bb.0:
	.section	.rodata,"a",@progbits
	.p2align	6, 0x0
	.amdhsa_kernel _ZN7rocprim17ROCPRIM_400000_NS6detail17trampoline_kernelINS0_14default_configENS1_29reduce_by_key_config_selectorIiiN6thrust23THRUST_200600_302600_NS4plusIiEEEEZZNS1_33reduce_by_key_impl_wrapped_configILNS1_25lookback_scan_determinismE0ES3_S9_NS6_6detail15normal_iteratorINS6_10device_ptrIiEEEESG_SG_SG_PmS8_22is_equal_div_10_reduceIiEEE10hipError_tPvRmT2_T3_mT4_T5_T6_T7_T8_P12ihipStream_tbENKUlT_T0_E_clISt17integral_constantIbLb1EES10_IbLb0EEEEDaSW_SX_EUlSW_E_NS1_11comp_targetILNS1_3genE0ELNS1_11target_archE4294967295ELNS1_3gpuE0ELNS1_3repE0EEENS1_30default_config_static_selectorELNS0_4arch9wavefront6targetE0EEEvT1_
		.amdhsa_group_segment_fixed_size 0
		.amdhsa_private_segment_fixed_size 0
		.amdhsa_kernarg_size 120
		.amdhsa_user_sgpr_count 15
		.amdhsa_user_sgpr_dispatch_ptr 0
		.amdhsa_user_sgpr_queue_ptr 0
		.amdhsa_user_sgpr_kernarg_segment_ptr 1
		.amdhsa_user_sgpr_dispatch_id 0
		.amdhsa_user_sgpr_private_segment_size 0
		.amdhsa_wavefront_size32 1
		.amdhsa_uses_dynamic_stack 0
		.amdhsa_enable_private_segment 0
		.amdhsa_system_sgpr_workgroup_id_x 1
		.amdhsa_system_sgpr_workgroup_id_y 0
		.amdhsa_system_sgpr_workgroup_id_z 0
		.amdhsa_system_sgpr_workgroup_info 0
		.amdhsa_system_vgpr_workitem_id 0
		.amdhsa_next_free_vgpr 1
		.amdhsa_next_free_sgpr 1
		.amdhsa_reserve_vcc 0
		.amdhsa_float_round_mode_32 0
		.amdhsa_float_round_mode_16_64 0
		.amdhsa_float_denorm_mode_32 3
		.amdhsa_float_denorm_mode_16_64 3
		.amdhsa_dx10_clamp 1
		.amdhsa_ieee_mode 1
		.amdhsa_fp16_overflow 0
		.amdhsa_workgroup_processor_mode 1
		.amdhsa_memory_ordered 1
		.amdhsa_forward_progress 0
		.amdhsa_shared_vgpr_count 0
		.amdhsa_exception_fp_ieee_invalid_op 0
		.amdhsa_exception_fp_denorm_src 0
		.amdhsa_exception_fp_ieee_div_zero 0
		.amdhsa_exception_fp_ieee_overflow 0
		.amdhsa_exception_fp_ieee_underflow 0
		.amdhsa_exception_fp_ieee_inexact 0
		.amdhsa_exception_int_div_zero 0
	.end_amdhsa_kernel
	.section	.text._ZN7rocprim17ROCPRIM_400000_NS6detail17trampoline_kernelINS0_14default_configENS1_29reduce_by_key_config_selectorIiiN6thrust23THRUST_200600_302600_NS4plusIiEEEEZZNS1_33reduce_by_key_impl_wrapped_configILNS1_25lookback_scan_determinismE0ES3_S9_NS6_6detail15normal_iteratorINS6_10device_ptrIiEEEESG_SG_SG_PmS8_22is_equal_div_10_reduceIiEEE10hipError_tPvRmT2_T3_mT4_T5_T6_T7_T8_P12ihipStream_tbENKUlT_T0_E_clISt17integral_constantIbLb1EES10_IbLb0EEEEDaSW_SX_EUlSW_E_NS1_11comp_targetILNS1_3genE0ELNS1_11target_archE4294967295ELNS1_3gpuE0ELNS1_3repE0EEENS1_30default_config_static_selectorELNS0_4arch9wavefront6targetE0EEEvT1_,"axG",@progbits,_ZN7rocprim17ROCPRIM_400000_NS6detail17trampoline_kernelINS0_14default_configENS1_29reduce_by_key_config_selectorIiiN6thrust23THRUST_200600_302600_NS4plusIiEEEEZZNS1_33reduce_by_key_impl_wrapped_configILNS1_25lookback_scan_determinismE0ES3_S9_NS6_6detail15normal_iteratorINS6_10device_ptrIiEEEESG_SG_SG_PmS8_22is_equal_div_10_reduceIiEEE10hipError_tPvRmT2_T3_mT4_T5_T6_T7_T8_P12ihipStream_tbENKUlT_T0_E_clISt17integral_constantIbLb1EES10_IbLb0EEEEDaSW_SX_EUlSW_E_NS1_11comp_targetILNS1_3genE0ELNS1_11target_archE4294967295ELNS1_3gpuE0ELNS1_3repE0EEENS1_30default_config_static_selectorELNS0_4arch9wavefront6targetE0EEEvT1_,comdat
.Lfunc_end602:
	.size	_ZN7rocprim17ROCPRIM_400000_NS6detail17trampoline_kernelINS0_14default_configENS1_29reduce_by_key_config_selectorIiiN6thrust23THRUST_200600_302600_NS4plusIiEEEEZZNS1_33reduce_by_key_impl_wrapped_configILNS1_25lookback_scan_determinismE0ES3_S9_NS6_6detail15normal_iteratorINS6_10device_ptrIiEEEESG_SG_SG_PmS8_22is_equal_div_10_reduceIiEEE10hipError_tPvRmT2_T3_mT4_T5_T6_T7_T8_P12ihipStream_tbENKUlT_T0_E_clISt17integral_constantIbLb1EES10_IbLb0EEEEDaSW_SX_EUlSW_E_NS1_11comp_targetILNS1_3genE0ELNS1_11target_archE4294967295ELNS1_3gpuE0ELNS1_3repE0EEENS1_30default_config_static_selectorELNS0_4arch9wavefront6targetE0EEEvT1_, .Lfunc_end602-_ZN7rocprim17ROCPRIM_400000_NS6detail17trampoline_kernelINS0_14default_configENS1_29reduce_by_key_config_selectorIiiN6thrust23THRUST_200600_302600_NS4plusIiEEEEZZNS1_33reduce_by_key_impl_wrapped_configILNS1_25lookback_scan_determinismE0ES3_S9_NS6_6detail15normal_iteratorINS6_10device_ptrIiEEEESG_SG_SG_PmS8_22is_equal_div_10_reduceIiEEE10hipError_tPvRmT2_T3_mT4_T5_T6_T7_T8_P12ihipStream_tbENKUlT_T0_E_clISt17integral_constantIbLb1EES10_IbLb0EEEEDaSW_SX_EUlSW_E_NS1_11comp_targetILNS1_3genE0ELNS1_11target_archE4294967295ELNS1_3gpuE0ELNS1_3repE0EEENS1_30default_config_static_selectorELNS0_4arch9wavefront6targetE0EEEvT1_
                                        ; -- End function
	.section	.AMDGPU.csdata,"",@progbits
; Kernel info:
; codeLenInByte = 0
; NumSgprs: 0
; NumVgprs: 0
; ScratchSize: 0
; MemoryBound: 0
; FloatMode: 240
; IeeeMode: 1
; LDSByteSize: 0 bytes/workgroup (compile time only)
; SGPRBlocks: 0
; VGPRBlocks: 0
; NumSGPRsForWavesPerEU: 1
; NumVGPRsForWavesPerEU: 1
; Occupancy: 16
; WaveLimiterHint : 0
; COMPUTE_PGM_RSRC2:SCRATCH_EN: 0
; COMPUTE_PGM_RSRC2:USER_SGPR: 15
; COMPUTE_PGM_RSRC2:TRAP_HANDLER: 0
; COMPUTE_PGM_RSRC2:TGID_X_EN: 1
; COMPUTE_PGM_RSRC2:TGID_Y_EN: 0
; COMPUTE_PGM_RSRC2:TGID_Z_EN: 0
; COMPUTE_PGM_RSRC2:TIDIG_COMP_CNT: 0
	.section	.text._ZN7rocprim17ROCPRIM_400000_NS6detail17trampoline_kernelINS0_14default_configENS1_29reduce_by_key_config_selectorIiiN6thrust23THRUST_200600_302600_NS4plusIiEEEEZZNS1_33reduce_by_key_impl_wrapped_configILNS1_25lookback_scan_determinismE0ES3_S9_NS6_6detail15normal_iteratorINS6_10device_ptrIiEEEESG_SG_SG_PmS8_22is_equal_div_10_reduceIiEEE10hipError_tPvRmT2_T3_mT4_T5_T6_T7_T8_P12ihipStream_tbENKUlT_T0_E_clISt17integral_constantIbLb1EES10_IbLb0EEEEDaSW_SX_EUlSW_E_NS1_11comp_targetILNS1_3genE5ELNS1_11target_archE942ELNS1_3gpuE9ELNS1_3repE0EEENS1_30default_config_static_selectorELNS0_4arch9wavefront6targetE0EEEvT1_,"axG",@progbits,_ZN7rocprim17ROCPRIM_400000_NS6detail17trampoline_kernelINS0_14default_configENS1_29reduce_by_key_config_selectorIiiN6thrust23THRUST_200600_302600_NS4plusIiEEEEZZNS1_33reduce_by_key_impl_wrapped_configILNS1_25lookback_scan_determinismE0ES3_S9_NS6_6detail15normal_iteratorINS6_10device_ptrIiEEEESG_SG_SG_PmS8_22is_equal_div_10_reduceIiEEE10hipError_tPvRmT2_T3_mT4_T5_T6_T7_T8_P12ihipStream_tbENKUlT_T0_E_clISt17integral_constantIbLb1EES10_IbLb0EEEEDaSW_SX_EUlSW_E_NS1_11comp_targetILNS1_3genE5ELNS1_11target_archE942ELNS1_3gpuE9ELNS1_3repE0EEENS1_30default_config_static_selectorELNS0_4arch9wavefront6targetE0EEEvT1_,comdat
	.protected	_ZN7rocprim17ROCPRIM_400000_NS6detail17trampoline_kernelINS0_14default_configENS1_29reduce_by_key_config_selectorIiiN6thrust23THRUST_200600_302600_NS4plusIiEEEEZZNS1_33reduce_by_key_impl_wrapped_configILNS1_25lookback_scan_determinismE0ES3_S9_NS6_6detail15normal_iteratorINS6_10device_ptrIiEEEESG_SG_SG_PmS8_22is_equal_div_10_reduceIiEEE10hipError_tPvRmT2_T3_mT4_T5_T6_T7_T8_P12ihipStream_tbENKUlT_T0_E_clISt17integral_constantIbLb1EES10_IbLb0EEEEDaSW_SX_EUlSW_E_NS1_11comp_targetILNS1_3genE5ELNS1_11target_archE942ELNS1_3gpuE9ELNS1_3repE0EEENS1_30default_config_static_selectorELNS0_4arch9wavefront6targetE0EEEvT1_ ; -- Begin function _ZN7rocprim17ROCPRIM_400000_NS6detail17trampoline_kernelINS0_14default_configENS1_29reduce_by_key_config_selectorIiiN6thrust23THRUST_200600_302600_NS4plusIiEEEEZZNS1_33reduce_by_key_impl_wrapped_configILNS1_25lookback_scan_determinismE0ES3_S9_NS6_6detail15normal_iteratorINS6_10device_ptrIiEEEESG_SG_SG_PmS8_22is_equal_div_10_reduceIiEEE10hipError_tPvRmT2_T3_mT4_T5_T6_T7_T8_P12ihipStream_tbENKUlT_T0_E_clISt17integral_constantIbLb1EES10_IbLb0EEEEDaSW_SX_EUlSW_E_NS1_11comp_targetILNS1_3genE5ELNS1_11target_archE942ELNS1_3gpuE9ELNS1_3repE0EEENS1_30default_config_static_selectorELNS0_4arch9wavefront6targetE0EEEvT1_
	.globl	_ZN7rocprim17ROCPRIM_400000_NS6detail17trampoline_kernelINS0_14default_configENS1_29reduce_by_key_config_selectorIiiN6thrust23THRUST_200600_302600_NS4plusIiEEEEZZNS1_33reduce_by_key_impl_wrapped_configILNS1_25lookback_scan_determinismE0ES3_S9_NS6_6detail15normal_iteratorINS6_10device_ptrIiEEEESG_SG_SG_PmS8_22is_equal_div_10_reduceIiEEE10hipError_tPvRmT2_T3_mT4_T5_T6_T7_T8_P12ihipStream_tbENKUlT_T0_E_clISt17integral_constantIbLb1EES10_IbLb0EEEEDaSW_SX_EUlSW_E_NS1_11comp_targetILNS1_3genE5ELNS1_11target_archE942ELNS1_3gpuE9ELNS1_3repE0EEENS1_30default_config_static_selectorELNS0_4arch9wavefront6targetE0EEEvT1_
	.p2align	8
	.type	_ZN7rocprim17ROCPRIM_400000_NS6detail17trampoline_kernelINS0_14default_configENS1_29reduce_by_key_config_selectorIiiN6thrust23THRUST_200600_302600_NS4plusIiEEEEZZNS1_33reduce_by_key_impl_wrapped_configILNS1_25lookback_scan_determinismE0ES3_S9_NS6_6detail15normal_iteratorINS6_10device_ptrIiEEEESG_SG_SG_PmS8_22is_equal_div_10_reduceIiEEE10hipError_tPvRmT2_T3_mT4_T5_T6_T7_T8_P12ihipStream_tbENKUlT_T0_E_clISt17integral_constantIbLb1EES10_IbLb0EEEEDaSW_SX_EUlSW_E_NS1_11comp_targetILNS1_3genE5ELNS1_11target_archE942ELNS1_3gpuE9ELNS1_3repE0EEENS1_30default_config_static_selectorELNS0_4arch9wavefront6targetE0EEEvT1_,@function
_ZN7rocprim17ROCPRIM_400000_NS6detail17trampoline_kernelINS0_14default_configENS1_29reduce_by_key_config_selectorIiiN6thrust23THRUST_200600_302600_NS4plusIiEEEEZZNS1_33reduce_by_key_impl_wrapped_configILNS1_25lookback_scan_determinismE0ES3_S9_NS6_6detail15normal_iteratorINS6_10device_ptrIiEEEESG_SG_SG_PmS8_22is_equal_div_10_reduceIiEEE10hipError_tPvRmT2_T3_mT4_T5_T6_T7_T8_P12ihipStream_tbENKUlT_T0_E_clISt17integral_constantIbLb1EES10_IbLb0EEEEDaSW_SX_EUlSW_E_NS1_11comp_targetILNS1_3genE5ELNS1_11target_archE942ELNS1_3gpuE9ELNS1_3repE0EEENS1_30default_config_static_selectorELNS0_4arch9wavefront6targetE0EEEvT1_: ; @_ZN7rocprim17ROCPRIM_400000_NS6detail17trampoline_kernelINS0_14default_configENS1_29reduce_by_key_config_selectorIiiN6thrust23THRUST_200600_302600_NS4plusIiEEEEZZNS1_33reduce_by_key_impl_wrapped_configILNS1_25lookback_scan_determinismE0ES3_S9_NS6_6detail15normal_iteratorINS6_10device_ptrIiEEEESG_SG_SG_PmS8_22is_equal_div_10_reduceIiEEE10hipError_tPvRmT2_T3_mT4_T5_T6_T7_T8_P12ihipStream_tbENKUlT_T0_E_clISt17integral_constantIbLb1EES10_IbLb0EEEEDaSW_SX_EUlSW_E_NS1_11comp_targetILNS1_3genE5ELNS1_11target_archE942ELNS1_3gpuE9ELNS1_3repE0EEENS1_30default_config_static_selectorELNS0_4arch9wavefront6targetE0EEEvT1_
; %bb.0:
	.section	.rodata,"a",@progbits
	.p2align	6, 0x0
	.amdhsa_kernel _ZN7rocprim17ROCPRIM_400000_NS6detail17trampoline_kernelINS0_14default_configENS1_29reduce_by_key_config_selectorIiiN6thrust23THRUST_200600_302600_NS4plusIiEEEEZZNS1_33reduce_by_key_impl_wrapped_configILNS1_25lookback_scan_determinismE0ES3_S9_NS6_6detail15normal_iteratorINS6_10device_ptrIiEEEESG_SG_SG_PmS8_22is_equal_div_10_reduceIiEEE10hipError_tPvRmT2_T3_mT4_T5_T6_T7_T8_P12ihipStream_tbENKUlT_T0_E_clISt17integral_constantIbLb1EES10_IbLb0EEEEDaSW_SX_EUlSW_E_NS1_11comp_targetILNS1_3genE5ELNS1_11target_archE942ELNS1_3gpuE9ELNS1_3repE0EEENS1_30default_config_static_selectorELNS0_4arch9wavefront6targetE0EEEvT1_
		.amdhsa_group_segment_fixed_size 0
		.amdhsa_private_segment_fixed_size 0
		.amdhsa_kernarg_size 120
		.amdhsa_user_sgpr_count 15
		.amdhsa_user_sgpr_dispatch_ptr 0
		.amdhsa_user_sgpr_queue_ptr 0
		.amdhsa_user_sgpr_kernarg_segment_ptr 1
		.amdhsa_user_sgpr_dispatch_id 0
		.amdhsa_user_sgpr_private_segment_size 0
		.amdhsa_wavefront_size32 1
		.amdhsa_uses_dynamic_stack 0
		.amdhsa_enable_private_segment 0
		.amdhsa_system_sgpr_workgroup_id_x 1
		.amdhsa_system_sgpr_workgroup_id_y 0
		.amdhsa_system_sgpr_workgroup_id_z 0
		.amdhsa_system_sgpr_workgroup_info 0
		.amdhsa_system_vgpr_workitem_id 0
		.amdhsa_next_free_vgpr 1
		.amdhsa_next_free_sgpr 1
		.amdhsa_reserve_vcc 0
		.amdhsa_float_round_mode_32 0
		.amdhsa_float_round_mode_16_64 0
		.amdhsa_float_denorm_mode_32 3
		.amdhsa_float_denorm_mode_16_64 3
		.amdhsa_dx10_clamp 1
		.amdhsa_ieee_mode 1
		.amdhsa_fp16_overflow 0
		.amdhsa_workgroup_processor_mode 1
		.amdhsa_memory_ordered 1
		.amdhsa_forward_progress 0
		.amdhsa_shared_vgpr_count 0
		.amdhsa_exception_fp_ieee_invalid_op 0
		.amdhsa_exception_fp_denorm_src 0
		.amdhsa_exception_fp_ieee_div_zero 0
		.amdhsa_exception_fp_ieee_overflow 0
		.amdhsa_exception_fp_ieee_underflow 0
		.amdhsa_exception_fp_ieee_inexact 0
		.amdhsa_exception_int_div_zero 0
	.end_amdhsa_kernel
	.section	.text._ZN7rocprim17ROCPRIM_400000_NS6detail17trampoline_kernelINS0_14default_configENS1_29reduce_by_key_config_selectorIiiN6thrust23THRUST_200600_302600_NS4plusIiEEEEZZNS1_33reduce_by_key_impl_wrapped_configILNS1_25lookback_scan_determinismE0ES3_S9_NS6_6detail15normal_iteratorINS6_10device_ptrIiEEEESG_SG_SG_PmS8_22is_equal_div_10_reduceIiEEE10hipError_tPvRmT2_T3_mT4_T5_T6_T7_T8_P12ihipStream_tbENKUlT_T0_E_clISt17integral_constantIbLb1EES10_IbLb0EEEEDaSW_SX_EUlSW_E_NS1_11comp_targetILNS1_3genE5ELNS1_11target_archE942ELNS1_3gpuE9ELNS1_3repE0EEENS1_30default_config_static_selectorELNS0_4arch9wavefront6targetE0EEEvT1_,"axG",@progbits,_ZN7rocprim17ROCPRIM_400000_NS6detail17trampoline_kernelINS0_14default_configENS1_29reduce_by_key_config_selectorIiiN6thrust23THRUST_200600_302600_NS4plusIiEEEEZZNS1_33reduce_by_key_impl_wrapped_configILNS1_25lookback_scan_determinismE0ES3_S9_NS6_6detail15normal_iteratorINS6_10device_ptrIiEEEESG_SG_SG_PmS8_22is_equal_div_10_reduceIiEEE10hipError_tPvRmT2_T3_mT4_T5_T6_T7_T8_P12ihipStream_tbENKUlT_T0_E_clISt17integral_constantIbLb1EES10_IbLb0EEEEDaSW_SX_EUlSW_E_NS1_11comp_targetILNS1_3genE5ELNS1_11target_archE942ELNS1_3gpuE9ELNS1_3repE0EEENS1_30default_config_static_selectorELNS0_4arch9wavefront6targetE0EEEvT1_,comdat
.Lfunc_end603:
	.size	_ZN7rocprim17ROCPRIM_400000_NS6detail17trampoline_kernelINS0_14default_configENS1_29reduce_by_key_config_selectorIiiN6thrust23THRUST_200600_302600_NS4plusIiEEEEZZNS1_33reduce_by_key_impl_wrapped_configILNS1_25lookback_scan_determinismE0ES3_S9_NS6_6detail15normal_iteratorINS6_10device_ptrIiEEEESG_SG_SG_PmS8_22is_equal_div_10_reduceIiEEE10hipError_tPvRmT2_T3_mT4_T5_T6_T7_T8_P12ihipStream_tbENKUlT_T0_E_clISt17integral_constantIbLb1EES10_IbLb0EEEEDaSW_SX_EUlSW_E_NS1_11comp_targetILNS1_3genE5ELNS1_11target_archE942ELNS1_3gpuE9ELNS1_3repE0EEENS1_30default_config_static_selectorELNS0_4arch9wavefront6targetE0EEEvT1_, .Lfunc_end603-_ZN7rocprim17ROCPRIM_400000_NS6detail17trampoline_kernelINS0_14default_configENS1_29reduce_by_key_config_selectorIiiN6thrust23THRUST_200600_302600_NS4plusIiEEEEZZNS1_33reduce_by_key_impl_wrapped_configILNS1_25lookback_scan_determinismE0ES3_S9_NS6_6detail15normal_iteratorINS6_10device_ptrIiEEEESG_SG_SG_PmS8_22is_equal_div_10_reduceIiEEE10hipError_tPvRmT2_T3_mT4_T5_T6_T7_T8_P12ihipStream_tbENKUlT_T0_E_clISt17integral_constantIbLb1EES10_IbLb0EEEEDaSW_SX_EUlSW_E_NS1_11comp_targetILNS1_3genE5ELNS1_11target_archE942ELNS1_3gpuE9ELNS1_3repE0EEENS1_30default_config_static_selectorELNS0_4arch9wavefront6targetE0EEEvT1_
                                        ; -- End function
	.section	.AMDGPU.csdata,"",@progbits
; Kernel info:
; codeLenInByte = 0
; NumSgprs: 0
; NumVgprs: 0
; ScratchSize: 0
; MemoryBound: 0
; FloatMode: 240
; IeeeMode: 1
; LDSByteSize: 0 bytes/workgroup (compile time only)
; SGPRBlocks: 0
; VGPRBlocks: 0
; NumSGPRsForWavesPerEU: 1
; NumVGPRsForWavesPerEU: 1
; Occupancy: 16
; WaveLimiterHint : 0
; COMPUTE_PGM_RSRC2:SCRATCH_EN: 0
; COMPUTE_PGM_RSRC2:USER_SGPR: 15
; COMPUTE_PGM_RSRC2:TRAP_HANDLER: 0
; COMPUTE_PGM_RSRC2:TGID_X_EN: 1
; COMPUTE_PGM_RSRC2:TGID_Y_EN: 0
; COMPUTE_PGM_RSRC2:TGID_Z_EN: 0
; COMPUTE_PGM_RSRC2:TIDIG_COMP_CNT: 0
	.section	.text._ZN7rocprim17ROCPRIM_400000_NS6detail17trampoline_kernelINS0_14default_configENS1_29reduce_by_key_config_selectorIiiN6thrust23THRUST_200600_302600_NS4plusIiEEEEZZNS1_33reduce_by_key_impl_wrapped_configILNS1_25lookback_scan_determinismE0ES3_S9_NS6_6detail15normal_iteratorINS6_10device_ptrIiEEEESG_SG_SG_PmS8_22is_equal_div_10_reduceIiEEE10hipError_tPvRmT2_T3_mT4_T5_T6_T7_T8_P12ihipStream_tbENKUlT_T0_E_clISt17integral_constantIbLb1EES10_IbLb0EEEEDaSW_SX_EUlSW_E_NS1_11comp_targetILNS1_3genE4ELNS1_11target_archE910ELNS1_3gpuE8ELNS1_3repE0EEENS1_30default_config_static_selectorELNS0_4arch9wavefront6targetE0EEEvT1_,"axG",@progbits,_ZN7rocprim17ROCPRIM_400000_NS6detail17trampoline_kernelINS0_14default_configENS1_29reduce_by_key_config_selectorIiiN6thrust23THRUST_200600_302600_NS4plusIiEEEEZZNS1_33reduce_by_key_impl_wrapped_configILNS1_25lookback_scan_determinismE0ES3_S9_NS6_6detail15normal_iteratorINS6_10device_ptrIiEEEESG_SG_SG_PmS8_22is_equal_div_10_reduceIiEEE10hipError_tPvRmT2_T3_mT4_T5_T6_T7_T8_P12ihipStream_tbENKUlT_T0_E_clISt17integral_constantIbLb1EES10_IbLb0EEEEDaSW_SX_EUlSW_E_NS1_11comp_targetILNS1_3genE4ELNS1_11target_archE910ELNS1_3gpuE8ELNS1_3repE0EEENS1_30default_config_static_selectorELNS0_4arch9wavefront6targetE0EEEvT1_,comdat
	.protected	_ZN7rocprim17ROCPRIM_400000_NS6detail17trampoline_kernelINS0_14default_configENS1_29reduce_by_key_config_selectorIiiN6thrust23THRUST_200600_302600_NS4plusIiEEEEZZNS1_33reduce_by_key_impl_wrapped_configILNS1_25lookback_scan_determinismE0ES3_S9_NS6_6detail15normal_iteratorINS6_10device_ptrIiEEEESG_SG_SG_PmS8_22is_equal_div_10_reduceIiEEE10hipError_tPvRmT2_T3_mT4_T5_T6_T7_T8_P12ihipStream_tbENKUlT_T0_E_clISt17integral_constantIbLb1EES10_IbLb0EEEEDaSW_SX_EUlSW_E_NS1_11comp_targetILNS1_3genE4ELNS1_11target_archE910ELNS1_3gpuE8ELNS1_3repE0EEENS1_30default_config_static_selectorELNS0_4arch9wavefront6targetE0EEEvT1_ ; -- Begin function _ZN7rocprim17ROCPRIM_400000_NS6detail17trampoline_kernelINS0_14default_configENS1_29reduce_by_key_config_selectorIiiN6thrust23THRUST_200600_302600_NS4plusIiEEEEZZNS1_33reduce_by_key_impl_wrapped_configILNS1_25lookback_scan_determinismE0ES3_S9_NS6_6detail15normal_iteratorINS6_10device_ptrIiEEEESG_SG_SG_PmS8_22is_equal_div_10_reduceIiEEE10hipError_tPvRmT2_T3_mT4_T5_T6_T7_T8_P12ihipStream_tbENKUlT_T0_E_clISt17integral_constantIbLb1EES10_IbLb0EEEEDaSW_SX_EUlSW_E_NS1_11comp_targetILNS1_3genE4ELNS1_11target_archE910ELNS1_3gpuE8ELNS1_3repE0EEENS1_30default_config_static_selectorELNS0_4arch9wavefront6targetE0EEEvT1_
	.globl	_ZN7rocprim17ROCPRIM_400000_NS6detail17trampoline_kernelINS0_14default_configENS1_29reduce_by_key_config_selectorIiiN6thrust23THRUST_200600_302600_NS4plusIiEEEEZZNS1_33reduce_by_key_impl_wrapped_configILNS1_25lookback_scan_determinismE0ES3_S9_NS6_6detail15normal_iteratorINS6_10device_ptrIiEEEESG_SG_SG_PmS8_22is_equal_div_10_reduceIiEEE10hipError_tPvRmT2_T3_mT4_T5_T6_T7_T8_P12ihipStream_tbENKUlT_T0_E_clISt17integral_constantIbLb1EES10_IbLb0EEEEDaSW_SX_EUlSW_E_NS1_11comp_targetILNS1_3genE4ELNS1_11target_archE910ELNS1_3gpuE8ELNS1_3repE0EEENS1_30default_config_static_selectorELNS0_4arch9wavefront6targetE0EEEvT1_
	.p2align	8
	.type	_ZN7rocprim17ROCPRIM_400000_NS6detail17trampoline_kernelINS0_14default_configENS1_29reduce_by_key_config_selectorIiiN6thrust23THRUST_200600_302600_NS4plusIiEEEEZZNS1_33reduce_by_key_impl_wrapped_configILNS1_25lookback_scan_determinismE0ES3_S9_NS6_6detail15normal_iteratorINS6_10device_ptrIiEEEESG_SG_SG_PmS8_22is_equal_div_10_reduceIiEEE10hipError_tPvRmT2_T3_mT4_T5_T6_T7_T8_P12ihipStream_tbENKUlT_T0_E_clISt17integral_constantIbLb1EES10_IbLb0EEEEDaSW_SX_EUlSW_E_NS1_11comp_targetILNS1_3genE4ELNS1_11target_archE910ELNS1_3gpuE8ELNS1_3repE0EEENS1_30default_config_static_selectorELNS0_4arch9wavefront6targetE0EEEvT1_,@function
_ZN7rocprim17ROCPRIM_400000_NS6detail17trampoline_kernelINS0_14default_configENS1_29reduce_by_key_config_selectorIiiN6thrust23THRUST_200600_302600_NS4plusIiEEEEZZNS1_33reduce_by_key_impl_wrapped_configILNS1_25lookback_scan_determinismE0ES3_S9_NS6_6detail15normal_iteratorINS6_10device_ptrIiEEEESG_SG_SG_PmS8_22is_equal_div_10_reduceIiEEE10hipError_tPvRmT2_T3_mT4_T5_T6_T7_T8_P12ihipStream_tbENKUlT_T0_E_clISt17integral_constantIbLb1EES10_IbLb0EEEEDaSW_SX_EUlSW_E_NS1_11comp_targetILNS1_3genE4ELNS1_11target_archE910ELNS1_3gpuE8ELNS1_3repE0EEENS1_30default_config_static_selectorELNS0_4arch9wavefront6targetE0EEEvT1_: ; @_ZN7rocprim17ROCPRIM_400000_NS6detail17trampoline_kernelINS0_14default_configENS1_29reduce_by_key_config_selectorIiiN6thrust23THRUST_200600_302600_NS4plusIiEEEEZZNS1_33reduce_by_key_impl_wrapped_configILNS1_25lookback_scan_determinismE0ES3_S9_NS6_6detail15normal_iteratorINS6_10device_ptrIiEEEESG_SG_SG_PmS8_22is_equal_div_10_reduceIiEEE10hipError_tPvRmT2_T3_mT4_T5_T6_T7_T8_P12ihipStream_tbENKUlT_T0_E_clISt17integral_constantIbLb1EES10_IbLb0EEEEDaSW_SX_EUlSW_E_NS1_11comp_targetILNS1_3genE4ELNS1_11target_archE910ELNS1_3gpuE8ELNS1_3repE0EEENS1_30default_config_static_selectorELNS0_4arch9wavefront6targetE0EEEvT1_
; %bb.0:
	.section	.rodata,"a",@progbits
	.p2align	6, 0x0
	.amdhsa_kernel _ZN7rocprim17ROCPRIM_400000_NS6detail17trampoline_kernelINS0_14default_configENS1_29reduce_by_key_config_selectorIiiN6thrust23THRUST_200600_302600_NS4plusIiEEEEZZNS1_33reduce_by_key_impl_wrapped_configILNS1_25lookback_scan_determinismE0ES3_S9_NS6_6detail15normal_iteratorINS6_10device_ptrIiEEEESG_SG_SG_PmS8_22is_equal_div_10_reduceIiEEE10hipError_tPvRmT2_T3_mT4_T5_T6_T7_T8_P12ihipStream_tbENKUlT_T0_E_clISt17integral_constantIbLb1EES10_IbLb0EEEEDaSW_SX_EUlSW_E_NS1_11comp_targetILNS1_3genE4ELNS1_11target_archE910ELNS1_3gpuE8ELNS1_3repE0EEENS1_30default_config_static_selectorELNS0_4arch9wavefront6targetE0EEEvT1_
		.amdhsa_group_segment_fixed_size 0
		.amdhsa_private_segment_fixed_size 0
		.amdhsa_kernarg_size 120
		.amdhsa_user_sgpr_count 15
		.amdhsa_user_sgpr_dispatch_ptr 0
		.amdhsa_user_sgpr_queue_ptr 0
		.amdhsa_user_sgpr_kernarg_segment_ptr 1
		.amdhsa_user_sgpr_dispatch_id 0
		.amdhsa_user_sgpr_private_segment_size 0
		.amdhsa_wavefront_size32 1
		.amdhsa_uses_dynamic_stack 0
		.amdhsa_enable_private_segment 0
		.amdhsa_system_sgpr_workgroup_id_x 1
		.amdhsa_system_sgpr_workgroup_id_y 0
		.amdhsa_system_sgpr_workgroup_id_z 0
		.amdhsa_system_sgpr_workgroup_info 0
		.amdhsa_system_vgpr_workitem_id 0
		.amdhsa_next_free_vgpr 1
		.amdhsa_next_free_sgpr 1
		.amdhsa_reserve_vcc 0
		.amdhsa_float_round_mode_32 0
		.amdhsa_float_round_mode_16_64 0
		.amdhsa_float_denorm_mode_32 3
		.amdhsa_float_denorm_mode_16_64 3
		.amdhsa_dx10_clamp 1
		.amdhsa_ieee_mode 1
		.amdhsa_fp16_overflow 0
		.amdhsa_workgroup_processor_mode 1
		.amdhsa_memory_ordered 1
		.amdhsa_forward_progress 0
		.amdhsa_shared_vgpr_count 0
		.amdhsa_exception_fp_ieee_invalid_op 0
		.amdhsa_exception_fp_denorm_src 0
		.amdhsa_exception_fp_ieee_div_zero 0
		.amdhsa_exception_fp_ieee_overflow 0
		.amdhsa_exception_fp_ieee_underflow 0
		.amdhsa_exception_fp_ieee_inexact 0
		.amdhsa_exception_int_div_zero 0
	.end_amdhsa_kernel
	.section	.text._ZN7rocprim17ROCPRIM_400000_NS6detail17trampoline_kernelINS0_14default_configENS1_29reduce_by_key_config_selectorIiiN6thrust23THRUST_200600_302600_NS4plusIiEEEEZZNS1_33reduce_by_key_impl_wrapped_configILNS1_25lookback_scan_determinismE0ES3_S9_NS6_6detail15normal_iteratorINS6_10device_ptrIiEEEESG_SG_SG_PmS8_22is_equal_div_10_reduceIiEEE10hipError_tPvRmT2_T3_mT4_T5_T6_T7_T8_P12ihipStream_tbENKUlT_T0_E_clISt17integral_constantIbLb1EES10_IbLb0EEEEDaSW_SX_EUlSW_E_NS1_11comp_targetILNS1_3genE4ELNS1_11target_archE910ELNS1_3gpuE8ELNS1_3repE0EEENS1_30default_config_static_selectorELNS0_4arch9wavefront6targetE0EEEvT1_,"axG",@progbits,_ZN7rocprim17ROCPRIM_400000_NS6detail17trampoline_kernelINS0_14default_configENS1_29reduce_by_key_config_selectorIiiN6thrust23THRUST_200600_302600_NS4plusIiEEEEZZNS1_33reduce_by_key_impl_wrapped_configILNS1_25lookback_scan_determinismE0ES3_S9_NS6_6detail15normal_iteratorINS6_10device_ptrIiEEEESG_SG_SG_PmS8_22is_equal_div_10_reduceIiEEE10hipError_tPvRmT2_T3_mT4_T5_T6_T7_T8_P12ihipStream_tbENKUlT_T0_E_clISt17integral_constantIbLb1EES10_IbLb0EEEEDaSW_SX_EUlSW_E_NS1_11comp_targetILNS1_3genE4ELNS1_11target_archE910ELNS1_3gpuE8ELNS1_3repE0EEENS1_30default_config_static_selectorELNS0_4arch9wavefront6targetE0EEEvT1_,comdat
.Lfunc_end604:
	.size	_ZN7rocprim17ROCPRIM_400000_NS6detail17trampoline_kernelINS0_14default_configENS1_29reduce_by_key_config_selectorIiiN6thrust23THRUST_200600_302600_NS4plusIiEEEEZZNS1_33reduce_by_key_impl_wrapped_configILNS1_25lookback_scan_determinismE0ES3_S9_NS6_6detail15normal_iteratorINS6_10device_ptrIiEEEESG_SG_SG_PmS8_22is_equal_div_10_reduceIiEEE10hipError_tPvRmT2_T3_mT4_T5_T6_T7_T8_P12ihipStream_tbENKUlT_T0_E_clISt17integral_constantIbLb1EES10_IbLb0EEEEDaSW_SX_EUlSW_E_NS1_11comp_targetILNS1_3genE4ELNS1_11target_archE910ELNS1_3gpuE8ELNS1_3repE0EEENS1_30default_config_static_selectorELNS0_4arch9wavefront6targetE0EEEvT1_, .Lfunc_end604-_ZN7rocprim17ROCPRIM_400000_NS6detail17trampoline_kernelINS0_14default_configENS1_29reduce_by_key_config_selectorIiiN6thrust23THRUST_200600_302600_NS4plusIiEEEEZZNS1_33reduce_by_key_impl_wrapped_configILNS1_25lookback_scan_determinismE0ES3_S9_NS6_6detail15normal_iteratorINS6_10device_ptrIiEEEESG_SG_SG_PmS8_22is_equal_div_10_reduceIiEEE10hipError_tPvRmT2_T3_mT4_T5_T6_T7_T8_P12ihipStream_tbENKUlT_T0_E_clISt17integral_constantIbLb1EES10_IbLb0EEEEDaSW_SX_EUlSW_E_NS1_11comp_targetILNS1_3genE4ELNS1_11target_archE910ELNS1_3gpuE8ELNS1_3repE0EEENS1_30default_config_static_selectorELNS0_4arch9wavefront6targetE0EEEvT1_
                                        ; -- End function
	.section	.AMDGPU.csdata,"",@progbits
; Kernel info:
; codeLenInByte = 0
; NumSgprs: 0
; NumVgprs: 0
; ScratchSize: 0
; MemoryBound: 0
; FloatMode: 240
; IeeeMode: 1
; LDSByteSize: 0 bytes/workgroup (compile time only)
; SGPRBlocks: 0
; VGPRBlocks: 0
; NumSGPRsForWavesPerEU: 1
; NumVGPRsForWavesPerEU: 1
; Occupancy: 16
; WaveLimiterHint : 0
; COMPUTE_PGM_RSRC2:SCRATCH_EN: 0
; COMPUTE_PGM_RSRC2:USER_SGPR: 15
; COMPUTE_PGM_RSRC2:TRAP_HANDLER: 0
; COMPUTE_PGM_RSRC2:TGID_X_EN: 1
; COMPUTE_PGM_RSRC2:TGID_Y_EN: 0
; COMPUTE_PGM_RSRC2:TGID_Z_EN: 0
; COMPUTE_PGM_RSRC2:TIDIG_COMP_CNT: 0
	.section	.text._ZN7rocprim17ROCPRIM_400000_NS6detail17trampoline_kernelINS0_14default_configENS1_29reduce_by_key_config_selectorIiiN6thrust23THRUST_200600_302600_NS4plusIiEEEEZZNS1_33reduce_by_key_impl_wrapped_configILNS1_25lookback_scan_determinismE0ES3_S9_NS6_6detail15normal_iteratorINS6_10device_ptrIiEEEESG_SG_SG_PmS8_22is_equal_div_10_reduceIiEEE10hipError_tPvRmT2_T3_mT4_T5_T6_T7_T8_P12ihipStream_tbENKUlT_T0_E_clISt17integral_constantIbLb1EES10_IbLb0EEEEDaSW_SX_EUlSW_E_NS1_11comp_targetILNS1_3genE3ELNS1_11target_archE908ELNS1_3gpuE7ELNS1_3repE0EEENS1_30default_config_static_selectorELNS0_4arch9wavefront6targetE0EEEvT1_,"axG",@progbits,_ZN7rocprim17ROCPRIM_400000_NS6detail17trampoline_kernelINS0_14default_configENS1_29reduce_by_key_config_selectorIiiN6thrust23THRUST_200600_302600_NS4plusIiEEEEZZNS1_33reduce_by_key_impl_wrapped_configILNS1_25lookback_scan_determinismE0ES3_S9_NS6_6detail15normal_iteratorINS6_10device_ptrIiEEEESG_SG_SG_PmS8_22is_equal_div_10_reduceIiEEE10hipError_tPvRmT2_T3_mT4_T5_T6_T7_T8_P12ihipStream_tbENKUlT_T0_E_clISt17integral_constantIbLb1EES10_IbLb0EEEEDaSW_SX_EUlSW_E_NS1_11comp_targetILNS1_3genE3ELNS1_11target_archE908ELNS1_3gpuE7ELNS1_3repE0EEENS1_30default_config_static_selectorELNS0_4arch9wavefront6targetE0EEEvT1_,comdat
	.protected	_ZN7rocprim17ROCPRIM_400000_NS6detail17trampoline_kernelINS0_14default_configENS1_29reduce_by_key_config_selectorIiiN6thrust23THRUST_200600_302600_NS4plusIiEEEEZZNS1_33reduce_by_key_impl_wrapped_configILNS1_25lookback_scan_determinismE0ES3_S9_NS6_6detail15normal_iteratorINS6_10device_ptrIiEEEESG_SG_SG_PmS8_22is_equal_div_10_reduceIiEEE10hipError_tPvRmT2_T3_mT4_T5_T6_T7_T8_P12ihipStream_tbENKUlT_T0_E_clISt17integral_constantIbLb1EES10_IbLb0EEEEDaSW_SX_EUlSW_E_NS1_11comp_targetILNS1_3genE3ELNS1_11target_archE908ELNS1_3gpuE7ELNS1_3repE0EEENS1_30default_config_static_selectorELNS0_4arch9wavefront6targetE0EEEvT1_ ; -- Begin function _ZN7rocprim17ROCPRIM_400000_NS6detail17trampoline_kernelINS0_14default_configENS1_29reduce_by_key_config_selectorIiiN6thrust23THRUST_200600_302600_NS4plusIiEEEEZZNS1_33reduce_by_key_impl_wrapped_configILNS1_25lookback_scan_determinismE0ES3_S9_NS6_6detail15normal_iteratorINS6_10device_ptrIiEEEESG_SG_SG_PmS8_22is_equal_div_10_reduceIiEEE10hipError_tPvRmT2_T3_mT4_T5_T6_T7_T8_P12ihipStream_tbENKUlT_T0_E_clISt17integral_constantIbLb1EES10_IbLb0EEEEDaSW_SX_EUlSW_E_NS1_11comp_targetILNS1_3genE3ELNS1_11target_archE908ELNS1_3gpuE7ELNS1_3repE0EEENS1_30default_config_static_selectorELNS0_4arch9wavefront6targetE0EEEvT1_
	.globl	_ZN7rocprim17ROCPRIM_400000_NS6detail17trampoline_kernelINS0_14default_configENS1_29reduce_by_key_config_selectorIiiN6thrust23THRUST_200600_302600_NS4plusIiEEEEZZNS1_33reduce_by_key_impl_wrapped_configILNS1_25lookback_scan_determinismE0ES3_S9_NS6_6detail15normal_iteratorINS6_10device_ptrIiEEEESG_SG_SG_PmS8_22is_equal_div_10_reduceIiEEE10hipError_tPvRmT2_T3_mT4_T5_T6_T7_T8_P12ihipStream_tbENKUlT_T0_E_clISt17integral_constantIbLb1EES10_IbLb0EEEEDaSW_SX_EUlSW_E_NS1_11comp_targetILNS1_3genE3ELNS1_11target_archE908ELNS1_3gpuE7ELNS1_3repE0EEENS1_30default_config_static_selectorELNS0_4arch9wavefront6targetE0EEEvT1_
	.p2align	8
	.type	_ZN7rocprim17ROCPRIM_400000_NS6detail17trampoline_kernelINS0_14default_configENS1_29reduce_by_key_config_selectorIiiN6thrust23THRUST_200600_302600_NS4plusIiEEEEZZNS1_33reduce_by_key_impl_wrapped_configILNS1_25lookback_scan_determinismE0ES3_S9_NS6_6detail15normal_iteratorINS6_10device_ptrIiEEEESG_SG_SG_PmS8_22is_equal_div_10_reduceIiEEE10hipError_tPvRmT2_T3_mT4_T5_T6_T7_T8_P12ihipStream_tbENKUlT_T0_E_clISt17integral_constantIbLb1EES10_IbLb0EEEEDaSW_SX_EUlSW_E_NS1_11comp_targetILNS1_3genE3ELNS1_11target_archE908ELNS1_3gpuE7ELNS1_3repE0EEENS1_30default_config_static_selectorELNS0_4arch9wavefront6targetE0EEEvT1_,@function
_ZN7rocprim17ROCPRIM_400000_NS6detail17trampoline_kernelINS0_14default_configENS1_29reduce_by_key_config_selectorIiiN6thrust23THRUST_200600_302600_NS4plusIiEEEEZZNS1_33reduce_by_key_impl_wrapped_configILNS1_25lookback_scan_determinismE0ES3_S9_NS6_6detail15normal_iteratorINS6_10device_ptrIiEEEESG_SG_SG_PmS8_22is_equal_div_10_reduceIiEEE10hipError_tPvRmT2_T3_mT4_T5_T6_T7_T8_P12ihipStream_tbENKUlT_T0_E_clISt17integral_constantIbLb1EES10_IbLb0EEEEDaSW_SX_EUlSW_E_NS1_11comp_targetILNS1_3genE3ELNS1_11target_archE908ELNS1_3gpuE7ELNS1_3repE0EEENS1_30default_config_static_selectorELNS0_4arch9wavefront6targetE0EEEvT1_: ; @_ZN7rocprim17ROCPRIM_400000_NS6detail17trampoline_kernelINS0_14default_configENS1_29reduce_by_key_config_selectorIiiN6thrust23THRUST_200600_302600_NS4plusIiEEEEZZNS1_33reduce_by_key_impl_wrapped_configILNS1_25lookback_scan_determinismE0ES3_S9_NS6_6detail15normal_iteratorINS6_10device_ptrIiEEEESG_SG_SG_PmS8_22is_equal_div_10_reduceIiEEE10hipError_tPvRmT2_T3_mT4_T5_T6_T7_T8_P12ihipStream_tbENKUlT_T0_E_clISt17integral_constantIbLb1EES10_IbLb0EEEEDaSW_SX_EUlSW_E_NS1_11comp_targetILNS1_3genE3ELNS1_11target_archE908ELNS1_3gpuE7ELNS1_3repE0EEENS1_30default_config_static_selectorELNS0_4arch9wavefront6targetE0EEEvT1_
; %bb.0:
	.section	.rodata,"a",@progbits
	.p2align	6, 0x0
	.amdhsa_kernel _ZN7rocprim17ROCPRIM_400000_NS6detail17trampoline_kernelINS0_14default_configENS1_29reduce_by_key_config_selectorIiiN6thrust23THRUST_200600_302600_NS4plusIiEEEEZZNS1_33reduce_by_key_impl_wrapped_configILNS1_25lookback_scan_determinismE0ES3_S9_NS6_6detail15normal_iteratorINS6_10device_ptrIiEEEESG_SG_SG_PmS8_22is_equal_div_10_reduceIiEEE10hipError_tPvRmT2_T3_mT4_T5_T6_T7_T8_P12ihipStream_tbENKUlT_T0_E_clISt17integral_constantIbLb1EES10_IbLb0EEEEDaSW_SX_EUlSW_E_NS1_11comp_targetILNS1_3genE3ELNS1_11target_archE908ELNS1_3gpuE7ELNS1_3repE0EEENS1_30default_config_static_selectorELNS0_4arch9wavefront6targetE0EEEvT1_
		.amdhsa_group_segment_fixed_size 0
		.amdhsa_private_segment_fixed_size 0
		.amdhsa_kernarg_size 120
		.amdhsa_user_sgpr_count 15
		.amdhsa_user_sgpr_dispatch_ptr 0
		.amdhsa_user_sgpr_queue_ptr 0
		.amdhsa_user_sgpr_kernarg_segment_ptr 1
		.amdhsa_user_sgpr_dispatch_id 0
		.amdhsa_user_sgpr_private_segment_size 0
		.amdhsa_wavefront_size32 1
		.amdhsa_uses_dynamic_stack 0
		.amdhsa_enable_private_segment 0
		.amdhsa_system_sgpr_workgroup_id_x 1
		.amdhsa_system_sgpr_workgroup_id_y 0
		.amdhsa_system_sgpr_workgroup_id_z 0
		.amdhsa_system_sgpr_workgroup_info 0
		.amdhsa_system_vgpr_workitem_id 0
		.amdhsa_next_free_vgpr 1
		.amdhsa_next_free_sgpr 1
		.amdhsa_reserve_vcc 0
		.amdhsa_float_round_mode_32 0
		.amdhsa_float_round_mode_16_64 0
		.amdhsa_float_denorm_mode_32 3
		.amdhsa_float_denorm_mode_16_64 3
		.amdhsa_dx10_clamp 1
		.amdhsa_ieee_mode 1
		.amdhsa_fp16_overflow 0
		.amdhsa_workgroup_processor_mode 1
		.amdhsa_memory_ordered 1
		.amdhsa_forward_progress 0
		.amdhsa_shared_vgpr_count 0
		.amdhsa_exception_fp_ieee_invalid_op 0
		.amdhsa_exception_fp_denorm_src 0
		.amdhsa_exception_fp_ieee_div_zero 0
		.amdhsa_exception_fp_ieee_overflow 0
		.amdhsa_exception_fp_ieee_underflow 0
		.amdhsa_exception_fp_ieee_inexact 0
		.amdhsa_exception_int_div_zero 0
	.end_amdhsa_kernel
	.section	.text._ZN7rocprim17ROCPRIM_400000_NS6detail17trampoline_kernelINS0_14default_configENS1_29reduce_by_key_config_selectorIiiN6thrust23THRUST_200600_302600_NS4plusIiEEEEZZNS1_33reduce_by_key_impl_wrapped_configILNS1_25lookback_scan_determinismE0ES3_S9_NS6_6detail15normal_iteratorINS6_10device_ptrIiEEEESG_SG_SG_PmS8_22is_equal_div_10_reduceIiEEE10hipError_tPvRmT2_T3_mT4_T5_T6_T7_T8_P12ihipStream_tbENKUlT_T0_E_clISt17integral_constantIbLb1EES10_IbLb0EEEEDaSW_SX_EUlSW_E_NS1_11comp_targetILNS1_3genE3ELNS1_11target_archE908ELNS1_3gpuE7ELNS1_3repE0EEENS1_30default_config_static_selectorELNS0_4arch9wavefront6targetE0EEEvT1_,"axG",@progbits,_ZN7rocprim17ROCPRIM_400000_NS6detail17trampoline_kernelINS0_14default_configENS1_29reduce_by_key_config_selectorIiiN6thrust23THRUST_200600_302600_NS4plusIiEEEEZZNS1_33reduce_by_key_impl_wrapped_configILNS1_25lookback_scan_determinismE0ES3_S9_NS6_6detail15normal_iteratorINS6_10device_ptrIiEEEESG_SG_SG_PmS8_22is_equal_div_10_reduceIiEEE10hipError_tPvRmT2_T3_mT4_T5_T6_T7_T8_P12ihipStream_tbENKUlT_T0_E_clISt17integral_constantIbLb1EES10_IbLb0EEEEDaSW_SX_EUlSW_E_NS1_11comp_targetILNS1_3genE3ELNS1_11target_archE908ELNS1_3gpuE7ELNS1_3repE0EEENS1_30default_config_static_selectorELNS0_4arch9wavefront6targetE0EEEvT1_,comdat
.Lfunc_end605:
	.size	_ZN7rocprim17ROCPRIM_400000_NS6detail17trampoline_kernelINS0_14default_configENS1_29reduce_by_key_config_selectorIiiN6thrust23THRUST_200600_302600_NS4plusIiEEEEZZNS1_33reduce_by_key_impl_wrapped_configILNS1_25lookback_scan_determinismE0ES3_S9_NS6_6detail15normal_iteratorINS6_10device_ptrIiEEEESG_SG_SG_PmS8_22is_equal_div_10_reduceIiEEE10hipError_tPvRmT2_T3_mT4_T5_T6_T7_T8_P12ihipStream_tbENKUlT_T0_E_clISt17integral_constantIbLb1EES10_IbLb0EEEEDaSW_SX_EUlSW_E_NS1_11comp_targetILNS1_3genE3ELNS1_11target_archE908ELNS1_3gpuE7ELNS1_3repE0EEENS1_30default_config_static_selectorELNS0_4arch9wavefront6targetE0EEEvT1_, .Lfunc_end605-_ZN7rocprim17ROCPRIM_400000_NS6detail17trampoline_kernelINS0_14default_configENS1_29reduce_by_key_config_selectorIiiN6thrust23THRUST_200600_302600_NS4plusIiEEEEZZNS1_33reduce_by_key_impl_wrapped_configILNS1_25lookback_scan_determinismE0ES3_S9_NS6_6detail15normal_iteratorINS6_10device_ptrIiEEEESG_SG_SG_PmS8_22is_equal_div_10_reduceIiEEE10hipError_tPvRmT2_T3_mT4_T5_T6_T7_T8_P12ihipStream_tbENKUlT_T0_E_clISt17integral_constantIbLb1EES10_IbLb0EEEEDaSW_SX_EUlSW_E_NS1_11comp_targetILNS1_3genE3ELNS1_11target_archE908ELNS1_3gpuE7ELNS1_3repE0EEENS1_30default_config_static_selectorELNS0_4arch9wavefront6targetE0EEEvT1_
                                        ; -- End function
	.section	.AMDGPU.csdata,"",@progbits
; Kernel info:
; codeLenInByte = 0
; NumSgprs: 0
; NumVgprs: 0
; ScratchSize: 0
; MemoryBound: 0
; FloatMode: 240
; IeeeMode: 1
; LDSByteSize: 0 bytes/workgroup (compile time only)
; SGPRBlocks: 0
; VGPRBlocks: 0
; NumSGPRsForWavesPerEU: 1
; NumVGPRsForWavesPerEU: 1
; Occupancy: 16
; WaveLimiterHint : 0
; COMPUTE_PGM_RSRC2:SCRATCH_EN: 0
; COMPUTE_PGM_RSRC2:USER_SGPR: 15
; COMPUTE_PGM_RSRC2:TRAP_HANDLER: 0
; COMPUTE_PGM_RSRC2:TGID_X_EN: 1
; COMPUTE_PGM_RSRC2:TGID_Y_EN: 0
; COMPUTE_PGM_RSRC2:TGID_Z_EN: 0
; COMPUTE_PGM_RSRC2:TIDIG_COMP_CNT: 0
	.section	.text._ZN7rocprim17ROCPRIM_400000_NS6detail17trampoline_kernelINS0_14default_configENS1_29reduce_by_key_config_selectorIiiN6thrust23THRUST_200600_302600_NS4plusIiEEEEZZNS1_33reduce_by_key_impl_wrapped_configILNS1_25lookback_scan_determinismE0ES3_S9_NS6_6detail15normal_iteratorINS6_10device_ptrIiEEEESG_SG_SG_PmS8_22is_equal_div_10_reduceIiEEE10hipError_tPvRmT2_T3_mT4_T5_T6_T7_T8_P12ihipStream_tbENKUlT_T0_E_clISt17integral_constantIbLb1EES10_IbLb0EEEEDaSW_SX_EUlSW_E_NS1_11comp_targetILNS1_3genE2ELNS1_11target_archE906ELNS1_3gpuE6ELNS1_3repE0EEENS1_30default_config_static_selectorELNS0_4arch9wavefront6targetE0EEEvT1_,"axG",@progbits,_ZN7rocprim17ROCPRIM_400000_NS6detail17trampoline_kernelINS0_14default_configENS1_29reduce_by_key_config_selectorIiiN6thrust23THRUST_200600_302600_NS4plusIiEEEEZZNS1_33reduce_by_key_impl_wrapped_configILNS1_25lookback_scan_determinismE0ES3_S9_NS6_6detail15normal_iteratorINS6_10device_ptrIiEEEESG_SG_SG_PmS8_22is_equal_div_10_reduceIiEEE10hipError_tPvRmT2_T3_mT4_T5_T6_T7_T8_P12ihipStream_tbENKUlT_T0_E_clISt17integral_constantIbLb1EES10_IbLb0EEEEDaSW_SX_EUlSW_E_NS1_11comp_targetILNS1_3genE2ELNS1_11target_archE906ELNS1_3gpuE6ELNS1_3repE0EEENS1_30default_config_static_selectorELNS0_4arch9wavefront6targetE0EEEvT1_,comdat
	.protected	_ZN7rocprim17ROCPRIM_400000_NS6detail17trampoline_kernelINS0_14default_configENS1_29reduce_by_key_config_selectorIiiN6thrust23THRUST_200600_302600_NS4plusIiEEEEZZNS1_33reduce_by_key_impl_wrapped_configILNS1_25lookback_scan_determinismE0ES3_S9_NS6_6detail15normal_iteratorINS6_10device_ptrIiEEEESG_SG_SG_PmS8_22is_equal_div_10_reduceIiEEE10hipError_tPvRmT2_T3_mT4_T5_T6_T7_T8_P12ihipStream_tbENKUlT_T0_E_clISt17integral_constantIbLb1EES10_IbLb0EEEEDaSW_SX_EUlSW_E_NS1_11comp_targetILNS1_3genE2ELNS1_11target_archE906ELNS1_3gpuE6ELNS1_3repE0EEENS1_30default_config_static_selectorELNS0_4arch9wavefront6targetE0EEEvT1_ ; -- Begin function _ZN7rocprim17ROCPRIM_400000_NS6detail17trampoline_kernelINS0_14default_configENS1_29reduce_by_key_config_selectorIiiN6thrust23THRUST_200600_302600_NS4plusIiEEEEZZNS1_33reduce_by_key_impl_wrapped_configILNS1_25lookback_scan_determinismE0ES3_S9_NS6_6detail15normal_iteratorINS6_10device_ptrIiEEEESG_SG_SG_PmS8_22is_equal_div_10_reduceIiEEE10hipError_tPvRmT2_T3_mT4_T5_T6_T7_T8_P12ihipStream_tbENKUlT_T0_E_clISt17integral_constantIbLb1EES10_IbLb0EEEEDaSW_SX_EUlSW_E_NS1_11comp_targetILNS1_3genE2ELNS1_11target_archE906ELNS1_3gpuE6ELNS1_3repE0EEENS1_30default_config_static_selectorELNS0_4arch9wavefront6targetE0EEEvT1_
	.globl	_ZN7rocprim17ROCPRIM_400000_NS6detail17trampoline_kernelINS0_14default_configENS1_29reduce_by_key_config_selectorIiiN6thrust23THRUST_200600_302600_NS4plusIiEEEEZZNS1_33reduce_by_key_impl_wrapped_configILNS1_25lookback_scan_determinismE0ES3_S9_NS6_6detail15normal_iteratorINS6_10device_ptrIiEEEESG_SG_SG_PmS8_22is_equal_div_10_reduceIiEEE10hipError_tPvRmT2_T3_mT4_T5_T6_T7_T8_P12ihipStream_tbENKUlT_T0_E_clISt17integral_constantIbLb1EES10_IbLb0EEEEDaSW_SX_EUlSW_E_NS1_11comp_targetILNS1_3genE2ELNS1_11target_archE906ELNS1_3gpuE6ELNS1_3repE0EEENS1_30default_config_static_selectorELNS0_4arch9wavefront6targetE0EEEvT1_
	.p2align	8
	.type	_ZN7rocprim17ROCPRIM_400000_NS6detail17trampoline_kernelINS0_14default_configENS1_29reduce_by_key_config_selectorIiiN6thrust23THRUST_200600_302600_NS4plusIiEEEEZZNS1_33reduce_by_key_impl_wrapped_configILNS1_25lookback_scan_determinismE0ES3_S9_NS6_6detail15normal_iteratorINS6_10device_ptrIiEEEESG_SG_SG_PmS8_22is_equal_div_10_reduceIiEEE10hipError_tPvRmT2_T3_mT4_T5_T6_T7_T8_P12ihipStream_tbENKUlT_T0_E_clISt17integral_constantIbLb1EES10_IbLb0EEEEDaSW_SX_EUlSW_E_NS1_11comp_targetILNS1_3genE2ELNS1_11target_archE906ELNS1_3gpuE6ELNS1_3repE0EEENS1_30default_config_static_selectorELNS0_4arch9wavefront6targetE0EEEvT1_,@function
_ZN7rocprim17ROCPRIM_400000_NS6detail17trampoline_kernelINS0_14default_configENS1_29reduce_by_key_config_selectorIiiN6thrust23THRUST_200600_302600_NS4plusIiEEEEZZNS1_33reduce_by_key_impl_wrapped_configILNS1_25lookback_scan_determinismE0ES3_S9_NS6_6detail15normal_iteratorINS6_10device_ptrIiEEEESG_SG_SG_PmS8_22is_equal_div_10_reduceIiEEE10hipError_tPvRmT2_T3_mT4_T5_T6_T7_T8_P12ihipStream_tbENKUlT_T0_E_clISt17integral_constantIbLb1EES10_IbLb0EEEEDaSW_SX_EUlSW_E_NS1_11comp_targetILNS1_3genE2ELNS1_11target_archE906ELNS1_3gpuE6ELNS1_3repE0EEENS1_30default_config_static_selectorELNS0_4arch9wavefront6targetE0EEEvT1_: ; @_ZN7rocprim17ROCPRIM_400000_NS6detail17trampoline_kernelINS0_14default_configENS1_29reduce_by_key_config_selectorIiiN6thrust23THRUST_200600_302600_NS4plusIiEEEEZZNS1_33reduce_by_key_impl_wrapped_configILNS1_25lookback_scan_determinismE0ES3_S9_NS6_6detail15normal_iteratorINS6_10device_ptrIiEEEESG_SG_SG_PmS8_22is_equal_div_10_reduceIiEEE10hipError_tPvRmT2_T3_mT4_T5_T6_T7_T8_P12ihipStream_tbENKUlT_T0_E_clISt17integral_constantIbLb1EES10_IbLb0EEEEDaSW_SX_EUlSW_E_NS1_11comp_targetILNS1_3genE2ELNS1_11target_archE906ELNS1_3gpuE6ELNS1_3repE0EEENS1_30default_config_static_selectorELNS0_4arch9wavefront6targetE0EEEvT1_
; %bb.0:
	.section	.rodata,"a",@progbits
	.p2align	6, 0x0
	.amdhsa_kernel _ZN7rocprim17ROCPRIM_400000_NS6detail17trampoline_kernelINS0_14default_configENS1_29reduce_by_key_config_selectorIiiN6thrust23THRUST_200600_302600_NS4plusIiEEEEZZNS1_33reduce_by_key_impl_wrapped_configILNS1_25lookback_scan_determinismE0ES3_S9_NS6_6detail15normal_iteratorINS6_10device_ptrIiEEEESG_SG_SG_PmS8_22is_equal_div_10_reduceIiEEE10hipError_tPvRmT2_T3_mT4_T5_T6_T7_T8_P12ihipStream_tbENKUlT_T0_E_clISt17integral_constantIbLb1EES10_IbLb0EEEEDaSW_SX_EUlSW_E_NS1_11comp_targetILNS1_3genE2ELNS1_11target_archE906ELNS1_3gpuE6ELNS1_3repE0EEENS1_30default_config_static_selectorELNS0_4arch9wavefront6targetE0EEEvT1_
		.amdhsa_group_segment_fixed_size 0
		.amdhsa_private_segment_fixed_size 0
		.amdhsa_kernarg_size 120
		.amdhsa_user_sgpr_count 15
		.amdhsa_user_sgpr_dispatch_ptr 0
		.amdhsa_user_sgpr_queue_ptr 0
		.amdhsa_user_sgpr_kernarg_segment_ptr 1
		.amdhsa_user_sgpr_dispatch_id 0
		.amdhsa_user_sgpr_private_segment_size 0
		.amdhsa_wavefront_size32 1
		.amdhsa_uses_dynamic_stack 0
		.amdhsa_enable_private_segment 0
		.amdhsa_system_sgpr_workgroup_id_x 1
		.amdhsa_system_sgpr_workgroup_id_y 0
		.amdhsa_system_sgpr_workgroup_id_z 0
		.amdhsa_system_sgpr_workgroup_info 0
		.amdhsa_system_vgpr_workitem_id 0
		.amdhsa_next_free_vgpr 1
		.amdhsa_next_free_sgpr 1
		.amdhsa_reserve_vcc 0
		.amdhsa_float_round_mode_32 0
		.amdhsa_float_round_mode_16_64 0
		.amdhsa_float_denorm_mode_32 3
		.amdhsa_float_denorm_mode_16_64 3
		.amdhsa_dx10_clamp 1
		.amdhsa_ieee_mode 1
		.amdhsa_fp16_overflow 0
		.amdhsa_workgroup_processor_mode 1
		.amdhsa_memory_ordered 1
		.amdhsa_forward_progress 0
		.amdhsa_shared_vgpr_count 0
		.amdhsa_exception_fp_ieee_invalid_op 0
		.amdhsa_exception_fp_denorm_src 0
		.amdhsa_exception_fp_ieee_div_zero 0
		.amdhsa_exception_fp_ieee_overflow 0
		.amdhsa_exception_fp_ieee_underflow 0
		.amdhsa_exception_fp_ieee_inexact 0
		.amdhsa_exception_int_div_zero 0
	.end_amdhsa_kernel
	.section	.text._ZN7rocprim17ROCPRIM_400000_NS6detail17trampoline_kernelINS0_14default_configENS1_29reduce_by_key_config_selectorIiiN6thrust23THRUST_200600_302600_NS4plusIiEEEEZZNS1_33reduce_by_key_impl_wrapped_configILNS1_25lookback_scan_determinismE0ES3_S9_NS6_6detail15normal_iteratorINS6_10device_ptrIiEEEESG_SG_SG_PmS8_22is_equal_div_10_reduceIiEEE10hipError_tPvRmT2_T3_mT4_T5_T6_T7_T8_P12ihipStream_tbENKUlT_T0_E_clISt17integral_constantIbLb1EES10_IbLb0EEEEDaSW_SX_EUlSW_E_NS1_11comp_targetILNS1_3genE2ELNS1_11target_archE906ELNS1_3gpuE6ELNS1_3repE0EEENS1_30default_config_static_selectorELNS0_4arch9wavefront6targetE0EEEvT1_,"axG",@progbits,_ZN7rocprim17ROCPRIM_400000_NS6detail17trampoline_kernelINS0_14default_configENS1_29reduce_by_key_config_selectorIiiN6thrust23THRUST_200600_302600_NS4plusIiEEEEZZNS1_33reduce_by_key_impl_wrapped_configILNS1_25lookback_scan_determinismE0ES3_S9_NS6_6detail15normal_iteratorINS6_10device_ptrIiEEEESG_SG_SG_PmS8_22is_equal_div_10_reduceIiEEE10hipError_tPvRmT2_T3_mT4_T5_T6_T7_T8_P12ihipStream_tbENKUlT_T0_E_clISt17integral_constantIbLb1EES10_IbLb0EEEEDaSW_SX_EUlSW_E_NS1_11comp_targetILNS1_3genE2ELNS1_11target_archE906ELNS1_3gpuE6ELNS1_3repE0EEENS1_30default_config_static_selectorELNS0_4arch9wavefront6targetE0EEEvT1_,comdat
.Lfunc_end606:
	.size	_ZN7rocprim17ROCPRIM_400000_NS6detail17trampoline_kernelINS0_14default_configENS1_29reduce_by_key_config_selectorIiiN6thrust23THRUST_200600_302600_NS4plusIiEEEEZZNS1_33reduce_by_key_impl_wrapped_configILNS1_25lookback_scan_determinismE0ES3_S9_NS6_6detail15normal_iteratorINS6_10device_ptrIiEEEESG_SG_SG_PmS8_22is_equal_div_10_reduceIiEEE10hipError_tPvRmT2_T3_mT4_T5_T6_T7_T8_P12ihipStream_tbENKUlT_T0_E_clISt17integral_constantIbLb1EES10_IbLb0EEEEDaSW_SX_EUlSW_E_NS1_11comp_targetILNS1_3genE2ELNS1_11target_archE906ELNS1_3gpuE6ELNS1_3repE0EEENS1_30default_config_static_selectorELNS0_4arch9wavefront6targetE0EEEvT1_, .Lfunc_end606-_ZN7rocprim17ROCPRIM_400000_NS6detail17trampoline_kernelINS0_14default_configENS1_29reduce_by_key_config_selectorIiiN6thrust23THRUST_200600_302600_NS4plusIiEEEEZZNS1_33reduce_by_key_impl_wrapped_configILNS1_25lookback_scan_determinismE0ES3_S9_NS6_6detail15normal_iteratorINS6_10device_ptrIiEEEESG_SG_SG_PmS8_22is_equal_div_10_reduceIiEEE10hipError_tPvRmT2_T3_mT4_T5_T6_T7_T8_P12ihipStream_tbENKUlT_T0_E_clISt17integral_constantIbLb1EES10_IbLb0EEEEDaSW_SX_EUlSW_E_NS1_11comp_targetILNS1_3genE2ELNS1_11target_archE906ELNS1_3gpuE6ELNS1_3repE0EEENS1_30default_config_static_selectorELNS0_4arch9wavefront6targetE0EEEvT1_
                                        ; -- End function
	.section	.AMDGPU.csdata,"",@progbits
; Kernel info:
; codeLenInByte = 0
; NumSgprs: 0
; NumVgprs: 0
; ScratchSize: 0
; MemoryBound: 0
; FloatMode: 240
; IeeeMode: 1
; LDSByteSize: 0 bytes/workgroup (compile time only)
; SGPRBlocks: 0
; VGPRBlocks: 0
; NumSGPRsForWavesPerEU: 1
; NumVGPRsForWavesPerEU: 1
; Occupancy: 16
; WaveLimiterHint : 0
; COMPUTE_PGM_RSRC2:SCRATCH_EN: 0
; COMPUTE_PGM_RSRC2:USER_SGPR: 15
; COMPUTE_PGM_RSRC2:TRAP_HANDLER: 0
; COMPUTE_PGM_RSRC2:TGID_X_EN: 1
; COMPUTE_PGM_RSRC2:TGID_Y_EN: 0
; COMPUTE_PGM_RSRC2:TGID_Z_EN: 0
; COMPUTE_PGM_RSRC2:TIDIG_COMP_CNT: 0
	.section	.text._ZN7rocprim17ROCPRIM_400000_NS6detail17trampoline_kernelINS0_14default_configENS1_29reduce_by_key_config_selectorIiiN6thrust23THRUST_200600_302600_NS4plusIiEEEEZZNS1_33reduce_by_key_impl_wrapped_configILNS1_25lookback_scan_determinismE0ES3_S9_NS6_6detail15normal_iteratorINS6_10device_ptrIiEEEESG_SG_SG_PmS8_22is_equal_div_10_reduceIiEEE10hipError_tPvRmT2_T3_mT4_T5_T6_T7_T8_P12ihipStream_tbENKUlT_T0_E_clISt17integral_constantIbLb1EES10_IbLb0EEEEDaSW_SX_EUlSW_E_NS1_11comp_targetILNS1_3genE10ELNS1_11target_archE1201ELNS1_3gpuE5ELNS1_3repE0EEENS1_30default_config_static_selectorELNS0_4arch9wavefront6targetE0EEEvT1_,"axG",@progbits,_ZN7rocprim17ROCPRIM_400000_NS6detail17trampoline_kernelINS0_14default_configENS1_29reduce_by_key_config_selectorIiiN6thrust23THRUST_200600_302600_NS4plusIiEEEEZZNS1_33reduce_by_key_impl_wrapped_configILNS1_25lookback_scan_determinismE0ES3_S9_NS6_6detail15normal_iteratorINS6_10device_ptrIiEEEESG_SG_SG_PmS8_22is_equal_div_10_reduceIiEEE10hipError_tPvRmT2_T3_mT4_T5_T6_T7_T8_P12ihipStream_tbENKUlT_T0_E_clISt17integral_constantIbLb1EES10_IbLb0EEEEDaSW_SX_EUlSW_E_NS1_11comp_targetILNS1_3genE10ELNS1_11target_archE1201ELNS1_3gpuE5ELNS1_3repE0EEENS1_30default_config_static_selectorELNS0_4arch9wavefront6targetE0EEEvT1_,comdat
	.protected	_ZN7rocprim17ROCPRIM_400000_NS6detail17trampoline_kernelINS0_14default_configENS1_29reduce_by_key_config_selectorIiiN6thrust23THRUST_200600_302600_NS4plusIiEEEEZZNS1_33reduce_by_key_impl_wrapped_configILNS1_25lookback_scan_determinismE0ES3_S9_NS6_6detail15normal_iteratorINS6_10device_ptrIiEEEESG_SG_SG_PmS8_22is_equal_div_10_reduceIiEEE10hipError_tPvRmT2_T3_mT4_T5_T6_T7_T8_P12ihipStream_tbENKUlT_T0_E_clISt17integral_constantIbLb1EES10_IbLb0EEEEDaSW_SX_EUlSW_E_NS1_11comp_targetILNS1_3genE10ELNS1_11target_archE1201ELNS1_3gpuE5ELNS1_3repE0EEENS1_30default_config_static_selectorELNS0_4arch9wavefront6targetE0EEEvT1_ ; -- Begin function _ZN7rocprim17ROCPRIM_400000_NS6detail17trampoline_kernelINS0_14default_configENS1_29reduce_by_key_config_selectorIiiN6thrust23THRUST_200600_302600_NS4plusIiEEEEZZNS1_33reduce_by_key_impl_wrapped_configILNS1_25lookback_scan_determinismE0ES3_S9_NS6_6detail15normal_iteratorINS6_10device_ptrIiEEEESG_SG_SG_PmS8_22is_equal_div_10_reduceIiEEE10hipError_tPvRmT2_T3_mT4_T5_T6_T7_T8_P12ihipStream_tbENKUlT_T0_E_clISt17integral_constantIbLb1EES10_IbLb0EEEEDaSW_SX_EUlSW_E_NS1_11comp_targetILNS1_3genE10ELNS1_11target_archE1201ELNS1_3gpuE5ELNS1_3repE0EEENS1_30default_config_static_selectorELNS0_4arch9wavefront6targetE0EEEvT1_
	.globl	_ZN7rocprim17ROCPRIM_400000_NS6detail17trampoline_kernelINS0_14default_configENS1_29reduce_by_key_config_selectorIiiN6thrust23THRUST_200600_302600_NS4plusIiEEEEZZNS1_33reduce_by_key_impl_wrapped_configILNS1_25lookback_scan_determinismE0ES3_S9_NS6_6detail15normal_iteratorINS6_10device_ptrIiEEEESG_SG_SG_PmS8_22is_equal_div_10_reduceIiEEE10hipError_tPvRmT2_T3_mT4_T5_T6_T7_T8_P12ihipStream_tbENKUlT_T0_E_clISt17integral_constantIbLb1EES10_IbLb0EEEEDaSW_SX_EUlSW_E_NS1_11comp_targetILNS1_3genE10ELNS1_11target_archE1201ELNS1_3gpuE5ELNS1_3repE0EEENS1_30default_config_static_selectorELNS0_4arch9wavefront6targetE0EEEvT1_
	.p2align	8
	.type	_ZN7rocprim17ROCPRIM_400000_NS6detail17trampoline_kernelINS0_14default_configENS1_29reduce_by_key_config_selectorIiiN6thrust23THRUST_200600_302600_NS4plusIiEEEEZZNS1_33reduce_by_key_impl_wrapped_configILNS1_25lookback_scan_determinismE0ES3_S9_NS6_6detail15normal_iteratorINS6_10device_ptrIiEEEESG_SG_SG_PmS8_22is_equal_div_10_reduceIiEEE10hipError_tPvRmT2_T3_mT4_T5_T6_T7_T8_P12ihipStream_tbENKUlT_T0_E_clISt17integral_constantIbLb1EES10_IbLb0EEEEDaSW_SX_EUlSW_E_NS1_11comp_targetILNS1_3genE10ELNS1_11target_archE1201ELNS1_3gpuE5ELNS1_3repE0EEENS1_30default_config_static_selectorELNS0_4arch9wavefront6targetE0EEEvT1_,@function
_ZN7rocprim17ROCPRIM_400000_NS6detail17trampoline_kernelINS0_14default_configENS1_29reduce_by_key_config_selectorIiiN6thrust23THRUST_200600_302600_NS4plusIiEEEEZZNS1_33reduce_by_key_impl_wrapped_configILNS1_25lookback_scan_determinismE0ES3_S9_NS6_6detail15normal_iteratorINS6_10device_ptrIiEEEESG_SG_SG_PmS8_22is_equal_div_10_reduceIiEEE10hipError_tPvRmT2_T3_mT4_T5_T6_T7_T8_P12ihipStream_tbENKUlT_T0_E_clISt17integral_constantIbLb1EES10_IbLb0EEEEDaSW_SX_EUlSW_E_NS1_11comp_targetILNS1_3genE10ELNS1_11target_archE1201ELNS1_3gpuE5ELNS1_3repE0EEENS1_30default_config_static_selectorELNS0_4arch9wavefront6targetE0EEEvT1_: ; @_ZN7rocprim17ROCPRIM_400000_NS6detail17trampoline_kernelINS0_14default_configENS1_29reduce_by_key_config_selectorIiiN6thrust23THRUST_200600_302600_NS4plusIiEEEEZZNS1_33reduce_by_key_impl_wrapped_configILNS1_25lookback_scan_determinismE0ES3_S9_NS6_6detail15normal_iteratorINS6_10device_ptrIiEEEESG_SG_SG_PmS8_22is_equal_div_10_reduceIiEEE10hipError_tPvRmT2_T3_mT4_T5_T6_T7_T8_P12ihipStream_tbENKUlT_T0_E_clISt17integral_constantIbLb1EES10_IbLb0EEEEDaSW_SX_EUlSW_E_NS1_11comp_targetILNS1_3genE10ELNS1_11target_archE1201ELNS1_3gpuE5ELNS1_3repE0EEENS1_30default_config_static_selectorELNS0_4arch9wavefront6targetE0EEEvT1_
; %bb.0:
	.section	.rodata,"a",@progbits
	.p2align	6, 0x0
	.amdhsa_kernel _ZN7rocprim17ROCPRIM_400000_NS6detail17trampoline_kernelINS0_14default_configENS1_29reduce_by_key_config_selectorIiiN6thrust23THRUST_200600_302600_NS4plusIiEEEEZZNS1_33reduce_by_key_impl_wrapped_configILNS1_25lookback_scan_determinismE0ES3_S9_NS6_6detail15normal_iteratorINS6_10device_ptrIiEEEESG_SG_SG_PmS8_22is_equal_div_10_reduceIiEEE10hipError_tPvRmT2_T3_mT4_T5_T6_T7_T8_P12ihipStream_tbENKUlT_T0_E_clISt17integral_constantIbLb1EES10_IbLb0EEEEDaSW_SX_EUlSW_E_NS1_11comp_targetILNS1_3genE10ELNS1_11target_archE1201ELNS1_3gpuE5ELNS1_3repE0EEENS1_30default_config_static_selectorELNS0_4arch9wavefront6targetE0EEEvT1_
		.amdhsa_group_segment_fixed_size 0
		.amdhsa_private_segment_fixed_size 0
		.amdhsa_kernarg_size 120
		.amdhsa_user_sgpr_count 15
		.amdhsa_user_sgpr_dispatch_ptr 0
		.amdhsa_user_sgpr_queue_ptr 0
		.amdhsa_user_sgpr_kernarg_segment_ptr 1
		.amdhsa_user_sgpr_dispatch_id 0
		.amdhsa_user_sgpr_private_segment_size 0
		.amdhsa_wavefront_size32 1
		.amdhsa_uses_dynamic_stack 0
		.amdhsa_enable_private_segment 0
		.amdhsa_system_sgpr_workgroup_id_x 1
		.amdhsa_system_sgpr_workgroup_id_y 0
		.amdhsa_system_sgpr_workgroup_id_z 0
		.amdhsa_system_sgpr_workgroup_info 0
		.amdhsa_system_vgpr_workitem_id 0
		.amdhsa_next_free_vgpr 1
		.amdhsa_next_free_sgpr 1
		.amdhsa_reserve_vcc 0
		.amdhsa_float_round_mode_32 0
		.amdhsa_float_round_mode_16_64 0
		.amdhsa_float_denorm_mode_32 3
		.amdhsa_float_denorm_mode_16_64 3
		.amdhsa_dx10_clamp 1
		.amdhsa_ieee_mode 1
		.amdhsa_fp16_overflow 0
		.amdhsa_workgroup_processor_mode 1
		.amdhsa_memory_ordered 1
		.amdhsa_forward_progress 0
		.amdhsa_shared_vgpr_count 0
		.amdhsa_exception_fp_ieee_invalid_op 0
		.amdhsa_exception_fp_denorm_src 0
		.amdhsa_exception_fp_ieee_div_zero 0
		.amdhsa_exception_fp_ieee_overflow 0
		.amdhsa_exception_fp_ieee_underflow 0
		.amdhsa_exception_fp_ieee_inexact 0
		.amdhsa_exception_int_div_zero 0
	.end_amdhsa_kernel
	.section	.text._ZN7rocprim17ROCPRIM_400000_NS6detail17trampoline_kernelINS0_14default_configENS1_29reduce_by_key_config_selectorIiiN6thrust23THRUST_200600_302600_NS4plusIiEEEEZZNS1_33reduce_by_key_impl_wrapped_configILNS1_25lookback_scan_determinismE0ES3_S9_NS6_6detail15normal_iteratorINS6_10device_ptrIiEEEESG_SG_SG_PmS8_22is_equal_div_10_reduceIiEEE10hipError_tPvRmT2_T3_mT4_T5_T6_T7_T8_P12ihipStream_tbENKUlT_T0_E_clISt17integral_constantIbLb1EES10_IbLb0EEEEDaSW_SX_EUlSW_E_NS1_11comp_targetILNS1_3genE10ELNS1_11target_archE1201ELNS1_3gpuE5ELNS1_3repE0EEENS1_30default_config_static_selectorELNS0_4arch9wavefront6targetE0EEEvT1_,"axG",@progbits,_ZN7rocprim17ROCPRIM_400000_NS6detail17trampoline_kernelINS0_14default_configENS1_29reduce_by_key_config_selectorIiiN6thrust23THRUST_200600_302600_NS4plusIiEEEEZZNS1_33reduce_by_key_impl_wrapped_configILNS1_25lookback_scan_determinismE0ES3_S9_NS6_6detail15normal_iteratorINS6_10device_ptrIiEEEESG_SG_SG_PmS8_22is_equal_div_10_reduceIiEEE10hipError_tPvRmT2_T3_mT4_T5_T6_T7_T8_P12ihipStream_tbENKUlT_T0_E_clISt17integral_constantIbLb1EES10_IbLb0EEEEDaSW_SX_EUlSW_E_NS1_11comp_targetILNS1_3genE10ELNS1_11target_archE1201ELNS1_3gpuE5ELNS1_3repE0EEENS1_30default_config_static_selectorELNS0_4arch9wavefront6targetE0EEEvT1_,comdat
.Lfunc_end607:
	.size	_ZN7rocprim17ROCPRIM_400000_NS6detail17trampoline_kernelINS0_14default_configENS1_29reduce_by_key_config_selectorIiiN6thrust23THRUST_200600_302600_NS4plusIiEEEEZZNS1_33reduce_by_key_impl_wrapped_configILNS1_25lookback_scan_determinismE0ES3_S9_NS6_6detail15normal_iteratorINS6_10device_ptrIiEEEESG_SG_SG_PmS8_22is_equal_div_10_reduceIiEEE10hipError_tPvRmT2_T3_mT4_T5_T6_T7_T8_P12ihipStream_tbENKUlT_T0_E_clISt17integral_constantIbLb1EES10_IbLb0EEEEDaSW_SX_EUlSW_E_NS1_11comp_targetILNS1_3genE10ELNS1_11target_archE1201ELNS1_3gpuE5ELNS1_3repE0EEENS1_30default_config_static_selectorELNS0_4arch9wavefront6targetE0EEEvT1_, .Lfunc_end607-_ZN7rocprim17ROCPRIM_400000_NS6detail17trampoline_kernelINS0_14default_configENS1_29reduce_by_key_config_selectorIiiN6thrust23THRUST_200600_302600_NS4plusIiEEEEZZNS1_33reduce_by_key_impl_wrapped_configILNS1_25lookback_scan_determinismE0ES3_S9_NS6_6detail15normal_iteratorINS6_10device_ptrIiEEEESG_SG_SG_PmS8_22is_equal_div_10_reduceIiEEE10hipError_tPvRmT2_T3_mT4_T5_T6_T7_T8_P12ihipStream_tbENKUlT_T0_E_clISt17integral_constantIbLb1EES10_IbLb0EEEEDaSW_SX_EUlSW_E_NS1_11comp_targetILNS1_3genE10ELNS1_11target_archE1201ELNS1_3gpuE5ELNS1_3repE0EEENS1_30default_config_static_selectorELNS0_4arch9wavefront6targetE0EEEvT1_
                                        ; -- End function
	.section	.AMDGPU.csdata,"",@progbits
; Kernel info:
; codeLenInByte = 0
; NumSgprs: 0
; NumVgprs: 0
; ScratchSize: 0
; MemoryBound: 0
; FloatMode: 240
; IeeeMode: 1
; LDSByteSize: 0 bytes/workgroup (compile time only)
; SGPRBlocks: 0
; VGPRBlocks: 0
; NumSGPRsForWavesPerEU: 1
; NumVGPRsForWavesPerEU: 1
; Occupancy: 16
; WaveLimiterHint : 0
; COMPUTE_PGM_RSRC2:SCRATCH_EN: 0
; COMPUTE_PGM_RSRC2:USER_SGPR: 15
; COMPUTE_PGM_RSRC2:TRAP_HANDLER: 0
; COMPUTE_PGM_RSRC2:TGID_X_EN: 1
; COMPUTE_PGM_RSRC2:TGID_Y_EN: 0
; COMPUTE_PGM_RSRC2:TGID_Z_EN: 0
; COMPUTE_PGM_RSRC2:TIDIG_COMP_CNT: 0
	.section	.text._ZN7rocprim17ROCPRIM_400000_NS6detail17trampoline_kernelINS0_14default_configENS1_29reduce_by_key_config_selectorIiiN6thrust23THRUST_200600_302600_NS4plusIiEEEEZZNS1_33reduce_by_key_impl_wrapped_configILNS1_25lookback_scan_determinismE0ES3_S9_NS6_6detail15normal_iteratorINS6_10device_ptrIiEEEESG_SG_SG_PmS8_22is_equal_div_10_reduceIiEEE10hipError_tPvRmT2_T3_mT4_T5_T6_T7_T8_P12ihipStream_tbENKUlT_T0_E_clISt17integral_constantIbLb1EES10_IbLb0EEEEDaSW_SX_EUlSW_E_NS1_11comp_targetILNS1_3genE10ELNS1_11target_archE1200ELNS1_3gpuE4ELNS1_3repE0EEENS1_30default_config_static_selectorELNS0_4arch9wavefront6targetE0EEEvT1_,"axG",@progbits,_ZN7rocprim17ROCPRIM_400000_NS6detail17trampoline_kernelINS0_14default_configENS1_29reduce_by_key_config_selectorIiiN6thrust23THRUST_200600_302600_NS4plusIiEEEEZZNS1_33reduce_by_key_impl_wrapped_configILNS1_25lookback_scan_determinismE0ES3_S9_NS6_6detail15normal_iteratorINS6_10device_ptrIiEEEESG_SG_SG_PmS8_22is_equal_div_10_reduceIiEEE10hipError_tPvRmT2_T3_mT4_T5_T6_T7_T8_P12ihipStream_tbENKUlT_T0_E_clISt17integral_constantIbLb1EES10_IbLb0EEEEDaSW_SX_EUlSW_E_NS1_11comp_targetILNS1_3genE10ELNS1_11target_archE1200ELNS1_3gpuE4ELNS1_3repE0EEENS1_30default_config_static_selectorELNS0_4arch9wavefront6targetE0EEEvT1_,comdat
	.protected	_ZN7rocprim17ROCPRIM_400000_NS6detail17trampoline_kernelINS0_14default_configENS1_29reduce_by_key_config_selectorIiiN6thrust23THRUST_200600_302600_NS4plusIiEEEEZZNS1_33reduce_by_key_impl_wrapped_configILNS1_25lookback_scan_determinismE0ES3_S9_NS6_6detail15normal_iteratorINS6_10device_ptrIiEEEESG_SG_SG_PmS8_22is_equal_div_10_reduceIiEEE10hipError_tPvRmT2_T3_mT4_T5_T6_T7_T8_P12ihipStream_tbENKUlT_T0_E_clISt17integral_constantIbLb1EES10_IbLb0EEEEDaSW_SX_EUlSW_E_NS1_11comp_targetILNS1_3genE10ELNS1_11target_archE1200ELNS1_3gpuE4ELNS1_3repE0EEENS1_30default_config_static_selectorELNS0_4arch9wavefront6targetE0EEEvT1_ ; -- Begin function _ZN7rocprim17ROCPRIM_400000_NS6detail17trampoline_kernelINS0_14default_configENS1_29reduce_by_key_config_selectorIiiN6thrust23THRUST_200600_302600_NS4plusIiEEEEZZNS1_33reduce_by_key_impl_wrapped_configILNS1_25lookback_scan_determinismE0ES3_S9_NS6_6detail15normal_iteratorINS6_10device_ptrIiEEEESG_SG_SG_PmS8_22is_equal_div_10_reduceIiEEE10hipError_tPvRmT2_T3_mT4_T5_T6_T7_T8_P12ihipStream_tbENKUlT_T0_E_clISt17integral_constantIbLb1EES10_IbLb0EEEEDaSW_SX_EUlSW_E_NS1_11comp_targetILNS1_3genE10ELNS1_11target_archE1200ELNS1_3gpuE4ELNS1_3repE0EEENS1_30default_config_static_selectorELNS0_4arch9wavefront6targetE0EEEvT1_
	.globl	_ZN7rocprim17ROCPRIM_400000_NS6detail17trampoline_kernelINS0_14default_configENS1_29reduce_by_key_config_selectorIiiN6thrust23THRUST_200600_302600_NS4plusIiEEEEZZNS1_33reduce_by_key_impl_wrapped_configILNS1_25lookback_scan_determinismE0ES3_S9_NS6_6detail15normal_iteratorINS6_10device_ptrIiEEEESG_SG_SG_PmS8_22is_equal_div_10_reduceIiEEE10hipError_tPvRmT2_T3_mT4_T5_T6_T7_T8_P12ihipStream_tbENKUlT_T0_E_clISt17integral_constantIbLb1EES10_IbLb0EEEEDaSW_SX_EUlSW_E_NS1_11comp_targetILNS1_3genE10ELNS1_11target_archE1200ELNS1_3gpuE4ELNS1_3repE0EEENS1_30default_config_static_selectorELNS0_4arch9wavefront6targetE0EEEvT1_
	.p2align	8
	.type	_ZN7rocprim17ROCPRIM_400000_NS6detail17trampoline_kernelINS0_14default_configENS1_29reduce_by_key_config_selectorIiiN6thrust23THRUST_200600_302600_NS4plusIiEEEEZZNS1_33reduce_by_key_impl_wrapped_configILNS1_25lookback_scan_determinismE0ES3_S9_NS6_6detail15normal_iteratorINS6_10device_ptrIiEEEESG_SG_SG_PmS8_22is_equal_div_10_reduceIiEEE10hipError_tPvRmT2_T3_mT4_T5_T6_T7_T8_P12ihipStream_tbENKUlT_T0_E_clISt17integral_constantIbLb1EES10_IbLb0EEEEDaSW_SX_EUlSW_E_NS1_11comp_targetILNS1_3genE10ELNS1_11target_archE1200ELNS1_3gpuE4ELNS1_3repE0EEENS1_30default_config_static_selectorELNS0_4arch9wavefront6targetE0EEEvT1_,@function
_ZN7rocprim17ROCPRIM_400000_NS6detail17trampoline_kernelINS0_14default_configENS1_29reduce_by_key_config_selectorIiiN6thrust23THRUST_200600_302600_NS4plusIiEEEEZZNS1_33reduce_by_key_impl_wrapped_configILNS1_25lookback_scan_determinismE0ES3_S9_NS6_6detail15normal_iteratorINS6_10device_ptrIiEEEESG_SG_SG_PmS8_22is_equal_div_10_reduceIiEEE10hipError_tPvRmT2_T3_mT4_T5_T6_T7_T8_P12ihipStream_tbENKUlT_T0_E_clISt17integral_constantIbLb1EES10_IbLb0EEEEDaSW_SX_EUlSW_E_NS1_11comp_targetILNS1_3genE10ELNS1_11target_archE1200ELNS1_3gpuE4ELNS1_3repE0EEENS1_30default_config_static_selectorELNS0_4arch9wavefront6targetE0EEEvT1_: ; @_ZN7rocprim17ROCPRIM_400000_NS6detail17trampoline_kernelINS0_14default_configENS1_29reduce_by_key_config_selectorIiiN6thrust23THRUST_200600_302600_NS4plusIiEEEEZZNS1_33reduce_by_key_impl_wrapped_configILNS1_25lookback_scan_determinismE0ES3_S9_NS6_6detail15normal_iteratorINS6_10device_ptrIiEEEESG_SG_SG_PmS8_22is_equal_div_10_reduceIiEEE10hipError_tPvRmT2_T3_mT4_T5_T6_T7_T8_P12ihipStream_tbENKUlT_T0_E_clISt17integral_constantIbLb1EES10_IbLb0EEEEDaSW_SX_EUlSW_E_NS1_11comp_targetILNS1_3genE10ELNS1_11target_archE1200ELNS1_3gpuE4ELNS1_3repE0EEENS1_30default_config_static_selectorELNS0_4arch9wavefront6targetE0EEEvT1_
; %bb.0:
	.section	.rodata,"a",@progbits
	.p2align	6, 0x0
	.amdhsa_kernel _ZN7rocprim17ROCPRIM_400000_NS6detail17trampoline_kernelINS0_14default_configENS1_29reduce_by_key_config_selectorIiiN6thrust23THRUST_200600_302600_NS4plusIiEEEEZZNS1_33reduce_by_key_impl_wrapped_configILNS1_25lookback_scan_determinismE0ES3_S9_NS6_6detail15normal_iteratorINS6_10device_ptrIiEEEESG_SG_SG_PmS8_22is_equal_div_10_reduceIiEEE10hipError_tPvRmT2_T3_mT4_T5_T6_T7_T8_P12ihipStream_tbENKUlT_T0_E_clISt17integral_constantIbLb1EES10_IbLb0EEEEDaSW_SX_EUlSW_E_NS1_11comp_targetILNS1_3genE10ELNS1_11target_archE1200ELNS1_3gpuE4ELNS1_3repE0EEENS1_30default_config_static_selectorELNS0_4arch9wavefront6targetE0EEEvT1_
		.amdhsa_group_segment_fixed_size 0
		.amdhsa_private_segment_fixed_size 0
		.amdhsa_kernarg_size 120
		.amdhsa_user_sgpr_count 15
		.amdhsa_user_sgpr_dispatch_ptr 0
		.amdhsa_user_sgpr_queue_ptr 0
		.amdhsa_user_sgpr_kernarg_segment_ptr 1
		.amdhsa_user_sgpr_dispatch_id 0
		.amdhsa_user_sgpr_private_segment_size 0
		.amdhsa_wavefront_size32 1
		.amdhsa_uses_dynamic_stack 0
		.amdhsa_enable_private_segment 0
		.amdhsa_system_sgpr_workgroup_id_x 1
		.amdhsa_system_sgpr_workgroup_id_y 0
		.amdhsa_system_sgpr_workgroup_id_z 0
		.amdhsa_system_sgpr_workgroup_info 0
		.amdhsa_system_vgpr_workitem_id 0
		.amdhsa_next_free_vgpr 1
		.amdhsa_next_free_sgpr 1
		.amdhsa_reserve_vcc 0
		.amdhsa_float_round_mode_32 0
		.amdhsa_float_round_mode_16_64 0
		.amdhsa_float_denorm_mode_32 3
		.amdhsa_float_denorm_mode_16_64 3
		.amdhsa_dx10_clamp 1
		.amdhsa_ieee_mode 1
		.amdhsa_fp16_overflow 0
		.amdhsa_workgroup_processor_mode 1
		.amdhsa_memory_ordered 1
		.amdhsa_forward_progress 0
		.amdhsa_shared_vgpr_count 0
		.amdhsa_exception_fp_ieee_invalid_op 0
		.amdhsa_exception_fp_denorm_src 0
		.amdhsa_exception_fp_ieee_div_zero 0
		.amdhsa_exception_fp_ieee_overflow 0
		.amdhsa_exception_fp_ieee_underflow 0
		.amdhsa_exception_fp_ieee_inexact 0
		.amdhsa_exception_int_div_zero 0
	.end_amdhsa_kernel
	.section	.text._ZN7rocprim17ROCPRIM_400000_NS6detail17trampoline_kernelINS0_14default_configENS1_29reduce_by_key_config_selectorIiiN6thrust23THRUST_200600_302600_NS4plusIiEEEEZZNS1_33reduce_by_key_impl_wrapped_configILNS1_25lookback_scan_determinismE0ES3_S9_NS6_6detail15normal_iteratorINS6_10device_ptrIiEEEESG_SG_SG_PmS8_22is_equal_div_10_reduceIiEEE10hipError_tPvRmT2_T3_mT4_T5_T6_T7_T8_P12ihipStream_tbENKUlT_T0_E_clISt17integral_constantIbLb1EES10_IbLb0EEEEDaSW_SX_EUlSW_E_NS1_11comp_targetILNS1_3genE10ELNS1_11target_archE1200ELNS1_3gpuE4ELNS1_3repE0EEENS1_30default_config_static_selectorELNS0_4arch9wavefront6targetE0EEEvT1_,"axG",@progbits,_ZN7rocprim17ROCPRIM_400000_NS6detail17trampoline_kernelINS0_14default_configENS1_29reduce_by_key_config_selectorIiiN6thrust23THRUST_200600_302600_NS4plusIiEEEEZZNS1_33reduce_by_key_impl_wrapped_configILNS1_25lookback_scan_determinismE0ES3_S9_NS6_6detail15normal_iteratorINS6_10device_ptrIiEEEESG_SG_SG_PmS8_22is_equal_div_10_reduceIiEEE10hipError_tPvRmT2_T3_mT4_T5_T6_T7_T8_P12ihipStream_tbENKUlT_T0_E_clISt17integral_constantIbLb1EES10_IbLb0EEEEDaSW_SX_EUlSW_E_NS1_11comp_targetILNS1_3genE10ELNS1_11target_archE1200ELNS1_3gpuE4ELNS1_3repE0EEENS1_30default_config_static_selectorELNS0_4arch9wavefront6targetE0EEEvT1_,comdat
.Lfunc_end608:
	.size	_ZN7rocprim17ROCPRIM_400000_NS6detail17trampoline_kernelINS0_14default_configENS1_29reduce_by_key_config_selectorIiiN6thrust23THRUST_200600_302600_NS4plusIiEEEEZZNS1_33reduce_by_key_impl_wrapped_configILNS1_25lookback_scan_determinismE0ES3_S9_NS6_6detail15normal_iteratorINS6_10device_ptrIiEEEESG_SG_SG_PmS8_22is_equal_div_10_reduceIiEEE10hipError_tPvRmT2_T3_mT4_T5_T6_T7_T8_P12ihipStream_tbENKUlT_T0_E_clISt17integral_constantIbLb1EES10_IbLb0EEEEDaSW_SX_EUlSW_E_NS1_11comp_targetILNS1_3genE10ELNS1_11target_archE1200ELNS1_3gpuE4ELNS1_3repE0EEENS1_30default_config_static_selectorELNS0_4arch9wavefront6targetE0EEEvT1_, .Lfunc_end608-_ZN7rocprim17ROCPRIM_400000_NS6detail17trampoline_kernelINS0_14default_configENS1_29reduce_by_key_config_selectorIiiN6thrust23THRUST_200600_302600_NS4plusIiEEEEZZNS1_33reduce_by_key_impl_wrapped_configILNS1_25lookback_scan_determinismE0ES3_S9_NS6_6detail15normal_iteratorINS6_10device_ptrIiEEEESG_SG_SG_PmS8_22is_equal_div_10_reduceIiEEE10hipError_tPvRmT2_T3_mT4_T5_T6_T7_T8_P12ihipStream_tbENKUlT_T0_E_clISt17integral_constantIbLb1EES10_IbLb0EEEEDaSW_SX_EUlSW_E_NS1_11comp_targetILNS1_3genE10ELNS1_11target_archE1200ELNS1_3gpuE4ELNS1_3repE0EEENS1_30default_config_static_selectorELNS0_4arch9wavefront6targetE0EEEvT1_
                                        ; -- End function
	.section	.AMDGPU.csdata,"",@progbits
; Kernel info:
; codeLenInByte = 0
; NumSgprs: 0
; NumVgprs: 0
; ScratchSize: 0
; MemoryBound: 0
; FloatMode: 240
; IeeeMode: 1
; LDSByteSize: 0 bytes/workgroup (compile time only)
; SGPRBlocks: 0
; VGPRBlocks: 0
; NumSGPRsForWavesPerEU: 1
; NumVGPRsForWavesPerEU: 1
; Occupancy: 16
; WaveLimiterHint : 0
; COMPUTE_PGM_RSRC2:SCRATCH_EN: 0
; COMPUTE_PGM_RSRC2:USER_SGPR: 15
; COMPUTE_PGM_RSRC2:TRAP_HANDLER: 0
; COMPUTE_PGM_RSRC2:TGID_X_EN: 1
; COMPUTE_PGM_RSRC2:TGID_Y_EN: 0
; COMPUTE_PGM_RSRC2:TGID_Z_EN: 0
; COMPUTE_PGM_RSRC2:TIDIG_COMP_CNT: 0
	.section	.text._ZN7rocprim17ROCPRIM_400000_NS6detail17trampoline_kernelINS0_14default_configENS1_29reduce_by_key_config_selectorIiiN6thrust23THRUST_200600_302600_NS4plusIiEEEEZZNS1_33reduce_by_key_impl_wrapped_configILNS1_25lookback_scan_determinismE0ES3_S9_NS6_6detail15normal_iteratorINS6_10device_ptrIiEEEESG_SG_SG_PmS8_22is_equal_div_10_reduceIiEEE10hipError_tPvRmT2_T3_mT4_T5_T6_T7_T8_P12ihipStream_tbENKUlT_T0_E_clISt17integral_constantIbLb1EES10_IbLb0EEEEDaSW_SX_EUlSW_E_NS1_11comp_targetILNS1_3genE9ELNS1_11target_archE1100ELNS1_3gpuE3ELNS1_3repE0EEENS1_30default_config_static_selectorELNS0_4arch9wavefront6targetE0EEEvT1_,"axG",@progbits,_ZN7rocprim17ROCPRIM_400000_NS6detail17trampoline_kernelINS0_14default_configENS1_29reduce_by_key_config_selectorIiiN6thrust23THRUST_200600_302600_NS4plusIiEEEEZZNS1_33reduce_by_key_impl_wrapped_configILNS1_25lookback_scan_determinismE0ES3_S9_NS6_6detail15normal_iteratorINS6_10device_ptrIiEEEESG_SG_SG_PmS8_22is_equal_div_10_reduceIiEEE10hipError_tPvRmT2_T3_mT4_T5_T6_T7_T8_P12ihipStream_tbENKUlT_T0_E_clISt17integral_constantIbLb1EES10_IbLb0EEEEDaSW_SX_EUlSW_E_NS1_11comp_targetILNS1_3genE9ELNS1_11target_archE1100ELNS1_3gpuE3ELNS1_3repE0EEENS1_30default_config_static_selectorELNS0_4arch9wavefront6targetE0EEEvT1_,comdat
	.protected	_ZN7rocprim17ROCPRIM_400000_NS6detail17trampoline_kernelINS0_14default_configENS1_29reduce_by_key_config_selectorIiiN6thrust23THRUST_200600_302600_NS4plusIiEEEEZZNS1_33reduce_by_key_impl_wrapped_configILNS1_25lookback_scan_determinismE0ES3_S9_NS6_6detail15normal_iteratorINS6_10device_ptrIiEEEESG_SG_SG_PmS8_22is_equal_div_10_reduceIiEEE10hipError_tPvRmT2_T3_mT4_T5_T6_T7_T8_P12ihipStream_tbENKUlT_T0_E_clISt17integral_constantIbLb1EES10_IbLb0EEEEDaSW_SX_EUlSW_E_NS1_11comp_targetILNS1_3genE9ELNS1_11target_archE1100ELNS1_3gpuE3ELNS1_3repE0EEENS1_30default_config_static_selectorELNS0_4arch9wavefront6targetE0EEEvT1_ ; -- Begin function _ZN7rocprim17ROCPRIM_400000_NS6detail17trampoline_kernelINS0_14default_configENS1_29reduce_by_key_config_selectorIiiN6thrust23THRUST_200600_302600_NS4plusIiEEEEZZNS1_33reduce_by_key_impl_wrapped_configILNS1_25lookback_scan_determinismE0ES3_S9_NS6_6detail15normal_iteratorINS6_10device_ptrIiEEEESG_SG_SG_PmS8_22is_equal_div_10_reduceIiEEE10hipError_tPvRmT2_T3_mT4_T5_T6_T7_T8_P12ihipStream_tbENKUlT_T0_E_clISt17integral_constantIbLb1EES10_IbLb0EEEEDaSW_SX_EUlSW_E_NS1_11comp_targetILNS1_3genE9ELNS1_11target_archE1100ELNS1_3gpuE3ELNS1_3repE0EEENS1_30default_config_static_selectorELNS0_4arch9wavefront6targetE0EEEvT1_
	.globl	_ZN7rocprim17ROCPRIM_400000_NS6detail17trampoline_kernelINS0_14default_configENS1_29reduce_by_key_config_selectorIiiN6thrust23THRUST_200600_302600_NS4plusIiEEEEZZNS1_33reduce_by_key_impl_wrapped_configILNS1_25lookback_scan_determinismE0ES3_S9_NS6_6detail15normal_iteratorINS6_10device_ptrIiEEEESG_SG_SG_PmS8_22is_equal_div_10_reduceIiEEE10hipError_tPvRmT2_T3_mT4_T5_T6_T7_T8_P12ihipStream_tbENKUlT_T0_E_clISt17integral_constantIbLb1EES10_IbLb0EEEEDaSW_SX_EUlSW_E_NS1_11comp_targetILNS1_3genE9ELNS1_11target_archE1100ELNS1_3gpuE3ELNS1_3repE0EEENS1_30default_config_static_selectorELNS0_4arch9wavefront6targetE0EEEvT1_
	.p2align	8
	.type	_ZN7rocprim17ROCPRIM_400000_NS6detail17trampoline_kernelINS0_14default_configENS1_29reduce_by_key_config_selectorIiiN6thrust23THRUST_200600_302600_NS4plusIiEEEEZZNS1_33reduce_by_key_impl_wrapped_configILNS1_25lookback_scan_determinismE0ES3_S9_NS6_6detail15normal_iteratorINS6_10device_ptrIiEEEESG_SG_SG_PmS8_22is_equal_div_10_reduceIiEEE10hipError_tPvRmT2_T3_mT4_T5_T6_T7_T8_P12ihipStream_tbENKUlT_T0_E_clISt17integral_constantIbLb1EES10_IbLb0EEEEDaSW_SX_EUlSW_E_NS1_11comp_targetILNS1_3genE9ELNS1_11target_archE1100ELNS1_3gpuE3ELNS1_3repE0EEENS1_30default_config_static_selectorELNS0_4arch9wavefront6targetE0EEEvT1_,@function
_ZN7rocprim17ROCPRIM_400000_NS6detail17trampoline_kernelINS0_14default_configENS1_29reduce_by_key_config_selectorIiiN6thrust23THRUST_200600_302600_NS4plusIiEEEEZZNS1_33reduce_by_key_impl_wrapped_configILNS1_25lookback_scan_determinismE0ES3_S9_NS6_6detail15normal_iteratorINS6_10device_ptrIiEEEESG_SG_SG_PmS8_22is_equal_div_10_reduceIiEEE10hipError_tPvRmT2_T3_mT4_T5_T6_T7_T8_P12ihipStream_tbENKUlT_T0_E_clISt17integral_constantIbLb1EES10_IbLb0EEEEDaSW_SX_EUlSW_E_NS1_11comp_targetILNS1_3genE9ELNS1_11target_archE1100ELNS1_3gpuE3ELNS1_3repE0EEENS1_30default_config_static_selectorELNS0_4arch9wavefront6targetE0EEEvT1_: ; @_ZN7rocprim17ROCPRIM_400000_NS6detail17trampoline_kernelINS0_14default_configENS1_29reduce_by_key_config_selectorIiiN6thrust23THRUST_200600_302600_NS4plusIiEEEEZZNS1_33reduce_by_key_impl_wrapped_configILNS1_25lookback_scan_determinismE0ES3_S9_NS6_6detail15normal_iteratorINS6_10device_ptrIiEEEESG_SG_SG_PmS8_22is_equal_div_10_reduceIiEEE10hipError_tPvRmT2_T3_mT4_T5_T6_T7_T8_P12ihipStream_tbENKUlT_T0_E_clISt17integral_constantIbLb1EES10_IbLb0EEEEDaSW_SX_EUlSW_E_NS1_11comp_targetILNS1_3genE9ELNS1_11target_archE1100ELNS1_3gpuE3ELNS1_3repE0EEENS1_30default_config_static_selectorELNS0_4arch9wavefront6targetE0EEEvT1_
; %bb.0:
	s_clause 0x4
	s_load_b256 s[16:23], s[0:1], 0x0
	s_load_b256 s[24:31], s[0:1], 0x38
	s_load_b128 s[36:39], s[0:1], 0x20
	s_load_b64 s[34:35], s[0:1], 0x68
	s_load_b128 s[40:43], s[0:1], 0x58
	s_mov_b32 s3, 0
	s_mul_i32 s2, s15, 0xf00
	s_waitcnt lgkmcnt(0)
	s_lshl_b64 s[0:1], s[18:19], 2
	s_mul_i32 s4, s28, s27
	s_add_u32 s8, s16, s0
	s_mul_hi_u32 s5, s28, s26
	s_addc_u32 s9, s17, s1
	s_add_u32 s10, s20, s0
	s_mul_i32 s6, s29, s26
	s_addc_u32 s11, s21, s1
	s_add_i32 s4, s5, s4
	s_lshl_b64 s[0:1], s[2:3], 2
	s_add_i32 s4, s4, s6
	s_add_u32 s14, s8, s0
	s_addc_u32 s21, s9, s1
	s_mul_i32 s7, s28, s26
	s_add_u32 s20, s10, s0
	s_addc_u32 s29, s11, s1
	s_add_u32 s16, s7, s15
	s_addc_u32 s17, s4, 0
	s_add_u32 s0, s30, -1
	s_addc_u32 s1, s31, -1
	s_mul_i32 s19, s0, 0xfffff100
	s_cmp_eq_u64 s[16:17], s[0:1]
	s_cselect_b32 s18, -1, 0
	s_cmp_lg_u64 s[16:17], s[0:1]
	s_cselect_b32 s28, -1, 0
	s_and_b32 vcc_lo, exec_lo, s18
	s_cbranch_vccnz .LBB609_2
; %bb.1:
	v_lshlrev_b32_e32 v8, 2, v0
	s_delay_alu instid0(VALU_DEP_1) | instskip(NEXT) | instid1(VALU_DEP_1)
	v_add_co_u32 v1, s0, s14, v8
	v_add_co_ci_u32_e64 v2, null, s21, 0, s0
	s_delay_alu instid0(VALU_DEP_2) | instskip(NEXT) | instid1(VALU_DEP_2)
	v_add_co_u32 v3, vcc_lo, 0x1000, v1
	v_add_co_ci_u32_e32 v4, vcc_lo, 0, v2, vcc_lo
	s_clause 0x7
	flat_load_b32 v9, v[1:2]
	flat_load_b32 v10, v[1:2] offset:1024
	flat_load_b32 v11, v[1:2] offset:2048
	;; [unrolled: 1-line block ×3, first 2 shown]
	flat_load_b32 v13, v[3:4]
	flat_load_b32 v14, v[3:4] offset:1024
	flat_load_b32 v15, v[3:4] offset:2048
	;; [unrolled: 1-line block ×3, first 2 shown]
	v_add_co_u32 v3, vcc_lo, 0x2000, v1
	v_add_co_ci_u32_e32 v4, vcc_lo, 0, v2, vcc_lo
	v_add_co_u32 v1, vcc_lo, 0x3000, v1
	v_add_co_ci_u32_e32 v2, vcc_lo, 0, v2, vcc_lo
	s_clause 0x6
	flat_load_b32 v17, v[3:4]
	flat_load_b32 v18, v[3:4] offset:1024
	flat_load_b32 v19, v[3:4] offset:2048
	;; [unrolled: 1-line block ×3, first 2 shown]
	flat_load_b32 v21, v[1:2]
	flat_load_b32 v22, v[1:2] offset:1024
	flat_load_b32 v25, v[1:2] offset:2048
	v_add_co_u32 v2, s0, s20, v8
	s_delay_alu instid0(VALU_DEP_1) | instskip(SKIP_1) | instid1(VALU_DEP_3)
	v_add_co_ci_u32_e64 v3, null, s29, 0, s0
	v_mad_u32_u24 v1, v0, 56, v8
	v_add_co_u32 v4, vcc_lo, 0x1000, v2
	s_delay_alu instid0(VALU_DEP_3)
	v_add_co_ci_u32_e32 v5, vcc_lo, 0, v3, vcc_lo
	v_add_co_u32 v6, vcc_lo, 0x2000, v2
	v_add_co_ci_u32_e32 v7, vcc_lo, 0, v3, vcc_lo
	v_add_co_u32 v23, vcc_lo, 0x3000, v2
	v_add_co_ci_u32_e32 v24, vcc_lo, 0, v3, vcc_lo
	s_waitcnt vmcnt(13) lgkmcnt(13)
	ds_store_2addr_stride64_b32 v8, v9, v10 offset1:4
	s_waitcnt vmcnt(11) lgkmcnt(12)
	ds_store_2addr_stride64_b32 v8, v11, v12 offset0:8 offset1:12
	s_waitcnt vmcnt(9) lgkmcnt(11)
	ds_store_2addr_stride64_b32 v8, v13, v14 offset0:16 offset1:20
	;; [unrolled: 2-line block ×6, first 2 shown]
	s_waitcnt vmcnt(0) lgkmcnt(7)
	ds_store_b32 v8, v25 offset:14336
	s_waitcnt lgkmcnt(0)
	s_barrier
	buffer_gl0_inv
	ds_load_2addr_b32 v[21:22], v1 offset1:1
	ds_load_2addr_b32 v[19:20], v1 offset0:2 offset1:3
	ds_load_2addr_b32 v[17:18], v1 offset0:4 offset1:5
	;; [unrolled: 1-line block ×6, first 2 shown]
	ds_load_b32 v77, v1 offset:56
	s_waitcnt lgkmcnt(0)
	s_barrier
	buffer_gl0_inv
	s_clause 0xe
	flat_load_b32 v25, v[2:3]
	flat_load_b32 v26, v[2:3] offset:1024
	flat_load_b32 v27, v[2:3] offset:2048
	flat_load_b32 v2, v[2:3] offset:3072
	flat_load_b32 v3, v[4:5]
	flat_load_b32 v28, v[4:5] offset:1024
	flat_load_b32 v29, v[4:5] offset:2048
	flat_load_b32 v4, v[4:5] offset:3072
	;; [unrolled: 4-line block ×3, first 2 shown]
	flat_load_b32 v7, v[23:24]
	flat_load_b32 v32, v[23:24] offset:1024
	flat_load_b32 v23, v[23:24] offset:2048
	s_waitcnt vmcnt(13) lgkmcnt(13)
	ds_store_2addr_stride64_b32 v8, v25, v26 offset1:4
	s_waitcnt vmcnt(11) lgkmcnt(12)
	ds_store_2addr_stride64_b32 v8, v27, v2 offset0:8 offset1:12
	s_waitcnt vmcnt(9) lgkmcnt(11)
	ds_store_2addr_stride64_b32 v8, v3, v28 offset0:16 offset1:20
	;; [unrolled: 2-line block ×6, first 2 shown]
	s_waitcnt vmcnt(0) lgkmcnt(7)
	ds_store_b32 v8, v23 offset:14336
	s_waitcnt lgkmcnt(0)
	s_barrier
	s_and_not1_b32 vcc_lo, exec_lo, s3
	s_add_i32 s19, s19, s40
	s_cbranch_vccz .LBB609_3
	s_branch .LBB609_50
.LBB609_2:
                                        ; implicit-def: $vgpr1
                                        ; implicit-def: $vgpr21
                                        ; implicit-def: $vgpr19
                                        ; implicit-def: $vgpr17
                                        ; implicit-def: $vgpr15
                                        ; implicit-def: $vgpr13
                                        ; implicit-def: $vgpr11
                                        ; implicit-def: $vgpr9
                                        ; implicit-def: $vgpr77
	s_add_i32 s19, s19, s40
.LBB609_3:
	s_delay_alu instid0(SALU_CYCLE_1)
	v_cmp_gt_u32_e32 vcc_lo, s19, v0
                                        ; implicit-def: $vgpr1
	s_and_saveexec_b32 s0, vcc_lo
	s_cbranch_execz .LBB609_5
; %bb.4:
	v_lshlrev_b32_e32 v1, 2, v0
	s_delay_alu instid0(VALU_DEP_1) | instskip(NEXT) | instid1(VALU_DEP_1)
	v_add_co_u32 v1, s1, s14, v1
	v_add_co_ci_u32_e64 v2, null, s21, 0, s1
	flat_load_b32 v1, v[1:2]
.LBB609_5:
	s_or_b32 exec_lo, exec_lo, s0
	v_or_b32_e32 v2, 0x100, v0
                                        ; implicit-def: $vgpr9
	s_delay_alu instid0(VALU_DEP_1) | instskip(NEXT) | instid1(VALU_DEP_1)
	v_cmp_gt_u32_e64 s0, s19, v2
	s_and_saveexec_b32 s1, s0
	s_cbranch_execz .LBB609_7
; %bb.6:
	v_lshlrev_b32_e32 v2, 2, v0
	s_delay_alu instid0(VALU_DEP_1) | instskip(NEXT) | instid1(VALU_DEP_1)
	v_add_co_u32 v2, s2, s14, v2
	v_add_co_ci_u32_e64 v3, null, s21, 0, s2
	flat_load_b32 v9, v[2:3] offset:1024
.LBB609_7:
	s_or_b32 exec_lo, exec_lo, s1
	v_or_b32_e32 v2, 0x200, v0
                                        ; implicit-def: $vgpr10
	s_delay_alu instid0(VALU_DEP_1) | instskip(NEXT) | instid1(VALU_DEP_1)
	v_cmp_gt_u32_e64 s1, s19, v2
	s_and_saveexec_b32 s2, s1
	s_cbranch_execz .LBB609_9
; %bb.8:
	v_lshlrev_b32_e32 v2, 2, v0
	s_delay_alu instid0(VALU_DEP_1) | instskip(NEXT) | instid1(VALU_DEP_1)
	v_add_co_u32 v2, s3, s14, v2
	v_add_co_ci_u32_e64 v3, null, s21, 0, s3
	flat_load_b32 v10, v[2:3] offset:2048
.LBB609_9:
	s_or_b32 exec_lo, exec_lo, s2
	v_or_b32_e32 v2, 0x300, v0
                                        ; implicit-def: $vgpr11
	s_delay_alu instid0(VALU_DEP_1) | instskip(NEXT) | instid1(VALU_DEP_1)
	v_cmp_gt_u32_e64 s2, s19, v2
	s_and_saveexec_b32 s3, s2
	s_cbranch_execz .LBB609_11
; %bb.10:
	v_lshlrev_b32_e32 v2, 2, v0
	s_delay_alu instid0(VALU_DEP_1) | instskip(NEXT) | instid1(VALU_DEP_1)
	v_add_co_u32 v2, s4, s14, v2
	v_add_co_ci_u32_e64 v3, null, s21, 0, s4
	flat_load_b32 v11, v[2:3] offset:3072
.LBB609_11:
	s_or_b32 exec_lo, exec_lo, s3
	v_or_b32_e32 v2, 0x400, v0
                                        ; implicit-def: $vgpr12
	s_delay_alu instid0(VALU_DEP_1) | instskip(NEXT) | instid1(VALU_DEP_1)
	v_cmp_gt_u32_e64 s3, s19, v2
	s_and_saveexec_b32 s4, s3
	s_cbranch_execz .LBB609_13
; %bb.12:
	v_lshlrev_b32_e32 v3, 2, v2
	s_delay_alu instid0(VALU_DEP_1) | instskip(NEXT) | instid1(VALU_DEP_1)
	v_add_co_u32 v3, s5, s14, v3
	v_add_co_ci_u32_e64 v4, null, s21, 0, s5
	flat_load_b32 v12, v[3:4]
.LBB609_13:
	s_or_b32 exec_lo, exec_lo, s4
	v_or_b32_e32 v3, 0x500, v0
                                        ; implicit-def: $vgpr13
	s_delay_alu instid0(VALU_DEP_1) | instskip(NEXT) | instid1(VALU_DEP_1)
	v_cmp_gt_u32_e64 s4, s19, v3
	s_and_saveexec_b32 s5, s4
	s_cbranch_execz .LBB609_15
; %bb.14:
	v_lshlrev_b32_e32 v4, 2, v3
	s_delay_alu instid0(VALU_DEP_1) | instskip(NEXT) | instid1(VALU_DEP_1)
	v_add_co_u32 v4, s6, s14, v4
	v_add_co_ci_u32_e64 v5, null, s21, 0, s6
	flat_load_b32 v13, v[4:5]
.LBB609_15:
	s_or_b32 exec_lo, exec_lo, s5
	v_or_b32_e32 v4, 0x600, v0
                                        ; implicit-def: $vgpr14
	s_delay_alu instid0(VALU_DEP_1) | instskip(NEXT) | instid1(VALU_DEP_1)
	v_cmp_gt_u32_e64 s5, s19, v4
	s_and_saveexec_b32 s6, s5
	s_cbranch_execz .LBB609_17
; %bb.16:
	v_lshlrev_b32_e32 v5, 2, v4
	s_delay_alu instid0(VALU_DEP_1) | instskip(NEXT) | instid1(VALU_DEP_1)
	v_add_co_u32 v5, s7, s14, v5
	v_add_co_ci_u32_e64 v6, null, s21, 0, s7
	flat_load_b32 v14, v[5:6]
.LBB609_17:
	s_or_b32 exec_lo, exec_lo, s6
	v_or_b32_e32 v5, 0x700, v0
                                        ; implicit-def: $vgpr15
	s_delay_alu instid0(VALU_DEP_1) | instskip(NEXT) | instid1(VALU_DEP_1)
	v_cmp_gt_u32_e64 s6, s19, v5
	s_and_saveexec_b32 s7, s6
	s_cbranch_execz .LBB609_19
; %bb.18:
	v_lshlrev_b32_e32 v6, 2, v5
	s_delay_alu instid0(VALU_DEP_1) | instskip(NEXT) | instid1(VALU_DEP_1)
	v_add_co_u32 v6, s8, s14, v6
	v_add_co_ci_u32_e64 v7, null, s21, 0, s8
	flat_load_b32 v15, v[6:7]
.LBB609_19:
	s_or_b32 exec_lo, exec_lo, s7
	v_or_b32_e32 v6, 0x800, v0
                                        ; implicit-def: $vgpr16
	s_delay_alu instid0(VALU_DEP_1) | instskip(NEXT) | instid1(VALU_DEP_1)
	v_cmp_gt_u32_e64 s7, s19, v6
	s_and_saveexec_b32 s8, s7
	s_cbranch_execz .LBB609_21
; %bb.20:
	v_lshlrev_b32_e32 v7, 2, v6
	s_delay_alu instid0(VALU_DEP_1) | instskip(NEXT) | instid1(VALU_DEP_1)
	v_add_co_u32 v7, s9, s14, v7
	v_add_co_ci_u32_e64 v8, null, s21, 0, s9
	flat_load_b32 v16, v[7:8]
.LBB609_21:
	s_or_b32 exec_lo, exec_lo, s8
	v_or_b32_e32 v8, 0x900, v0
                                        ; implicit-def: $vgpr17
	s_delay_alu instid0(VALU_DEP_1) | instskip(NEXT) | instid1(VALU_DEP_1)
	v_cmp_gt_u32_e64 s8, s19, v8
	s_and_saveexec_b32 s9, s8
	s_cbranch_execz .LBB609_23
; %bb.22:
	v_lshlrev_b32_e32 v7, 2, v8
	s_delay_alu instid0(VALU_DEP_1) | instskip(NEXT) | instid1(VALU_DEP_1)
	v_add_co_u32 v17, s10, s14, v7
	v_add_co_ci_u32_e64 v18, null, s21, 0, s10
	flat_load_b32 v17, v[17:18]
.LBB609_23:
	s_or_b32 exec_lo, exec_lo, s9
	v_or_b32_e32 v23, 0xa00, v0
                                        ; implicit-def: $vgpr18
	s_delay_alu instid0(VALU_DEP_1) | instskip(NEXT) | instid1(VALU_DEP_1)
	v_cmp_gt_u32_e64 s9, s19, v23
	s_and_saveexec_b32 s10, s9
	s_cbranch_execz .LBB609_25
; %bb.24:
	v_lshlrev_b32_e32 v7, 2, v23
	s_delay_alu instid0(VALU_DEP_1) | instskip(NEXT) | instid1(VALU_DEP_1)
	v_add_co_u32 v18, s11, s14, v7
	v_add_co_ci_u32_e64 v19, null, s21, 0, s11
	flat_load_b32 v18, v[18:19]
.LBB609_25:
	s_or_b32 exec_lo, exec_lo, s10
	v_or_b32_e32 v24, 0xb00, v0
                                        ; implicit-def: $vgpr19
	s_delay_alu instid0(VALU_DEP_1) | instskip(NEXT) | instid1(VALU_DEP_1)
	v_cmp_gt_u32_e64 s10, s19, v24
	s_and_saveexec_b32 s11, s10
	s_cbranch_execz .LBB609_27
; %bb.26:
	v_lshlrev_b32_e32 v7, 2, v24
	s_delay_alu instid0(VALU_DEP_1) | instskip(NEXT) | instid1(VALU_DEP_1)
	v_add_co_u32 v19, s12, s14, v7
	v_add_co_ci_u32_e64 v20, null, s21, 0, s12
	flat_load_b32 v19, v[19:20]
.LBB609_27:
	s_or_b32 exec_lo, exec_lo, s11
	v_or_b32_e32 v25, 0xc00, v0
                                        ; implicit-def: $vgpr20
	s_delay_alu instid0(VALU_DEP_1) | instskip(NEXT) | instid1(VALU_DEP_1)
	v_cmp_gt_u32_e64 s11, s19, v25
	s_and_saveexec_b32 s12, s11
	s_cbranch_execz .LBB609_29
; %bb.28:
	v_lshlrev_b32_e32 v7, 2, v25
	s_delay_alu instid0(VALU_DEP_1) | instskip(NEXT) | instid1(VALU_DEP_1)
	v_add_co_u32 v20, s13, s14, v7
	v_add_co_ci_u32_e64 v21, null, s21, 0, s13
	flat_load_b32 v20, v[20:21]
.LBB609_29:
	s_or_b32 exec_lo, exec_lo, s12
	v_or_b32_e32 v26, 0xd00, v0
                                        ; implicit-def: $vgpr21
	s_delay_alu instid0(VALU_DEP_1) | instskip(NEXT) | instid1(VALU_DEP_1)
	v_cmp_gt_u32_e64 s12, s19, v26
	s_and_saveexec_b32 s13, s12
	s_cbranch_execz .LBB609_31
; %bb.30:
	v_lshlrev_b32_e32 v7, 2, v26
	s_delay_alu instid0(VALU_DEP_1) | instskip(NEXT) | instid1(VALU_DEP_1)
	v_add_co_u32 v21, s30, s14, v7
	v_add_co_ci_u32_e64 v22, null, s21, 0, s30
	flat_load_b32 v21, v[21:22]
.LBB609_31:
	s_or_b32 exec_lo, exec_lo, s13
	v_or_b32_e32 v27, 0xe00, v0
                                        ; implicit-def: $vgpr22
	s_delay_alu instid0(VALU_DEP_1) | instskip(NEXT) | instid1(VALU_DEP_1)
	v_cmp_gt_u32_e64 s13, s19, v27
	s_and_saveexec_b32 s30, s13
	s_cbranch_execz .LBB609_33
; %bb.32:
	v_lshlrev_b32_e32 v7, 2, v27
	s_delay_alu instid0(VALU_DEP_1) | instskip(NEXT) | instid1(VALU_DEP_1)
	v_add_co_u32 v28, s31, s14, v7
	v_add_co_ci_u32_e64 v29, null, s21, 0, s31
	flat_load_b32 v22, v[28:29]
.LBB609_33:
	s_or_b32 exec_lo, exec_lo, s30
	v_lshlrev_b32_e32 v7, 2, v0
                                        ; implicit-def: $vgpr28
	s_waitcnt vmcnt(0) lgkmcnt(0)
	ds_store_2addr_stride64_b32 v7, v1, v9 offset1:4
	ds_store_2addr_stride64_b32 v7, v10, v11 offset0:8 offset1:12
	ds_store_2addr_stride64_b32 v7, v12, v13 offset0:16 offset1:20
	;; [unrolled: 1-line block ×6, first 2 shown]
	v_mad_u32_u24 v1, v0, 56, v7
	ds_store_b32 v7, v22 offset:14336
	s_waitcnt lgkmcnt(0)
	s_barrier
	buffer_gl0_inv
	ds_load_2addr_b32 v[21:22], v1 offset1:1
	ds_load_2addr_b32 v[19:20], v1 offset0:2 offset1:3
	ds_load_2addr_b32 v[17:18], v1 offset0:4 offset1:5
	;; [unrolled: 1-line block ×6, first 2 shown]
	ds_load_b32 v77, v1 offset:56
	s_waitcnt lgkmcnt(0)
	s_barrier
	buffer_gl0_inv
	s_and_saveexec_b32 s30, vcc_lo
	s_cbranch_execnz .LBB609_57
; %bb.34:
	s_or_b32 exec_lo, exec_lo, s30
                                        ; implicit-def: $vgpr29
	s_and_saveexec_b32 s30, s0
	s_cbranch_execnz .LBB609_58
.LBB609_35:
	s_or_b32 exec_lo, exec_lo, s30
                                        ; implicit-def: $vgpr30
	s_and_saveexec_b32 s0, s1
	s_cbranch_execnz .LBB609_59
.LBB609_36:
	s_or_b32 exec_lo, exec_lo, s0
                                        ; implicit-def: $vgpr31
	s_and_saveexec_b32 s0, s2
	s_cbranch_execnz .LBB609_60
.LBB609_37:
	s_or_b32 exec_lo, exec_lo, s0
                                        ; implicit-def: $vgpr32
	s_and_saveexec_b32 s0, s3
	s_cbranch_execnz .LBB609_61
.LBB609_38:
	s_or_b32 exec_lo, exec_lo, s0
                                        ; implicit-def: $vgpr2
	s_and_saveexec_b32 s0, s4
	s_cbranch_execnz .LBB609_62
.LBB609_39:
	s_or_b32 exec_lo, exec_lo, s0
                                        ; implicit-def: $vgpr3
	s_and_saveexec_b32 s0, s5
	s_cbranch_execnz .LBB609_63
.LBB609_40:
	s_or_b32 exec_lo, exec_lo, s0
                                        ; implicit-def: $vgpr4
	s_and_saveexec_b32 s0, s6
	s_cbranch_execnz .LBB609_64
.LBB609_41:
	s_or_b32 exec_lo, exec_lo, s0
                                        ; implicit-def: $vgpr5
	s_and_saveexec_b32 s0, s7
	s_cbranch_execnz .LBB609_65
.LBB609_42:
	s_or_b32 exec_lo, exec_lo, s0
                                        ; implicit-def: $vgpr6
	s_and_saveexec_b32 s0, s8
	s_cbranch_execnz .LBB609_66
.LBB609_43:
	s_or_b32 exec_lo, exec_lo, s0
                                        ; implicit-def: $vgpr8
	s_and_saveexec_b32 s0, s9
	s_cbranch_execnz .LBB609_67
.LBB609_44:
	s_or_b32 exec_lo, exec_lo, s0
                                        ; implicit-def: $vgpr23
	s_and_saveexec_b32 s0, s10
	s_cbranch_execnz .LBB609_68
.LBB609_45:
	s_or_b32 exec_lo, exec_lo, s0
                                        ; implicit-def: $vgpr24
	s_and_saveexec_b32 s0, s11
	s_cbranch_execnz .LBB609_69
.LBB609_46:
	s_or_b32 exec_lo, exec_lo, s0
                                        ; implicit-def: $vgpr25
	s_and_saveexec_b32 s0, s12
	s_cbranch_execnz .LBB609_70
.LBB609_47:
	s_or_b32 exec_lo, exec_lo, s0
                                        ; implicit-def: $vgpr26
	s_and_saveexec_b32 s0, s13
	s_cbranch_execz .LBB609_49
.LBB609_48:
	v_lshlrev_b32_e32 v26, 2, v27
	s_delay_alu instid0(VALU_DEP_1) | instskip(NEXT) | instid1(VALU_DEP_1)
	v_add_co_u32 v26, s1, s20, v26
	v_add_co_ci_u32_e64 v27, null, s29, 0, s1
	flat_load_b32 v26, v[26:27]
.LBB609_49:
	s_or_b32 exec_lo, exec_lo, s0
	s_waitcnt vmcnt(0) lgkmcnt(0)
	ds_store_2addr_stride64_b32 v7, v28, v29 offset1:4
	ds_store_2addr_stride64_b32 v7, v30, v31 offset0:8 offset1:12
	ds_store_2addr_stride64_b32 v7, v32, v2 offset0:16 offset1:20
	;; [unrolled: 1-line block ×6, first 2 shown]
	ds_store_b32 v7, v26 offset:14336
	s_waitcnt lgkmcnt(0)
	s_barrier
.LBB609_50:
	buffer_gl0_inv
	ds_load_2addr_b32 v[49:50], v1 offset1:1
	ds_load_2addr_b32 v[47:48], v1 offset0:2 offset1:3
	ds_load_2addr_b32 v[45:46], v1 offset0:4 offset1:5
	;; [unrolled: 1-line block ×6, first 2 shown]
	ds_load_b32 v79, v1 offset:56
	s_cmp_eq_u64 s[16:17], 0
	s_waitcnt lgkmcnt(0)
	s_cselect_b32 s20, -1, 0
	s_cmp_lg_u64 s[16:17], 0
	s_barrier
	s_cselect_b32 s29, -1, 0
	s_and_b32 vcc_lo, exec_lo, s28
	buffer_gl0_inv
	s_cbranch_vccz .LBB609_56
; %bb.51:
	s_and_b32 vcc_lo, exec_lo, s29
	s_cbranch_vccz .LBB609_71
; %bb.52:
	v_add_co_u32 v1, s0, -4, s14
	s_delay_alu instid0(VALU_DEP_1)
	v_add_co_ci_u32_e64 v2, null, -1, s21, s0
	v_mul_hi_i32 v3, 0x66666667, v10
	v_mul_hi_i32 v4, 0x66666667, v77
	;; [unrolled: 1-line block ×3, first 2 shown]
	flat_load_b32 v1, v[1:2]
	v_mul_hi_i32 v23, 0x66666667, v12
	v_mul_hi_i32 v24, 0x66666667, v11
	;; [unrolled: 1-line block ×3, first 2 shown]
	v_lshlrev_b32_e32 v2, 2, v0
	v_lshrrev_b32_e32 v6, 31, v3
	v_ashrrev_i32_e32 v3, 2, v3
	v_lshrrev_b32_e32 v7, 31, v4
	v_ashrrev_i32_e32 v4, 2, v4
	;; [unrolled: 2-line block ×3, first 2 shown]
	v_add_nc_u32_e32 v3, v3, v6
	v_mul_hi_i32 v6, 0x66666667, v14
	v_add_nc_u32_e32 v4, v4, v7
	v_lshrrev_b32_e32 v7, 31, v23
	v_add_nc_u32_e32 v5, v5, v8
	v_ashrrev_i32_e32 v8, 2, v23
	v_lshrrev_b32_e32 v23, 31, v24
	v_ashrrev_i32_e32 v24, 2, v24
	v_cmp_ne_u32_e32 vcc_lo, v3, v4
	v_cmp_ne_u32_e64 s0, v5, v3
	v_add_nc_u32_e32 v3, v8, v7
	v_lshrrev_b32_e32 v26, 31, v6
	v_ashrrev_i32_e32 v6, 2, v6
	v_add_nc_u32_e32 v4, v24, v23
	v_mul_hi_i32 v8, 0x66666667, v16
	v_mul_hi_i32 v24, 0x66666667, v15
	v_cmp_ne_u32_e64 s1, v3, v5
	v_mul_hi_i32 v5, 0x66666667, v18
	v_add_nc_u32_e32 v6, v6, v26
	v_lshrrev_b32_e32 v7, 31, v25
	v_ashrrev_i32_e32 v23, 2, v25
	v_cmp_ne_u32_e64 s2, v4, v3
	s_mov_b32 s28, -1
	v_cmp_ne_u32_e64 s3, v6, v4
	v_lshrrev_b32_e32 v4, 31, v8
	v_add_nc_u32_e32 v3, v23, v7
	v_ashrrev_i32_e32 v7, 2, v8
	v_lshrrev_b32_e32 v8, 31, v24
	v_ashrrev_i32_e32 v23, 2, v24
	v_lshrrev_b32_e32 v24, 31, v5
	v_ashrrev_i32_e32 v5, 2, v5
	v_add_nc_u32_e32 v4, v7, v4
	v_cmp_ne_u32_e64 s4, v3, v6
	v_add_nc_u32_e32 v6, v23, v8
	v_mul_hi_i32 v7, 0x66666667, v17
	v_add_nc_u32_e32 v5, v5, v24
	v_cmp_ne_u32_e64 s5, v4, v3
	v_mul_hi_i32 v3, 0x66666667, v20
	v_cmp_ne_u32_e64 s6, v6, v4
	v_mul_hi_i32 v4, 0x66666667, v19
	;; [unrolled: 2-line block ×3, first 2 shown]
	v_mul_hi_i32 v23, 0x66666667, v21
	v_lshrrev_b32_e32 v8, 31, v7
	v_ashrrev_i32_e32 v7, 2, v7
	v_lshrrev_b32_e32 v24, 31, v3
	v_ashrrev_i32_e32 v3, 2, v3
	;; [unrolled: 2-line block ×5, first 2 shown]
	v_add_nc_u32_e32 v7, v7, v8
	v_add_nc_u32_e32 v8, v3, v24
	;; [unrolled: 1-line block ×5, first 2 shown]
	v_cmp_ne_u32_e64 s12, v7, v5
	v_cmp_ne_u32_e64 s8, v8, v7
	;; [unrolled: 1-line block ×5, first 2 shown]
	s_mov_b32 s30, 0
	s_mov_b32 s31, exec_lo
	ds_store_b32 v2, v77
	s_waitcnt vmcnt(0) lgkmcnt(0)
	s_barrier
	buffer_gl0_inv
	v_cmpx_ne_u32_e32 0, v0
	s_cbranch_execz .LBB609_54
; %bb.53:
	v_add_nc_u32_e32 v1, -4, v2
	ds_load_b32 v1, v1
.LBB609_54:
	s_or_b32 exec_lo, exec_lo, s31
	s_waitcnt lgkmcnt(0)
	v_mul_hi_i32 v1, 0x66666667, v1
	v_cndmask_b32_e64 v78, 0, 1, vcc_lo
	v_cndmask_b32_e64 v24, 0, 1, s0
	v_cndmask_b32_e64 v23, 0, 1, s1
	;; [unrolled: 1-line block ×6, first 2 shown]
	v_lshrrev_b32_e32 v2, 31, v1
	v_ashrrev_i32_e32 v1, 2, v1
	v_cndmask_b32_e64 v30, 0, 1, s6
	v_cndmask_b32_e64 v29, 0, 1, s7
	;; [unrolled: 1-line block ×4, first 2 shown]
	v_add_nc_u32_e32 v1, v1, v2
	v_cndmask_b32_e64 v34, 0, 1, s9
	v_cndmask_b32_e64 v33, 0, 1, s10
	;; [unrolled: 1-line block ×3, first 2 shown]
	s_delay_alu instid0(VALU_DEP_4)
	v_cmp_ne_u32_e64 s2, v1, v3
	s_and_b32 vcc_lo, exec_lo, s30
	s_cbranch_vccnz .LBB609_72
.LBB609_55:
                                        ; implicit-def: $sgpr0
	s_branch .LBB609_110
.LBB609_56:
	s_mov_b32 s28, 0
                                        ; implicit-def: $sgpr2
                                        ; implicit-def: $vgpr78
                                        ; implicit-def: $vgpr24
                                        ; implicit-def: $vgpr23
                                        ; implicit-def: $vgpr26
                                        ; implicit-def: $vgpr25
                                        ; implicit-def: $vgpr28
                                        ; implicit-def: $vgpr27
                                        ; implicit-def: $vgpr30
                                        ; implicit-def: $vgpr29
                                        ; implicit-def: $vgpr32
                                        ; implicit-def: $vgpr31
                                        ; implicit-def: $vgpr34
                                        ; implicit-def: $vgpr33
                                        ; implicit-def: $vgpr36
                                        ; implicit-def: $sgpr0
	s_cbranch_execnz .LBB609_75
	s_branch .LBB609_110
.LBB609_57:
	v_add_co_u32 v28, s31, s20, v7
	s_delay_alu instid0(VALU_DEP_1)
	v_add_co_ci_u32_e64 v29, null, s29, 0, s31
	flat_load_b32 v28, v[28:29]
	s_or_b32 exec_lo, exec_lo, s30
                                        ; implicit-def: $vgpr29
	s_and_saveexec_b32 s30, s0
	s_cbranch_execz .LBB609_35
.LBB609_58:
	v_add_co_u32 v29, s0, s20, v7
	s_delay_alu instid0(VALU_DEP_1)
	v_add_co_ci_u32_e64 v30, null, s29, 0, s0
	flat_load_b32 v29, v[29:30] offset:1024
	s_or_b32 exec_lo, exec_lo, s30
                                        ; implicit-def: $vgpr30
	s_and_saveexec_b32 s0, s1
	s_cbranch_execz .LBB609_36
.LBB609_59:
	v_add_co_u32 v30, s1, s20, v7
	s_delay_alu instid0(VALU_DEP_1)
	v_add_co_ci_u32_e64 v31, null, s29, 0, s1
	flat_load_b32 v30, v[30:31] offset:2048
	s_or_b32 exec_lo, exec_lo, s0
                                        ; implicit-def: $vgpr31
	s_and_saveexec_b32 s0, s2
	s_cbranch_execz .LBB609_37
.LBB609_60:
	v_add_co_u32 v31, s1, s20, v7
	s_delay_alu instid0(VALU_DEP_1)
	v_add_co_ci_u32_e64 v32, null, s29, 0, s1
	flat_load_b32 v31, v[31:32] offset:3072
	s_or_b32 exec_lo, exec_lo, s0
                                        ; implicit-def: $vgpr32
	s_and_saveexec_b32 s0, s3
	s_cbranch_execz .LBB609_38
.LBB609_61:
	v_lshlrev_b32_e32 v2, 2, v2
	s_delay_alu instid0(VALU_DEP_1) | instskip(NEXT) | instid1(VALU_DEP_1)
	v_add_co_u32 v32, s1, s20, v2
	v_add_co_ci_u32_e64 v33, null, s29, 0, s1
	flat_load_b32 v32, v[32:33]
	s_or_b32 exec_lo, exec_lo, s0
                                        ; implicit-def: $vgpr2
	s_and_saveexec_b32 s0, s4
	s_cbranch_execz .LBB609_39
.LBB609_62:
	v_lshlrev_b32_e32 v2, 2, v3
	s_delay_alu instid0(VALU_DEP_1) | instskip(NEXT) | instid1(VALU_DEP_1)
	v_add_co_u32 v2, s1, s20, v2
	v_add_co_ci_u32_e64 v3, null, s29, 0, s1
	flat_load_b32 v2, v[2:3]
	s_or_b32 exec_lo, exec_lo, s0
                                        ; implicit-def: $vgpr3
	s_and_saveexec_b32 s0, s5
	s_cbranch_execz .LBB609_40
.LBB609_63:
	v_lshlrev_b32_e32 v3, 2, v4
	s_delay_alu instid0(VALU_DEP_1) | instskip(NEXT) | instid1(VALU_DEP_1)
	v_add_co_u32 v3, s1, s20, v3
	v_add_co_ci_u32_e64 v4, null, s29, 0, s1
	flat_load_b32 v3, v[3:4]
	s_or_b32 exec_lo, exec_lo, s0
                                        ; implicit-def: $vgpr4
	s_and_saveexec_b32 s0, s6
	s_cbranch_execz .LBB609_41
.LBB609_64:
	v_lshlrev_b32_e32 v4, 2, v5
	s_delay_alu instid0(VALU_DEP_1) | instskip(NEXT) | instid1(VALU_DEP_1)
	v_add_co_u32 v4, s1, s20, v4
	v_add_co_ci_u32_e64 v5, null, s29, 0, s1
	flat_load_b32 v4, v[4:5]
	s_or_b32 exec_lo, exec_lo, s0
                                        ; implicit-def: $vgpr5
	s_and_saveexec_b32 s0, s7
	s_cbranch_execz .LBB609_42
.LBB609_65:
	v_lshlrev_b32_e32 v5, 2, v6
	s_delay_alu instid0(VALU_DEP_1) | instskip(NEXT) | instid1(VALU_DEP_1)
	v_add_co_u32 v5, s1, s20, v5
	v_add_co_ci_u32_e64 v6, null, s29, 0, s1
	flat_load_b32 v5, v[5:6]
	s_or_b32 exec_lo, exec_lo, s0
                                        ; implicit-def: $vgpr6
	s_and_saveexec_b32 s0, s8
	s_cbranch_execz .LBB609_43
.LBB609_66:
	v_lshlrev_b32_e32 v6, 2, v8
	s_delay_alu instid0(VALU_DEP_1) | instskip(NEXT) | instid1(VALU_DEP_1)
	v_add_co_u32 v33, s1, s20, v6
	v_add_co_ci_u32_e64 v34, null, s29, 0, s1
	flat_load_b32 v6, v[33:34]
	s_or_b32 exec_lo, exec_lo, s0
                                        ; implicit-def: $vgpr8
	s_and_saveexec_b32 s0, s9
	s_cbranch_execz .LBB609_44
.LBB609_67:
	v_lshlrev_b32_e32 v8, 2, v23
	s_delay_alu instid0(VALU_DEP_1) | instskip(NEXT) | instid1(VALU_DEP_1)
	v_add_co_u32 v33, s1, s20, v8
	v_add_co_ci_u32_e64 v34, null, s29, 0, s1
	flat_load_b32 v8, v[33:34]
	s_or_b32 exec_lo, exec_lo, s0
                                        ; implicit-def: $vgpr23
	s_and_saveexec_b32 s0, s10
	s_cbranch_execz .LBB609_45
.LBB609_68:
	v_lshlrev_b32_e32 v23, 2, v24
	s_delay_alu instid0(VALU_DEP_1) | instskip(NEXT) | instid1(VALU_DEP_1)
	v_add_co_u32 v23, s1, s20, v23
	v_add_co_ci_u32_e64 v24, null, s29, 0, s1
	flat_load_b32 v23, v[23:24]
	s_or_b32 exec_lo, exec_lo, s0
                                        ; implicit-def: $vgpr24
	s_and_saveexec_b32 s0, s11
	s_cbranch_execz .LBB609_46
.LBB609_69:
	v_lshlrev_b32_e32 v24, 2, v25
	s_delay_alu instid0(VALU_DEP_1) | instskip(NEXT) | instid1(VALU_DEP_1)
	v_add_co_u32 v24, s1, s20, v24
	v_add_co_ci_u32_e64 v25, null, s29, 0, s1
	flat_load_b32 v24, v[24:25]
	s_or_b32 exec_lo, exec_lo, s0
                                        ; implicit-def: $vgpr25
	s_and_saveexec_b32 s0, s12
	s_cbranch_execz .LBB609_47
.LBB609_70:
	v_lshlrev_b32_e32 v25, 2, v26
	s_delay_alu instid0(VALU_DEP_1) | instskip(NEXT) | instid1(VALU_DEP_1)
	v_add_co_u32 v25, s1, s20, v25
	v_add_co_ci_u32_e64 v26, null, s29, 0, s1
	flat_load_b32 v25, v[25:26]
	s_or_b32 exec_lo, exec_lo, s0
                                        ; implicit-def: $vgpr26
	s_and_saveexec_b32 s0, s13
	s_cbranch_execnz .LBB609_48
	s_branch .LBB609_49
.LBB609_71:
	s_mov_b32 s28, 0
                                        ; implicit-def: $sgpr2
                                        ; implicit-def: $vgpr78
                                        ; implicit-def: $vgpr24
                                        ; implicit-def: $vgpr23
                                        ; implicit-def: $vgpr26
                                        ; implicit-def: $vgpr25
                                        ; implicit-def: $vgpr28
                                        ; implicit-def: $vgpr27
                                        ; implicit-def: $vgpr30
                                        ; implicit-def: $vgpr29
                                        ; implicit-def: $vgpr32
                                        ; implicit-def: $vgpr31
                                        ; implicit-def: $vgpr34
                                        ; implicit-def: $vgpr33
                                        ; implicit-def: $vgpr36
	s_cbranch_execz .LBB609_55
.LBB609_72:
	v_mul_hi_i32 v1, 0x66666667, v10
	v_mul_hi_i32 v2, 0x66666667, v77
	;; [unrolled: 1-line block ×8, first 2 shown]
	v_lshrrev_b32_e32 v6, 31, v1
	v_ashrrev_i32_e32 v7, 2, v1
	v_lshrrev_b32_e32 v8, 31, v2
	v_ashrrev_i32_e32 v2, 2, v2
	;; [unrolled: 2-line block ×3, first 2 shown]
	v_add_nc_u32_e32 v6, v7, v6
	v_lshrrev_b32_e32 v7, 31, v4
	v_add_nc_u32_e32 v2, v2, v8
	v_ashrrev_i32_e32 v4, 2, v4
	v_add_nc_u32_e32 v3, v3, v23
	v_mul_hi_i32 v23, 0x66666667, v14
	v_lshrrev_b32_e32 v8, 31, v5
	v_cmp_ne_u32_e32 vcc_lo, v6, v2
	v_ashrrev_i32_e32 v5, 2, v5
	v_add_nc_u32_e32 v2, v4, v7
	v_lshrrev_b32_e32 v7, 31, v25
	v_lshlrev_b32_e32 v1, 2, v0
	v_cndmask_b32_e64 v78, 0, 1, vcc_lo
	v_cmp_ne_u32_e32 vcc_lo, v3, v6
	v_add_nc_u32_e32 v4, v5, v8
	v_lshrrev_b32_e32 v5, 31, v23
	v_ashrrev_i32_e32 v6, 2, v23
	v_ashrrev_i32_e32 v8, 2, v25
	v_cndmask_b32_e64 v24, 0, 1, vcc_lo
	v_cmp_ne_u32_e32 vcc_lo, v2, v3
	v_mul_hi_i32 v25, 0x66666667, v16
	s_mov_b32 s0, exec_lo
	v_add_nc_u32_e32 v3, v8, v7
	v_lshrrev_b32_e32 v7, 31, v27
	v_cndmask_b32_e64 v23, 0, 1, vcc_lo
	v_cmp_ne_u32_e32 vcc_lo, v4, v2
	v_add_nc_u32_e32 v2, v6, v5
	v_ashrrev_i32_e32 v8, 2, v27
	v_mul_hi_i32 v27, 0x66666667, v18
	v_lshrrev_b32_e32 v5, 31, v25
	v_cndmask_b32_e64 v26, 0, 1, vcc_lo
	v_ashrrev_i32_e32 v6, 2, v25
	v_cmp_ne_u32_e32 vcc_lo, v2, v4
	v_add_nc_u32_e32 v4, v8, v7
	v_lshrrev_b32_e32 v7, 31, v29
	v_ashrrev_i32_e32 v8, 2, v29
	ds_store_b32 v1, v77
	v_cndmask_b32_e64 v25, 0, 1, vcc_lo
	v_cmp_ne_u32_e32 vcc_lo, v3, v2
	v_add_nc_u32_e32 v2, v6, v5
	v_lshrrev_b32_e32 v5, 31, v27
	v_ashrrev_i32_e32 v6, 2, v27
	s_waitcnt lgkmcnt(0)
	v_cndmask_b32_e64 v28, 0, 1, vcc_lo
	v_cmp_ne_u32_e32 vcc_lo, v2, v3
	s_barrier
	v_add_nc_u32_e32 v3, v6, v5
	v_mul_hi_i32 v5, 0x66666667, v20
	v_mul_hi_i32 v6, 0x66666667, v19
	v_cndmask_b32_e64 v27, 0, 1, vcc_lo
	v_cmp_ne_u32_e32 vcc_lo, v4, v2
	v_add_nc_u32_e32 v2, v8, v7
	buffer_gl0_inv
                                        ; implicit-def: $sgpr2
	v_cndmask_b32_e64 v30, 0, 1, vcc_lo
	v_cmp_ne_u32_e32 vcc_lo, v3, v4
	v_lshrrev_b32_e32 v7, 31, v5
	v_ashrrev_i32_e32 v5, 2, v5
	v_mul_hi_i32 v4, 0x66666667, v22
	v_lshrrev_b32_e32 v8, 31, v6
	v_cndmask_b32_e64 v29, 0, 1, vcc_lo
	v_cmp_ne_u32_e32 vcc_lo, v2, v3
	v_ashrrev_i32_e32 v6, 2, v6
	v_add_nc_u32_e32 v5, v5, v7
	v_mul_hi_i32 v3, 0x66666667, v21
	v_cndmask_b32_e64 v32, 0, 1, vcc_lo
	v_lshrrev_b32_e32 v31, 31, v4
	v_ashrrev_i32_e32 v4, 2, v4
	v_add_nc_u32_e32 v6, v6, v8
	v_cmp_ne_u32_e32 vcc_lo, v5, v2
	v_lshrrev_b32_e32 v7, 31, v3
	v_ashrrev_i32_e32 v3, 2, v3
	v_add_nc_u32_e32 v4, v4, v31
	v_cndmask_b32_e64 v31, 0, 1, vcc_lo
	v_cmp_ne_u32_e32 vcc_lo, v6, v5
	s_delay_alu instid0(VALU_DEP_4) | instskip(SKIP_3) | instid1(VALU_DEP_4)
	v_add_nc_u32_e32 v2, v3, v7
	v_cndmask_b32_e64 v34, 0, 1, vcc_lo
	v_cmp_ne_u32_e32 vcc_lo, v4, v6
	v_cndmask_b32_e64 v33, 0, 1, vcc_lo
	v_cmp_ne_u32_e32 vcc_lo, v2, v4
	v_cndmask_b32_e64 v36, 0, 1, vcc_lo
	v_cmpx_ne_u32_e32 0, v0
	s_xor_b32 s0, exec_lo, s0
	s_cbranch_execz .LBB609_74
; %bb.73:
	v_add_nc_u32_e32 v1, -4, v1
	s_or_b32 s28, s28, exec_lo
	ds_load_b32 v1, v1
	s_waitcnt lgkmcnt(0)
	v_mul_hi_i32 v1, 0x66666667, v1
	s_delay_alu instid0(VALU_DEP_1) | instskip(SKIP_1) | instid1(VALU_DEP_1)
	v_lshrrev_b32_e32 v3, 31, v1
	v_ashrrev_i32_e32 v1, 2, v1
	v_add_nc_u32_e32 v1, v1, v3
	s_delay_alu instid0(VALU_DEP_1)
	v_cmp_ne_u32_e32 vcc_lo, v1, v2
	s_and_b32 s2, vcc_lo, exec_lo
.LBB609_74:
	s_or_b32 exec_lo, exec_lo, s0
	s_mov_b32 s0, 1
	s_branch .LBB609_110
.LBB609_75:
	s_mul_hi_u32 s0, s16, 0xfffff100
	s_mul_i32 s1, s17, 0xfffff100
	s_sub_i32 s0, s0, s16
	s_mul_i32 s2, s16, 0xfffff100
	s_add_i32 s1, s0, s1
	s_add_u32 s0, s2, s40
	s_addc_u32 s1, s1, s41
	s_and_b32 vcc_lo, exec_lo, s29
	s_cbranch_vccz .LBB609_195
; %bb.76:
	v_add_co_u32 v1, s2, -4, s14
	s_delay_alu instid0(VALU_DEP_1)
	v_add_co_ci_u32_e64 v2, null, -1, s21, s2
	v_mad_u32_u24 v23, v0, 15, 14
	v_mov_b32_e32 v24, 0
	v_mov_b32_e32 v78, 0
	flat_load_b32 v3, v[1:2]
	v_lshlrev_b32_e32 v2, 2, v0
	v_mul_u32_u24_e32 v1, 15, v0
	s_mov_b32 s2, exec_lo
	ds_store_b32 v2, v77
	v_cmpx_gt_u64_e64 s[0:1], v[23:24]
; %bb.77:
	v_mul_hi_i32 v4, 0x66666667, v10
	v_mul_hi_i32 v5, 0x66666667, v77
	s_delay_alu instid0(VALU_DEP_2) | instskip(SKIP_1) | instid1(VALU_DEP_3)
	v_lshrrev_b32_e32 v6, 31, v4
	v_ashrrev_i32_e32 v4, 2, v4
	v_lshrrev_b32_e32 v7, 31, v5
	v_ashrrev_i32_e32 v5, 2, v5
	s_delay_alu instid0(VALU_DEP_3) | instskip(NEXT) | instid1(VALU_DEP_2)
	v_add_nc_u32_e32 v4, v4, v6
	v_add_nc_u32_e32 v5, v5, v7
	s_delay_alu instid0(VALU_DEP_1)
	v_cmp_ne_u32_e32 vcc_lo, v4, v5
	v_cndmask_b32_e64 v78, 0, 1, vcc_lo
; %bb.78:
	s_or_b32 exec_lo, exec_lo, s2
	v_add_nc_u32_e32 v23, 13, v1
	s_mov_b32 s2, exec_lo
	s_delay_alu instid0(VALU_DEP_1)
	v_cmpx_gt_u64_e64 s[0:1], v[23:24]
; %bb.79:
	v_mul_hi_i32 v4, 0x66666667, v9
	v_mul_hi_i32 v5, 0x66666667, v10
	s_delay_alu instid0(VALU_DEP_2) | instskip(SKIP_1) | instid1(VALU_DEP_3)
	v_lshrrev_b32_e32 v6, 31, v4
	v_ashrrev_i32_e32 v4, 2, v4
	v_lshrrev_b32_e32 v7, 31, v5
	v_ashrrev_i32_e32 v5, 2, v5
	s_delay_alu instid0(VALU_DEP_3) | instskip(NEXT) | instid1(VALU_DEP_2)
	v_add_nc_u32_e32 v4, v4, v6
	v_add_nc_u32_e32 v5, v5, v7
	s_delay_alu instid0(VALU_DEP_1)
	v_cmp_ne_u32_e32 vcc_lo, v4, v5
	v_cndmask_b32_e64 v24, 0, 1, vcc_lo
; %bb.80:
	s_or_b32 exec_lo, exec_lo, s2
	v_dual_mov_b32 v26, 0 :: v_dual_add_nc_u32 v25, 12, v1
	v_mov_b32_e32 v23, 0
	s_mov_b32 s2, exec_lo
	s_delay_alu instid0(VALU_DEP_2)
	v_cmpx_gt_u64_e64 s[0:1], v[25:26]
; %bb.81:
	v_mul_hi_i32 v4, 0x66666667, v12
	v_mul_hi_i32 v5, 0x66666667, v9
	s_delay_alu instid0(VALU_DEP_2) | instskip(SKIP_1) | instid1(VALU_DEP_3)
	v_lshrrev_b32_e32 v6, 31, v4
	v_ashrrev_i32_e32 v4, 2, v4
	v_lshrrev_b32_e32 v7, 31, v5
	v_ashrrev_i32_e32 v5, 2, v5
	s_delay_alu instid0(VALU_DEP_3) | instskip(NEXT) | instid1(VALU_DEP_2)
	v_add_nc_u32_e32 v4, v4, v6
	v_add_nc_u32_e32 v5, v5, v7
	s_delay_alu instid0(VALU_DEP_1)
	v_cmp_ne_u32_e32 vcc_lo, v4, v5
	v_cndmask_b32_e64 v23, 0, 1, vcc_lo
; %bb.82:
	s_or_b32 exec_lo, exec_lo, s2
	v_add_nc_u32_e32 v25, 11, v1
	s_mov_b32 s2, exec_lo
	s_delay_alu instid0(VALU_DEP_1)
	v_cmpx_gt_u64_e64 s[0:1], v[25:26]
; %bb.83:
	v_mul_hi_i32 v4, 0x66666667, v11
	v_mul_hi_i32 v5, 0x66666667, v12
	s_delay_alu instid0(VALU_DEP_2) | instskip(SKIP_1) | instid1(VALU_DEP_3)
	v_lshrrev_b32_e32 v6, 31, v4
	v_ashrrev_i32_e32 v4, 2, v4
	v_lshrrev_b32_e32 v7, 31, v5
	v_ashrrev_i32_e32 v5, 2, v5
	s_delay_alu instid0(VALU_DEP_3) | instskip(NEXT) | instid1(VALU_DEP_2)
	v_add_nc_u32_e32 v4, v4, v6
	v_add_nc_u32_e32 v5, v5, v7
	s_delay_alu instid0(VALU_DEP_1)
	v_cmp_ne_u32_e32 vcc_lo, v4, v5
	v_cndmask_b32_e64 v26, 0, 1, vcc_lo
; %bb.84:
	s_or_b32 exec_lo, exec_lo, s2
	v_dual_mov_b32 v28, 0 :: v_dual_add_nc_u32 v27, 10, v1
	v_mov_b32_e32 v25, 0
	s_mov_b32 s2, exec_lo
	s_delay_alu instid0(VALU_DEP_2)
	;; [unrolled: 41-line block ×6, first 2 shown]
	v_cmpx_gt_u64_e64 s[0:1], v[35:36]
; %bb.101:
	v_mul_hi_i32 v4, 0x66666667, v22
	v_mul_hi_i32 v5, 0x66666667, v19
	s_delay_alu instid0(VALU_DEP_2) | instskip(SKIP_1) | instid1(VALU_DEP_3)
	v_lshrrev_b32_e32 v6, 31, v4
	v_ashrrev_i32_e32 v4, 2, v4
	v_lshrrev_b32_e32 v7, 31, v5
	v_ashrrev_i32_e32 v5, 2, v5
	s_delay_alu instid0(VALU_DEP_3) | instskip(NEXT) | instid1(VALU_DEP_2)
	v_add_nc_u32_e32 v4, v4, v6
	v_add_nc_u32_e32 v5, v5, v7
	s_delay_alu instid0(VALU_DEP_1)
	v_cmp_ne_u32_e32 vcc_lo, v4, v5
	v_cndmask_b32_e64 v33, 0, 1, vcc_lo
; %bb.102:
	s_or_b32 exec_lo, exec_lo, s2
	v_add_nc_u32_e32 v35, 1, v1
	s_mov_b32 s2, exec_lo
	s_delay_alu instid0(VALU_DEP_1)
	v_cmpx_gt_u64_e64 s[0:1], v[35:36]
; %bb.103:
	v_mul_hi_i32 v4, 0x66666667, v21
	v_mul_hi_i32 v5, 0x66666667, v22
	s_delay_alu instid0(VALU_DEP_2) | instskip(SKIP_1) | instid1(VALU_DEP_3)
	v_lshrrev_b32_e32 v6, 31, v4
	v_ashrrev_i32_e32 v4, 2, v4
	v_lshrrev_b32_e32 v7, 31, v5
	v_ashrrev_i32_e32 v5, 2, v5
	s_delay_alu instid0(VALU_DEP_3) | instskip(NEXT) | instid1(VALU_DEP_2)
	v_add_nc_u32_e32 v4, v4, v6
	v_add_nc_u32_e32 v5, v5, v7
	s_delay_alu instid0(VALU_DEP_1)
	v_cmp_ne_u32_e32 vcc_lo, v4, v5
	v_cndmask_b32_e64 v36, 0, 1, vcc_lo
; %bb.104:
	s_or_b32 exec_lo, exec_lo, s2
	s_mov_b32 s2, 0
	s_mov_b32 s3, exec_lo
	s_waitcnt vmcnt(0) lgkmcnt(0)
	s_barrier
	buffer_gl0_inv
	v_cmpx_ne_u32_e32 0, v0
	s_cbranch_execz .LBB609_106
; %bb.105:
	v_add_nc_u32_e32 v2, -4, v2
	ds_load_b32 v3, v2
.LBB609_106:
	s_or_b32 exec_lo, exec_lo, s3
	v_mov_b32_e32 v2, 0
	s_mov_b32 s3, exec_lo
	s_delay_alu instid0(VALU_DEP_1)
	v_cmpx_gt_u64_e64 s[0:1], v[1:2]
	s_cbranch_execz .LBB609_108
; %bb.107:
	s_waitcnt lgkmcnt(0)
	v_mul_hi_i32 v1, 0x66666667, v3
	v_mul_hi_i32 v2, 0x66666667, v21
	s_delay_alu instid0(VALU_DEP_2) | instskip(SKIP_1) | instid1(VALU_DEP_3)
	v_lshrrev_b32_e32 v3, 31, v1
	v_ashrrev_i32_e32 v1, 2, v1
	v_lshrrev_b32_e32 v4, 31, v2
	v_ashrrev_i32_e32 v2, 2, v2
	s_delay_alu instid0(VALU_DEP_3) | instskip(NEXT) | instid1(VALU_DEP_2)
	v_add_nc_u32_e32 v1, v1, v3
	v_add_nc_u32_e32 v2, v2, v4
	s_delay_alu instid0(VALU_DEP_1)
	v_cmp_ne_u32_e32 vcc_lo, v1, v2
	s_and_b32 s2, vcc_lo, exec_lo
.LBB609_108:
	s_or_b32 exec_lo, exec_lo, s3
	s_mov_b32 s28, -1
.LBB609_109:
                                        ; implicit-def: $sgpr0
.LBB609_110:
	v_mov_b32_e32 v35, s0
	s_and_saveexec_b32 s0, s28
.LBB609_111:
	v_cndmask_b32_e64 v35, 0, 1, s2
.LBB609_112:
	s_or_b32 exec_lo, exec_lo, s0
	s_delay_alu instid0(VALU_DEP_1)
	v_add3_u32 v1, v36, v35, v33
	v_cmp_eq_u32_e64 s12, 0, v36
	v_cmp_eq_u32_e64 s11, 0, v33
	;; [unrolled: 1-line block ×4, first 2 shown]
	v_add3_u32 v84, v1, v34, v31
	v_cmp_eq_u32_e64 s8, 0, v32
	v_cmp_eq_u32_e64 s7, 0, v29
	;; [unrolled: 1-line block ×9, first 2 shown]
	v_cmp_eq_u32_e32 vcc_lo, 0, v78
	v_mbcnt_lo_u32_b32 v81, -1, 0
	v_lshrrev_b32_e32 v82, 5, v0
	v_or_b32_e32 v83, 31, v0
	s_cmp_eq_u64 s[26:27], 0
	s_cselect_b32 s16, -1, 0
	s_cmp_lg_u32 s15, 0
	s_cbranch_scc0 .LBB609_143
; %bb.113:
	v_cndmask_b32_e64 v1, 0, v49, s12
	v_add3_u32 v2, v84, v32, v29
	s_delay_alu instid0(VALU_DEP_2) | instskip(NEXT) | instid1(VALU_DEP_2)
	v_add_nc_u32_e32 v1, v1, v50
	v_add3_u32 v2, v2, v30, v27
	s_delay_alu instid0(VALU_DEP_2) | instskip(NEXT) | instid1(VALU_DEP_2)
	v_cndmask_b32_e64 v1, 0, v1, s11
	v_add3_u32 v2, v2, v28, v25
	s_delay_alu instid0(VALU_DEP_2) | instskip(NEXT) | instid1(VALU_DEP_2)
	v_add_nc_u32_e32 v1, v1, v47
	v_add3_u32 v2, v2, v26, v23
	s_delay_alu instid0(VALU_DEP_2) | instskip(NEXT) | instid1(VALU_DEP_2)
	v_cndmask_b32_e64 v1, 0, v1, s10
	v_add3_u32 v2, v2, v24, v78
	s_delay_alu instid0(VALU_DEP_2) | instskip(NEXT) | instid1(VALU_DEP_2)
	v_add_nc_u32_e32 v1, v1, v48
	v_mov_b32_dpp v5, v2 row_shr:1 row_mask:0xf bank_mask:0xf
	s_delay_alu instid0(VALU_DEP_2) | instskip(NEXT) | instid1(VALU_DEP_1)
	v_cndmask_b32_e64 v1, 0, v1, s9
	v_add_nc_u32_e32 v1, v1, v45
	s_delay_alu instid0(VALU_DEP_1) | instskip(NEXT) | instid1(VALU_DEP_1)
	v_cndmask_b32_e64 v1, 0, v1, s8
	v_add_nc_u32_e32 v1, v1, v46
	s_delay_alu instid0(VALU_DEP_1) | instskip(NEXT) | instid1(VALU_DEP_1)
	;; [unrolled: 3-line block ×9, first 2 shown]
	v_cndmask_b32_e64 v1, 0, v1, s0
	v_add_nc_u32_e32 v1, v1, v38
	s_delay_alu instid0(VALU_DEP_1) | instskip(SKIP_1) | instid1(VALU_DEP_2)
	v_cndmask_b32_e32 v1, 0, v1, vcc_lo
	v_cmp_eq_u32_e32 vcc_lo, 0, v2
	v_add_nc_u32_e32 v1, v1, v79
	s_waitcnt lgkmcnt(0)
	s_delay_alu instid0(VALU_DEP_1) | instskip(NEXT) | instid1(VALU_DEP_1)
	v_mov_b32_dpp v3, v1 row_shr:1 row_mask:0xf bank_mask:0xf
	v_dual_cndmask_b32 v3, 0, v3 :: v_dual_and_b32 v4, 15, v81
	s_delay_alu instid0(VALU_DEP_1) | instskip(SKIP_2) | instid1(VALU_DEP_4)
	v_cmp_eq_u32_e32 vcc_lo, 0, v4
	v_cmp_lt_u32_e64 s13, 1, v4
	v_cndmask_b32_e64 v5, v5, 0, vcc_lo
	v_cndmask_b32_e64 v3, v3, 0, vcc_lo
	s_delay_alu instid0(VALU_DEP_2) | instskip(NEXT) | instid1(VALU_DEP_2)
	v_add_nc_u32_e32 v2, v5, v2
	v_add_nc_u32_e32 v1, v3, v1
	s_delay_alu instid0(VALU_DEP_2) | instskip(SKIP_1) | instid1(VALU_DEP_3)
	v_mov_b32_dpp v3, v2 row_shr:2 row_mask:0xf bank_mask:0xf
	v_cmp_eq_u32_e32 vcc_lo, 0, v2
	v_mov_b32_dpp v5, v1 row_shr:2 row_mask:0xf bank_mask:0xf
	s_delay_alu instid0(VALU_DEP_3) | instskip(SKIP_2) | instid1(VALU_DEP_2)
	v_cndmask_b32_e64 v3, 0, v3, s13
	s_and_b32 vcc_lo, s13, vcc_lo
	v_cmp_lt_u32_e64 s13, 3, v4
	v_dual_cndmask_b32 v5, 0, v5 :: v_dual_add_nc_u32 v2, v2, v3
	s_delay_alu instid0(VALU_DEP_1) | instskip(NEXT) | instid1(VALU_DEP_2)
	v_add_nc_u32_e32 v1, v5, v1
	v_mov_b32_dpp v3, v2 row_shr:4 row_mask:0xf bank_mask:0xf
	v_cmp_eq_u32_e32 vcc_lo, 0, v2
	s_delay_alu instid0(VALU_DEP_3) | instskip(NEXT) | instid1(VALU_DEP_3)
	v_mov_b32_dpp v5, v1 row_shr:4 row_mask:0xf bank_mask:0xf
	v_cndmask_b32_e64 v3, 0, v3, s13
	s_and_b32 vcc_lo, s13, vcc_lo
	v_cmp_lt_u32_e64 s13, 7, v4
	s_delay_alu instid0(VALU_DEP_2) | instskip(NEXT) | instid1(VALU_DEP_1)
	v_dual_cndmask_b32 v5, 0, v5 :: v_dual_add_nc_u32 v2, v3, v2
	v_add_nc_u32_e32 v1, v1, v5
	v_bfe_i32 v5, v81, 4, 1
	s_delay_alu instid0(VALU_DEP_3) | instskip(SKIP_1) | instid1(VALU_DEP_4)
	v_cmp_eq_u32_e32 vcc_lo, 0, v2
	v_mov_b32_dpp v3, v2 row_shr:8 row_mask:0xf bank_mask:0xf
	v_mov_b32_dpp v4, v1 row_shr:8 row_mask:0xf bank_mask:0xf
	s_and_b32 vcc_lo, s13, vcc_lo
	s_delay_alu instid0(VALU_DEP_2) | instskip(SKIP_1) | instid1(VALU_DEP_2)
	v_cndmask_b32_e64 v3, 0, v3, s13
	s_mov_b32 s13, exec_lo
	v_cndmask_b32_e32 v4, 0, v4, vcc_lo
	s_delay_alu instid0(VALU_DEP_1) | instskip(NEXT) | instid1(VALU_DEP_3)
	v_add_nc_u32_e32 v4, v4, v1
	v_add_nc_u32_e32 v1, v3, v2
	ds_swizzle_b32 v2, v4 offset:swizzle(BROADCAST,32,15)
	ds_swizzle_b32 v3, v1 offset:swizzle(BROADCAST,32,15)
	v_cmp_eq_u32_e32 vcc_lo, 0, v1
	s_waitcnt lgkmcnt(0)
	v_dual_cndmask_b32 v2, 0, v2 :: v_dual_and_b32 v3, v5, v3
	s_delay_alu instid0(VALU_DEP_1) | instskip(NEXT) | instid1(VALU_DEP_2)
	v_and_b32_e32 v2, v5, v2
	v_add_nc_u32_e32 v1, v3, v1
	v_lshlrev_b32_e32 v3, 3, v82
	s_delay_alu instid0(VALU_DEP_3)
	v_add_nc_u32_e32 v2, v2, v4
	v_cmpx_eq_u32_e64 v83, v0
	s_cbranch_execz .LBB609_115
; %bb.114:
	ds_store_b64 v3, v[1:2] offset:2064
.LBB609_115:
	s_or_b32 exec_lo, exec_lo, s13
	s_delay_alu instid0(SALU_CYCLE_1)
	s_mov_b32 s14, exec_lo
	s_waitcnt lgkmcnt(0)
	s_barrier
	buffer_gl0_inv
	v_cmpx_gt_u32_e32 8, v0
	s_cbranch_execz .LBB609_117
; %bb.116:
	v_lshlrev_b32_e32 v6, 3, v0
	v_and_b32_e32 v8, 7, v81
	ds_load_b64 v[4:5], v6 offset:2064
	v_cmp_lt_u32_e64 s13, 1, v8
	s_waitcnt lgkmcnt(0)
	v_mov_b32_dpp v7, v5 row_shr:1 row_mask:0xf bank_mask:0xf
	v_cmp_eq_u32_e32 vcc_lo, 0, v4
	v_mov_b32_dpp v51, v4 row_shr:1 row_mask:0xf bank_mask:0xf
	s_delay_alu instid0(VALU_DEP_3) | instskip(SKIP_1) | instid1(VALU_DEP_3)
	v_cndmask_b32_e32 v7, 0, v7, vcc_lo
	v_cmp_eq_u32_e32 vcc_lo, 0, v8
	v_cndmask_b32_e64 v51, v51, 0, vcc_lo
	s_delay_alu instid0(VALU_DEP_3) | instskip(NEXT) | instid1(VALU_DEP_2)
	v_cndmask_b32_e64 v7, v7, 0, vcc_lo
	v_add_nc_u32_e32 v4, v51, v4
	s_delay_alu instid0(VALU_DEP_2) | instskip(NEXT) | instid1(VALU_DEP_2)
	v_add_nc_u32_e32 v5, v7, v5
	v_mov_b32_dpp v7, v4 row_shr:2 row_mask:0xf bank_mask:0xf
	v_cmp_eq_u32_e32 vcc_lo, 0, v4
	s_delay_alu instid0(VALU_DEP_3) | instskip(NEXT) | instid1(VALU_DEP_3)
	v_mov_b32_dpp v51, v5 row_shr:2 row_mask:0xf bank_mask:0xf
	v_cndmask_b32_e64 v7, 0, v7, s13
	s_and_b32 vcc_lo, s13, vcc_lo
	s_delay_alu instid0(VALU_DEP_2) | instskip(SKIP_1) | instid1(VALU_DEP_3)
	v_cndmask_b32_e32 v51, 0, v51, vcc_lo
	v_cmp_lt_u32_e64 s13, 3, v8
	v_add_nc_u32_e32 v4, v7, v4
	s_delay_alu instid0(VALU_DEP_3) | instskip(NEXT) | instid1(VALU_DEP_2)
	v_add_nc_u32_e32 v5, v51, v5
	v_cmp_eq_u32_e32 vcc_lo, 0, v4
	v_mov_b32_dpp v7, v4 row_shr:4 row_mask:0xf bank_mask:0xf
	s_delay_alu instid0(VALU_DEP_3) | instskip(SKIP_1) | instid1(VALU_DEP_2)
	v_mov_b32_dpp v8, v5 row_shr:4 row_mask:0xf bank_mask:0xf
	s_and_b32 vcc_lo, s13, vcc_lo
	v_cndmask_b32_e64 v7, 0, v7, s13
	s_delay_alu instid0(VALU_DEP_2) | instskip(NEXT) | instid1(VALU_DEP_2)
	v_cndmask_b32_e32 v8, 0, v8, vcc_lo
	v_add_nc_u32_e32 v4, v7, v4
	s_delay_alu instid0(VALU_DEP_2)
	v_add_nc_u32_e32 v5, v8, v5
	ds_store_b64 v6, v[4:5] offset:2064
.LBB609_117:
	s_or_b32 exec_lo, exec_lo, s14
	v_cmp_gt_u32_e32 vcc_lo, 32, v0
	v_dual_mov_b32 v51, 0 :: v_dual_mov_b32 v52, 0
	s_mov_b32 s14, exec_lo
	s_waitcnt lgkmcnt(0)
	s_barrier
	buffer_gl0_inv
	v_cmpx_lt_u32_e32 31, v0
	s_cbranch_execz .LBB609_119
; %bb.118:
	ds_load_b64 v[51:52], v3 offset:2056
	v_cmp_eq_u32_e64 s13, 0, v1
	s_waitcnt lgkmcnt(0)
	s_delay_alu instid0(VALU_DEP_1) | instskip(SKIP_1) | instid1(VALU_DEP_2)
	v_cndmask_b32_e64 v3, 0, v52, s13
	v_add_nc_u32_e32 v1, v51, v1
	v_add_nc_u32_e32 v2, v3, v2
.LBB609_119:
	s_or_b32 exec_lo, exec_lo, s14
	v_add_nc_u32_e32 v3, -1, v81
	s_delay_alu instid0(VALU_DEP_1) | instskip(NEXT) | instid1(VALU_DEP_1)
	v_cmp_gt_i32_e64 s13, 0, v3
	v_cndmask_b32_e64 v3, v3, v81, s13
	v_cmp_eq_u32_e64 s13, 0, v81
	s_delay_alu instid0(VALU_DEP_2)
	v_lshlrev_b32_e32 v3, 2, v3
	ds_bpermute_b32 v57, v3, v1
	ds_bpermute_b32 v58, v3, v2
	s_and_saveexec_b32 s17, vcc_lo
	s_cbranch_execz .LBB609_142
; %bb.120:
	v_mov_b32_e32 v4, 0
	ds_load_b64 v[1:2], v4 offset:2120
	s_waitcnt lgkmcnt(0)
	v_readfirstlane_b32 s21, v2
	s_and_saveexec_b32 s14, s13
	s_cbranch_execz .LBB609_122
; %bb.121:
	s_add_i32 s26, s15, 32
	s_mov_b32 s27, 0
	v_mov_b32_e32 v3, 1
	s_lshl_b64 s[28:29], s[26:27], 4
	s_mov_b32 s30, s27
	s_add_u32 s28, s24, s28
	s_addc_u32 s29, s25, s29
	s_and_b32 s31, s21, 0xff000000
	s_and_b32 s41, s21, 0xff0000
	s_mov_b32 s40, s27
	v_dual_mov_b32 v5, s28 :: v_dual_mov_b32 v6, s29
	s_or_b64 s[30:31], s[40:41], s[30:31]
	s_and_b32 s41, s21, 0xff00
	s_delay_alu instid0(SALU_CYCLE_1) | instskip(SKIP_1) | instid1(SALU_CYCLE_1)
	s_or_b64 s[30:31], s[30:31], s[40:41]
	s_and_b32 s41, s21, 0xff
	s_or_b64 s[26:27], s[30:31], s[40:41]
	s_delay_alu instid0(SALU_CYCLE_1)
	v_mov_b32_e32 v2, s27
	;;#ASMSTART
	global_store_dwordx4 v[5:6], v[1:4] off	
s_waitcnt vmcnt(0)
	;;#ASMEND
.LBB609_122:
	s_or_b32 exec_lo, exec_lo, s14
	v_xad_u32 v53, v81, -1, s15
	s_mov_b32 s26, 0
	s_mov_b32 s14, exec_lo
	s_delay_alu instid0(VALU_DEP_1) | instskip(NEXT) | instid1(VALU_DEP_1)
	v_add_nc_u32_e32 v3, 32, v53
	v_lshlrev_b64 v[2:3], 4, v[3:4]
	s_delay_alu instid0(VALU_DEP_1) | instskip(NEXT) | instid1(VALU_DEP_2)
	v_add_co_u32 v2, vcc_lo, s24, v2
	v_add_co_ci_u32_e32 v3, vcc_lo, s25, v3, vcc_lo
	;;#ASMSTART
	global_load_dwordx4 v[5:8], v[2:3] off glc	
s_waitcnt vmcnt(0)
	;;#ASMEND
	v_and_b32_e32 v4, 0xff, v6
	v_and_b32_e32 v8, 0xff00, v6
	v_and_b32_e32 v54, 0xff0000, v6
	v_or3_b32 v5, v5, 0, 0
	v_and_b32_e32 v6, 0xff000000, v6
	s_delay_alu instid0(VALU_DEP_4) | instskip(SKIP_1) | instid1(VALU_DEP_4)
	v_or3_b32 v4, 0, v4, v8
	v_and_b32_e32 v8, 0xff, v7
	v_or3_b32 v5, v5, 0, 0
	s_delay_alu instid0(VALU_DEP_3) | instskip(NEXT) | instid1(VALU_DEP_3)
	v_or3_b32 v6, v4, v54, v6
	v_cmpx_eq_u16_e32 0, v8
	s_cbranch_execz .LBB609_128
; %bb.123:
	s_mov_b32 s27, 1
	.p2align	6
.LBB609_124:                            ; =>This Loop Header: Depth=1
                                        ;     Child Loop BB609_125 Depth 2
	s_delay_alu instid0(SALU_CYCLE_1)
	s_max_u32 s28, s27, 1
.LBB609_125:                            ;   Parent Loop BB609_124 Depth=1
                                        ; =>  This Inner Loop Header: Depth=2
	s_delay_alu instid0(SALU_CYCLE_1)
	s_add_i32 s28, s28, -1
	s_sleep 1
	s_cmp_eq_u32 s28, 0
	s_cbranch_scc0 .LBB609_125
; %bb.126:                              ;   in Loop: Header=BB609_124 Depth=1
	;;#ASMSTART
	global_load_dwordx4 v[5:8], v[2:3] off glc	
s_waitcnt vmcnt(0)
	;;#ASMEND
	v_and_b32_e32 v4, 0xff, v7
	s_cmp_lt_u32 s27, 32
	s_cselect_b32 s28, -1, 0
	s_delay_alu instid0(VALU_DEP_1) | instskip(SKIP_3) | instid1(SALU_CYCLE_1)
	v_cmp_ne_u16_e32 vcc_lo, 0, v4
	s_cmp_lg_u32 s28, 0
	s_addc_u32 s27, s27, 0
	s_or_b32 s26, vcc_lo, s26
	s_and_not1_b32 exec_lo, exec_lo, s26
	s_cbranch_execnz .LBB609_124
; %bb.127:
	s_or_b32 exec_lo, exec_lo, s26
.LBB609_128:
	s_delay_alu instid0(SALU_CYCLE_1)
	s_or_b32 exec_lo, exec_lo, s14
	v_cmp_ne_u32_e32 vcc_lo, 31, v81
	v_and_b32_e32 v3, 0xff, v7
	v_lshlrev_b32_e64 v59, v81, -1
	v_add_nc_u32_e32 v61, 2, v81
	v_add_nc_u32_e32 v63, 4, v81
	v_add_co_ci_u32_e32 v2, vcc_lo, 0, v81, vcc_lo
	v_cmp_eq_u16_e32 vcc_lo, 2, v3
	v_add_nc_u32_e32 v65, 8, v81
	v_add_nc_u32_e32 v67, 16, v81
	v_and_or_b32 v8, vcc_lo, v59, 0x80000000
	v_cmp_gt_u32_e32 vcc_lo, 30, v81
	s_delay_alu instid0(VALU_DEP_2) | instskip(SKIP_2) | instid1(VALU_DEP_3)
	v_ctz_i32_b32_e32 v8, v8
	v_cndmask_b32_e64 v54, 0, 1, vcc_lo
	v_cmp_eq_u32_e32 vcc_lo, 0, v5
	v_cmp_lt_u32_e64 s14, v81, v8
	s_delay_alu instid0(VALU_DEP_3) | instskip(NEXT) | instid1(VALU_DEP_2)
	v_lshlrev_b32_e32 v54, 1, v54
	s_and_b32 vcc_lo, s14, vcc_lo
	v_lshlrev_b32_e32 v2, 2, v2
	s_delay_alu instid0(VALU_DEP_2)
	v_add_lshl_u32 v60, v54, v81, 2
	ds_bpermute_b32 v3, v2, v6
	s_waitcnt lgkmcnt(0)
	v_cndmask_b32_e32 v3, 0, v3, vcc_lo
	ds_bpermute_b32 v4, v2, v5
	v_cmp_gt_u32_e32 vcc_lo, 28, v81
	v_add_nc_u32_e32 v3, v3, v6
	ds_bpermute_b32 v6, v60, v3
	s_waitcnt lgkmcnt(1)
	v_cndmask_b32_e64 v4, 0, v4, s14
	s_delay_alu instid0(VALU_DEP_1) | instskip(SKIP_1) | instid1(VALU_DEP_2)
	v_add_nc_u32_e32 v4, v4, v5
	v_cndmask_b32_e64 v5, 0, 1, vcc_lo
	v_cmp_eq_u32_e32 vcc_lo, 0, v4
	ds_bpermute_b32 v54, v60, v4
	s_waitcnt lgkmcnt(1)
	v_dual_cndmask_b32 v6, 0, v6 :: v_dual_lshlrev_b32 v5, 2, v5
	v_cmp_gt_u32_e32 vcc_lo, v61, v8
	s_delay_alu instid0(VALU_DEP_2) | instskip(NEXT) | instid1(VALU_DEP_3)
	v_add_lshl_u32 v62, v5, v81, 2
	v_cndmask_b32_e64 v6, v6, 0, vcc_lo
	s_delay_alu instid0(VALU_DEP_1) | instskip(SKIP_4) | instid1(VALU_DEP_2)
	v_add_nc_u32_e32 v3, v6, v3
	ds_bpermute_b32 v5, v62, v3
	s_waitcnt lgkmcnt(1)
	v_cndmask_b32_e64 v6, v54, 0, vcc_lo
	v_cmp_gt_u32_e32 vcc_lo, 24, v81
	v_add_nc_u32_e32 v4, v4, v6
	v_cndmask_b32_e64 v54, 0, 1, vcc_lo
	ds_bpermute_b32 v6, v62, v4
	v_cmp_eq_u32_e32 vcc_lo, 0, v4
	v_lshlrev_b32_e32 v54, 3, v54
	s_delay_alu instid0(VALU_DEP_1) | instskip(SKIP_3) | instid1(VALU_DEP_2)
	v_add_lshl_u32 v64, v54, v81, 2
	s_waitcnt lgkmcnt(1)
	v_cndmask_b32_e32 v5, 0, v5, vcc_lo
	v_cmp_gt_u32_e32 vcc_lo, v63, v8
	v_cndmask_b32_e64 v5, v5, 0, vcc_lo
	s_delay_alu instid0(VALU_DEP_1)
	v_add_nc_u32_e32 v3, v3, v5
	s_waitcnt lgkmcnt(0)
	v_cndmask_b32_e64 v6, v6, 0, vcc_lo
	v_cmp_gt_u32_e32 vcc_lo, 16, v81
	ds_bpermute_b32 v5, v64, v3
	v_add_nc_u32_e32 v4, v4, v6
	v_cndmask_b32_e64 v54, 0, 1, vcc_lo
	ds_bpermute_b32 v6, v64, v4
	v_cmp_eq_u32_e32 vcc_lo, 0, v4
	v_lshlrev_b32_e32 v54, 4, v54
	s_delay_alu instid0(VALU_DEP_1) | instskip(SKIP_3) | instid1(VALU_DEP_2)
	v_add_lshl_u32 v66, v54, v81, 2
	s_waitcnt lgkmcnt(1)
	v_dual_mov_b32 v54, 0 :: v_dual_cndmask_b32 v5, 0, v5
	v_cmp_gt_u32_e32 vcc_lo, v65, v8
	v_cndmask_b32_e64 v5, v5, 0, vcc_lo
	s_delay_alu instid0(VALU_DEP_1)
	v_add_nc_u32_e32 v3, v3, v5
	s_waitcnt lgkmcnt(0)
	v_cndmask_b32_e64 v5, v6, 0, vcc_lo
	ds_bpermute_b32 v6, v66, v3
	v_add_nc_u32_e32 v4, v4, v5
	ds_bpermute_b32 v5, v66, v4
	v_cmp_eq_u32_e32 vcc_lo, 0, v4
	s_waitcnt lgkmcnt(1)
	v_cndmask_b32_e32 v6, 0, v6, vcc_lo
	v_cmp_gt_u32_e32 vcc_lo, v67, v8
	s_delay_alu instid0(VALU_DEP_2) | instskip(SKIP_2) | instid1(VALU_DEP_2)
	v_cndmask_b32_e64 v6, v6, 0, vcc_lo
	s_waitcnt lgkmcnt(0)
	v_cndmask_b32_e64 v5, v5, 0, vcc_lo
	v_add_nc_u32_e32 v6, v6, v3
	s_delay_alu instid0(VALU_DEP_2)
	v_add_nc_u32_e32 v5, v5, v4
	s_branch .LBB609_130
.LBB609_129:                            ;   in Loop: Header=BB609_130 Depth=1
	s_or_b32 exec_lo, exec_lo, s14
	v_and_b32_e32 v8, 0xff, v7
	ds_bpermute_b32 v55, v2, v5
	v_subrev_nc_u32_e32 v53, 32, v53
	v_cmp_eq_u16_e32 vcc_lo, 2, v8
	ds_bpermute_b32 v8, v2, v6
	v_and_or_b32 v56, vcc_lo, v59, 0x80000000
	v_cmp_eq_u32_e32 vcc_lo, 0, v5
	s_delay_alu instid0(VALU_DEP_2) | instskip(NEXT) | instid1(VALU_DEP_1)
	v_ctz_i32_b32_e32 v56, v56
	v_cmp_lt_u32_e64 s14, v81, v56
	s_delay_alu instid0(VALU_DEP_1) | instskip(SKIP_4) | instid1(VALU_DEP_2)
	s_and_b32 vcc_lo, s14, vcc_lo
	s_waitcnt lgkmcnt(1)
	v_cndmask_b32_e64 v55, 0, v55, s14
	s_waitcnt lgkmcnt(0)
	v_cndmask_b32_e32 v8, 0, v8, vcc_lo
	v_add_nc_u32_e32 v5, v55, v5
	s_delay_alu instid0(VALU_DEP_2)
	v_add_nc_u32_e32 v6, v8, v6
	ds_bpermute_b32 v55, v60, v5
	ds_bpermute_b32 v8, v60, v6
	v_cmp_eq_u32_e32 vcc_lo, 0, v5
	s_waitcnt lgkmcnt(0)
	v_cndmask_b32_e32 v8, 0, v8, vcc_lo
	v_cmp_gt_u32_e32 vcc_lo, v61, v56
	v_cndmask_b32_e64 v55, v55, 0, vcc_lo
	s_delay_alu instid0(VALU_DEP_1) | instskip(NEXT) | instid1(VALU_DEP_4)
	v_add_nc_u32_e32 v5, v5, v55
	v_cndmask_b32_e64 v8, v8, 0, vcc_lo
	ds_bpermute_b32 v55, v62, v5
	v_add_nc_u32_e32 v6, v8, v6
	v_cmp_eq_u32_e32 vcc_lo, 0, v5
	ds_bpermute_b32 v8, v62, v6
	s_waitcnt lgkmcnt(0)
	v_cndmask_b32_e32 v8, 0, v8, vcc_lo
	v_cmp_gt_u32_e32 vcc_lo, v63, v56
	v_cndmask_b32_e64 v55, v55, 0, vcc_lo
	s_delay_alu instid0(VALU_DEP_1) | instskip(NEXT) | instid1(VALU_DEP_4)
	v_add_nc_u32_e32 v5, v5, v55
	v_cndmask_b32_e64 v8, v8, 0, vcc_lo
	ds_bpermute_b32 v55, v64, v5
	v_add_nc_u32_e32 v6, v6, v8
	v_cmp_eq_u32_e32 vcc_lo, 0, v5
	ds_bpermute_b32 v8, v64, v6
	;; [unrolled: 11-line block ×3, first 2 shown]
	s_waitcnt lgkmcnt(0)
	v_cndmask_b32_e32 v8, 0, v8, vcc_lo
	v_cmp_gt_u32_e32 vcc_lo, v67, v56
	s_delay_alu instid0(VALU_DEP_2) | instskip(NEXT) | instid1(VALU_DEP_1)
	v_cndmask_b32_e64 v8, v8, 0, vcc_lo
	v_add_nc_u32_e32 v6, v8, v6
	v_cndmask_b32_e64 v8, v55, 0, vcc_lo
	v_cmp_eq_u32_e32 vcc_lo, 0, v3
	s_delay_alu instid0(VALU_DEP_2) | instskip(NEXT) | instid1(VALU_DEP_4)
	v_add3_u32 v5, v5, v3, v8
	v_cndmask_b32_e32 v6, 0, v6, vcc_lo
	s_delay_alu instid0(VALU_DEP_1)
	v_add_nc_u32_e32 v6, v6, v4
.LBB609_130:                            ; =>This Loop Header: Depth=1
                                        ;     Child Loop BB609_133 Depth 2
                                        ;       Child Loop BB609_134 Depth 3
	s_delay_alu instid0(VALU_DEP_1) | instskip(NEXT) | instid1(VALU_DEP_1)
	v_dual_mov_b32 v4, v6 :: v_dual_and_b32 v3, 0xff, v7
	v_cmp_ne_u16_e32 vcc_lo, 2, v3
	v_cndmask_b32_e64 v3, 0, 1, vcc_lo
	;;#ASMSTART
	;;#ASMEND
	s_delay_alu instid0(VALU_DEP_1)
	v_cmp_ne_u32_e32 vcc_lo, 0, v3
	v_mov_b32_e32 v3, v5
	s_cmp_lg_u32 vcc_lo, exec_lo
	s_cbranch_scc1 .LBB609_137
; %bb.131:                              ;   in Loop: Header=BB609_130 Depth=1
	v_lshlrev_b64 v[5:6], 4, v[53:54]
	s_mov_b32 s14, exec_lo
	s_delay_alu instid0(VALU_DEP_1) | instskip(NEXT) | instid1(VALU_DEP_2)
	v_add_co_u32 v55, vcc_lo, s24, v5
	v_add_co_ci_u32_e32 v56, vcc_lo, s25, v6, vcc_lo
	;;#ASMSTART
	global_load_dwordx4 v[5:8], v[55:56] off glc	
s_waitcnt vmcnt(0)
	;;#ASMEND
	v_and_b32_e32 v8, 0xff, v6
	v_and_b32_e32 v68, 0xff00, v6
	;; [unrolled: 1-line block ×3, first 2 shown]
	v_or3_b32 v5, v5, 0, 0
	v_and_b32_e32 v6, 0xff000000, v6
	s_delay_alu instid0(VALU_DEP_4) | instskip(SKIP_1) | instid1(VALU_DEP_4)
	v_or3_b32 v8, 0, v8, v68
	v_and_b32_e32 v68, 0xff, v7
	v_or3_b32 v5, v5, 0, 0
	s_delay_alu instid0(VALU_DEP_3) | instskip(NEXT) | instid1(VALU_DEP_3)
	v_or3_b32 v6, v8, v69, v6
	v_cmpx_eq_u16_e32 0, v68
	s_cbranch_execz .LBB609_129
; %bb.132:                              ;   in Loop: Header=BB609_130 Depth=1
	s_mov_b32 s27, 1
	s_mov_b32 s26, 0
	.p2align	6
.LBB609_133:                            ;   Parent Loop BB609_130 Depth=1
                                        ; =>  This Loop Header: Depth=2
                                        ;       Child Loop BB609_134 Depth 3
	s_max_u32 s28, s27, 1
.LBB609_134:                            ;   Parent Loop BB609_130 Depth=1
                                        ;     Parent Loop BB609_133 Depth=2
                                        ; =>    This Inner Loop Header: Depth=3
	s_delay_alu instid0(SALU_CYCLE_1)
	s_add_i32 s28, s28, -1
	s_sleep 1
	s_cmp_eq_u32 s28, 0
	s_cbranch_scc0 .LBB609_134
; %bb.135:                              ;   in Loop: Header=BB609_133 Depth=2
	;;#ASMSTART
	global_load_dwordx4 v[5:8], v[55:56] off glc	
s_waitcnt vmcnt(0)
	;;#ASMEND
	v_and_b32_e32 v8, 0xff, v7
	s_cmp_lt_u32 s27, 32
	s_cselect_b32 s28, -1, 0
	s_delay_alu instid0(SALU_CYCLE_1) | instskip(NEXT) | instid1(VALU_DEP_1)
	s_cmp_lg_u32 s28, 0
	v_cmp_ne_u16_e32 vcc_lo, 0, v8
	s_addc_u32 s27, s27, 0
	s_or_b32 s26, vcc_lo, s26
	s_delay_alu instid0(SALU_CYCLE_1)
	s_and_not1_b32 exec_lo, exec_lo, s26
	s_cbranch_execnz .LBB609_133
; %bb.136:                              ;   in Loop: Header=BB609_130 Depth=1
	s_or_b32 exec_lo, exec_lo, s26
	s_branch .LBB609_129
.LBB609_137:                            ;   in Loop: Header=BB609_130 Depth=1
                                        ; implicit-def: $vgpr6
                                        ; implicit-def: $vgpr5
                                        ; implicit-def: $vgpr7
	s_cbranch_execz .LBB609_130
; %bb.138:
	s_and_saveexec_b32 s14, s13
	s_cbranch_execz .LBB609_140
; %bb.139:
	v_cmp_eq_u32_e32 vcc_lo, 0, v1
	s_mov_b32 s27, 0
	s_add_i32 s26, s15, 32
	v_add_nc_u32_e32 v5, v3, v1
	s_lshl_b64 s[26:27], s[26:27], 4
	v_cndmask_b32_e32 v2, 0, v4, vcc_lo
	s_add_u32 s26, s24, s26
	s_addc_u32 s27, s25, s27
	v_mov_b32_e32 v8, 0
	s_delay_alu instid0(VALU_DEP_2) | instskip(NEXT) | instid1(VALU_DEP_1)
	v_add_nc_u32_e32 v2, s21, v2
	v_and_b32_e32 v6, 0xff000000, v2
	v_and_b32_e32 v7, 0xff0000, v2
	s_delay_alu instid0(VALU_DEP_1) | instskip(SKIP_3) | instid1(VALU_DEP_1)
	v_or_b32_e32 v6, v7, v6
	v_mov_b32_e32 v7, 2
	v_and_b32_e32 v53, 0xff00, v2
	v_and_b32_e32 v2, 0xff, v2
	v_or3_b32 v6, v6, v53, v2
	v_mov_b32_e32 v2, s21
	v_dual_mov_b32 v54, s27 :: v_dual_mov_b32 v53, s26
	;;#ASMSTART
	global_store_dwordx4 v[53:54], v[5:8] off	
s_waitcnt vmcnt(0)
	;;#ASMEND
	ds_store_b128 v8, v[1:4] offset:2048
.LBB609_140:
	s_or_b32 exec_lo, exec_lo, s14
	v_cmp_eq_u32_e32 vcc_lo, 0, v0
	s_and_b32 exec_lo, exec_lo, vcc_lo
	s_cbranch_execz .LBB609_142
; %bb.141:
	v_mov_b32_e32 v1, 0
	ds_store_b64 v1, v[3:4] offset:2120
.LBB609_142:
	s_or_b32 exec_lo, exec_lo, s17
	s_waitcnt lgkmcnt(1)
	v_cndmask_b32_e64 v4, v57, v51, s13
	s_waitcnt lgkmcnt(0)
	s_barrier
	buffer_gl0_inv
	v_cndmask_b32_e64 v5, v58, v52, s13
	v_cmp_eq_u32_e32 vcc_lo, 0, v4
	v_mov_b32_e32 v3, 0
	v_cmp_eq_u32_e64 s13, 0, v35
	ds_load_b64 v[1:2], v3 offset:2120
	s_waitcnt lgkmcnt(0)
	s_barrier
	buffer_gl0_inv
	v_cndmask_b32_e32 v6, 0, v2, vcc_lo
	v_cmp_eq_u32_e32 vcc_lo, 0, v0
	s_delay_alu instid0(VALU_DEP_2) | instskip(NEXT) | instid1(VALU_DEP_1)
	v_add_nc_u32_e32 v5, v6, v5
	v_cndmask_b32_e32 v68, v5, v2, vcc_lo
	s_delay_alu instid0(VALU_DEP_1) | instskip(NEXT) | instid1(VALU_DEP_1)
	v_cndmask_b32_e64 v2, 0, v68, s13
	v_add_nc_u32_e32 v74, v2, v49
	s_delay_alu instid0(VALU_DEP_1) | instskip(NEXT) | instid1(VALU_DEP_1)
	v_cndmask_b32_e64 v2, 0, v74, s12
	v_add_nc_u32_e32 v70, v2, v50
	;; [unrolled: 3-line block ×6, first 2 shown]
	v_cndmask_b32_e64 v2, v4, 0, vcc_lo
	s_delay_alu instid0(VALU_DEP_2) | instskip(NEXT) | instid1(VALU_DEP_2)
	v_cndmask_b32_e64 v4, 0, v54, s7
	v_add_nc_u32_e32 v67, v1, v2
	s_delay_alu instid0(VALU_DEP_2) | instskip(NEXT) | instid1(VALU_DEP_2)
	v_add_nc_u32_e32 v58, v4, v43
	v_add_nc_u32_e32 v73, v67, v35
	s_delay_alu instid0(VALU_DEP_2) | instskip(NEXT) | instid1(VALU_DEP_2)
	v_cndmask_b32_e64 v1, 0, v58, s6
	v_add_nc_u32_e32 v69, v73, v36
	s_delay_alu instid0(VALU_DEP_2) | instskip(NEXT) | instid1(VALU_DEP_2)
	v_add_nc_u32_e32 v62, v1, v44
	v_add_nc_u32_e32 v65, v69, v33
	;; [unrolled: 6-line block ×4, first 2 shown]
	s_delay_alu instid0(VALU_DEP_2) | instskip(NEXT) | instid1(VALU_DEP_2)
	v_cndmask_b32_e64 v1, 0, v8, s3
	v_add_nc_u32_e32 v61, v57, v30
	s_delay_alu instid0(VALU_DEP_2) | instskip(SKIP_3) | instid1(VALU_DEP_2)
	v_add_nc_u32_e32 v52, v1, v39
	ds_load_b128 v[1:4], v3 offset:2048
	v_add_nc_u32_e32 v5, v61, v27
	v_cndmask_b32_e64 v51, 0, v52, s2
	v_add_nc_u32_e32 v7, v5, v28
	s_delay_alu instid0(VALU_DEP_2) | instskip(NEXT) | instid1(VALU_DEP_2)
	v_add_nc_u32_e32 v76, v51, v40
	v_add_nc_u32_e32 v51, v7, v25
	s_delay_alu instid0(VALU_DEP_2) | instskip(NEXT) | instid1(VALU_DEP_2)
	v_cndmask_b32_e64 v63, 0, v76, s1
	v_add_nc_u32_e32 v75, v51, v26
	s_delay_alu instid0(VALU_DEP_2) | instskip(SKIP_2) | instid1(VALU_DEP_3)
	v_add_nc_u32_e32 v72, v63, v37
	s_waitcnt lgkmcnt(0)
	v_cmp_eq_u32_e32 vcc_lo, 0, v1
	v_add_nc_u32_e32 v71, v75, v23
	s_delay_alu instid0(VALU_DEP_3) | instskip(SKIP_1) | instid1(VALU_DEP_3)
	v_cndmask_b32_e64 v64, 0, v72, s0
	v_cndmask_b32_e32 v4, 0, v4, vcc_lo
	v_add_nc_u32_e32 v63, v71, v24
	s_delay_alu instid0(VALU_DEP_3) | instskip(NEXT) | instid1(VALU_DEP_3)
	v_add_nc_u32_e32 v64, v64, v38
	v_add_nc_u32_e32 v80, v4, v2
	s_branch .LBB609_155
.LBB609_143:
                                        ; implicit-def: $vgpr1
                                        ; implicit-def: $vgpr80
                                        ; implicit-def: $vgpr67_vgpr68
                                        ; implicit-def: $vgpr73_vgpr74
                                        ; implicit-def: $vgpr69_vgpr70
                                        ; implicit-def: $vgpr65_vgpr66
                                        ; implicit-def: $vgpr59_vgpr60
                                        ; implicit-def: $vgpr55_vgpr56
                                        ; implicit-def: $vgpr53_vgpr54
                                        ; implicit-def: $vgpr57_vgpr58
                                        ; implicit-def: $vgpr61_vgpr62
                                        ; implicit-def: $vgpr5_vgpr6
                                        ; implicit-def: $vgpr7_vgpr8
                                        ; implicit-def: $vgpr51_vgpr52
                                        ; implicit-def: $vgpr75_vgpr76
                                        ; implicit-def: $vgpr71_vgpr72
                                        ; implicit-def: $vgpr63_vgpr64
	s_cbranch_execz .LBB609_155
; %bb.144:
	s_and_b32 s0, s16, exec_lo
	v_mov_b32_e32 v63, v49
	s_cselect_b32 s1, 0, s35
	s_cselect_b32 s0, 0, s34
	s_delay_alu instid0(SALU_CYCLE_1)
	s_cmp_eq_u64 s[0:1], 0
	s_cbranch_scc1 .LBB609_146
; %bb.145:
	v_mov_b32_e32 v1, 0
	global_load_b32 v63, v1, s[0:1]
.LBB609_146:
	v_cmp_eq_u32_e64 s6, 0, v36
	v_cmp_eq_u32_e64 s7, 0, v33
	;; [unrolled: 1-line block ×5, first 2 shown]
	v_cndmask_b32_e64 v1, 0, v49, s6
	v_cmp_eq_u32_e64 s11, 0, v29
	v_cmp_eq_u32_e64 s5, 0, v30
	;; [unrolled: 1-line block ×4, first 2 shown]
	v_add_nc_u32_e32 v1, v1, v50
	v_cmp_eq_u32_e64 s2, 0, v25
	v_add3_u32 v2, v84, v32, v29
	v_cmp_eq_u32_e64 s1, 0, v26
	v_cmp_eq_u32_e32 vcc_lo, 0, v23
	v_cndmask_b32_e64 v1, 0, v1, s7
	v_cmp_eq_u32_e64 s0, 0, v24
	v_add3_u32 v2, v2, v30, v27
	v_cmp_eq_u32_e64 s12, 0, v78
	v_and_b32_e32 v4, 15, v81
	v_add_nc_u32_e32 v1, v1, v47
	s_delay_alu instid0(VALU_DEP_4) | instskip(NEXT) | instid1(VALU_DEP_3)
	v_add3_u32 v2, v2, v28, v25
	v_cmp_lt_u32_e64 s13, 1, v4
	s_delay_alu instid0(VALU_DEP_3) | instskip(NEXT) | instid1(VALU_DEP_3)
	v_cndmask_b32_e64 v1, 0, v1, s8
	v_add3_u32 v2, v2, v26, v23
	s_delay_alu instid0(VALU_DEP_2) | instskip(NEXT) | instid1(VALU_DEP_2)
	v_add_nc_u32_e32 v1, v1, v48
	v_add3_u32 v2, v2, v24, v78
	s_delay_alu instid0(VALU_DEP_2) | instskip(NEXT) | instid1(VALU_DEP_2)
	v_cndmask_b32_e64 v1, 0, v1, s9
	v_mov_b32_dpp v5, v2 row_shr:1 row_mask:0xf bank_mask:0xf
	s_delay_alu instid0(VALU_DEP_2) | instskip(NEXT) | instid1(VALU_DEP_1)
	v_add_nc_u32_e32 v1, v1, v45
	v_cndmask_b32_e64 v1, 0, v1, s10
	s_delay_alu instid0(VALU_DEP_1) | instskip(NEXT) | instid1(VALU_DEP_1)
	v_add_nc_u32_e32 v1, v1, v46
	v_cndmask_b32_e64 v1, 0, v1, s11
	s_delay_alu instid0(VALU_DEP_1) | instskip(NEXT) | instid1(VALU_DEP_1)
	;; [unrolled: 3-line block ×7, first 2 shown]
	v_add_nc_u32_e32 v1, v1, v40
	v_cndmask_b32_e32 v1, 0, v1, vcc_lo
	s_delay_alu instid0(VALU_DEP_1) | instskip(NEXT) | instid1(VALU_DEP_1)
	v_add_nc_u32_e32 v1, v1, v37
	v_cndmask_b32_e64 v1, 0, v1, s0
	s_delay_alu instid0(VALU_DEP_1) | instskip(NEXT) | instid1(VALU_DEP_1)
	v_add_nc_u32_e32 v1, v1, v38
	v_cndmask_b32_e64 v1, 0, v1, s12
	v_cmp_eq_u32_e64 s12, 0, v2
	s_delay_alu instid0(VALU_DEP_2) | instskip(SKIP_1) | instid1(VALU_DEP_1)
	v_add_nc_u32_e32 v1, v1, v79
	s_waitcnt lgkmcnt(0)
	v_mov_b32_dpp v3, v1 row_shr:1 row_mask:0xf bank_mask:0xf
	s_delay_alu instid0(VALU_DEP_1) | instskip(SKIP_1) | instid1(VALU_DEP_1)
	v_cndmask_b32_e64 v3, 0, v3, s12
	v_cmp_eq_u32_e64 s12, 0, v4
	v_cndmask_b32_e64 v5, v5, 0, s12
	s_delay_alu instid0(VALU_DEP_3) | instskip(NEXT) | instid1(VALU_DEP_2)
	v_cndmask_b32_e64 v3, v3, 0, s12
	v_add_nc_u32_e32 v2, v5, v2
	s_delay_alu instid0(VALU_DEP_2) | instskip(NEXT) | instid1(VALU_DEP_2)
	v_add_nc_u32_e32 v1, v3, v1
	v_mov_b32_dpp v3, v2 row_shr:2 row_mask:0xf bank_mask:0xf
	v_cmp_eq_u32_e64 s12, 0, v2
	s_delay_alu instid0(VALU_DEP_3) | instskip(NEXT) | instid1(VALU_DEP_3)
	v_mov_b32_dpp v5, v1 row_shr:2 row_mask:0xf bank_mask:0xf
	v_cndmask_b32_e64 v3, 0, v3, s13
	s_delay_alu instid0(VALU_DEP_3) | instskip(SKIP_1) | instid1(VALU_DEP_3)
	s_and_b32 s12, s13, s12
	v_cmp_lt_u32_e64 s13, 3, v4
	v_cndmask_b32_e64 v5, 0, v5, s12
	s_delay_alu instid0(VALU_DEP_3) | instskip(NEXT) | instid1(VALU_DEP_2)
	v_add_nc_u32_e32 v2, v2, v3
	v_add_nc_u32_e32 v1, v5, v1
	s_delay_alu instid0(VALU_DEP_2) | instskip(SKIP_1) | instid1(VALU_DEP_3)
	v_mov_b32_dpp v3, v2 row_shr:4 row_mask:0xf bank_mask:0xf
	v_cmp_eq_u32_e64 s12, 0, v2
	v_mov_b32_dpp v5, v1 row_shr:4 row_mask:0xf bank_mask:0xf
	s_delay_alu instid0(VALU_DEP_3) | instskip(NEXT) | instid1(VALU_DEP_3)
	v_cndmask_b32_e64 v3, 0, v3, s13
	s_and_b32 s12, s13, s12
	v_cmp_lt_u32_e64 s13, 7, v4
	s_delay_alu instid0(VALU_DEP_3) | instskip(NEXT) | instid1(VALU_DEP_3)
	v_cndmask_b32_e64 v5, 0, v5, s12
	v_add_nc_u32_e32 v2, v3, v2
	s_delay_alu instid0(VALU_DEP_2) | instskip(SKIP_1) | instid1(VALU_DEP_3)
	v_add_nc_u32_e32 v1, v1, v5
	v_bfe_i32 v5, v81, 4, 1
	v_cmp_eq_u32_e64 s12, 0, v2
	v_mov_b32_dpp v3, v2 row_shr:8 row_mask:0xf bank_mask:0xf
	s_delay_alu instid0(VALU_DEP_4) | instskip(NEXT) | instid1(VALU_DEP_3)
	v_mov_b32_dpp v4, v1 row_shr:8 row_mask:0xf bank_mask:0xf
	s_and_b32 s12, s13, s12
	s_delay_alu instid0(VALU_DEP_2) | instskip(SKIP_1) | instid1(VALU_DEP_2)
	v_cndmask_b32_e64 v3, 0, v3, s13
	s_mov_b32 s13, exec_lo
	v_cndmask_b32_e64 v4, 0, v4, s12
	s_delay_alu instid0(VALU_DEP_1) | instskip(NEXT) | instid1(VALU_DEP_3)
	v_add_nc_u32_e32 v4, v4, v1
	v_add_nc_u32_e32 v1, v3, v2
	ds_swizzle_b32 v2, v4 offset:swizzle(BROADCAST,32,15)
	ds_swizzle_b32 v3, v1 offset:swizzle(BROADCAST,32,15)
	v_cmp_eq_u32_e64 s12, 0, v1
	s_waitcnt lgkmcnt(1)
	s_delay_alu instid0(VALU_DEP_1) | instskip(SKIP_2) | instid1(VALU_DEP_2)
	v_cndmask_b32_e64 v2, 0, v2, s12
	s_waitcnt lgkmcnt(0)
	v_and_b32_e32 v3, v5, v3
	v_and_b32_e32 v2, v5, v2
	s_delay_alu instid0(VALU_DEP_2) | instskip(NEXT) | instid1(VALU_DEP_2)
	v_add_nc_u32_e32 v1, v3, v1
	v_add_nc_u32_e32 v2, v2, v4
	v_cmpx_eq_u32_e64 v83, v0
	s_cbranch_execz .LBB609_148
; %bb.147:
	v_lshlrev_b32_e32 v3, 3, v82
	ds_store_b64 v3, v[1:2] offset:2064
.LBB609_148:
	s_or_b32 exec_lo, exec_lo, s13
	s_delay_alu instid0(SALU_CYCLE_1)
	s_mov_b32 s14, exec_lo
	s_waitcnt vmcnt(0) lgkmcnt(0)
	s_barrier
	buffer_gl0_inv
	v_cmpx_gt_u32_e32 8, v0
	s_cbranch_execz .LBB609_150
; %bb.149:
	v_lshlrev_b32_e32 v5, 3, v0
	v_and_b32_e32 v7, 7, v81
	ds_load_b64 v[3:4], v5 offset:2064
	v_cmp_lt_u32_e64 s13, 1, v7
	s_waitcnt lgkmcnt(0)
	v_mov_b32_dpp v6, v4 row_shr:1 row_mask:0xf bank_mask:0xf
	v_cmp_eq_u32_e64 s12, 0, v3
	v_mov_b32_dpp v8, v3 row_shr:1 row_mask:0xf bank_mask:0xf
	s_delay_alu instid0(VALU_DEP_2) | instskip(SKIP_1) | instid1(VALU_DEP_1)
	v_cndmask_b32_e64 v6, 0, v6, s12
	v_cmp_eq_u32_e64 s12, 0, v7
	v_cndmask_b32_e64 v8, v8, 0, s12
	s_delay_alu instid0(VALU_DEP_3) | instskip(NEXT) | instid1(VALU_DEP_2)
	v_cndmask_b32_e64 v6, v6, 0, s12
	v_add_nc_u32_e32 v3, v8, v3
	s_delay_alu instid0(VALU_DEP_2) | instskip(NEXT) | instid1(VALU_DEP_2)
	v_add_nc_u32_e32 v4, v6, v4
	v_mov_b32_dpp v6, v3 row_shr:2 row_mask:0xf bank_mask:0xf
	v_cmp_eq_u32_e64 s12, 0, v3
	s_delay_alu instid0(VALU_DEP_3) | instskip(NEXT) | instid1(VALU_DEP_3)
	v_mov_b32_dpp v8, v4 row_shr:2 row_mask:0xf bank_mask:0xf
	v_cndmask_b32_e64 v6, 0, v6, s13
	s_delay_alu instid0(VALU_DEP_3) | instskip(SKIP_1) | instid1(VALU_DEP_3)
	s_and_b32 s12, s13, s12
	v_cmp_lt_u32_e64 s13, 3, v7
	v_cndmask_b32_e64 v8, 0, v8, s12
	s_delay_alu instid0(VALU_DEP_3) | instskip(NEXT) | instid1(VALU_DEP_2)
	v_add_nc_u32_e32 v3, v6, v3
	v_add_nc_u32_e32 v4, v8, v4
	s_delay_alu instid0(VALU_DEP_2) | instskip(SKIP_1) | instid1(VALU_DEP_3)
	v_cmp_eq_u32_e64 s12, 0, v3
	v_mov_b32_dpp v6, v3 row_shr:4 row_mask:0xf bank_mask:0xf
	v_mov_b32_dpp v7, v4 row_shr:4 row_mask:0xf bank_mask:0xf
	s_delay_alu instid0(VALU_DEP_3) | instskip(NEXT) | instid1(VALU_DEP_2)
	s_and_b32 s12, s13, s12
	v_cndmask_b32_e64 v6, 0, v6, s13
	s_delay_alu instid0(VALU_DEP_2) | instskip(NEXT) | instid1(VALU_DEP_2)
	v_cndmask_b32_e64 v7, 0, v7, s12
	v_add_nc_u32_e32 v3, v6, v3
	s_delay_alu instid0(VALU_DEP_2)
	v_add_nc_u32_e32 v4, v7, v4
	ds_store_b64 v5, v[3:4] offset:2064
.LBB609_150:
	s_or_b32 exec_lo, exec_lo, s14
	v_dual_mov_b32 v7, 0 :: v_dual_mov_b32 v4, v63
	v_mov_b32_e32 v3, 0
	s_mov_b32 s13, exec_lo
	s_waitcnt lgkmcnt(0)
	s_barrier
	buffer_gl0_inv
	v_cmpx_lt_u32_e32 31, v0
	s_cbranch_execz .LBB609_152
; %bb.151:
	v_lshlrev_b32_e32 v3, 3, v82
	ds_load_b64 v[3:4], v3 offset:2056
	s_waitcnt lgkmcnt(0)
	v_cmp_eq_u32_e64 s12, 0, v3
	s_delay_alu instid0(VALU_DEP_1) | instskip(NEXT) | instid1(VALU_DEP_1)
	v_cndmask_b32_e64 v5, 0, v63, s12
	v_add_nc_u32_e32 v4, v5, v4
.LBB609_152:
	s_or_b32 exec_lo, exec_lo, s13
	v_add_nc_u32_e32 v5, -1, v81
	v_cmp_eq_u32_e64 s13, 0, v35
	s_delay_alu instid0(VALU_DEP_2) | instskip(NEXT) | instid1(VALU_DEP_1)
	v_cmp_gt_i32_e64 s12, 0, v5
	v_cndmask_b32_e64 v5, v5, v81, s12
	v_cmp_eq_u32_e64 s12, 0, v1
	v_add_nc_u32_e32 v1, v3, v1
	s_delay_alu instid0(VALU_DEP_3) | instskip(NEXT) | instid1(VALU_DEP_3)
	v_lshlrev_b32_e32 v5, 2, v5
	v_cndmask_b32_e64 v6, 0, v4, s12
	v_cmp_eq_u32_e64 s12, 0, v81
	ds_bpermute_b32 v1, v5, v1
	v_add_nc_u32_e32 v2, v6, v2
	ds_bpermute_b32 v2, v5, v2
	s_waitcnt lgkmcnt(1)
	v_cndmask_b32_e64 v1, v1, v3, s12
	s_waitcnt lgkmcnt(0)
	v_cndmask_b32_e64 v2, v2, v4, s12
	v_cmp_eq_u32_e64 s12, 0, v0
	s_delay_alu instid0(VALU_DEP_1) | instskip(SKIP_1) | instid1(VALU_DEP_2)
	v_cndmask_b32_e64 v68, v2, v63, s12
	v_cndmask_b32_e64 v67, v1, 0, s12
	;; [unrolled: 1-line block ×3, first 2 shown]
	s_delay_alu instid0(VALU_DEP_2) | instskip(NEXT) | instid1(VALU_DEP_2)
	v_add_nc_u32_e32 v73, v67, v35
	v_add_nc_u32_e32 v74, v2, v49
	s_delay_alu instid0(VALU_DEP_2) | instskip(NEXT) | instid1(VALU_DEP_2)
	v_add_nc_u32_e32 v69, v73, v36
	v_cndmask_b32_e64 v2, 0, v74, s6
	s_delay_alu instid0(VALU_DEP_2) | instskip(NEXT) | instid1(VALU_DEP_2)
	v_add_nc_u32_e32 v65, v69, v33
	v_add_nc_u32_e32 v70, v2, v50
	s_delay_alu instid0(VALU_DEP_2) | instskip(NEXT) | instid1(VALU_DEP_2)
	v_add_nc_u32_e32 v59, v65, v34
	v_cndmask_b32_e64 v2, 0, v70, s7
	;; [unrolled: 6-line block ×4, first 2 shown]
	s_delay_alu instid0(VALU_DEP_2) | instskip(NEXT) | instid1(VALU_DEP_2)
	v_add_nc_u32_e32 v5, v61, v27
	v_add_nc_u32_e32 v56, v2, v45
	s_delay_alu instid0(VALU_DEP_1) | instskip(NEXT) | instid1(VALU_DEP_1)
	v_cndmask_b32_e64 v2, 0, v56, s10
	v_add_nc_u32_e32 v54, v2, v46
	s_delay_alu instid0(VALU_DEP_1) | instskip(NEXT) | instid1(VALU_DEP_1)
	v_cndmask_b32_e64 v2, 0, v54, s11
	;; [unrolled: 3-line block ×6, first 2 shown]
	v_add_nc_u32_e32 v52, v1, v39
	ds_load_b64 v[1:2], v7 offset:2120
	v_add_nc_u32_e32 v7, v5, v28
	v_cndmask_b32_e64 v3, 0, v52, s1
	s_delay_alu instid0(VALU_DEP_2) | instskip(NEXT) | instid1(VALU_DEP_2)
	v_add_nc_u32_e32 v51, v7, v25
	v_add_nc_u32_e32 v76, v3, v40
	s_delay_alu instid0(VALU_DEP_2) | instskip(NEXT) | instid1(VALU_DEP_2)
	v_add_nc_u32_e32 v75, v51, v26
	v_cndmask_b32_e32 v3, 0, v76, vcc_lo
	s_delay_alu instid0(VALU_DEP_2) | instskip(NEXT) | instid1(VALU_DEP_2)
	v_add_nc_u32_e32 v71, v75, v23
	v_add_nc_u32_e32 v72, v3, v37
	s_waitcnt lgkmcnt(0)
	v_cmp_eq_u32_e32 vcc_lo, 0, v1
	s_delay_alu instid0(VALU_DEP_2) | instskip(SKIP_1) | instid1(VALU_DEP_2)
	v_cndmask_b32_e64 v3, 0, v72, s0
	v_dual_cndmask_b32 v4, 0, v63 :: v_dual_add_nc_u32 v63, v71, v24
	v_add_nc_u32_e32 v64, v3, v38
	s_delay_alu instid0(VALU_DEP_2)
	v_add_nc_u32_e32 v80, v4, v2
	s_and_saveexec_b32 s0, s12
	s_cbranch_execz .LBB609_154
; %bb.153:
	s_delay_alu instid0(VALU_DEP_1)
	v_and_b32_e32 v2, 0xff000000, v80
	v_dual_mov_b32 v4, 0 :: v_dual_and_b32 v3, 0xff0000, v80
	s_add_u32 s2, s24, 0x200
	v_and_b32_e32 v37, 0xff00, v80
	s_addc_u32 s3, s25, 0
	v_and_b32_e32 v38, 0xff, v80
	v_or_b32_e32 v2, v3, v2
	v_mov_b32_e32 v3, 2
	s_delay_alu instid0(VALU_DEP_2)
	v_or3_b32 v2, v2, v37, v38
	v_dual_mov_b32 v38, s3 :: v_dual_mov_b32 v37, s2
	;;#ASMSTART
	global_store_dwordx4 v[37:38], v[1:4] off	
s_waitcnt vmcnt(0)
	;;#ASMEND
.LBB609_154:
	s_or_b32 exec_lo, exec_lo, s0
	v_mov_b32_e32 v3, 0
.LBB609_155:
	v_mov_b32_e32 v37, 0
	s_and_b32 s0, s16, exec_lo
	v_mov_b32_e32 v38, 0
	s_cselect_b32 s1, 0, s43
	s_cselect_b32 s0, 0, s42
	s_waitcnt lgkmcnt(0)
	s_cmp_eq_u64 s[0:1], 0
	s_barrier
	buffer_gl0_inv
	s_cbranch_scc1 .LBB609_157
; %bb.156:
	v_mov_b32_e32 v2, 0
	global_load_b64 v[37:38], v2, s[0:1]
.LBB609_157:
	v_cmp_eq_u32_e32 vcc_lo, 0, v35
	v_cmp_ne_u32_e64 s14, 0, v35
	v_cmp_ne_u32_e64 s13, 0, v36
	;; [unrolled: 1-line block ×4, first 2 shown]
	v_cndmask_b32_e64 v2, 1, 2, vcc_lo
	v_cmp_eq_u32_e32 vcc_lo, 0, v36
	v_cmp_ne_u32_e64 s10, 0, v31
	v_cmp_ne_u32_e64 s9, 0, v32
	;; [unrolled: 1-line block ×4, first 2 shown]
	v_cndmask_b32_e64 v4, 1, 2, vcc_lo
	v_cmp_eq_u32_e32 vcc_lo, 0, v33
	v_cmp_ne_u32_e64 s8, 0, v27
	v_cmp_ne_u32_e64 s6, 0, v28
	;; [unrolled: 1-line block ×3, first 2 shown]
	v_and_b32_e32 v2, v4, v2
	v_cndmask_b32_e64 v39, 1, 2, vcc_lo
	v_cmp_eq_u32_e32 vcc_lo, 0, v34
	v_cmp_ne_u32_e64 s3, 0, v26
	v_cmp_ne_u32_e64 s2, 0, v23
	;; [unrolled: 1-line block ×3, first 2 shown]
	v_and_b32_e32 v2, v2, v39
	v_cndmask_b32_e64 v4, 1, 2, vcc_lo
	v_cmp_eq_u32_e32 vcc_lo, 0, v31
	v_cmp_ne_u32_e64 s0, 0, v78
	s_mov_b32 s16, -1
	s_delay_alu instid0(VALU_DEP_3) | instskip(SKIP_2) | instid1(VALU_DEP_2)
	v_and_b32_e32 v2, v2, v4
	v_cndmask_b32_e64 v39, 1, 2, vcc_lo
	v_cmp_eq_u32_e32 vcc_lo, 0, v32
	v_and_b32_e32 v2, v2, v39
	v_cndmask_b32_e64 v4, 1, 2, vcc_lo
	v_cmp_eq_u32_e32 vcc_lo, 0, v29
	s_waitcnt vmcnt(0)
	v_lshlrev_b64 v[39:40], 2, v[37:38]
	s_delay_alu instid0(VALU_DEP_3) | instskip(SKIP_2) | instid1(VALU_DEP_2)
	v_and_b32_e32 v2, v2, v4
	v_cndmask_b32_e64 v41, 1, 2, vcc_lo
	v_cmp_eq_u32_e32 vcc_lo, 0, v30
	v_and_b32_e32 v2, v2, v41
	v_cndmask_b32_e64 v42, 1, 2, vcc_lo
	v_cmp_eq_u32_e32 vcc_lo, 0, v27
	s_delay_alu instid0(VALU_DEP_2) | instskip(SKIP_2) | instid1(VALU_DEP_2)
	v_and_b32_e32 v2, v2, v42
	v_cndmask_b32_e64 v41, 1, 2, vcc_lo
	v_cmp_eq_u32_e32 vcc_lo, 0, v28
	v_and_b32_e32 v2, v2, v41
	v_cndmask_b32_e64 v42, 1, 2, vcc_lo
	v_cmp_eq_u32_e32 vcc_lo, 0, v25
	s_delay_alu instid0(VALU_DEP_2) | instskip(SKIP_2) | instid1(VALU_DEP_2)
	;; [unrolled: 7-line block ×3, first 2 shown]
	v_and_b32_e32 v2, v2, v43
	v_cndmask_b32_e64 v44, 1, 2, vcc_lo
	v_cmp_eq_u32_e32 vcc_lo, 0, v24
	v_and_b32_e32 v44, v2, v44
	v_cndmask_b32_e64 v45, 1, 2, vcc_lo
	v_mov_b32_e32 v4, 0
	s_delay_alu instid0(VALU_DEP_1) | instskip(SKIP_2) | instid1(VALU_DEP_2)
	v_lshlrev_b64 v[41:42], 2, v[3:4]
	v_add_co_u32 v4, vcc_lo, s22, v39
	v_add_co_ci_u32_e32 v43, vcc_lo, s23, v40, vcc_lo
	v_add_co_u32 v2, vcc_lo, v4, v41
	s_delay_alu instid0(VALU_DEP_2) | instskip(SKIP_4) | instid1(VALU_DEP_2)
	v_add_co_ci_u32_e32 v4, vcc_lo, v43, v42, vcc_lo
	v_and_b32_e32 v43, v44, v45
	v_cmp_eq_u32_e32 vcc_lo, 0, v78
	v_cndmask_b32_e64 v44, 1, 2, vcc_lo
	v_cmp_gt_u32_e32 vcc_lo, 0x100, v1
	v_and_b32_e32 v43, v43, v44
	s_delay_alu instid0(VALU_DEP_1)
	v_cmp_gt_i16_e64 s15, 2, v43
	s_cbranch_vccz .LBB609_164
; %bb.158:
	s_delay_alu instid0(VALU_DEP_1)
	s_and_saveexec_b32 s16, s15
	s_cbranch_execz .LBB609_163
; %bb.159:
	s_mov_b32 s17, 0
	s_mov_b32 s15, exec_lo
	v_cmpx_ne_u16_e32 1, v43
	s_xor_b32 s15, exec_lo, s15
	s_cbranch_execnz .LBB609_229
; %bb.160:
	s_and_not1_saveexec_b32 s15, s15
	s_cbranch_execnz .LBB609_245
.LBB609_161:
	s_or_b32 exec_lo, exec_lo, s15
	s_delay_alu instid0(SALU_CYCLE_1)
	s_and_b32 exec_lo, exec_lo, s17
	s_cbranch_execz .LBB609_163
.LBB609_162:
	v_sub_nc_u32_e32 v44, v63, v3
	v_mov_b32_e32 v45, 0
	s_delay_alu instid0(VALU_DEP_1) | instskip(NEXT) | instid1(VALU_DEP_1)
	v_lshlrev_b64 v[44:45], 2, v[44:45]
	v_add_co_u32 v44, vcc_lo, v2, v44
	s_delay_alu instid0(VALU_DEP_2)
	v_add_co_ci_u32_e32 v45, vcc_lo, v4, v45, vcc_lo
	global_store_b32 v[44:45], v77, off
.LBB609_163:
	s_or_b32 exec_lo, exec_lo, s16
	s_mov_b32 s16, 0
.LBB609_164:
	s_delay_alu instid0(SALU_CYCLE_1)
	s_and_b32 vcc_lo, exec_lo, s16
	s_cbranch_vccz .LBB609_174
; %bb.165:
	s_mov_b32 s15, exec_lo
	v_cmpx_gt_i16_e32 2, v43
	s_cbranch_execz .LBB609_170
; %bb.166:
	s_mov_b32 s17, 0
	s_mov_b32 s16, exec_lo
	v_cmpx_ne_u16_e32 1, v43
	s_xor_b32 s16, exec_lo, s16
	s_cbranch_execnz .LBB609_246
; %bb.167:
	s_and_not1_saveexec_b32 s0, s16
	s_cbranch_execnz .LBB609_262
.LBB609_168:
	s_or_b32 exec_lo, exec_lo, s0
	s_delay_alu instid0(SALU_CYCLE_1)
	s_and_b32 exec_lo, exec_lo, s17
	s_cbranch_execz .LBB609_170
.LBB609_169:
	v_sub_nc_u32_e32 v9, v63, v3
	s_delay_alu instid0(VALU_DEP_1)
	v_lshlrev_b32_e32 v9, 2, v9
	ds_store_b32 v9, v77
.LBB609_170:
	s_or_b32 exec_lo, exec_lo, s15
	s_delay_alu instid0(SALU_CYCLE_1)
	s_mov_b32 s1, exec_lo
	s_waitcnt lgkmcnt(0)
	s_waitcnt_vscnt null, 0x0
	s_barrier
	buffer_gl0_inv
	v_cmpx_lt_u32_e64 v0, v1
	s_cbranch_execz .LBB609_173
; %bb.171:
	v_dual_mov_b32 v10, 0 :: v_dual_lshlrev_b32 v11, 2, v0
	v_mov_b32_e32 v9, v0
	s_mov_b32 s2, 0
	.p2align	6
.LBB609_172:                            ; =>This Inner Loop Header: Depth=1
	ds_load_b32 v14, v11
	v_lshlrev_b64 v[12:13], 2, v[9:10]
	v_add_nc_u32_e32 v9, 0x100, v9
	v_add_nc_u32_e32 v11, 0x400, v11
	s_delay_alu instid0(VALU_DEP_2) | instskip(NEXT) | instid1(VALU_DEP_4)
	v_cmp_ge_u32_e32 vcc_lo, v9, v1
	v_add_co_u32 v12, s0, v2, v12
	s_delay_alu instid0(VALU_DEP_1)
	v_add_co_ci_u32_e64 v13, s0, v4, v13, s0
	s_or_b32 s2, vcc_lo, s2
	s_waitcnt lgkmcnt(0)
	global_store_b32 v[12:13], v14, off
	s_and_not1_b32 exec_lo, exec_lo, s2
	s_cbranch_execnz .LBB609_172
.LBB609_173:
	s_or_b32 exec_lo, exec_lo, s1
.LBB609_174:
	s_cmpk_lg_i32 s19, 0xf00
	v_cmp_eq_u32_e32 vcc_lo, 0, v0
	s_cselect_b32 s0, -1, 0
	v_cndmask_b32_e64 v4, 0, 1, s20
	s_and_b32 s0, s18, s0
	v_mad_i32_i24 v10, v0, -15, s19
	v_cndmask_b32_e64 v9, 0, 1, s0
	s_mul_hi_u32 s0, s19, 0x88888889
	s_and_b32 s1, vcc_lo, s20
	s_lshr_b32 s0, s0, 3
	v_sub_nc_u32_e32 v2, v1, v4
	v_cndmask_b32_e64 v11, v35, 0, s1
	v_cmp_eq_u32_e32 vcc_lo, s0, v0
	v_cmp_ne_u32_e64 s0, 0, v10
	s_mov_b32 s16, -1
	s_waitcnt_vscnt null, 0x0
	s_barrier
	s_and_b32 vcc_lo, s18, vcc_lo
	v_add_nc_u32_e32 v2, v2, v9
	v_cndmask_b32_e64 v9, 1, v11, s0
	v_cmp_ne_u32_e64 s0, 1, v10
	buffer_gl0_inv
	v_cndmask_b32_e64 v12, 1, v36, s0
	v_cmp_ne_u32_e64 s0, 14, v10
	s_delay_alu instid0(VALU_DEP_2) | instskip(NEXT) | instid1(VALU_DEP_2)
	v_cndmask_b32_e32 v17, v36, v12, vcc_lo
	v_cndmask_b32_e64 v13, 1, v78, s0
	v_cmp_ne_u32_e64 s0, 2, v10
	s_delay_alu instid0(VALU_DEP_3) | instskip(NEXT) | instid1(VALU_DEP_3)
	v_cmp_ne_u32_e64 s13, 0, v17
	v_cndmask_b32_e32 v16, v78, v13, vcc_lo
	s_delay_alu instid0(VALU_DEP_3) | instskip(SKIP_1) | instid1(VALU_DEP_2)
	v_cndmask_b32_e64 v14, 1, v33, s0
	v_cmp_ne_u32_e64 s0, 3, v10
	v_dual_cndmask_b32 v13, v11, v9 :: v_dual_cndmask_b32 v14, v33, v14
	s_delay_alu instid0(VALU_DEP_2) | instskip(SKIP_1) | instid1(VALU_DEP_3)
	v_cndmask_b32_e64 v15, 1, v34, s0
	v_cmp_ne_u32_e64 s0, 4, v10
	v_cmp_ne_u32_e64 s14, 0, v13
	s_delay_alu instid0(VALU_DEP_4) | instskip(NEXT) | instid1(VALU_DEP_3)
	v_cmp_ne_u32_e64 s12, 0, v14
	v_cndmask_b32_e64 v9, 1, v31, s0
	v_cmp_ne_u32_e64 s0, 5, v10
	s_delay_alu instid0(VALU_DEP_1) | instskip(SKIP_1) | instid1(VALU_DEP_1)
	v_cndmask_b32_e64 v11, 1, v32, s0
	v_cmp_eq_u32_e64 s0, 0, v13
	v_cndmask_b32_e64 v12, 1, 2, s0
	v_cmp_eq_u32_e64 s0, 0, v17
	s_delay_alu instid0(VALU_DEP_1) | instskip(SKIP_1) | instid1(VALU_DEP_1)
	v_cndmask_b32_e64 v18, 1, 2, s0
	v_cmp_ne_u32_e64 s0, 6, v10
	v_cndmask_b32_e64 v19, 1, v29, s0
	v_cmp_eq_u32_e64 s0, 0, v14
	s_delay_alu instid0(VALU_DEP_2) | instskip(NEXT) | instid1(VALU_DEP_2)
	v_dual_cndmask_b32 v19, v29, v19 :: v_dual_and_b32 v12, v18, v12
	v_cndmask_b32_e64 v18, 1, 2, s0
	v_cmp_ne_u32_e64 s0, 7, v10
	v_cndmask_b32_e32 v15, v34, v15, vcc_lo
	s_delay_alu instid0(VALU_DEP_4) | instskip(NEXT) | instid1(VALU_DEP_4)
	v_cmp_ne_u32_e64 s8, 0, v19
	v_and_b32_e32 v12, v12, v18
	s_delay_alu instid0(VALU_DEP_4) | instskip(SKIP_2) | instid1(VALU_DEP_2)
	v_cndmask_b32_e64 v20, 1, v30, s0
	v_cmp_ne_u32_e64 s0, 8, v10
	v_cmp_ne_u32_e64 s11, 0, v15
	v_cndmask_b32_e64 v21, 1, v27, s0
	v_cmp_eq_u32_e64 s0, 0, v15
	s_delay_alu instid0(VALU_DEP_2) | instskip(NEXT) | instid1(VALU_DEP_2)
	v_dual_cndmask_b32 v20, v30, v20 :: v_dual_cndmask_b32 v21, v27, v21
	v_cndmask_b32_e64 v18, 1, 2, s0
	v_cndmask_b32_e32 v22, v31, v9, vcc_lo
	v_cmp_ne_u32_e64 s0, 9, v10
	v_cndmask_b32_e32 v31, v32, v11, vcc_lo
	v_cmp_ne_u32_e64 s7, 0, v20
	v_and_b32_e32 v11, v12, v18
	v_cmp_ne_u32_e64 s10, 0, v22
	v_cndmask_b32_e64 v9, 1, v28, s0
	v_cmp_eq_u32_e64 s0, 0, v22
	v_cmp_ne_u32_e64 s9, 0, v31
	v_cmp_ne_u32_e64 s6, 0, v21
	s_delay_alu instid0(VALU_DEP_3) | instskip(SKIP_1) | instid1(VALU_DEP_2)
	v_cndmask_b32_e64 v12, 1, 2, s0
	v_cmp_ne_u32_e64 s0, 10, v10
	v_and_b32_e32 v11, v11, v12
	s_delay_alu instid0(VALU_DEP_2) | instskip(SKIP_1) | instid1(VALU_DEP_2)
	v_cndmask_b32_e64 v18, 1, v25, s0
	v_cmp_ne_u32_e64 s0, 12, v10
	v_cndmask_b32_e32 v18, v25, v18, vcc_lo
	s_delay_alu instid0(VALU_DEP_2) | instskip(SKIP_2) | instid1(VALU_DEP_4)
	v_cndmask_b32_e64 v32, 1, v23, s0
	v_cmp_eq_u32_e64 s0, 0, v31
	v_cndmask_b32_e32 v25, v28, v9, vcc_lo
	v_cmp_ne_u32_e64 s4, 0, v18
	s_delay_alu instid0(VALU_DEP_4) | instskip(NEXT) | instid1(VALU_DEP_4)
	v_cndmask_b32_e32 v23, v23, v32, vcc_lo
	v_cndmask_b32_e64 v12, 1, 2, s0
	v_cmp_ne_u32_e64 s0, 13, v10
	s_delay_alu instid0(VALU_DEP_3) | instskip(NEXT) | instid1(VALU_DEP_2)
	v_cmp_ne_u32_e64 s2, 0, v23
	v_cndmask_b32_e64 v29, 1, v24, s0
	v_cmp_eq_u32_e64 s0, 0, v19
	s_delay_alu instid0(VALU_DEP_2) | instskip(NEXT) | instid1(VALU_DEP_2)
	v_dual_cndmask_b32 v24, v24, v29 :: v_dual_and_b32 v11, v11, v12
	v_cndmask_b32_e64 v12, 1, 2, s0
	v_cmp_ne_u32_e64 s0, 11, v10
	s_delay_alu instid0(VALU_DEP_3) | instskip(NEXT) | instid1(VALU_DEP_2)
	v_cmp_ne_u32_e64 s1, 0, v24
	v_cndmask_b32_e64 v10, 1, v26, s0
	v_cmp_eq_u32_e64 s0, 0, v20
	s_delay_alu instid0(VALU_DEP_2) | instskip(NEXT) | instid1(VALU_DEP_2)
	v_dual_cndmask_b32 v26, v26, v10 :: v_dual_and_b32 v11, v11, v12
	v_cndmask_b32_e64 v12, 1, 2, s0
	v_cmp_eq_u32_e32 vcc_lo, 0, v21
	v_cmp_ne_u32_e64 s0, 0, v16
	s_delay_alu instid0(VALU_DEP_4) | instskip(NEXT) | instid1(VALU_DEP_4)
	v_cmp_ne_u32_e64 s3, 0, v26
	v_and_b32_e32 v9, v11, v12
	v_cndmask_b32_e64 v10, 1, 2, vcc_lo
	v_add_co_u32 v11, vcc_lo, s36, v39
	v_add_co_ci_u32_e32 v12, vcc_lo, s37, v40, vcc_lo
	v_cmp_eq_u32_e32 vcc_lo, 0, v25
	s_delay_alu instid0(VALU_DEP_4)
	v_and_b32_e32 v27, v9, v10
	v_cndmask_b32_e64 v28, 1, 2, vcc_lo
	v_add_co_u32 v9, vcc_lo, v11, v41
	v_add_co_ci_u32_e32 v10, vcc_lo, v12, v42, vcc_lo
	v_lshlrev_b32_e32 v11, 2, v4
	v_cmp_eq_u32_e32 vcc_lo, 0, v18
	v_and_b32_e32 v12, v27, v28
	v_add_nc_u32_e32 v4, v3, v4
	v_cmp_ne_u32_e64 s5, 0, v25
	v_cndmask_b32_e64 v27, 1, 2, vcc_lo
	v_add_co_u32 v11, vcc_lo, v11, v9
	v_add_co_ci_u32_e32 v28, vcc_lo, 0, v10, vcc_lo
	v_cmp_eq_u32_e32 vcc_lo, 0, v26
	s_delay_alu instid0(VALU_DEP_4) | instskip(SKIP_4) | instid1(VALU_DEP_4)
	v_and_b32_e32 v27, v12, v27
	v_cndmask_b32_e64 v29, 1, 2, vcc_lo
	v_add_co_u32 v11, vcc_lo, v11, -4
	v_add_co_ci_u32_e32 v12, vcc_lo, -1, v28, vcc_lo
	v_cmp_eq_u32_e32 vcc_lo, 0, v23
	v_and_b32_e32 v27, v27, v29
	v_cndmask_b32_e64 v28, 1, 2, vcc_lo
	v_cmp_eq_u32_e32 vcc_lo, 0, v24
	s_delay_alu instid0(VALU_DEP_2) | instskip(SKIP_2) | instid1(VALU_DEP_2)
	v_and_b32_e32 v13, v27, v28
	v_cndmask_b32_e64 v14, 1, 2, vcc_lo
	v_cmp_eq_u32_e32 vcc_lo, 0, v16
	v_and_b32_e32 v13, v13, v14
	v_cndmask_b32_e64 v14, 1, 2, vcc_lo
	v_cmp_gt_u32_e32 vcc_lo, 0x100, v2
	s_delay_alu instid0(VALU_DEP_2) | instskip(NEXT) | instid1(VALU_DEP_1)
	v_and_b32_e32 v13, v13, v14
	v_cmp_gt_i16_e64 s15, 2, v13
	s_cbranch_vccnz .LBB609_178
; %bb.175:
	s_and_b32 vcc_lo, exec_lo, s16
	s_cbranch_vccnz .LBB609_184
.LBB609_176:
	v_cmp_eq_u32_e32 vcc_lo, 0xff, v0
	s_and_b32 s0, vcc_lo, s18
	s_delay_alu instid0(SALU_CYCLE_1)
	s_and_saveexec_b32 s1, s0
	s_cbranch_execnz .LBB609_193
.LBB609_177:
	s_nop 0
	s_sendmsg sendmsg(MSG_DEALLOC_VGPRS)
	s_endpgm
.LBB609_178:
	s_delay_alu instid0(VALU_DEP_1)
	s_and_saveexec_b32 s16, s15
	s_cbranch_execz .LBB609_183
; %bb.179:
	s_mov_b32 s17, 0
	s_mov_b32 s15, exec_lo
	v_cmpx_ne_u16_e32 1, v13
	s_xor_b32 s15, exec_lo, s15
	s_cbranch_execnz .LBB609_263
; %bb.180:
	s_and_not1_saveexec_b32 s15, s15
	s_cbranch_execnz .LBB609_279
.LBB609_181:
	s_or_b32 exec_lo, exec_lo, s15
	s_delay_alu instid0(SALU_CYCLE_1)
	s_and_b32 exec_lo, exec_lo, s17
	s_cbranch_execz .LBB609_183
.LBB609_182:
	v_sub_nc_u32_e32 v14, v63, v4
	v_mov_b32_e32 v15, 0
	s_delay_alu instid0(VALU_DEP_1) | instskip(NEXT) | instid1(VALU_DEP_1)
	v_lshlrev_b64 v[14:15], 2, v[14:15]
	v_add_co_u32 v14, vcc_lo, v11, v14
	s_delay_alu instid0(VALU_DEP_2)
	v_add_co_ci_u32_e32 v15, vcc_lo, v12, v15, vcc_lo
	global_store_b32 v[14:15], v64, off
.LBB609_183:
	s_or_b32 exec_lo, exec_lo, s16
	s_branch .LBB609_176
.LBB609_184:
	s_mov_b32 s15, exec_lo
	v_cmpx_gt_i16_e32 2, v13
	s_cbranch_execz .LBB609_189
; %bb.185:
	s_mov_b32 s17, 0
	s_mov_b32 s16, exec_lo
	v_cmpx_ne_u16_e32 1, v13
	s_xor_b32 s16, exec_lo, s16
	s_cbranch_execnz .LBB609_280
; %bb.186:
	s_and_not1_saveexec_b32 s0, s16
	s_cbranch_execnz .LBB609_296
.LBB609_187:
	s_or_b32 exec_lo, exec_lo, s0
	s_delay_alu instid0(SALU_CYCLE_1)
	s_and_b32 exec_lo, exec_lo, s17
	s_cbranch_execz .LBB609_189
.LBB609_188:
	v_sub_nc_u32_e32 v4, v63, v4
	s_delay_alu instid0(VALU_DEP_1)
	v_lshlrev_b32_e32 v4, 2, v4
	ds_store_b32 v4, v64
.LBB609_189:
	s_or_b32 exec_lo, exec_lo, s15
	s_delay_alu instid0(SALU_CYCLE_1)
	s_mov_b32 s1, exec_lo
	s_waitcnt lgkmcnt(0)
	s_waitcnt_vscnt null, 0x0
	s_barrier
	buffer_gl0_inv
	v_cmpx_lt_u32_e64 v0, v2
	s_cbranch_execz .LBB609_192
; %bb.190:
	v_dual_mov_b32 v5, 0 :: v_dual_lshlrev_b32 v6, 2, v0
	v_mov_b32_e32 v4, v0
	s_mov_b32 s2, 0
	.p2align	6
.LBB609_191:                            ; =>This Inner Loop Header: Depth=1
	ds_load_b32 v13, v6
	v_lshlrev_b64 v[7:8], 2, v[4:5]
	v_add_nc_u32_e32 v4, 0x100, v4
	v_add_nc_u32_e32 v6, 0x400, v6
	s_delay_alu instid0(VALU_DEP_2) | instskip(NEXT) | instid1(VALU_DEP_4)
	v_cmp_ge_u32_e32 vcc_lo, v4, v2
	v_add_co_u32 v7, s0, v11, v7
	s_delay_alu instid0(VALU_DEP_1)
	v_add_co_ci_u32_e64 v8, s0, v12, v8, s0
	s_or_b32 s2, vcc_lo, s2
	s_waitcnt lgkmcnt(0)
	global_store_b32 v[7:8], v13, off
	s_and_not1_b32 exec_lo, exec_lo, s2
	s_cbranch_execnz .LBB609_191
.LBB609_192:
	s_or_b32 exec_lo, exec_lo, s1
	v_cmp_eq_u32_e32 vcc_lo, 0xff, v0
	s_and_b32 s0, vcc_lo, s18
	s_delay_alu instid0(SALU_CYCLE_1)
	s_and_saveexec_b32 s1, s0
	s_cbranch_execz .LBB609_177
.LBB609_193:
	v_add_co_u32 v0, s0, v1, v3
	s_delay_alu instid0(VALU_DEP_1) | instskip(SKIP_1) | instid1(VALU_DEP_3)
	v_add_co_ci_u32_e64 v4, null, 0, 0, s0
	v_mov_b32_e32 v2, 0
	v_add_co_u32 v3, vcc_lo, v0, v37
	s_delay_alu instid0(VALU_DEP_3)
	v_add_co_ci_u32_e32 v4, vcc_lo, v4, v38, vcc_lo
	s_cmpk_lg_i32 s19, 0xf00
	global_store_b64 v2, v[3:4], s[38:39]
	s_cbranch_scc1 .LBB609_177
; %bb.194:
	v_lshlrev_b64 v[0:1], 2, v[1:2]
	s_delay_alu instid0(VALU_DEP_1) | instskip(NEXT) | instid1(VALU_DEP_2)
	v_add_co_u32 v0, vcc_lo, v9, v0
	v_add_co_ci_u32_e32 v1, vcc_lo, v10, v1, vcc_lo
	global_store_b32 v[0:1], v80, off offset:-4
	s_nop 0
	s_sendmsg sendmsg(MSG_DEALLOC_VGPRS)
	s_endpgm
.LBB609_195:
                                        ; implicit-def: $sgpr2
                                        ; implicit-def: $vgpr78
                                        ; implicit-def: $vgpr24
                                        ; implicit-def: $vgpr23
                                        ; implicit-def: $vgpr26
                                        ; implicit-def: $vgpr25
                                        ; implicit-def: $vgpr28
                                        ; implicit-def: $vgpr27
                                        ; implicit-def: $vgpr30
                                        ; implicit-def: $vgpr29
                                        ; implicit-def: $vgpr32
                                        ; implicit-def: $vgpr31
                                        ; implicit-def: $vgpr34
                                        ; implicit-def: $vgpr33
                                        ; implicit-def: $vgpr36
	s_cbranch_execz .LBB609_109
; %bb.196:
	v_mad_u32_u24 v23, v0, 15, 14
	s_waitcnt lgkmcnt(0)
	v_dual_mov_b32 v24, 0 :: v_dual_lshlrev_b32 v3, 2, v0
	v_mul_u32_u24_e32 v1, 15, v0
	v_mov_b32_e32 v78, 0
	s_mov_b32 s2, exec_lo
	ds_store_b32 v3, v77
	v_cmpx_gt_u64_e64 s[0:1], v[23:24]
; %bb.197:
	v_mul_hi_i32 v2, 0x66666667, v10
	v_mul_hi_i32 v4, 0x66666667, v77
	s_delay_alu instid0(VALU_DEP_2) | instskip(SKIP_1) | instid1(VALU_DEP_3)
	v_lshrrev_b32_e32 v5, 31, v2
	v_ashrrev_i32_e32 v2, 2, v2
	v_lshrrev_b32_e32 v6, 31, v4
	v_ashrrev_i32_e32 v4, 2, v4
	s_delay_alu instid0(VALU_DEP_3) | instskip(NEXT) | instid1(VALU_DEP_2)
	v_add_nc_u32_e32 v2, v2, v5
	v_add_nc_u32_e32 v4, v4, v6
	s_delay_alu instid0(VALU_DEP_1)
	v_cmp_ne_u32_e32 vcc_lo, v2, v4
	v_cndmask_b32_e64 v78, 0, 1, vcc_lo
; %bb.198:
	s_or_b32 exec_lo, exec_lo, s2
	v_add_nc_u32_e32 v23, 13, v1
	s_mov_b32 s2, exec_lo
	s_delay_alu instid0(VALU_DEP_1)
	v_cmpx_gt_u64_e64 s[0:1], v[23:24]
; %bb.199:
	v_mul_hi_i32 v2, 0x66666667, v9
	v_mul_hi_i32 v4, 0x66666667, v10
	s_delay_alu instid0(VALU_DEP_2) | instskip(SKIP_1) | instid1(VALU_DEP_3)
	v_lshrrev_b32_e32 v5, 31, v2
	v_ashrrev_i32_e32 v2, 2, v2
	v_lshrrev_b32_e32 v6, 31, v4
	v_ashrrev_i32_e32 v4, 2, v4
	s_delay_alu instid0(VALU_DEP_3) | instskip(NEXT) | instid1(VALU_DEP_2)
	v_add_nc_u32_e32 v2, v2, v5
	v_add_nc_u32_e32 v4, v4, v6
	s_delay_alu instid0(VALU_DEP_1)
	v_cmp_ne_u32_e32 vcc_lo, v2, v4
	v_cndmask_b32_e64 v24, 0, 1, vcc_lo
; %bb.200:
	s_or_b32 exec_lo, exec_lo, s2
	v_dual_mov_b32 v26, 0 :: v_dual_add_nc_u32 v25, 12, v1
	v_mov_b32_e32 v23, 0
	s_mov_b32 s2, exec_lo
	s_delay_alu instid0(VALU_DEP_2)
	v_cmpx_gt_u64_e64 s[0:1], v[25:26]
; %bb.201:
	v_mul_hi_i32 v2, 0x66666667, v12
	v_mul_hi_i32 v4, 0x66666667, v9
	s_delay_alu instid0(VALU_DEP_2) | instskip(SKIP_1) | instid1(VALU_DEP_3)
	v_lshrrev_b32_e32 v5, 31, v2
	v_ashrrev_i32_e32 v2, 2, v2
	v_lshrrev_b32_e32 v6, 31, v4
	v_ashrrev_i32_e32 v4, 2, v4
	s_delay_alu instid0(VALU_DEP_3) | instskip(NEXT) | instid1(VALU_DEP_2)
	v_add_nc_u32_e32 v2, v2, v5
	v_add_nc_u32_e32 v4, v4, v6
	s_delay_alu instid0(VALU_DEP_1)
	v_cmp_ne_u32_e32 vcc_lo, v2, v4
	v_cndmask_b32_e64 v23, 0, 1, vcc_lo
; %bb.202:
	s_or_b32 exec_lo, exec_lo, s2
	v_add_nc_u32_e32 v25, 11, v1
	s_mov_b32 s2, exec_lo
	s_delay_alu instid0(VALU_DEP_1)
	v_cmpx_gt_u64_e64 s[0:1], v[25:26]
; %bb.203:
	v_mul_hi_i32 v2, 0x66666667, v11
	v_mul_hi_i32 v4, 0x66666667, v12
	s_delay_alu instid0(VALU_DEP_2) | instskip(SKIP_1) | instid1(VALU_DEP_3)
	v_lshrrev_b32_e32 v5, 31, v2
	v_ashrrev_i32_e32 v2, 2, v2
	v_lshrrev_b32_e32 v6, 31, v4
	v_ashrrev_i32_e32 v4, 2, v4
	s_delay_alu instid0(VALU_DEP_3) | instskip(NEXT) | instid1(VALU_DEP_2)
	v_add_nc_u32_e32 v2, v2, v5
	v_add_nc_u32_e32 v4, v4, v6
	s_delay_alu instid0(VALU_DEP_1)
	v_cmp_ne_u32_e32 vcc_lo, v2, v4
	v_cndmask_b32_e64 v26, 0, 1, vcc_lo
; %bb.204:
	s_or_b32 exec_lo, exec_lo, s2
	v_dual_mov_b32 v28, 0 :: v_dual_add_nc_u32 v27, 10, v1
	v_mov_b32_e32 v25, 0
	s_mov_b32 s2, exec_lo
	s_delay_alu instid0(VALU_DEP_2)
	;; [unrolled: 41-line block ×6, first 2 shown]
	v_cmpx_gt_u64_e64 s[0:1], v[35:36]
; %bb.221:
	v_mul_hi_i32 v2, 0x66666667, v22
	v_mul_hi_i32 v4, 0x66666667, v19
	s_delay_alu instid0(VALU_DEP_2) | instskip(SKIP_1) | instid1(VALU_DEP_3)
	v_lshrrev_b32_e32 v5, 31, v2
	v_ashrrev_i32_e32 v2, 2, v2
	v_lshrrev_b32_e32 v6, 31, v4
	v_ashrrev_i32_e32 v4, 2, v4
	s_delay_alu instid0(VALU_DEP_3) | instskip(NEXT) | instid1(VALU_DEP_2)
	v_add_nc_u32_e32 v2, v2, v5
	v_add_nc_u32_e32 v4, v4, v6
	s_delay_alu instid0(VALU_DEP_1)
	v_cmp_ne_u32_e32 vcc_lo, v2, v4
	v_cndmask_b32_e64 v33, 0, 1, vcc_lo
; %bb.222:
	s_or_b32 exec_lo, exec_lo, s2
	v_add_nc_u32_e32 v35, 1, v1
	s_mov_b32 s2, exec_lo
	s_delay_alu instid0(VALU_DEP_1)
	v_cmpx_gt_u64_e64 s[0:1], v[35:36]
; %bb.223:
	v_mul_hi_i32 v2, 0x66666667, v21
	v_mul_hi_i32 v4, 0x66666667, v22
	s_delay_alu instid0(VALU_DEP_2) | instskip(SKIP_1) | instid1(VALU_DEP_3)
	v_lshrrev_b32_e32 v5, 31, v2
	v_ashrrev_i32_e32 v2, 2, v2
	v_lshrrev_b32_e32 v6, 31, v4
	v_ashrrev_i32_e32 v4, 2, v4
	s_delay_alu instid0(VALU_DEP_3) | instskip(NEXT) | instid1(VALU_DEP_2)
	v_add_nc_u32_e32 v2, v2, v5
	v_add_nc_u32_e32 v4, v4, v6
	s_delay_alu instid0(VALU_DEP_1)
	v_cmp_ne_u32_e32 vcc_lo, v2, v4
	v_cndmask_b32_e64 v36, 0, 1, vcc_lo
; %bb.224:
	s_or_b32 exec_lo, exec_lo, s2
	s_mov_b32 s4, 0
	s_mov_b32 s3, exec_lo
	s_waitcnt lgkmcnt(0)
	s_barrier
	buffer_gl0_inv
                                        ; implicit-def: $sgpr2
	v_cmpx_ne_u32_e32 0, v0
	s_cbranch_execz .LBB609_228
; %bb.225:
	v_mov_b32_e32 v2, 0
	s_delay_alu instid0(VALU_DEP_1)
	v_cmp_gt_u64_e32 vcc_lo, s[0:1], v[1:2]
	s_and_saveexec_b32 s0, vcc_lo
	s_cbranch_execz .LBB609_227
; %bb.226:
	v_add_nc_u32_e32 v1, -4, v3
	v_mul_hi_i32 v2, 0x66666667, v21
	ds_load_b32 v1, v1
	v_lshrrev_b32_e32 v3, 31, v2
	v_ashrrev_i32_e32 v2, 2, v2
	s_delay_alu instid0(VALU_DEP_1) | instskip(SKIP_2) | instid1(VALU_DEP_1)
	v_add_nc_u32_e32 v2, v2, v3
	s_waitcnt lgkmcnt(0)
	v_mul_hi_i32 v1, 0x66666667, v1
	v_lshrrev_b32_e32 v4, 31, v1
	v_ashrrev_i32_e32 v1, 2, v1
	s_delay_alu instid0(VALU_DEP_1) | instskip(NEXT) | instid1(VALU_DEP_1)
	v_add_nc_u32_e32 v1, v1, v4
	v_cmp_ne_u32_e32 vcc_lo, v1, v2
	s_and_b32 s4, vcc_lo, exec_lo
.LBB609_227:
	s_or_b32 exec_lo, exec_lo, s0
	s_delay_alu instid0(SALU_CYCLE_1)
	s_and_b32 s2, s4, exec_lo
	s_or_b32 s28, s28, exec_lo
.LBB609_228:
	s_or_b32 exec_lo, exec_lo, s3
	s_mov_b32 s0, 1
	s_delay_alu instid0(SALU_CYCLE_1)
	v_mov_b32_e32 v35, s0
	s_and_saveexec_b32 s0, s28
	s_cbranch_execnz .LBB609_111
	s_branch .LBB609_112
.LBB609_229:
	s_and_saveexec_b32 s17, s14
	s_cbranch_execnz .LBB609_297
; %bb.230:
	s_or_b32 exec_lo, exec_lo, s17
	s_and_saveexec_b32 s17, s13
	s_cbranch_execnz .LBB609_298
.LBB609_231:
	s_or_b32 exec_lo, exec_lo, s17
	s_and_saveexec_b32 s17, s12
	s_cbranch_execnz .LBB609_299
.LBB609_232:
	s_or_b32 exec_lo, exec_lo, s17
	s_and_saveexec_b32 s17, s11
	s_cbranch_execnz .LBB609_300
.LBB609_233:
	s_or_b32 exec_lo, exec_lo, s17
	s_and_saveexec_b32 s17, s10
	s_cbranch_execnz .LBB609_301
.LBB609_234:
	s_or_b32 exec_lo, exec_lo, s17
	s_and_saveexec_b32 s17, s9
	s_cbranch_execnz .LBB609_302
.LBB609_235:
	s_or_b32 exec_lo, exec_lo, s17
	s_and_saveexec_b32 s17, s7
	s_cbranch_execnz .LBB609_303
.LBB609_236:
	s_or_b32 exec_lo, exec_lo, s17
	s_and_saveexec_b32 s17, s5
	s_cbranch_execnz .LBB609_304
.LBB609_237:
	s_or_b32 exec_lo, exec_lo, s17
	s_and_saveexec_b32 s17, s8
	s_cbranch_execnz .LBB609_305
.LBB609_238:
	s_or_b32 exec_lo, exec_lo, s17
	s_and_saveexec_b32 s17, s6
	s_cbranch_execnz .LBB609_306
.LBB609_239:
	s_or_b32 exec_lo, exec_lo, s17
	s_and_saveexec_b32 s17, s4
	s_cbranch_execnz .LBB609_307
.LBB609_240:
	s_or_b32 exec_lo, exec_lo, s17
	s_and_saveexec_b32 s17, s3
	s_cbranch_execnz .LBB609_308
.LBB609_241:
	s_or_b32 exec_lo, exec_lo, s17
	s_and_saveexec_b32 s17, s2
	s_cbranch_execnz .LBB609_309
.LBB609_242:
	s_or_b32 exec_lo, exec_lo, s17
	s_and_saveexec_b32 s17, s1
	s_cbranch_execz .LBB609_244
.LBB609_243:
	v_sub_nc_u32_e32 v44, v71, v3
	v_mov_b32_e32 v45, 0
	s_delay_alu instid0(VALU_DEP_1) | instskip(NEXT) | instid1(VALU_DEP_1)
	v_lshlrev_b64 v[44:45], 2, v[44:45]
	v_add_co_u32 v44, vcc_lo, v2, v44
	s_delay_alu instid0(VALU_DEP_2)
	v_add_co_ci_u32_e32 v45, vcc_lo, v4, v45, vcc_lo
	global_store_b32 v[44:45], v10, off
.LBB609_244:
	s_or_b32 exec_lo, exec_lo, s17
	s_delay_alu instid0(SALU_CYCLE_1)
	s_and_b32 s17, s0, exec_lo
	s_and_not1_saveexec_b32 s15, s15
	s_cbranch_execz .LBB609_161
.LBB609_245:
	v_sub_nc_u32_e32 v44, v67, v3
	v_mov_b32_e32 v45, 0
	s_or_b32 s17, s17, exec_lo
	s_delay_alu instid0(VALU_DEP_1) | instskip(SKIP_1) | instid1(VALU_DEP_1)
	v_lshlrev_b64 v[46:47], 2, v[44:45]
	v_sub_nc_u32_e32 v44, v73, v3
	v_lshlrev_b64 v[48:49], 2, v[44:45]
	v_sub_nc_u32_e32 v44, v69, v3
	s_delay_alu instid0(VALU_DEP_4) | instskip(SKIP_1) | instid1(VALU_DEP_3)
	v_add_co_u32 v46, vcc_lo, v2, v46
	v_add_co_ci_u32_e32 v47, vcc_lo, v4, v47, vcc_lo
	v_lshlrev_b64 v[81:82], 2, v[44:45]
	v_sub_nc_u32_e32 v44, v65, v3
	v_add_co_u32 v48, vcc_lo, v2, v48
	v_add_co_ci_u32_e32 v49, vcc_lo, v4, v49, vcc_lo
	global_store_b32 v[46:47], v21, off
	v_lshlrev_b64 v[46:47], 2, v[44:45]
	v_sub_nc_u32_e32 v44, v59, v3
	global_store_b32 v[48:49], v22, off
	v_add_co_u32 v48, vcc_lo, v2, v81
	v_add_co_ci_u32_e32 v49, vcc_lo, v4, v82, vcc_lo
	v_lshlrev_b64 v[81:82], 2, v[44:45]
	v_sub_nc_u32_e32 v44, v55, v3
	v_add_co_u32 v46, vcc_lo, v2, v46
	v_add_co_ci_u32_e32 v47, vcc_lo, v4, v47, vcc_lo
	s_delay_alu instid0(VALU_DEP_3) | instskip(SKIP_3) | instid1(VALU_DEP_3)
	v_lshlrev_b64 v[83:84], 2, v[44:45]
	v_sub_nc_u32_e32 v44, v53, v3
	v_add_co_u32 v81, vcc_lo, v2, v81
	v_add_co_ci_u32_e32 v82, vcc_lo, v4, v82, vcc_lo
	v_lshlrev_b64 v[85:86], 2, v[44:45]
	v_sub_nc_u32_e32 v44, v57, v3
	v_add_co_u32 v83, vcc_lo, v2, v83
	v_add_co_ci_u32_e32 v84, vcc_lo, v4, v84, vcc_lo
	s_clause 0x3
	global_store_b32 v[48:49], v19, off
	global_store_b32 v[46:47], v20, off
	;; [unrolled: 1-line block ×4, first 2 shown]
	v_lshlrev_b64 v[46:47], 2, v[44:45]
	v_sub_nc_u32_e32 v44, v61, v3
	v_add_co_u32 v48, vcc_lo, v2, v85
	v_add_co_ci_u32_e32 v49, vcc_lo, v4, v86, vcc_lo
	s_delay_alu instid0(VALU_DEP_3) | instskip(SKIP_3) | instid1(VALU_DEP_3)
	v_lshlrev_b64 v[81:82], 2, v[44:45]
	v_sub_nc_u32_e32 v44, v5, v3
	v_add_co_u32 v46, vcc_lo, v2, v46
	v_add_co_ci_u32_e32 v47, vcc_lo, v4, v47, vcc_lo
	v_lshlrev_b64 v[83:84], 2, v[44:45]
	v_sub_nc_u32_e32 v44, v7, v3
	v_add_co_u32 v81, vcc_lo, v2, v81
	v_add_co_ci_u32_e32 v82, vcc_lo, v4, v82, vcc_lo
	s_delay_alu instid0(VALU_DEP_3)
	v_lshlrev_b64 v[85:86], 2, v[44:45]
	v_sub_nc_u32_e32 v44, v51, v3
	v_add_co_u32 v83, vcc_lo, v2, v83
	v_add_co_ci_u32_e32 v84, vcc_lo, v4, v84, vcc_lo
	s_clause 0x3
	global_store_b32 v[48:49], v15, off
	global_store_b32 v[46:47], v16, off
	;; [unrolled: 1-line block ×4, first 2 shown]
	v_lshlrev_b64 v[46:47], 2, v[44:45]
	v_sub_nc_u32_e32 v44, v75, v3
	v_add_co_u32 v48, vcc_lo, v2, v85
	v_add_co_ci_u32_e32 v49, vcc_lo, v4, v86, vcc_lo
	s_delay_alu instid0(VALU_DEP_3) | instskip(SKIP_3) | instid1(VALU_DEP_3)
	v_lshlrev_b64 v[81:82], 2, v[44:45]
	v_sub_nc_u32_e32 v44, v71, v3
	v_add_co_u32 v46, vcc_lo, v2, v46
	v_add_co_ci_u32_e32 v47, vcc_lo, v4, v47, vcc_lo
	v_lshlrev_b64 v[44:45], 2, v[44:45]
	v_add_co_u32 v81, vcc_lo, v2, v81
	v_add_co_ci_u32_e32 v82, vcc_lo, v4, v82, vcc_lo
	s_clause 0x2
	global_store_b32 v[48:49], v11, off
	global_store_b32 v[46:47], v12, off
	;; [unrolled: 1-line block ×3, first 2 shown]
	v_add_co_u32 v44, vcc_lo, v2, v44
	v_add_co_ci_u32_e32 v45, vcc_lo, v4, v45, vcc_lo
	global_store_b32 v[44:45], v10, off
	s_or_b32 exec_lo, exec_lo, s15
	s_delay_alu instid0(SALU_CYCLE_1)
	s_and_b32 exec_lo, exec_lo, s17
	s_cbranch_execnz .LBB609_162
	s_branch .LBB609_163
.LBB609_246:
	s_and_saveexec_b32 s17, s14
	s_cbranch_execnz .LBB609_310
; %bb.247:
	s_or_b32 exec_lo, exec_lo, s17
	s_and_saveexec_b32 s14, s13
	s_cbranch_execnz .LBB609_311
.LBB609_248:
	s_or_b32 exec_lo, exec_lo, s14
	s_and_saveexec_b32 s13, s12
	s_cbranch_execnz .LBB609_312
.LBB609_249:
	s_or_b32 exec_lo, exec_lo, s13
	s_and_saveexec_b32 s12, s11
	s_cbranch_execnz .LBB609_313
.LBB609_250:
	s_or_b32 exec_lo, exec_lo, s12
	s_and_saveexec_b32 s11, s10
	s_cbranch_execnz .LBB609_314
.LBB609_251:
	s_or_b32 exec_lo, exec_lo, s11
	s_and_saveexec_b32 s10, s9
	s_cbranch_execnz .LBB609_315
.LBB609_252:
	s_or_b32 exec_lo, exec_lo, s10
	s_and_saveexec_b32 s9, s7
	s_cbranch_execnz .LBB609_316
.LBB609_253:
	s_or_b32 exec_lo, exec_lo, s9
	s_and_saveexec_b32 s7, s5
	s_cbranch_execnz .LBB609_317
.LBB609_254:
	s_or_b32 exec_lo, exec_lo, s7
	s_and_saveexec_b32 s5, s8
	s_cbranch_execnz .LBB609_318
.LBB609_255:
	s_or_b32 exec_lo, exec_lo, s5
	s_and_saveexec_b32 s5, s6
	s_cbranch_execnz .LBB609_319
.LBB609_256:
	s_or_b32 exec_lo, exec_lo, s5
	s_and_saveexec_b32 s5, s4
	s_cbranch_execnz .LBB609_320
.LBB609_257:
	s_or_b32 exec_lo, exec_lo, s5
	s_and_saveexec_b32 s4, s3
	s_cbranch_execnz .LBB609_321
.LBB609_258:
	s_or_b32 exec_lo, exec_lo, s4
	s_and_saveexec_b32 s3, s2
	s_cbranch_execnz .LBB609_322
.LBB609_259:
	s_or_b32 exec_lo, exec_lo, s3
	s_and_saveexec_b32 s2, s1
	s_cbranch_execz .LBB609_261
.LBB609_260:
	v_sub_nc_u32_e32 v9, v71, v3
	s_delay_alu instid0(VALU_DEP_1)
	v_lshlrev_b32_e32 v9, 2, v9
	ds_store_b32 v9, v10
.LBB609_261:
	s_or_b32 exec_lo, exec_lo, s2
	s_delay_alu instid0(SALU_CYCLE_1)
	s_and_b32 s17, s0, exec_lo
                                        ; implicit-def: $vgpr21
                                        ; implicit-def: $vgpr19
                                        ; implicit-def: $vgpr17
                                        ; implicit-def: $vgpr15
                                        ; implicit-def: $vgpr13
                                        ; implicit-def: $vgpr11
                                        ; implicit-def: $vgpr9
	s_and_not1_saveexec_b32 s0, s16
	s_cbranch_execz .LBB609_168
.LBB609_262:
	v_sub_nc_u32_e32 v43, v67, v3
	v_sub_nc_u32_e32 v46, v65, v3
	;; [unrolled: 1-line block ×4, first 2 shown]
	s_or_b32 s17, s17, exec_lo
	v_lshlrev_b32_e32 v43, 2, v43
	v_lshlrev_b32_e32 v46, 2, v46
	;; [unrolled: 1-line block ×4, first 2 shown]
	ds_store_b32 v43, v21
	ds_store_b32 v44, v22
	;; [unrolled: 1-line block ×3, first 2 shown]
	v_sub_nc_u32_e32 v19, v59, v3
	ds_store_b32 v46, v20
	v_sub_nc_u32_e32 v20, v55, v3
	v_sub_nc_u32_e32 v21, v53, v3
	;; [unrolled: 1-line block ×3, first 2 shown]
	v_lshlrev_b32_e32 v19, 2, v19
	v_sub_nc_u32_e32 v43, v61, v3
	v_lshlrev_b32_e32 v20, 2, v20
	v_lshlrev_b32_e32 v21, 2, v21
	;; [unrolled: 1-line block ×3, first 2 shown]
	ds_store_b32 v19, v17
	v_lshlrev_b32_e32 v17, 2, v43
	ds_store_b32 v20, v18
	ds_store_b32 v21, v15
	;; [unrolled: 1-line block ×3, first 2 shown]
	v_sub_nc_u32_e32 v15, v5, v3
	v_sub_nc_u32_e32 v18, v71, v3
	;; [unrolled: 1-line block ×3, first 2 shown]
	ds_store_b32 v17, v13
	v_sub_nc_u32_e32 v13, v7, v3
	v_lshlrev_b32_e32 v15, 2, v15
	v_sub_nc_u32_e32 v17, v75, v3
	v_lshlrev_b32_e32 v16, 2, v16
	s_delay_alu instid0(VALU_DEP_4)
	v_lshlrev_b32_e32 v13, 2, v13
	ds_store_b32 v15, v14
	v_lshlrev_b32_e32 v14, 2, v18
	v_lshlrev_b32_e32 v17, 2, v17
	ds_store_b32 v13, v11
	ds_store_b32 v16, v12
	;; [unrolled: 1-line block ×4, first 2 shown]
	s_or_b32 exec_lo, exec_lo, s0
	s_delay_alu instid0(SALU_CYCLE_1)
	s_and_b32 exec_lo, exec_lo, s17
	s_cbranch_execnz .LBB609_169
	s_branch .LBB609_170
.LBB609_263:
	s_and_saveexec_b32 s17, s14
	s_cbranch_execnz .LBB609_323
; %bb.264:
	s_or_b32 exec_lo, exec_lo, s17
	s_and_saveexec_b32 s17, s13
	s_cbranch_execnz .LBB609_324
.LBB609_265:
	s_or_b32 exec_lo, exec_lo, s17
	s_and_saveexec_b32 s17, s12
	s_cbranch_execnz .LBB609_325
.LBB609_266:
	s_or_b32 exec_lo, exec_lo, s17
	s_and_saveexec_b32 s17, s11
	s_cbranch_execnz .LBB609_326
.LBB609_267:
	s_or_b32 exec_lo, exec_lo, s17
	s_and_saveexec_b32 s17, s10
	s_cbranch_execnz .LBB609_327
.LBB609_268:
	s_or_b32 exec_lo, exec_lo, s17
	s_and_saveexec_b32 s17, s9
	s_cbranch_execnz .LBB609_328
.LBB609_269:
	s_or_b32 exec_lo, exec_lo, s17
	s_and_saveexec_b32 s17, s8
	s_cbranch_execnz .LBB609_329
.LBB609_270:
	s_or_b32 exec_lo, exec_lo, s17
	s_and_saveexec_b32 s17, s7
	s_cbranch_execnz .LBB609_330
.LBB609_271:
	s_or_b32 exec_lo, exec_lo, s17
	s_and_saveexec_b32 s17, s6
	s_cbranch_execnz .LBB609_331
.LBB609_272:
	s_or_b32 exec_lo, exec_lo, s17
	s_and_saveexec_b32 s17, s5
	s_cbranch_execnz .LBB609_332
.LBB609_273:
	s_or_b32 exec_lo, exec_lo, s17
	s_and_saveexec_b32 s17, s4
	s_cbranch_execnz .LBB609_333
.LBB609_274:
	s_or_b32 exec_lo, exec_lo, s17
	s_and_saveexec_b32 s17, s3
	s_cbranch_execnz .LBB609_334
.LBB609_275:
	s_or_b32 exec_lo, exec_lo, s17
	s_and_saveexec_b32 s17, s2
	s_cbranch_execnz .LBB609_335
.LBB609_276:
	s_or_b32 exec_lo, exec_lo, s17
	s_and_saveexec_b32 s17, s1
	s_cbranch_execz .LBB609_278
.LBB609_277:
	v_sub_nc_u32_e32 v14, v71, v4
	v_mov_b32_e32 v15, 0
	s_delay_alu instid0(VALU_DEP_1) | instskip(NEXT) | instid1(VALU_DEP_1)
	v_lshlrev_b64 v[14:15], 2, v[14:15]
	v_add_co_u32 v14, vcc_lo, v11, v14
	s_delay_alu instid0(VALU_DEP_2)
	v_add_co_ci_u32_e32 v15, vcc_lo, v12, v15, vcc_lo
	global_store_b32 v[14:15], v72, off
.LBB609_278:
	s_or_b32 exec_lo, exec_lo, s17
	s_delay_alu instid0(SALU_CYCLE_1)
	s_and_b32 s17, s0, exec_lo
	s_and_not1_saveexec_b32 s15, s15
	s_cbranch_execz .LBB609_181
.LBB609_279:
	v_sub_nc_u32_e32 v14, v67, v4
	v_mov_b32_e32 v15, 0
	s_or_b32 s17, s17, exec_lo
	s_delay_alu instid0(VALU_DEP_1) | instskip(SKIP_1) | instid1(VALU_DEP_1)
	v_lshlrev_b64 v[16:17], 2, v[14:15]
	v_sub_nc_u32_e32 v14, v73, v4
	v_lshlrev_b64 v[18:19], 2, v[14:15]
	v_sub_nc_u32_e32 v14, v69, v4
	s_delay_alu instid0(VALU_DEP_4) | instskip(SKIP_1) | instid1(VALU_DEP_3)
	v_add_co_u32 v16, vcc_lo, v11, v16
	v_add_co_ci_u32_e32 v17, vcc_lo, v12, v17, vcc_lo
	v_lshlrev_b64 v[20:21], 2, v[14:15]
	v_sub_nc_u32_e32 v14, v65, v4
	v_add_co_u32 v18, vcc_lo, v11, v18
	v_add_co_ci_u32_e32 v19, vcc_lo, v12, v19, vcc_lo
	global_store_b32 v[16:17], v68, off
	v_lshlrev_b64 v[16:17], 2, v[14:15]
	v_sub_nc_u32_e32 v14, v59, v4
	global_store_b32 v[18:19], v74, off
	v_add_co_u32 v18, vcc_lo, v11, v20
	v_add_co_ci_u32_e32 v19, vcc_lo, v12, v21, vcc_lo
	v_lshlrev_b64 v[20:21], 2, v[14:15]
	v_sub_nc_u32_e32 v14, v55, v4
	v_add_co_u32 v16, vcc_lo, v11, v16
	v_add_co_ci_u32_e32 v17, vcc_lo, v12, v17, vcc_lo
	s_delay_alu instid0(VALU_DEP_3) | instskip(SKIP_3) | instid1(VALU_DEP_3)
	v_lshlrev_b64 v[22:23], 2, v[14:15]
	v_sub_nc_u32_e32 v14, v53, v4
	v_add_co_u32 v20, vcc_lo, v11, v20
	v_add_co_ci_u32_e32 v21, vcc_lo, v12, v21, vcc_lo
	v_lshlrev_b64 v[24:25], 2, v[14:15]
	v_sub_nc_u32_e32 v14, v57, v4
	v_add_co_u32 v22, vcc_lo, v11, v22
	v_add_co_ci_u32_e32 v23, vcc_lo, v12, v23, vcc_lo
	s_clause 0x3
	global_store_b32 v[18:19], v70, off
	global_store_b32 v[16:17], v66, off
	;; [unrolled: 1-line block ×4, first 2 shown]
	v_lshlrev_b64 v[16:17], 2, v[14:15]
	v_sub_nc_u32_e32 v14, v61, v4
	v_add_co_u32 v18, vcc_lo, v11, v24
	v_add_co_ci_u32_e32 v19, vcc_lo, v12, v25, vcc_lo
	s_delay_alu instid0(VALU_DEP_3) | instskip(SKIP_3) | instid1(VALU_DEP_3)
	v_lshlrev_b64 v[20:21], 2, v[14:15]
	v_sub_nc_u32_e32 v14, v5, v4
	v_add_co_u32 v16, vcc_lo, v11, v16
	v_add_co_ci_u32_e32 v17, vcc_lo, v12, v17, vcc_lo
	v_lshlrev_b64 v[22:23], 2, v[14:15]
	v_sub_nc_u32_e32 v14, v7, v4
	v_add_co_u32 v20, vcc_lo, v11, v20
	v_add_co_ci_u32_e32 v21, vcc_lo, v12, v21, vcc_lo
	s_delay_alu instid0(VALU_DEP_3)
	v_lshlrev_b64 v[24:25], 2, v[14:15]
	v_sub_nc_u32_e32 v14, v51, v4
	v_add_co_u32 v22, vcc_lo, v11, v22
	v_add_co_ci_u32_e32 v23, vcc_lo, v12, v23, vcc_lo
	s_clause 0x3
	global_store_b32 v[18:19], v54, off
	global_store_b32 v[16:17], v58, off
	;; [unrolled: 1-line block ×4, first 2 shown]
	v_lshlrev_b64 v[16:17], 2, v[14:15]
	v_sub_nc_u32_e32 v14, v75, v4
	v_add_co_u32 v18, vcc_lo, v11, v24
	v_add_co_ci_u32_e32 v19, vcc_lo, v12, v25, vcc_lo
	s_delay_alu instid0(VALU_DEP_3) | instskip(SKIP_3) | instid1(VALU_DEP_3)
	v_lshlrev_b64 v[20:21], 2, v[14:15]
	v_sub_nc_u32_e32 v14, v71, v4
	v_add_co_u32 v16, vcc_lo, v11, v16
	v_add_co_ci_u32_e32 v17, vcc_lo, v12, v17, vcc_lo
	v_lshlrev_b64 v[14:15], 2, v[14:15]
	v_add_co_u32 v20, vcc_lo, v11, v20
	v_add_co_ci_u32_e32 v21, vcc_lo, v12, v21, vcc_lo
	s_clause 0x2
	global_store_b32 v[18:19], v8, off
	global_store_b32 v[16:17], v52, off
	;; [unrolled: 1-line block ×3, first 2 shown]
	v_add_co_u32 v14, vcc_lo, v11, v14
	v_add_co_ci_u32_e32 v15, vcc_lo, v12, v15, vcc_lo
	global_store_b32 v[14:15], v72, off
	s_or_b32 exec_lo, exec_lo, s15
	s_delay_alu instid0(SALU_CYCLE_1)
	s_and_b32 exec_lo, exec_lo, s17
	s_cbranch_execnz .LBB609_182
	s_branch .LBB609_183
.LBB609_280:
	s_and_saveexec_b32 s17, s14
	s_cbranch_execnz .LBB609_336
; %bb.281:
	s_or_b32 exec_lo, exec_lo, s17
	s_and_saveexec_b32 s14, s13
	s_cbranch_execnz .LBB609_337
.LBB609_282:
	s_or_b32 exec_lo, exec_lo, s14
	s_and_saveexec_b32 s13, s12
	s_cbranch_execnz .LBB609_338
.LBB609_283:
	s_or_b32 exec_lo, exec_lo, s13
	s_and_saveexec_b32 s12, s11
	s_cbranch_execnz .LBB609_339
.LBB609_284:
	s_or_b32 exec_lo, exec_lo, s12
	s_and_saveexec_b32 s11, s10
	s_cbranch_execnz .LBB609_340
.LBB609_285:
	s_or_b32 exec_lo, exec_lo, s11
	s_and_saveexec_b32 s10, s9
	s_cbranch_execnz .LBB609_341
.LBB609_286:
	s_or_b32 exec_lo, exec_lo, s10
	s_and_saveexec_b32 s9, s8
	s_cbranch_execnz .LBB609_342
.LBB609_287:
	s_or_b32 exec_lo, exec_lo, s9
	s_and_saveexec_b32 s8, s7
	s_cbranch_execnz .LBB609_343
.LBB609_288:
	s_or_b32 exec_lo, exec_lo, s8
	s_and_saveexec_b32 s7, s6
	s_cbranch_execnz .LBB609_344
.LBB609_289:
	s_or_b32 exec_lo, exec_lo, s7
	s_and_saveexec_b32 s6, s5
	s_cbranch_execnz .LBB609_345
.LBB609_290:
	s_or_b32 exec_lo, exec_lo, s6
	s_and_saveexec_b32 s5, s4
	s_cbranch_execnz .LBB609_346
.LBB609_291:
	s_or_b32 exec_lo, exec_lo, s5
	s_and_saveexec_b32 s4, s3
	s_cbranch_execnz .LBB609_347
.LBB609_292:
	s_or_b32 exec_lo, exec_lo, s4
	s_and_saveexec_b32 s3, s2
	s_cbranch_execnz .LBB609_348
.LBB609_293:
	s_or_b32 exec_lo, exec_lo, s3
	s_and_saveexec_b32 s2, s1
	s_cbranch_execz .LBB609_295
.LBB609_294:
	v_sub_nc_u32_e32 v5, v71, v4
	s_delay_alu instid0(VALU_DEP_1)
	v_lshlrev_b32_e32 v5, 2, v5
	ds_store_b32 v5, v72
.LBB609_295:
	s_or_b32 exec_lo, exec_lo, s2
	s_delay_alu instid0(SALU_CYCLE_1)
	s_and_b32 s17, s0, exec_lo
                                        ; implicit-def: $vgpr67_vgpr68
                                        ; implicit-def: $vgpr73_vgpr74
                                        ; implicit-def: $vgpr69_vgpr70
                                        ; implicit-def: $vgpr65_vgpr66
                                        ; implicit-def: $vgpr59_vgpr60
                                        ; implicit-def: $vgpr55_vgpr56
                                        ; implicit-def: $vgpr53_vgpr54
                                        ; implicit-def: $vgpr57_vgpr58
                                        ; implicit-def: $vgpr61_vgpr62
                                        ; implicit-def: $vgpr5_vgpr6
                                        ; implicit-def: $vgpr7_vgpr8
                                        ; implicit-def: $vgpr51_vgpr52
                                        ; implicit-def: $vgpr75_vgpr76
                                        ; implicit-def: $vgpr71_vgpr72
	s_and_not1_saveexec_b32 s0, s16
	s_cbranch_execz .LBB609_187
.LBB609_296:
	v_sub_nc_u32_e32 v13, v67, v4
	v_sub_nc_u32_e32 v14, v73, v4
	;; [unrolled: 1-line block ×5, first 2 shown]
	v_lshlrev_b32_e32 v13, 2, v13
	v_lshlrev_b32_e32 v14, 2, v14
	;; [unrolled: 1-line block ×4, first 2 shown]
	v_sub_nc_u32_e32 v5, v5, v4
	ds_store_b32 v13, v68
	ds_store_b32 v14, v74
	;; [unrolled: 1-line block ×3, first 2 shown]
	v_sub_nc_u32_e32 v13, v59, v4
	v_sub_nc_u32_e32 v14, v55, v4
	;; [unrolled: 1-line block ×3, first 2 shown]
	ds_store_b32 v16, v66
	v_sub_nc_u32_e32 v16, v57, v4
	v_lshlrev_b32_e32 v13, 2, v13
	v_lshlrev_b32_e32 v14, 2, v14
	;; [unrolled: 1-line block ×3, first 2 shown]
	v_sub_nc_u32_e32 v7, v7, v4
	v_lshlrev_b32_e32 v16, 2, v16
	ds_store_b32 v13, v60
	v_lshlrev_b32_e32 v13, 2, v17
	ds_store_b32 v14, v56
	ds_store_b32 v15, v54
	;; [unrolled: 1-line block ×3, first 2 shown]
	v_lshlrev_b32_e32 v5, 2, v5
	v_sub_nc_u32_e32 v15, v71, v4
	v_sub_nc_u32_e32 v14, v75, v4
	ds_store_b32 v13, v62
	v_sub_nc_u32_e32 v13, v51, v4
	v_lshlrev_b32_e32 v7, 2, v7
	ds_store_b32 v5, v6
	v_lshlrev_b32_e32 v5, 2, v15
	v_lshlrev_b32_e32 v14, 2, v14
	v_lshlrev_b32_e32 v13, 2, v13
	s_or_b32 s17, s17, exec_lo
	ds_store_b32 v7, v8
	ds_store_b32 v13, v52
	;; [unrolled: 1-line block ×4, first 2 shown]
	s_or_b32 exec_lo, exec_lo, s0
	s_delay_alu instid0(SALU_CYCLE_1)
	s_and_b32 exec_lo, exec_lo, s17
	s_cbranch_execnz .LBB609_188
	s_branch .LBB609_189
.LBB609_297:
	v_sub_nc_u32_e32 v44, v67, v3
	v_mov_b32_e32 v45, 0
	s_delay_alu instid0(VALU_DEP_1) | instskip(NEXT) | instid1(VALU_DEP_1)
	v_lshlrev_b64 v[44:45], 2, v[44:45]
	v_add_co_u32 v44, vcc_lo, v2, v44
	s_delay_alu instid0(VALU_DEP_2)
	v_add_co_ci_u32_e32 v45, vcc_lo, v4, v45, vcc_lo
	global_store_b32 v[44:45], v21, off
	s_or_b32 exec_lo, exec_lo, s17
	s_and_saveexec_b32 s17, s13
	s_cbranch_execz .LBB609_231
.LBB609_298:
	v_sub_nc_u32_e32 v44, v73, v3
	v_mov_b32_e32 v45, 0
	s_delay_alu instid0(VALU_DEP_1) | instskip(NEXT) | instid1(VALU_DEP_1)
	v_lshlrev_b64 v[44:45], 2, v[44:45]
	v_add_co_u32 v44, vcc_lo, v2, v44
	s_delay_alu instid0(VALU_DEP_2)
	v_add_co_ci_u32_e32 v45, vcc_lo, v4, v45, vcc_lo
	global_store_b32 v[44:45], v22, off
	s_or_b32 exec_lo, exec_lo, s17
	s_and_saveexec_b32 s17, s12
	s_cbranch_execz .LBB609_232
.LBB609_299:
	v_sub_nc_u32_e32 v44, v69, v3
	v_mov_b32_e32 v45, 0
	s_delay_alu instid0(VALU_DEP_1) | instskip(NEXT) | instid1(VALU_DEP_1)
	v_lshlrev_b64 v[44:45], 2, v[44:45]
	v_add_co_u32 v44, vcc_lo, v2, v44
	s_delay_alu instid0(VALU_DEP_2)
	v_add_co_ci_u32_e32 v45, vcc_lo, v4, v45, vcc_lo
	global_store_b32 v[44:45], v19, off
	s_or_b32 exec_lo, exec_lo, s17
	s_and_saveexec_b32 s17, s11
	s_cbranch_execz .LBB609_233
.LBB609_300:
	v_sub_nc_u32_e32 v44, v65, v3
	v_mov_b32_e32 v45, 0
	s_delay_alu instid0(VALU_DEP_1) | instskip(NEXT) | instid1(VALU_DEP_1)
	v_lshlrev_b64 v[44:45], 2, v[44:45]
	v_add_co_u32 v44, vcc_lo, v2, v44
	s_delay_alu instid0(VALU_DEP_2)
	v_add_co_ci_u32_e32 v45, vcc_lo, v4, v45, vcc_lo
	global_store_b32 v[44:45], v20, off
	s_or_b32 exec_lo, exec_lo, s17
	s_and_saveexec_b32 s17, s10
	s_cbranch_execz .LBB609_234
.LBB609_301:
	v_sub_nc_u32_e32 v44, v59, v3
	v_mov_b32_e32 v45, 0
	s_delay_alu instid0(VALU_DEP_1) | instskip(NEXT) | instid1(VALU_DEP_1)
	v_lshlrev_b64 v[44:45], 2, v[44:45]
	v_add_co_u32 v44, vcc_lo, v2, v44
	s_delay_alu instid0(VALU_DEP_2)
	v_add_co_ci_u32_e32 v45, vcc_lo, v4, v45, vcc_lo
	global_store_b32 v[44:45], v17, off
	s_or_b32 exec_lo, exec_lo, s17
	s_and_saveexec_b32 s17, s9
	s_cbranch_execz .LBB609_235
.LBB609_302:
	v_sub_nc_u32_e32 v44, v55, v3
	v_mov_b32_e32 v45, 0
	s_delay_alu instid0(VALU_DEP_1) | instskip(NEXT) | instid1(VALU_DEP_1)
	v_lshlrev_b64 v[44:45], 2, v[44:45]
	v_add_co_u32 v44, vcc_lo, v2, v44
	s_delay_alu instid0(VALU_DEP_2)
	v_add_co_ci_u32_e32 v45, vcc_lo, v4, v45, vcc_lo
	global_store_b32 v[44:45], v18, off
	s_or_b32 exec_lo, exec_lo, s17
	s_and_saveexec_b32 s17, s7
	s_cbranch_execz .LBB609_236
.LBB609_303:
	v_sub_nc_u32_e32 v44, v53, v3
	v_mov_b32_e32 v45, 0
	s_delay_alu instid0(VALU_DEP_1) | instskip(NEXT) | instid1(VALU_DEP_1)
	v_lshlrev_b64 v[44:45], 2, v[44:45]
	v_add_co_u32 v44, vcc_lo, v2, v44
	s_delay_alu instid0(VALU_DEP_2)
	v_add_co_ci_u32_e32 v45, vcc_lo, v4, v45, vcc_lo
	global_store_b32 v[44:45], v15, off
	s_or_b32 exec_lo, exec_lo, s17
	s_and_saveexec_b32 s17, s5
	s_cbranch_execz .LBB609_237
.LBB609_304:
	v_sub_nc_u32_e32 v44, v57, v3
	v_mov_b32_e32 v45, 0
	s_delay_alu instid0(VALU_DEP_1) | instskip(NEXT) | instid1(VALU_DEP_1)
	v_lshlrev_b64 v[44:45], 2, v[44:45]
	v_add_co_u32 v44, vcc_lo, v2, v44
	s_delay_alu instid0(VALU_DEP_2)
	v_add_co_ci_u32_e32 v45, vcc_lo, v4, v45, vcc_lo
	global_store_b32 v[44:45], v16, off
	s_or_b32 exec_lo, exec_lo, s17
	s_and_saveexec_b32 s17, s8
	s_cbranch_execz .LBB609_238
.LBB609_305:
	v_sub_nc_u32_e32 v44, v61, v3
	v_mov_b32_e32 v45, 0
	s_delay_alu instid0(VALU_DEP_1) | instskip(NEXT) | instid1(VALU_DEP_1)
	v_lshlrev_b64 v[44:45], 2, v[44:45]
	v_add_co_u32 v44, vcc_lo, v2, v44
	s_delay_alu instid0(VALU_DEP_2)
	v_add_co_ci_u32_e32 v45, vcc_lo, v4, v45, vcc_lo
	global_store_b32 v[44:45], v13, off
	s_or_b32 exec_lo, exec_lo, s17
	s_and_saveexec_b32 s17, s6
	s_cbranch_execz .LBB609_239
.LBB609_306:
	v_sub_nc_u32_e32 v44, v5, v3
	v_mov_b32_e32 v45, 0
	s_delay_alu instid0(VALU_DEP_1) | instskip(NEXT) | instid1(VALU_DEP_1)
	v_lshlrev_b64 v[44:45], 2, v[44:45]
	v_add_co_u32 v44, vcc_lo, v2, v44
	s_delay_alu instid0(VALU_DEP_2)
	v_add_co_ci_u32_e32 v45, vcc_lo, v4, v45, vcc_lo
	global_store_b32 v[44:45], v14, off
	s_or_b32 exec_lo, exec_lo, s17
	s_and_saveexec_b32 s17, s4
	s_cbranch_execz .LBB609_240
.LBB609_307:
	v_sub_nc_u32_e32 v44, v7, v3
	v_mov_b32_e32 v45, 0
	s_delay_alu instid0(VALU_DEP_1) | instskip(NEXT) | instid1(VALU_DEP_1)
	v_lshlrev_b64 v[44:45], 2, v[44:45]
	v_add_co_u32 v44, vcc_lo, v2, v44
	s_delay_alu instid0(VALU_DEP_2)
	v_add_co_ci_u32_e32 v45, vcc_lo, v4, v45, vcc_lo
	global_store_b32 v[44:45], v11, off
	s_or_b32 exec_lo, exec_lo, s17
	s_and_saveexec_b32 s17, s3
	s_cbranch_execz .LBB609_241
.LBB609_308:
	v_sub_nc_u32_e32 v44, v51, v3
	v_mov_b32_e32 v45, 0
	s_delay_alu instid0(VALU_DEP_1) | instskip(NEXT) | instid1(VALU_DEP_1)
	v_lshlrev_b64 v[44:45], 2, v[44:45]
	v_add_co_u32 v44, vcc_lo, v2, v44
	s_delay_alu instid0(VALU_DEP_2)
	v_add_co_ci_u32_e32 v45, vcc_lo, v4, v45, vcc_lo
	global_store_b32 v[44:45], v12, off
	s_or_b32 exec_lo, exec_lo, s17
	s_and_saveexec_b32 s17, s2
	s_cbranch_execz .LBB609_242
.LBB609_309:
	v_sub_nc_u32_e32 v44, v75, v3
	v_mov_b32_e32 v45, 0
	s_delay_alu instid0(VALU_DEP_1) | instskip(NEXT) | instid1(VALU_DEP_1)
	v_lshlrev_b64 v[44:45], 2, v[44:45]
	v_add_co_u32 v44, vcc_lo, v2, v44
	s_delay_alu instid0(VALU_DEP_2)
	v_add_co_ci_u32_e32 v45, vcc_lo, v4, v45, vcc_lo
	global_store_b32 v[44:45], v9, off
	s_or_b32 exec_lo, exec_lo, s17
	s_and_saveexec_b32 s17, s1
	s_cbranch_execnz .LBB609_243
	s_branch .LBB609_244
.LBB609_310:
	v_sub_nc_u32_e32 v43, v67, v3
	s_delay_alu instid0(VALU_DEP_1)
	v_lshlrev_b32_e32 v43, 2, v43
	ds_store_b32 v43, v21
	s_or_b32 exec_lo, exec_lo, s17
	s_and_saveexec_b32 s14, s13
	s_cbranch_execz .LBB609_248
.LBB609_311:
	v_sub_nc_u32_e32 v21, v73, v3
	s_delay_alu instid0(VALU_DEP_1)
	v_lshlrev_b32_e32 v21, 2, v21
	ds_store_b32 v21, v22
	s_or_b32 exec_lo, exec_lo, s14
	s_and_saveexec_b32 s13, s12
	s_cbranch_execz .LBB609_249
.LBB609_312:
	v_sub_nc_u32_e32 v21, v69, v3
	s_delay_alu instid0(VALU_DEP_1)
	v_lshlrev_b32_e32 v21, 2, v21
	ds_store_b32 v21, v19
	s_or_b32 exec_lo, exec_lo, s13
	s_and_saveexec_b32 s12, s11
	s_cbranch_execz .LBB609_250
.LBB609_313:
	v_sub_nc_u32_e32 v19, v65, v3
	s_delay_alu instid0(VALU_DEP_1)
	v_lshlrev_b32_e32 v19, 2, v19
	ds_store_b32 v19, v20
	s_or_b32 exec_lo, exec_lo, s12
	s_and_saveexec_b32 s11, s10
	s_cbranch_execz .LBB609_251
.LBB609_314:
	v_sub_nc_u32_e32 v19, v59, v3
	s_delay_alu instid0(VALU_DEP_1)
	v_lshlrev_b32_e32 v19, 2, v19
	ds_store_b32 v19, v17
	s_or_b32 exec_lo, exec_lo, s11
	s_and_saveexec_b32 s10, s9
	s_cbranch_execz .LBB609_252
.LBB609_315:
	v_sub_nc_u32_e32 v17, v55, v3
	s_delay_alu instid0(VALU_DEP_1)
	v_lshlrev_b32_e32 v17, 2, v17
	ds_store_b32 v17, v18
	s_or_b32 exec_lo, exec_lo, s10
	s_and_saveexec_b32 s9, s7
	s_cbranch_execz .LBB609_253
.LBB609_316:
	v_sub_nc_u32_e32 v17, v53, v3
	s_delay_alu instid0(VALU_DEP_1)
	v_lshlrev_b32_e32 v17, 2, v17
	ds_store_b32 v17, v15
	s_or_b32 exec_lo, exec_lo, s9
	s_and_saveexec_b32 s7, s5
	s_cbranch_execz .LBB609_254
.LBB609_317:
	v_sub_nc_u32_e32 v15, v57, v3
	s_delay_alu instid0(VALU_DEP_1)
	v_lshlrev_b32_e32 v15, 2, v15
	ds_store_b32 v15, v16
	s_or_b32 exec_lo, exec_lo, s7
	s_and_saveexec_b32 s5, s8
	s_cbranch_execz .LBB609_255
.LBB609_318:
	v_sub_nc_u32_e32 v15, v61, v3
	s_delay_alu instid0(VALU_DEP_1)
	v_lshlrev_b32_e32 v15, 2, v15
	ds_store_b32 v15, v13
	s_or_b32 exec_lo, exec_lo, s5
	s_and_saveexec_b32 s5, s6
	s_cbranch_execz .LBB609_256
.LBB609_319:
	v_sub_nc_u32_e32 v13, v5, v3
	s_delay_alu instid0(VALU_DEP_1)
	v_lshlrev_b32_e32 v13, 2, v13
	ds_store_b32 v13, v14
	s_or_b32 exec_lo, exec_lo, s5
	s_and_saveexec_b32 s5, s4
	s_cbranch_execz .LBB609_257
.LBB609_320:
	v_sub_nc_u32_e32 v13, v7, v3
	s_delay_alu instid0(VALU_DEP_1)
	v_lshlrev_b32_e32 v13, 2, v13
	ds_store_b32 v13, v11
	s_or_b32 exec_lo, exec_lo, s5
	s_and_saveexec_b32 s4, s3
	s_cbranch_execz .LBB609_258
.LBB609_321:
	v_sub_nc_u32_e32 v11, v51, v3
	s_delay_alu instid0(VALU_DEP_1)
	v_lshlrev_b32_e32 v11, 2, v11
	ds_store_b32 v11, v12
	s_or_b32 exec_lo, exec_lo, s4
	s_and_saveexec_b32 s3, s2
	s_cbranch_execz .LBB609_259
.LBB609_322:
	v_sub_nc_u32_e32 v11, v75, v3
	s_delay_alu instid0(VALU_DEP_1)
	v_lshlrev_b32_e32 v11, 2, v11
	ds_store_b32 v11, v9
	s_or_b32 exec_lo, exec_lo, s3
	s_and_saveexec_b32 s2, s1
	s_cbranch_execnz .LBB609_260
	s_branch .LBB609_261
.LBB609_323:
	v_sub_nc_u32_e32 v14, v67, v4
	v_mov_b32_e32 v15, 0
	s_delay_alu instid0(VALU_DEP_1) | instskip(NEXT) | instid1(VALU_DEP_1)
	v_lshlrev_b64 v[14:15], 2, v[14:15]
	v_add_co_u32 v14, vcc_lo, v11, v14
	s_delay_alu instid0(VALU_DEP_2)
	v_add_co_ci_u32_e32 v15, vcc_lo, v12, v15, vcc_lo
	global_store_b32 v[14:15], v68, off
	s_or_b32 exec_lo, exec_lo, s17
	s_and_saveexec_b32 s17, s13
	s_cbranch_execz .LBB609_265
.LBB609_324:
	v_sub_nc_u32_e32 v14, v73, v4
	v_mov_b32_e32 v15, 0
	s_delay_alu instid0(VALU_DEP_1) | instskip(NEXT) | instid1(VALU_DEP_1)
	v_lshlrev_b64 v[14:15], 2, v[14:15]
	v_add_co_u32 v14, vcc_lo, v11, v14
	s_delay_alu instid0(VALU_DEP_2)
	v_add_co_ci_u32_e32 v15, vcc_lo, v12, v15, vcc_lo
	global_store_b32 v[14:15], v74, off
	s_or_b32 exec_lo, exec_lo, s17
	s_and_saveexec_b32 s17, s12
	s_cbranch_execz .LBB609_266
.LBB609_325:
	v_sub_nc_u32_e32 v14, v69, v4
	v_mov_b32_e32 v15, 0
	s_delay_alu instid0(VALU_DEP_1) | instskip(NEXT) | instid1(VALU_DEP_1)
	v_lshlrev_b64 v[14:15], 2, v[14:15]
	v_add_co_u32 v14, vcc_lo, v11, v14
	s_delay_alu instid0(VALU_DEP_2)
	v_add_co_ci_u32_e32 v15, vcc_lo, v12, v15, vcc_lo
	global_store_b32 v[14:15], v70, off
	s_or_b32 exec_lo, exec_lo, s17
	s_and_saveexec_b32 s17, s11
	s_cbranch_execz .LBB609_267
.LBB609_326:
	v_sub_nc_u32_e32 v14, v65, v4
	v_mov_b32_e32 v15, 0
	s_delay_alu instid0(VALU_DEP_1) | instskip(NEXT) | instid1(VALU_DEP_1)
	v_lshlrev_b64 v[14:15], 2, v[14:15]
	v_add_co_u32 v14, vcc_lo, v11, v14
	s_delay_alu instid0(VALU_DEP_2)
	v_add_co_ci_u32_e32 v15, vcc_lo, v12, v15, vcc_lo
	global_store_b32 v[14:15], v66, off
	s_or_b32 exec_lo, exec_lo, s17
	s_and_saveexec_b32 s17, s10
	s_cbranch_execz .LBB609_268
.LBB609_327:
	v_sub_nc_u32_e32 v14, v59, v4
	v_mov_b32_e32 v15, 0
	s_delay_alu instid0(VALU_DEP_1) | instskip(NEXT) | instid1(VALU_DEP_1)
	v_lshlrev_b64 v[14:15], 2, v[14:15]
	v_add_co_u32 v14, vcc_lo, v11, v14
	s_delay_alu instid0(VALU_DEP_2)
	v_add_co_ci_u32_e32 v15, vcc_lo, v12, v15, vcc_lo
	global_store_b32 v[14:15], v60, off
	s_or_b32 exec_lo, exec_lo, s17
	s_and_saveexec_b32 s17, s9
	s_cbranch_execz .LBB609_269
.LBB609_328:
	v_sub_nc_u32_e32 v14, v55, v4
	v_mov_b32_e32 v15, 0
	s_delay_alu instid0(VALU_DEP_1) | instskip(NEXT) | instid1(VALU_DEP_1)
	v_lshlrev_b64 v[14:15], 2, v[14:15]
	v_add_co_u32 v14, vcc_lo, v11, v14
	s_delay_alu instid0(VALU_DEP_2)
	v_add_co_ci_u32_e32 v15, vcc_lo, v12, v15, vcc_lo
	global_store_b32 v[14:15], v56, off
	s_or_b32 exec_lo, exec_lo, s17
	s_and_saveexec_b32 s17, s8
	s_cbranch_execz .LBB609_270
.LBB609_329:
	v_sub_nc_u32_e32 v14, v53, v4
	v_mov_b32_e32 v15, 0
	s_delay_alu instid0(VALU_DEP_1) | instskip(NEXT) | instid1(VALU_DEP_1)
	v_lshlrev_b64 v[14:15], 2, v[14:15]
	v_add_co_u32 v14, vcc_lo, v11, v14
	s_delay_alu instid0(VALU_DEP_2)
	v_add_co_ci_u32_e32 v15, vcc_lo, v12, v15, vcc_lo
	global_store_b32 v[14:15], v54, off
	s_or_b32 exec_lo, exec_lo, s17
	s_and_saveexec_b32 s17, s7
	s_cbranch_execz .LBB609_271
.LBB609_330:
	v_sub_nc_u32_e32 v14, v57, v4
	v_mov_b32_e32 v15, 0
	s_delay_alu instid0(VALU_DEP_1) | instskip(NEXT) | instid1(VALU_DEP_1)
	v_lshlrev_b64 v[14:15], 2, v[14:15]
	v_add_co_u32 v14, vcc_lo, v11, v14
	s_delay_alu instid0(VALU_DEP_2)
	v_add_co_ci_u32_e32 v15, vcc_lo, v12, v15, vcc_lo
	global_store_b32 v[14:15], v58, off
	s_or_b32 exec_lo, exec_lo, s17
	s_and_saveexec_b32 s17, s6
	s_cbranch_execz .LBB609_272
.LBB609_331:
	v_sub_nc_u32_e32 v14, v61, v4
	v_mov_b32_e32 v15, 0
	s_delay_alu instid0(VALU_DEP_1) | instskip(NEXT) | instid1(VALU_DEP_1)
	v_lshlrev_b64 v[14:15], 2, v[14:15]
	v_add_co_u32 v14, vcc_lo, v11, v14
	s_delay_alu instid0(VALU_DEP_2)
	v_add_co_ci_u32_e32 v15, vcc_lo, v12, v15, vcc_lo
	global_store_b32 v[14:15], v62, off
	s_or_b32 exec_lo, exec_lo, s17
	s_and_saveexec_b32 s17, s5
	s_cbranch_execz .LBB609_273
.LBB609_332:
	v_sub_nc_u32_e32 v14, v5, v4
	v_mov_b32_e32 v15, 0
	s_delay_alu instid0(VALU_DEP_1) | instskip(NEXT) | instid1(VALU_DEP_1)
	v_lshlrev_b64 v[14:15], 2, v[14:15]
	v_add_co_u32 v14, vcc_lo, v11, v14
	s_delay_alu instid0(VALU_DEP_2)
	v_add_co_ci_u32_e32 v15, vcc_lo, v12, v15, vcc_lo
	global_store_b32 v[14:15], v6, off
	s_or_b32 exec_lo, exec_lo, s17
	s_and_saveexec_b32 s17, s4
	s_cbranch_execz .LBB609_274
.LBB609_333:
	v_sub_nc_u32_e32 v14, v7, v4
	v_mov_b32_e32 v15, 0
	s_delay_alu instid0(VALU_DEP_1) | instskip(NEXT) | instid1(VALU_DEP_1)
	v_lshlrev_b64 v[14:15], 2, v[14:15]
	v_add_co_u32 v14, vcc_lo, v11, v14
	s_delay_alu instid0(VALU_DEP_2)
	v_add_co_ci_u32_e32 v15, vcc_lo, v12, v15, vcc_lo
	global_store_b32 v[14:15], v8, off
	s_or_b32 exec_lo, exec_lo, s17
	s_and_saveexec_b32 s17, s3
	s_cbranch_execz .LBB609_275
.LBB609_334:
	v_sub_nc_u32_e32 v14, v51, v4
	v_mov_b32_e32 v15, 0
	s_delay_alu instid0(VALU_DEP_1) | instskip(NEXT) | instid1(VALU_DEP_1)
	v_lshlrev_b64 v[14:15], 2, v[14:15]
	v_add_co_u32 v14, vcc_lo, v11, v14
	s_delay_alu instid0(VALU_DEP_2)
	v_add_co_ci_u32_e32 v15, vcc_lo, v12, v15, vcc_lo
	global_store_b32 v[14:15], v52, off
	s_or_b32 exec_lo, exec_lo, s17
	s_and_saveexec_b32 s17, s2
	s_cbranch_execz .LBB609_276
.LBB609_335:
	v_sub_nc_u32_e32 v14, v75, v4
	v_mov_b32_e32 v15, 0
	s_delay_alu instid0(VALU_DEP_1) | instskip(NEXT) | instid1(VALU_DEP_1)
	v_lshlrev_b64 v[14:15], 2, v[14:15]
	v_add_co_u32 v14, vcc_lo, v11, v14
	s_delay_alu instid0(VALU_DEP_2)
	v_add_co_ci_u32_e32 v15, vcc_lo, v12, v15, vcc_lo
	global_store_b32 v[14:15], v76, off
	s_or_b32 exec_lo, exec_lo, s17
	s_and_saveexec_b32 s17, s1
	s_cbranch_execnz .LBB609_277
	s_branch .LBB609_278
.LBB609_336:
	v_sub_nc_u32_e32 v13, v67, v4
	s_delay_alu instid0(VALU_DEP_1)
	v_lshlrev_b32_e32 v13, 2, v13
	ds_store_b32 v13, v68
	s_or_b32 exec_lo, exec_lo, s17
	s_and_saveexec_b32 s14, s13
	s_cbranch_execz .LBB609_282
.LBB609_337:
	v_sub_nc_u32_e32 v13, v73, v4
	s_delay_alu instid0(VALU_DEP_1)
	v_lshlrev_b32_e32 v13, 2, v13
	ds_store_b32 v13, v74
	s_or_b32 exec_lo, exec_lo, s14
	s_and_saveexec_b32 s13, s12
	s_cbranch_execz .LBB609_283
.LBB609_338:
	v_sub_nc_u32_e32 v13, v69, v4
	s_delay_alu instid0(VALU_DEP_1)
	v_lshlrev_b32_e32 v13, 2, v13
	ds_store_b32 v13, v70
	s_or_b32 exec_lo, exec_lo, s13
	s_and_saveexec_b32 s12, s11
	s_cbranch_execz .LBB609_284
.LBB609_339:
	v_sub_nc_u32_e32 v13, v65, v4
	s_delay_alu instid0(VALU_DEP_1)
	v_lshlrev_b32_e32 v13, 2, v13
	ds_store_b32 v13, v66
	s_or_b32 exec_lo, exec_lo, s12
	s_and_saveexec_b32 s11, s10
	s_cbranch_execz .LBB609_285
.LBB609_340:
	v_sub_nc_u32_e32 v13, v59, v4
	s_delay_alu instid0(VALU_DEP_1)
	v_lshlrev_b32_e32 v13, 2, v13
	ds_store_b32 v13, v60
	s_or_b32 exec_lo, exec_lo, s11
	s_and_saveexec_b32 s10, s9
	s_cbranch_execz .LBB609_286
.LBB609_341:
	v_sub_nc_u32_e32 v13, v55, v4
	s_delay_alu instid0(VALU_DEP_1)
	v_lshlrev_b32_e32 v13, 2, v13
	ds_store_b32 v13, v56
	s_or_b32 exec_lo, exec_lo, s10
	s_and_saveexec_b32 s9, s8
	s_cbranch_execz .LBB609_287
.LBB609_342:
	v_sub_nc_u32_e32 v13, v53, v4
	s_delay_alu instid0(VALU_DEP_1)
	v_lshlrev_b32_e32 v13, 2, v13
	ds_store_b32 v13, v54
	s_or_b32 exec_lo, exec_lo, s9
	s_and_saveexec_b32 s8, s7
	s_cbranch_execz .LBB609_288
.LBB609_343:
	v_sub_nc_u32_e32 v13, v57, v4
	s_delay_alu instid0(VALU_DEP_1)
	v_lshlrev_b32_e32 v13, 2, v13
	ds_store_b32 v13, v58
	s_or_b32 exec_lo, exec_lo, s8
	s_and_saveexec_b32 s7, s6
	s_cbranch_execz .LBB609_289
.LBB609_344:
	v_sub_nc_u32_e32 v13, v61, v4
	s_delay_alu instid0(VALU_DEP_1)
	v_lshlrev_b32_e32 v13, 2, v13
	ds_store_b32 v13, v62
	s_or_b32 exec_lo, exec_lo, s7
	s_and_saveexec_b32 s6, s5
	s_cbranch_execz .LBB609_290
.LBB609_345:
	v_sub_nc_u32_e32 v5, v5, v4
	s_delay_alu instid0(VALU_DEP_1)
	v_lshlrev_b32_e32 v5, 2, v5
	ds_store_b32 v5, v6
	s_or_b32 exec_lo, exec_lo, s6
	s_and_saveexec_b32 s5, s4
	s_cbranch_execz .LBB609_291
.LBB609_346:
	v_sub_nc_u32_e32 v5, v7, v4
	s_delay_alu instid0(VALU_DEP_1)
	v_lshlrev_b32_e32 v5, 2, v5
	ds_store_b32 v5, v8
	s_or_b32 exec_lo, exec_lo, s5
	s_and_saveexec_b32 s4, s3
	s_cbranch_execz .LBB609_292
.LBB609_347:
	v_sub_nc_u32_e32 v5, v51, v4
	s_delay_alu instid0(VALU_DEP_1)
	v_lshlrev_b32_e32 v5, 2, v5
	ds_store_b32 v5, v52
	s_or_b32 exec_lo, exec_lo, s4
	s_and_saveexec_b32 s3, s2
	s_cbranch_execz .LBB609_293
.LBB609_348:
	v_sub_nc_u32_e32 v5, v75, v4
	s_delay_alu instid0(VALU_DEP_1)
	v_lshlrev_b32_e32 v5, 2, v5
	ds_store_b32 v5, v76
	s_or_b32 exec_lo, exec_lo, s3
	s_and_saveexec_b32 s2, s1
	s_cbranch_execnz .LBB609_294
	s_branch .LBB609_295
	.section	.rodata,"a",@progbits
	.p2align	6, 0x0
	.amdhsa_kernel _ZN7rocprim17ROCPRIM_400000_NS6detail17trampoline_kernelINS0_14default_configENS1_29reduce_by_key_config_selectorIiiN6thrust23THRUST_200600_302600_NS4plusIiEEEEZZNS1_33reduce_by_key_impl_wrapped_configILNS1_25lookback_scan_determinismE0ES3_S9_NS6_6detail15normal_iteratorINS6_10device_ptrIiEEEESG_SG_SG_PmS8_22is_equal_div_10_reduceIiEEE10hipError_tPvRmT2_T3_mT4_T5_T6_T7_T8_P12ihipStream_tbENKUlT_T0_E_clISt17integral_constantIbLb1EES10_IbLb0EEEEDaSW_SX_EUlSW_E_NS1_11comp_targetILNS1_3genE9ELNS1_11target_archE1100ELNS1_3gpuE3ELNS1_3repE0EEENS1_30default_config_static_selectorELNS0_4arch9wavefront6targetE0EEEvT1_
		.amdhsa_group_segment_fixed_size 15360
		.amdhsa_private_segment_fixed_size 0
		.amdhsa_kernarg_size 120
		.amdhsa_user_sgpr_count 15
		.amdhsa_user_sgpr_dispatch_ptr 0
		.amdhsa_user_sgpr_queue_ptr 0
		.amdhsa_user_sgpr_kernarg_segment_ptr 1
		.amdhsa_user_sgpr_dispatch_id 0
		.amdhsa_user_sgpr_private_segment_size 0
		.amdhsa_wavefront_size32 1
		.amdhsa_uses_dynamic_stack 0
		.amdhsa_enable_private_segment 0
		.amdhsa_system_sgpr_workgroup_id_x 1
		.amdhsa_system_sgpr_workgroup_id_y 0
		.amdhsa_system_sgpr_workgroup_id_z 0
		.amdhsa_system_sgpr_workgroup_info 0
		.amdhsa_system_vgpr_workitem_id 0
		.amdhsa_next_free_vgpr 87
		.amdhsa_next_free_sgpr 44
		.amdhsa_reserve_vcc 1
		.amdhsa_float_round_mode_32 0
		.amdhsa_float_round_mode_16_64 0
		.amdhsa_float_denorm_mode_32 3
		.amdhsa_float_denorm_mode_16_64 3
		.amdhsa_dx10_clamp 1
		.amdhsa_ieee_mode 1
		.amdhsa_fp16_overflow 0
		.amdhsa_workgroup_processor_mode 1
		.amdhsa_memory_ordered 1
		.amdhsa_forward_progress 0
		.amdhsa_shared_vgpr_count 0
		.amdhsa_exception_fp_ieee_invalid_op 0
		.amdhsa_exception_fp_denorm_src 0
		.amdhsa_exception_fp_ieee_div_zero 0
		.amdhsa_exception_fp_ieee_overflow 0
		.amdhsa_exception_fp_ieee_underflow 0
		.amdhsa_exception_fp_ieee_inexact 0
		.amdhsa_exception_int_div_zero 0
	.end_amdhsa_kernel
	.section	.text._ZN7rocprim17ROCPRIM_400000_NS6detail17trampoline_kernelINS0_14default_configENS1_29reduce_by_key_config_selectorIiiN6thrust23THRUST_200600_302600_NS4plusIiEEEEZZNS1_33reduce_by_key_impl_wrapped_configILNS1_25lookback_scan_determinismE0ES3_S9_NS6_6detail15normal_iteratorINS6_10device_ptrIiEEEESG_SG_SG_PmS8_22is_equal_div_10_reduceIiEEE10hipError_tPvRmT2_T3_mT4_T5_T6_T7_T8_P12ihipStream_tbENKUlT_T0_E_clISt17integral_constantIbLb1EES10_IbLb0EEEEDaSW_SX_EUlSW_E_NS1_11comp_targetILNS1_3genE9ELNS1_11target_archE1100ELNS1_3gpuE3ELNS1_3repE0EEENS1_30default_config_static_selectorELNS0_4arch9wavefront6targetE0EEEvT1_,"axG",@progbits,_ZN7rocprim17ROCPRIM_400000_NS6detail17trampoline_kernelINS0_14default_configENS1_29reduce_by_key_config_selectorIiiN6thrust23THRUST_200600_302600_NS4plusIiEEEEZZNS1_33reduce_by_key_impl_wrapped_configILNS1_25lookback_scan_determinismE0ES3_S9_NS6_6detail15normal_iteratorINS6_10device_ptrIiEEEESG_SG_SG_PmS8_22is_equal_div_10_reduceIiEEE10hipError_tPvRmT2_T3_mT4_T5_T6_T7_T8_P12ihipStream_tbENKUlT_T0_E_clISt17integral_constantIbLb1EES10_IbLb0EEEEDaSW_SX_EUlSW_E_NS1_11comp_targetILNS1_3genE9ELNS1_11target_archE1100ELNS1_3gpuE3ELNS1_3repE0EEENS1_30default_config_static_selectorELNS0_4arch9wavefront6targetE0EEEvT1_,comdat
.Lfunc_end609:
	.size	_ZN7rocprim17ROCPRIM_400000_NS6detail17trampoline_kernelINS0_14default_configENS1_29reduce_by_key_config_selectorIiiN6thrust23THRUST_200600_302600_NS4plusIiEEEEZZNS1_33reduce_by_key_impl_wrapped_configILNS1_25lookback_scan_determinismE0ES3_S9_NS6_6detail15normal_iteratorINS6_10device_ptrIiEEEESG_SG_SG_PmS8_22is_equal_div_10_reduceIiEEE10hipError_tPvRmT2_T3_mT4_T5_T6_T7_T8_P12ihipStream_tbENKUlT_T0_E_clISt17integral_constantIbLb1EES10_IbLb0EEEEDaSW_SX_EUlSW_E_NS1_11comp_targetILNS1_3genE9ELNS1_11target_archE1100ELNS1_3gpuE3ELNS1_3repE0EEENS1_30default_config_static_selectorELNS0_4arch9wavefront6targetE0EEEvT1_, .Lfunc_end609-_ZN7rocprim17ROCPRIM_400000_NS6detail17trampoline_kernelINS0_14default_configENS1_29reduce_by_key_config_selectorIiiN6thrust23THRUST_200600_302600_NS4plusIiEEEEZZNS1_33reduce_by_key_impl_wrapped_configILNS1_25lookback_scan_determinismE0ES3_S9_NS6_6detail15normal_iteratorINS6_10device_ptrIiEEEESG_SG_SG_PmS8_22is_equal_div_10_reduceIiEEE10hipError_tPvRmT2_T3_mT4_T5_T6_T7_T8_P12ihipStream_tbENKUlT_T0_E_clISt17integral_constantIbLb1EES10_IbLb0EEEEDaSW_SX_EUlSW_E_NS1_11comp_targetILNS1_3genE9ELNS1_11target_archE1100ELNS1_3gpuE3ELNS1_3repE0EEENS1_30default_config_static_selectorELNS0_4arch9wavefront6targetE0EEEvT1_
                                        ; -- End function
	.section	.AMDGPU.csdata,"",@progbits
; Kernel info:
; codeLenInByte = 20016
; NumSgprs: 46
; NumVgprs: 87
; ScratchSize: 0
; MemoryBound: 0
; FloatMode: 240
; IeeeMode: 1
; LDSByteSize: 15360 bytes/workgroup (compile time only)
; SGPRBlocks: 5
; VGPRBlocks: 10
; NumSGPRsForWavesPerEU: 46
; NumVGPRsForWavesPerEU: 87
; Occupancy: 16
; WaveLimiterHint : 1
; COMPUTE_PGM_RSRC2:SCRATCH_EN: 0
; COMPUTE_PGM_RSRC2:USER_SGPR: 15
; COMPUTE_PGM_RSRC2:TRAP_HANDLER: 0
; COMPUTE_PGM_RSRC2:TGID_X_EN: 1
; COMPUTE_PGM_RSRC2:TGID_Y_EN: 0
; COMPUTE_PGM_RSRC2:TGID_Z_EN: 0
; COMPUTE_PGM_RSRC2:TIDIG_COMP_CNT: 0
	.section	.text._ZN7rocprim17ROCPRIM_400000_NS6detail17trampoline_kernelINS0_14default_configENS1_29reduce_by_key_config_selectorIiiN6thrust23THRUST_200600_302600_NS4plusIiEEEEZZNS1_33reduce_by_key_impl_wrapped_configILNS1_25lookback_scan_determinismE0ES3_S9_NS6_6detail15normal_iteratorINS6_10device_ptrIiEEEESG_SG_SG_PmS8_22is_equal_div_10_reduceIiEEE10hipError_tPvRmT2_T3_mT4_T5_T6_T7_T8_P12ihipStream_tbENKUlT_T0_E_clISt17integral_constantIbLb1EES10_IbLb0EEEEDaSW_SX_EUlSW_E_NS1_11comp_targetILNS1_3genE8ELNS1_11target_archE1030ELNS1_3gpuE2ELNS1_3repE0EEENS1_30default_config_static_selectorELNS0_4arch9wavefront6targetE0EEEvT1_,"axG",@progbits,_ZN7rocprim17ROCPRIM_400000_NS6detail17trampoline_kernelINS0_14default_configENS1_29reduce_by_key_config_selectorIiiN6thrust23THRUST_200600_302600_NS4plusIiEEEEZZNS1_33reduce_by_key_impl_wrapped_configILNS1_25lookback_scan_determinismE0ES3_S9_NS6_6detail15normal_iteratorINS6_10device_ptrIiEEEESG_SG_SG_PmS8_22is_equal_div_10_reduceIiEEE10hipError_tPvRmT2_T3_mT4_T5_T6_T7_T8_P12ihipStream_tbENKUlT_T0_E_clISt17integral_constantIbLb1EES10_IbLb0EEEEDaSW_SX_EUlSW_E_NS1_11comp_targetILNS1_3genE8ELNS1_11target_archE1030ELNS1_3gpuE2ELNS1_3repE0EEENS1_30default_config_static_selectorELNS0_4arch9wavefront6targetE0EEEvT1_,comdat
	.protected	_ZN7rocprim17ROCPRIM_400000_NS6detail17trampoline_kernelINS0_14default_configENS1_29reduce_by_key_config_selectorIiiN6thrust23THRUST_200600_302600_NS4plusIiEEEEZZNS1_33reduce_by_key_impl_wrapped_configILNS1_25lookback_scan_determinismE0ES3_S9_NS6_6detail15normal_iteratorINS6_10device_ptrIiEEEESG_SG_SG_PmS8_22is_equal_div_10_reduceIiEEE10hipError_tPvRmT2_T3_mT4_T5_T6_T7_T8_P12ihipStream_tbENKUlT_T0_E_clISt17integral_constantIbLb1EES10_IbLb0EEEEDaSW_SX_EUlSW_E_NS1_11comp_targetILNS1_3genE8ELNS1_11target_archE1030ELNS1_3gpuE2ELNS1_3repE0EEENS1_30default_config_static_selectorELNS0_4arch9wavefront6targetE0EEEvT1_ ; -- Begin function _ZN7rocprim17ROCPRIM_400000_NS6detail17trampoline_kernelINS0_14default_configENS1_29reduce_by_key_config_selectorIiiN6thrust23THRUST_200600_302600_NS4plusIiEEEEZZNS1_33reduce_by_key_impl_wrapped_configILNS1_25lookback_scan_determinismE0ES3_S9_NS6_6detail15normal_iteratorINS6_10device_ptrIiEEEESG_SG_SG_PmS8_22is_equal_div_10_reduceIiEEE10hipError_tPvRmT2_T3_mT4_T5_T6_T7_T8_P12ihipStream_tbENKUlT_T0_E_clISt17integral_constantIbLb1EES10_IbLb0EEEEDaSW_SX_EUlSW_E_NS1_11comp_targetILNS1_3genE8ELNS1_11target_archE1030ELNS1_3gpuE2ELNS1_3repE0EEENS1_30default_config_static_selectorELNS0_4arch9wavefront6targetE0EEEvT1_
	.globl	_ZN7rocprim17ROCPRIM_400000_NS6detail17trampoline_kernelINS0_14default_configENS1_29reduce_by_key_config_selectorIiiN6thrust23THRUST_200600_302600_NS4plusIiEEEEZZNS1_33reduce_by_key_impl_wrapped_configILNS1_25lookback_scan_determinismE0ES3_S9_NS6_6detail15normal_iteratorINS6_10device_ptrIiEEEESG_SG_SG_PmS8_22is_equal_div_10_reduceIiEEE10hipError_tPvRmT2_T3_mT4_T5_T6_T7_T8_P12ihipStream_tbENKUlT_T0_E_clISt17integral_constantIbLb1EES10_IbLb0EEEEDaSW_SX_EUlSW_E_NS1_11comp_targetILNS1_3genE8ELNS1_11target_archE1030ELNS1_3gpuE2ELNS1_3repE0EEENS1_30default_config_static_selectorELNS0_4arch9wavefront6targetE0EEEvT1_
	.p2align	8
	.type	_ZN7rocprim17ROCPRIM_400000_NS6detail17trampoline_kernelINS0_14default_configENS1_29reduce_by_key_config_selectorIiiN6thrust23THRUST_200600_302600_NS4plusIiEEEEZZNS1_33reduce_by_key_impl_wrapped_configILNS1_25lookback_scan_determinismE0ES3_S9_NS6_6detail15normal_iteratorINS6_10device_ptrIiEEEESG_SG_SG_PmS8_22is_equal_div_10_reduceIiEEE10hipError_tPvRmT2_T3_mT4_T5_T6_T7_T8_P12ihipStream_tbENKUlT_T0_E_clISt17integral_constantIbLb1EES10_IbLb0EEEEDaSW_SX_EUlSW_E_NS1_11comp_targetILNS1_3genE8ELNS1_11target_archE1030ELNS1_3gpuE2ELNS1_3repE0EEENS1_30default_config_static_selectorELNS0_4arch9wavefront6targetE0EEEvT1_,@function
_ZN7rocprim17ROCPRIM_400000_NS6detail17trampoline_kernelINS0_14default_configENS1_29reduce_by_key_config_selectorIiiN6thrust23THRUST_200600_302600_NS4plusIiEEEEZZNS1_33reduce_by_key_impl_wrapped_configILNS1_25lookback_scan_determinismE0ES3_S9_NS6_6detail15normal_iteratorINS6_10device_ptrIiEEEESG_SG_SG_PmS8_22is_equal_div_10_reduceIiEEE10hipError_tPvRmT2_T3_mT4_T5_T6_T7_T8_P12ihipStream_tbENKUlT_T0_E_clISt17integral_constantIbLb1EES10_IbLb0EEEEDaSW_SX_EUlSW_E_NS1_11comp_targetILNS1_3genE8ELNS1_11target_archE1030ELNS1_3gpuE2ELNS1_3repE0EEENS1_30default_config_static_selectorELNS0_4arch9wavefront6targetE0EEEvT1_: ; @_ZN7rocprim17ROCPRIM_400000_NS6detail17trampoline_kernelINS0_14default_configENS1_29reduce_by_key_config_selectorIiiN6thrust23THRUST_200600_302600_NS4plusIiEEEEZZNS1_33reduce_by_key_impl_wrapped_configILNS1_25lookback_scan_determinismE0ES3_S9_NS6_6detail15normal_iteratorINS6_10device_ptrIiEEEESG_SG_SG_PmS8_22is_equal_div_10_reduceIiEEE10hipError_tPvRmT2_T3_mT4_T5_T6_T7_T8_P12ihipStream_tbENKUlT_T0_E_clISt17integral_constantIbLb1EES10_IbLb0EEEEDaSW_SX_EUlSW_E_NS1_11comp_targetILNS1_3genE8ELNS1_11target_archE1030ELNS1_3gpuE2ELNS1_3repE0EEENS1_30default_config_static_selectorELNS0_4arch9wavefront6targetE0EEEvT1_
; %bb.0:
	.section	.rodata,"a",@progbits
	.p2align	6, 0x0
	.amdhsa_kernel _ZN7rocprim17ROCPRIM_400000_NS6detail17trampoline_kernelINS0_14default_configENS1_29reduce_by_key_config_selectorIiiN6thrust23THRUST_200600_302600_NS4plusIiEEEEZZNS1_33reduce_by_key_impl_wrapped_configILNS1_25lookback_scan_determinismE0ES3_S9_NS6_6detail15normal_iteratorINS6_10device_ptrIiEEEESG_SG_SG_PmS8_22is_equal_div_10_reduceIiEEE10hipError_tPvRmT2_T3_mT4_T5_T6_T7_T8_P12ihipStream_tbENKUlT_T0_E_clISt17integral_constantIbLb1EES10_IbLb0EEEEDaSW_SX_EUlSW_E_NS1_11comp_targetILNS1_3genE8ELNS1_11target_archE1030ELNS1_3gpuE2ELNS1_3repE0EEENS1_30default_config_static_selectorELNS0_4arch9wavefront6targetE0EEEvT1_
		.amdhsa_group_segment_fixed_size 0
		.amdhsa_private_segment_fixed_size 0
		.amdhsa_kernarg_size 120
		.amdhsa_user_sgpr_count 15
		.amdhsa_user_sgpr_dispatch_ptr 0
		.amdhsa_user_sgpr_queue_ptr 0
		.amdhsa_user_sgpr_kernarg_segment_ptr 1
		.amdhsa_user_sgpr_dispatch_id 0
		.amdhsa_user_sgpr_private_segment_size 0
		.amdhsa_wavefront_size32 1
		.amdhsa_uses_dynamic_stack 0
		.amdhsa_enable_private_segment 0
		.amdhsa_system_sgpr_workgroup_id_x 1
		.amdhsa_system_sgpr_workgroup_id_y 0
		.amdhsa_system_sgpr_workgroup_id_z 0
		.amdhsa_system_sgpr_workgroup_info 0
		.amdhsa_system_vgpr_workitem_id 0
		.amdhsa_next_free_vgpr 1
		.amdhsa_next_free_sgpr 1
		.amdhsa_reserve_vcc 0
		.amdhsa_float_round_mode_32 0
		.amdhsa_float_round_mode_16_64 0
		.amdhsa_float_denorm_mode_32 3
		.amdhsa_float_denorm_mode_16_64 3
		.amdhsa_dx10_clamp 1
		.amdhsa_ieee_mode 1
		.amdhsa_fp16_overflow 0
		.amdhsa_workgroup_processor_mode 1
		.amdhsa_memory_ordered 1
		.amdhsa_forward_progress 0
		.amdhsa_shared_vgpr_count 0
		.amdhsa_exception_fp_ieee_invalid_op 0
		.amdhsa_exception_fp_denorm_src 0
		.amdhsa_exception_fp_ieee_div_zero 0
		.amdhsa_exception_fp_ieee_overflow 0
		.amdhsa_exception_fp_ieee_underflow 0
		.amdhsa_exception_fp_ieee_inexact 0
		.amdhsa_exception_int_div_zero 0
	.end_amdhsa_kernel
	.section	.text._ZN7rocprim17ROCPRIM_400000_NS6detail17trampoline_kernelINS0_14default_configENS1_29reduce_by_key_config_selectorIiiN6thrust23THRUST_200600_302600_NS4plusIiEEEEZZNS1_33reduce_by_key_impl_wrapped_configILNS1_25lookback_scan_determinismE0ES3_S9_NS6_6detail15normal_iteratorINS6_10device_ptrIiEEEESG_SG_SG_PmS8_22is_equal_div_10_reduceIiEEE10hipError_tPvRmT2_T3_mT4_T5_T6_T7_T8_P12ihipStream_tbENKUlT_T0_E_clISt17integral_constantIbLb1EES10_IbLb0EEEEDaSW_SX_EUlSW_E_NS1_11comp_targetILNS1_3genE8ELNS1_11target_archE1030ELNS1_3gpuE2ELNS1_3repE0EEENS1_30default_config_static_selectorELNS0_4arch9wavefront6targetE0EEEvT1_,"axG",@progbits,_ZN7rocprim17ROCPRIM_400000_NS6detail17trampoline_kernelINS0_14default_configENS1_29reduce_by_key_config_selectorIiiN6thrust23THRUST_200600_302600_NS4plusIiEEEEZZNS1_33reduce_by_key_impl_wrapped_configILNS1_25lookback_scan_determinismE0ES3_S9_NS6_6detail15normal_iteratorINS6_10device_ptrIiEEEESG_SG_SG_PmS8_22is_equal_div_10_reduceIiEEE10hipError_tPvRmT2_T3_mT4_T5_T6_T7_T8_P12ihipStream_tbENKUlT_T0_E_clISt17integral_constantIbLb1EES10_IbLb0EEEEDaSW_SX_EUlSW_E_NS1_11comp_targetILNS1_3genE8ELNS1_11target_archE1030ELNS1_3gpuE2ELNS1_3repE0EEENS1_30default_config_static_selectorELNS0_4arch9wavefront6targetE0EEEvT1_,comdat
.Lfunc_end610:
	.size	_ZN7rocprim17ROCPRIM_400000_NS6detail17trampoline_kernelINS0_14default_configENS1_29reduce_by_key_config_selectorIiiN6thrust23THRUST_200600_302600_NS4plusIiEEEEZZNS1_33reduce_by_key_impl_wrapped_configILNS1_25lookback_scan_determinismE0ES3_S9_NS6_6detail15normal_iteratorINS6_10device_ptrIiEEEESG_SG_SG_PmS8_22is_equal_div_10_reduceIiEEE10hipError_tPvRmT2_T3_mT4_T5_T6_T7_T8_P12ihipStream_tbENKUlT_T0_E_clISt17integral_constantIbLb1EES10_IbLb0EEEEDaSW_SX_EUlSW_E_NS1_11comp_targetILNS1_3genE8ELNS1_11target_archE1030ELNS1_3gpuE2ELNS1_3repE0EEENS1_30default_config_static_selectorELNS0_4arch9wavefront6targetE0EEEvT1_, .Lfunc_end610-_ZN7rocprim17ROCPRIM_400000_NS6detail17trampoline_kernelINS0_14default_configENS1_29reduce_by_key_config_selectorIiiN6thrust23THRUST_200600_302600_NS4plusIiEEEEZZNS1_33reduce_by_key_impl_wrapped_configILNS1_25lookback_scan_determinismE0ES3_S9_NS6_6detail15normal_iteratorINS6_10device_ptrIiEEEESG_SG_SG_PmS8_22is_equal_div_10_reduceIiEEE10hipError_tPvRmT2_T3_mT4_T5_T6_T7_T8_P12ihipStream_tbENKUlT_T0_E_clISt17integral_constantIbLb1EES10_IbLb0EEEEDaSW_SX_EUlSW_E_NS1_11comp_targetILNS1_3genE8ELNS1_11target_archE1030ELNS1_3gpuE2ELNS1_3repE0EEENS1_30default_config_static_selectorELNS0_4arch9wavefront6targetE0EEEvT1_
                                        ; -- End function
	.section	.AMDGPU.csdata,"",@progbits
; Kernel info:
; codeLenInByte = 0
; NumSgprs: 0
; NumVgprs: 0
; ScratchSize: 0
; MemoryBound: 0
; FloatMode: 240
; IeeeMode: 1
; LDSByteSize: 0 bytes/workgroup (compile time only)
; SGPRBlocks: 0
; VGPRBlocks: 0
; NumSGPRsForWavesPerEU: 1
; NumVGPRsForWavesPerEU: 1
; Occupancy: 16
; WaveLimiterHint : 0
; COMPUTE_PGM_RSRC2:SCRATCH_EN: 0
; COMPUTE_PGM_RSRC2:USER_SGPR: 15
; COMPUTE_PGM_RSRC2:TRAP_HANDLER: 0
; COMPUTE_PGM_RSRC2:TGID_X_EN: 1
; COMPUTE_PGM_RSRC2:TGID_Y_EN: 0
; COMPUTE_PGM_RSRC2:TGID_Z_EN: 0
; COMPUTE_PGM_RSRC2:TIDIG_COMP_CNT: 0
	.section	.text._ZN7rocprim17ROCPRIM_400000_NS6detail17trampoline_kernelINS0_14default_configENS1_29reduce_by_key_config_selectorIiiN6thrust23THRUST_200600_302600_NS4plusIiEEEEZZNS1_33reduce_by_key_impl_wrapped_configILNS1_25lookback_scan_determinismE0ES3_S9_NS6_6detail15normal_iteratorINS6_10device_ptrIiEEEESG_SG_SG_PmS8_22is_equal_div_10_reduceIiEEE10hipError_tPvRmT2_T3_mT4_T5_T6_T7_T8_P12ihipStream_tbENKUlT_T0_E_clISt17integral_constantIbLb0EES10_IbLb1EEEEDaSW_SX_EUlSW_E_NS1_11comp_targetILNS1_3genE0ELNS1_11target_archE4294967295ELNS1_3gpuE0ELNS1_3repE0EEENS1_30default_config_static_selectorELNS0_4arch9wavefront6targetE0EEEvT1_,"axG",@progbits,_ZN7rocprim17ROCPRIM_400000_NS6detail17trampoline_kernelINS0_14default_configENS1_29reduce_by_key_config_selectorIiiN6thrust23THRUST_200600_302600_NS4plusIiEEEEZZNS1_33reduce_by_key_impl_wrapped_configILNS1_25lookback_scan_determinismE0ES3_S9_NS6_6detail15normal_iteratorINS6_10device_ptrIiEEEESG_SG_SG_PmS8_22is_equal_div_10_reduceIiEEE10hipError_tPvRmT2_T3_mT4_T5_T6_T7_T8_P12ihipStream_tbENKUlT_T0_E_clISt17integral_constantIbLb0EES10_IbLb1EEEEDaSW_SX_EUlSW_E_NS1_11comp_targetILNS1_3genE0ELNS1_11target_archE4294967295ELNS1_3gpuE0ELNS1_3repE0EEENS1_30default_config_static_selectorELNS0_4arch9wavefront6targetE0EEEvT1_,comdat
	.protected	_ZN7rocprim17ROCPRIM_400000_NS6detail17trampoline_kernelINS0_14default_configENS1_29reduce_by_key_config_selectorIiiN6thrust23THRUST_200600_302600_NS4plusIiEEEEZZNS1_33reduce_by_key_impl_wrapped_configILNS1_25lookback_scan_determinismE0ES3_S9_NS6_6detail15normal_iteratorINS6_10device_ptrIiEEEESG_SG_SG_PmS8_22is_equal_div_10_reduceIiEEE10hipError_tPvRmT2_T3_mT4_T5_T6_T7_T8_P12ihipStream_tbENKUlT_T0_E_clISt17integral_constantIbLb0EES10_IbLb1EEEEDaSW_SX_EUlSW_E_NS1_11comp_targetILNS1_3genE0ELNS1_11target_archE4294967295ELNS1_3gpuE0ELNS1_3repE0EEENS1_30default_config_static_selectorELNS0_4arch9wavefront6targetE0EEEvT1_ ; -- Begin function _ZN7rocprim17ROCPRIM_400000_NS6detail17trampoline_kernelINS0_14default_configENS1_29reduce_by_key_config_selectorIiiN6thrust23THRUST_200600_302600_NS4plusIiEEEEZZNS1_33reduce_by_key_impl_wrapped_configILNS1_25lookback_scan_determinismE0ES3_S9_NS6_6detail15normal_iteratorINS6_10device_ptrIiEEEESG_SG_SG_PmS8_22is_equal_div_10_reduceIiEEE10hipError_tPvRmT2_T3_mT4_T5_T6_T7_T8_P12ihipStream_tbENKUlT_T0_E_clISt17integral_constantIbLb0EES10_IbLb1EEEEDaSW_SX_EUlSW_E_NS1_11comp_targetILNS1_3genE0ELNS1_11target_archE4294967295ELNS1_3gpuE0ELNS1_3repE0EEENS1_30default_config_static_selectorELNS0_4arch9wavefront6targetE0EEEvT1_
	.globl	_ZN7rocprim17ROCPRIM_400000_NS6detail17trampoline_kernelINS0_14default_configENS1_29reduce_by_key_config_selectorIiiN6thrust23THRUST_200600_302600_NS4plusIiEEEEZZNS1_33reduce_by_key_impl_wrapped_configILNS1_25lookback_scan_determinismE0ES3_S9_NS6_6detail15normal_iteratorINS6_10device_ptrIiEEEESG_SG_SG_PmS8_22is_equal_div_10_reduceIiEEE10hipError_tPvRmT2_T3_mT4_T5_T6_T7_T8_P12ihipStream_tbENKUlT_T0_E_clISt17integral_constantIbLb0EES10_IbLb1EEEEDaSW_SX_EUlSW_E_NS1_11comp_targetILNS1_3genE0ELNS1_11target_archE4294967295ELNS1_3gpuE0ELNS1_3repE0EEENS1_30default_config_static_selectorELNS0_4arch9wavefront6targetE0EEEvT1_
	.p2align	8
	.type	_ZN7rocprim17ROCPRIM_400000_NS6detail17trampoline_kernelINS0_14default_configENS1_29reduce_by_key_config_selectorIiiN6thrust23THRUST_200600_302600_NS4plusIiEEEEZZNS1_33reduce_by_key_impl_wrapped_configILNS1_25lookback_scan_determinismE0ES3_S9_NS6_6detail15normal_iteratorINS6_10device_ptrIiEEEESG_SG_SG_PmS8_22is_equal_div_10_reduceIiEEE10hipError_tPvRmT2_T3_mT4_T5_T6_T7_T8_P12ihipStream_tbENKUlT_T0_E_clISt17integral_constantIbLb0EES10_IbLb1EEEEDaSW_SX_EUlSW_E_NS1_11comp_targetILNS1_3genE0ELNS1_11target_archE4294967295ELNS1_3gpuE0ELNS1_3repE0EEENS1_30default_config_static_selectorELNS0_4arch9wavefront6targetE0EEEvT1_,@function
_ZN7rocprim17ROCPRIM_400000_NS6detail17trampoline_kernelINS0_14default_configENS1_29reduce_by_key_config_selectorIiiN6thrust23THRUST_200600_302600_NS4plusIiEEEEZZNS1_33reduce_by_key_impl_wrapped_configILNS1_25lookback_scan_determinismE0ES3_S9_NS6_6detail15normal_iteratorINS6_10device_ptrIiEEEESG_SG_SG_PmS8_22is_equal_div_10_reduceIiEEE10hipError_tPvRmT2_T3_mT4_T5_T6_T7_T8_P12ihipStream_tbENKUlT_T0_E_clISt17integral_constantIbLb0EES10_IbLb1EEEEDaSW_SX_EUlSW_E_NS1_11comp_targetILNS1_3genE0ELNS1_11target_archE4294967295ELNS1_3gpuE0ELNS1_3repE0EEENS1_30default_config_static_selectorELNS0_4arch9wavefront6targetE0EEEvT1_: ; @_ZN7rocprim17ROCPRIM_400000_NS6detail17trampoline_kernelINS0_14default_configENS1_29reduce_by_key_config_selectorIiiN6thrust23THRUST_200600_302600_NS4plusIiEEEEZZNS1_33reduce_by_key_impl_wrapped_configILNS1_25lookback_scan_determinismE0ES3_S9_NS6_6detail15normal_iteratorINS6_10device_ptrIiEEEESG_SG_SG_PmS8_22is_equal_div_10_reduceIiEEE10hipError_tPvRmT2_T3_mT4_T5_T6_T7_T8_P12ihipStream_tbENKUlT_T0_E_clISt17integral_constantIbLb0EES10_IbLb1EEEEDaSW_SX_EUlSW_E_NS1_11comp_targetILNS1_3genE0ELNS1_11target_archE4294967295ELNS1_3gpuE0ELNS1_3repE0EEENS1_30default_config_static_selectorELNS0_4arch9wavefront6targetE0EEEvT1_
; %bb.0:
	.section	.rodata,"a",@progbits
	.p2align	6, 0x0
	.amdhsa_kernel _ZN7rocprim17ROCPRIM_400000_NS6detail17trampoline_kernelINS0_14default_configENS1_29reduce_by_key_config_selectorIiiN6thrust23THRUST_200600_302600_NS4plusIiEEEEZZNS1_33reduce_by_key_impl_wrapped_configILNS1_25lookback_scan_determinismE0ES3_S9_NS6_6detail15normal_iteratorINS6_10device_ptrIiEEEESG_SG_SG_PmS8_22is_equal_div_10_reduceIiEEE10hipError_tPvRmT2_T3_mT4_T5_T6_T7_T8_P12ihipStream_tbENKUlT_T0_E_clISt17integral_constantIbLb0EES10_IbLb1EEEEDaSW_SX_EUlSW_E_NS1_11comp_targetILNS1_3genE0ELNS1_11target_archE4294967295ELNS1_3gpuE0ELNS1_3repE0EEENS1_30default_config_static_selectorELNS0_4arch9wavefront6targetE0EEEvT1_
		.amdhsa_group_segment_fixed_size 0
		.amdhsa_private_segment_fixed_size 0
		.amdhsa_kernarg_size 120
		.amdhsa_user_sgpr_count 15
		.amdhsa_user_sgpr_dispatch_ptr 0
		.amdhsa_user_sgpr_queue_ptr 0
		.amdhsa_user_sgpr_kernarg_segment_ptr 1
		.amdhsa_user_sgpr_dispatch_id 0
		.amdhsa_user_sgpr_private_segment_size 0
		.amdhsa_wavefront_size32 1
		.amdhsa_uses_dynamic_stack 0
		.amdhsa_enable_private_segment 0
		.amdhsa_system_sgpr_workgroup_id_x 1
		.amdhsa_system_sgpr_workgroup_id_y 0
		.amdhsa_system_sgpr_workgroup_id_z 0
		.amdhsa_system_sgpr_workgroup_info 0
		.amdhsa_system_vgpr_workitem_id 0
		.amdhsa_next_free_vgpr 1
		.amdhsa_next_free_sgpr 1
		.amdhsa_reserve_vcc 0
		.amdhsa_float_round_mode_32 0
		.amdhsa_float_round_mode_16_64 0
		.amdhsa_float_denorm_mode_32 3
		.amdhsa_float_denorm_mode_16_64 3
		.amdhsa_dx10_clamp 1
		.amdhsa_ieee_mode 1
		.amdhsa_fp16_overflow 0
		.amdhsa_workgroup_processor_mode 1
		.amdhsa_memory_ordered 1
		.amdhsa_forward_progress 0
		.amdhsa_shared_vgpr_count 0
		.amdhsa_exception_fp_ieee_invalid_op 0
		.amdhsa_exception_fp_denorm_src 0
		.amdhsa_exception_fp_ieee_div_zero 0
		.amdhsa_exception_fp_ieee_overflow 0
		.amdhsa_exception_fp_ieee_underflow 0
		.amdhsa_exception_fp_ieee_inexact 0
		.amdhsa_exception_int_div_zero 0
	.end_amdhsa_kernel
	.section	.text._ZN7rocprim17ROCPRIM_400000_NS6detail17trampoline_kernelINS0_14default_configENS1_29reduce_by_key_config_selectorIiiN6thrust23THRUST_200600_302600_NS4plusIiEEEEZZNS1_33reduce_by_key_impl_wrapped_configILNS1_25lookback_scan_determinismE0ES3_S9_NS6_6detail15normal_iteratorINS6_10device_ptrIiEEEESG_SG_SG_PmS8_22is_equal_div_10_reduceIiEEE10hipError_tPvRmT2_T3_mT4_T5_T6_T7_T8_P12ihipStream_tbENKUlT_T0_E_clISt17integral_constantIbLb0EES10_IbLb1EEEEDaSW_SX_EUlSW_E_NS1_11comp_targetILNS1_3genE0ELNS1_11target_archE4294967295ELNS1_3gpuE0ELNS1_3repE0EEENS1_30default_config_static_selectorELNS0_4arch9wavefront6targetE0EEEvT1_,"axG",@progbits,_ZN7rocprim17ROCPRIM_400000_NS6detail17trampoline_kernelINS0_14default_configENS1_29reduce_by_key_config_selectorIiiN6thrust23THRUST_200600_302600_NS4plusIiEEEEZZNS1_33reduce_by_key_impl_wrapped_configILNS1_25lookback_scan_determinismE0ES3_S9_NS6_6detail15normal_iteratorINS6_10device_ptrIiEEEESG_SG_SG_PmS8_22is_equal_div_10_reduceIiEEE10hipError_tPvRmT2_T3_mT4_T5_T6_T7_T8_P12ihipStream_tbENKUlT_T0_E_clISt17integral_constantIbLb0EES10_IbLb1EEEEDaSW_SX_EUlSW_E_NS1_11comp_targetILNS1_3genE0ELNS1_11target_archE4294967295ELNS1_3gpuE0ELNS1_3repE0EEENS1_30default_config_static_selectorELNS0_4arch9wavefront6targetE0EEEvT1_,comdat
.Lfunc_end611:
	.size	_ZN7rocprim17ROCPRIM_400000_NS6detail17trampoline_kernelINS0_14default_configENS1_29reduce_by_key_config_selectorIiiN6thrust23THRUST_200600_302600_NS4plusIiEEEEZZNS1_33reduce_by_key_impl_wrapped_configILNS1_25lookback_scan_determinismE0ES3_S9_NS6_6detail15normal_iteratorINS6_10device_ptrIiEEEESG_SG_SG_PmS8_22is_equal_div_10_reduceIiEEE10hipError_tPvRmT2_T3_mT4_T5_T6_T7_T8_P12ihipStream_tbENKUlT_T0_E_clISt17integral_constantIbLb0EES10_IbLb1EEEEDaSW_SX_EUlSW_E_NS1_11comp_targetILNS1_3genE0ELNS1_11target_archE4294967295ELNS1_3gpuE0ELNS1_3repE0EEENS1_30default_config_static_selectorELNS0_4arch9wavefront6targetE0EEEvT1_, .Lfunc_end611-_ZN7rocprim17ROCPRIM_400000_NS6detail17trampoline_kernelINS0_14default_configENS1_29reduce_by_key_config_selectorIiiN6thrust23THRUST_200600_302600_NS4plusIiEEEEZZNS1_33reduce_by_key_impl_wrapped_configILNS1_25lookback_scan_determinismE0ES3_S9_NS6_6detail15normal_iteratorINS6_10device_ptrIiEEEESG_SG_SG_PmS8_22is_equal_div_10_reduceIiEEE10hipError_tPvRmT2_T3_mT4_T5_T6_T7_T8_P12ihipStream_tbENKUlT_T0_E_clISt17integral_constantIbLb0EES10_IbLb1EEEEDaSW_SX_EUlSW_E_NS1_11comp_targetILNS1_3genE0ELNS1_11target_archE4294967295ELNS1_3gpuE0ELNS1_3repE0EEENS1_30default_config_static_selectorELNS0_4arch9wavefront6targetE0EEEvT1_
                                        ; -- End function
	.section	.AMDGPU.csdata,"",@progbits
; Kernel info:
; codeLenInByte = 0
; NumSgprs: 0
; NumVgprs: 0
; ScratchSize: 0
; MemoryBound: 0
; FloatMode: 240
; IeeeMode: 1
; LDSByteSize: 0 bytes/workgroup (compile time only)
; SGPRBlocks: 0
; VGPRBlocks: 0
; NumSGPRsForWavesPerEU: 1
; NumVGPRsForWavesPerEU: 1
; Occupancy: 16
; WaveLimiterHint : 0
; COMPUTE_PGM_RSRC2:SCRATCH_EN: 0
; COMPUTE_PGM_RSRC2:USER_SGPR: 15
; COMPUTE_PGM_RSRC2:TRAP_HANDLER: 0
; COMPUTE_PGM_RSRC2:TGID_X_EN: 1
; COMPUTE_PGM_RSRC2:TGID_Y_EN: 0
; COMPUTE_PGM_RSRC2:TGID_Z_EN: 0
; COMPUTE_PGM_RSRC2:TIDIG_COMP_CNT: 0
	.section	.text._ZN7rocprim17ROCPRIM_400000_NS6detail17trampoline_kernelINS0_14default_configENS1_29reduce_by_key_config_selectorIiiN6thrust23THRUST_200600_302600_NS4plusIiEEEEZZNS1_33reduce_by_key_impl_wrapped_configILNS1_25lookback_scan_determinismE0ES3_S9_NS6_6detail15normal_iteratorINS6_10device_ptrIiEEEESG_SG_SG_PmS8_22is_equal_div_10_reduceIiEEE10hipError_tPvRmT2_T3_mT4_T5_T6_T7_T8_P12ihipStream_tbENKUlT_T0_E_clISt17integral_constantIbLb0EES10_IbLb1EEEEDaSW_SX_EUlSW_E_NS1_11comp_targetILNS1_3genE5ELNS1_11target_archE942ELNS1_3gpuE9ELNS1_3repE0EEENS1_30default_config_static_selectorELNS0_4arch9wavefront6targetE0EEEvT1_,"axG",@progbits,_ZN7rocprim17ROCPRIM_400000_NS6detail17trampoline_kernelINS0_14default_configENS1_29reduce_by_key_config_selectorIiiN6thrust23THRUST_200600_302600_NS4plusIiEEEEZZNS1_33reduce_by_key_impl_wrapped_configILNS1_25lookback_scan_determinismE0ES3_S9_NS6_6detail15normal_iteratorINS6_10device_ptrIiEEEESG_SG_SG_PmS8_22is_equal_div_10_reduceIiEEE10hipError_tPvRmT2_T3_mT4_T5_T6_T7_T8_P12ihipStream_tbENKUlT_T0_E_clISt17integral_constantIbLb0EES10_IbLb1EEEEDaSW_SX_EUlSW_E_NS1_11comp_targetILNS1_3genE5ELNS1_11target_archE942ELNS1_3gpuE9ELNS1_3repE0EEENS1_30default_config_static_selectorELNS0_4arch9wavefront6targetE0EEEvT1_,comdat
	.protected	_ZN7rocprim17ROCPRIM_400000_NS6detail17trampoline_kernelINS0_14default_configENS1_29reduce_by_key_config_selectorIiiN6thrust23THRUST_200600_302600_NS4plusIiEEEEZZNS1_33reduce_by_key_impl_wrapped_configILNS1_25lookback_scan_determinismE0ES3_S9_NS6_6detail15normal_iteratorINS6_10device_ptrIiEEEESG_SG_SG_PmS8_22is_equal_div_10_reduceIiEEE10hipError_tPvRmT2_T3_mT4_T5_T6_T7_T8_P12ihipStream_tbENKUlT_T0_E_clISt17integral_constantIbLb0EES10_IbLb1EEEEDaSW_SX_EUlSW_E_NS1_11comp_targetILNS1_3genE5ELNS1_11target_archE942ELNS1_3gpuE9ELNS1_3repE0EEENS1_30default_config_static_selectorELNS0_4arch9wavefront6targetE0EEEvT1_ ; -- Begin function _ZN7rocprim17ROCPRIM_400000_NS6detail17trampoline_kernelINS0_14default_configENS1_29reduce_by_key_config_selectorIiiN6thrust23THRUST_200600_302600_NS4plusIiEEEEZZNS1_33reduce_by_key_impl_wrapped_configILNS1_25lookback_scan_determinismE0ES3_S9_NS6_6detail15normal_iteratorINS6_10device_ptrIiEEEESG_SG_SG_PmS8_22is_equal_div_10_reduceIiEEE10hipError_tPvRmT2_T3_mT4_T5_T6_T7_T8_P12ihipStream_tbENKUlT_T0_E_clISt17integral_constantIbLb0EES10_IbLb1EEEEDaSW_SX_EUlSW_E_NS1_11comp_targetILNS1_3genE5ELNS1_11target_archE942ELNS1_3gpuE9ELNS1_3repE0EEENS1_30default_config_static_selectorELNS0_4arch9wavefront6targetE0EEEvT1_
	.globl	_ZN7rocprim17ROCPRIM_400000_NS6detail17trampoline_kernelINS0_14default_configENS1_29reduce_by_key_config_selectorIiiN6thrust23THRUST_200600_302600_NS4plusIiEEEEZZNS1_33reduce_by_key_impl_wrapped_configILNS1_25lookback_scan_determinismE0ES3_S9_NS6_6detail15normal_iteratorINS6_10device_ptrIiEEEESG_SG_SG_PmS8_22is_equal_div_10_reduceIiEEE10hipError_tPvRmT2_T3_mT4_T5_T6_T7_T8_P12ihipStream_tbENKUlT_T0_E_clISt17integral_constantIbLb0EES10_IbLb1EEEEDaSW_SX_EUlSW_E_NS1_11comp_targetILNS1_3genE5ELNS1_11target_archE942ELNS1_3gpuE9ELNS1_3repE0EEENS1_30default_config_static_selectorELNS0_4arch9wavefront6targetE0EEEvT1_
	.p2align	8
	.type	_ZN7rocprim17ROCPRIM_400000_NS6detail17trampoline_kernelINS0_14default_configENS1_29reduce_by_key_config_selectorIiiN6thrust23THRUST_200600_302600_NS4plusIiEEEEZZNS1_33reduce_by_key_impl_wrapped_configILNS1_25lookback_scan_determinismE0ES3_S9_NS6_6detail15normal_iteratorINS6_10device_ptrIiEEEESG_SG_SG_PmS8_22is_equal_div_10_reduceIiEEE10hipError_tPvRmT2_T3_mT4_T5_T6_T7_T8_P12ihipStream_tbENKUlT_T0_E_clISt17integral_constantIbLb0EES10_IbLb1EEEEDaSW_SX_EUlSW_E_NS1_11comp_targetILNS1_3genE5ELNS1_11target_archE942ELNS1_3gpuE9ELNS1_3repE0EEENS1_30default_config_static_selectorELNS0_4arch9wavefront6targetE0EEEvT1_,@function
_ZN7rocprim17ROCPRIM_400000_NS6detail17trampoline_kernelINS0_14default_configENS1_29reduce_by_key_config_selectorIiiN6thrust23THRUST_200600_302600_NS4plusIiEEEEZZNS1_33reduce_by_key_impl_wrapped_configILNS1_25lookback_scan_determinismE0ES3_S9_NS6_6detail15normal_iteratorINS6_10device_ptrIiEEEESG_SG_SG_PmS8_22is_equal_div_10_reduceIiEEE10hipError_tPvRmT2_T3_mT4_T5_T6_T7_T8_P12ihipStream_tbENKUlT_T0_E_clISt17integral_constantIbLb0EES10_IbLb1EEEEDaSW_SX_EUlSW_E_NS1_11comp_targetILNS1_3genE5ELNS1_11target_archE942ELNS1_3gpuE9ELNS1_3repE0EEENS1_30default_config_static_selectorELNS0_4arch9wavefront6targetE0EEEvT1_: ; @_ZN7rocprim17ROCPRIM_400000_NS6detail17trampoline_kernelINS0_14default_configENS1_29reduce_by_key_config_selectorIiiN6thrust23THRUST_200600_302600_NS4plusIiEEEEZZNS1_33reduce_by_key_impl_wrapped_configILNS1_25lookback_scan_determinismE0ES3_S9_NS6_6detail15normal_iteratorINS6_10device_ptrIiEEEESG_SG_SG_PmS8_22is_equal_div_10_reduceIiEEE10hipError_tPvRmT2_T3_mT4_T5_T6_T7_T8_P12ihipStream_tbENKUlT_T0_E_clISt17integral_constantIbLb0EES10_IbLb1EEEEDaSW_SX_EUlSW_E_NS1_11comp_targetILNS1_3genE5ELNS1_11target_archE942ELNS1_3gpuE9ELNS1_3repE0EEENS1_30default_config_static_selectorELNS0_4arch9wavefront6targetE0EEEvT1_
; %bb.0:
	.section	.rodata,"a",@progbits
	.p2align	6, 0x0
	.amdhsa_kernel _ZN7rocprim17ROCPRIM_400000_NS6detail17trampoline_kernelINS0_14default_configENS1_29reduce_by_key_config_selectorIiiN6thrust23THRUST_200600_302600_NS4plusIiEEEEZZNS1_33reduce_by_key_impl_wrapped_configILNS1_25lookback_scan_determinismE0ES3_S9_NS6_6detail15normal_iteratorINS6_10device_ptrIiEEEESG_SG_SG_PmS8_22is_equal_div_10_reduceIiEEE10hipError_tPvRmT2_T3_mT4_T5_T6_T7_T8_P12ihipStream_tbENKUlT_T0_E_clISt17integral_constantIbLb0EES10_IbLb1EEEEDaSW_SX_EUlSW_E_NS1_11comp_targetILNS1_3genE5ELNS1_11target_archE942ELNS1_3gpuE9ELNS1_3repE0EEENS1_30default_config_static_selectorELNS0_4arch9wavefront6targetE0EEEvT1_
		.amdhsa_group_segment_fixed_size 0
		.amdhsa_private_segment_fixed_size 0
		.amdhsa_kernarg_size 120
		.amdhsa_user_sgpr_count 15
		.amdhsa_user_sgpr_dispatch_ptr 0
		.amdhsa_user_sgpr_queue_ptr 0
		.amdhsa_user_sgpr_kernarg_segment_ptr 1
		.amdhsa_user_sgpr_dispatch_id 0
		.amdhsa_user_sgpr_private_segment_size 0
		.amdhsa_wavefront_size32 1
		.amdhsa_uses_dynamic_stack 0
		.amdhsa_enable_private_segment 0
		.amdhsa_system_sgpr_workgroup_id_x 1
		.amdhsa_system_sgpr_workgroup_id_y 0
		.amdhsa_system_sgpr_workgroup_id_z 0
		.amdhsa_system_sgpr_workgroup_info 0
		.amdhsa_system_vgpr_workitem_id 0
		.amdhsa_next_free_vgpr 1
		.amdhsa_next_free_sgpr 1
		.amdhsa_reserve_vcc 0
		.amdhsa_float_round_mode_32 0
		.amdhsa_float_round_mode_16_64 0
		.amdhsa_float_denorm_mode_32 3
		.amdhsa_float_denorm_mode_16_64 3
		.amdhsa_dx10_clamp 1
		.amdhsa_ieee_mode 1
		.amdhsa_fp16_overflow 0
		.amdhsa_workgroup_processor_mode 1
		.amdhsa_memory_ordered 1
		.amdhsa_forward_progress 0
		.amdhsa_shared_vgpr_count 0
		.amdhsa_exception_fp_ieee_invalid_op 0
		.amdhsa_exception_fp_denorm_src 0
		.amdhsa_exception_fp_ieee_div_zero 0
		.amdhsa_exception_fp_ieee_overflow 0
		.amdhsa_exception_fp_ieee_underflow 0
		.amdhsa_exception_fp_ieee_inexact 0
		.amdhsa_exception_int_div_zero 0
	.end_amdhsa_kernel
	.section	.text._ZN7rocprim17ROCPRIM_400000_NS6detail17trampoline_kernelINS0_14default_configENS1_29reduce_by_key_config_selectorIiiN6thrust23THRUST_200600_302600_NS4plusIiEEEEZZNS1_33reduce_by_key_impl_wrapped_configILNS1_25lookback_scan_determinismE0ES3_S9_NS6_6detail15normal_iteratorINS6_10device_ptrIiEEEESG_SG_SG_PmS8_22is_equal_div_10_reduceIiEEE10hipError_tPvRmT2_T3_mT4_T5_T6_T7_T8_P12ihipStream_tbENKUlT_T0_E_clISt17integral_constantIbLb0EES10_IbLb1EEEEDaSW_SX_EUlSW_E_NS1_11comp_targetILNS1_3genE5ELNS1_11target_archE942ELNS1_3gpuE9ELNS1_3repE0EEENS1_30default_config_static_selectorELNS0_4arch9wavefront6targetE0EEEvT1_,"axG",@progbits,_ZN7rocprim17ROCPRIM_400000_NS6detail17trampoline_kernelINS0_14default_configENS1_29reduce_by_key_config_selectorIiiN6thrust23THRUST_200600_302600_NS4plusIiEEEEZZNS1_33reduce_by_key_impl_wrapped_configILNS1_25lookback_scan_determinismE0ES3_S9_NS6_6detail15normal_iteratorINS6_10device_ptrIiEEEESG_SG_SG_PmS8_22is_equal_div_10_reduceIiEEE10hipError_tPvRmT2_T3_mT4_T5_T6_T7_T8_P12ihipStream_tbENKUlT_T0_E_clISt17integral_constantIbLb0EES10_IbLb1EEEEDaSW_SX_EUlSW_E_NS1_11comp_targetILNS1_3genE5ELNS1_11target_archE942ELNS1_3gpuE9ELNS1_3repE0EEENS1_30default_config_static_selectorELNS0_4arch9wavefront6targetE0EEEvT1_,comdat
.Lfunc_end612:
	.size	_ZN7rocprim17ROCPRIM_400000_NS6detail17trampoline_kernelINS0_14default_configENS1_29reduce_by_key_config_selectorIiiN6thrust23THRUST_200600_302600_NS4plusIiEEEEZZNS1_33reduce_by_key_impl_wrapped_configILNS1_25lookback_scan_determinismE0ES3_S9_NS6_6detail15normal_iteratorINS6_10device_ptrIiEEEESG_SG_SG_PmS8_22is_equal_div_10_reduceIiEEE10hipError_tPvRmT2_T3_mT4_T5_T6_T7_T8_P12ihipStream_tbENKUlT_T0_E_clISt17integral_constantIbLb0EES10_IbLb1EEEEDaSW_SX_EUlSW_E_NS1_11comp_targetILNS1_3genE5ELNS1_11target_archE942ELNS1_3gpuE9ELNS1_3repE0EEENS1_30default_config_static_selectorELNS0_4arch9wavefront6targetE0EEEvT1_, .Lfunc_end612-_ZN7rocprim17ROCPRIM_400000_NS6detail17trampoline_kernelINS0_14default_configENS1_29reduce_by_key_config_selectorIiiN6thrust23THRUST_200600_302600_NS4plusIiEEEEZZNS1_33reduce_by_key_impl_wrapped_configILNS1_25lookback_scan_determinismE0ES3_S9_NS6_6detail15normal_iteratorINS6_10device_ptrIiEEEESG_SG_SG_PmS8_22is_equal_div_10_reduceIiEEE10hipError_tPvRmT2_T3_mT4_T5_T6_T7_T8_P12ihipStream_tbENKUlT_T0_E_clISt17integral_constantIbLb0EES10_IbLb1EEEEDaSW_SX_EUlSW_E_NS1_11comp_targetILNS1_3genE5ELNS1_11target_archE942ELNS1_3gpuE9ELNS1_3repE0EEENS1_30default_config_static_selectorELNS0_4arch9wavefront6targetE0EEEvT1_
                                        ; -- End function
	.section	.AMDGPU.csdata,"",@progbits
; Kernel info:
; codeLenInByte = 0
; NumSgprs: 0
; NumVgprs: 0
; ScratchSize: 0
; MemoryBound: 0
; FloatMode: 240
; IeeeMode: 1
; LDSByteSize: 0 bytes/workgroup (compile time only)
; SGPRBlocks: 0
; VGPRBlocks: 0
; NumSGPRsForWavesPerEU: 1
; NumVGPRsForWavesPerEU: 1
; Occupancy: 16
; WaveLimiterHint : 0
; COMPUTE_PGM_RSRC2:SCRATCH_EN: 0
; COMPUTE_PGM_RSRC2:USER_SGPR: 15
; COMPUTE_PGM_RSRC2:TRAP_HANDLER: 0
; COMPUTE_PGM_RSRC2:TGID_X_EN: 1
; COMPUTE_PGM_RSRC2:TGID_Y_EN: 0
; COMPUTE_PGM_RSRC2:TGID_Z_EN: 0
; COMPUTE_PGM_RSRC2:TIDIG_COMP_CNT: 0
	.section	.text._ZN7rocprim17ROCPRIM_400000_NS6detail17trampoline_kernelINS0_14default_configENS1_29reduce_by_key_config_selectorIiiN6thrust23THRUST_200600_302600_NS4plusIiEEEEZZNS1_33reduce_by_key_impl_wrapped_configILNS1_25lookback_scan_determinismE0ES3_S9_NS6_6detail15normal_iteratorINS6_10device_ptrIiEEEESG_SG_SG_PmS8_22is_equal_div_10_reduceIiEEE10hipError_tPvRmT2_T3_mT4_T5_T6_T7_T8_P12ihipStream_tbENKUlT_T0_E_clISt17integral_constantIbLb0EES10_IbLb1EEEEDaSW_SX_EUlSW_E_NS1_11comp_targetILNS1_3genE4ELNS1_11target_archE910ELNS1_3gpuE8ELNS1_3repE0EEENS1_30default_config_static_selectorELNS0_4arch9wavefront6targetE0EEEvT1_,"axG",@progbits,_ZN7rocprim17ROCPRIM_400000_NS6detail17trampoline_kernelINS0_14default_configENS1_29reduce_by_key_config_selectorIiiN6thrust23THRUST_200600_302600_NS4plusIiEEEEZZNS1_33reduce_by_key_impl_wrapped_configILNS1_25lookback_scan_determinismE0ES3_S9_NS6_6detail15normal_iteratorINS6_10device_ptrIiEEEESG_SG_SG_PmS8_22is_equal_div_10_reduceIiEEE10hipError_tPvRmT2_T3_mT4_T5_T6_T7_T8_P12ihipStream_tbENKUlT_T0_E_clISt17integral_constantIbLb0EES10_IbLb1EEEEDaSW_SX_EUlSW_E_NS1_11comp_targetILNS1_3genE4ELNS1_11target_archE910ELNS1_3gpuE8ELNS1_3repE0EEENS1_30default_config_static_selectorELNS0_4arch9wavefront6targetE0EEEvT1_,comdat
	.protected	_ZN7rocprim17ROCPRIM_400000_NS6detail17trampoline_kernelINS0_14default_configENS1_29reduce_by_key_config_selectorIiiN6thrust23THRUST_200600_302600_NS4plusIiEEEEZZNS1_33reduce_by_key_impl_wrapped_configILNS1_25lookback_scan_determinismE0ES3_S9_NS6_6detail15normal_iteratorINS6_10device_ptrIiEEEESG_SG_SG_PmS8_22is_equal_div_10_reduceIiEEE10hipError_tPvRmT2_T3_mT4_T5_T6_T7_T8_P12ihipStream_tbENKUlT_T0_E_clISt17integral_constantIbLb0EES10_IbLb1EEEEDaSW_SX_EUlSW_E_NS1_11comp_targetILNS1_3genE4ELNS1_11target_archE910ELNS1_3gpuE8ELNS1_3repE0EEENS1_30default_config_static_selectorELNS0_4arch9wavefront6targetE0EEEvT1_ ; -- Begin function _ZN7rocprim17ROCPRIM_400000_NS6detail17trampoline_kernelINS0_14default_configENS1_29reduce_by_key_config_selectorIiiN6thrust23THRUST_200600_302600_NS4plusIiEEEEZZNS1_33reduce_by_key_impl_wrapped_configILNS1_25lookback_scan_determinismE0ES3_S9_NS6_6detail15normal_iteratorINS6_10device_ptrIiEEEESG_SG_SG_PmS8_22is_equal_div_10_reduceIiEEE10hipError_tPvRmT2_T3_mT4_T5_T6_T7_T8_P12ihipStream_tbENKUlT_T0_E_clISt17integral_constantIbLb0EES10_IbLb1EEEEDaSW_SX_EUlSW_E_NS1_11comp_targetILNS1_3genE4ELNS1_11target_archE910ELNS1_3gpuE8ELNS1_3repE0EEENS1_30default_config_static_selectorELNS0_4arch9wavefront6targetE0EEEvT1_
	.globl	_ZN7rocprim17ROCPRIM_400000_NS6detail17trampoline_kernelINS0_14default_configENS1_29reduce_by_key_config_selectorIiiN6thrust23THRUST_200600_302600_NS4plusIiEEEEZZNS1_33reduce_by_key_impl_wrapped_configILNS1_25lookback_scan_determinismE0ES3_S9_NS6_6detail15normal_iteratorINS6_10device_ptrIiEEEESG_SG_SG_PmS8_22is_equal_div_10_reduceIiEEE10hipError_tPvRmT2_T3_mT4_T5_T6_T7_T8_P12ihipStream_tbENKUlT_T0_E_clISt17integral_constantIbLb0EES10_IbLb1EEEEDaSW_SX_EUlSW_E_NS1_11comp_targetILNS1_3genE4ELNS1_11target_archE910ELNS1_3gpuE8ELNS1_3repE0EEENS1_30default_config_static_selectorELNS0_4arch9wavefront6targetE0EEEvT1_
	.p2align	8
	.type	_ZN7rocprim17ROCPRIM_400000_NS6detail17trampoline_kernelINS0_14default_configENS1_29reduce_by_key_config_selectorIiiN6thrust23THRUST_200600_302600_NS4plusIiEEEEZZNS1_33reduce_by_key_impl_wrapped_configILNS1_25lookback_scan_determinismE0ES3_S9_NS6_6detail15normal_iteratorINS6_10device_ptrIiEEEESG_SG_SG_PmS8_22is_equal_div_10_reduceIiEEE10hipError_tPvRmT2_T3_mT4_T5_T6_T7_T8_P12ihipStream_tbENKUlT_T0_E_clISt17integral_constantIbLb0EES10_IbLb1EEEEDaSW_SX_EUlSW_E_NS1_11comp_targetILNS1_3genE4ELNS1_11target_archE910ELNS1_3gpuE8ELNS1_3repE0EEENS1_30default_config_static_selectorELNS0_4arch9wavefront6targetE0EEEvT1_,@function
_ZN7rocprim17ROCPRIM_400000_NS6detail17trampoline_kernelINS0_14default_configENS1_29reduce_by_key_config_selectorIiiN6thrust23THRUST_200600_302600_NS4plusIiEEEEZZNS1_33reduce_by_key_impl_wrapped_configILNS1_25lookback_scan_determinismE0ES3_S9_NS6_6detail15normal_iteratorINS6_10device_ptrIiEEEESG_SG_SG_PmS8_22is_equal_div_10_reduceIiEEE10hipError_tPvRmT2_T3_mT4_T5_T6_T7_T8_P12ihipStream_tbENKUlT_T0_E_clISt17integral_constantIbLb0EES10_IbLb1EEEEDaSW_SX_EUlSW_E_NS1_11comp_targetILNS1_3genE4ELNS1_11target_archE910ELNS1_3gpuE8ELNS1_3repE0EEENS1_30default_config_static_selectorELNS0_4arch9wavefront6targetE0EEEvT1_: ; @_ZN7rocprim17ROCPRIM_400000_NS6detail17trampoline_kernelINS0_14default_configENS1_29reduce_by_key_config_selectorIiiN6thrust23THRUST_200600_302600_NS4plusIiEEEEZZNS1_33reduce_by_key_impl_wrapped_configILNS1_25lookback_scan_determinismE0ES3_S9_NS6_6detail15normal_iteratorINS6_10device_ptrIiEEEESG_SG_SG_PmS8_22is_equal_div_10_reduceIiEEE10hipError_tPvRmT2_T3_mT4_T5_T6_T7_T8_P12ihipStream_tbENKUlT_T0_E_clISt17integral_constantIbLb0EES10_IbLb1EEEEDaSW_SX_EUlSW_E_NS1_11comp_targetILNS1_3genE4ELNS1_11target_archE910ELNS1_3gpuE8ELNS1_3repE0EEENS1_30default_config_static_selectorELNS0_4arch9wavefront6targetE0EEEvT1_
; %bb.0:
	.section	.rodata,"a",@progbits
	.p2align	6, 0x0
	.amdhsa_kernel _ZN7rocprim17ROCPRIM_400000_NS6detail17trampoline_kernelINS0_14default_configENS1_29reduce_by_key_config_selectorIiiN6thrust23THRUST_200600_302600_NS4plusIiEEEEZZNS1_33reduce_by_key_impl_wrapped_configILNS1_25lookback_scan_determinismE0ES3_S9_NS6_6detail15normal_iteratorINS6_10device_ptrIiEEEESG_SG_SG_PmS8_22is_equal_div_10_reduceIiEEE10hipError_tPvRmT2_T3_mT4_T5_T6_T7_T8_P12ihipStream_tbENKUlT_T0_E_clISt17integral_constantIbLb0EES10_IbLb1EEEEDaSW_SX_EUlSW_E_NS1_11comp_targetILNS1_3genE4ELNS1_11target_archE910ELNS1_3gpuE8ELNS1_3repE0EEENS1_30default_config_static_selectorELNS0_4arch9wavefront6targetE0EEEvT1_
		.amdhsa_group_segment_fixed_size 0
		.amdhsa_private_segment_fixed_size 0
		.amdhsa_kernarg_size 120
		.amdhsa_user_sgpr_count 15
		.amdhsa_user_sgpr_dispatch_ptr 0
		.amdhsa_user_sgpr_queue_ptr 0
		.amdhsa_user_sgpr_kernarg_segment_ptr 1
		.amdhsa_user_sgpr_dispatch_id 0
		.amdhsa_user_sgpr_private_segment_size 0
		.amdhsa_wavefront_size32 1
		.amdhsa_uses_dynamic_stack 0
		.amdhsa_enable_private_segment 0
		.amdhsa_system_sgpr_workgroup_id_x 1
		.amdhsa_system_sgpr_workgroup_id_y 0
		.amdhsa_system_sgpr_workgroup_id_z 0
		.amdhsa_system_sgpr_workgroup_info 0
		.amdhsa_system_vgpr_workitem_id 0
		.amdhsa_next_free_vgpr 1
		.amdhsa_next_free_sgpr 1
		.amdhsa_reserve_vcc 0
		.amdhsa_float_round_mode_32 0
		.amdhsa_float_round_mode_16_64 0
		.amdhsa_float_denorm_mode_32 3
		.amdhsa_float_denorm_mode_16_64 3
		.amdhsa_dx10_clamp 1
		.amdhsa_ieee_mode 1
		.amdhsa_fp16_overflow 0
		.amdhsa_workgroup_processor_mode 1
		.amdhsa_memory_ordered 1
		.amdhsa_forward_progress 0
		.amdhsa_shared_vgpr_count 0
		.amdhsa_exception_fp_ieee_invalid_op 0
		.amdhsa_exception_fp_denorm_src 0
		.amdhsa_exception_fp_ieee_div_zero 0
		.amdhsa_exception_fp_ieee_overflow 0
		.amdhsa_exception_fp_ieee_underflow 0
		.amdhsa_exception_fp_ieee_inexact 0
		.amdhsa_exception_int_div_zero 0
	.end_amdhsa_kernel
	.section	.text._ZN7rocprim17ROCPRIM_400000_NS6detail17trampoline_kernelINS0_14default_configENS1_29reduce_by_key_config_selectorIiiN6thrust23THRUST_200600_302600_NS4plusIiEEEEZZNS1_33reduce_by_key_impl_wrapped_configILNS1_25lookback_scan_determinismE0ES3_S9_NS6_6detail15normal_iteratorINS6_10device_ptrIiEEEESG_SG_SG_PmS8_22is_equal_div_10_reduceIiEEE10hipError_tPvRmT2_T3_mT4_T5_T6_T7_T8_P12ihipStream_tbENKUlT_T0_E_clISt17integral_constantIbLb0EES10_IbLb1EEEEDaSW_SX_EUlSW_E_NS1_11comp_targetILNS1_3genE4ELNS1_11target_archE910ELNS1_3gpuE8ELNS1_3repE0EEENS1_30default_config_static_selectorELNS0_4arch9wavefront6targetE0EEEvT1_,"axG",@progbits,_ZN7rocprim17ROCPRIM_400000_NS6detail17trampoline_kernelINS0_14default_configENS1_29reduce_by_key_config_selectorIiiN6thrust23THRUST_200600_302600_NS4plusIiEEEEZZNS1_33reduce_by_key_impl_wrapped_configILNS1_25lookback_scan_determinismE0ES3_S9_NS6_6detail15normal_iteratorINS6_10device_ptrIiEEEESG_SG_SG_PmS8_22is_equal_div_10_reduceIiEEE10hipError_tPvRmT2_T3_mT4_T5_T6_T7_T8_P12ihipStream_tbENKUlT_T0_E_clISt17integral_constantIbLb0EES10_IbLb1EEEEDaSW_SX_EUlSW_E_NS1_11comp_targetILNS1_3genE4ELNS1_11target_archE910ELNS1_3gpuE8ELNS1_3repE0EEENS1_30default_config_static_selectorELNS0_4arch9wavefront6targetE0EEEvT1_,comdat
.Lfunc_end613:
	.size	_ZN7rocprim17ROCPRIM_400000_NS6detail17trampoline_kernelINS0_14default_configENS1_29reduce_by_key_config_selectorIiiN6thrust23THRUST_200600_302600_NS4plusIiEEEEZZNS1_33reduce_by_key_impl_wrapped_configILNS1_25lookback_scan_determinismE0ES3_S9_NS6_6detail15normal_iteratorINS6_10device_ptrIiEEEESG_SG_SG_PmS8_22is_equal_div_10_reduceIiEEE10hipError_tPvRmT2_T3_mT4_T5_T6_T7_T8_P12ihipStream_tbENKUlT_T0_E_clISt17integral_constantIbLb0EES10_IbLb1EEEEDaSW_SX_EUlSW_E_NS1_11comp_targetILNS1_3genE4ELNS1_11target_archE910ELNS1_3gpuE8ELNS1_3repE0EEENS1_30default_config_static_selectorELNS0_4arch9wavefront6targetE0EEEvT1_, .Lfunc_end613-_ZN7rocprim17ROCPRIM_400000_NS6detail17trampoline_kernelINS0_14default_configENS1_29reduce_by_key_config_selectorIiiN6thrust23THRUST_200600_302600_NS4plusIiEEEEZZNS1_33reduce_by_key_impl_wrapped_configILNS1_25lookback_scan_determinismE0ES3_S9_NS6_6detail15normal_iteratorINS6_10device_ptrIiEEEESG_SG_SG_PmS8_22is_equal_div_10_reduceIiEEE10hipError_tPvRmT2_T3_mT4_T5_T6_T7_T8_P12ihipStream_tbENKUlT_T0_E_clISt17integral_constantIbLb0EES10_IbLb1EEEEDaSW_SX_EUlSW_E_NS1_11comp_targetILNS1_3genE4ELNS1_11target_archE910ELNS1_3gpuE8ELNS1_3repE0EEENS1_30default_config_static_selectorELNS0_4arch9wavefront6targetE0EEEvT1_
                                        ; -- End function
	.section	.AMDGPU.csdata,"",@progbits
; Kernel info:
; codeLenInByte = 0
; NumSgprs: 0
; NumVgprs: 0
; ScratchSize: 0
; MemoryBound: 0
; FloatMode: 240
; IeeeMode: 1
; LDSByteSize: 0 bytes/workgroup (compile time only)
; SGPRBlocks: 0
; VGPRBlocks: 0
; NumSGPRsForWavesPerEU: 1
; NumVGPRsForWavesPerEU: 1
; Occupancy: 16
; WaveLimiterHint : 0
; COMPUTE_PGM_RSRC2:SCRATCH_EN: 0
; COMPUTE_PGM_RSRC2:USER_SGPR: 15
; COMPUTE_PGM_RSRC2:TRAP_HANDLER: 0
; COMPUTE_PGM_RSRC2:TGID_X_EN: 1
; COMPUTE_PGM_RSRC2:TGID_Y_EN: 0
; COMPUTE_PGM_RSRC2:TGID_Z_EN: 0
; COMPUTE_PGM_RSRC2:TIDIG_COMP_CNT: 0
	.section	.text._ZN7rocprim17ROCPRIM_400000_NS6detail17trampoline_kernelINS0_14default_configENS1_29reduce_by_key_config_selectorIiiN6thrust23THRUST_200600_302600_NS4plusIiEEEEZZNS1_33reduce_by_key_impl_wrapped_configILNS1_25lookback_scan_determinismE0ES3_S9_NS6_6detail15normal_iteratorINS6_10device_ptrIiEEEESG_SG_SG_PmS8_22is_equal_div_10_reduceIiEEE10hipError_tPvRmT2_T3_mT4_T5_T6_T7_T8_P12ihipStream_tbENKUlT_T0_E_clISt17integral_constantIbLb0EES10_IbLb1EEEEDaSW_SX_EUlSW_E_NS1_11comp_targetILNS1_3genE3ELNS1_11target_archE908ELNS1_3gpuE7ELNS1_3repE0EEENS1_30default_config_static_selectorELNS0_4arch9wavefront6targetE0EEEvT1_,"axG",@progbits,_ZN7rocprim17ROCPRIM_400000_NS6detail17trampoline_kernelINS0_14default_configENS1_29reduce_by_key_config_selectorIiiN6thrust23THRUST_200600_302600_NS4plusIiEEEEZZNS1_33reduce_by_key_impl_wrapped_configILNS1_25lookback_scan_determinismE0ES3_S9_NS6_6detail15normal_iteratorINS6_10device_ptrIiEEEESG_SG_SG_PmS8_22is_equal_div_10_reduceIiEEE10hipError_tPvRmT2_T3_mT4_T5_T6_T7_T8_P12ihipStream_tbENKUlT_T0_E_clISt17integral_constantIbLb0EES10_IbLb1EEEEDaSW_SX_EUlSW_E_NS1_11comp_targetILNS1_3genE3ELNS1_11target_archE908ELNS1_3gpuE7ELNS1_3repE0EEENS1_30default_config_static_selectorELNS0_4arch9wavefront6targetE0EEEvT1_,comdat
	.protected	_ZN7rocprim17ROCPRIM_400000_NS6detail17trampoline_kernelINS0_14default_configENS1_29reduce_by_key_config_selectorIiiN6thrust23THRUST_200600_302600_NS4plusIiEEEEZZNS1_33reduce_by_key_impl_wrapped_configILNS1_25lookback_scan_determinismE0ES3_S9_NS6_6detail15normal_iteratorINS6_10device_ptrIiEEEESG_SG_SG_PmS8_22is_equal_div_10_reduceIiEEE10hipError_tPvRmT2_T3_mT4_T5_T6_T7_T8_P12ihipStream_tbENKUlT_T0_E_clISt17integral_constantIbLb0EES10_IbLb1EEEEDaSW_SX_EUlSW_E_NS1_11comp_targetILNS1_3genE3ELNS1_11target_archE908ELNS1_3gpuE7ELNS1_3repE0EEENS1_30default_config_static_selectorELNS0_4arch9wavefront6targetE0EEEvT1_ ; -- Begin function _ZN7rocprim17ROCPRIM_400000_NS6detail17trampoline_kernelINS0_14default_configENS1_29reduce_by_key_config_selectorIiiN6thrust23THRUST_200600_302600_NS4plusIiEEEEZZNS1_33reduce_by_key_impl_wrapped_configILNS1_25lookback_scan_determinismE0ES3_S9_NS6_6detail15normal_iteratorINS6_10device_ptrIiEEEESG_SG_SG_PmS8_22is_equal_div_10_reduceIiEEE10hipError_tPvRmT2_T3_mT4_T5_T6_T7_T8_P12ihipStream_tbENKUlT_T0_E_clISt17integral_constantIbLb0EES10_IbLb1EEEEDaSW_SX_EUlSW_E_NS1_11comp_targetILNS1_3genE3ELNS1_11target_archE908ELNS1_3gpuE7ELNS1_3repE0EEENS1_30default_config_static_selectorELNS0_4arch9wavefront6targetE0EEEvT1_
	.globl	_ZN7rocprim17ROCPRIM_400000_NS6detail17trampoline_kernelINS0_14default_configENS1_29reduce_by_key_config_selectorIiiN6thrust23THRUST_200600_302600_NS4plusIiEEEEZZNS1_33reduce_by_key_impl_wrapped_configILNS1_25lookback_scan_determinismE0ES3_S9_NS6_6detail15normal_iteratorINS6_10device_ptrIiEEEESG_SG_SG_PmS8_22is_equal_div_10_reduceIiEEE10hipError_tPvRmT2_T3_mT4_T5_T6_T7_T8_P12ihipStream_tbENKUlT_T0_E_clISt17integral_constantIbLb0EES10_IbLb1EEEEDaSW_SX_EUlSW_E_NS1_11comp_targetILNS1_3genE3ELNS1_11target_archE908ELNS1_3gpuE7ELNS1_3repE0EEENS1_30default_config_static_selectorELNS0_4arch9wavefront6targetE0EEEvT1_
	.p2align	8
	.type	_ZN7rocprim17ROCPRIM_400000_NS6detail17trampoline_kernelINS0_14default_configENS1_29reduce_by_key_config_selectorIiiN6thrust23THRUST_200600_302600_NS4plusIiEEEEZZNS1_33reduce_by_key_impl_wrapped_configILNS1_25lookback_scan_determinismE0ES3_S9_NS6_6detail15normal_iteratorINS6_10device_ptrIiEEEESG_SG_SG_PmS8_22is_equal_div_10_reduceIiEEE10hipError_tPvRmT2_T3_mT4_T5_T6_T7_T8_P12ihipStream_tbENKUlT_T0_E_clISt17integral_constantIbLb0EES10_IbLb1EEEEDaSW_SX_EUlSW_E_NS1_11comp_targetILNS1_3genE3ELNS1_11target_archE908ELNS1_3gpuE7ELNS1_3repE0EEENS1_30default_config_static_selectorELNS0_4arch9wavefront6targetE0EEEvT1_,@function
_ZN7rocprim17ROCPRIM_400000_NS6detail17trampoline_kernelINS0_14default_configENS1_29reduce_by_key_config_selectorIiiN6thrust23THRUST_200600_302600_NS4plusIiEEEEZZNS1_33reduce_by_key_impl_wrapped_configILNS1_25lookback_scan_determinismE0ES3_S9_NS6_6detail15normal_iteratorINS6_10device_ptrIiEEEESG_SG_SG_PmS8_22is_equal_div_10_reduceIiEEE10hipError_tPvRmT2_T3_mT4_T5_T6_T7_T8_P12ihipStream_tbENKUlT_T0_E_clISt17integral_constantIbLb0EES10_IbLb1EEEEDaSW_SX_EUlSW_E_NS1_11comp_targetILNS1_3genE3ELNS1_11target_archE908ELNS1_3gpuE7ELNS1_3repE0EEENS1_30default_config_static_selectorELNS0_4arch9wavefront6targetE0EEEvT1_: ; @_ZN7rocprim17ROCPRIM_400000_NS6detail17trampoline_kernelINS0_14default_configENS1_29reduce_by_key_config_selectorIiiN6thrust23THRUST_200600_302600_NS4plusIiEEEEZZNS1_33reduce_by_key_impl_wrapped_configILNS1_25lookback_scan_determinismE0ES3_S9_NS6_6detail15normal_iteratorINS6_10device_ptrIiEEEESG_SG_SG_PmS8_22is_equal_div_10_reduceIiEEE10hipError_tPvRmT2_T3_mT4_T5_T6_T7_T8_P12ihipStream_tbENKUlT_T0_E_clISt17integral_constantIbLb0EES10_IbLb1EEEEDaSW_SX_EUlSW_E_NS1_11comp_targetILNS1_3genE3ELNS1_11target_archE908ELNS1_3gpuE7ELNS1_3repE0EEENS1_30default_config_static_selectorELNS0_4arch9wavefront6targetE0EEEvT1_
; %bb.0:
	.section	.rodata,"a",@progbits
	.p2align	6, 0x0
	.amdhsa_kernel _ZN7rocprim17ROCPRIM_400000_NS6detail17trampoline_kernelINS0_14default_configENS1_29reduce_by_key_config_selectorIiiN6thrust23THRUST_200600_302600_NS4plusIiEEEEZZNS1_33reduce_by_key_impl_wrapped_configILNS1_25lookback_scan_determinismE0ES3_S9_NS6_6detail15normal_iteratorINS6_10device_ptrIiEEEESG_SG_SG_PmS8_22is_equal_div_10_reduceIiEEE10hipError_tPvRmT2_T3_mT4_T5_T6_T7_T8_P12ihipStream_tbENKUlT_T0_E_clISt17integral_constantIbLb0EES10_IbLb1EEEEDaSW_SX_EUlSW_E_NS1_11comp_targetILNS1_3genE3ELNS1_11target_archE908ELNS1_3gpuE7ELNS1_3repE0EEENS1_30default_config_static_selectorELNS0_4arch9wavefront6targetE0EEEvT1_
		.amdhsa_group_segment_fixed_size 0
		.amdhsa_private_segment_fixed_size 0
		.amdhsa_kernarg_size 120
		.amdhsa_user_sgpr_count 15
		.amdhsa_user_sgpr_dispatch_ptr 0
		.amdhsa_user_sgpr_queue_ptr 0
		.amdhsa_user_sgpr_kernarg_segment_ptr 1
		.amdhsa_user_sgpr_dispatch_id 0
		.amdhsa_user_sgpr_private_segment_size 0
		.amdhsa_wavefront_size32 1
		.amdhsa_uses_dynamic_stack 0
		.amdhsa_enable_private_segment 0
		.amdhsa_system_sgpr_workgroup_id_x 1
		.amdhsa_system_sgpr_workgroup_id_y 0
		.amdhsa_system_sgpr_workgroup_id_z 0
		.amdhsa_system_sgpr_workgroup_info 0
		.amdhsa_system_vgpr_workitem_id 0
		.amdhsa_next_free_vgpr 1
		.amdhsa_next_free_sgpr 1
		.amdhsa_reserve_vcc 0
		.amdhsa_float_round_mode_32 0
		.amdhsa_float_round_mode_16_64 0
		.amdhsa_float_denorm_mode_32 3
		.amdhsa_float_denorm_mode_16_64 3
		.amdhsa_dx10_clamp 1
		.amdhsa_ieee_mode 1
		.amdhsa_fp16_overflow 0
		.amdhsa_workgroup_processor_mode 1
		.amdhsa_memory_ordered 1
		.amdhsa_forward_progress 0
		.amdhsa_shared_vgpr_count 0
		.amdhsa_exception_fp_ieee_invalid_op 0
		.amdhsa_exception_fp_denorm_src 0
		.amdhsa_exception_fp_ieee_div_zero 0
		.amdhsa_exception_fp_ieee_overflow 0
		.amdhsa_exception_fp_ieee_underflow 0
		.amdhsa_exception_fp_ieee_inexact 0
		.amdhsa_exception_int_div_zero 0
	.end_amdhsa_kernel
	.section	.text._ZN7rocprim17ROCPRIM_400000_NS6detail17trampoline_kernelINS0_14default_configENS1_29reduce_by_key_config_selectorIiiN6thrust23THRUST_200600_302600_NS4plusIiEEEEZZNS1_33reduce_by_key_impl_wrapped_configILNS1_25lookback_scan_determinismE0ES3_S9_NS6_6detail15normal_iteratorINS6_10device_ptrIiEEEESG_SG_SG_PmS8_22is_equal_div_10_reduceIiEEE10hipError_tPvRmT2_T3_mT4_T5_T6_T7_T8_P12ihipStream_tbENKUlT_T0_E_clISt17integral_constantIbLb0EES10_IbLb1EEEEDaSW_SX_EUlSW_E_NS1_11comp_targetILNS1_3genE3ELNS1_11target_archE908ELNS1_3gpuE7ELNS1_3repE0EEENS1_30default_config_static_selectorELNS0_4arch9wavefront6targetE0EEEvT1_,"axG",@progbits,_ZN7rocprim17ROCPRIM_400000_NS6detail17trampoline_kernelINS0_14default_configENS1_29reduce_by_key_config_selectorIiiN6thrust23THRUST_200600_302600_NS4plusIiEEEEZZNS1_33reduce_by_key_impl_wrapped_configILNS1_25lookback_scan_determinismE0ES3_S9_NS6_6detail15normal_iteratorINS6_10device_ptrIiEEEESG_SG_SG_PmS8_22is_equal_div_10_reduceIiEEE10hipError_tPvRmT2_T3_mT4_T5_T6_T7_T8_P12ihipStream_tbENKUlT_T0_E_clISt17integral_constantIbLb0EES10_IbLb1EEEEDaSW_SX_EUlSW_E_NS1_11comp_targetILNS1_3genE3ELNS1_11target_archE908ELNS1_3gpuE7ELNS1_3repE0EEENS1_30default_config_static_selectorELNS0_4arch9wavefront6targetE0EEEvT1_,comdat
.Lfunc_end614:
	.size	_ZN7rocprim17ROCPRIM_400000_NS6detail17trampoline_kernelINS0_14default_configENS1_29reduce_by_key_config_selectorIiiN6thrust23THRUST_200600_302600_NS4plusIiEEEEZZNS1_33reduce_by_key_impl_wrapped_configILNS1_25lookback_scan_determinismE0ES3_S9_NS6_6detail15normal_iteratorINS6_10device_ptrIiEEEESG_SG_SG_PmS8_22is_equal_div_10_reduceIiEEE10hipError_tPvRmT2_T3_mT4_T5_T6_T7_T8_P12ihipStream_tbENKUlT_T0_E_clISt17integral_constantIbLb0EES10_IbLb1EEEEDaSW_SX_EUlSW_E_NS1_11comp_targetILNS1_3genE3ELNS1_11target_archE908ELNS1_3gpuE7ELNS1_3repE0EEENS1_30default_config_static_selectorELNS0_4arch9wavefront6targetE0EEEvT1_, .Lfunc_end614-_ZN7rocprim17ROCPRIM_400000_NS6detail17trampoline_kernelINS0_14default_configENS1_29reduce_by_key_config_selectorIiiN6thrust23THRUST_200600_302600_NS4plusIiEEEEZZNS1_33reduce_by_key_impl_wrapped_configILNS1_25lookback_scan_determinismE0ES3_S9_NS6_6detail15normal_iteratorINS6_10device_ptrIiEEEESG_SG_SG_PmS8_22is_equal_div_10_reduceIiEEE10hipError_tPvRmT2_T3_mT4_T5_T6_T7_T8_P12ihipStream_tbENKUlT_T0_E_clISt17integral_constantIbLb0EES10_IbLb1EEEEDaSW_SX_EUlSW_E_NS1_11comp_targetILNS1_3genE3ELNS1_11target_archE908ELNS1_3gpuE7ELNS1_3repE0EEENS1_30default_config_static_selectorELNS0_4arch9wavefront6targetE0EEEvT1_
                                        ; -- End function
	.section	.AMDGPU.csdata,"",@progbits
; Kernel info:
; codeLenInByte = 0
; NumSgprs: 0
; NumVgprs: 0
; ScratchSize: 0
; MemoryBound: 0
; FloatMode: 240
; IeeeMode: 1
; LDSByteSize: 0 bytes/workgroup (compile time only)
; SGPRBlocks: 0
; VGPRBlocks: 0
; NumSGPRsForWavesPerEU: 1
; NumVGPRsForWavesPerEU: 1
; Occupancy: 16
; WaveLimiterHint : 0
; COMPUTE_PGM_RSRC2:SCRATCH_EN: 0
; COMPUTE_PGM_RSRC2:USER_SGPR: 15
; COMPUTE_PGM_RSRC2:TRAP_HANDLER: 0
; COMPUTE_PGM_RSRC2:TGID_X_EN: 1
; COMPUTE_PGM_RSRC2:TGID_Y_EN: 0
; COMPUTE_PGM_RSRC2:TGID_Z_EN: 0
; COMPUTE_PGM_RSRC2:TIDIG_COMP_CNT: 0
	.section	.text._ZN7rocprim17ROCPRIM_400000_NS6detail17trampoline_kernelINS0_14default_configENS1_29reduce_by_key_config_selectorIiiN6thrust23THRUST_200600_302600_NS4plusIiEEEEZZNS1_33reduce_by_key_impl_wrapped_configILNS1_25lookback_scan_determinismE0ES3_S9_NS6_6detail15normal_iteratorINS6_10device_ptrIiEEEESG_SG_SG_PmS8_22is_equal_div_10_reduceIiEEE10hipError_tPvRmT2_T3_mT4_T5_T6_T7_T8_P12ihipStream_tbENKUlT_T0_E_clISt17integral_constantIbLb0EES10_IbLb1EEEEDaSW_SX_EUlSW_E_NS1_11comp_targetILNS1_3genE2ELNS1_11target_archE906ELNS1_3gpuE6ELNS1_3repE0EEENS1_30default_config_static_selectorELNS0_4arch9wavefront6targetE0EEEvT1_,"axG",@progbits,_ZN7rocprim17ROCPRIM_400000_NS6detail17trampoline_kernelINS0_14default_configENS1_29reduce_by_key_config_selectorIiiN6thrust23THRUST_200600_302600_NS4plusIiEEEEZZNS1_33reduce_by_key_impl_wrapped_configILNS1_25lookback_scan_determinismE0ES3_S9_NS6_6detail15normal_iteratorINS6_10device_ptrIiEEEESG_SG_SG_PmS8_22is_equal_div_10_reduceIiEEE10hipError_tPvRmT2_T3_mT4_T5_T6_T7_T8_P12ihipStream_tbENKUlT_T0_E_clISt17integral_constantIbLb0EES10_IbLb1EEEEDaSW_SX_EUlSW_E_NS1_11comp_targetILNS1_3genE2ELNS1_11target_archE906ELNS1_3gpuE6ELNS1_3repE0EEENS1_30default_config_static_selectorELNS0_4arch9wavefront6targetE0EEEvT1_,comdat
	.protected	_ZN7rocprim17ROCPRIM_400000_NS6detail17trampoline_kernelINS0_14default_configENS1_29reduce_by_key_config_selectorIiiN6thrust23THRUST_200600_302600_NS4plusIiEEEEZZNS1_33reduce_by_key_impl_wrapped_configILNS1_25lookback_scan_determinismE0ES3_S9_NS6_6detail15normal_iteratorINS6_10device_ptrIiEEEESG_SG_SG_PmS8_22is_equal_div_10_reduceIiEEE10hipError_tPvRmT2_T3_mT4_T5_T6_T7_T8_P12ihipStream_tbENKUlT_T0_E_clISt17integral_constantIbLb0EES10_IbLb1EEEEDaSW_SX_EUlSW_E_NS1_11comp_targetILNS1_3genE2ELNS1_11target_archE906ELNS1_3gpuE6ELNS1_3repE0EEENS1_30default_config_static_selectorELNS0_4arch9wavefront6targetE0EEEvT1_ ; -- Begin function _ZN7rocprim17ROCPRIM_400000_NS6detail17trampoline_kernelINS0_14default_configENS1_29reduce_by_key_config_selectorIiiN6thrust23THRUST_200600_302600_NS4plusIiEEEEZZNS1_33reduce_by_key_impl_wrapped_configILNS1_25lookback_scan_determinismE0ES3_S9_NS6_6detail15normal_iteratorINS6_10device_ptrIiEEEESG_SG_SG_PmS8_22is_equal_div_10_reduceIiEEE10hipError_tPvRmT2_T3_mT4_T5_T6_T7_T8_P12ihipStream_tbENKUlT_T0_E_clISt17integral_constantIbLb0EES10_IbLb1EEEEDaSW_SX_EUlSW_E_NS1_11comp_targetILNS1_3genE2ELNS1_11target_archE906ELNS1_3gpuE6ELNS1_3repE0EEENS1_30default_config_static_selectorELNS0_4arch9wavefront6targetE0EEEvT1_
	.globl	_ZN7rocprim17ROCPRIM_400000_NS6detail17trampoline_kernelINS0_14default_configENS1_29reduce_by_key_config_selectorIiiN6thrust23THRUST_200600_302600_NS4plusIiEEEEZZNS1_33reduce_by_key_impl_wrapped_configILNS1_25lookback_scan_determinismE0ES3_S9_NS6_6detail15normal_iteratorINS6_10device_ptrIiEEEESG_SG_SG_PmS8_22is_equal_div_10_reduceIiEEE10hipError_tPvRmT2_T3_mT4_T5_T6_T7_T8_P12ihipStream_tbENKUlT_T0_E_clISt17integral_constantIbLb0EES10_IbLb1EEEEDaSW_SX_EUlSW_E_NS1_11comp_targetILNS1_3genE2ELNS1_11target_archE906ELNS1_3gpuE6ELNS1_3repE0EEENS1_30default_config_static_selectorELNS0_4arch9wavefront6targetE0EEEvT1_
	.p2align	8
	.type	_ZN7rocprim17ROCPRIM_400000_NS6detail17trampoline_kernelINS0_14default_configENS1_29reduce_by_key_config_selectorIiiN6thrust23THRUST_200600_302600_NS4plusIiEEEEZZNS1_33reduce_by_key_impl_wrapped_configILNS1_25lookback_scan_determinismE0ES3_S9_NS6_6detail15normal_iteratorINS6_10device_ptrIiEEEESG_SG_SG_PmS8_22is_equal_div_10_reduceIiEEE10hipError_tPvRmT2_T3_mT4_T5_T6_T7_T8_P12ihipStream_tbENKUlT_T0_E_clISt17integral_constantIbLb0EES10_IbLb1EEEEDaSW_SX_EUlSW_E_NS1_11comp_targetILNS1_3genE2ELNS1_11target_archE906ELNS1_3gpuE6ELNS1_3repE0EEENS1_30default_config_static_selectorELNS0_4arch9wavefront6targetE0EEEvT1_,@function
_ZN7rocprim17ROCPRIM_400000_NS6detail17trampoline_kernelINS0_14default_configENS1_29reduce_by_key_config_selectorIiiN6thrust23THRUST_200600_302600_NS4plusIiEEEEZZNS1_33reduce_by_key_impl_wrapped_configILNS1_25lookback_scan_determinismE0ES3_S9_NS6_6detail15normal_iteratorINS6_10device_ptrIiEEEESG_SG_SG_PmS8_22is_equal_div_10_reduceIiEEE10hipError_tPvRmT2_T3_mT4_T5_T6_T7_T8_P12ihipStream_tbENKUlT_T0_E_clISt17integral_constantIbLb0EES10_IbLb1EEEEDaSW_SX_EUlSW_E_NS1_11comp_targetILNS1_3genE2ELNS1_11target_archE906ELNS1_3gpuE6ELNS1_3repE0EEENS1_30default_config_static_selectorELNS0_4arch9wavefront6targetE0EEEvT1_: ; @_ZN7rocprim17ROCPRIM_400000_NS6detail17trampoline_kernelINS0_14default_configENS1_29reduce_by_key_config_selectorIiiN6thrust23THRUST_200600_302600_NS4plusIiEEEEZZNS1_33reduce_by_key_impl_wrapped_configILNS1_25lookback_scan_determinismE0ES3_S9_NS6_6detail15normal_iteratorINS6_10device_ptrIiEEEESG_SG_SG_PmS8_22is_equal_div_10_reduceIiEEE10hipError_tPvRmT2_T3_mT4_T5_T6_T7_T8_P12ihipStream_tbENKUlT_T0_E_clISt17integral_constantIbLb0EES10_IbLb1EEEEDaSW_SX_EUlSW_E_NS1_11comp_targetILNS1_3genE2ELNS1_11target_archE906ELNS1_3gpuE6ELNS1_3repE0EEENS1_30default_config_static_selectorELNS0_4arch9wavefront6targetE0EEEvT1_
; %bb.0:
	.section	.rodata,"a",@progbits
	.p2align	6, 0x0
	.amdhsa_kernel _ZN7rocprim17ROCPRIM_400000_NS6detail17trampoline_kernelINS0_14default_configENS1_29reduce_by_key_config_selectorIiiN6thrust23THRUST_200600_302600_NS4plusIiEEEEZZNS1_33reduce_by_key_impl_wrapped_configILNS1_25lookback_scan_determinismE0ES3_S9_NS6_6detail15normal_iteratorINS6_10device_ptrIiEEEESG_SG_SG_PmS8_22is_equal_div_10_reduceIiEEE10hipError_tPvRmT2_T3_mT4_T5_T6_T7_T8_P12ihipStream_tbENKUlT_T0_E_clISt17integral_constantIbLb0EES10_IbLb1EEEEDaSW_SX_EUlSW_E_NS1_11comp_targetILNS1_3genE2ELNS1_11target_archE906ELNS1_3gpuE6ELNS1_3repE0EEENS1_30default_config_static_selectorELNS0_4arch9wavefront6targetE0EEEvT1_
		.amdhsa_group_segment_fixed_size 0
		.amdhsa_private_segment_fixed_size 0
		.amdhsa_kernarg_size 120
		.amdhsa_user_sgpr_count 15
		.amdhsa_user_sgpr_dispatch_ptr 0
		.amdhsa_user_sgpr_queue_ptr 0
		.amdhsa_user_sgpr_kernarg_segment_ptr 1
		.amdhsa_user_sgpr_dispatch_id 0
		.amdhsa_user_sgpr_private_segment_size 0
		.amdhsa_wavefront_size32 1
		.amdhsa_uses_dynamic_stack 0
		.amdhsa_enable_private_segment 0
		.amdhsa_system_sgpr_workgroup_id_x 1
		.amdhsa_system_sgpr_workgroup_id_y 0
		.amdhsa_system_sgpr_workgroup_id_z 0
		.amdhsa_system_sgpr_workgroup_info 0
		.amdhsa_system_vgpr_workitem_id 0
		.amdhsa_next_free_vgpr 1
		.amdhsa_next_free_sgpr 1
		.amdhsa_reserve_vcc 0
		.amdhsa_float_round_mode_32 0
		.amdhsa_float_round_mode_16_64 0
		.amdhsa_float_denorm_mode_32 3
		.amdhsa_float_denorm_mode_16_64 3
		.amdhsa_dx10_clamp 1
		.amdhsa_ieee_mode 1
		.amdhsa_fp16_overflow 0
		.amdhsa_workgroup_processor_mode 1
		.amdhsa_memory_ordered 1
		.amdhsa_forward_progress 0
		.amdhsa_shared_vgpr_count 0
		.amdhsa_exception_fp_ieee_invalid_op 0
		.amdhsa_exception_fp_denorm_src 0
		.amdhsa_exception_fp_ieee_div_zero 0
		.amdhsa_exception_fp_ieee_overflow 0
		.amdhsa_exception_fp_ieee_underflow 0
		.amdhsa_exception_fp_ieee_inexact 0
		.amdhsa_exception_int_div_zero 0
	.end_amdhsa_kernel
	.section	.text._ZN7rocprim17ROCPRIM_400000_NS6detail17trampoline_kernelINS0_14default_configENS1_29reduce_by_key_config_selectorIiiN6thrust23THRUST_200600_302600_NS4plusIiEEEEZZNS1_33reduce_by_key_impl_wrapped_configILNS1_25lookback_scan_determinismE0ES3_S9_NS6_6detail15normal_iteratorINS6_10device_ptrIiEEEESG_SG_SG_PmS8_22is_equal_div_10_reduceIiEEE10hipError_tPvRmT2_T3_mT4_T5_T6_T7_T8_P12ihipStream_tbENKUlT_T0_E_clISt17integral_constantIbLb0EES10_IbLb1EEEEDaSW_SX_EUlSW_E_NS1_11comp_targetILNS1_3genE2ELNS1_11target_archE906ELNS1_3gpuE6ELNS1_3repE0EEENS1_30default_config_static_selectorELNS0_4arch9wavefront6targetE0EEEvT1_,"axG",@progbits,_ZN7rocprim17ROCPRIM_400000_NS6detail17trampoline_kernelINS0_14default_configENS1_29reduce_by_key_config_selectorIiiN6thrust23THRUST_200600_302600_NS4plusIiEEEEZZNS1_33reduce_by_key_impl_wrapped_configILNS1_25lookback_scan_determinismE0ES3_S9_NS6_6detail15normal_iteratorINS6_10device_ptrIiEEEESG_SG_SG_PmS8_22is_equal_div_10_reduceIiEEE10hipError_tPvRmT2_T3_mT4_T5_T6_T7_T8_P12ihipStream_tbENKUlT_T0_E_clISt17integral_constantIbLb0EES10_IbLb1EEEEDaSW_SX_EUlSW_E_NS1_11comp_targetILNS1_3genE2ELNS1_11target_archE906ELNS1_3gpuE6ELNS1_3repE0EEENS1_30default_config_static_selectorELNS0_4arch9wavefront6targetE0EEEvT1_,comdat
.Lfunc_end615:
	.size	_ZN7rocprim17ROCPRIM_400000_NS6detail17trampoline_kernelINS0_14default_configENS1_29reduce_by_key_config_selectorIiiN6thrust23THRUST_200600_302600_NS4plusIiEEEEZZNS1_33reduce_by_key_impl_wrapped_configILNS1_25lookback_scan_determinismE0ES3_S9_NS6_6detail15normal_iteratorINS6_10device_ptrIiEEEESG_SG_SG_PmS8_22is_equal_div_10_reduceIiEEE10hipError_tPvRmT2_T3_mT4_T5_T6_T7_T8_P12ihipStream_tbENKUlT_T0_E_clISt17integral_constantIbLb0EES10_IbLb1EEEEDaSW_SX_EUlSW_E_NS1_11comp_targetILNS1_3genE2ELNS1_11target_archE906ELNS1_3gpuE6ELNS1_3repE0EEENS1_30default_config_static_selectorELNS0_4arch9wavefront6targetE0EEEvT1_, .Lfunc_end615-_ZN7rocprim17ROCPRIM_400000_NS6detail17trampoline_kernelINS0_14default_configENS1_29reduce_by_key_config_selectorIiiN6thrust23THRUST_200600_302600_NS4plusIiEEEEZZNS1_33reduce_by_key_impl_wrapped_configILNS1_25lookback_scan_determinismE0ES3_S9_NS6_6detail15normal_iteratorINS6_10device_ptrIiEEEESG_SG_SG_PmS8_22is_equal_div_10_reduceIiEEE10hipError_tPvRmT2_T3_mT4_T5_T6_T7_T8_P12ihipStream_tbENKUlT_T0_E_clISt17integral_constantIbLb0EES10_IbLb1EEEEDaSW_SX_EUlSW_E_NS1_11comp_targetILNS1_3genE2ELNS1_11target_archE906ELNS1_3gpuE6ELNS1_3repE0EEENS1_30default_config_static_selectorELNS0_4arch9wavefront6targetE0EEEvT1_
                                        ; -- End function
	.section	.AMDGPU.csdata,"",@progbits
; Kernel info:
; codeLenInByte = 0
; NumSgprs: 0
; NumVgprs: 0
; ScratchSize: 0
; MemoryBound: 0
; FloatMode: 240
; IeeeMode: 1
; LDSByteSize: 0 bytes/workgroup (compile time only)
; SGPRBlocks: 0
; VGPRBlocks: 0
; NumSGPRsForWavesPerEU: 1
; NumVGPRsForWavesPerEU: 1
; Occupancy: 16
; WaveLimiterHint : 0
; COMPUTE_PGM_RSRC2:SCRATCH_EN: 0
; COMPUTE_PGM_RSRC2:USER_SGPR: 15
; COMPUTE_PGM_RSRC2:TRAP_HANDLER: 0
; COMPUTE_PGM_RSRC2:TGID_X_EN: 1
; COMPUTE_PGM_RSRC2:TGID_Y_EN: 0
; COMPUTE_PGM_RSRC2:TGID_Z_EN: 0
; COMPUTE_PGM_RSRC2:TIDIG_COMP_CNT: 0
	.section	.text._ZN7rocprim17ROCPRIM_400000_NS6detail17trampoline_kernelINS0_14default_configENS1_29reduce_by_key_config_selectorIiiN6thrust23THRUST_200600_302600_NS4plusIiEEEEZZNS1_33reduce_by_key_impl_wrapped_configILNS1_25lookback_scan_determinismE0ES3_S9_NS6_6detail15normal_iteratorINS6_10device_ptrIiEEEESG_SG_SG_PmS8_22is_equal_div_10_reduceIiEEE10hipError_tPvRmT2_T3_mT4_T5_T6_T7_T8_P12ihipStream_tbENKUlT_T0_E_clISt17integral_constantIbLb0EES10_IbLb1EEEEDaSW_SX_EUlSW_E_NS1_11comp_targetILNS1_3genE10ELNS1_11target_archE1201ELNS1_3gpuE5ELNS1_3repE0EEENS1_30default_config_static_selectorELNS0_4arch9wavefront6targetE0EEEvT1_,"axG",@progbits,_ZN7rocprim17ROCPRIM_400000_NS6detail17trampoline_kernelINS0_14default_configENS1_29reduce_by_key_config_selectorIiiN6thrust23THRUST_200600_302600_NS4plusIiEEEEZZNS1_33reduce_by_key_impl_wrapped_configILNS1_25lookback_scan_determinismE0ES3_S9_NS6_6detail15normal_iteratorINS6_10device_ptrIiEEEESG_SG_SG_PmS8_22is_equal_div_10_reduceIiEEE10hipError_tPvRmT2_T3_mT4_T5_T6_T7_T8_P12ihipStream_tbENKUlT_T0_E_clISt17integral_constantIbLb0EES10_IbLb1EEEEDaSW_SX_EUlSW_E_NS1_11comp_targetILNS1_3genE10ELNS1_11target_archE1201ELNS1_3gpuE5ELNS1_3repE0EEENS1_30default_config_static_selectorELNS0_4arch9wavefront6targetE0EEEvT1_,comdat
	.protected	_ZN7rocprim17ROCPRIM_400000_NS6detail17trampoline_kernelINS0_14default_configENS1_29reduce_by_key_config_selectorIiiN6thrust23THRUST_200600_302600_NS4plusIiEEEEZZNS1_33reduce_by_key_impl_wrapped_configILNS1_25lookback_scan_determinismE0ES3_S9_NS6_6detail15normal_iteratorINS6_10device_ptrIiEEEESG_SG_SG_PmS8_22is_equal_div_10_reduceIiEEE10hipError_tPvRmT2_T3_mT4_T5_T6_T7_T8_P12ihipStream_tbENKUlT_T0_E_clISt17integral_constantIbLb0EES10_IbLb1EEEEDaSW_SX_EUlSW_E_NS1_11comp_targetILNS1_3genE10ELNS1_11target_archE1201ELNS1_3gpuE5ELNS1_3repE0EEENS1_30default_config_static_selectorELNS0_4arch9wavefront6targetE0EEEvT1_ ; -- Begin function _ZN7rocprim17ROCPRIM_400000_NS6detail17trampoline_kernelINS0_14default_configENS1_29reduce_by_key_config_selectorIiiN6thrust23THRUST_200600_302600_NS4plusIiEEEEZZNS1_33reduce_by_key_impl_wrapped_configILNS1_25lookback_scan_determinismE0ES3_S9_NS6_6detail15normal_iteratorINS6_10device_ptrIiEEEESG_SG_SG_PmS8_22is_equal_div_10_reduceIiEEE10hipError_tPvRmT2_T3_mT4_T5_T6_T7_T8_P12ihipStream_tbENKUlT_T0_E_clISt17integral_constantIbLb0EES10_IbLb1EEEEDaSW_SX_EUlSW_E_NS1_11comp_targetILNS1_3genE10ELNS1_11target_archE1201ELNS1_3gpuE5ELNS1_3repE0EEENS1_30default_config_static_selectorELNS0_4arch9wavefront6targetE0EEEvT1_
	.globl	_ZN7rocprim17ROCPRIM_400000_NS6detail17trampoline_kernelINS0_14default_configENS1_29reduce_by_key_config_selectorIiiN6thrust23THRUST_200600_302600_NS4plusIiEEEEZZNS1_33reduce_by_key_impl_wrapped_configILNS1_25lookback_scan_determinismE0ES3_S9_NS6_6detail15normal_iteratorINS6_10device_ptrIiEEEESG_SG_SG_PmS8_22is_equal_div_10_reduceIiEEE10hipError_tPvRmT2_T3_mT4_T5_T6_T7_T8_P12ihipStream_tbENKUlT_T0_E_clISt17integral_constantIbLb0EES10_IbLb1EEEEDaSW_SX_EUlSW_E_NS1_11comp_targetILNS1_3genE10ELNS1_11target_archE1201ELNS1_3gpuE5ELNS1_3repE0EEENS1_30default_config_static_selectorELNS0_4arch9wavefront6targetE0EEEvT1_
	.p2align	8
	.type	_ZN7rocprim17ROCPRIM_400000_NS6detail17trampoline_kernelINS0_14default_configENS1_29reduce_by_key_config_selectorIiiN6thrust23THRUST_200600_302600_NS4plusIiEEEEZZNS1_33reduce_by_key_impl_wrapped_configILNS1_25lookback_scan_determinismE0ES3_S9_NS6_6detail15normal_iteratorINS6_10device_ptrIiEEEESG_SG_SG_PmS8_22is_equal_div_10_reduceIiEEE10hipError_tPvRmT2_T3_mT4_T5_T6_T7_T8_P12ihipStream_tbENKUlT_T0_E_clISt17integral_constantIbLb0EES10_IbLb1EEEEDaSW_SX_EUlSW_E_NS1_11comp_targetILNS1_3genE10ELNS1_11target_archE1201ELNS1_3gpuE5ELNS1_3repE0EEENS1_30default_config_static_selectorELNS0_4arch9wavefront6targetE0EEEvT1_,@function
_ZN7rocprim17ROCPRIM_400000_NS6detail17trampoline_kernelINS0_14default_configENS1_29reduce_by_key_config_selectorIiiN6thrust23THRUST_200600_302600_NS4plusIiEEEEZZNS1_33reduce_by_key_impl_wrapped_configILNS1_25lookback_scan_determinismE0ES3_S9_NS6_6detail15normal_iteratorINS6_10device_ptrIiEEEESG_SG_SG_PmS8_22is_equal_div_10_reduceIiEEE10hipError_tPvRmT2_T3_mT4_T5_T6_T7_T8_P12ihipStream_tbENKUlT_T0_E_clISt17integral_constantIbLb0EES10_IbLb1EEEEDaSW_SX_EUlSW_E_NS1_11comp_targetILNS1_3genE10ELNS1_11target_archE1201ELNS1_3gpuE5ELNS1_3repE0EEENS1_30default_config_static_selectorELNS0_4arch9wavefront6targetE0EEEvT1_: ; @_ZN7rocprim17ROCPRIM_400000_NS6detail17trampoline_kernelINS0_14default_configENS1_29reduce_by_key_config_selectorIiiN6thrust23THRUST_200600_302600_NS4plusIiEEEEZZNS1_33reduce_by_key_impl_wrapped_configILNS1_25lookback_scan_determinismE0ES3_S9_NS6_6detail15normal_iteratorINS6_10device_ptrIiEEEESG_SG_SG_PmS8_22is_equal_div_10_reduceIiEEE10hipError_tPvRmT2_T3_mT4_T5_T6_T7_T8_P12ihipStream_tbENKUlT_T0_E_clISt17integral_constantIbLb0EES10_IbLb1EEEEDaSW_SX_EUlSW_E_NS1_11comp_targetILNS1_3genE10ELNS1_11target_archE1201ELNS1_3gpuE5ELNS1_3repE0EEENS1_30default_config_static_selectorELNS0_4arch9wavefront6targetE0EEEvT1_
; %bb.0:
	.section	.rodata,"a",@progbits
	.p2align	6, 0x0
	.amdhsa_kernel _ZN7rocprim17ROCPRIM_400000_NS6detail17trampoline_kernelINS0_14default_configENS1_29reduce_by_key_config_selectorIiiN6thrust23THRUST_200600_302600_NS4plusIiEEEEZZNS1_33reduce_by_key_impl_wrapped_configILNS1_25lookback_scan_determinismE0ES3_S9_NS6_6detail15normal_iteratorINS6_10device_ptrIiEEEESG_SG_SG_PmS8_22is_equal_div_10_reduceIiEEE10hipError_tPvRmT2_T3_mT4_T5_T6_T7_T8_P12ihipStream_tbENKUlT_T0_E_clISt17integral_constantIbLb0EES10_IbLb1EEEEDaSW_SX_EUlSW_E_NS1_11comp_targetILNS1_3genE10ELNS1_11target_archE1201ELNS1_3gpuE5ELNS1_3repE0EEENS1_30default_config_static_selectorELNS0_4arch9wavefront6targetE0EEEvT1_
		.amdhsa_group_segment_fixed_size 0
		.amdhsa_private_segment_fixed_size 0
		.amdhsa_kernarg_size 120
		.amdhsa_user_sgpr_count 15
		.amdhsa_user_sgpr_dispatch_ptr 0
		.amdhsa_user_sgpr_queue_ptr 0
		.amdhsa_user_sgpr_kernarg_segment_ptr 1
		.amdhsa_user_sgpr_dispatch_id 0
		.amdhsa_user_sgpr_private_segment_size 0
		.amdhsa_wavefront_size32 1
		.amdhsa_uses_dynamic_stack 0
		.amdhsa_enable_private_segment 0
		.amdhsa_system_sgpr_workgroup_id_x 1
		.amdhsa_system_sgpr_workgroup_id_y 0
		.amdhsa_system_sgpr_workgroup_id_z 0
		.amdhsa_system_sgpr_workgroup_info 0
		.amdhsa_system_vgpr_workitem_id 0
		.amdhsa_next_free_vgpr 1
		.amdhsa_next_free_sgpr 1
		.amdhsa_reserve_vcc 0
		.amdhsa_float_round_mode_32 0
		.amdhsa_float_round_mode_16_64 0
		.amdhsa_float_denorm_mode_32 3
		.amdhsa_float_denorm_mode_16_64 3
		.amdhsa_dx10_clamp 1
		.amdhsa_ieee_mode 1
		.amdhsa_fp16_overflow 0
		.amdhsa_workgroup_processor_mode 1
		.amdhsa_memory_ordered 1
		.amdhsa_forward_progress 0
		.amdhsa_shared_vgpr_count 0
		.amdhsa_exception_fp_ieee_invalid_op 0
		.amdhsa_exception_fp_denorm_src 0
		.amdhsa_exception_fp_ieee_div_zero 0
		.amdhsa_exception_fp_ieee_overflow 0
		.amdhsa_exception_fp_ieee_underflow 0
		.amdhsa_exception_fp_ieee_inexact 0
		.amdhsa_exception_int_div_zero 0
	.end_amdhsa_kernel
	.section	.text._ZN7rocprim17ROCPRIM_400000_NS6detail17trampoline_kernelINS0_14default_configENS1_29reduce_by_key_config_selectorIiiN6thrust23THRUST_200600_302600_NS4plusIiEEEEZZNS1_33reduce_by_key_impl_wrapped_configILNS1_25lookback_scan_determinismE0ES3_S9_NS6_6detail15normal_iteratorINS6_10device_ptrIiEEEESG_SG_SG_PmS8_22is_equal_div_10_reduceIiEEE10hipError_tPvRmT2_T3_mT4_T5_T6_T7_T8_P12ihipStream_tbENKUlT_T0_E_clISt17integral_constantIbLb0EES10_IbLb1EEEEDaSW_SX_EUlSW_E_NS1_11comp_targetILNS1_3genE10ELNS1_11target_archE1201ELNS1_3gpuE5ELNS1_3repE0EEENS1_30default_config_static_selectorELNS0_4arch9wavefront6targetE0EEEvT1_,"axG",@progbits,_ZN7rocprim17ROCPRIM_400000_NS6detail17trampoline_kernelINS0_14default_configENS1_29reduce_by_key_config_selectorIiiN6thrust23THRUST_200600_302600_NS4plusIiEEEEZZNS1_33reduce_by_key_impl_wrapped_configILNS1_25lookback_scan_determinismE0ES3_S9_NS6_6detail15normal_iteratorINS6_10device_ptrIiEEEESG_SG_SG_PmS8_22is_equal_div_10_reduceIiEEE10hipError_tPvRmT2_T3_mT4_T5_T6_T7_T8_P12ihipStream_tbENKUlT_T0_E_clISt17integral_constantIbLb0EES10_IbLb1EEEEDaSW_SX_EUlSW_E_NS1_11comp_targetILNS1_3genE10ELNS1_11target_archE1201ELNS1_3gpuE5ELNS1_3repE0EEENS1_30default_config_static_selectorELNS0_4arch9wavefront6targetE0EEEvT1_,comdat
.Lfunc_end616:
	.size	_ZN7rocprim17ROCPRIM_400000_NS6detail17trampoline_kernelINS0_14default_configENS1_29reduce_by_key_config_selectorIiiN6thrust23THRUST_200600_302600_NS4plusIiEEEEZZNS1_33reduce_by_key_impl_wrapped_configILNS1_25lookback_scan_determinismE0ES3_S9_NS6_6detail15normal_iteratorINS6_10device_ptrIiEEEESG_SG_SG_PmS8_22is_equal_div_10_reduceIiEEE10hipError_tPvRmT2_T3_mT4_T5_T6_T7_T8_P12ihipStream_tbENKUlT_T0_E_clISt17integral_constantIbLb0EES10_IbLb1EEEEDaSW_SX_EUlSW_E_NS1_11comp_targetILNS1_3genE10ELNS1_11target_archE1201ELNS1_3gpuE5ELNS1_3repE0EEENS1_30default_config_static_selectorELNS0_4arch9wavefront6targetE0EEEvT1_, .Lfunc_end616-_ZN7rocprim17ROCPRIM_400000_NS6detail17trampoline_kernelINS0_14default_configENS1_29reduce_by_key_config_selectorIiiN6thrust23THRUST_200600_302600_NS4plusIiEEEEZZNS1_33reduce_by_key_impl_wrapped_configILNS1_25lookback_scan_determinismE0ES3_S9_NS6_6detail15normal_iteratorINS6_10device_ptrIiEEEESG_SG_SG_PmS8_22is_equal_div_10_reduceIiEEE10hipError_tPvRmT2_T3_mT4_T5_T6_T7_T8_P12ihipStream_tbENKUlT_T0_E_clISt17integral_constantIbLb0EES10_IbLb1EEEEDaSW_SX_EUlSW_E_NS1_11comp_targetILNS1_3genE10ELNS1_11target_archE1201ELNS1_3gpuE5ELNS1_3repE0EEENS1_30default_config_static_selectorELNS0_4arch9wavefront6targetE0EEEvT1_
                                        ; -- End function
	.section	.AMDGPU.csdata,"",@progbits
; Kernel info:
; codeLenInByte = 0
; NumSgprs: 0
; NumVgprs: 0
; ScratchSize: 0
; MemoryBound: 0
; FloatMode: 240
; IeeeMode: 1
; LDSByteSize: 0 bytes/workgroup (compile time only)
; SGPRBlocks: 0
; VGPRBlocks: 0
; NumSGPRsForWavesPerEU: 1
; NumVGPRsForWavesPerEU: 1
; Occupancy: 16
; WaveLimiterHint : 0
; COMPUTE_PGM_RSRC2:SCRATCH_EN: 0
; COMPUTE_PGM_RSRC2:USER_SGPR: 15
; COMPUTE_PGM_RSRC2:TRAP_HANDLER: 0
; COMPUTE_PGM_RSRC2:TGID_X_EN: 1
; COMPUTE_PGM_RSRC2:TGID_Y_EN: 0
; COMPUTE_PGM_RSRC2:TGID_Z_EN: 0
; COMPUTE_PGM_RSRC2:TIDIG_COMP_CNT: 0
	.section	.text._ZN7rocprim17ROCPRIM_400000_NS6detail17trampoline_kernelINS0_14default_configENS1_29reduce_by_key_config_selectorIiiN6thrust23THRUST_200600_302600_NS4plusIiEEEEZZNS1_33reduce_by_key_impl_wrapped_configILNS1_25lookback_scan_determinismE0ES3_S9_NS6_6detail15normal_iteratorINS6_10device_ptrIiEEEESG_SG_SG_PmS8_22is_equal_div_10_reduceIiEEE10hipError_tPvRmT2_T3_mT4_T5_T6_T7_T8_P12ihipStream_tbENKUlT_T0_E_clISt17integral_constantIbLb0EES10_IbLb1EEEEDaSW_SX_EUlSW_E_NS1_11comp_targetILNS1_3genE10ELNS1_11target_archE1200ELNS1_3gpuE4ELNS1_3repE0EEENS1_30default_config_static_selectorELNS0_4arch9wavefront6targetE0EEEvT1_,"axG",@progbits,_ZN7rocprim17ROCPRIM_400000_NS6detail17trampoline_kernelINS0_14default_configENS1_29reduce_by_key_config_selectorIiiN6thrust23THRUST_200600_302600_NS4plusIiEEEEZZNS1_33reduce_by_key_impl_wrapped_configILNS1_25lookback_scan_determinismE0ES3_S9_NS6_6detail15normal_iteratorINS6_10device_ptrIiEEEESG_SG_SG_PmS8_22is_equal_div_10_reduceIiEEE10hipError_tPvRmT2_T3_mT4_T5_T6_T7_T8_P12ihipStream_tbENKUlT_T0_E_clISt17integral_constantIbLb0EES10_IbLb1EEEEDaSW_SX_EUlSW_E_NS1_11comp_targetILNS1_3genE10ELNS1_11target_archE1200ELNS1_3gpuE4ELNS1_3repE0EEENS1_30default_config_static_selectorELNS0_4arch9wavefront6targetE0EEEvT1_,comdat
	.protected	_ZN7rocprim17ROCPRIM_400000_NS6detail17trampoline_kernelINS0_14default_configENS1_29reduce_by_key_config_selectorIiiN6thrust23THRUST_200600_302600_NS4plusIiEEEEZZNS1_33reduce_by_key_impl_wrapped_configILNS1_25lookback_scan_determinismE0ES3_S9_NS6_6detail15normal_iteratorINS6_10device_ptrIiEEEESG_SG_SG_PmS8_22is_equal_div_10_reduceIiEEE10hipError_tPvRmT2_T3_mT4_T5_T6_T7_T8_P12ihipStream_tbENKUlT_T0_E_clISt17integral_constantIbLb0EES10_IbLb1EEEEDaSW_SX_EUlSW_E_NS1_11comp_targetILNS1_3genE10ELNS1_11target_archE1200ELNS1_3gpuE4ELNS1_3repE0EEENS1_30default_config_static_selectorELNS0_4arch9wavefront6targetE0EEEvT1_ ; -- Begin function _ZN7rocprim17ROCPRIM_400000_NS6detail17trampoline_kernelINS0_14default_configENS1_29reduce_by_key_config_selectorIiiN6thrust23THRUST_200600_302600_NS4plusIiEEEEZZNS1_33reduce_by_key_impl_wrapped_configILNS1_25lookback_scan_determinismE0ES3_S9_NS6_6detail15normal_iteratorINS6_10device_ptrIiEEEESG_SG_SG_PmS8_22is_equal_div_10_reduceIiEEE10hipError_tPvRmT2_T3_mT4_T5_T6_T7_T8_P12ihipStream_tbENKUlT_T0_E_clISt17integral_constantIbLb0EES10_IbLb1EEEEDaSW_SX_EUlSW_E_NS1_11comp_targetILNS1_3genE10ELNS1_11target_archE1200ELNS1_3gpuE4ELNS1_3repE0EEENS1_30default_config_static_selectorELNS0_4arch9wavefront6targetE0EEEvT1_
	.globl	_ZN7rocprim17ROCPRIM_400000_NS6detail17trampoline_kernelINS0_14default_configENS1_29reduce_by_key_config_selectorIiiN6thrust23THRUST_200600_302600_NS4plusIiEEEEZZNS1_33reduce_by_key_impl_wrapped_configILNS1_25lookback_scan_determinismE0ES3_S9_NS6_6detail15normal_iteratorINS6_10device_ptrIiEEEESG_SG_SG_PmS8_22is_equal_div_10_reduceIiEEE10hipError_tPvRmT2_T3_mT4_T5_T6_T7_T8_P12ihipStream_tbENKUlT_T0_E_clISt17integral_constantIbLb0EES10_IbLb1EEEEDaSW_SX_EUlSW_E_NS1_11comp_targetILNS1_3genE10ELNS1_11target_archE1200ELNS1_3gpuE4ELNS1_3repE0EEENS1_30default_config_static_selectorELNS0_4arch9wavefront6targetE0EEEvT1_
	.p2align	8
	.type	_ZN7rocprim17ROCPRIM_400000_NS6detail17trampoline_kernelINS0_14default_configENS1_29reduce_by_key_config_selectorIiiN6thrust23THRUST_200600_302600_NS4plusIiEEEEZZNS1_33reduce_by_key_impl_wrapped_configILNS1_25lookback_scan_determinismE0ES3_S9_NS6_6detail15normal_iteratorINS6_10device_ptrIiEEEESG_SG_SG_PmS8_22is_equal_div_10_reduceIiEEE10hipError_tPvRmT2_T3_mT4_T5_T6_T7_T8_P12ihipStream_tbENKUlT_T0_E_clISt17integral_constantIbLb0EES10_IbLb1EEEEDaSW_SX_EUlSW_E_NS1_11comp_targetILNS1_3genE10ELNS1_11target_archE1200ELNS1_3gpuE4ELNS1_3repE0EEENS1_30default_config_static_selectorELNS0_4arch9wavefront6targetE0EEEvT1_,@function
_ZN7rocprim17ROCPRIM_400000_NS6detail17trampoline_kernelINS0_14default_configENS1_29reduce_by_key_config_selectorIiiN6thrust23THRUST_200600_302600_NS4plusIiEEEEZZNS1_33reduce_by_key_impl_wrapped_configILNS1_25lookback_scan_determinismE0ES3_S9_NS6_6detail15normal_iteratorINS6_10device_ptrIiEEEESG_SG_SG_PmS8_22is_equal_div_10_reduceIiEEE10hipError_tPvRmT2_T3_mT4_T5_T6_T7_T8_P12ihipStream_tbENKUlT_T0_E_clISt17integral_constantIbLb0EES10_IbLb1EEEEDaSW_SX_EUlSW_E_NS1_11comp_targetILNS1_3genE10ELNS1_11target_archE1200ELNS1_3gpuE4ELNS1_3repE0EEENS1_30default_config_static_selectorELNS0_4arch9wavefront6targetE0EEEvT1_: ; @_ZN7rocprim17ROCPRIM_400000_NS6detail17trampoline_kernelINS0_14default_configENS1_29reduce_by_key_config_selectorIiiN6thrust23THRUST_200600_302600_NS4plusIiEEEEZZNS1_33reduce_by_key_impl_wrapped_configILNS1_25lookback_scan_determinismE0ES3_S9_NS6_6detail15normal_iteratorINS6_10device_ptrIiEEEESG_SG_SG_PmS8_22is_equal_div_10_reduceIiEEE10hipError_tPvRmT2_T3_mT4_T5_T6_T7_T8_P12ihipStream_tbENKUlT_T0_E_clISt17integral_constantIbLb0EES10_IbLb1EEEEDaSW_SX_EUlSW_E_NS1_11comp_targetILNS1_3genE10ELNS1_11target_archE1200ELNS1_3gpuE4ELNS1_3repE0EEENS1_30default_config_static_selectorELNS0_4arch9wavefront6targetE0EEEvT1_
; %bb.0:
	.section	.rodata,"a",@progbits
	.p2align	6, 0x0
	.amdhsa_kernel _ZN7rocprim17ROCPRIM_400000_NS6detail17trampoline_kernelINS0_14default_configENS1_29reduce_by_key_config_selectorIiiN6thrust23THRUST_200600_302600_NS4plusIiEEEEZZNS1_33reduce_by_key_impl_wrapped_configILNS1_25lookback_scan_determinismE0ES3_S9_NS6_6detail15normal_iteratorINS6_10device_ptrIiEEEESG_SG_SG_PmS8_22is_equal_div_10_reduceIiEEE10hipError_tPvRmT2_T3_mT4_T5_T6_T7_T8_P12ihipStream_tbENKUlT_T0_E_clISt17integral_constantIbLb0EES10_IbLb1EEEEDaSW_SX_EUlSW_E_NS1_11comp_targetILNS1_3genE10ELNS1_11target_archE1200ELNS1_3gpuE4ELNS1_3repE0EEENS1_30default_config_static_selectorELNS0_4arch9wavefront6targetE0EEEvT1_
		.amdhsa_group_segment_fixed_size 0
		.amdhsa_private_segment_fixed_size 0
		.amdhsa_kernarg_size 120
		.amdhsa_user_sgpr_count 15
		.amdhsa_user_sgpr_dispatch_ptr 0
		.amdhsa_user_sgpr_queue_ptr 0
		.amdhsa_user_sgpr_kernarg_segment_ptr 1
		.amdhsa_user_sgpr_dispatch_id 0
		.amdhsa_user_sgpr_private_segment_size 0
		.amdhsa_wavefront_size32 1
		.amdhsa_uses_dynamic_stack 0
		.amdhsa_enable_private_segment 0
		.amdhsa_system_sgpr_workgroup_id_x 1
		.amdhsa_system_sgpr_workgroup_id_y 0
		.amdhsa_system_sgpr_workgroup_id_z 0
		.amdhsa_system_sgpr_workgroup_info 0
		.amdhsa_system_vgpr_workitem_id 0
		.amdhsa_next_free_vgpr 1
		.amdhsa_next_free_sgpr 1
		.amdhsa_reserve_vcc 0
		.amdhsa_float_round_mode_32 0
		.amdhsa_float_round_mode_16_64 0
		.amdhsa_float_denorm_mode_32 3
		.amdhsa_float_denorm_mode_16_64 3
		.amdhsa_dx10_clamp 1
		.amdhsa_ieee_mode 1
		.amdhsa_fp16_overflow 0
		.amdhsa_workgroup_processor_mode 1
		.amdhsa_memory_ordered 1
		.amdhsa_forward_progress 0
		.amdhsa_shared_vgpr_count 0
		.amdhsa_exception_fp_ieee_invalid_op 0
		.amdhsa_exception_fp_denorm_src 0
		.amdhsa_exception_fp_ieee_div_zero 0
		.amdhsa_exception_fp_ieee_overflow 0
		.amdhsa_exception_fp_ieee_underflow 0
		.amdhsa_exception_fp_ieee_inexact 0
		.amdhsa_exception_int_div_zero 0
	.end_amdhsa_kernel
	.section	.text._ZN7rocprim17ROCPRIM_400000_NS6detail17trampoline_kernelINS0_14default_configENS1_29reduce_by_key_config_selectorIiiN6thrust23THRUST_200600_302600_NS4plusIiEEEEZZNS1_33reduce_by_key_impl_wrapped_configILNS1_25lookback_scan_determinismE0ES3_S9_NS6_6detail15normal_iteratorINS6_10device_ptrIiEEEESG_SG_SG_PmS8_22is_equal_div_10_reduceIiEEE10hipError_tPvRmT2_T3_mT4_T5_T6_T7_T8_P12ihipStream_tbENKUlT_T0_E_clISt17integral_constantIbLb0EES10_IbLb1EEEEDaSW_SX_EUlSW_E_NS1_11comp_targetILNS1_3genE10ELNS1_11target_archE1200ELNS1_3gpuE4ELNS1_3repE0EEENS1_30default_config_static_selectorELNS0_4arch9wavefront6targetE0EEEvT1_,"axG",@progbits,_ZN7rocprim17ROCPRIM_400000_NS6detail17trampoline_kernelINS0_14default_configENS1_29reduce_by_key_config_selectorIiiN6thrust23THRUST_200600_302600_NS4plusIiEEEEZZNS1_33reduce_by_key_impl_wrapped_configILNS1_25lookback_scan_determinismE0ES3_S9_NS6_6detail15normal_iteratorINS6_10device_ptrIiEEEESG_SG_SG_PmS8_22is_equal_div_10_reduceIiEEE10hipError_tPvRmT2_T3_mT4_T5_T6_T7_T8_P12ihipStream_tbENKUlT_T0_E_clISt17integral_constantIbLb0EES10_IbLb1EEEEDaSW_SX_EUlSW_E_NS1_11comp_targetILNS1_3genE10ELNS1_11target_archE1200ELNS1_3gpuE4ELNS1_3repE0EEENS1_30default_config_static_selectorELNS0_4arch9wavefront6targetE0EEEvT1_,comdat
.Lfunc_end617:
	.size	_ZN7rocprim17ROCPRIM_400000_NS6detail17trampoline_kernelINS0_14default_configENS1_29reduce_by_key_config_selectorIiiN6thrust23THRUST_200600_302600_NS4plusIiEEEEZZNS1_33reduce_by_key_impl_wrapped_configILNS1_25lookback_scan_determinismE0ES3_S9_NS6_6detail15normal_iteratorINS6_10device_ptrIiEEEESG_SG_SG_PmS8_22is_equal_div_10_reduceIiEEE10hipError_tPvRmT2_T3_mT4_T5_T6_T7_T8_P12ihipStream_tbENKUlT_T0_E_clISt17integral_constantIbLb0EES10_IbLb1EEEEDaSW_SX_EUlSW_E_NS1_11comp_targetILNS1_3genE10ELNS1_11target_archE1200ELNS1_3gpuE4ELNS1_3repE0EEENS1_30default_config_static_selectorELNS0_4arch9wavefront6targetE0EEEvT1_, .Lfunc_end617-_ZN7rocprim17ROCPRIM_400000_NS6detail17trampoline_kernelINS0_14default_configENS1_29reduce_by_key_config_selectorIiiN6thrust23THRUST_200600_302600_NS4plusIiEEEEZZNS1_33reduce_by_key_impl_wrapped_configILNS1_25lookback_scan_determinismE0ES3_S9_NS6_6detail15normal_iteratorINS6_10device_ptrIiEEEESG_SG_SG_PmS8_22is_equal_div_10_reduceIiEEE10hipError_tPvRmT2_T3_mT4_T5_T6_T7_T8_P12ihipStream_tbENKUlT_T0_E_clISt17integral_constantIbLb0EES10_IbLb1EEEEDaSW_SX_EUlSW_E_NS1_11comp_targetILNS1_3genE10ELNS1_11target_archE1200ELNS1_3gpuE4ELNS1_3repE0EEENS1_30default_config_static_selectorELNS0_4arch9wavefront6targetE0EEEvT1_
                                        ; -- End function
	.section	.AMDGPU.csdata,"",@progbits
; Kernel info:
; codeLenInByte = 0
; NumSgprs: 0
; NumVgprs: 0
; ScratchSize: 0
; MemoryBound: 0
; FloatMode: 240
; IeeeMode: 1
; LDSByteSize: 0 bytes/workgroup (compile time only)
; SGPRBlocks: 0
; VGPRBlocks: 0
; NumSGPRsForWavesPerEU: 1
; NumVGPRsForWavesPerEU: 1
; Occupancy: 16
; WaveLimiterHint : 0
; COMPUTE_PGM_RSRC2:SCRATCH_EN: 0
; COMPUTE_PGM_RSRC2:USER_SGPR: 15
; COMPUTE_PGM_RSRC2:TRAP_HANDLER: 0
; COMPUTE_PGM_RSRC2:TGID_X_EN: 1
; COMPUTE_PGM_RSRC2:TGID_Y_EN: 0
; COMPUTE_PGM_RSRC2:TGID_Z_EN: 0
; COMPUTE_PGM_RSRC2:TIDIG_COMP_CNT: 0
	.section	.text._ZN7rocprim17ROCPRIM_400000_NS6detail17trampoline_kernelINS0_14default_configENS1_29reduce_by_key_config_selectorIiiN6thrust23THRUST_200600_302600_NS4plusIiEEEEZZNS1_33reduce_by_key_impl_wrapped_configILNS1_25lookback_scan_determinismE0ES3_S9_NS6_6detail15normal_iteratorINS6_10device_ptrIiEEEESG_SG_SG_PmS8_22is_equal_div_10_reduceIiEEE10hipError_tPvRmT2_T3_mT4_T5_T6_T7_T8_P12ihipStream_tbENKUlT_T0_E_clISt17integral_constantIbLb0EES10_IbLb1EEEEDaSW_SX_EUlSW_E_NS1_11comp_targetILNS1_3genE9ELNS1_11target_archE1100ELNS1_3gpuE3ELNS1_3repE0EEENS1_30default_config_static_selectorELNS0_4arch9wavefront6targetE0EEEvT1_,"axG",@progbits,_ZN7rocprim17ROCPRIM_400000_NS6detail17trampoline_kernelINS0_14default_configENS1_29reduce_by_key_config_selectorIiiN6thrust23THRUST_200600_302600_NS4plusIiEEEEZZNS1_33reduce_by_key_impl_wrapped_configILNS1_25lookback_scan_determinismE0ES3_S9_NS6_6detail15normal_iteratorINS6_10device_ptrIiEEEESG_SG_SG_PmS8_22is_equal_div_10_reduceIiEEE10hipError_tPvRmT2_T3_mT4_T5_T6_T7_T8_P12ihipStream_tbENKUlT_T0_E_clISt17integral_constantIbLb0EES10_IbLb1EEEEDaSW_SX_EUlSW_E_NS1_11comp_targetILNS1_3genE9ELNS1_11target_archE1100ELNS1_3gpuE3ELNS1_3repE0EEENS1_30default_config_static_selectorELNS0_4arch9wavefront6targetE0EEEvT1_,comdat
	.protected	_ZN7rocprim17ROCPRIM_400000_NS6detail17trampoline_kernelINS0_14default_configENS1_29reduce_by_key_config_selectorIiiN6thrust23THRUST_200600_302600_NS4plusIiEEEEZZNS1_33reduce_by_key_impl_wrapped_configILNS1_25lookback_scan_determinismE0ES3_S9_NS6_6detail15normal_iteratorINS6_10device_ptrIiEEEESG_SG_SG_PmS8_22is_equal_div_10_reduceIiEEE10hipError_tPvRmT2_T3_mT4_T5_T6_T7_T8_P12ihipStream_tbENKUlT_T0_E_clISt17integral_constantIbLb0EES10_IbLb1EEEEDaSW_SX_EUlSW_E_NS1_11comp_targetILNS1_3genE9ELNS1_11target_archE1100ELNS1_3gpuE3ELNS1_3repE0EEENS1_30default_config_static_selectorELNS0_4arch9wavefront6targetE0EEEvT1_ ; -- Begin function _ZN7rocprim17ROCPRIM_400000_NS6detail17trampoline_kernelINS0_14default_configENS1_29reduce_by_key_config_selectorIiiN6thrust23THRUST_200600_302600_NS4plusIiEEEEZZNS1_33reduce_by_key_impl_wrapped_configILNS1_25lookback_scan_determinismE0ES3_S9_NS6_6detail15normal_iteratorINS6_10device_ptrIiEEEESG_SG_SG_PmS8_22is_equal_div_10_reduceIiEEE10hipError_tPvRmT2_T3_mT4_T5_T6_T7_T8_P12ihipStream_tbENKUlT_T0_E_clISt17integral_constantIbLb0EES10_IbLb1EEEEDaSW_SX_EUlSW_E_NS1_11comp_targetILNS1_3genE9ELNS1_11target_archE1100ELNS1_3gpuE3ELNS1_3repE0EEENS1_30default_config_static_selectorELNS0_4arch9wavefront6targetE0EEEvT1_
	.globl	_ZN7rocprim17ROCPRIM_400000_NS6detail17trampoline_kernelINS0_14default_configENS1_29reduce_by_key_config_selectorIiiN6thrust23THRUST_200600_302600_NS4plusIiEEEEZZNS1_33reduce_by_key_impl_wrapped_configILNS1_25lookback_scan_determinismE0ES3_S9_NS6_6detail15normal_iteratorINS6_10device_ptrIiEEEESG_SG_SG_PmS8_22is_equal_div_10_reduceIiEEE10hipError_tPvRmT2_T3_mT4_T5_T6_T7_T8_P12ihipStream_tbENKUlT_T0_E_clISt17integral_constantIbLb0EES10_IbLb1EEEEDaSW_SX_EUlSW_E_NS1_11comp_targetILNS1_3genE9ELNS1_11target_archE1100ELNS1_3gpuE3ELNS1_3repE0EEENS1_30default_config_static_selectorELNS0_4arch9wavefront6targetE0EEEvT1_
	.p2align	8
	.type	_ZN7rocprim17ROCPRIM_400000_NS6detail17trampoline_kernelINS0_14default_configENS1_29reduce_by_key_config_selectorIiiN6thrust23THRUST_200600_302600_NS4plusIiEEEEZZNS1_33reduce_by_key_impl_wrapped_configILNS1_25lookback_scan_determinismE0ES3_S9_NS6_6detail15normal_iteratorINS6_10device_ptrIiEEEESG_SG_SG_PmS8_22is_equal_div_10_reduceIiEEE10hipError_tPvRmT2_T3_mT4_T5_T6_T7_T8_P12ihipStream_tbENKUlT_T0_E_clISt17integral_constantIbLb0EES10_IbLb1EEEEDaSW_SX_EUlSW_E_NS1_11comp_targetILNS1_3genE9ELNS1_11target_archE1100ELNS1_3gpuE3ELNS1_3repE0EEENS1_30default_config_static_selectorELNS0_4arch9wavefront6targetE0EEEvT1_,@function
_ZN7rocprim17ROCPRIM_400000_NS6detail17trampoline_kernelINS0_14default_configENS1_29reduce_by_key_config_selectorIiiN6thrust23THRUST_200600_302600_NS4plusIiEEEEZZNS1_33reduce_by_key_impl_wrapped_configILNS1_25lookback_scan_determinismE0ES3_S9_NS6_6detail15normal_iteratorINS6_10device_ptrIiEEEESG_SG_SG_PmS8_22is_equal_div_10_reduceIiEEE10hipError_tPvRmT2_T3_mT4_T5_T6_T7_T8_P12ihipStream_tbENKUlT_T0_E_clISt17integral_constantIbLb0EES10_IbLb1EEEEDaSW_SX_EUlSW_E_NS1_11comp_targetILNS1_3genE9ELNS1_11target_archE1100ELNS1_3gpuE3ELNS1_3repE0EEENS1_30default_config_static_selectorELNS0_4arch9wavefront6targetE0EEEvT1_: ; @_ZN7rocprim17ROCPRIM_400000_NS6detail17trampoline_kernelINS0_14default_configENS1_29reduce_by_key_config_selectorIiiN6thrust23THRUST_200600_302600_NS4plusIiEEEEZZNS1_33reduce_by_key_impl_wrapped_configILNS1_25lookback_scan_determinismE0ES3_S9_NS6_6detail15normal_iteratorINS6_10device_ptrIiEEEESG_SG_SG_PmS8_22is_equal_div_10_reduceIiEEE10hipError_tPvRmT2_T3_mT4_T5_T6_T7_T8_P12ihipStream_tbENKUlT_T0_E_clISt17integral_constantIbLb0EES10_IbLb1EEEEDaSW_SX_EUlSW_E_NS1_11comp_targetILNS1_3genE9ELNS1_11target_archE1100ELNS1_3gpuE3ELNS1_3repE0EEENS1_30default_config_static_selectorELNS0_4arch9wavefront6targetE0EEEvT1_
; %bb.0:
	s_clause 0x4
	s_load_b256 s[12:19], s[0:1], 0x0
	s_load_b128 s[28:31], s[0:1], 0x20
	s_load_b256 s[20:27], s[0:1], 0x38
	s_load_b64 s[34:35], s[0:1], 0x68
	s_load_b128 s[36:39], s[0:1], 0x58
	v_cmp_ne_u32_e64 s3, 0, v0
	v_cmp_eq_u32_e64 s2, 0, v0
	s_delay_alu instid0(VALU_DEP_1)
	s_and_saveexec_b32 s4, s2
	s_cbranch_execz .LBB618_4
; %bb.1:
	s_mov_b32 s6, exec_lo
	s_mov_b32 s5, exec_lo
	v_mbcnt_lo_u32_b32 v1, s6, 0
                                        ; implicit-def: $vgpr2
	s_delay_alu instid0(VALU_DEP_1)
	v_cmpx_eq_u32_e32 0, v1
	s_cbranch_execz .LBB618_3
; %bb.2:
	s_load_b64 s[0:1], s[0:1], 0x70
	s_bcnt1_i32_b32 s6, s6
	s_delay_alu instid0(SALU_CYCLE_1)
	v_dual_mov_b32 v2, 0 :: v_dual_mov_b32 v3, s6
	s_waitcnt lgkmcnt(0)
	global_atomic_add_u32 v2, v2, v3, s[0:1] glc
.LBB618_3:
	s_or_b32 exec_lo, exec_lo, s5
	s_waitcnt vmcnt(0)
	v_readfirstlane_b32 s0, v2
	s_delay_alu instid0(VALU_DEP_1)
	v_dual_mov_b32 v2, 0 :: v_dual_add_nc_u32 v1, s0, v1
	ds_store_b32 v2, v1
.LBB618_4:
	s_or_b32 exec_lo, exec_lo, s4
	v_mov_b32_e32 v2, 0
	s_waitcnt lgkmcnt(0)
	s_barrier
	buffer_gl0_inv
	s_lshl_b64 s[4:5], s[14:15], 2
	ds_load_b32 v1, v2
	s_add_u32 s9, s12, s4
	s_mul_i32 s1, s24, s23
	s_mul_hi_u32 s6, s24, s22
	s_addc_u32 s10, s13, s5
	s_add_u32 s11, s16, s4
	s_mul_i32 s7, s25, s22
	s_addc_u32 s12, s17, s5
	s_add_i32 s1, s6, s1
	s_mul_i32 s8, s24, s22
	s_add_i32 s1, s1, s7
	s_mov_b32 s0, 0
	s_waitcnt lgkmcnt(0)
	s_barrier
	buffer_gl0_inv
	v_readfirstlane_b32 s33, v1
	v_mul_lo_u32 v1, 0xf00, v1
	s_delay_alu instid0(VALU_DEP_2) | instskip(SKIP_3) | instid1(VALU_DEP_1)
	s_add_u32 s24, s8, s33
	s_addc_u32 s25, s1, 0
	s_add_u32 s4, s26, -1
	s_addc_u32 s5, s27, -1
	v_lshlrev_b64 v[2:3], 2, v[1:2]
	s_cmp_eq_u64 s[24:25], s[4:5]
	s_mul_i32 s26, s4, 0xfffff100
	s_cselect_b32 s17, -1, 0
	s_cmp_lg_u64 s[24:25], s[4:5]
	s_delay_alu instid0(VALU_DEP_1)
	v_add_co_u32 v1, vcc_lo, s9, v2
	v_add_co_ci_u32_e32 v4, vcc_lo, s10, v3, vcc_lo
	v_add_co_u32 v2, vcc_lo, s11, v2
	v_add_co_ci_u32_e32 v3, vcc_lo, s12, v3, vcc_lo
	s_cselect_b32 s40, -1, 0
	s_and_b32 vcc_lo, exec_lo, s17
	s_cbranch_vccnz .LBB618_6
; %bb.5:
	v_lshlrev_b32_e32 v29, 2, v0
	s_delay_alu instid0(VALU_DEP_1) | instskip(SKIP_1) | instid1(VALU_DEP_2)
	v_add_co_u32 v5, vcc_lo, v1, v29
	v_add_co_ci_u32_e32 v6, vcc_lo, 0, v4, vcc_lo
	v_add_co_u32 v7, vcc_lo, 0x1000, v5
	s_delay_alu instid0(VALU_DEP_2)
	v_add_co_ci_u32_e32 v8, vcc_lo, 0, v6, vcc_lo
	s_clause 0x7
	flat_load_b32 v9, v[5:6]
	flat_load_b32 v10, v[5:6] offset:1024
	flat_load_b32 v11, v[5:6] offset:2048
	;; [unrolled: 1-line block ×3, first 2 shown]
	flat_load_b32 v13, v[7:8]
	flat_load_b32 v14, v[7:8] offset:1024
	flat_load_b32 v15, v[7:8] offset:2048
	;; [unrolled: 1-line block ×3, first 2 shown]
	v_add_co_u32 v7, vcc_lo, 0x2000, v5
	v_add_co_ci_u32_e32 v8, vcc_lo, 0, v6, vcc_lo
	v_add_co_u32 v5, vcc_lo, 0x3000, v5
	v_add_co_ci_u32_e32 v6, vcc_lo, 0, v6, vcc_lo
	s_clause 0x6
	flat_load_b32 v17, v[7:8]
	flat_load_b32 v18, v[7:8] offset:1024
	flat_load_b32 v19, v[7:8] offset:2048
	;; [unrolled: 1-line block ×3, first 2 shown]
	flat_load_b32 v20, v[5:6]
	flat_load_b32 v21, v[5:6] offset:1024
	flat_load_b32 v22, v[5:6] offset:2048
	v_add_co_u32 v6, vcc_lo, v2, v29
	v_add_co_ci_u32_e32 v7, vcc_lo, 0, v3, vcc_lo
	v_mad_u32_u24 v5, v0, 56, v29
	s_delay_alu instid0(VALU_DEP_3) | instskip(NEXT) | instid1(VALU_DEP_3)
	v_add_co_u32 v23, vcc_lo, 0x1000, v6
	v_add_co_ci_u32_e32 v24, vcc_lo, 0, v7, vcc_lo
	v_add_co_u32 v25, vcc_lo, 0x2000, v6
	v_add_co_ci_u32_e32 v26, vcc_lo, 0, v7, vcc_lo
	;; [unrolled: 2-line block ×3, first 2 shown]
	s_waitcnt vmcnt(13) lgkmcnt(13)
	ds_store_2addr_stride64_b32 v29, v9, v10 offset1:4
	s_waitcnt vmcnt(11) lgkmcnt(12)
	ds_store_2addr_stride64_b32 v29, v11, v12 offset0:8 offset1:12
	s_waitcnt vmcnt(9) lgkmcnt(11)
	ds_store_2addr_stride64_b32 v29, v13, v14 offset0:16 offset1:20
	;; [unrolled: 2-line block ×6, first 2 shown]
	s_waitcnt vmcnt(0) lgkmcnt(7)
	ds_store_b32 v29, v22 offset:14336
	s_waitcnt lgkmcnt(0)
	s_barrier
	buffer_gl0_inv
	ds_load_2addr_b32 v[21:22], v5 offset1:1
	ds_load_2addr_b32 v[19:20], v5 offset0:2 offset1:3
	ds_load_2addr_b32 v[17:18], v5 offset0:4 offset1:5
	ds_load_2addr_b32 v[15:16], v5 offset0:6 offset1:7
	ds_load_2addr_b32 v[13:14], v5 offset0:8 offset1:9
	ds_load_2addr_b32 v[11:12], v5 offset0:10 offset1:11
	ds_load_2addr_b32 v[9:10], v5 offset0:12 offset1:13
	ds_load_b32 v77, v5 offset:56
	s_waitcnt lgkmcnt(0)
	s_barrier
	buffer_gl0_inv
	s_clause 0xe
	flat_load_b32 v8, v[6:7]
	flat_load_b32 v30, v[6:7] offset:1024
	flat_load_b32 v31, v[6:7] offset:2048
	flat_load_b32 v6, v[6:7] offset:3072
	flat_load_b32 v7, v[23:24]
	flat_load_b32 v32, v[23:24] offset:1024
	flat_load_b32 v33, v[23:24] offset:2048
	flat_load_b32 v23, v[23:24] offset:3072
	;; [unrolled: 4-line block ×3, first 2 shown]
	flat_load_b32 v26, v[27:28]
	flat_load_b32 v36, v[27:28] offset:1024
	flat_load_b32 v27, v[27:28] offset:2048
	s_waitcnt vmcnt(13) lgkmcnt(13)
	ds_store_2addr_stride64_b32 v29, v8, v30 offset1:4
	s_waitcnt vmcnt(11) lgkmcnt(12)
	ds_store_2addr_stride64_b32 v29, v31, v6 offset0:8 offset1:12
	s_waitcnt vmcnt(9) lgkmcnt(11)
	ds_store_2addr_stride64_b32 v29, v7, v32 offset0:16 offset1:20
	;; [unrolled: 2-line block ×6, first 2 shown]
	s_waitcnt vmcnt(0) lgkmcnt(7)
	ds_store_b32 v29, v27 offset:14336
	s_waitcnt lgkmcnt(0)
	s_barrier
	s_and_not1_b32 vcc_lo, exec_lo, s0
	s_add_i32 s26, s26, s36
	s_cbranch_vccz .LBB618_7
	s_branch .LBB618_54
.LBB618_6:
                                        ; implicit-def: $vgpr5
                                        ; implicit-def: $vgpr21
                                        ; implicit-def: $vgpr19
                                        ; implicit-def: $vgpr17
                                        ; implicit-def: $vgpr15
                                        ; implicit-def: $vgpr13
                                        ; implicit-def: $vgpr11
                                        ; implicit-def: $vgpr9
                                        ; implicit-def: $vgpr77
	s_add_i32 s26, s26, s36
.LBB618_7:
	s_delay_alu instid0(SALU_CYCLE_1)
	v_cmp_gt_u32_e32 vcc_lo, s26, v0
                                        ; implicit-def: $vgpr5
	s_and_saveexec_b32 s1, vcc_lo
	s_cbranch_execz .LBB618_9
; %bb.8:
	v_lshlrev_b32_e32 v5, 2, v0
	s_delay_alu instid0(VALU_DEP_1) | instskip(NEXT) | instid1(VALU_DEP_1)
	v_add_co_u32 v5, s0, v1, v5
	v_add_co_ci_u32_e64 v6, s0, 0, v4, s0
	flat_load_b32 v5, v[5:6]
.LBB618_9:
	s_or_b32 exec_lo, exec_lo, s1
	v_or_b32_e32 v6, 0x100, v0
                                        ; implicit-def: $vgpr9
	s_delay_alu instid0(VALU_DEP_1) | instskip(NEXT) | instid1(VALU_DEP_1)
	v_cmp_gt_u32_e64 s0, s26, v6
	s_and_saveexec_b32 s4, s0
	s_cbranch_execz .LBB618_11
; %bb.10:
	v_lshlrev_b32_e32 v6, 2, v0
	s_delay_alu instid0(VALU_DEP_1) | instskip(NEXT) | instid1(VALU_DEP_1)
	v_add_co_u32 v6, s1, v1, v6
	v_add_co_ci_u32_e64 v7, s1, 0, v4, s1
	flat_load_b32 v9, v[6:7] offset:1024
.LBB618_11:
	s_or_b32 exec_lo, exec_lo, s4
	v_or_b32_e32 v6, 0x200, v0
                                        ; implicit-def: $vgpr10
	s_delay_alu instid0(VALU_DEP_1) | instskip(NEXT) | instid1(VALU_DEP_1)
	v_cmp_gt_u32_e64 s1, s26, v6
	s_and_saveexec_b32 s5, s1
	s_cbranch_execz .LBB618_13
; %bb.12:
	v_lshlrev_b32_e32 v6, 2, v0
	s_delay_alu instid0(VALU_DEP_1) | instskip(NEXT) | instid1(VALU_DEP_1)
	v_add_co_u32 v6, s4, v1, v6
	v_add_co_ci_u32_e64 v7, s4, 0, v4, s4
	flat_load_b32 v10, v[6:7] offset:2048
.LBB618_13:
	s_or_b32 exec_lo, exec_lo, s5
	v_or_b32_e32 v6, 0x300, v0
                                        ; implicit-def: $vgpr11
	s_delay_alu instid0(VALU_DEP_1) | instskip(NEXT) | instid1(VALU_DEP_1)
	v_cmp_gt_u32_e64 s4, s26, v6
	s_and_saveexec_b32 s6, s4
	s_cbranch_execz .LBB618_15
; %bb.14:
	v_lshlrev_b32_e32 v6, 2, v0
	s_delay_alu instid0(VALU_DEP_1) | instskip(NEXT) | instid1(VALU_DEP_1)
	v_add_co_u32 v6, s5, v1, v6
	v_add_co_ci_u32_e64 v7, s5, 0, v4, s5
	flat_load_b32 v11, v[6:7] offset:3072
.LBB618_15:
	s_or_b32 exec_lo, exec_lo, s6
	v_or_b32_e32 v6, 0x400, v0
                                        ; implicit-def: $vgpr12
	s_delay_alu instid0(VALU_DEP_1) | instskip(SKIP_1) | instid1(VALU_DEP_2)
	v_cmp_gt_u32_e64 s5, s26, v6
	v_lshlrev_b32_e32 v6, 2, v6
	s_and_saveexec_b32 s7, s5
	s_cbranch_execz .LBB618_17
; %bb.16:
	s_delay_alu instid0(VALU_DEP_1) | instskip(NEXT) | instid1(VALU_DEP_1)
	v_add_co_u32 v7, s6, v1, v6
	v_add_co_ci_u32_e64 v8, s6, 0, v4, s6
	flat_load_b32 v12, v[7:8]
.LBB618_17:
	s_or_b32 exec_lo, exec_lo, s7
	v_or_b32_e32 v7, 0x500, v0
                                        ; implicit-def: $vgpr13
	s_delay_alu instid0(VALU_DEP_1) | instskip(SKIP_1) | instid1(VALU_DEP_2)
	v_cmp_gt_u32_e64 s6, s26, v7
	v_lshlrev_b32_e32 v7, 2, v7
	s_and_saveexec_b32 s8, s6
	s_cbranch_execz .LBB618_19
; %bb.18:
	s_delay_alu instid0(VALU_DEP_1) | instskip(NEXT) | instid1(VALU_DEP_1)
	v_add_co_u32 v13, s7, v1, v7
	v_add_co_ci_u32_e64 v14, s7, 0, v4, s7
	flat_load_b32 v13, v[13:14]
.LBB618_19:
	s_or_b32 exec_lo, exec_lo, s8
	v_or_b32_e32 v8, 0x600, v0
                                        ; implicit-def: $vgpr14
	s_delay_alu instid0(VALU_DEP_1) | instskip(SKIP_1) | instid1(VALU_DEP_2)
	v_cmp_gt_u32_e64 s7, s26, v8
	v_lshlrev_b32_e32 v8, 2, v8
	s_and_saveexec_b32 s9, s7
	s_cbranch_execz .LBB618_21
; %bb.20:
	s_delay_alu instid0(VALU_DEP_1) | instskip(NEXT) | instid1(VALU_DEP_1)
	v_add_co_u32 v14, s8, v1, v8
	v_add_co_ci_u32_e64 v15, s8, 0, v4, s8
	flat_load_b32 v14, v[14:15]
.LBB618_21:
	s_or_b32 exec_lo, exec_lo, s9
	v_or_b32_e32 v15, 0x700, v0
	s_delay_alu instid0(VALU_DEP_1) | instskip(SKIP_1) | instid1(VALU_DEP_2)
	v_cmp_gt_u32_e64 s8, s26, v15
	v_lshlrev_b32_e32 v23, 2, v15
                                        ; implicit-def: $vgpr15
	s_and_saveexec_b32 s10, s8
	s_cbranch_execz .LBB618_23
; %bb.22:
	s_delay_alu instid0(VALU_DEP_1) | instskip(NEXT) | instid1(VALU_DEP_1)
	v_add_co_u32 v15, s9, v1, v23
	v_add_co_ci_u32_e64 v16, s9, 0, v4, s9
	flat_load_b32 v15, v[15:16]
.LBB618_23:
	s_or_b32 exec_lo, exec_lo, s10
	v_or_b32_e32 v16, 0x800, v0
	s_delay_alu instid0(VALU_DEP_1) | instskip(SKIP_1) | instid1(VALU_DEP_2)
	v_cmp_gt_u32_e64 s9, s26, v16
	v_lshlrev_b32_e32 v24, 2, v16
                                        ; implicit-def: $vgpr16
	s_and_saveexec_b32 s11, s9
	s_cbranch_execz .LBB618_25
; %bb.24:
	s_delay_alu instid0(VALU_DEP_1) | instskip(NEXT) | instid1(VALU_DEP_1)
	v_add_co_u32 v16, s10, v1, v24
	v_add_co_ci_u32_e64 v17, s10, 0, v4, s10
	flat_load_b32 v16, v[16:17]
.LBB618_25:
	s_or_b32 exec_lo, exec_lo, s11
	v_or_b32_e32 v17, 0x900, v0
	s_delay_alu instid0(VALU_DEP_1) | instskip(SKIP_1) | instid1(VALU_DEP_2)
	v_cmp_gt_u32_e64 s10, s26, v17
	v_lshlrev_b32_e32 v25, 2, v17
                                        ; implicit-def: $vgpr17
	s_and_saveexec_b32 s12, s10
	s_cbranch_execz .LBB618_27
; %bb.26:
	s_delay_alu instid0(VALU_DEP_1) | instskip(NEXT) | instid1(VALU_DEP_1)
	v_add_co_u32 v17, s11, v1, v25
	v_add_co_ci_u32_e64 v18, s11, 0, v4, s11
	flat_load_b32 v17, v[17:18]
.LBB618_27:
	s_or_b32 exec_lo, exec_lo, s12
	v_or_b32_e32 v18, 0xa00, v0
	s_delay_alu instid0(VALU_DEP_1) | instskip(SKIP_1) | instid1(VALU_DEP_2)
	v_cmp_gt_u32_e64 s11, s26, v18
	v_lshlrev_b32_e32 v27, 2, v18
                                        ; implicit-def: $vgpr18
	s_and_saveexec_b32 s13, s11
	s_cbranch_execz .LBB618_29
; %bb.28:
	s_delay_alu instid0(VALU_DEP_1) | instskip(NEXT) | instid1(VALU_DEP_1)
	v_add_co_u32 v18, s12, v1, v27
	v_add_co_ci_u32_e64 v19, s12, 0, v4, s12
	flat_load_b32 v18, v[18:19]
.LBB618_29:
	s_or_b32 exec_lo, exec_lo, s13
	v_or_b32_e32 v19, 0xb00, v0
	s_delay_alu instid0(VALU_DEP_1) | instskip(SKIP_1) | instid1(VALU_DEP_2)
	v_cmp_gt_u32_e64 s12, s26, v19
	v_lshlrev_b32_e32 v28, 2, v19
                                        ; implicit-def: $vgpr19
	s_and_saveexec_b32 s14, s12
	s_cbranch_execz .LBB618_31
; %bb.30:
	s_delay_alu instid0(VALU_DEP_1) | instskip(NEXT) | instid1(VALU_DEP_1)
	v_add_co_u32 v19, s13, v1, v28
	v_add_co_ci_u32_e64 v20, s13, 0, v4, s13
	flat_load_b32 v19, v[19:20]
.LBB618_31:
	s_or_b32 exec_lo, exec_lo, s14
	v_or_b32_e32 v20, 0xc00, v0
	s_delay_alu instid0(VALU_DEP_1) | instskip(SKIP_1) | instid1(VALU_DEP_2)
	v_cmp_gt_u32_e64 s13, s26, v20
	v_lshlrev_b32_e32 v29, 2, v20
                                        ; implicit-def: $vgpr20
	s_and_saveexec_b32 s15, s13
	s_cbranch_execz .LBB618_33
; %bb.32:
	s_delay_alu instid0(VALU_DEP_1) | instskip(NEXT) | instid1(VALU_DEP_1)
	v_add_co_u32 v20, s14, v1, v29
	v_add_co_ci_u32_e64 v21, s14, 0, v4, s14
	flat_load_b32 v20, v[20:21]
.LBB618_33:
	s_or_b32 exec_lo, exec_lo, s15
	v_or_b32_e32 v21, 0xd00, v0
	s_delay_alu instid0(VALU_DEP_1) | instskip(SKIP_1) | instid1(VALU_DEP_2)
	v_cmp_gt_u32_e64 s14, s26, v21
	v_lshlrev_b32_e32 v30, 2, v21
                                        ; implicit-def: $vgpr21
	s_and_saveexec_b32 s16, s14
	s_cbranch_execz .LBB618_35
; %bb.34:
	s_delay_alu instid0(VALU_DEP_1) | instskip(NEXT) | instid1(VALU_DEP_1)
	v_add_co_u32 v21, s15, v1, v30
	v_add_co_ci_u32_e64 v22, s15, 0, v4, s15
	flat_load_b32 v21, v[21:22]
.LBB618_35:
	s_or_b32 exec_lo, exec_lo, s16
	v_or_b32_e32 v22, 0xe00, v0
	s_delay_alu instid0(VALU_DEP_1) | instskip(SKIP_1) | instid1(VALU_DEP_2)
	v_cmp_gt_u32_e64 s15, s26, v22
	v_lshlrev_b32_e32 v31, 2, v22
                                        ; implicit-def: $vgpr22
	s_and_saveexec_b32 s27, s15
	s_cbranch_execz .LBB618_37
; %bb.36:
	s_delay_alu instid0(VALU_DEP_1) | instskip(NEXT) | instid1(VALU_DEP_1)
	v_add_co_u32 v32, s16, v1, v31
	v_add_co_ci_u32_e64 v33, s16, 0, v4, s16
	flat_load_b32 v22, v[32:33]
.LBB618_37:
	s_or_b32 exec_lo, exec_lo, s27
	v_lshlrev_b32_e32 v26, 2, v0
                                        ; implicit-def: $vgpr32
	s_waitcnt vmcnt(0) lgkmcnt(0)
	ds_store_2addr_stride64_b32 v26, v5, v9 offset1:4
	ds_store_2addr_stride64_b32 v26, v10, v11 offset0:8 offset1:12
	ds_store_2addr_stride64_b32 v26, v12, v13 offset0:16 offset1:20
	;; [unrolled: 1-line block ×6, first 2 shown]
	v_mad_u32_u24 v5, v0, 56, v26
	ds_store_b32 v26, v22 offset:14336
	s_waitcnt lgkmcnt(0)
	s_barrier
	buffer_gl0_inv
	ds_load_2addr_b32 v[21:22], v5 offset1:1
	ds_load_2addr_b32 v[19:20], v5 offset0:2 offset1:3
	ds_load_2addr_b32 v[17:18], v5 offset0:4 offset1:5
	;; [unrolled: 1-line block ×6, first 2 shown]
	ds_load_b32 v77, v5 offset:56
	s_waitcnt lgkmcnt(0)
	s_barrier
	buffer_gl0_inv
	s_and_saveexec_b32 s16, vcc_lo
	s_cbranch_execnz .LBB618_61
; %bb.38:
	s_or_b32 exec_lo, exec_lo, s16
                                        ; implicit-def: $vgpr33
	s_and_saveexec_b32 s16, s0
	s_cbranch_execnz .LBB618_62
.LBB618_39:
	s_or_b32 exec_lo, exec_lo, s16
                                        ; implicit-def: $vgpr34
	s_and_saveexec_b32 s0, s1
	s_cbranch_execnz .LBB618_63
.LBB618_40:
	s_or_b32 exec_lo, exec_lo, s0
                                        ; implicit-def: $vgpr35
	s_and_saveexec_b32 s0, s4
	s_cbranch_execnz .LBB618_64
.LBB618_41:
	s_or_b32 exec_lo, exec_lo, s0
                                        ; implicit-def: $vgpr36
	s_and_saveexec_b32 s0, s5
	s_cbranch_execnz .LBB618_65
.LBB618_42:
	s_or_b32 exec_lo, exec_lo, s0
                                        ; implicit-def: $vgpr6
	s_and_saveexec_b32 s0, s6
	s_cbranch_execnz .LBB618_66
.LBB618_43:
	s_or_b32 exec_lo, exec_lo, s0
                                        ; implicit-def: $vgpr7
	s_and_saveexec_b32 s0, s7
	s_cbranch_execnz .LBB618_67
.LBB618_44:
	s_or_b32 exec_lo, exec_lo, s0
                                        ; implicit-def: $vgpr8
	s_and_saveexec_b32 s0, s8
	s_cbranch_execnz .LBB618_68
.LBB618_45:
	s_or_b32 exec_lo, exec_lo, s0
                                        ; implicit-def: $vgpr23
	s_and_saveexec_b32 s0, s9
	s_cbranch_execnz .LBB618_69
.LBB618_46:
	s_or_b32 exec_lo, exec_lo, s0
                                        ; implicit-def: $vgpr24
	s_and_saveexec_b32 s0, s10
	s_cbranch_execnz .LBB618_70
.LBB618_47:
	s_or_b32 exec_lo, exec_lo, s0
                                        ; implicit-def: $vgpr25
	s_and_saveexec_b32 s0, s11
	s_cbranch_execnz .LBB618_71
.LBB618_48:
	s_or_b32 exec_lo, exec_lo, s0
                                        ; implicit-def: $vgpr27
	s_and_saveexec_b32 s0, s12
	s_cbranch_execnz .LBB618_72
.LBB618_49:
	s_or_b32 exec_lo, exec_lo, s0
                                        ; implicit-def: $vgpr28
	s_and_saveexec_b32 s0, s13
	s_cbranch_execnz .LBB618_73
.LBB618_50:
	s_or_b32 exec_lo, exec_lo, s0
                                        ; implicit-def: $vgpr29
	s_and_saveexec_b32 s0, s14
	s_cbranch_execnz .LBB618_74
.LBB618_51:
	s_or_b32 exec_lo, exec_lo, s0
                                        ; implicit-def: $vgpr30
	s_and_saveexec_b32 s0, s15
	s_cbranch_execz .LBB618_53
.LBB618_52:
	v_add_co_u32 v2, vcc_lo, v2, v31
	v_add_co_ci_u32_e32 v3, vcc_lo, 0, v3, vcc_lo
	flat_load_b32 v30, v[2:3]
.LBB618_53:
	s_or_b32 exec_lo, exec_lo, s0
	s_waitcnt vmcnt(0) lgkmcnt(0)
	ds_store_2addr_stride64_b32 v26, v32, v33 offset1:4
	ds_store_2addr_stride64_b32 v26, v34, v35 offset0:8 offset1:12
	ds_store_2addr_stride64_b32 v26, v36, v6 offset0:16 offset1:20
	;; [unrolled: 1-line block ×6, first 2 shown]
	ds_store_b32 v26, v30 offset:14336
	s_waitcnt lgkmcnt(0)
	s_barrier
.LBB618_54:
	buffer_gl0_inv
	ds_load_2addr_b32 v[49:50], v5 offset1:1
	ds_load_2addr_b32 v[47:48], v5 offset0:2 offset1:3
	ds_load_2addr_b32 v[45:46], v5 offset0:4 offset1:5
	;; [unrolled: 1-line block ×6, first 2 shown]
	ds_load_b32 v80, v5 offset:56
	s_cmp_eq_u64 s[24:25], 0
	s_waitcnt lgkmcnt(0)
	s_cselect_b32 s27, -1, 0
	s_cmp_lg_u64 s[24:25], 0
	s_barrier
	s_cselect_b32 s16, -1, 0
	s_and_b32 vcc_lo, exec_lo, s40
	buffer_gl0_inv
	s_cbranch_vccz .LBB618_60
; %bb.55:
	s_and_b32 vcc_lo, exec_lo, s16
	s_cbranch_vccz .LBB618_75
; %bb.56:
	v_add_co_u32 v2, vcc_lo, -4, v1
	v_add_co_ci_u32_e32 v3, vcc_lo, -1, v4, vcc_lo
	v_mul_hi_i32 v5, 0x66666667, v77
	v_mul_hi_i32 v6, 0x66666667, v9
	;; [unrolled: 1-line block ×3, first 2 shown]
	flat_load_b32 v2, v[2:3]
	v_mul_hi_i32 v3, 0x66666667, v10
	v_mul_hi_i32 v26, 0x66666667, v11
	;; [unrolled: 1-line block ×3, first 2 shown]
	s_mov_b32 s15, -1
	v_lshrrev_b32_e32 v23, 31, v5
	v_ashrrev_i32_e32 v5, 2, v5
	v_lshrrev_b32_e32 v24, 31, v6
	v_ashrrev_i32_e32 v6, 2, v6
	;; [unrolled: 2-line block ×3, first 2 shown]
	v_add_nc_u32_e32 v5, v5, v23
	v_lshrrev_b32_e32 v23, 31, v25
	v_add_nc_u32_e32 v6, v6, v24
	v_ashrrev_i32_e32 v24, 2, v25
	v_add_nc_u32_e32 v7, v8, v7
	v_mul_hi_i32 v8, 0x66666667, v14
	v_lshrrev_b32_e32 v25, 31, v26
	v_ashrrev_i32_e32 v26, 2, v26
	v_lshlrev_b32_e32 v3, 2, v0
	v_cmp_ne_u32_e32 vcc_lo, v7, v5
	v_add_nc_u32_e32 v5, v24, v23
	v_cmp_ne_u32_e64 s0, v6, v7
	v_add_nc_u32_e32 v7, v26, v25
	v_lshrrev_b32_e32 v28, 31, v8
	v_ashrrev_i32_e32 v8, 2, v8
	v_mul_hi_i32 v24, 0x66666667, v16
	v_mul_hi_i32 v26, 0x66666667, v15
	v_cmp_ne_u32_e64 s1, v5, v6
	v_mul_hi_i32 v6, 0x66666667, v18
	v_add_nc_u32_e32 v8, v8, v28
	v_lshrrev_b32_e32 v23, 31, v27
	v_ashrrev_i32_e32 v25, 2, v27
	v_cmp_ne_u32_e64 s4, v7, v5
	ds_store_b32 v3, v77
	v_cmp_ne_u32_e64 s5, v8, v7
	v_lshrrev_b32_e32 v7, 31, v24
	v_add_nc_u32_e32 v5, v25, v23
	v_ashrrev_i32_e32 v23, 2, v24
	v_lshrrev_b32_e32 v24, 31, v26
	v_ashrrev_i32_e32 v25, 2, v26
	v_lshrrev_b32_e32 v26, 31, v6
	v_ashrrev_i32_e32 v6, 2, v6
	v_add_nc_u32_e32 v7, v23, v7
	v_cmp_ne_u32_e64 s6, v5, v8
	v_add_nc_u32_e32 v8, v25, v24
	v_mul_hi_i32 v23, 0x66666667, v17
	v_add_nc_u32_e32 v6, v6, v26
	v_cmp_ne_u32_e64 s7, v7, v5
	v_mul_hi_i32 v5, 0x66666667, v20
	v_cmp_ne_u32_e64 s8, v8, v7
	v_mul_hi_i32 v7, 0x66666667, v19
	;; [unrolled: 2-line block ×3, first 2 shown]
	v_mul_hi_i32 v25, 0x66666667, v21
	v_lshrrev_b32_e32 v24, 31, v23
	v_ashrrev_i32_e32 v23, 2, v23
	v_lshrrev_b32_e32 v26, 31, v5
	v_ashrrev_i32_e32 v5, 2, v5
	;; [unrolled: 2-line block ×5, first 2 shown]
	v_add_nc_u32_e32 v23, v23, v24
	v_add_nc_u32_e32 v24, v5, v26
	;; [unrolled: 1-line block ×5, first 2 shown]
	v_cmp_ne_u32_e64 s14, v23, v6
	v_cmp_ne_u32_e64 s10, v24, v23
	;; [unrolled: 1-line block ×5, first 2 shown]
	s_waitcnt vmcnt(0) lgkmcnt(0)
	s_barrier
	buffer_gl0_inv
	s_and_saveexec_b32 s40, s3
	s_cbranch_execz .LBB618_58
; %bb.57:
	v_add_nc_u32_e32 v2, -4, v3
	ds_load_b32 v2, v2
.LBB618_58:
	s_or_b32 exec_lo, exec_lo, s40
	s_waitcnt lgkmcnt(0)
	v_mul_hi_i32 v3, 0x66666667, v2
	v_cndmask_b32_e64 v78, 0, 1, vcc_lo
	v_cndmask_b32_e64 v2, 0, 1, s0
	v_cndmask_b32_e64 v79, 0, 1, s1
	;; [unrolled: 1-line block ×6, first 2 shown]
	v_lshrrev_b32_e32 v6, 31, v3
	v_ashrrev_i32_e32 v3, 2, v3
	v_cndmask_b32_e64 v30, 0, 1, s8
	v_cndmask_b32_e64 v29, 0, 1, s9
	;; [unrolled: 1-line block ×4, first 2 shown]
	v_add_nc_u32_e32 v3, v3, v6
	v_cndmask_b32_e64 v34, 0, 1, s11
	v_cndmask_b32_e64 v33, 0, 1, s12
	;; [unrolled: 1-line block ×3, first 2 shown]
	s_delay_alu instid0(VALU_DEP_4)
	v_cmp_ne_u32_e64 s4, v3, v5
.LBB618_59:
                                        ; implicit-def: $sgpr0
	s_branch .LBB618_79
.LBB618_60:
	s_mov_b32 s15, 0
                                        ; implicit-def: $sgpr4
                                        ; implicit-def: $vgpr78
                                        ; implicit-def: $vgpr2
                                        ; implicit-def: $vgpr79
                                        ; implicit-def: $vgpr24
                                        ; implicit-def: $vgpr23
                                        ; implicit-def: $vgpr26
                                        ; implicit-def: $vgpr25
                                        ; implicit-def: $vgpr30
                                        ; implicit-def: $vgpr29
                                        ; implicit-def: $vgpr32
                                        ; implicit-def: $vgpr31
                                        ; implicit-def: $vgpr34
                                        ; implicit-def: $vgpr33
                                        ; implicit-def: $vgpr36
                                        ; implicit-def: $vgpr28
                                        ; implicit-def: $sgpr0
	s_cbranch_execnz .LBB618_80
	s_branch .LBB618_115
.LBB618_61:
	v_add_co_u32 v32, vcc_lo, v2, v26
	v_add_co_ci_u32_e32 v33, vcc_lo, 0, v3, vcc_lo
	flat_load_b32 v32, v[32:33]
	s_or_b32 exec_lo, exec_lo, s16
                                        ; implicit-def: $vgpr33
	s_and_saveexec_b32 s16, s0
	s_cbranch_execz .LBB618_39
.LBB618_62:
	v_add_co_u32 v33, vcc_lo, v2, v26
	v_add_co_ci_u32_e32 v34, vcc_lo, 0, v3, vcc_lo
	flat_load_b32 v33, v[33:34] offset:1024
	s_or_b32 exec_lo, exec_lo, s16
                                        ; implicit-def: $vgpr34
	s_and_saveexec_b32 s0, s1
	s_cbranch_execz .LBB618_40
.LBB618_63:
	v_add_co_u32 v34, vcc_lo, v2, v26
	v_add_co_ci_u32_e32 v35, vcc_lo, 0, v3, vcc_lo
	flat_load_b32 v34, v[34:35] offset:2048
	s_or_b32 exec_lo, exec_lo, s0
                                        ; implicit-def: $vgpr35
	s_and_saveexec_b32 s0, s4
	s_cbranch_execz .LBB618_41
.LBB618_64:
	v_add_co_u32 v35, vcc_lo, v2, v26
	v_add_co_ci_u32_e32 v36, vcc_lo, 0, v3, vcc_lo
	flat_load_b32 v35, v[35:36] offset:3072
	s_or_b32 exec_lo, exec_lo, s0
                                        ; implicit-def: $vgpr36
	s_and_saveexec_b32 s0, s5
	s_cbranch_execz .LBB618_42
.LBB618_65:
	v_add_co_u32 v36, vcc_lo, v2, v6
	v_add_co_ci_u32_e32 v37, vcc_lo, 0, v3, vcc_lo
	flat_load_b32 v36, v[36:37]
	s_or_b32 exec_lo, exec_lo, s0
                                        ; implicit-def: $vgpr6
	s_and_saveexec_b32 s0, s6
	s_cbranch_execz .LBB618_43
.LBB618_66:
	v_add_co_u32 v6, vcc_lo, v2, v7
	v_add_co_ci_u32_e32 v7, vcc_lo, 0, v3, vcc_lo
	flat_load_b32 v6, v[6:7]
	s_or_b32 exec_lo, exec_lo, s0
                                        ; implicit-def: $vgpr7
	s_and_saveexec_b32 s0, s7
	s_cbranch_execz .LBB618_44
.LBB618_67:
	v_add_co_u32 v7, vcc_lo, v2, v8
	v_add_co_ci_u32_e32 v8, vcc_lo, 0, v3, vcc_lo
	flat_load_b32 v7, v[7:8]
	s_or_b32 exec_lo, exec_lo, s0
                                        ; implicit-def: $vgpr8
	s_and_saveexec_b32 s0, s8
	s_cbranch_execz .LBB618_45
.LBB618_68:
	v_add_co_u32 v37, vcc_lo, v2, v23
	v_add_co_ci_u32_e32 v38, vcc_lo, 0, v3, vcc_lo
	flat_load_b32 v8, v[37:38]
	s_or_b32 exec_lo, exec_lo, s0
                                        ; implicit-def: $vgpr23
	s_and_saveexec_b32 s0, s9
	s_cbranch_execz .LBB618_46
.LBB618_69:
	v_add_co_u32 v23, vcc_lo, v2, v24
	v_add_co_ci_u32_e32 v24, vcc_lo, 0, v3, vcc_lo
	flat_load_b32 v23, v[23:24]
	s_or_b32 exec_lo, exec_lo, s0
                                        ; implicit-def: $vgpr24
	s_and_saveexec_b32 s0, s10
	s_cbranch_execz .LBB618_47
.LBB618_70:
	v_add_co_u32 v24, vcc_lo, v2, v25
	v_add_co_ci_u32_e32 v25, vcc_lo, 0, v3, vcc_lo
	flat_load_b32 v24, v[24:25]
	s_or_b32 exec_lo, exec_lo, s0
                                        ; implicit-def: $vgpr25
	s_and_saveexec_b32 s0, s11
	s_cbranch_execz .LBB618_48
.LBB618_71:
	v_add_co_u32 v37, vcc_lo, v2, v27
	v_add_co_ci_u32_e32 v38, vcc_lo, 0, v3, vcc_lo
	flat_load_b32 v25, v[37:38]
	s_or_b32 exec_lo, exec_lo, s0
                                        ; implicit-def: $vgpr27
	s_and_saveexec_b32 s0, s12
	s_cbranch_execz .LBB618_49
.LBB618_72:
	v_add_co_u32 v27, vcc_lo, v2, v28
	v_add_co_ci_u32_e32 v28, vcc_lo, 0, v3, vcc_lo
	flat_load_b32 v27, v[27:28]
	s_or_b32 exec_lo, exec_lo, s0
                                        ; implicit-def: $vgpr28
	s_and_saveexec_b32 s0, s13
	s_cbranch_execz .LBB618_50
.LBB618_73:
	v_add_co_u32 v28, vcc_lo, v2, v29
	v_add_co_ci_u32_e32 v29, vcc_lo, 0, v3, vcc_lo
	flat_load_b32 v28, v[28:29]
	s_or_b32 exec_lo, exec_lo, s0
                                        ; implicit-def: $vgpr29
	s_and_saveexec_b32 s0, s14
	s_cbranch_execz .LBB618_51
.LBB618_74:
	v_add_co_u32 v29, vcc_lo, v2, v30
	v_add_co_ci_u32_e32 v30, vcc_lo, 0, v3, vcc_lo
	flat_load_b32 v29, v[29:30]
	s_or_b32 exec_lo, exec_lo, s0
                                        ; implicit-def: $vgpr30
	s_and_saveexec_b32 s0, s15
	s_cbranch_execnz .LBB618_52
	s_branch .LBB618_53
.LBB618_75:
	s_mov_b32 s15, 0
                                        ; implicit-def: $sgpr4
                                        ; implicit-def: $vgpr78
                                        ; implicit-def: $vgpr2
                                        ; implicit-def: $vgpr79
                                        ; implicit-def: $vgpr24
                                        ; implicit-def: $vgpr23
                                        ; implicit-def: $vgpr26
                                        ; implicit-def: $vgpr25
                                        ; implicit-def: $vgpr30
                                        ; implicit-def: $vgpr29
                                        ; implicit-def: $vgpr32
                                        ; implicit-def: $vgpr31
                                        ; implicit-def: $vgpr34
                                        ; implicit-def: $vgpr33
                                        ; implicit-def: $vgpr36
	s_cbranch_execz .LBB618_59
; %bb.76:
	v_mul_hi_i32 v2, 0x66666667, v10
	v_mul_hi_i32 v3, 0x66666667, v77
	;; [unrolled: 1-line block ×8, first 2 shown]
	v_lshrrev_b32_e32 v8, 31, v2
	v_ashrrev_i32_e32 v2, 2, v2
	v_lshrrev_b32_e32 v23, 31, v3
	v_ashrrev_i32_e32 v24, 2, v3
	;; [unrolled: 2-line block ×3, first 2 shown]
	v_add_nc_u32_e32 v2, v2, v8
	v_mul_hi_i32 v29, 0x66666667, v18
	v_add_nc_u32_e32 v8, v24, v23
	v_lshrrev_b32_e32 v23, 31, v6
	v_add_nc_u32_e32 v5, v5, v25
	v_ashrrev_i32_e32 v6, 2, v6
	v_mul_hi_i32 v25, 0x66666667, v14
	v_cmp_ne_u32_e32 vcc_lo, v2, v8
	v_lshrrev_b32_e32 v24, 31, v7
	v_ashrrev_i32_e32 v7, 2, v7
	v_add_nc_u32_e32 v6, v6, v23
	v_mul_hi_i32 v30, 0x66666667, v17
	v_cndmask_b32_e64 v78, 0, 1, vcc_lo
	v_cmp_ne_u32_e32 vcc_lo, v5, v2
	v_add_nc_u32_e32 v7, v7, v24
	v_lshrrev_b32_e32 v8, 31, v25
	v_ashrrev_i32_e32 v23, 2, v25
	v_lshrrev_b32_e32 v25, 31, v26
	v_cndmask_b32_e64 v2, 0, 1, vcc_lo
	v_cmp_ne_u32_e32 vcc_lo, v6, v5
	v_ashrrev_i32_e32 v26, 2, v26
	v_add_nc_u32_e32 v5, v23, v8
	v_lshrrev_b32_e32 v8, 31, v27
	v_lshlrev_b32_e32 v3, 2, v0
	v_cndmask_b32_e64 v79, 0, 1, vcc_lo
	v_cmp_ne_u32_e32 vcc_lo, v7, v6
	v_add_nc_u32_e32 v6, v26, v25
	v_ashrrev_i32_e32 v25, 2, v27
	v_lshrrev_b32_e32 v27, 31, v28
	v_ashrrev_i32_e32 v28, 2, v28
	v_cndmask_b32_e64 v24, 0, 1, vcc_lo
	v_cmp_ne_u32_e32 vcc_lo, v5, v7
	ds_store_b32 v3, v77
	s_waitcnt lgkmcnt(0)
	v_add_nc_u32_e32 v7, v28, v27
	v_ashrrev_i32_e32 v27, 2, v29
	v_cndmask_b32_e64 v23, 0, 1, vcc_lo
	v_cmp_ne_u32_e32 vcc_lo, v6, v5
	v_add_nc_u32_e32 v5, v25, v8
	v_lshrrev_b32_e32 v8, 31, v29
	v_lshrrev_b32_e32 v28, 31, v30
	v_ashrrev_i32_e32 v29, 2, v30
	v_cndmask_b32_e64 v26, 0, 1, vcc_lo
	v_cmp_ne_u32_e32 vcc_lo, v5, v6
	v_add_nc_u32_e32 v6, v27, v8
	v_mul_hi_i32 v8, 0x66666667, v20
	v_mul_hi_i32 v27, 0x66666667, v19
	s_barrier
	v_cndmask_b32_e64 v25, 0, 1, vcc_lo
	v_cmp_ne_u32_e32 vcc_lo, v7, v5
	v_add_nc_u32_e32 v5, v29, v28
	buffer_gl0_inv
                                        ; implicit-def: $sgpr4
	v_lshrrev_b32_e32 v28, 31, v8
	v_cndmask_b32_e64 v30, 0, 1, vcc_lo
	v_cmp_ne_u32_e32 vcc_lo, v6, v7
	v_ashrrev_i32_e32 v8, 2, v8
	v_mul_hi_i32 v7, 0x66666667, v22
	v_lshrrev_b32_e32 v31, 31, v27
	v_ashrrev_i32_e32 v27, 2, v27
	v_cndmask_b32_e64 v29, 0, 1, vcc_lo
	v_cmp_ne_u32_e32 vcc_lo, v5, v6
	v_add_nc_u32_e32 v8, v8, v28
	v_mul_hi_i32 v6, 0x66666667, v21
	v_add_nc_u32_e32 v27, v27, v31
	v_lshrrev_b32_e32 v33, 31, v7
	v_cndmask_b32_e64 v32, 0, 1, vcc_lo
	v_ashrrev_i32_e32 v7, 2, v7
	v_cmp_ne_u32_e32 vcc_lo, v8, v5
	v_lshrrev_b32_e32 v28, 31, v6
	v_ashrrev_i32_e32 v6, 2, v6
	s_delay_alu instid0(VALU_DEP_4) | instskip(SKIP_2) | instid1(VALU_DEP_4)
	v_add_nc_u32_e32 v7, v7, v33
	v_cndmask_b32_e64 v31, 0, 1, vcc_lo
	v_cmp_ne_u32_e32 vcc_lo, v27, v8
	v_add_nc_u32_e32 v5, v6, v28
	v_cndmask_b32_e64 v34, 0, 1, vcc_lo
	v_cmp_ne_u32_e32 vcc_lo, v7, v27
	v_cndmask_b32_e64 v33, 0, 1, vcc_lo
	s_delay_alu instid0(VALU_DEP_4) | instskip(SKIP_2) | instid1(SALU_CYCLE_1)
	v_cmp_ne_u32_e32 vcc_lo, v5, v7
	v_cndmask_b32_e64 v36, 0, 1, vcc_lo
	s_and_saveexec_b32 s0, s3
	s_xor_b32 s0, exec_lo, s0
	s_cbranch_execz .LBB618_78
; %bb.77:
	v_add_nc_u32_e32 v3, -4, v3
	s_or_b32 s15, s15, exec_lo
	ds_load_b32 v3, v3
	s_waitcnt lgkmcnt(0)
	v_mul_hi_i32 v3, 0x66666667, v3
	s_delay_alu instid0(VALU_DEP_1) | instskip(SKIP_1) | instid1(VALU_DEP_1)
	v_lshrrev_b32_e32 v6, 31, v3
	v_ashrrev_i32_e32 v3, 2, v3
	v_add_nc_u32_e32 v3, v3, v6
	s_delay_alu instid0(VALU_DEP_1)
	v_cmp_ne_u32_e32 vcc_lo, v3, v5
	s_and_b32 s4, vcc_lo, exec_lo
.LBB618_78:
	s_or_b32 exec_lo, exec_lo, s0
	s_mov_b32 s0, 1
.LBB618_79:
	v_mov_b32_e32 v28, v2
	s_branch .LBB618_115
.LBB618_80:
	s_mul_hi_u32 s0, s24, 0xfffff100
	s_mul_i32 s1, s25, 0xfffff100
	s_sub_i32 s0, s0, s24
	s_mul_i32 s4, s24, 0xfffff100
	v_mul_u32_u24_e32 v3, 15, v0
	v_mad_u32_u24 v27, v0, 15, 14
	s_add_i32 s1, s0, s1
	s_add_u32 s0, s4, s36
	s_addc_u32 s1, s1, s37
	s_and_b32 vcc_lo, exec_lo, s16
	s_cbranch_vccz .LBB618_195
; %bb.81:
	v_add_co_u32 v1, vcc_lo, -4, v1
	v_add_co_ci_u32_e32 v2, vcc_lo, -1, v4, vcc_lo
	v_lshlrev_b32_e32 v4, 2, v0
	v_mov_b32_e32 v78, 0
	s_mov_b32 s4, exec_lo
	flat_load_b32 v5, v[1:2]
	v_mov_b32_e32 v2, 0
	ds_store_b32 v4, v77
	v_mov_b32_e32 v28, v2
	s_delay_alu instid0(VALU_DEP_1)
	v_cmpx_gt_u64_e64 s[0:1], v[27:28]
; %bb.82:
	v_mul_hi_i32 v1, 0x66666667, v10
	v_mul_hi_i32 v6, 0x66666667, v77
	s_delay_alu instid0(VALU_DEP_2) | instskip(SKIP_1) | instid1(VALU_DEP_3)
	v_lshrrev_b32_e32 v7, 31, v1
	v_ashrrev_i32_e32 v1, 2, v1
	v_lshrrev_b32_e32 v8, 31, v6
	v_ashrrev_i32_e32 v6, 2, v6
	s_delay_alu instid0(VALU_DEP_3) | instskip(NEXT) | instid1(VALU_DEP_2)
	v_add_nc_u32_e32 v1, v1, v7
	v_add_nc_u32_e32 v6, v6, v8
	s_delay_alu instid0(VALU_DEP_1)
	v_cmp_ne_u32_e32 vcc_lo, v1, v6
	v_cndmask_b32_e64 v78, 0, 1, vcc_lo
; %bb.83:
	s_or_b32 exec_lo, exec_lo, s4
	v_add_nc_u32_e32 v1, 13, v3
	s_mov_b32 s4, exec_lo
	s_delay_alu instid0(VALU_DEP_1)
	v_cmpx_gt_u64_e64 s[0:1], v[1:2]
; %bb.84:
	v_mul_hi_i32 v1, 0x66666667, v9
	v_mul_hi_i32 v2, 0x66666667, v10
	s_delay_alu instid0(VALU_DEP_2) | instskip(SKIP_1) | instid1(VALU_DEP_3)
	v_lshrrev_b32_e32 v6, 31, v1
	v_ashrrev_i32_e32 v1, 2, v1
	v_lshrrev_b32_e32 v7, 31, v2
	v_ashrrev_i32_e32 v2, 2, v2
	s_delay_alu instid0(VALU_DEP_3) | instskip(NEXT) | instid1(VALU_DEP_2)
	v_add_nc_u32_e32 v1, v1, v6
	v_add_nc_u32_e32 v2, v2, v7
	s_delay_alu instid0(VALU_DEP_1)
	v_cmp_ne_u32_e32 vcc_lo, v1, v2
	v_cndmask_b32_e64 v2, 0, 1, vcc_lo
; %bb.85:
	s_or_b32 exec_lo, exec_lo, s4
	v_dual_mov_b32 v24, 0 :: v_dual_add_nc_u32 v23, 12, v3
	v_mov_b32_e32 v79, 0
	s_mov_b32 s4, exec_lo
	s_delay_alu instid0(VALU_DEP_2)
	v_cmpx_gt_u64_e64 s[0:1], v[23:24]
; %bb.86:
	v_mul_hi_i32 v1, 0x66666667, v12
	v_mul_hi_i32 v6, 0x66666667, v9
	s_delay_alu instid0(VALU_DEP_2) | instskip(SKIP_1) | instid1(VALU_DEP_3)
	v_lshrrev_b32_e32 v7, 31, v1
	v_ashrrev_i32_e32 v1, 2, v1
	v_lshrrev_b32_e32 v8, 31, v6
	v_ashrrev_i32_e32 v6, 2, v6
	s_delay_alu instid0(VALU_DEP_3) | instskip(NEXT) | instid1(VALU_DEP_2)
	v_add_nc_u32_e32 v1, v1, v7
	v_add_nc_u32_e32 v6, v6, v8
	s_delay_alu instid0(VALU_DEP_1)
	v_cmp_ne_u32_e32 vcc_lo, v1, v6
	v_cndmask_b32_e64 v79, 0, 1, vcc_lo
; %bb.87:
	s_or_b32 exec_lo, exec_lo, s4
	v_add_nc_u32_e32 v23, 11, v3
	s_mov_b32 s4, exec_lo
	s_delay_alu instid0(VALU_DEP_1)
	v_cmpx_gt_u64_e64 s[0:1], v[23:24]
; %bb.88:
	v_mul_hi_i32 v1, 0x66666667, v11
	v_mul_hi_i32 v6, 0x66666667, v12
	s_delay_alu instid0(VALU_DEP_2) | instskip(SKIP_1) | instid1(VALU_DEP_3)
	v_lshrrev_b32_e32 v7, 31, v1
	v_ashrrev_i32_e32 v1, 2, v1
	v_lshrrev_b32_e32 v8, 31, v6
	v_ashrrev_i32_e32 v6, 2, v6
	s_delay_alu instid0(VALU_DEP_3) | instskip(NEXT) | instid1(VALU_DEP_2)
	v_add_nc_u32_e32 v1, v1, v7
	v_add_nc_u32_e32 v6, v6, v8
	s_delay_alu instid0(VALU_DEP_1)
	v_cmp_ne_u32_e32 vcc_lo, v1, v6
	v_cndmask_b32_e64 v24, 0, 1, vcc_lo
; %bb.89:
	s_or_b32 exec_lo, exec_lo, s4
	v_dual_mov_b32 v26, 0 :: v_dual_add_nc_u32 v25, 10, v3
	v_mov_b32_e32 v23, 0
	s_mov_b32 s4, exec_lo
	s_delay_alu instid0(VALU_DEP_2)
	;; [unrolled: 41-line block ×6, first 2 shown]
	v_cmpx_gt_u64_e64 s[0:1], v[35:36]
; %bb.106:
	v_mul_hi_i32 v1, 0x66666667, v22
	v_mul_hi_i32 v6, 0x66666667, v19
	s_delay_alu instid0(VALU_DEP_2) | instskip(SKIP_1) | instid1(VALU_DEP_3)
	v_lshrrev_b32_e32 v7, 31, v1
	v_ashrrev_i32_e32 v1, 2, v1
	v_lshrrev_b32_e32 v8, 31, v6
	v_ashrrev_i32_e32 v6, 2, v6
	s_delay_alu instid0(VALU_DEP_3) | instskip(NEXT) | instid1(VALU_DEP_2)
	v_add_nc_u32_e32 v1, v1, v7
	v_add_nc_u32_e32 v6, v6, v8
	s_delay_alu instid0(VALU_DEP_1)
	v_cmp_ne_u32_e32 vcc_lo, v1, v6
	v_cndmask_b32_e64 v33, 0, 1, vcc_lo
; %bb.107:
	s_or_b32 exec_lo, exec_lo, s4
	v_add_nc_u32_e32 v35, 1, v3
	s_mov_b32 s4, exec_lo
	s_delay_alu instid0(VALU_DEP_1)
	v_cmpx_gt_u64_e64 s[0:1], v[35:36]
; %bb.108:
	v_mul_hi_i32 v1, 0x66666667, v21
	v_mul_hi_i32 v6, 0x66666667, v22
	s_delay_alu instid0(VALU_DEP_2) | instskip(SKIP_1) | instid1(VALU_DEP_3)
	v_lshrrev_b32_e32 v7, 31, v1
	v_ashrrev_i32_e32 v1, 2, v1
	v_lshrrev_b32_e32 v8, 31, v6
	v_ashrrev_i32_e32 v6, 2, v6
	s_delay_alu instid0(VALU_DEP_3) | instskip(NEXT) | instid1(VALU_DEP_2)
	v_add_nc_u32_e32 v1, v1, v7
	v_add_nc_u32_e32 v6, v6, v8
	s_delay_alu instid0(VALU_DEP_1)
	v_cmp_ne_u32_e32 vcc_lo, v1, v6
	v_cndmask_b32_e64 v36, 0, 1, vcc_lo
; %bb.109:
	s_or_b32 exec_lo, exec_lo, s4
	s_waitcnt vmcnt(0) lgkmcnt(0)
	s_barrier
	buffer_gl0_inv
	s_and_saveexec_b32 s4, s3
	s_cbranch_execz .LBB618_111
; %bb.110:
	v_add_nc_u32_e32 v1, -4, v4
	ds_load_b32 v5, v1
.LBB618_111:
	s_or_b32 exec_lo, exec_lo, s4
	v_mov_b32_e32 v4, 0
	s_mov_b32 s5, 0
	s_mov_b32 s4, 0
	s_mov_b32 s6, exec_lo
	s_delay_alu instid0(VALU_DEP_1)
	v_cmpx_gt_u64_e64 s[0:1], v[3:4]
	s_cbranch_execz .LBB618_113
; %bb.112:
	s_waitcnt lgkmcnt(0)
	v_mul_hi_i32 v1, 0x66666667, v5
	v_mul_hi_i32 v4, 0x66666667, v21
	s_delay_alu instid0(VALU_DEP_2) | instskip(SKIP_1) | instid1(VALU_DEP_3)
	v_lshrrev_b32_e32 v5, 31, v1
	v_ashrrev_i32_e32 v1, 2, v1
	v_lshrrev_b32_e32 v6, 31, v4
	v_ashrrev_i32_e32 v4, 2, v4
	s_delay_alu instid0(VALU_DEP_3) | instskip(NEXT) | instid1(VALU_DEP_2)
	v_add_nc_u32_e32 v1, v1, v5
	v_add_nc_u32_e32 v4, v4, v6
	s_delay_alu instid0(VALU_DEP_1)
	v_cmp_ne_u32_e32 vcc_lo, v1, v4
	s_and_b32 s4, vcc_lo, exec_lo
.LBB618_113:
	s_or_b32 exec_lo, exec_lo, s6
	s_mov_b32 s15, -1
	s_and_b32 vcc_lo, exec_lo, s5
	s_cbranch_vccnz .LBB618_196
.LBB618_114:
                                        ; implicit-def: $vgpr28
                                        ; implicit-def: $sgpr0
.LBB618_115:
	v_mov_b32_e32 v27, s0
	s_and_saveexec_b32 s0, s15
.LBB618_116:
	v_cndmask_b32_e64 v27, 0, 1, s4
	v_mov_b32_e32 v28, v2
.LBB618_117:
	s_or_b32 exec_lo, exec_lo, s0
	s_delay_alu instid0(VALU_DEP_1)
	v_add3_u32 v1, v36, v27, v33
	v_cmp_eq_u32_e64 s13, 0, v36
	v_cmp_eq_u32_e64 s12, 0, v33
	;; [unrolled: 1-line block ×4, first 2 shown]
	v_add3_u32 v84, v1, v34, v31
	v_cmp_eq_u32_e64 s9, 0, v32
	v_cmp_eq_u32_e64 s8, 0, v29
	;; [unrolled: 1-line block ×9, first 2 shown]
	v_cmp_eq_u32_e32 vcc_lo, 0, v78
	v_mbcnt_lo_u32_b32 v81, -1, 0
	v_lshrrev_b32_e32 v82, 5, v0
	v_or_b32_e32 v83, 31, v0
	s_cmp_eq_u64 s[22:23], 0
	s_cselect_b32 s16, -1, 0
	s_cmp_lg_u32 s33, 0
	s_cbranch_scc0 .LBB618_143
; %bb.118:
	v_cndmask_b32_e64 v1, 0, v49, s13
	v_add3_u32 v2, v84, v32, v29
	s_delay_alu instid0(VALU_DEP_2) | instskip(NEXT) | instid1(VALU_DEP_2)
	v_add_nc_u32_e32 v1, v1, v50
	v_add3_u32 v2, v2, v30, v25
	s_delay_alu instid0(VALU_DEP_2) | instskip(NEXT) | instid1(VALU_DEP_2)
	v_cndmask_b32_e64 v1, 0, v1, s12
	v_add3_u32 v2, v2, v26, v23
	s_delay_alu instid0(VALU_DEP_2) | instskip(NEXT) | instid1(VALU_DEP_2)
	v_add_nc_u32_e32 v1, v1, v47
	v_add3_u32 v2, v2, v24, v79
	s_delay_alu instid0(VALU_DEP_2) | instskip(NEXT) | instid1(VALU_DEP_2)
	v_cndmask_b32_e64 v1, 0, v1, s11
	v_add3_u32 v2, v2, v28, v78
	s_delay_alu instid0(VALU_DEP_2) | instskip(SKIP_1) | instid1(VALU_DEP_2)
	v_add_nc_u32_e32 v1, v1, v48
	s_waitcnt lgkmcnt(0)
	v_mov_b32_dpp v5, v2 row_shr:1 row_mask:0xf bank_mask:0xf
	s_delay_alu instid0(VALU_DEP_2) | instskip(NEXT) | instid1(VALU_DEP_1)
	v_cndmask_b32_e64 v1, 0, v1, s10
	v_add_nc_u32_e32 v1, v1, v45
	s_delay_alu instid0(VALU_DEP_1) | instskip(NEXT) | instid1(VALU_DEP_1)
	v_cndmask_b32_e64 v1, 0, v1, s9
	v_add_nc_u32_e32 v1, v1, v46
	s_delay_alu instid0(VALU_DEP_1) | instskip(NEXT) | instid1(VALU_DEP_1)
	;; [unrolled: 3-line block ×9, first 2 shown]
	v_cndmask_b32_e64 v1, 0, v1, s0
	v_add_nc_u32_e32 v1, v1, v38
	s_delay_alu instid0(VALU_DEP_1) | instskip(SKIP_1) | instid1(VALU_DEP_2)
	v_cndmask_b32_e32 v1, 0, v1, vcc_lo
	v_cmp_eq_u32_e32 vcc_lo, 0, v2
	v_add_nc_u32_e32 v1, v1, v80
	s_delay_alu instid0(VALU_DEP_1) | instskip(NEXT) | instid1(VALU_DEP_1)
	v_mov_b32_dpp v3, v1 row_shr:1 row_mask:0xf bank_mask:0xf
	v_dual_cndmask_b32 v3, 0, v3 :: v_dual_and_b32 v4, 15, v81
	s_delay_alu instid0(VALU_DEP_1) | instskip(SKIP_2) | instid1(VALU_DEP_4)
	v_cmp_eq_u32_e32 vcc_lo, 0, v4
	v_cmp_lt_u32_e64 s14, 1, v4
	v_cndmask_b32_e64 v5, v5, 0, vcc_lo
	v_cndmask_b32_e64 v3, v3, 0, vcc_lo
	s_delay_alu instid0(VALU_DEP_2) | instskip(NEXT) | instid1(VALU_DEP_2)
	v_add_nc_u32_e32 v2, v5, v2
	v_add_nc_u32_e32 v1, v3, v1
	s_delay_alu instid0(VALU_DEP_2) | instskip(SKIP_1) | instid1(VALU_DEP_3)
	v_mov_b32_dpp v3, v2 row_shr:2 row_mask:0xf bank_mask:0xf
	v_cmp_eq_u32_e32 vcc_lo, 0, v2
	v_mov_b32_dpp v5, v1 row_shr:2 row_mask:0xf bank_mask:0xf
	s_delay_alu instid0(VALU_DEP_3) | instskip(SKIP_2) | instid1(VALU_DEP_2)
	v_cndmask_b32_e64 v3, 0, v3, s14
	s_and_b32 vcc_lo, s14, vcc_lo
	v_cmp_lt_u32_e64 s14, 3, v4
	v_dual_cndmask_b32 v5, 0, v5 :: v_dual_add_nc_u32 v2, v2, v3
	s_delay_alu instid0(VALU_DEP_1) | instskip(NEXT) | instid1(VALU_DEP_2)
	v_add_nc_u32_e32 v1, v5, v1
	v_mov_b32_dpp v3, v2 row_shr:4 row_mask:0xf bank_mask:0xf
	v_cmp_eq_u32_e32 vcc_lo, 0, v2
	s_delay_alu instid0(VALU_DEP_3) | instskip(NEXT) | instid1(VALU_DEP_3)
	v_mov_b32_dpp v5, v1 row_shr:4 row_mask:0xf bank_mask:0xf
	v_cndmask_b32_e64 v3, 0, v3, s14
	s_and_b32 vcc_lo, s14, vcc_lo
	v_cmp_lt_u32_e64 s14, 7, v4
	s_delay_alu instid0(VALU_DEP_2) | instskip(NEXT) | instid1(VALU_DEP_1)
	v_dual_cndmask_b32 v5, 0, v5 :: v_dual_add_nc_u32 v2, v3, v2
	v_add_nc_u32_e32 v1, v1, v5
	v_bfe_i32 v5, v81, 4, 1
	s_delay_alu instid0(VALU_DEP_3) | instskip(SKIP_1) | instid1(VALU_DEP_4)
	v_cmp_eq_u32_e32 vcc_lo, 0, v2
	v_mov_b32_dpp v3, v2 row_shr:8 row_mask:0xf bank_mask:0xf
	v_mov_b32_dpp v4, v1 row_shr:8 row_mask:0xf bank_mask:0xf
	s_and_b32 vcc_lo, s14, vcc_lo
	s_delay_alu instid0(VALU_DEP_2) | instskip(SKIP_1) | instid1(VALU_DEP_2)
	v_cndmask_b32_e64 v3, 0, v3, s14
	s_mov_b32 s14, exec_lo
	v_cndmask_b32_e32 v4, 0, v4, vcc_lo
	s_delay_alu instid0(VALU_DEP_1) | instskip(NEXT) | instid1(VALU_DEP_3)
	v_add_nc_u32_e32 v4, v4, v1
	v_add_nc_u32_e32 v1, v3, v2
	ds_swizzle_b32 v2, v4 offset:swizzle(BROADCAST,32,15)
	ds_swizzle_b32 v3, v1 offset:swizzle(BROADCAST,32,15)
	v_cmp_eq_u32_e32 vcc_lo, 0, v1
	s_waitcnt lgkmcnt(0)
	v_dual_cndmask_b32 v2, 0, v2 :: v_dual_and_b32 v3, v5, v3
	s_delay_alu instid0(VALU_DEP_1) | instskip(NEXT) | instid1(VALU_DEP_2)
	v_and_b32_e32 v2, v5, v2
	v_add_nc_u32_e32 v1, v3, v1
	v_lshlrev_b32_e32 v3, 3, v82
	s_delay_alu instid0(VALU_DEP_3)
	v_add_nc_u32_e32 v2, v2, v4
	v_cmpx_eq_u32_e64 v83, v0
	s_cbranch_execz .LBB618_120
; %bb.119:
	ds_store_b64 v3, v[1:2] offset:2064
.LBB618_120:
	s_or_b32 exec_lo, exec_lo, s14
	s_delay_alu instid0(SALU_CYCLE_1)
	s_mov_b32 s15, exec_lo
	s_waitcnt lgkmcnt(0)
	s_barrier
	buffer_gl0_inv
	v_cmpx_gt_u32_e32 8, v0
	s_cbranch_execz .LBB618_122
; %bb.121:
	v_lshlrev_b32_e32 v6, 3, v0
	v_and_b32_e32 v8, 7, v81
	ds_load_b64 v[4:5], v6 offset:2064
	v_cmp_lt_u32_e64 s14, 1, v8
	s_waitcnt lgkmcnt(0)
	v_mov_b32_dpp v7, v5 row_shr:1 row_mask:0xf bank_mask:0xf
	v_cmp_eq_u32_e32 vcc_lo, 0, v4
	v_mov_b32_dpp v35, v4 row_shr:1 row_mask:0xf bank_mask:0xf
	s_delay_alu instid0(VALU_DEP_3) | instskip(SKIP_1) | instid1(VALU_DEP_3)
	v_cndmask_b32_e32 v7, 0, v7, vcc_lo
	v_cmp_eq_u32_e32 vcc_lo, 0, v8
	v_cndmask_b32_e64 v35, v35, 0, vcc_lo
	s_delay_alu instid0(VALU_DEP_3) | instskip(NEXT) | instid1(VALU_DEP_2)
	v_cndmask_b32_e64 v7, v7, 0, vcc_lo
	v_add_nc_u32_e32 v4, v35, v4
	s_delay_alu instid0(VALU_DEP_2) | instskip(NEXT) | instid1(VALU_DEP_2)
	v_add_nc_u32_e32 v5, v7, v5
	v_mov_b32_dpp v7, v4 row_shr:2 row_mask:0xf bank_mask:0xf
	v_cmp_eq_u32_e32 vcc_lo, 0, v4
	s_delay_alu instid0(VALU_DEP_3) | instskip(NEXT) | instid1(VALU_DEP_3)
	v_mov_b32_dpp v35, v5 row_shr:2 row_mask:0xf bank_mask:0xf
	v_cndmask_b32_e64 v7, 0, v7, s14
	s_and_b32 vcc_lo, s14, vcc_lo
	s_delay_alu instid0(VALU_DEP_2) | instskip(SKIP_1) | instid1(VALU_DEP_3)
	v_cndmask_b32_e32 v35, 0, v35, vcc_lo
	v_cmp_lt_u32_e64 s14, 3, v8
	v_add_nc_u32_e32 v4, v7, v4
	s_delay_alu instid0(VALU_DEP_3) | instskip(NEXT) | instid1(VALU_DEP_2)
	v_add_nc_u32_e32 v5, v35, v5
	v_cmp_eq_u32_e32 vcc_lo, 0, v4
	v_mov_b32_dpp v7, v4 row_shr:4 row_mask:0xf bank_mask:0xf
	s_delay_alu instid0(VALU_DEP_3) | instskip(SKIP_1) | instid1(VALU_DEP_2)
	v_mov_b32_dpp v8, v5 row_shr:4 row_mask:0xf bank_mask:0xf
	s_and_b32 vcc_lo, s14, vcc_lo
	v_cndmask_b32_e64 v7, 0, v7, s14
	s_delay_alu instid0(VALU_DEP_2) | instskip(NEXT) | instid1(VALU_DEP_2)
	v_cndmask_b32_e32 v8, 0, v8, vcc_lo
	v_add_nc_u32_e32 v4, v7, v4
	s_delay_alu instid0(VALU_DEP_2)
	v_add_nc_u32_e32 v5, v8, v5
	ds_store_b64 v6, v[4:5] offset:2064
.LBB618_122:
	s_or_b32 exec_lo, exec_lo, s15
	v_cmp_gt_u32_e32 vcc_lo, 32, v0
	v_dual_mov_b32 v51, 0 :: v_dual_mov_b32 v52, 0
	s_mov_b32 s15, exec_lo
	s_waitcnt lgkmcnt(0)
	s_barrier
	buffer_gl0_inv
	v_cmpx_lt_u32_e32 31, v0
	s_cbranch_execz .LBB618_124
; %bb.123:
	ds_load_b64 v[51:52], v3 offset:2056
	v_cmp_eq_u32_e64 s14, 0, v1
	s_waitcnt lgkmcnt(0)
	s_delay_alu instid0(VALU_DEP_1) | instskip(SKIP_1) | instid1(VALU_DEP_2)
	v_cndmask_b32_e64 v3, 0, v52, s14
	v_add_nc_u32_e32 v1, v51, v1
	v_add_nc_u32_e32 v2, v3, v2
.LBB618_124:
	s_or_b32 exec_lo, exec_lo, s15
	v_add_nc_u32_e32 v3, -1, v81
	s_delay_alu instid0(VALU_DEP_1) | instskip(NEXT) | instid1(VALU_DEP_1)
	v_cmp_gt_i32_e64 s14, 0, v3
	v_cndmask_b32_e64 v3, v3, v81, s14
	v_cmp_eq_u32_e64 s14, 0, v81
	s_delay_alu instid0(VALU_DEP_2)
	v_lshlrev_b32_e32 v3, 2, v3
	ds_bpermute_b32 v35, v3, v1
	ds_bpermute_b32 v57, v3, v2
	s_and_saveexec_b32 s22, vcc_lo
	s_cbranch_execz .LBB618_142
; %bb.125:
	v_mov_b32_e32 v4, 0
	ds_load_b64 v[1:2], v4 offset:2120
	s_waitcnt lgkmcnt(0)
	v_readfirstlane_b32 s23, v2
	s_and_saveexec_b32 s15, s14
	s_cbranch_execz .LBB618_127
; %bb.126:
	s_add_i32 s24, s33, 32
	s_mov_b32 s25, 0
	v_mov_b32_e32 v3, 1
	s_lshl_b64 s[36:37], s[24:25], 4
	s_mov_b32 s40, s25
	s_add_u32 s36, s20, s36
	s_addc_u32 s37, s21, s37
	s_and_b32 s41, s23, 0xff000000
	s_and_b32 s43, s23, 0xff0000
	s_mov_b32 s42, s25
	v_dual_mov_b32 v5, s36 :: v_dual_mov_b32 v6, s37
	s_or_b64 s[40:41], s[42:43], s[40:41]
	s_and_b32 s43, s23, 0xff00
	s_delay_alu instid0(SALU_CYCLE_1) | instskip(SKIP_1) | instid1(SALU_CYCLE_1)
	s_or_b64 s[40:41], s[40:41], s[42:43]
	s_and_b32 s43, s23, 0xff
	s_or_b64 s[24:25], s[40:41], s[42:43]
	s_delay_alu instid0(SALU_CYCLE_1)
	v_mov_b32_e32 v2, s25
	;;#ASMSTART
	global_store_dwordx4 v[5:6], v[1:4] off	
s_waitcnt vmcnt(0)
	;;#ASMEND
.LBB618_127:
	s_or_b32 exec_lo, exec_lo, s15
	v_xad_u32 v53, v81, -1, s33
	s_mov_b32 s24, 0
	s_mov_b32 s15, exec_lo
	s_delay_alu instid0(VALU_DEP_1) | instskip(NEXT) | instid1(VALU_DEP_1)
	v_add_nc_u32_e32 v3, 32, v53
	v_lshlrev_b64 v[2:3], 4, v[3:4]
	s_delay_alu instid0(VALU_DEP_1) | instskip(NEXT) | instid1(VALU_DEP_2)
	v_add_co_u32 v2, vcc_lo, s20, v2
	v_add_co_ci_u32_e32 v3, vcc_lo, s21, v3, vcc_lo
	;;#ASMSTART
	global_load_dwordx4 v[5:8], v[2:3] off glc	
s_waitcnt vmcnt(0)
	;;#ASMEND
	v_and_b32_e32 v4, 0xff, v6
	v_and_b32_e32 v8, 0xff00, v6
	;; [unrolled: 1-line block ×3, first 2 shown]
	v_or3_b32 v5, v5, 0, 0
	v_and_b32_e32 v6, 0xff000000, v6
	s_delay_alu instid0(VALU_DEP_4) | instskip(SKIP_1) | instid1(VALU_DEP_4)
	v_or3_b32 v4, 0, v4, v8
	v_and_b32_e32 v8, 0xff, v7
	v_or3_b32 v5, v5, 0, 0
	s_delay_alu instid0(VALU_DEP_3) | instskip(NEXT) | instid1(VALU_DEP_3)
	v_or3_b32 v6, v4, v54, v6
	v_cmpx_eq_u16_e32 0, v8
	s_cbranch_execz .LBB618_130
.LBB618_128:                            ; =>This Inner Loop Header: Depth=1
	;;#ASMSTART
	global_load_dwordx4 v[5:8], v[2:3] off glc	
s_waitcnt vmcnt(0)
	;;#ASMEND
	v_and_b32_e32 v4, 0xff, v7
	s_delay_alu instid0(VALU_DEP_1) | instskip(SKIP_1) | instid1(SALU_CYCLE_1)
	v_cmp_ne_u16_e32 vcc_lo, 0, v4
	s_or_b32 s24, vcc_lo, s24
	s_and_not1_b32 exec_lo, exec_lo, s24
	s_cbranch_execnz .LBB618_128
; %bb.129:
	s_or_b32 exec_lo, exec_lo, s24
.LBB618_130:
	s_delay_alu instid0(SALU_CYCLE_1)
	s_or_b32 exec_lo, exec_lo, s15
	v_cmp_ne_u32_e32 vcc_lo, 31, v81
	v_and_b32_e32 v3, 0xff, v7
	v_lshlrev_b32_e64 v58, v81, -1
	v_add_nc_u32_e32 v60, 2, v81
	v_add_nc_u32_e32 v62, 4, v81
	v_add_co_ci_u32_e32 v2, vcc_lo, 0, v81, vcc_lo
	v_cmp_eq_u16_e32 vcc_lo, 2, v3
	v_add_nc_u32_e32 v64, 8, v81
	v_add_nc_u32_e32 v66, 16, v81
	v_and_or_b32 v8, vcc_lo, v58, 0x80000000
	v_cmp_gt_u32_e32 vcc_lo, 30, v81
	s_delay_alu instid0(VALU_DEP_2) | instskip(SKIP_2) | instid1(VALU_DEP_3)
	v_ctz_i32_b32_e32 v8, v8
	v_cndmask_b32_e64 v54, 0, 1, vcc_lo
	v_cmp_eq_u32_e32 vcc_lo, 0, v5
	v_cmp_lt_u32_e64 s15, v81, v8
	s_delay_alu instid0(VALU_DEP_3) | instskip(NEXT) | instid1(VALU_DEP_2)
	v_lshlrev_b32_e32 v54, 1, v54
	s_and_b32 vcc_lo, s15, vcc_lo
	v_lshlrev_b32_e32 v2, 2, v2
	s_delay_alu instid0(VALU_DEP_2)
	v_add_lshl_u32 v59, v54, v81, 2
	ds_bpermute_b32 v3, v2, v6
	s_waitcnt lgkmcnt(0)
	v_cndmask_b32_e32 v3, 0, v3, vcc_lo
	ds_bpermute_b32 v4, v2, v5
	v_cmp_gt_u32_e32 vcc_lo, 28, v81
	v_add_nc_u32_e32 v3, v3, v6
	ds_bpermute_b32 v6, v59, v3
	s_waitcnt lgkmcnt(1)
	v_cndmask_b32_e64 v4, 0, v4, s15
	s_delay_alu instid0(VALU_DEP_1) | instskip(SKIP_1) | instid1(VALU_DEP_2)
	v_add_nc_u32_e32 v4, v4, v5
	v_cndmask_b32_e64 v5, 0, 1, vcc_lo
	v_cmp_eq_u32_e32 vcc_lo, 0, v4
	ds_bpermute_b32 v54, v59, v4
	s_waitcnt lgkmcnt(1)
	v_dual_cndmask_b32 v6, 0, v6 :: v_dual_lshlrev_b32 v5, 2, v5
	v_cmp_gt_u32_e32 vcc_lo, v60, v8
	s_delay_alu instid0(VALU_DEP_2) | instskip(NEXT) | instid1(VALU_DEP_3)
	v_add_lshl_u32 v61, v5, v81, 2
	v_cndmask_b32_e64 v6, v6, 0, vcc_lo
	s_delay_alu instid0(VALU_DEP_1) | instskip(SKIP_4) | instid1(VALU_DEP_2)
	v_add_nc_u32_e32 v3, v6, v3
	ds_bpermute_b32 v5, v61, v3
	s_waitcnt lgkmcnt(1)
	v_cndmask_b32_e64 v6, v54, 0, vcc_lo
	v_cmp_gt_u32_e32 vcc_lo, 24, v81
	v_add_nc_u32_e32 v4, v4, v6
	v_cndmask_b32_e64 v54, 0, 1, vcc_lo
	ds_bpermute_b32 v6, v61, v4
	v_cmp_eq_u32_e32 vcc_lo, 0, v4
	v_lshlrev_b32_e32 v54, 3, v54
	s_delay_alu instid0(VALU_DEP_1) | instskip(SKIP_3) | instid1(VALU_DEP_2)
	v_add_lshl_u32 v63, v54, v81, 2
	s_waitcnt lgkmcnt(1)
	v_cndmask_b32_e32 v5, 0, v5, vcc_lo
	v_cmp_gt_u32_e32 vcc_lo, v62, v8
	v_cndmask_b32_e64 v5, v5, 0, vcc_lo
	s_delay_alu instid0(VALU_DEP_1)
	v_add_nc_u32_e32 v3, v3, v5
	s_waitcnt lgkmcnt(0)
	v_cndmask_b32_e64 v6, v6, 0, vcc_lo
	v_cmp_gt_u32_e32 vcc_lo, 16, v81
	ds_bpermute_b32 v5, v63, v3
	v_add_nc_u32_e32 v4, v4, v6
	v_cndmask_b32_e64 v54, 0, 1, vcc_lo
	ds_bpermute_b32 v6, v63, v4
	v_cmp_eq_u32_e32 vcc_lo, 0, v4
	v_lshlrev_b32_e32 v54, 4, v54
	s_delay_alu instid0(VALU_DEP_1) | instskip(SKIP_3) | instid1(VALU_DEP_2)
	v_add_lshl_u32 v65, v54, v81, 2
	s_waitcnt lgkmcnt(1)
	v_dual_mov_b32 v54, 0 :: v_dual_cndmask_b32 v5, 0, v5
	v_cmp_gt_u32_e32 vcc_lo, v64, v8
	v_cndmask_b32_e64 v5, v5, 0, vcc_lo
	s_delay_alu instid0(VALU_DEP_1)
	v_add_nc_u32_e32 v3, v3, v5
	s_waitcnt lgkmcnt(0)
	v_cndmask_b32_e64 v5, v6, 0, vcc_lo
	ds_bpermute_b32 v6, v65, v3
	v_add_nc_u32_e32 v4, v4, v5
	ds_bpermute_b32 v5, v65, v4
	v_cmp_eq_u32_e32 vcc_lo, 0, v4
	s_waitcnt lgkmcnt(1)
	v_cndmask_b32_e32 v6, 0, v6, vcc_lo
	v_cmp_gt_u32_e32 vcc_lo, v66, v8
	s_delay_alu instid0(VALU_DEP_2) | instskip(SKIP_2) | instid1(VALU_DEP_2)
	v_cndmask_b32_e64 v6, v6, 0, vcc_lo
	s_waitcnt lgkmcnt(0)
	v_cndmask_b32_e64 v5, v5, 0, vcc_lo
	v_add_nc_u32_e32 v6, v6, v3
	s_delay_alu instid0(VALU_DEP_2)
	v_add_nc_u32_e32 v5, v5, v4
	s_branch .LBB618_132
.LBB618_131:                            ;   in Loop: Header=BB618_132 Depth=1
	s_or_b32 exec_lo, exec_lo, s15
	v_and_b32_e32 v8, 0xff, v7
	ds_bpermute_b32 v55, v2, v5
	v_subrev_nc_u32_e32 v53, 32, v53
	v_cmp_eq_u16_e32 vcc_lo, 2, v8
	ds_bpermute_b32 v8, v2, v6
	v_and_or_b32 v56, vcc_lo, v58, 0x80000000
	v_cmp_eq_u32_e32 vcc_lo, 0, v5
	s_delay_alu instid0(VALU_DEP_2) | instskip(NEXT) | instid1(VALU_DEP_1)
	v_ctz_i32_b32_e32 v56, v56
	v_cmp_lt_u32_e64 s15, v81, v56
	s_delay_alu instid0(VALU_DEP_1) | instskip(SKIP_4) | instid1(VALU_DEP_2)
	s_and_b32 vcc_lo, s15, vcc_lo
	s_waitcnt lgkmcnt(1)
	v_cndmask_b32_e64 v55, 0, v55, s15
	s_waitcnt lgkmcnt(0)
	v_cndmask_b32_e32 v8, 0, v8, vcc_lo
	v_add_nc_u32_e32 v5, v55, v5
	s_delay_alu instid0(VALU_DEP_2)
	v_add_nc_u32_e32 v6, v8, v6
	ds_bpermute_b32 v55, v59, v5
	ds_bpermute_b32 v8, v59, v6
	v_cmp_eq_u32_e32 vcc_lo, 0, v5
	s_waitcnt lgkmcnt(0)
	v_cndmask_b32_e32 v8, 0, v8, vcc_lo
	v_cmp_gt_u32_e32 vcc_lo, v60, v56
	v_cndmask_b32_e64 v55, v55, 0, vcc_lo
	s_delay_alu instid0(VALU_DEP_1) | instskip(NEXT) | instid1(VALU_DEP_4)
	v_add_nc_u32_e32 v5, v5, v55
	v_cndmask_b32_e64 v8, v8, 0, vcc_lo
	ds_bpermute_b32 v55, v61, v5
	v_add_nc_u32_e32 v6, v8, v6
	v_cmp_eq_u32_e32 vcc_lo, 0, v5
	ds_bpermute_b32 v8, v61, v6
	s_waitcnt lgkmcnt(0)
	v_cndmask_b32_e32 v8, 0, v8, vcc_lo
	v_cmp_gt_u32_e32 vcc_lo, v62, v56
	v_cndmask_b32_e64 v55, v55, 0, vcc_lo
	s_delay_alu instid0(VALU_DEP_1) | instskip(NEXT) | instid1(VALU_DEP_4)
	v_add_nc_u32_e32 v5, v5, v55
	v_cndmask_b32_e64 v8, v8, 0, vcc_lo
	ds_bpermute_b32 v55, v63, v5
	v_add_nc_u32_e32 v6, v6, v8
	v_cmp_eq_u32_e32 vcc_lo, 0, v5
	ds_bpermute_b32 v8, v63, v6
	;; [unrolled: 11-line block ×3, first 2 shown]
	s_waitcnt lgkmcnt(0)
	v_cndmask_b32_e32 v8, 0, v8, vcc_lo
	v_cmp_gt_u32_e32 vcc_lo, v66, v56
	s_delay_alu instid0(VALU_DEP_2) | instskip(NEXT) | instid1(VALU_DEP_1)
	v_cndmask_b32_e64 v8, v8, 0, vcc_lo
	v_add_nc_u32_e32 v6, v8, v6
	v_cndmask_b32_e64 v8, v55, 0, vcc_lo
	v_cmp_eq_u32_e32 vcc_lo, 0, v3
	s_delay_alu instid0(VALU_DEP_2) | instskip(NEXT) | instid1(VALU_DEP_4)
	v_add3_u32 v5, v5, v3, v8
	v_cndmask_b32_e32 v6, 0, v6, vcc_lo
	s_delay_alu instid0(VALU_DEP_1)
	v_add_nc_u32_e32 v6, v6, v4
.LBB618_132:                            ; =>This Loop Header: Depth=1
                                        ;     Child Loop BB618_135 Depth 2
	s_delay_alu instid0(VALU_DEP_1) | instskip(NEXT) | instid1(VALU_DEP_1)
	v_dual_mov_b32 v4, v6 :: v_dual_and_b32 v3, 0xff, v7
	v_cmp_ne_u16_e32 vcc_lo, 2, v3
	v_cndmask_b32_e64 v3, 0, 1, vcc_lo
	;;#ASMSTART
	;;#ASMEND
	s_delay_alu instid0(VALU_DEP_1)
	v_cmp_ne_u32_e32 vcc_lo, 0, v3
	v_mov_b32_e32 v3, v5
	s_cmp_lg_u32 vcc_lo, exec_lo
	s_cbranch_scc1 .LBB618_137
; %bb.133:                              ;   in Loop: Header=BB618_132 Depth=1
	v_lshlrev_b64 v[5:6], 4, v[53:54]
	s_mov_b32 s15, exec_lo
	s_delay_alu instid0(VALU_DEP_1) | instskip(NEXT) | instid1(VALU_DEP_2)
	v_add_co_u32 v55, vcc_lo, s20, v5
	v_add_co_ci_u32_e32 v56, vcc_lo, s21, v6, vcc_lo
	;;#ASMSTART
	global_load_dwordx4 v[5:8], v[55:56] off glc	
s_waitcnt vmcnt(0)
	;;#ASMEND
	v_and_b32_e32 v8, 0xff, v6
	v_and_b32_e32 v67, 0xff00, v6
	;; [unrolled: 1-line block ×3, first 2 shown]
	v_or3_b32 v5, v5, 0, 0
	v_and_b32_e32 v6, 0xff000000, v6
	s_delay_alu instid0(VALU_DEP_4) | instskip(SKIP_1) | instid1(VALU_DEP_4)
	v_or3_b32 v8, 0, v8, v67
	v_and_b32_e32 v67, 0xff, v7
	v_or3_b32 v5, v5, 0, 0
	s_delay_alu instid0(VALU_DEP_3) | instskip(NEXT) | instid1(VALU_DEP_3)
	v_or3_b32 v6, v8, v68, v6
	v_cmpx_eq_u16_e32 0, v67
	s_cbranch_execz .LBB618_131
; %bb.134:                              ;   in Loop: Header=BB618_132 Depth=1
	s_mov_b32 s24, 0
.LBB618_135:                            ;   Parent Loop BB618_132 Depth=1
                                        ; =>  This Inner Loop Header: Depth=2
	;;#ASMSTART
	global_load_dwordx4 v[5:8], v[55:56] off glc	
s_waitcnt vmcnt(0)
	;;#ASMEND
	v_and_b32_e32 v8, 0xff, v7
	s_delay_alu instid0(VALU_DEP_1) | instskip(SKIP_1) | instid1(SALU_CYCLE_1)
	v_cmp_ne_u16_e32 vcc_lo, 0, v8
	s_or_b32 s24, vcc_lo, s24
	s_and_not1_b32 exec_lo, exec_lo, s24
	s_cbranch_execnz .LBB618_135
; %bb.136:                              ;   in Loop: Header=BB618_132 Depth=1
	s_or_b32 exec_lo, exec_lo, s24
	s_branch .LBB618_131
.LBB618_137:                            ;   in Loop: Header=BB618_132 Depth=1
                                        ; implicit-def: $vgpr6
                                        ; implicit-def: $vgpr5
                                        ; implicit-def: $vgpr7
	s_cbranch_execz .LBB618_132
; %bb.138:
	s_and_saveexec_b32 s15, s14
	s_cbranch_execz .LBB618_140
; %bb.139:
	v_cmp_eq_u32_e32 vcc_lo, 0, v1
	s_mov_b32 s25, 0
	s_add_i32 s24, s33, 32
	v_add_nc_u32_e32 v5, v3, v1
	s_lshl_b64 s[24:25], s[24:25], 4
	v_cndmask_b32_e32 v2, 0, v4, vcc_lo
	s_add_u32 s24, s20, s24
	s_addc_u32 s25, s21, s25
	v_mov_b32_e32 v8, 0
	s_delay_alu instid0(VALU_DEP_2) | instskip(NEXT) | instid1(VALU_DEP_1)
	v_add_nc_u32_e32 v2, s23, v2
	v_and_b32_e32 v6, 0xff000000, v2
	v_and_b32_e32 v7, 0xff0000, v2
	s_delay_alu instid0(VALU_DEP_1) | instskip(SKIP_3) | instid1(VALU_DEP_1)
	v_or_b32_e32 v6, v7, v6
	v_mov_b32_e32 v7, 2
	v_and_b32_e32 v53, 0xff00, v2
	v_and_b32_e32 v2, 0xff, v2
	v_or3_b32 v6, v6, v53, v2
	v_mov_b32_e32 v2, s23
	v_dual_mov_b32 v54, s25 :: v_dual_mov_b32 v53, s24
	;;#ASMSTART
	global_store_dwordx4 v[53:54], v[5:8] off	
s_waitcnt vmcnt(0)
	;;#ASMEND
	ds_store_b128 v8, v[1:4] offset:2048
.LBB618_140:
	s_or_b32 exec_lo, exec_lo, s15
	s_delay_alu instid0(SALU_CYCLE_1)
	s_and_b32 exec_lo, exec_lo, s2
	s_cbranch_execz .LBB618_142
; %bb.141:
	v_mov_b32_e32 v1, 0
	ds_store_b64 v1, v[3:4] offset:2120
.LBB618_142:
	s_or_b32 exec_lo, exec_lo, s22
	s_waitcnt lgkmcnt(1)
	v_cndmask_b32_e64 v4, v35, v51, s14
	s_waitcnt lgkmcnt(0)
	s_barrier
	buffer_gl0_inv
	v_cndmask_b32_e64 v5, v57, v52, s14
	v_cmp_eq_u32_e32 vcc_lo, 0, v4
	v_mov_b32_e32 v3, 0
	ds_load_b64 v[1:2], v3 offset:2120
	s_waitcnt lgkmcnt(0)
	s_barrier
	buffer_gl0_inv
	v_cndmask_b32_e32 v6, 0, v2, vcc_lo
	v_cmp_eq_u32_e32 vcc_lo, 0, v27
	s_delay_alu instid0(VALU_DEP_2) | instskip(NEXT) | instid1(VALU_DEP_1)
	v_add_nc_u32_e32 v5, v6, v5
	v_cndmask_b32_e64 v68, v5, v2, s2
	s_delay_alu instid0(VALU_DEP_1) | instskip(NEXT) | instid1(VALU_DEP_1)
	v_cndmask_b32_e32 v2, 0, v68, vcc_lo
	v_add_nc_u32_e32 v74, v2, v49
	s_delay_alu instid0(VALU_DEP_1) | instskip(NEXT) | instid1(VALU_DEP_1)
	v_cndmask_b32_e64 v2, 0, v74, s13
	v_add_nc_u32_e32 v70, v2, v50
	s_delay_alu instid0(VALU_DEP_1) | instskip(NEXT) | instid1(VALU_DEP_1)
	v_cndmask_b32_e64 v2, 0, v70, s12
	;; [unrolled: 3-line block ×5, first 2 shown]
	v_add_nc_u32_e32 v54, v2, v46
	v_cndmask_b32_e64 v2, v4, 0, s2
	s_delay_alu instid0(VALU_DEP_2) | instskip(NEXT) | instid1(VALU_DEP_2)
	v_cndmask_b32_e64 v4, 0, v54, s8
	v_add_nc_u32_e32 v67, v1, v2
	s_delay_alu instid0(VALU_DEP_2) | instskip(NEXT) | instid1(VALU_DEP_1)
	v_add_nc_u32_e32 v58, v4, v43
	v_cndmask_b32_e64 v1, 0, v58, s7
	s_delay_alu instid0(VALU_DEP_1) | instskip(NEXT) | instid1(VALU_DEP_1)
	v_add_nc_u32_e32 v62, v1, v44
	v_cndmask_b32_e64 v1, 0, v62, s6
	s_delay_alu instid0(VALU_DEP_1) | instskip(NEXT) | instid1(VALU_DEP_1)
	;; [unrolled: 3-line block ×3, first 2 shown]
	v_add_nc_u32_e32 v8, v1, v42
	v_cndmask_b32_e64 v1, 0, v8, s4
	s_delay_alu instid0(VALU_DEP_1) | instskip(SKIP_2) | instid1(VALU_DEP_1)
	v_add_nc_u32_e32 v52, v1, v39
	ds_load_b128 v[1:4], v3 offset:2048
	v_cndmask_b32_e64 v35, 0, v52, s3
	v_add_nc_u32_e32 v76, v35, v40
	s_delay_alu instid0(VALU_DEP_1) | instskip(NEXT) | instid1(VALU_DEP_1)
	v_cndmask_b32_e64 v35, 0, v76, s1
	v_add_nc_u32_e32 v72, v35, v37
	s_waitcnt lgkmcnt(0)
	v_cmp_eq_u32_e32 vcc_lo, 0, v1
	s_delay_alu instid0(VALU_DEP_2) | instskip(SKIP_1) | instid1(VALU_DEP_2)
	v_cndmask_b32_e64 v35, 0, v72, s0
	v_dual_cndmask_b32 v4, 0, v4 :: v_dual_add_nc_u32 v73, v67, v27
	v_add_nc_u32_e32 v64, v35, v38
	s_delay_alu instid0(VALU_DEP_2) | instskip(NEXT) | instid1(VALU_DEP_3)
	v_add_nc_u32_e32 v35, v4, v2
	v_add_nc_u32_e32 v69, v73, v36
	s_delay_alu instid0(VALU_DEP_1) | instskip(NEXT) | instid1(VALU_DEP_1)
	v_add_nc_u32_e32 v65, v69, v33
	v_add_nc_u32_e32 v59, v65, v34
	s_delay_alu instid0(VALU_DEP_1) | instskip(NEXT) | instid1(VALU_DEP_1)
	;; [unrolled: 3-line block ×6, first 2 shown]
	v_add_nc_u32_e32 v71, v75, v79
	v_add_nc_u32_e32 v63, v71, v28
	s_branch .LBB618_155
.LBB618_143:
                                        ; implicit-def: $vgpr1
                                        ; implicit-def: $vgpr35
                                        ; implicit-def: $vgpr67_vgpr68
                                        ; implicit-def: $vgpr73_vgpr74
                                        ; implicit-def: $vgpr69_vgpr70
                                        ; implicit-def: $vgpr65_vgpr66
                                        ; implicit-def: $vgpr59_vgpr60
                                        ; implicit-def: $vgpr55_vgpr56
                                        ; implicit-def: $vgpr53_vgpr54
                                        ; implicit-def: $vgpr57_vgpr58
                                        ; implicit-def: $vgpr61_vgpr62
                                        ; implicit-def: $vgpr5_vgpr6
                                        ; implicit-def: $vgpr7_vgpr8
                                        ; implicit-def: $vgpr51_vgpr52
                                        ; implicit-def: $vgpr75_vgpr76
                                        ; implicit-def: $vgpr71_vgpr72
                                        ; implicit-def: $vgpr63_vgpr64
	s_cbranch_execz .LBB618_155
; %bb.144:
	s_and_b32 s0, s16, exec_lo
	v_mov_b32_e32 v35, v49
	s_cselect_b32 s1, 0, s35
	s_cselect_b32 s0, 0, s34
	s_delay_alu instid0(SALU_CYCLE_1)
	s_cmp_eq_u64 s[0:1], 0
	s_cbranch_scc1 .LBB618_146
; %bb.145:
	v_mov_b32_e32 v1, 0
	global_load_b32 v35, v1, s[0:1]
.LBB618_146:
	v_cmp_eq_u32_e64 s7, 0, v36
	v_cmp_eq_u32_e64 s8, 0, v33
	;; [unrolled: 1-line block ×5, first 2 shown]
	v_cndmask_b32_e64 v1, 0, v49, s7
	v_cmp_eq_u32_e64 s12, 0, v29
	v_cmp_eq_u32_e64 s6, 0, v30
	;; [unrolled: 1-line block ×4, first 2 shown]
	v_add_nc_u32_e32 v1, v1, v50
	v_cmp_eq_u32_e64 s3, 0, v23
	v_add3_u32 v2, v84, v32, v29
	v_cmp_eq_u32_e64 s1, 0, v24
	v_cmp_eq_u32_e32 vcc_lo, 0, v79
	v_cndmask_b32_e64 v1, 0, v1, s8
	v_cmp_eq_u32_e64 s0, 0, v28
	v_add3_u32 v2, v2, v30, v25
	v_cmp_eq_u32_e64 s13, 0, v78
	v_and_b32_e32 v4, 15, v81
	v_add_nc_u32_e32 v1, v1, v47
	s_delay_alu instid0(VALU_DEP_4) | instskip(NEXT) | instid1(VALU_DEP_3)
	v_add3_u32 v2, v2, v26, v23
	v_cmp_lt_u32_e64 s14, 1, v4
	s_delay_alu instid0(VALU_DEP_3) | instskip(NEXT) | instid1(VALU_DEP_3)
	v_cndmask_b32_e64 v1, 0, v1, s9
	v_add3_u32 v2, v2, v24, v79
	s_delay_alu instid0(VALU_DEP_2) | instskip(NEXT) | instid1(VALU_DEP_2)
	v_add_nc_u32_e32 v1, v1, v48
	v_add3_u32 v2, v2, v28, v78
	s_delay_alu instid0(VALU_DEP_2) | instskip(SKIP_1) | instid1(VALU_DEP_2)
	v_cndmask_b32_e64 v1, 0, v1, s10
	s_waitcnt lgkmcnt(0)
	v_mov_b32_dpp v5, v2 row_shr:1 row_mask:0xf bank_mask:0xf
	s_delay_alu instid0(VALU_DEP_2) | instskip(NEXT) | instid1(VALU_DEP_1)
	v_add_nc_u32_e32 v1, v1, v45
	v_cndmask_b32_e64 v1, 0, v1, s11
	s_delay_alu instid0(VALU_DEP_1) | instskip(NEXT) | instid1(VALU_DEP_1)
	v_add_nc_u32_e32 v1, v1, v46
	v_cndmask_b32_e64 v1, 0, v1, s12
	s_delay_alu instid0(VALU_DEP_1) | instskip(NEXT) | instid1(VALU_DEP_1)
	;; [unrolled: 3-line block ×7, first 2 shown]
	v_add_nc_u32_e32 v1, v1, v40
	v_cndmask_b32_e32 v1, 0, v1, vcc_lo
	s_delay_alu instid0(VALU_DEP_1) | instskip(NEXT) | instid1(VALU_DEP_1)
	v_add_nc_u32_e32 v1, v1, v37
	v_cndmask_b32_e64 v1, 0, v1, s0
	s_delay_alu instid0(VALU_DEP_1) | instskip(NEXT) | instid1(VALU_DEP_1)
	v_add_nc_u32_e32 v1, v1, v38
	v_cndmask_b32_e64 v1, 0, v1, s13
	v_cmp_eq_u32_e64 s13, 0, v2
	s_delay_alu instid0(VALU_DEP_2) | instskip(NEXT) | instid1(VALU_DEP_1)
	v_add_nc_u32_e32 v1, v1, v80
	v_mov_b32_dpp v3, v1 row_shr:1 row_mask:0xf bank_mask:0xf
	s_delay_alu instid0(VALU_DEP_1) | instskip(SKIP_1) | instid1(VALU_DEP_1)
	v_cndmask_b32_e64 v3, 0, v3, s13
	v_cmp_eq_u32_e64 s13, 0, v4
	v_cndmask_b32_e64 v5, v5, 0, s13
	s_delay_alu instid0(VALU_DEP_3) | instskip(NEXT) | instid1(VALU_DEP_2)
	v_cndmask_b32_e64 v3, v3, 0, s13
	v_add_nc_u32_e32 v2, v5, v2
	s_delay_alu instid0(VALU_DEP_2) | instskip(NEXT) | instid1(VALU_DEP_2)
	v_add_nc_u32_e32 v1, v3, v1
	v_mov_b32_dpp v3, v2 row_shr:2 row_mask:0xf bank_mask:0xf
	v_cmp_eq_u32_e64 s13, 0, v2
	s_delay_alu instid0(VALU_DEP_3) | instskip(NEXT) | instid1(VALU_DEP_3)
	v_mov_b32_dpp v5, v1 row_shr:2 row_mask:0xf bank_mask:0xf
	v_cndmask_b32_e64 v3, 0, v3, s14
	s_delay_alu instid0(VALU_DEP_3) | instskip(SKIP_1) | instid1(VALU_DEP_3)
	s_and_b32 s13, s14, s13
	v_cmp_lt_u32_e64 s14, 3, v4
	v_cndmask_b32_e64 v5, 0, v5, s13
	s_delay_alu instid0(VALU_DEP_3) | instskip(NEXT) | instid1(VALU_DEP_2)
	v_add_nc_u32_e32 v2, v2, v3
	v_add_nc_u32_e32 v1, v5, v1
	s_delay_alu instid0(VALU_DEP_2) | instskip(SKIP_1) | instid1(VALU_DEP_3)
	v_mov_b32_dpp v3, v2 row_shr:4 row_mask:0xf bank_mask:0xf
	v_cmp_eq_u32_e64 s13, 0, v2
	v_mov_b32_dpp v5, v1 row_shr:4 row_mask:0xf bank_mask:0xf
	s_delay_alu instid0(VALU_DEP_3) | instskip(NEXT) | instid1(VALU_DEP_3)
	v_cndmask_b32_e64 v3, 0, v3, s14
	s_and_b32 s13, s14, s13
	v_cmp_lt_u32_e64 s14, 7, v4
	s_delay_alu instid0(VALU_DEP_3) | instskip(NEXT) | instid1(VALU_DEP_3)
	v_cndmask_b32_e64 v5, 0, v5, s13
	v_add_nc_u32_e32 v2, v3, v2
	s_delay_alu instid0(VALU_DEP_2) | instskip(SKIP_1) | instid1(VALU_DEP_3)
	v_add_nc_u32_e32 v1, v1, v5
	v_bfe_i32 v5, v81, 4, 1
	v_cmp_eq_u32_e64 s13, 0, v2
	v_mov_b32_dpp v3, v2 row_shr:8 row_mask:0xf bank_mask:0xf
	s_delay_alu instid0(VALU_DEP_4) | instskip(NEXT) | instid1(VALU_DEP_3)
	v_mov_b32_dpp v4, v1 row_shr:8 row_mask:0xf bank_mask:0xf
	s_and_b32 s13, s14, s13
	s_delay_alu instid0(VALU_DEP_2) | instskip(SKIP_1) | instid1(VALU_DEP_2)
	v_cndmask_b32_e64 v3, 0, v3, s14
	s_mov_b32 s14, exec_lo
	v_cndmask_b32_e64 v4, 0, v4, s13
	s_delay_alu instid0(VALU_DEP_1) | instskip(NEXT) | instid1(VALU_DEP_3)
	v_add_nc_u32_e32 v4, v4, v1
	v_add_nc_u32_e32 v1, v3, v2
	ds_swizzle_b32 v2, v4 offset:swizzle(BROADCAST,32,15)
	ds_swizzle_b32 v3, v1 offset:swizzle(BROADCAST,32,15)
	v_cmp_eq_u32_e64 s13, 0, v1
	s_waitcnt lgkmcnt(1)
	s_delay_alu instid0(VALU_DEP_1) | instskip(SKIP_2) | instid1(VALU_DEP_2)
	v_cndmask_b32_e64 v2, 0, v2, s13
	s_waitcnt lgkmcnt(0)
	v_and_b32_e32 v3, v5, v3
	v_and_b32_e32 v2, v5, v2
	s_delay_alu instid0(VALU_DEP_2) | instskip(NEXT) | instid1(VALU_DEP_2)
	v_add_nc_u32_e32 v1, v3, v1
	v_add_nc_u32_e32 v2, v2, v4
	v_lshlrev_b32_e32 v4, 3, v82
	v_cmpx_eq_u32_e64 v83, v0
	s_cbranch_execz .LBB618_148
; %bb.147:
	ds_store_b64 v4, v[1:2] offset:2064
.LBB618_148:
	s_or_b32 exec_lo, exec_lo, s14
	s_delay_alu instid0(SALU_CYCLE_1)
	s_mov_b32 s15, exec_lo
	s_waitcnt vmcnt(0) lgkmcnt(0)
	s_barrier
	buffer_gl0_inv
	v_cmpx_gt_u32_e32 8, v0
	s_cbranch_execz .LBB618_150
; %bb.149:
	v_lshlrev_b32_e32 v3, 3, v0
	v_and_b32_e32 v8, 7, v81
	ds_load_b64 v[5:6], v3 offset:2064
	v_cmp_lt_u32_e64 s14, 1, v8
	s_waitcnt lgkmcnt(0)
	v_mov_b32_dpp v7, v6 row_shr:1 row_mask:0xf bank_mask:0xf
	v_cmp_eq_u32_e64 s13, 0, v5
	v_mov_b32_dpp v51, v5 row_shr:1 row_mask:0xf bank_mask:0xf
	s_delay_alu instid0(VALU_DEP_2) | instskip(SKIP_1) | instid1(VALU_DEP_1)
	v_cndmask_b32_e64 v7, 0, v7, s13
	v_cmp_eq_u32_e64 s13, 0, v8
	v_cndmask_b32_e64 v51, v51, 0, s13
	s_delay_alu instid0(VALU_DEP_3) | instskip(NEXT) | instid1(VALU_DEP_2)
	v_cndmask_b32_e64 v7, v7, 0, s13
	v_add_nc_u32_e32 v5, v51, v5
	s_delay_alu instid0(VALU_DEP_2) | instskip(NEXT) | instid1(VALU_DEP_2)
	v_add_nc_u32_e32 v6, v7, v6
	v_mov_b32_dpp v7, v5 row_shr:2 row_mask:0xf bank_mask:0xf
	v_cmp_eq_u32_e64 s13, 0, v5
	s_delay_alu instid0(VALU_DEP_3) | instskip(NEXT) | instid1(VALU_DEP_3)
	v_mov_b32_dpp v51, v6 row_shr:2 row_mask:0xf bank_mask:0xf
	v_cndmask_b32_e64 v7, 0, v7, s14
	s_delay_alu instid0(VALU_DEP_3) | instskip(SKIP_1) | instid1(VALU_DEP_3)
	s_and_b32 s13, s14, s13
	v_cmp_lt_u32_e64 s14, 3, v8
	v_cndmask_b32_e64 v51, 0, v51, s13
	s_delay_alu instid0(VALU_DEP_3) | instskip(NEXT) | instid1(VALU_DEP_2)
	v_add_nc_u32_e32 v5, v7, v5
	v_add_nc_u32_e32 v6, v51, v6
	s_delay_alu instid0(VALU_DEP_2) | instskip(SKIP_1) | instid1(VALU_DEP_3)
	v_cmp_eq_u32_e64 s13, 0, v5
	v_mov_b32_dpp v7, v5 row_shr:4 row_mask:0xf bank_mask:0xf
	v_mov_b32_dpp v8, v6 row_shr:4 row_mask:0xf bank_mask:0xf
	s_delay_alu instid0(VALU_DEP_3) | instskip(NEXT) | instid1(VALU_DEP_2)
	s_and_b32 s13, s14, s13
	v_cndmask_b32_e64 v7, 0, v7, s14
	s_delay_alu instid0(VALU_DEP_2) | instskip(NEXT) | instid1(VALU_DEP_2)
	v_cndmask_b32_e64 v8, 0, v8, s13
	v_add_nc_u32_e32 v5, v7, v5
	s_delay_alu instid0(VALU_DEP_2)
	v_add_nc_u32_e32 v6, v8, v6
	ds_store_b64 v3, v[5:6] offset:2064
.LBB618_150:
	s_or_b32 exec_lo, exec_lo, s15
	v_mov_b32_e32 v7, 0
	v_mov_b32_e32 v3, 0
	;; [unrolled: 1-line block ×3, first 2 shown]
	s_mov_b32 s14, exec_lo
	s_waitcnt lgkmcnt(0)
	s_barrier
	buffer_gl0_inv
	v_cmpx_lt_u32_e32 31, v0
	s_cbranch_execz .LBB618_152
; %bb.151:
	ds_load_b64 v[3:4], v4 offset:2056
	s_waitcnt lgkmcnt(0)
	v_cmp_eq_u32_e64 s13, 0, v3
	s_delay_alu instid0(VALU_DEP_1) | instskip(NEXT) | instid1(VALU_DEP_1)
	v_cndmask_b32_e64 v5, 0, v35, s13
	v_add_nc_u32_e32 v5, v5, v4
.LBB618_152:
	s_or_b32 exec_lo, exec_lo, s14
	v_add_nc_u32_e32 v4, -1, v81
	s_delay_alu instid0(VALU_DEP_1) | instskip(NEXT) | instid1(VALU_DEP_1)
	v_cmp_gt_i32_e64 s13, 0, v4
	v_cndmask_b32_e64 v4, v4, v81, s13
	v_cmp_eq_u32_e64 s13, 0, v1
	v_add_nc_u32_e32 v1, v3, v1
	s_delay_alu instid0(VALU_DEP_3) | instskip(NEXT) | instid1(VALU_DEP_3)
	v_lshlrev_b32_e32 v4, 2, v4
	v_cndmask_b32_e64 v6, 0, v5, s13
	v_cmp_eq_u32_e64 s13, 0, v81
	ds_bpermute_b32 v1, v4, v1
	v_add_nc_u32_e32 v2, v6, v2
	ds_bpermute_b32 v2, v4, v2
	s_waitcnt lgkmcnt(1)
	v_cndmask_b32_e64 v1, v1, v3, s13
	s_delay_alu instid0(VALU_DEP_1) | instskip(SKIP_3) | instid1(VALU_DEP_3)
	v_cndmask_b32_e64 v67, v1, 0, s2
	s_waitcnt lgkmcnt(0)
	v_cndmask_b32_e64 v2, v2, v5, s13
	v_cmp_eq_u32_e64 s13, 0, v27
	v_add_nc_u32_e32 v73, v67, v27
	s_delay_alu instid0(VALU_DEP_3) | instskip(NEXT) | instid1(VALU_DEP_2)
	v_cndmask_b32_e64 v68, v2, v35, s2
	v_add_nc_u32_e32 v69, v73, v36
	s_delay_alu instid0(VALU_DEP_2) | instskip(NEXT) | instid1(VALU_DEP_2)
	v_cndmask_b32_e64 v2, 0, v68, s13
	v_add_nc_u32_e32 v65, v69, v33
	s_delay_alu instid0(VALU_DEP_2) | instskip(NEXT) | instid1(VALU_DEP_2)
	v_add_nc_u32_e32 v74, v2, v49
	v_add_nc_u32_e32 v59, v65, v34
	s_delay_alu instid0(VALU_DEP_2) | instskip(NEXT) | instid1(VALU_DEP_2)
	v_cndmask_b32_e64 v2, 0, v74, s7
	v_add_nc_u32_e32 v55, v59, v31
	s_delay_alu instid0(VALU_DEP_2) | instskip(NEXT) | instid1(VALU_DEP_2)
	v_add_nc_u32_e32 v70, v2, v50
	;; [unrolled: 6-line block ×3, first 2 shown]
	v_add_nc_u32_e32 v61, v57, v30
	s_delay_alu instid0(VALU_DEP_2) | instskip(NEXT) | instid1(VALU_DEP_2)
	v_cndmask_b32_e64 v2, 0, v66, s9
	v_add_nc_u32_e32 v5, v61, v25
	s_delay_alu instid0(VALU_DEP_2) | instskip(NEXT) | instid1(VALU_DEP_1)
	v_add_nc_u32_e32 v60, v2, v48
	v_cndmask_b32_e64 v2, 0, v60, s10
	s_delay_alu instid0(VALU_DEP_1) | instskip(NEXT) | instid1(VALU_DEP_1)
	v_add_nc_u32_e32 v56, v2, v45
	v_cndmask_b32_e64 v2, 0, v56, s11
	s_delay_alu instid0(VALU_DEP_1) | instskip(NEXT) | instid1(VALU_DEP_1)
	;; [unrolled: 3-line block ×6, first 2 shown]
	v_add_nc_u32_e32 v8, v1, v42
	v_cndmask_b32_e64 v1, 0, v8, s3
	s_delay_alu instid0(VALU_DEP_1) | instskip(SKIP_3) | instid1(VALU_DEP_2)
	v_add_nc_u32_e32 v52, v1, v39
	ds_load_b64 v[1:2], v7 offset:2120
	v_add_nc_u32_e32 v7, v5, v26
	v_cndmask_b32_e64 v3, 0, v52, s1
	v_add_nc_u32_e32 v51, v7, v23
	s_delay_alu instid0(VALU_DEP_2) | instskip(NEXT) | instid1(VALU_DEP_2)
	v_add_nc_u32_e32 v76, v3, v40
	v_add_nc_u32_e32 v75, v51, v24
	s_delay_alu instid0(VALU_DEP_2) | instskip(NEXT) | instid1(VALU_DEP_2)
	v_cndmask_b32_e32 v3, 0, v76, vcc_lo
	v_add_nc_u32_e32 v71, v75, v79
	s_delay_alu instid0(VALU_DEP_2) | instskip(SKIP_2) | instid1(VALU_DEP_3)
	v_add_nc_u32_e32 v72, v3, v37
	s_waitcnt lgkmcnt(0)
	v_cmp_eq_u32_e32 vcc_lo, 0, v1
	v_add_nc_u32_e32 v63, v71, v28
	s_delay_alu instid0(VALU_DEP_3) | instskip(SKIP_1) | instid1(VALU_DEP_2)
	v_cndmask_b32_e64 v3, 0, v72, s0
	v_cndmask_b32_e32 v4, 0, v35, vcc_lo
	v_add_nc_u32_e32 v64, v3, v38
	s_delay_alu instid0(VALU_DEP_2)
	v_add_nc_u32_e32 v35, v4, v2
	s_and_saveexec_b32 s0, s2
	s_cbranch_execz .LBB618_154
; %bb.153:
	s_delay_alu instid0(VALU_DEP_1)
	v_and_b32_e32 v2, 0xff000000, v35
	v_dual_mov_b32 v4, 0 :: v_dual_and_b32 v3, 0xff0000, v35
	s_add_u32 s4, s20, 0x200
	v_and_b32_e32 v37, 0xff00, v35
	s_addc_u32 s5, s21, 0
	v_and_b32_e32 v38, 0xff, v35
	v_or_b32_e32 v2, v3, v2
	v_mov_b32_e32 v3, 2
	s_delay_alu instid0(VALU_DEP_2)
	v_or3_b32 v2, v2, v37, v38
	v_dual_mov_b32 v38, s5 :: v_dual_mov_b32 v37, s4
	;;#ASMSTART
	global_store_dwordx4 v[37:38], v[1:4] off	
s_waitcnt vmcnt(0)
	;;#ASMEND
.LBB618_154:
	s_or_b32 exec_lo, exec_lo, s0
	v_mov_b32_e32 v3, 0
.LBB618_155:
	v_mov_b32_e32 v37, 0
	s_and_b32 s0, s16, exec_lo
	v_mov_b32_e32 v38, 0
	s_cselect_b32 s1, 0, s39
	s_cselect_b32 s0, 0, s38
	s_waitcnt lgkmcnt(0)
	s_cmp_eq_u64 s[0:1], 0
	s_barrier
	buffer_gl0_inv
	s_cbranch_scc1 .LBB618_157
; %bb.156:
	v_mov_b32_e32 v2, 0
	global_load_b64 v[37:38], v2, s[0:1]
.LBB618_157:
	v_cmp_eq_u32_e32 vcc_lo, 0, v27
	v_cmp_ne_u32_e64 s15, 0, v27
	v_cmp_ne_u32_e64 s14, 0, v36
	;; [unrolled: 1-line block ×4, first 2 shown]
	v_cndmask_b32_e64 v2, 1, 2, vcc_lo
	v_cmp_eq_u32_e32 vcc_lo, 0, v36
	v_cmp_ne_u32_e64 s11, 0, v31
	v_cmp_ne_u32_e64 s10, 0, v32
	;; [unrolled: 1-line block ×4, first 2 shown]
	v_cndmask_b32_e64 v4, 1, 2, vcc_lo
	v_cmp_eq_u32_e32 vcc_lo, 0, v33
	v_cmp_ne_u32_e64 s9, 0, v25
	v_cmp_ne_u32_e64 s7, 0, v26
	;; [unrolled: 1-line block ×3, first 2 shown]
	v_and_b32_e32 v2, v4, v2
	v_cndmask_b32_e64 v39, 1, 2, vcc_lo
	v_cmp_eq_u32_e32 vcc_lo, 0, v34
	v_cmp_ne_u32_e64 s4, 0, v24
	v_cmp_ne_u32_e64 s3, 0, v79
	;; [unrolled: 1-line block ×3, first 2 shown]
	v_and_b32_e32 v2, v2, v39
	v_cndmask_b32_e64 v4, 1, 2, vcc_lo
	v_cmp_eq_u32_e32 vcc_lo, 0, v31
	v_cmp_ne_u32_e64 s0, 0, v78
	s_delay_alu instid0(VALU_DEP_3) | instskip(SKIP_2) | instid1(VALU_DEP_2)
	v_and_b32_e32 v2, v2, v4
	v_cndmask_b32_e64 v39, 1, 2, vcc_lo
	v_cmp_eq_u32_e32 vcc_lo, 0, v32
	v_and_b32_e32 v2, v2, v39
	v_cndmask_b32_e64 v4, 1, 2, vcc_lo
	v_cmp_eq_u32_e32 vcc_lo, 0, v29
	s_waitcnt vmcnt(0)
	v_lshlrev_b64 v[39:40], 2, v[37:38]
	s_delay_alu instid0(VALU_DEP_3) | instskip(SKIP_2) | instid1(VALU_DEP_2)
	v_and_b32_e32 v2, v2, v4
	v_cndmask_b32_e64 v41, 1, 2, vcc_lo
	v_cmp_eq_u32_e32 vcc_lo, 0, v30
	v_and_b32_e32 v2, v2, v41
	v_cndmask_b32_e64 v42, 1, 2, vcc_lo
	v_cmp_eq_u32_e32 vcc_lo, 0, v25
	s_delay_alu instid0(VALU_DEP_2) | instskip(SKIP_2) | instid1(VALU_DEP_2)
	v_and_b32_e32 v2, v2, v42
	v_cndmask_b32_e64 v41, 1, 2, vcc_lo
	v_cmp_eq_u32_e32 vcc_lo, 0, v26
	v_and_b32_e32 v2, v2, v41
	v_cndmask_b32_e64 v42, 1, 2, vcc_lo
	v_cmp_eq_u32_e32 vcc_lo, 0, v23
	s_delay_alu instid0(VALU_DEP_2) | instskip(SKIP_2) | instid1(VALU_DEP_2)
	v_and_b32_e32 v2, v2, v42
	v_cndmask_b32_e64 v41, 1, 2, vcc_lo
	v_cmp_eq_u32_e32 vcc_lo, 0, v24
	v_and_b32_e32 v2, v2, v41
	v_cndmask_b32_e64 v43, 1, 2, vcc_lo
	v_cmp_eq_u32_e32 vcc_lo, 0, v79
	s_delay_alu instid0(VALU_DEP_2) | instskip(SKIP_2) | instid1(VALU_DEP_2)
	v_and_b32_e32 v2, v2, v43
	v_cndmask_b32_e64 v44, 1, 2, vcc_lo
	v_cmp_eq_u32_e32 vcc_lo, 0, v28
	v_and_b32_e32 v44, v2, v44
	v_cndmask_b32_e64 v45, 1, 2, vcc_lo
	v_mov_b32_e32 v4, 0
	s_delay_alu instid0(VALU_DEP_1) | instskip(SKIP_3) | instid1(VALU_DEP_2)
	v_lshlrev_b64 v[41:42], 2, v[3:4]
	v_add_co_u32 v4, vcc_lo, s18, v39
	v_add_co_ci_u32_e32 v43, vcc_lo, s19, v40, vcc_lo
	s_mov_b32 s18, -1
	v_add_co_u32 v2, vcc_lo, v4, v41
	s_delay_alu instid0(VALU_DEP_2) | instskip(SKIP_4) | instid1(VALU_DEP_2)
	v_add_co_ci_u32_e32 v4, vcc_lo, v43, v42, vcc_lo
	v_and_b32_e32 v43, v44, v45
	v_cmp_eq_u32_e32 vcc_lo, 0, v78
	v_cndmask_b32_e64 v44, 1, 2, vcc_lo
	v_cmp_gt_u32_e32 vcc_lo, 0x100, v1
	v_and_b32_e32 v43, v43, v44
	s_delay_alu instid0(VALU_DEP_1)
	v_cmp_gt_i16_e64 s16, 2, v43
	s_cbranch_vccz .LBB618_164
; %bb.158:
	s_delay_alu instid0(VALU_DEP_1)
	s_and_saveexec_b32 s18, s16
	s_cbranch_execz .LBB618_163
; %bb.159:
	s_mov_b32 s19, 0
	s_mov_b32 s16, exec_lo
	v_cmpx_ne_u16_e32 1, v43
	s_xor_b32 s16, exec_lo, s16
	s_cbranch_execnz .LBB618_229
; %bb.160:
	s_and_not1_saveexec_b32 s16, s16
	s_cbranch_execnz .LBB618_245
.LBB618_161:
	s_or_b32 exec_lo, exec_lo, s16
	s_delay_alu instid0(SALU_CYCLE_1)
	s_and_b32 exec_lo, exec_lo, s19
	s_cbranch_execz .LBB618_163
.LBB618_162:
	v_sub_nc_u32_e32 v44, v63, v3
	v_mov_b32_e32 v45, 0
	s_delay_alu instid0(VALU_DEP_1) | instskip(NEXT) | instid1(VALU_DEP_1)
	v_lshlrev_b64 v[44:45], 2, v[44:45]
	v_add_co_u32 v44, vcc_lo, v2, v44
	s_delay_alu instid0(VALU_DEP_2)
	v_add_co_ci_u32_e32 v45, vcc_lo, v4, v45, vcc_lo
	global_store_b32 v[44:45], v77, off
.LBB618_163:
	s_or_b32 exec_lo, exec_lo, s18
	s_mov_b32 s18, 0
.LBB618_164:
	s_delay_alu instid0(SALU_CYCLE_1)
	s_and_b32 vcc_lo, exec_lo, s18
	s_cbranch_vccz .LBB618_174
; %bb.165:
	s_mov_b32 s16, exec_lo
	v_cmpx_gt_i16_e32 2, v43
	s_cbranch_execz .LBB618_170
; %bb.166:
	s_mov_b32 s19, 0
	s_mov_b32 s18, exec_lo
	v_cmpx_ne_u16_e32 1, v43
	s_xor_b32 s18, exec_lo, s18
	s_cbranch_execnz .LBB618_246
; %bb.167:
	s_and_not1_saveexec_b32 s0, s18
	s_cbranch_execnz .LBB618_262
.LBB618_168:
	s_or_b32 exec_lo, exec_lo, s0
	s_delay_alu instid0(SALU_CYCLE_1)
	s_and_b32 exec_lo, exec_lo, s19
	s_cbranch_execz .LBB618_170
.LBB618_169:
	v_sub_nc_u32_e32 v9, v63, v3
	s_delay_alu instid0(VALU_DEP_1)
	v_lshlrev_b32_e32 v9, 2, v9
	ds_store_b32 v9, v77
.LBB618_170:
	s_or_b32 exec_lo, exec_lo, s16
	s_delay_alu instid0(SALU_CYCLE_1)
	s_mov_b32 s1, exec_lo
	s_waitcnt lgkmcnt(0)
	s_waitcnt_vscnt null, 0x0
	s_barrier
	buffer_gl0_inv
	v_cmpx_lt_u32_e64 v0, v1
	s_cbranch_execz .LBB618_173
; %bb.171:
	v_dual_mov_b32 v10, 0 :: v_dual_lshlrev_b32 v11, 2, v0
	v_mov_b32_e32 v9, v0
	s_mov_b32 s3, 0
	.p2align	6
.LBB618_172:                            ; =>This Inner Loop Header: Depth=1
	ds_load_b32 v14, v11
	v_lshlrev_b64 v[12:13], 2, v[9:10]
	v_add_nc_u32_e32 v9, 0x100, v9
	v_add_nc_u32_e32 v11, 0x400, v11
	s_delay_alu instid0(VALU_DEP_2) | instskip(NEXT) | instid1(VALU_DEP_4)
	v_cmp_ge_u32_e32 vcc_lo, v9, v1
	v_add_co_u32 v12, s0, v2, v12
	s_delay_alu instid0(VALU_DEP_1)
	v_add_co_ci_u32_e64 v13, s0, v4, v13, s0
	s_or_b32 s3, vcc_lo, s3
	s_waitcnt lgkmcnt(0)
	global_store_b32 v[12:13], v14, off
	s_and_not1_b32 exec_lo, exec_lo, s3
	s_cbranch_execnz .LBB618_172
.LBB618_173:
	s_or_b32 exec_lo, exec_lo, s1
.LBB618_174:
	s_cmpk_lg_i32 s26, 0xf00
	v_cndmask_b32_e64 v4, 0, 1, s27
	s_cselect_b32 s0, -1, 0
	v_mad_i32_i24 v10, v0, -15, s26
	s_and_b32 s0, s0, s17
	s_and_b32 s1, s2, s27
	v_cndmask_b32_e64 v9, 0, 1, s0
	s_mul_hi_u32 s0, s26, 0x88888889
	v_sub_nc_u32_e32 v2, v1, v4
	s_lshr_b32 s0, s0, 3
	v_cndmask_b32_e64 v11, v27, 0, s1
	v_cmp_eq_u32_e32 vcc_lo, s0, v0
	v_cmp_ne_u32_e64 s0, 0, v10
	s_mov_b32 s16, -1
	s_waitcnt_vscnt null, 0x0
	s_barrier
	s_and_b32 vcc_lo, vcc_lo, s17
	v_add_nc_u32_e32 v2, v2, v9
	v_cndmask_b32_e64 v9, 1, v11, s0
	v_cmp_ne_u32_e64 s0, 1, v10
	buffer_gl0_inv
	v_cndmask_b32_e64 v12, 1, v36, s0
	v_cmp_ne_u32_e64 s0, 14, v10
	s_delay_alu instid0(VALU_DEP_2) | instskip(NEXT) | instid1(VALU_DEP_2)
	v_cndmask_b32_e32 v17, v36, v12, vcc_lo
	v_cndmask_b32_e64 v13, 1, v78, s0
	v_cmp_ne_u32_e64 s0, 2, v10
	s_delay_alu instid0(VALU_DEP_3) | instskip(NEXT) | instid1(VALU_DEP_3)
	v_cmp_ne_u32_e64 s13, 0, v17
	v_cndmask_b32_e32 v16, v78, v13, vcc_lo
	s_delay_alu instid0(VALU_DEP_3) | instskip(SKIP_1) | instid1(VALU_DEP_2)
	v_cndmask_b32_e64 v14, 1, v33, s0
	v_cmp_ne_u32_e64 s0, 3, v10
	v_dual_cndmask_b32 v13, v11, v9 :: v_dual_cndmask_b32 v14, v33, v14
	s_delay_alu instid0(VALU_DEP_2) | instskip(SKIP_1) | instid1(VALU_DEP_3)
	v_cndmask_b32_e64 v15, 1, v34, s0
	v_cmp_ne_u32_e64 s0, 4, v10
	v_cmp_ne_u32_e64 s14, 0, v13
	s_delay_alu instid0(VALU_DEP_4) | instskip(NEXT) | instid1(VALU_DEP_3)
	v_cmp_ne_u32_e64 s12, 0, v14
	v_cndmask_b32_e64 v9, 1, v31, s0
	v_cmp_ne_u32_e64 s0, 5, v10
	s_delay_alu instid0(VALU_DEP_1) | instskip(SKIP_1) | instid1(VALU_DEP_2)
	v_cndmask_b32_e64 v11, 1, v32, s0
	v_cmp_eq_u32_e64 s0, 0, v13
	v_cndmask_b32_e32 v27, v32, v11, vcc_lo
	s_delay_alu instid0(VALU_DEP_2) | instskip(SKIP_1) | instid1(VALU_DEP_3)
	v_cndmask_b32_e64 v12, 1, 2, s0
	v_cmp_eq_u32_e64 s0, 0, v17
	v_cmp_ne_u32_e64 s9, 0, v27
	s_delay_alu instid0(VALU_DEP_2) | instskip(SKIP_1) | instid1(VALU_DEP_1)
	v_cndmask_b32_e64 v18, 1, 2, s0
	v_cmp_ne_u32_e64 s0, 6, v10
	v_cndmask_b32_e64 v19, 1, v29, s0
	v_cmp_eq_u32_e64 s0, 0, v14
	s_delay_alu instid0(VALU_DEP_2) | instskip(NEXT) | instid1(VALU_DEP_2)
	v_dual_cndmask_b32 v19, v29, v19 :: v_dual_and_b32 v12, v18, v12
	v_cndmask_b32_e64 v18, 1, 2, s0
	v_cmp_ne_u32_e64 s0, 7, v10
	v_cndmask_b32_e32 v15, v34, v15, vcc_lo
	s_delay_alu instid0(VALU_DEP_4) | instskip(NEXT) | instid1(VALU_DEP_4)
	v_cmp_ne_u32_e64 s8, 0, v19
	v_and_b32_e32 v12, v12, v18
	s_delay_alu instid0(VALU_DEP_4) | instskip(SKIP_2) | instid1(VALU_DEP_2)
	v_cndmask_b32_e64 v20, 1, v30, s0
	v_cmp_ne_u32_e64 s0, 8, v10
	v_cmp_ne_u32_e64 s11, 0, v15
	v_cndmask_b32_e64 v21, 1, v25, s0
	v_cmp_eq_u32_e64 s0, 0, v15
	s_delay_alu instid0(VALU_DEP_1) | instskip(SKIP_2) | instid1(VALU_DEP_3)
	v_cndmask_b32_e64 v18, 1, 2, s0
	v_cndmask_b32_e32 v22, v31, v9, vcc_lo
	v_cmp_ne_u32_e64 s0, 9, v10
	v_and_b32_e32 v11, v12, v18
	s_delay_alu instid0(VALU_DEP_3) | instskip(NEXT) | instid1(VALU_DEP_3)
	v_cmp_ne_u32_e64 s10, 0, v22
	v_cndmask_b32_e64 v9, 1, v26, s0
	v_cmp_eq_u32_e64 s0, 0, v22
	s_delay_alu instid0(VALU_DEP_1) | instskip(SKIP_1) | instid1(VALU_DEP_2)
	v_cndmask_b32_e64 v12, 1, 2, s0
	v_cmp_ne_u32_e64 s0, 10, v10
	v_and_b32_e32 v11, v11, v12
	s_delay_alu instid0(VALU_DEP_2) | instskip(SKIP_1) | instid1(VALU_DEP_2)
	v_cndmask_b32_e64 v18, 1, v23, s0
	v_cmp_ne_u32_e64 s0, 12, v10
	v_dual_cndmask_b32 v21, v25, v21 :: v_dual_cndmask_b32 v18, v23, v18
	s_delay_alu instid0(VALU_DEP_2)
	v_cndmask_b32_e64 v31, 1, v79, s0
	v_cmp_eq_u32_e64 s0, 0, v27
	v_cndmask_b32_e32 v20, v30, v20, vcc_lo
	v_cndmask_b32_e32 v23, v26, v9, vcc_lo
	v_cmp_ne_u32_e64 s6, 0, v21
	v_cmp_ne_u32_e64 s4, 0, v18
	v_cndmask_b32_e64 v12, 1, 2, s0
	v_cmp_ne_u32_e64 s0, 13, v10
	s_delay_alu instid0(VALU_DEP_1) | instskip(SKIP_1) | instid1(VALU_DEP_2)
	v_cndmask_b32_e64 v29, 1, v28, s0
	v_cmp_eq_u32_e64 s0, 0, v19
	v_dual_cndmask_b32 v28, v28, v29 :: v_dual_and_b32 v11, v11, v12
	s_delay_alu instid0(VALU_DEP_2) | instskip(SKIP_4) | instid1(VALU_DEP_4)
	v_cndmask_b32_e64 v12, 1, 2, s0
	v_cmp_ne_u32_e64 s0, 11, v10
	v_cndmask_b32_e32 v29, v79, v31, vcc_lo
	v_cmp_ne_u32_e64 s7, 0, v20
	v_cmp_ne_u32_e64 s1, 0, v28
	v_cndmask_b32_e64 v10, 1, v24, s0
	v_cmp_eq_u32_e64 s0, 0, v20
	v_cmp_ne_u32_e64 s2, 0, v29
	s_delay_alu instid0(VALU_DEP_3) | instskip(NEXT) | instid1(VALU_DEP_3)
	v_dual_cndmask_b32 v24, v24, v10 :: v_dual_and_b32 v11, v11, v12
	v_cndmask_b32_e64 v12, 1, 2, s0
	v_cmp_eq_u32_e32 vcc_lo, 0, v21
	v_cmp_ne_u32_e64 s0, 0, v16
	s_delay_alu instid0(VALU_DEP_4) | instskip(NEXT) | instid1(VALU_DEP_4)
	v_cmp_ne_u32_e64 s3, 0, v24
	v_and_b32_e32 v9, v11, v12
	v_cndmask_b32_e64 v10, 1, 2, vcc_lo
	v_add_co_u32 v11, vcc_lo, s28, v39
	v_add_co_ci_u32_e32 v12, vcc_lo, s29, v40, vcc_lo
	v_cmp_eq_u32_e32 vcc_lo, 0, v23
	s_delay_alu instid0(VALU_DEP_4)
	v_and_b32_e32 v25, v9, v10
	v_cndmask_b32_e64 v26, 1, 2, vcc_lo
	v_add_co_u32 v9, vcc_lo, v11, v41
	v_add_co_ci_u32_e32 v10, vcc_lo, v12, v42, vcc_lo
	v_lshlrev_b32_e32 v11, 2, v4
	v_cmp_eq_u32_e32 vcc_lo, 0, v18
	v_and_b32_e32 v12, v25, v26
	v_add_nc_u32_e32 v4, v3, v4
	v_cmp_ne_u32_e64 s5, 0, v23
	v_cndmask_b32_e64 v25, 1, 2, vcc_lo
	v_add_co_u32 v11, vcc_lo, v11, v9
	v_add_co_ci_u32_e32 v26, vcc_lo, 0, v10, vcc_lo
	v_cmp_eq_u32_e32 vcc_lo, 0, v24
	s_delay_alu instid0(VALU_DEP_4) | instskip(SKIP_4) | instid1(VALU_DEP_4)
	v_and_b32_e32 v25, v12, v25
	v_cndmask_b32_e64 v30, 1, 2, vcc_lo
	v_add_co_u32 v11, vcc_lo, v11, -4
	v_add_co_ci_u32_e32 v12, vcc_lo, -1, v26, vcc_lo
	v_cmp_eq_u32_e32 vcc_lo, 0, v29
	v_and_b32_e32 v25, v25, v30
	v_cndmask_b32_e64 v26, 1, 2, vcc_lo
	v_cmp_eq_u32_e32 vcc_lo, 0, v28
	s_delay_alu instid0(VALU_DEP_2) | instskip(SKIP_2) | instid1(VALU_DEP_2)
	v_and_b32_e32 v13, v25, v26
	v_cndmask_b32_e64 v14, 1, 2, vcc_lo
	v_cmp_eq_u32_e32 vcc_lo, 0, v16
	v_and_b32_e32 v13, v13, v14
	v_cndmask_b32_e64 v14, 1, 2, vcc_lo
	v_cmp_gt_u32_e32 vcc_lo, 0x100, v2
	s_delay_alu instid0(VALU_DEP_2) | instskip(NEXT) | instid1(VALU_DEP_1)
	v_and_b32_e32 v13, v13, v14
	v_cmp_gt_i16_e64 s15, 2, v13
	s_cbranch_vccnz .LBB618_178
; %bb.175:
	s_and_b32 vcc_lo, exec_lo, s16
	s_cbranch_vccnz .LBB618_184
.LBB618_176:
	v_cmp_eq_u32_e32 vcc_lo, 0xff, v0
	s_and_b32 s0, vcc_lo, s17
	s_delay_alu instid0(SALU_CYCLE_1)
	s_and_saveexec_b32 s1, s0
	s_cbranch_execnz .LBB618_193
.LBB618_177:
	s_nop 0
	s_sendmsg sendmsg(MSG_DEALLOC_VGPRS)
	s_endpgm
.LBB618_178:
	s_delay_alu instid0(VALU_DEP_1)
	s_and_saveexec_b32 s16, s15
	s_cbranch_execz .LBB618_183
; %bb.179:
	s_mov_b32 s18, 0
	s_mov_b32 s15, exec_lo
	v_cmpx_ne_u16_e32 1, v13
	s_xor_b32 s15, exec_lo, s15
	s_cbranch_execnz .LBB618_263
; %bb.180:
	s_and_not1_saveexec_b32 s15, s15
	s_cbranch_execnz .LBB618_279
.LBB618_181:
	s_or_b32 exec_lo, exec_lo, s15
	s_delay_alu instid0(SALU_CYCLE_1)
	s_and_b32 exec_lo, exec_lo, s18
	s_cbranch_execz .LBB618_183
.LBB618_182:
	v_sub_nc_u32_e32 v14, v63, v4
	v_mov_b32_e32 v15, 0
	s_delay_alu instid0(VALU_DEP_1) | instskip(NEXT) | instid1(VALU_DEP_1)
	v_lshlrev_b64 v[14:15], 2, v[14:15]
	v_add_co_u32 v14, vcc_lo, v11, v14
	s_delay_alu instid0(VALU_DEP_2)
	v_add_co_ci_u32_e32 v15, vcc_lo, v12, v15, vcc_lo
	global_store_b32 v[14:15], v64, off
.LBB618_183:
	s_or_b32 exec_lo, exec_lo, s16
	s_branch .LBB618_176
.LBB618_184:
	s_mov_b32 s15, exec_lo
	v_cmpx_gt_i16_e32 2, v13
	s_cbranch_execz .LBB618_189
; %bb.185:
	s_mov_b32 s18, 0
	s_mov_b32 s16, exec_lo
	v_cmpx_ne_u16_e32 1, v13
	s_xor_b32 s16, exec_lo, s16
	s_cbranch_execnz .LBB618_280
; %bb.186:
	s_and_not1_saveexec_b32 s0, s16
	s_cbranch_execnz .LBB618_296
.LBB618_187:
	s_or_b32 exec_lo, exec_lo, s0
	s_delay_alu instid0(SALU_CYCLE_1)
	s_and_b32 exec_lo, exec_lo, s18
	s_cbranch_execz .LBB618_189
.LBB618_188:
	v_sub_nc_u32_e32 v4, v63, v4
	s_delay_alu instid0(VALU_DEP_1)
	v_lshlrev_b32_e32 v4, 2, v4
	ds_store_b32 v4, v64
.LBB618_189:
	s_or_b32 exec_lo, exec_lo, s15
	s_delay_alu instid0(SALU_CYCLE_1)
	s_mov_b32 s1, exec_lo
	s_waitcnt lgkmcnt(0)
	s_waitcnt_vscnt null, 0x0
	s_barrier
	buffer_gl0_inv
	v_cmpx_lt_u32_e64 v0, v2
	s_cbranch_execz .LBB618_192
; %bb.190:
	v_dual_mov_b32 v5, 0 :: v_dual_lshlrev_b32 v6, 2, v0
	v_mov_b32_e32 v4, v0
	s_mov_b32 s2, 0
	.p2align	6
.LBB618_191:                            ; =>This Inner Loop Header: Depth=1
	ds_load_b32 v13, v6
	v_lshlrev_b64 v[7:8], 2, v[4:5]
	v_add_nc_u32_e32 v4, 0x100, v4
	v_add_nc_u32_e32 v6, 0x400, v6
	s_delay_alu instid0(VALU_DEP_2) | instskip(NEXT) | instid1(VALU_DEP_4)
	v_cmp_ge_u32_e32 vcc_lo, v4, v2
	v_add_co_u32 v7, s0, v11, v7
	s_delay_alu instid0(VALU_DEP_1)
	v_add_co_ci_u32_e64 v8, s0, v12, v8, s0
	s_or_b32 s2, vcc_lo, s2
	s_waitcnt lgkmcnt(0)
	global_store_b32 v[7:8], v13, off
	s_and_not1_b32 exec_lo, exec_lo, s2
	s_cbranch_execnz .LBB618_191
.LBB618_192:
	s_or_b32 exec_lo, exec_lo, s1
	v_cmp_eq_u32_e32 vcc_lo, 0xff, v0
	s_and_b32 s0, vcc_lo, s17
	s_delay_alu instid0(SALU_CYCLE_1)
	s_and_saveexec_b32 s1, s0
	s_cbranch_execz .LBB618_177
.LBB618_193:
	v_add_co_u32 v0, s0, v1, v3
	s_delay_alu instid0(VALU_DEP_1) | instskip(SKIP_1) | instid1(VALU_DEP_3)
	v_add_co_ci_u32_e64 v4, null, 0, 0, s0
	v_mov_b32_e32 v2, 0
	v_add_co_u32 v3, vcc_lo, v0, v37
	s_delay_alu instid0(VALU_DEP_3)
	v_add_co_ci_u32_e32 v4, vcc_lo, v4, v38, vcc_lo
	s_cmpk_lg_i32 s26, 0xf00
	global_store_b64 v2, v[3:4], s[30:31]
	s_cbranch_scc1 .LBB618_177
; %bb.194:
	v_lshlrev_b64 v[0:1], 2, v[1:2]
	s_delay_alu instid0(VALU_DEP_1) | instskip(NEXT) | instid1(VALU_DEP_2)
	v_add_co_u32 v0, vcc_lo, v9, v0
	v_add_co_ci_u32_e32 v1, vcc_lo, v10, v1, vcc_lo
	global_store_b32 v[0:1], v35, off offset:-4
	s_nop 0
	s_sendmsg sendmsg(MSG_DEALLOC_VGPRS)
	s_endpgm
.LBB618_195:
                                        ; implicit-def: $sgpr4
                                        ; implicit-def: $vgpr78
                                        ; implicit-def: $vgpr2
                                        ; implicit-def: $vgpr79
                                        ; implicit-def: $vgpr24
                                        ; implicit-def: $vgpr23
                                        ; implicit-def: $vgpr26
                                        ; implicit-def: $vgpr25
                                        ; implicit-def: $vgpr30
                                        ; implicit-def: $vgpr29
                                        ; implicit-def: $vgpr32
                                        ; implicit-def: $vgpr31
                                        ; implicit-def: $vgpr34
                                        ; implicit-def: $vgpr33
                                        ; implicit-def: $vgpr36
	s_cbranch_execz .LBB618_114
.LBB618_196:
	v_dual_mov_b32 v28, 0 :: v_dual_lshlrev_b32 v1, 2, v0
	v_mov_b32_e32 v78, 0
	s_mov_b32 s4, exec_lo
	ds_store_b32 v1, v77
	v_cmpx_gt_u64_e64 s[0:1], v[27:28]
	s_cbranch_execz .LBB618_198
; %bb.197:
	v_mul_hi_i32 v2, 0x66666667, v10
	v_mul_hi_i32 v4, 0x66666667, v77
	s_waitcnt lgkmcnt(1)
	s_delay_alu instid0(VALU_DEP_2) | instskip(SKIP_1) | instid1(VALU_DEP_3)
	v_lshrrev_b32_e32 v5, 31, v2
	v_ashrrev_i32_e32 v2, 2, v2
	v_lshrrev_b32_e32 v6, 31, v4
	v_ashrrev_i32_e32 v4, 2, v4
	s_delay_alu instid0(VALU_DEP_3) | instskip(NEXT) | instid1(VALU_DEP_2)
	v_add_nc_u32_e32 v2, v2, v5
	v_add_nc_u32_e32 v4, v4, v6
	s_delay_alu instid0(VALU_DEP_1)
	v_cmp_ne_u32_e32 vcc_lo, v2, v4
	v_cndmask_b32_e64 v78, 0, 1, vcc_lo
.LBB618_198:
	s_or_b32 exec_lo, exec_lo, s4
	v_add_nc_u32_e32 v27, 13, v3
	s_mov_b32 s4, exec_lo
	s_delay_alu instid0(VALU_DEP_1)
	v_cmpx_gt_u64_e64 s[0:1], v[27:28]
	s_cbranch_execz .LBB618_200
; %bb.199:
	v_mul_hi_i32 v2, 0x66666667, v9
	v_mul_hi_i32 v4, 0x66666667, v10
	s_waitcnt lgkmcnt(1)
	s_delay_alu instid0(VALU_DEP_2) | instskip(SKIP_1) | instid1(VALU_DEP_3)
	v_lshrrev_b32_e32 v5, 31, v2
	v_ashrrev_i32_e32 v2, 2, v2
	v_lshrrev_b32_e32 v6, 31, v4
	v_ashrrev_i32_e32 v4, 2, v4
	s_delay_alu instid0(VALU_DEP_3) | instskip(NEXT) | instid1(VALU_DEP_2)
	v_add_nc_u32_e32 v2, v2, v5
	v_add_nc_u32_e32 v4, v4, v6
	s_delay_alu instid0(VALU_DEP_1)
	v_cmp_ne_u32_e32 vcc_lo, v2, v4
	v_cndmask_b32_e64 v28, 0, 1, vcc_lo
.LBB618_200:
	s_or_b32 exec_lo, exec_lo, s4
	v_dual_mov_b32 v24, 0 :: v_dual_add_nc_u32 v23, 12, v3
	v_mov_b32_e32 v79, 0
	s_mov_b32 s4, exec_lo
	s_delay_alu instid0(VALU_DEP_2)
	v_cmpx_gt_u64_e64 s[0:1], v[23:24]
	s_cbranch_execz .LBB618_202
; %bb.201:
	v_mul_hi_i32 v2, 0x66666667, v12
	v_mul_hi_i32 v4, 0x66666667, v9
	s_waitcnt lgkmcnt(1)
	s_delay_alu instid0(VALU_DEP_2) | instskip(SKIP_1) | instid1(VALU_DEP_3)
	v_lshrrev_b32_e32 v5, 31, v2
	v_ashrrev_i32_e32 v2, 2, v2
	v_lshrrev_b32_e32 v6, 31, v4
	v_ashrrev_i32_e32 v4, 2, v4
	s_delay_alu instid0(VALU_DEP_3) | instskip(NEXT) | instid1(VALU_DEP_2)
	v_add_nc_u32_e32 v2, v2, v5
	v_add_nc_u32_e32 v4, v4, v6
	s_delay_alu instid0(VALU_DEP_1)
	v_cmp_ne_u32_e32 vcc_lo, v2, v4
	v_cndmask_b32_e64 v79, 0, 1, vcc_lo
.LBB618_202:
	s_or_b32 exec_lo, exec_lo, s4
	v_add_nc_u32_e32 v23, 11, v3
	s_mov_b32 s4, exec_lo
	s_delay_alu instid0(VALU_DEP_1)
	v_cmpx_gt_u64_e64 s[0:1], v[23:24]
	s_cbranch_execz .LBB618_204
; %bb.203:
	v_mul_hi_i32 v2, 0x66666667, v11
	v_mul_hi_i32 v4, 0x66666667, v12
	s_waitcnt lgkmcnt(1)
	s_delay_alu instid0(VALU_DEP_2) | instskip(SKIP_1) | instid1(VALU_DEP_3)
	v_lshrrev_b32_e32 v5, 31, v2
	v_ashrrev_i32_e32 v2, 2, v2
	v_lshrrev_b32_e32 v6, 31, v4
	v_ashrrev_i32_e32 v4, 2, v4
	s_delay_alu instid0(VALU_DEP_3) | instskip(NEXT) | instid1(VALU_DEP_2)
	v_add_nc_u32_e32 v2, v2, v5
	v_add_nc_u32_e32 v4, v4, v6
	s_delay_alu instid0(VALU_DEP_1)
	v_cmp_ne_u32_e32 vcc_lo, v2, v4
	v_cndmask_b32_e64 v24, 0, 1, vcc_lo
.LBB618_204:
	s_or_b32 exec_lo, exec_lo, s4
	v_dual_mov_b32 v26, 0 :: v_dual_add_nc_u32 v25, 10, v3
	v_mov_b32_e32 v23, 0
	s_mov_b32 s4, exec_lo
	s_delay_alu instid0(VALU_DEP_2)
	;; [unrolled: 45-line block ×6, first 2 shown]
	v_cmpx_gt_u64_e64 s[0:1], v[35:36]
	s_cbranch_execz .LBB618_222
; %bb.221:
	v_mul_hi_i32 v2, 0x66666667, v22
	v_mul_hi_i32 v4, 0x66666667, v19
	s_waitcnt lgkmcnt(1)
	s_delay_alu instid0(VALU_DEP_2) | instskip(SKIP_1) | instid1(VALU_DEP_3)
	v_lshrrev_b32_e32 v5, 31, v2
	v_ashrrev_i32_e32 v2, 2, v2
	v_lshrrev_b32_e32 v6, 31, v4
	v_ashrrev_i32_e32 v4, 2, v4
	s_delay_alu instid0(VALU_DEP_3) | instskip(NEXT) | instid1(VALU_DEP_2)
	v_add_nc_u32_e32 v2, v2, v5
	v_add_nc_u32_e32 v4, v4, v6
	s_delay_alu instid0(VALU_DEP_1)
	v_cmp_ne_u32_e32 vcc_lo, v2, v4
	v_cndmask_b32_e64 v33, 0, 1, vcc_lo
.LBB618_222:
	s_or_b32 exec_lo, exec_lo, s4
	v_add_nc_u32_e32 v35, 1, v3
	s_mov_b32 s4, exec_lo
	s_delay_alu instid0(VALU_DEP_1)
	v_cmpx_gt_u64_e64 s[0:1], v[35:36]
	s_cbranch_execz .LBB618_224
; %bb.223:
	v_mul_hi_i32 v2, 0x66666667, v21
	v_mul_hi_i32 v4, 0x66666667, v22
	s_waitcnt lgkmcnt(1)
	s_delay_alu instid0(VALU_DEP_2) | instskip(SKIP_1) | instid1(VALU_DEP_3)
	v_lshrrev_b32_e32 v5, 31, v2
	v_ashrrev_i32_e32 v2, 2, v2
	v_lshrrev_b32_e32 v6, 31, v4
	v_ashrrev_i32_e32 v4, 2, v4
	s_delay_alu instid0(VALU_DEP_3) | instskip(NEXT) | instid1(VALU_DEP_2)
	v_add_nc_u32_e32 v2, v2, v5
	v_add_nc_u32_e32 v4, v4, v6
	s_delay_alu instid0(VALU_DEP_1)
	v_cmp_ne_u32_e32 vcc_lo, v2, v4
	v_cndmask_b32_e64 v36, 0, 1, vcc_lo
.LBB618_224:
	s_or_b32 exec_lo, exec_lo, s4
	s_waitcnt lgkmcnt(0)
	s_barrier
	buffer_gl0_inv
                                        ; implicit-def: $sgpr4
	s_and_saveexec_b32 s5, s3
	s_cbranch_execz .LBB618_228
; %bb.225:
	v_mov_b32_e32 v4, 0
	s_delay_alu instid0(VALU_DEP_1)
	v_cmp_gt_u64_e32 vcc_lo, s[0:1], v[3:4]
	s_mov_b32 s1, 0
	s_and_saveexec_b32 s0, vcc_lo
	s_cbranch_execz .LBB618_227
; %bb.226:
	v_add_nc_u32_e32 v1, -4, v1
	v_mul_hi_i32 v2, 0x66666667, v21
	ds_load_b32 v1, v1
	v_lshrrev_b32_e32 v3, 31, v2
	v_ashrrev_i32_e32 v2, 2, v2
	s_delay_alu instid0(VALU_DEP_1) | instskip(SKIP_2) | instid1(VALU_DEP_1)
	v_add_nc_u32_e32 v2, v2, v3
	s_waitcnt lgkmcnt(0)
	v_mul_hi_i32 v1, 0x66666667, v1
	v_lshrrev_b32_e32 v4, 31, v1
	v_ashrrev_i32_e32 v1, 2, v1
	s_delay_alu instid0(VALU_DEP_1) | instskip(NEXT) | instid1(VALU_DEP_1)
	v_add_nc_u32_e32 v1, v1, v4
	v_cmp_ne_u32_e32 vcc_lo, v1, v2
	s_and_b32 s1, vcc_lo, exec_lo
.LBB618_227:
	s_or_b32 exec_lo, exec_lo, s0
	s_delay_alu instid0(SALU_CYCLE_1)
	s_and_b32 s4, s1, exec_lo
	s_or_b32 s15, s15, exec_lo
.LBB618_228:
	s_or_b32 exec_lo, exec_lo, s5
	v_mov_b32_e32 v2, v28
	s_mov_b32 s0, 1
	s_delay_alu instid0(SALU_CYCLE_1)
	v_mov_b32_e32 v27, s0
	s_and_saveexec_b32 s0, s15
	s_cbranch_execnz .LBB618_116
	s_branch .LBB618_117
.LBB618_229:
	s_and_saveexec_b32 s19, s15
	s_cbranch_execnz .LBB618_297
; %bb.230:
	s_or_b32 exec_lo, exec_lo, s19
	s_and_saveexec_b32 s19, s14
	s_cbranch_execnz .LBB618_298
.LBB618_231:
	s_or_b32 exec_lo, exec_lo, s19
	s_and_saveexec_b32 s19, s13
	s_cbranch_execnz .LBB618_299
.LBB618_232:
	s_or_b32 exec_lo, exec_lo, s19
	s_and_saveexec_b32 s19, s12
	s_cbranch_execnz .LBB618_300
.LBB618_233:
	s_or_b32 exec_lo, exec_lo, s19
	s_and_saveexec_b32 s19, s11
	s_cbranch_execnz .LBB618_301
.LBB618_234:
	s_or_b32 exec_lo, exec_lo, s19
	s_and_saveexec_b32 s19, s10
	s_cbranch_execnz .LBB618_302
.LBB618_235:
	s_or_b32 exec_lo, exec_lo, s19
	s_and_saveexec_b32 s19, s8
	s_cbranch_execnz .LBB618_303
.LBB618_236:
	s_or_b32 exec_lo, exec_lo, s19
	s_and_saveexec_b32 s19, s6
	s_cbranch_execnz .LBB618_304
.LBB618_237:
	s_or_b32 exec_lo, exec_lo, s19
	s_and_saveexec_b32 s19, s9
	s_cbranch_execnz .LBB618_305
.LBB618_238:
	s_or_b32 exec_lo, exec_lo, s19
	s_and_saveexec_b32 s19, s7
	s_cbranch_execnz .LBB618_306
.LBB618_239:
	s_or_b32 exec_lo, exec_lo, s19
	s_and_saveexec_b32 s19, s5
	s_cbranch_execnz .LBB618_307
.LBB618_240:
	s_or_b32 exec_lo, exec_lo, s19
	s_and_saveexec_b32 s19, s4
	s_cbranch_execnz .LBB618_308
.LBB618_241:
	s_or_b32 exec_lo, exec_lo, s19
	s_and_saveexec_b32 s19, s3
	s_cbranch_execnz .LBB618_309
.LBB618_242:
	s_or_b32 exec_lo, exec_lo, s19
	s_and_saveexec_b32 s19, s1
	s_cbranch_execz .LBB618_244
.LBB618_243:
	v_sub_nc_u32_e32 v44, v71, v3
	v_mov_b32_e32 v45, 0
	s_delay_alu instid0(VALU_DEP_1) | instskip(NEXT) | instid1(VALU_DEP_1)
	v_lshlrev_b64 v[44:45], 2, v[44:45]
	v_add_co_u32 v44, vcc_lo, v2, v44
	s_delay_alu instid0(VALU_DEP_2)
	v_add_co_ci_u32_e32 v45, vcc_lo, v4, v45, vcc_lo
	global_store_b32 v[44:45], v10, off
.LBB618_244:
	s_or_b32 exec_lo, exec_lo, s19
	s_delay_alu instid0(SALU_CYCLE_1)
	s_and_b32 s19, s0, exec_lo
	s_and_not1_saveexec_b32 s16, s16
	s_cbranch_execz .LBB618_161
.LBB618_245:
	v_sub_nc_u32_e32 v44, v67, v3
	v_mov_b32_e32 v45, 0
	s_or_b32 s19, s19, exec_lo
	s_delay_alu instid0(VALU_DEP_1) | instskip(SKIP_1) | instid1(VALU_DEP_1)
	v_lshlrev_b64 v[46:47], 2, v[44:45]
	v_sub_nc_u32_e32 v44, v73, v3
	v_lshlrev_b64 v[48:49], 2, v[44:45]
	v_sub_nc_u32_e32 v44, v69, v3
	s_delay_alu instid0(VALU_DEP_4) | instskip(SKIP_1) | instid1(VALU_DEP_3)
	v_add_co_u32 v46, vcc_lo, v2, v46
	v_add_co_ci_u32_e32 v47, vcc_lo, v4, v47, vcc_lo
	v_lshlrev_b64 v[80:81], 2, v[44:45]
	v_sub_nc_u32_e32 v44, v65, v3
	v_add_co_u32 v48, vcc_lo, v2, v48
	v_add_co_ci_u32_e32 v49, vcc_lo, v4, v49, vcc_lo
	global_store_b32 v[46:47], v21, off
	v_lshlrev_b64 v[46:47], 2, v[44:45]
	v_sub_nc_u32_e32 v44, v59, v3
	global_store_b32 v[48:49], v22, off
	v_add_co_u32 v48, vcc_lo, v2, v80
	v_add_co_ci_u32_e32 v49, vcc_lo, v4, v81, vcc_lo
	v_lshlrev_b64 v[80:81], 2, v[44:45]
	v_sub_nc_u32_e32 v44, v55, v3
	v_add_co_u32 v46, vcc_lo, v2, v46
	v_add_co_ci_u32_e32 v47, vcc_lo, v4, v47, vcc_lo
	s_delay_alu instid0(VALU_DEP_3) | instskip(SKIP_3) | instid1(VALU_DEP_3)
	v_lshlrev_b64 v[82:83], 2, v[44:45]
	v_sub_nc_u32_e32 v44, v53, v3
	v_add_co_u32 v80, vcc_lo, v2, v80
	v_add_co_ci_u32_e32 v81, vcc_lo, v4, v81, vcc_lo
	v_lshlrev_b64 v[84:85], 2, v[44:45]
	v_sub_nc_u32_e32 v44, v57, v3
	v_add_co_u32 v82, vcc_lo, v2, v82
	v_add_co_ci_u32_e32 v83, vcc_lo, v4, v83, vcc_lo
	s_clause 0x3
	global_store_b32 v[48:49], v19, off
	global_store_b32 v[46:47], v20, off
	;; [unrolled: 1-line block ×4, first 2 shown]
	v_lshlrev_b64 v[46:47], 2, v[44:45]
	v_sub_nc_u32_e32 v44, v61, v3
	v_add_co_u32 v48, vcc_lo, v2, v84
	v_add_co_ci_u32_e32 v49, vcc_lo, v4, v85, vcc_lo
	s_delay_alu instid0(VALU_DEP_3) | instskip(SKIP_3) | instid1(VALU_DEP_3)
	v_lshlrev_b64 v[80:81], 2, v[44:45]
	v_sub_nc_u32_e32 v44, v5, v3
	v_add_co_u32 v46, vcc_lo, v2, v46
	v_add_co_ci_u32_e32 v47, vcc_lo, v4, v47, vcc_lo
	v_lshlrev_b64 v[82:83], 2, v[44:45]
	v_sub_nc_u32_e32 v44, v7, v3
	v_add_co_u32 v80, vcc_lo, v2, v80
	v_add_co_ci_u32_e32 v81, vcc_lo, v4, v81, vcc_lo
	s_delay_alu instid0(VALU_DEP_3)
	v_lshlrev_b64 v[84:85], 2, v[44:45]
	v_sub_nc_u32_e32 v44, v51, v3
	v_add_co_u32 v82, vcc_lo, v2, v82
	v_add_co_ci_u32_e32 v83, vcc_lo, v4, v83, vcc_lo
	s_clause 0x3
	global_store_b32 v[48:49], v15, off
	global_store_b32 v[46:47], v16, off
	;; [unrolled: 1-line block ×4, first 2 shown]
	v_lshlrev_b64 v[46:47], 2, v[44:45]
	v_sub_nc_u32_e32 v44, v75, v3
	v_add_co_u32 v48, vcc_lo, v2, v84
	v_add_co_ci_u32_e32 v49, vcc_lo, v4, v85, vcc_lo
	s_delay_alu instid0(VALU_DEP_3) | instskip(SKIP_3) | instid1(VALU_DEP_3)
	v_lshlrev_b64 v[80:81], 2, v[44:45]
	v_sub_nc_u32_e32 v44, v71, v3
	v_add_co_u32 v46, vcc_lo, v2, v46
	v_add_co_ci_u32_e32 v47, vcc_lo, v4, v47, vcc_lo
	v_lshlrev_b64 v[44:45], 2, v[44:45]
	v_add_co_u32 v80, vcc_lo, v2, v80
	v_add_co_ci_u32_e32 v81, vcc_lo, v4, v81, vcc_lo
	s_clause 0x2
	global_store_b32 v[48:49], v11, off
	global_store_b32 v[46:47], v12, off
	;; [unrolled: 1-line block ×3, first 2 shown]
	v_add_co_u32 v44, vcc_lo, v2, v44
	v_add_co_ci_u32_e32 v45, vcc_lo, v4, v45, vcc_lo
	global_store_b32 v[44:45], v10, off
	s_or_b32 exec_lo, exec_lo, s16
	s_delay_alu instid0(SALU_CYCLE_1)
	s_and_b32 exec_lo, exec_lo, s19
	s_cbranch_execnz .LBB618_162
	s_branch .LBB618_163
.LBB618_246:
	s_and_saveexec_b32 s19, s15
	s_cbranch_execnz .LBB618_310
; %bb.247:
	s_or_b32 exec_lo, exec_lo, s19
	s_and_saveexec_b32 s15, s14
	s_cbranch_execnz .LBB618_311
.LBB618_248:
	s_or_b32 exec_lo, exec_lo, s15
	s_and_saveexec_b32 s14, s13
	s_cbranch_execnz .LBB618_312
.LBB618_249:
	s_or_b32 exec_lo, exec_lo, s14
	s_and_saveexec_b32 s13, s12
	s_cbranch_execnz .LBB618_313
.LBB618_250:
	s_or_b32 exec_lo, exec_lo, s13
	s_and_saveexec_b32 s12, s11
	s_cbranch_execnz .LBB618_314
.LBB618_251:
	s_or_b32 exec_lo, exec_lo, s12
	s_and_saveexec_b32 s11, s10
	s_cbranch_execnz .LBB618_315
.LBB618_252:
	s_or_b32 exec_lo, exec_lo, s11
	s_and_saveexec_b32 s10, s8
	s_cbranch_execnz .LBB618_316
.LBB618_253:
	s_or_b32 exec_lo, exec_lo, s10
	s_and_saveexec_b32 s8, s6
	s_cbranch_execnz .LBB618_317
.LBB618_254:
	s_or_b32 exec_lo, exec_lo, s8
	s_and_saveexec_b32 s6, s9
	s_cbranch_execnz .LBB618_318
.LBB618_255:
	s_or_b32 exec_lo, exec_lo, s6
	s_and_saveexec_b32 s6, s7
	s_cbranch_execnz .LBB618_319
.LBB618_256:
	s_or_b32 exec_lo, exec_lo, s6
	s_and_saveexec_b32 s6, s5
	s_cbranch_execnz .LBB618_320
.LBB618_257:
	s_or_b32 exec_lo, exec_lo, s6
	s_and_saveexec_b32 s5, s4
	s_cbranch_execnz .LBB618_321
.LBB618_258:
	s_or_b32 exec_lo, exec_lo, s5
	s_and_saveexec_b32 s4, s3
	s_cbranch_execnz .LBB618_322
.LBB618_259:
	s_or_b32 exec_lo, exec_lo, s4
	s_and_saveexec_b32 s3, s1
	s_cbranch_execz .LBB618_261
.LBB618_260:
	v_sub_nc_u32_e32 v9, v71, v3
	s_delay_alu instid0(VALU_DEP_1)
	v_lshlrev_b32_e32 v9, 2, v9
	ds_store_b32 v9, v10
.LBB618_261:
	s_or_b32 exec_lo, exec_lo, s3
	s_delay_alu instid0(SALU_CYCLE_1)
	s_and_b32 s19, s0, exec_lo
                                        ; implicit-def: $vgpr21
                                        ; implicit-def: $vgpr19
                                        ; implicit-def: $vgpr17
                                        ; implicit-def: $vgpr15
                                        ; implicit-def: $vgpr13
                                        ; implicit-def: $vgpr11
                                        ; implicit-def: $vgpr9
	s_and_not1_saveexec_b32 s0, s18
	s_cbranch_execz .LBB618_168
.LBB618_262:
	v_sub_nc_u32_e32 v43, v67, v3
	v_sub_nc_u32_e32 v46, v65, v3
	;; [unrolled: 1-line block ×4, first 2 shown]
	s_or_b32 s19, s19, exec_lo
	v_lshlrev_b32_e32 v43, 2, v43
	v_lshlrev_b32_e32 v46, 2, v46
	;; [unrolled: 1-line block ×4, first 2 shown]
	ds_store_b32 v43, v21
	ds_store_b32 v44, v22
	;; [unrolled: 1-line block ×3, first 2 shown]
	v_sub_nc_u32_e32 v19, v59, v3
	ds_store_b32 v46, v20
	v_sub_nc_u32_e32 v20, v55, v3
	v_sub_nc_u32_e32 v21, v53, v3
	;; [unrolled: 1-line block ×3, first 2 shown]
	v_lshlrev_b32_e32 v19, 2, v19
	v_sub_nc_u32_e32 v43, v61, v3
	v_lshlrev_b32_e32 v20, 2, v20
	v_lshlrev_b32_e32 v21, 2, v21
	;; [unrolled: 1-line block ×3, first 2 shown]
	ds_store_b32 v19, v17
	v_lshlrev_b32_e32 v17, 2, v43
	ds_store_b32 v20, v18
	ds_store_b32 v21, v15
	;; [unrolled: 1-line block ×3, first 2 shown]
	v_sub_nc_u32_e32 v15, v5, v3
	v_sub_nc_u32_e32 v18, v71, v3
	v_sub_nc_u32_e32 v16, v51, v3
	ds_store_b32 v17, v13
	v_sub_nc_u32_e32 v13, v7, v3
	v_lshlrev_b32_e32 v15, 2, v15
	v_sub_nc_u32_e32 v17, v75, v3
	v_lshlrev_b32_e32 v16, 2, v16
	s_delay_alu instid0(VALU_DEP_4)
	v_lshlrev_b32_e32 v13, 2, v13
	ds_store_b32 v15, v14
	v_lshlrev_b32_e32 v14, 2, v18
	v_lshlrev_b32_e32 v17, 2, v17
	ds_store_b32 v13, v11
	ds_store_b32 v16, v12
	;; [unrolled: 1-line block ×4, first 2 shown]
	s_or_b32 exec_lo, exec_lo, s0
	s_delay_alu instid0(SALU_CYCLE_1)
	s_and_b32 exec_lo, exec_lo, s19
	s_cbranch_execnz .LBB618_169
	s_branch .LBB618_170
.LBB618_263:
	s_and_saveexec_b32 s18, s14
	s_cbranch_execnz .LBB618_323
; %bb.264:
	s_or_b32 exec_lo, exec_lo, s18
	s_and_saveexec_b32 s18, s13
	s_cbranch_execnz .LBB618_324
.LBB618_265:
	s_or_b32 exec_lo, exec_lo, s18
	s_and_saveexec_b32 s18, s12
	s_cbranch_execnz .LBB618_325
.LBB618_266:
	s_or_b32 exec_lo, exec_lo, s18
	s_and_saveexec_b32 s18, s11
	s_cbranch_execnz .LBB618_326
.LBB618_267:
	s_or_b32 exec_lo, exec_lo, s18
	s_and_saveexec_b32 s18, s10
	s_cbranch_execnz .LBB618_327
.LBB618_268:
	s_or_b32 exec_lo, exec_lo, s18
	s_and_saveexec_b32 s18, s9
	s_cbranch_execnz .LBB618_328
.LBB618_269:
	s_or_b32 exec_lo, exec_lo, s18
	s_and_saveexec_b32 s18, s8
	s_cbranch_execnz .LBB618_329
.LBB618_270:
	s_or_b32 exec_lo, exec_lo, s18
	s_and_saveexec_b32 s18, s7
	s_cbranch_execnz .LBB618_330
.LBB618_271:
	s_or_b32 exec_lo, exec_lo, s18
	s_and_saveexec_b32 s18, s6
	s_cbranch_execnz .LBB618_331
.LBB618_272:
	s_or_b32 exec_lo, exec_lo, s18
	s_and_saveexec_b32 s18, s5
	s_cbranch_execnz .LBB618_332
.LBB618_273:
	s_or_b32 exec_lo, exec_lo, s18
	s_and_saveexec_b32 s18, s4
	s_cbranch_execnz .LBB618_333
.LBB618_274:
	s_or_b32 exec_lo, exec_lo, s18
	s_and_saveexec_b32 s18, s3
	s_cbranch_execnz .LBB618_334
.LBB618_275:
	s_or_b32 exec_lo, exec_lo, s18
	s_and_saveexec_b32 s18, s2
	s_cbranch_execnz .LBB618_335
.LBB618_276:
	s_or_b32 exec_lo, exec_lo, s18
	s_and_saveexec_b32 s18, s1
	s_cbranch_execz .LBB618_278
.LBB618_277:
	v_sub_nc_u32_e32 v14, v71, v4
	v_mov_b32_e32 v15, 0
	s_delay_alu instid0(VALU_DEP_1) | instskip(NEXT) | instid1(VALU_DEP_1)
	v_lshlrev_b64 v[14:15], 2, v[14:15]
	v_add_co_u32 v14, vcc_lo, v11, v14
	s_delay_alu instid0(VALU_DEP_2)
	v_add_co_ci_u32_e32 v15, vcc_lo, v12, v15, vcc_lo
	global_store_b32 v[14:15], v72, off
.LBB618_278:
	s_or_b32 exec_lo, exec_lo, s18
	s_delay_alu instid0(SALU_CYCLE_1)
	s_and_b32 s18, s0, exec_lo
	s_and_not1_saveexec_b32 s15, s15
	s_cbranch_execz .LBB618_181
.LBB618_279:
	v_sub_nc_u32_e32 v14, v67, v4
	v_mov_b32_e32 v15, 0
	s_or_b32 s18, s18, exec_lo
	s_delay_alu instid0(VALU_DEP_1) | instskip(SKIP_1) | instid1(VALU_DEP_1)
	v_lshlrev_b64 v[16:17], 2, v[14:15]
	v_sub_nc_u32_e32 v14, v73, v4
	v_lshlrev_b64 v[18:19], 2, v[14:15]
	v_sub_nc_u32_e32 v14, v69, v4
	s_delay_alu instid0(VALU_DEP_4) | instskip(SKIP_1) | instid1(VALU_DEP_3)
	v_add_co_u32 v16, vcc_lo, v11, v16
	v_add_co_ci_u32_e32 v17, vcc_lo, v12, v17, vcc_lo
	v_lshlrev_b64 v[20:21], 2, v[14:15]
	v_sub_nc_u32_e32 v14, v65, v4
	v_add_co_u32 v18, vcc_lo, v11, v18
	v_add_co_ci_u32_e32 v19, vcc_lo, v12, v19, vcc_lo
	global_store_b32 v[16:17], v68, off
	v_lshlrev_b64 v[16:17], 2, v[14:15]
	v_sub_nc_u32_e32 v14, v59, v4
	global_store_b32 v[18:19], v74, off
	v_add_co_u32 v18, vcc_lo, v11, v20
	v_add_co_ci_u32_e32 v19, vcc_lo, v12, v21, vcc_lo
	v_lshlrev_b64 v[20:21], 2, v[14:15]
	v_sub_nc_u32_e32 v14, v55, v4
	v_add_co_u32 v16, vcc_lo, v11, v16
	v_add_co_ci_u32_e32 v17, vcc_lo, v12, v17, vcc_lo
	s_delay_alu instid0(VALU_DEP_3) | instskip(SKIP_3) | instid1(VALU_DEP_3)
	v_lshlrev_b64 v[22:23], 2, v[14:15]
	v_sub_nc_u32_e32 v14, v53, v4
	v_add_co_u32 v20, vcc_lo, v11, v20
	v_add_co_ci_u32_e32 v21, vcc_lo, v12, v21, vcc_lo
	v_lshlrev_b64 v[24:25], 2, v[14:15]
	v_sub_nc_u32_e32 v14, v57, v4
	v_add_co_u32 v22, vcc_lo, v11, v22
	v_add_co_ci_u32_e32 v23, vcc_lo, v12, v23, vcc_lo
	s_clause 0x3
	global_store_b32 v[18:19], v70, off
	global_store_b32 v[16:17], v66, off
	;; [unrolled: 1-line block ×4, first 2 shown]
	v_lshlrev_b64 v[16:17], 2, v[14:15]
	v_sub_nc_u32_e32 v14, v61, v4
	v_add_co_u32 v18, vcc_lo, v11, v24
	v_add_co_ci_u32_e32 v19, vcc_lo, v12, v25, vcc_lo
	s_delay_alu instid0(VALU_DEP_3) | instskip(SKIP_3) | instid1(VALU_DEP_3)
	v_lshlrev_b64 v[20:21], 2, v[14:15]
	v_sub_nc_u32_e32 v14, v5, v4
	v_add_co_u32 v16, vcc_lo, v11, v16
	v_add_co_ci_u32_e32 v17, vcc_lo, v12, v17, vcc_lo
	v_lshlrev_b64 v[22:23], 2, v[14:15]
	v_sub_nc_u32_e32 v14, v7, v4
	v_add_co_u32 v20, vcc_lo, v11, v20
	v_add_co_ci_u32_e32 v21, vcc_lo, v12, v21, vcc_lo
	s_delay_alu instid0(VALU_DEP_3)
	v_lshlrev_b64 v[24:25], 2, v[14:15]
	v_sub_nc_u32_e32 v14, v51, v4
	v_add_co_u32 v22, vcc_lo, v11, v22
	v_add_co_ci_u32_e32 v23, vcc_lo, v12, v23, vcc_lo
	s_clause 0x3
	global_store_b32 v[18:19], v54, off
	global_store_b32 v[16:17], v58, off
	;; [unrolled: 1-line block ×4, first 2 shown]
	v_lshlrev_b64 v[16:17], 2, v[14:15]
	v_sub_nc_u32_e32 v14, v75, v4
	v_add_co_u32 v18, vcc_lo, v11, v24
	v_add_co_ci_u32_e32 v19, vcc_lo, v12, v25, vcc_lo
	s_delay_alu instid0(VALU_DEP_3) | instskip(SKIP_3) | instid1(VALU_DEP_3)
	v_lshlrev_b64 v[20:21], 2, v[14:15]
	v_sub_nc_u32_e32 v14, v71, v4
	v_add_co_u32 v16, vcc_lo, v11, v16
	v_add_co_ci_u32_e32 v17, vcc_lo, v12, v17, vcc_lo
	v_lshlrev_b64 v[14:15], 2, v[14:15]
	v_add_co_u32 v20, vcc_lo, v11, v20
	v_add_co_ci_u32_e32 v21, vcc_lo, v12, v21, vcc_lo
	s_clause 0x2
	global_store_b32 v[18:19], v8, off
	global_store_b32 v[16:17], v52, off
	;; [unrolled: 1-line block ×3, first 2 shown]
	v_add_co_u32 v14, vcc_lo, v11, v14
	v_add_co_ci_u32_e32 v15, vcc_lo, v12, v15, vcc_lo
	global_store_b32 v[14:15], v72, off
	s_or_b32 exec_lo, exec_lo, s15
	s_delay_alu instid0(SALU_CYCLE_1)
	s_and_b32 exec_lo, exec_lo, s18
	s_cbranch_execnz .LBB618_182
	s_branch .LBB618_183
.LBB618_280:
	s_and_saveexec_b32 s18, s14
	s_cbranch_execnz .LBB618_336
; %bb.281:
	s_or_b32 exec_lo, exec_lo, s18
	s_and_saveexec_b32 s14, s13
	s_cbranch_execnz .LBB618_337
.LBB618_282:
	s_or_b32 exec_lo, exec_lo, s14
	s_and_saveexec_b32 s13, s12
	s_cbranch_execnz .LBB618_338
.LBB618_283:
	s_or_b32 exec_lo, exec_lo, s13
	s_and_saveexec_b32 s12, s11
	s_cbranch_execnz .LBB618_339
.LBB618_284:
	s_or_b32 exec_lo, exec_lo, s12
	s_and_saveexec_b32 s11, s10
	s_cbranch_execnz .LBB618_340
.LBB618_285:
	s_or_b32 exec_lo, exec_lo, s11
	s_and_saveexec_b32 s10, s9
	s_cbranch_execnz .LBB618_341
.LBB618_286:
	s_or_b32 exec_lo, exec_lo, s10
	s_and_saveexec_b32 s9, s8
	s_cbranch_execnz .LBB618_342
.LBB618_287:
	s_or_b32 exec_lo, exec_lo, s9
	s_and_saveexec_b32 s8, s7
	s_cbranch_execnz .LBB618_343
.LBB618_288:
	s_or_b32 exec_lo, exec_lo, s8
	s_and_saveexec_b32 s7, s6
	s_cbranch_execnz .LBB618_344
.LBB618_289:
	s_or_b32 exec_lo, exec_lo, s7
	s_and_saveexec_b32 s6, s5
	s_cbranch_execnz .LBB618_345
.LBB618_290:
	s_or_b32 exec_lo, exec_lo, s6
	s_and_saveexec_b32 s5, s4
	s_cbranch_execnz .LBB618_346
.LBB618_291:
	s_or_b32 exec_lo, exec_lo, s5
	s_and_saveexec_b32 s4, s3
	s_cbranch_execnz .LBB618_347
.LBB618_292:
	s_or_b32 exec_lo, exec_lo, s4
	s_and_saveexec_b32 s3, s2
	s_cbranch_execnz .LBB618_348
.LBB618_293:
	s_or_b32 exec_lo, exec_lo, s3
	s_and_saveexec_b32 s2, s1
	s_cbranch_execz .LBB618_295
.LBB618_294:
	v_sub_nc_u32_e32 v5, v71, v4
	s_delay_alu instid0(VALU_DEP_1)
	v_lshlrev_b32_e32 v5, 2, v5
	ds_store_b32 v5, v72
.LBB618_295:
	s_or_b32 exec_lo, exec_lo, s2
	s_delay_alu instid0(SALU_CYCLE_1)
	s_and_b32 s18, s0, exec_lo
                                        ; implicit-def: $vgpr67_vgpr68
                                        ; implicit-def: $vgpr73_vgpr74
                                        ; implicit-def: $vgpr69_vgpr70
                                        ; implicit-def: $vgpr65_vgpr66
                                        ; implicit-def: $vgpr59_vgpr60
                                        ; implicit-def: $vgpr55_vgpr56
                                        ; implicit-def: $vgpr53_vgpr54
                                        ; implicit-def: $vgpr57_vgpr58
                                        ; implicit-def: $vgpr61_vgpr62
                                        ; implicit-def: $vgpr5_vgpr6
                                        ; implicit-def: $vgpr7_vgpr8
                                        ; implicit-def: $vgpr51_vgpr52
                                        ; implicit-def: $vgpr75_vgpr76
                                        ; implicit-def: $vgpr71_vgpr72
	s_and_not1_saveexec_b32 s0, s16
	s_cbranch_execz .LBB618_187
.LBB618_296:
	v_sub_nc_u32_e32 v13, v67, v4
	v_sub_nc_u32_e32 v14, v73, v4
	;; [unrolled: 1-line block ×5, first 2 shown]
	v_lshlrev_b32_e32 v13, 2, v13
	v_lshlrev_b32_e32 v14, 2, v14
	;; [unrolled: 1-line block ×4, first 2 shown]
	v_sub_nc_u32_e32 v5, v5, v4
	ds_store_b32 v13, v68
	ds_store_b32 v14, v74
	;; [unrolled: 1-line block ×3, first 2 shown]
	v_sub_nc_u32_e32 v13, v59, v4
	v_sub_nc_u32_e32 v14, v55, v4
	;; [unrolled: 1-line block ×3, first 2 shown]
	ds_store_b32 v16, v66
	v_sub_nc_u32_e32 v16, v57, v4
	v_lshlrev_b32_e32 v13, 2, v13
	v_lshlrev_b32_e32 v14, 2, v14
	;; [unrolled: 1-line block ×3, first 2 shown]
	v_sub_nc_u32_e32 v7, v7, v4
	v_lshlrev_b32_e32 v16, 2, v16
	ds_store_b32 v13, v60
	v_lshlrev_b32_e32 v13, 2, v17
	ds_store_b32 v14, v56
	ds_store_b32 v15, v54
	;; [unrolled: 1-line block ×3, first 2 shown]
	v_lshlrev_b32_e32 v5, 2, v5
	v_sub_nc_u32_e32 v15, v71, v4
	v_sub_nc_u32_e32 v14, v75, v4
	ds_store_b32 v13, v62
	v_sub_nc_u32_e32 v13, v51, v4
	v_lshlrev_b32_e32 v7, 2, v7
	ds_store_b32 v5, v6
	v_lshlrev_b32_e32 v5, 2, v15
	v_lshlrev_b32_e32 v14, 2, v14
	;; [unrolled: 1-line block ×3, first 2 shown]
	s_or_b32 s18, s18, exec_lo
	ds_store_b32 v7, v8
	ds_store_b32 v13, v52
	;; [unrolled: 1-line block ×4, first 2 shown]
	s_or_b32 exec_lo, exec_lo, s0
	s_delay_alu instid0(SALU_CYCLE_1)
	s_and_b32 exec_lo, exec_lo, s18
	s_cbranch_execnz .LBB618_188
	s_branch .LBB618_189
.LBB618_297:
	v_sub_nc_u32_e32 v44, v67, v3
	v_mov_b32_e32 v45, 0
	s_delay_alu instid0(VALU_DEP_1) | instskip(NEXT) | instid1(VALU_DEP_1)
	v_lshlrev_b64 v[44:45], 2, v[44:45]
	v_add_co_u32 v44, vcc_lo, v2, v44
	s_delay_alu instid0(VALU_DEP_2)
	v_add_co_ci_u32_e32 v45, vcc_lo, v4, v45, vcc_lo
	global_store_b32 v[44:45], v21, off
	s_or_b32 exec_lo, exec_lo, s19
	s_and_saveexec_b32 s19, s14
	s_cbranch_execz .LBB618_231
.LBB618_298:
	v_sub_nc_u32_e32 v44, v73, v3
	v_mov_b32_e32 v45, 0
	s_delay_alu instid0(VALU_DEP_1) | instskip(NEXT) | instid1(VALU_DEP_1)
	v_lshlrev_b64 v[44:45], 2, v[44:45]
	v_add_co_u32 v44, vcc_lo, v2, v44
	s_delay_alu instid0(VALU_DEP_2)
	v_add_co_ci_u32_e32 v45, vcc_lo, v4, v45, vcc_lo
	global_store_b32 v[44:45], v22, off
	s_or_b32 exec_lo, exec_lo, s19
	s_and_saveexec_b32 s19, s13
	s_cbranch_execz .LBB618_232
.LBB618_299:
	v_sub_nc_u32_e32 v44, v69, v3
	v_mov_b32_e32 v45, 0
	s_delay_alu instid0(VALU_DEP_1) | instskip(NEXT) | instid1(VALU_DEP_1)
	v_lshlrev_b64 v[44:45], 2, v[44:45]
	v_add_co_u32 v44, vcc_lo, v2, v44
	s_delay_alu instid0(VALU_DEP_2)
	v_add_co_ci_u32_e32 v45, vcc_lo, v4, v45, vcc_lo
	global_store_b32 v[44:45], v19, off
	s_or_b32 exec_lo, exec_lo, s19
	s_and_saveexec_b32 s19, s12
	s_cbranch_execz .LBB618_233
.LBB618_300:
	v_sub_nc_u32_e32 v44, v65, v3
	v_mov_b32_e32 v45, 0
	s_delay_alu instid0(VALU_DEP_1) | instskip(NEXT) | instid1(VALU_DEP_1)
	v_lshlrev_b64 v[44:45], 2, v[44:45]
	v_add_co_u32 v44, vcc_lo, v2, v44
	s_delay_alu instid0(VALU_DEP_2)
	v_add_co_ci_u32_e32 v45, vcc_lo, v4, v45, vcc_lo
	global_store_b32 v[44:45], v20, off
	s_or_b32 exec_lo, exec_lo, s19
	s_and_saveexec_b32 s19, s11
	s_cbranch_execz .LBB618_234
.LBB618_301:
	v_sub_nc_u32_e32 v44, v59, v3
	v_mov_b32_e32 v45, 0
	s_delay_alu instid0(VALU_DEP_1) | instskip(NEXT) | instid1(VALU_DEP_1)
	v_lshlrev_b64 v[44:45], 2, v[44:45]
	v_add_co_u32 v44, vcc_lo, v2, v44
	s_delay_alu instid0(VALU_DEP_2)
	v_add_co_ci_u32_e32 v45, vcc_lo, v4, v45, vcc_lo
	global_store_b32 v[44:45], v17, off
	s_or_b32 exec_lo, exec_lo, s19
	s_and_saveexec_b32 s19, s10
	s_cbranch_execz .LBB618_235
.LBB618_302:
	v_sub_nc_u32_e32 v44, v55, v3
	v_mov_b32_e32 v45, 0
	s_delay_alu instid0(VALU_DEP_1) | instskip(NEXT) | instid1(VALU_DEP_1)
	v_lshlrev_b64 v[44:45], 2, v[44:45]
	v_add_co_u32 v44, vcc_lo, v2, v44
	s_delay_alu instid0(VALU_DEP_2)
	v_add_co_ci_u32_e32 v45, vcc_lo, v4, v45, vcc_lo
	global_store_b32 v[44:45], v18, off
	s_or_b32 exec_lo, exec_lo, s19
	s_and_saveexec_b32 s19, s8
	s_cbranch_execz .LBB618_236
.LBB618_303:
	v_sub_nc_u32_e32 v44, v53, v3
	v_mov_b32_e32 v45, 0
	s_delay_alu instid0(VALU_DEP_1) | instskip(NEXT) | instid1(VALU_DEP_1)
	v_lshlrev_b64 v[44:45], 2, v[44:45]
	v_add_co_u32 v44, vcc_lo, v2, v44
	s_delay_alu instid0(VALU_DEP_2)
	v_add_co_ci_u32_e32 v45, vcc_lo, v4, v45, vcc_lo
	global_store_b32 v[44:45], v15, off
	s_or_b32 exec_lo, exec_lo, s19
	s_and_saveexec_b32 s19, s6
	s_cbranch_execz .LBB618_237
.LBB618_304:
	v_sub_nc_u32_e32 v44, v57, v3
	v_mov_b32_e32 v45, 0
	s_delay_alu instid0(VALU_DEP_1) | instskip(NEXT) | instid1(VALU_DEP_1)
	v_lshlrev_b64 v[44:45], 2, v[44:45]
	v_add_co_u32 v44, vcc_lo, v2, v44
	s_delay_alu instid0(VALU_DEP_2)
	v_add_co_ci_u32_e32 v45, vcc_lo, v4, v45, vcc_lo
	global_store_b32 v[44:45], v16, off
	s_or_b32 exec_lo, exec_lo, s19
	s_and_saveexec_b32 s19, s9
	s_cbranch_execz .LBB618_238
.LBB618_305:
	v_sub_nc_u32_e32 v44, v61, v3
	v_mov_b32_e32 v45, 0
	s_delay_alu instid0(VALU_DEP_1) | instskip(NEXT) | instid1(VALU_DEP_1)
	v_lshlrev_b64 v[44:45], 2, v[44:45]
	v_add_co_u32 v44, vcc_lo, v2, v44
	s_delay_alu instid0(VALU_DEP_2)
	v_add_co_ci_u32_e32 v45, vcc_lo, v4, v45, vcc_lo
	global_store_b32 v[44:45], v13, off
	s_or_b32 exec_lo, exec_lo, s19
	s_and_saveexec_b32 s19, s7
	s_cbranch_execz .LBB618_239
.LBB618_306:
	v_sub_nc_u32_e32 v44, v5, v3
	v_mov_b32_e32 v45, 0
	s_delay_alu instid0(VALU_DEP_1) | instskip(NEXT) | instid1(VALU_DEP_1)
	v_lshlrev_b64 v[44:45], 2, v[44:45]
	v_add_co_u32 v44, vcc_lo, v2, v44
	s_delay_alu instid0(VALU_DEP_2)
	v_add_co_ci_u32_e32 v45, vcc_lo, v4, v45, vcc_lo
	global_store_b32 v[44:45], v14, off
	s_or_b32 exec_lo, exec_lo, s19
	s_and_saveexec_b32 s19, s5
	s_cbranch_execz .LBB618_240
.LBB618_307:
	v_sub_nc_u32_e32 v44, v7, v3
	v_mov_b32_e32 v45, 0
	s_delay_alu instid0(VALU_DEP_1) | instskip(NEXT) | instid1(VALU_DEP_1)
	v_lshlrev_b64 v[44:45], 2, v[44:45]
	v_add_co_u32 v44, vcc_lo, v2, v44
	s_delay_alu instid0(VALU_DEP_2)
	v_add_co_ci_u32_e32 v45, vcc_lo, v4, v45, vcc_lo
	global_store_b32 v[44:45], v11, off
	s_or_b32 exec_lo, exec_lo, s19
	s_and_saveexec_b32 s19, s4
	s_cbranch_execz .LBB618_241
.LBB618_308:
	v_sub_nc_u32_e32 v44, v51, v3
	v_mov_b32_e32 v45, 0
	s_delay_alu instid0(VALU_DEP_1) | instskip(NEXT) | instid1(VALU_DEP_1)
	v_lshlrev_b64 v[44:45], 2, v[44:45]
	v_add_co_u32 v44, vcc_lo, v2, v44
	s_delay_alu instid0(VALU_DEP_2)
	v_add_co_ci_u32_e32 v45, vcc_lo, v4, v45, vcc_lo
	global_store_b32 v[44:45], v12, off
	s_or_b32 exec_lo, exec_lo, s19
	s_and_saveexec_b32 s19, s3
	s_cbranch_execz .LBB618_242
.LBB618_309:
	v_sub_nc_u32_e32 v44, v75, v3
	v_mov_b32_e32 v45, 0
	s_delay_alu instid0(VALU_DEP_1) | instskip(NEXT) | instid1(VALU_DEP_1)
	v_lshlrev_b64 v[44:45], 2, v[44:45]
	v_add_co_u32 v44, vcc_lo, v2, v44
	s_delay_alu instid0(VALU_DEP_2)
	v_add_co_ci_u32_e32 v45, vcc_lo, v4, v45, vcc_lo
	global_store_b32 v[44:45], v9, off
	s_or_b32 exec_lo, exec_lo, s19
	s_and_saveexec_b32 s19, s1
	s_cbranch_execnz .LBB618_243
	s_branch .LBB618_244
.LBB618_310:
	v_sub_nc_u32_e32 v43, v67, v3
	s_delay_alu instid0(VALU_DEP_1)
	v_lshlrev_b32_e32 v43, 2, v43
	ds_store_b32 v43, v21
	s_or_b32 exec_lo, exec_lo, s19
	s_and_saveexec_b32 s15, s14
	s_cbranch_execz .LBB618_248
.LBB618_311:
	v_sub_nc_u32_e32 v21, v73, v3
	s_delay_alu instid0(VALU_DEP_1)
	v_lshlrev_b32_e32 v21, 2, v21
	ds_store_b32 v21, v22
	s_or_b32 exec_lo, exec_lo, s15
	s_and_saveexec_b32 s14, s13
	s_cbranch_execz .LBB618_249
.LBB618_312:
	v_sub_nc_u32_e32 v21, v69, v3
	s_delay_alu instid0(VALU_DEP_1)
	v_lshlrev_b32_e32 v21, 2, v21
	ds_store_b32 v21, v19
	s_or_b32 exec_lo, exec_lo, s14
	s_and_saveexec_b32 s13, s12
	s_cbranch_execz .LBB618_250
.LBB618_313:
	v_sub_nc_u32_e32 v19, v65, v3
	s_delay_alu instid0(VALU_DEP_1)
	v_lshlrev_b32_e32 v19, 2, v19
	ds_store_b32 v19, v20
	s_or_b32 exec_lo, exec_lo, s13
	s_and_saveexec_b32 s12, s11
	s_cbranch_execz .LBB618_251
.LBB618_314:
	v_sub_nc_u32_e32 v19, v59, v3
	s_delay_alu instid0(VALU_DEP_1)
	v_lshlrev_b32_e32 v19, 2, v19
	ds_store_b32 v19, v17
	s_or_b32 exec_lo, exec_lo, s12
	s_and_saveexec_b32 s11, s10
	s_cbranch_execz .LBB618_252
.LBB618_315:
	v_sub_nc_u32_e32 v17, v55, v3
	s_delay_alu instid0(VALU_DEP_1)
	v_lshlrev_b32_e32 v17, 2, v17
	ds_store_b32 v17, v18
	s_or_b32 exec_lo, exec_lo, s11
	s_and_saveexec_b32 s10, s8
	s_cbranch_execz .LBB618_253
.LBB618_316:
	v_sub_nc_u32_e32 v17, v53, v3
	s_delay_alu instid0(VALU_DEP_1)
	v_lshlrev_b32_e32 v17, 2, v17
	ds_store_b32 v17, v15
	s_or_b32 exec_lo, exec_lo, s10
	s_and_saveexec_b32 s8, s6
	s_cbranch_execz .LBB618_254
.LBB618_317:
	v_sub_nc_u32_e32 v15, v57, v3
	s_delay_alu instid0(VALU_DEP_1)
	v_lshlrev_b32_e32 v15, 2, v15
	ds_store_b32 v15, v16
	s_or_b32 exec_lo, exec_lo, s8
	s_and_saveexec_b32 s6, s9
	s_cbranch_execz .LBB618_255
.LBB618_318:
	v_sub_nc_u32_e32 v15, v61, v3
	s_delay_alu instid0(VALU_DEP_1)
	v_lshlrev_b32_e32 v15, 2, v15
	ds_store_b32 v15, v13
	s_or_b32 exec_lo, exec_lo, s6
	s_and_saveexec_b32 s6, s7
	s_cbranch_execz .LBB618_256
.LBB618_319:
	v_sub_nc_u32_e32 v13, v5, v3
	s_delay_alu instid0(VALU_DEP_1)
	v_lshlrev_b32_e32 v13, 2, v13
	ds_store_b32 v13, v14
	s_or_b32 exec_lo, exec_lo, s6
	s_and_saveexec_b32 s6, s5
	s_cbranch_execz .LBB618_257
.LBB618_320:
	v_sub_nc_u32_e32 v13, v7, v3
	s_delay_alu instid0(VALU_DEP_1)
	v_lshlrev_b32_e32 v13, 2, v13
	ds_store_b32 v13, v11
	s_or_b32 exec_lo, exec_lo, s6
	s_and_saveexec_b32 s5, s4
	s_cbranch_execz .LBB618_258
.LBB618_321:
	v_sub_nc_u32_e32 v11, v51, v3
	s_delay_alu instid0(VALU_DEP_1)
	v_lshlrev_b32_e32 v11, 2, v11
	ds_store_b32 v11, v12
	s_or_b32 exec_lo, exec_lo, s5
	s_and_saveexec_b32 s4, s3
	s_cbranch_execz .LBB618_259
.LBB618_322:
	v_sub_nc_u32_e32 v11, v75, v3
	s_delay_alu instid0(VALU_DEP_1)
	v_lshlrev_b32_e32 v11, 2, v11
	ds_store_b32 v11, v9
	s_or_b32 exec_lo, exec_lo, s4
	s_and_saveexec_b32 s3, s1
	s_cbranch_execnz .LBB618_260
	s_branch .LBB618_261
.LBB618_323:
	v_sub_nc_u32_e32 v14, v67, v4
	v_mov_b32_e32 v15, 0
	s_delay_alu instid0(VALU_DEP_1) | instskip(NEXT) | instid1(VALU_DEP_1)
	v_lshlrev_b64 v[14:15], 2, v[14:15]
	v_add_co_u32 v14, vcc_lo, v11, v14
	s_delay_alu instid0(VALU_DEP_2)
	v_add_co_ci_u32_e32 v15, vcc_lo, v12, v15, vcc_lo
	global_store_b32 v[14:15], v68, off
	s_or_b32 exec_lo, exec_lo, s18
	s_and_saveexec_b32 s18, s13
	s_cbranch_execz .LBB618_265
.LBB618_324:
	v_sub_nc_u32_e32 v14, v73, v4
	v_mov_b32_e32 v15, 0
	s_delay_alu instid0(VALU_DEP_1) | instskip(NEXT) | instid1(VALU_DEP_1)
	v_lshlrev_b64 v[14:15], 2, v[14:15]
	v_add_co_u32 v14, vcc_lo, v11, v14
	s_delay_alu instid0(VALU_DEP_2)
	v_add_co_ci_u32_e32 v15, vcc_lo, v12, v15, vcc_lo
	global_store_b32 v[14:15], v74, off
	s_or_b32 exec_lo, exec_lo, s18
	s_and_saveexec_b32 s18, s12
	s_cbranch_execz .LBB618_266
.LBB618_325:
	v_sub_nc_u32_e32 v14, v69, v4
	v_mov_b32_e32 v15, 0
	s_delay_alu instid0(VALU_DEP_1) | instskip(NEXT) | instid1(VALU_DEP_1)
	v_lshlrev_b64 v[14:15], 2, v[14:15]
	v_add_co_u32 v14, vcc_lo, v11, v14
	s_delay_alu instid0(VALU_DEP_2)
	v_add_co_ci_u32_e32 v15, vcc_lo, v12, v15, vcc_lo
	global_store_b32 v[14:15], v70, off
	s_or_b32 exec_lo, exec_lo, s18
	s_and_saveexec_b32 s18, s11
	s_cbranch_execz .LBB618_267
.LBB618_326:
	v_sub_nc_u32_e32 v14, v65, v4
	v_mov_b32_e32 v15, 0
	s_delay_alu instid0(VALU_DEP_1) | instskip(NEXT) | instid1(VALU_DEP_1)
	v_lshlrev_b64 v[14:15], 2, v[14:15]
	v_add_co_u32 v14, vcc_lo, v11, v14
	s_delay_alu instid0(VALU_DEP_2)
	v_add_co_ci_u32_e32 v15, vcc_lo, v12, v15, vcc_lo
	global_store_b32 v[14:15], v66, off
	s_or_b32 exec_lo, exec_lo, s18
	s_and_saveexec_b32 s18, s10
	s_cbranch_execz .LBB618_268
.LBB618_327:
	v_sub_nc_u32_e32 v14, v59, v4
	v_mov_b32_e32 v15, 0
	s_delay_alu instid0(VALU_DEP_1) | instskip(NEXT) | instid1(VALU_DEP_1)
	v_lshlrev_b64 v[14:15], 2, v[14:15]
	v_add_co_u32 v14, vcc_lo, v11, v14
	s_delay_alu instid0(VALU_DEP_2)
	v_add_co_ci_u32_e32 v15, vcc_lo, v12, v15, vcc_lo
	global_store_b32 v[14:15], v60, off
	s_or_b32 exec_lo, exec_lo, s18
	s_and_saveexec_b32 s18, s9
	s_cbranch_execz .LBB618_269
.LBB618_328:
	v_sub_nc_u32_e32 v14, v55, v4
	v_mov_b32_e32 v15, 0
	s_delay_alu instid0(VALU_DEP_1) | instskip(NEXT) | instid1(VALU_DEP_1)
	v_lshlrev_b64 v[14:15], 2, v[14:15]
	v_add_co_u32 v14, vcc_lo, v11, v14
	s_delay_alu instid0(VALU_DEP_2)
	v_add_co_ci_u32_e32 v15, vcc_lo, v12, v15, vcc_lo
	global_store_b32 v[14:15], v56, off
	s_or_b32 exec_lo, exec_lo, s18
	s_and_saveexec_b32 s18, s8
	s_cbranch_execz .LBB618_270
.LBB618_329:
	v_sub_nc_u32_e32 v14, v53, v4
	v_mov_b32_e32 v15, 0
	s_delay_alu instid0(VALU_DEP_1) | instskip(NEXT) | instid1(VALU_DEP_1)
	v_lshlrev_b64 v[14:15], 2, v[14:15]
	v_add_co_u32 v14, vcc_lo, v11, v14
	s_delay_alu instid0(VALU_DEP_2)
	v_add_co_ci_u32_e32 v15, vcc_lo, v12, v15, vcc_lo
	global_store_b32 v[14:15], v54, off
	s_or_b32 exec_lo, exec_lo, s18
	s_and_saveexec_b32 s18, s7
	s_cbranch_execz .LBB618_271
.LBB618_330:
	v_sub_nc_u32_e32 v14, v57, v4
	v_mov_b32_e32 v15, 0
	s_delay_alu instid0(VALU_DEP_1) | instskip(NEXT) | instid1(VALU_DEP_1)
	v_lshlrev_b64 v[14:15], 2, v[14:15]
	v_add_co_u32 v14, vcc_lo, v11, v14
	s_delay_alu instid0(VALU_DEP_2)
	v_add_co_ci_u32_e32 v15, vcc_lo, v12, v15, vcc_lo
	global_store_b32 v[14:15], v58, off
	s_or_b32 exec_lo, exec_lo, s18
	s_and_saveexec_b32 s18, s6
	s_cbranch_execz .LBB618_272
.LBB618_331:
	v_sub_nc_u32_e32 v14, v61, v4
	v_mov_b32_e32 v15, 0
	s_delay_alu instid0(VALU_DEP_1) | instskip(NEXT) | instid1(VALU_DEP_1)
	v_lshlrev_b64 v[14:15], 2, v[14:15]
	v_add_co_u32 v14, vcc_lo, v11, v14
	s_delay_alu instid0(VALU_DEP_2)
	v_add_co_ci_u32_e32 v15, vcc_lo, v12, v15, vcc_lo
	global_store_b32 v[14:15], v62, off
	s_or_b32 exec_lo, exec_lo, s18
	s_and_saveexec_b32 s18, s5
	s_cbranch_execz .LBB618_273
.LBB618_332:
	v_sub_nc_u32_e32 v14, v5, v4
	v_mov_b32_e32 v15, 0
	s_delay_alu instid0(VALU_DEP_1) | instskip(NEXT) | instid1(VALU_DEP_1)
	v_lshlrev_b64 v[14:15], 2, v[14:15]
	v_add_co_u32 v14, vcc_lo, v11, v14
	s_delay_alu instid0(VALU_DEP_2)
	v_add_co_ci_u32_e32 v15, vcc_lo, v12, v15, vcc_lo
	global_store_b32 v[14:15], v6, off
	s_or_b32 exec_lo, exec_lo, s18
	s_and_saveexec_b32 s18, s4
	s_cbranch_execz .LBB618_274
.LBB618_333:
	v_sub_nc_u32_e32 v14, v7, v4
	v_mov_b32_e32 v15, 0
	s_delay_alu instid0(VALU_DEP_1) | instskip(NEXT) | instid1(VALU_DEP_1)
	v_lshlrev_b64 v[14:15], 2, v[14:15]
	v_add_co_u32 v14, vcc_lo, v11, v14
	s_delay_alu instid0(VALU_DEP_2)
	v_add_co_ci_u32_e32 v15, vcc_lo, v12, v15, vcc_lo
	global_store_b32 v[14:15], v8, off
	s_or_b32 exec_lo, exec_lo, s18
	s_and_saveexec_b32 s18, s3
	s_cbranch_execz .LBB618_275
.LBB618_334:
	v_sub_nc_u32_e32 v14, v51, v4
	v_mov_b32_e32 v15, 0
	s_delay_alu instid0(VALU_DEP_1) | instskip(NEXT) | instid1(VALU_DEP_1)
	v_lshlrev_b64 v[14:15], 2, v[14:15]
	v_add_co_u32 v14, vcc_lo, v11, v14
	s_delay_alu instid0(VALU_DEP_2)
	v_add_co_ci_u32_e32 v15, vcc_lo, v12, v15, vcc_lo
	global_store_b32 v[14:15], v52, off
	s_or_b32 exec_lo, exec_lo, s18
	s_and_saveexec_b32 s18, s2
	s_cbranch_execz .LBB618_276
.LBB618_335:
	v_sub_nc_u32_e32 v14, v75, v4
	v_mov_b32_e32 v15, 0
	s_delay_alu instid0(VALU_DEP_1) | instskip(NEXT) | instid1(VALU_DEP_1)
	v_lshlrev_b64 v[14:15], 2, v[14:15]
	v_add_co_u32 v14, vcc_lo, v11, v14
	s_delay_alu instid0(VALU_DEP_2)
	v_add_co_ci_u32_e32 v15, vcc_lo, v12, v15, vcc_lo
	global_store_b32 v[14:15], v76, off
	s_or_b32 exec_lo, exec_lo, s18
	s_and_saveexec_b32 s18, s1
	s_cbranch_execnz .LBB618_277
	s_branch .LBB618_278
.LBB618_336:
	v_sub_nc_u32_e32 v13, v67, v4
	s_delay_alu instid0(VALU_DEP_1)
	v_lshlrev_b32_e32 v13, 2, v13
	ds_store_b32 v13, v68
	s_or_b32 exec_lo, exec_lo, s18
	s_and_saveexec_b32 s14, s13
	s_cbranch_execz .LBB618_282
.LBB618_337:
	v_sub_nc_u32_e32 v13, v73, v4
	s_delay_alu instid0(VALU_DEP_1)
	v_lshlrev_b32_e32 v13, 2, v13
	ds_store_b32 v13, v74
	s_or_b32 exec_lo, exec_lo, s14
	s_and_saveexec_b32 s13, s12
	s_cbranch_execz .LBB618_283
.LBB618_338:
	v_sub_nc_u32_e32 v13, v69, v4
	s_delay_alu instid0(VALU_DEP_1)
	v_lshlrev_b32_e32 v13, 2, v13
	ds_store_b32 v13, v70
	s_or_b32 exec_lo, exec_lo, s13
	s_and_saveexec_b32 s12, s11
	s_cbranch_execz .LBB618_284
.LBB618_339:
	v_sub_nc_u32_e32 v13, v65, v4
	s_delay_alu instid0(VALU_DEP_1)
	v_lshlrev_b32_e32 v13, 2, v13
	ds_store_b32 v13, v66
	s_or_b32 exec_lo, exec_lo, s12
	s_and_saveexec_b32 s11, s10
	s_cbranch_execz .LBB618_285
.LBB618_340:
	v_sub_nc_u32_e32 v13, v59, v4
	s_delay_alu instid0(VALU_DEP_1)
	v_lshlrev_b32_e32 v13, 2, v13
	ds_store_b32 v13, v60
	s_or_b32 exec_lo, exec_lo, s11
	s_and_saveexec_b32 s10, s9
	s_cbranch_execz .LBB618_286
.LBB618_341:
	v_sub_nc_u32_e32 v13, v55, v4
	s_delay_alu instid0(VALU_DEP_1)
	v_lshlrev_b32_e32 v13, 2, v13
	ds_store_b32 v13, v56
	s_or_b32 exec_lo, exec_lo, s10
	s_and_saveexec_b32 s9, s8
	s_cbranch_execz .LBB618_287
.LBB618_342:
	v_sub_nc_u32_e32 v13, v53, v4
	s_delay_alu instid0(VALU_DEP_1)
	v_lshlrev_b32_e32 v13, 2, v13
	ds_store_b32 v13, v54
	s_or_b32 exec_lo, exec_lo, s9
	s_and_saveexec_b32 s8, s7
	s_cbranch_execz .LBB618_288
.LBB618_343:
	v_sub_nc_u32_e32 v13, v57, v4
	s_delay_alu instid0(VALU_DEP_1)
	v_lshlrev_b32_e32 v13, 2, v13
	ds_store_b32 v13, v58
	s_or_b32 exec_lo, exec_lo, s8
	s_and_saveexec_b32 s7, s6
	s_cbranch_execz .LBB618_289
.LBB618_344:
	v_sub_nc_u32_e32 v13, v61, v4
	s_delay_alu instid0(VALU_DEP_1)
	v_lshlrev_b32_e32 v13, 2, v13
	ds_store_b32 v13, v62
	s_or_b32 exec_lo, exec_lo, s7
	s_and_saveexec_b32 s6, s5
	s_cbranch_execz .LBB618_290
.LBB618_345:
	v_sub_nc_u32_e32 v5, v5, v4
	s_delay_alu instid0(VALU_DEP_1)
	v_lshlrev_b32_e32 v5, 2, v5
	ds_store_b32 v5, v6
	s_or_b32 exec_lo, exec_lo, s6
	s_and_saveexec_b32 s5, s4
	s_cbranch_execz .LBB618_291
.LBB618_346:
	v_sub_nc_u32_e32 v5, v7, v4
	s_delay_alu instid0(VALU_DEP_1)
	v_lshlrev_b32_e32 v5, 2, v5
	ds_store_b32 v5, v8
	s_or_b32 exec_lo, exec_lo, s5
	s_and_saveexec_b32 s4, s3
	s_cbranch_execz .LBB618_292
.LBB618_347:
	v_sub_nc_u32_e32 v5, v51, v4
	s_delay_alu instid0(VALU_DEP_1)
	v_lshlrev_b32_e32 v5, 2, v5
	ds_store_b32 v5, v52
	s_or_b32 exec_lo, exec_lo, s4
	s_and_saveexec_b32 s3, s2
	s_cbranch_execz .LBB618_293
.LBB618_348:
	v_sub_nc_u32_e32 v5, v75, v4
	s_delay_alu instid0(VALU_DEP_1)
	v_lshlrev_b32_e32 v5, 2, v5
	ds_store_b32 v5, v76
	s_or_b32 exec_lo, exec_lo, s3
	s_and_saveexec_b32 s2, s1
	s_cbranch_execnz .LBB618_294
	s_branch .LBB618_295
	.section	.rodata,"a",@progbits
	.p2align	6, 0x0
	.amdhsa_kernel _ZN7rocprim17ROCPRIM_400000_NS6detail17trampoline_kernelINS0_14default_configENS1_29reduce_by_key_config_selectorIiiN6thrust23THRUST_200600_302600_NS4plusIiEEEEZZNS1_33reduce_by_key_impl_wrapped_configILNS1_25lookback_scan_determinismE0ES3_S9_NS6_6detail15normal_iteratorINS6_10device_ptrIiEEEESG_SG_SG_PmS8_22is_equal_div_10_reduceIiEEE10hipError_tPvRmT2_T3_mT4_T5_T6_T7_T8_P12ihipStream_tbENKUlT_T0_E_clISt17integral_constantIbLb0EES10_IbLb1EEEEDaSW_SX_EUlSW_E_NS1_11comp_targetILNS1_3genE9ELNS1_11target_archE1100ELNS1_3gpuE3ELNS1_3repE0EEENS1_30default_config_static_selectorELNS0_4arch9wavefront6targetE0EEEvT1_
		.amdhsa_group_segment_fixed_size 15360
		.amdhsa_private_segment_fixed_size 0
		.amdhsa_kernarg_size 120
		.amdhsa_user_sgpr_count 15
		.amdhsa_user_sgpr_dispatch_ptr 0
		.amdhsa_user_sgpr_queue_ptr 0
		.amdhsa_user_sgpr_kernarg_segment_ptr 1
		.amdhsa_user_sgpr_dispatch_id 0
		.amdhsa_user_sgpr_private_segment_size 0
		.amdhsa_wavefront_size32 1
		.amdhsa_uses_dynamic_stack 0
		.amdhsa_enable_private_segment 0
		.amdhsa_system_sgpr_workgroup_id_x 1
		.amdhsa_system_sgpr_workgroup_id_y 0
		.amdhsa_system_sgpr_workgroup_id_z 0
		.amdhsa_system_sgpr_workgroup_info 0
		.amdhsa_system_vgpr_workitem_id 0
		.amdhsa_next_free_vgpr 86
		.amdhsa_next_free_sgpr 44
		.amdhsa_reserve_vcc 1
		.amdhsa_float_round_mode_32 0
		.amdhsa_float_round_mode_16_64 0
		.amdhsa_float_denorm_mode_32 3
		.amdhsa_float_denorm_mode_16_64 3
		.amdhsa_dx10_clamp 1
		.amdhsa_ieee_mode 1
		.amdhsa_fp16_overflow 0
		.amdhsa_workgroup_processor_mode 1
		.amdhsa_memory_ordered 1
		.amdhsa_forward_progress 0
		.amdhsa_shared_vgpr_count 0
		.amdhsa_exception_fp_ieee_invalid_op 0
		.amdhsa_exception_fp_denorm_src 0
		.amdhsa_exception_fp_ieee_div_zero 0
		.amdhsa_exception_fp_ieee_overflow 0
		.amdhsa_exception_fp_ieee_underflow 0
		.amdhsa_exception_fp_ieee_inexact 0
		.amdhsa_exception_int_div_zero 0
	.end_amdhsa_kernel
	.section	.text._ZN7rocprim17ROCPRIM_400000_NS6detail17trampoline_kernelINS0_14default_configENS1_29reduce_by_key_config_selectorIiiN6thrust23THRUST_200600_302600_NS4plusIiEEEEZZNS1_33reduce_by_key_impl_wrapped_configILNS1_25lookback_scan_determinismE0ES3_S9_NS6_6detail15normal_iteratorINS6_10device_ptrIiEEEESG_SG_SG_PmS8_22is_equal_div_10_reduceIiEEE10hipError_tPvRmT2_T3_mT4_T5_T6_T7_T8_P12ihipStream_tbENKUlT_T0_E_clISt17integral_constantIbLb0EES10_IbLb1EEEEDaSW_SX_EUlSW_E_NS1_11comp_targetILNS1_3genE9ELNS1_11target_archE1100ELNS1_3gpuE3ELNS1_3repE0EEENS1_30default_config_static_selectorELNS0_4arch9wavefront6targetE0EEEvT1_,"axG",@progbits,_ZN7rocprim17ROCPRIM_400000_NS6detail17trampoline_kernelINS0_14default_configENS1_29reduce_by_key_config_selectorIiiN6thrust23THRUST_200600_302600_NS4plusIiEEEEZZNS1_33reduce_by_key_impl_wrapped_configILNS1_25lookback_scan_determinismE0ES3_S9_NS6_6detail15normal_iteratorINS6_10device_ptrIiEEEESG_SG_SG_PmS8_22is_equal_div_10_reduceIiEEE10hipError_tPvRmT2_T3_mT4_T5_T6_T7_T8_P12ihipStream_tbENKUlT_T0_E_clISt17integral_constantIbLb0EES10_IbLb1EEEEDaSW_SX_EUlSW_E_NS1_11comp_targetILNS1_3genE9ELNS1_11target_archE1100ELNS1_3gpuE3ELNS1_3repE0EEENS1_30default_config_static_selectorELNS0_4arch9wavefront6targetE0EEEvT1_,comdat
.Lfunc_end618:
	.size	_ZN7rocprim17ROCPRIM_400000_NS6detail17trampoline_kernelINS0_14default_configENS1_29reduce_by_key_config_selectorIiiN6thrust23THRUST_200600_302600_NS4plusIiEEEEZZNS1_33reduce_by_key_impl_wrapped_configILNS1_25lookback_scan_determinismE0ES3_S9_NS6_6detail15normal_iteratorINS6_10device_ptrIiEEEESG_SG_SG_PmS8_22is_equal_div_10_reduceIiEEE10hipError_tPvRmT2_T3_mT4_T5_T6_T7_T8_P12ihipStream_tbENKUlT_T0_E_clISt17integral_constantIbLb0EES10_IbLb1EEEEDaSW_SX_EUlSW_E_NS1_11comp_targetILNS1_3genE9ELNS1_11target_archE1100ELNS1_3gpuE3ELNS1_3repE0EEENS1_30default_config_static_selectorELNS0_4arch9wavefront6targetE0EEEvT1_, .Lfunc_end618-_ZN7rocprim17ROCPRIM_400000_NS6detail17trampoline_kernelINS0_14default_configENS1_29reduce_by_key_config_selectorIiiN6thrust23THRUST_200600_302600_NS4plusIiEEEEZZNS1_33reduce_by_key_impl_wrapped_configILNS1_25lookback_scan_determinismE0ES3_S9_NS6_6detail15normal_iteratorINS6_10device_ptrIiEEEESG_SG_SG_PmS8_22is_equal_div_10_reduceIiEEE10hipError_tPvRmT2_T3_mT4_T5_T6_T7_T8_P12ihipStream_tbENKUlT_T0_E_clISt17integral_constantIbLb0EES10_IbLb1EEEEDaSW_SX_EUlSW_E_NS1_11comp_targetILNS1_3genE9ELNS1_11target_archE1100ELNS1_3gpuE3ELNS1_3repE0EEENS1_30default_config_static_selectorELNS0_4arch9wavefront6targetE0EEEvT1_
                                        ; -- End function
	.section	.AMDGPU.csdata,"",@progbits
; Kernel info:
; codeLenInByte = 20008
; NumSgprs: 46
; NumVgprs: 86
; ScratchSize: 0
; MemoryBound: 0
; FloatMode: 240
; IeeeMode: 1
; LDSByteSize: 15360 bytes/workgroup (compile time only)
; SGPRBlocks: 5
; VGPRBlocks: 10
; NumSGPRsForWavesPerEU: 46
; NumVGPRsForWavesPerEU: 86
; Occupancy: 16
; WaveLimiterHint : 1
; COMPUTE_PGM_RSRC2:SCRATCH_EN: 0
; COMPUTE_PGM_RSRC2:USER_SGPR: 15
; COMPUTE_PGM_RSRC2:TRAP_HANDLER: 0
; COMPUTE_PGM_RSRC2:TGID_X_EN: 1
; COMPUTE_PGM_RSRC2:TGID_Y_EN: 0
; COMPUTE_PGM_RSRC2:TGID_Z_EN: 0
; COMPUTE_PGM_RSRC2:TIDIG_COMP_CNT: 0
	.section	.text._ZN7rocprim17ROCPRIM_400000_NS6detail17trampoline_kernelINS0_14default_configENS1_29reduce_by_key_config_selectorIiiN6thrust23THRUST_200600_302600_NS4plusIiEEEEZZNS1_33reduce_by_key_impl_wrapped_configILNS1_25lookback_scan_determinismE0ES3_S9_NS6_6detail15normal_iteratorINS6_10device_ptrIiEEEESG_SG_SG_PmS8_22is_equal_div_10_reduceIiEEE10hipError_tPvRmT2_T3_mT4_T5_T6_T7_T8_P12ihipStream_tbENKUlT_T0_E_clISt17integral_constantIbLb0EES10_IbLb1EEEEDaSW_SX_EUlSW_E_NS1_11comp_targetILNS1_3genE8ELNS1_11target_archE1030ELNS1_3gpuE2ELNS1_3repE0EEENS1_30default_config_static_selectorELNS0_4arch9wavefront6targetE0EEEvT1_,"axG",@progbits,_ZN7rocprim17ROCPRIM_400000_NS6detail17trampoline_kernelINS0_14default_configENS1_29reduce_by_key_config_selectorIiiN6thrust23THRUST_200600_302600_NS4plusIiEEEEZZNS1_33reduce_by_key_impl_wrapped_configILNS1_25lookback_scan_determinismE0ES3_S9_NS6_6detail15normal_iteratorINS6_10device_ptrIiEEEESG_SG_SG_PmS8_22is_equal_div_10_reduceIiEEE10hipError_tPvRmT2_T3_mT4_T5_T6_T7_T8_P12ihipStream_tbENKUlT_T0_E_clISt17integral_constantIbLb0EES10_IbLb1EEEEDaSW_SX_EUlSW_E_NS1_11comp_targetILNS1_3genE8ELNS1_11target_archE1030ELNS1_3gpuE2ELNS1_3repE0EEENS1_30default_config_static_selectorELNS0_4arch9wavefront6targetE0EEEvT1_,comdat
	.protected	_ZN7rocprim17ROCPRIM_400000_NS6detail17trampoline_kernelINS0_14default_configENS1_29reduce_by_key_config_selectorIiiN6thrust23THRUST_200600_302600_NS4plusIiEEEEZZNS1_33reduce_by_key_impl_wrapped_configILNS1_25lookback_scan_determinismE0ES3_S9_NS6_6detail15normal_iteratorINS6_10device_ptrIiEEEESG_SG_SG_PmS8_22is_equal_div_10_reduceIiEEE10hipError_tPvRmT2_T3_mT4_T5_T6_T7_T8_P12ihipStream_tbENKUlT_T0_E_clISt17integral_constantIbLb0EES10_IbLb1EEEEDaSW_SX_EUlSW_E_NS1_11comp_targetILNS1_3genE8ELNS1_11target_archE1030ELNS1_3gpuE2ELNS1_3repE0EEENS1_30default_config_static_selectorELNS0_4arch9wavefront6targetE0EEEvT1_ ; -- Begin function _ZN7rocprim17ROCPRIM_400000_NS6detail17trampoline_kernelINS0_14default_configENS1_29reduce_by_key_config_selectorIiiN6thrust23THRUST_200600_302600_NS4plusIiEEEEZZNS1_33reduce_by_key_impl_wrapped_configILNS1_25lookback_scan_determinismE0ES3_S9_NS6_6detail15normal_iteratorINS6_10device_ptrIiEEEESG_SG_SG_PmS8_22is_equal_div_10_reduceIiEEE10hipError_tPvRmT2_T3_mT4_T5_T6_T7_T8_P12ihipStream_tbENKUlT_T0_E_clISt17integral_constantIbLb0EES10_IbLb1EEEEDaSW_SX_EUlSW_E_NS1_11comp_targetILNS1_3genE8ELNS1_11target_archE1030ELNS1_3gpuE2ELNS1_3repE0EEENS1_30default_config_static_selectorELNS0_4arch9wavefront6targetE0EEEvT1_
	.globl	_ZN7rocprim17ROCPRIM_400000_NS6detail17trampoline_kernelINS0_14default_configENS1_29reduce_by_key_config_selectorIiiN6thrust23THRUST_200600_302600_NS4plusIiEEEEZZNS1_33reduce_by_key_impl_wrapped_configILNS1_25lookback_scan_determinismE0ES3_S9_NS6_6detail15normal_iteratorINS6_10device_ptrIiEEEESG_SG_SG_PmS8_22is_equal_div_10_reduceIiEEE10hipError_tPvRmT2_T3_mT4_T5_T6_T7_T8_P12ihipStream_tbENKUlT_T0_E_clISt17integral_constantIbLb0EES10_IbLb1EEEEDaSW_SX_EUlSW_E_NS1_11comp_targetILNS1_3genE8ELNS1_11target_archE1030ELNS1_3gpuE2ELNS1_3repE0EEENS1_30default_config_static_selectorELNS0_4arch9wavefront6targetE0EEEvT1_
	.p2align	8
	.type	_ZN7rocprim17ROCPRIM_400000_NS6detail17trampoline_kernelINS0_14default_configENS1_29reduce_by_key_config_selectorIiiN6thrust23THRUST_200600_302600_NS4plusIiEEEEZZNS1_33reduce_by_key_impl_wrapped_configILNS1_25lookback_scan_determinismE0ES3_S9_NS6_6detail15normal_iteratorINS6_10device_ptrIiEEEESG_SG_SG_PmS8_22is_equal_div_10_reduceIiEEE10hipError_tPvRmT2_T3_mT4_T5_T6_T7_T8_P12ihipStream_tbENKUlT_T0_E_clISt17integral_constantIbLb0EES10_IbLb1EEEEDaSW_SX_EUlSW_E_NS1_11comp_targetILNS1_3genE8ELNS1_11target_archE1030ELNS1_3gpuE2ELNS1_3repE0EEENS1_30default_config_static_selectorELNS0_4arch9wavefront6targetE0EEEvT1_,@function
_ZN7rocprim17ROCPRIM_400000_NS6detail17trampoline_kernelINS0_14default_configENS1_29reduce_by_key_config_selectorIiiN6thrust23THRUST_200600_302600_NS4plusIiEEEEZZNS1_33reduce_by_key_impl_wrapped_configILNS1_25lookback_scan_determinismE0ES3_S9_NS6_6detail15normal_iteratorINS6_10device_ptrIiEEEESG_SG_SG_PmS8_22is_equal_div_10_reduceIiEEE10hipError_tPvRmT2_T3_mT4_T5_T6_T7_T8_P12ihipStream_tbENKUlT_T0_E_clISt17integral_constantIbLb0EES10_IbLb1EEEEDaSW_SX_EUlSW_E_NS1_11comp_targetILNS1_3genE8ELNS1_11target_archE1030ELNS1_3gpuE2ELNS1_3repE0EEENS1_30default_config_static_selectorELNS0_4arch9wavefront6targetE0EEEvT1_: ; @_ZN7rocprim17ROCPRIM_400000_NS6detail17trampoline_kernelINS0_14default_configENS1_29reduce_by_key_config_selectorIiiN6thrust23THRUST_200600_302600_NS4plusIiEEEEZZNS1_33reduce_by_key_impl_wrapped_configILNS1_25lookback_scan_determinismE0ES3_S9_NS6_6detail15normal_iteratorINS6_10device_ptrIiEEEESG_SG_SG_PmS8_22is_equal_div_10_reduceIiEEE10hipError_tPvRmT2_T3_mT4_T5_T6_T7_T8_P12ihipStream_tbENKUlT_T0_E_clISt17integral_constantIbLb0EES10_IbLb1EEEEDaSW_SX_EUlSW_E_NS1_11comp_targetILNS1_3genE8ELNS1_11target_archE1030ELNS1_3gpuE2ELNS1_3repE0EEENS1_30default_config_static_selectorELNS0_4arch9wavefront6targetE0EEEvT1_
; %bb.0:
	.section	.rodata,"a",@progbits
	.p2align	6, 0x0
	.amdhsa_kernel _ZN7rocprim17ROCPRIM_400000_NS6detail17trampoline_kernelINS0_14default_configENS1_29reduce_by_key_config_selectorIiiN6thrust23THRUST_200600_302600_NS4plusIiEEEEZZNS1_33reduce_by_key_impl_wrapped_configILNS1_25lookback_scan_determinismE0ES3_S9_NS6_6detail15normal_iteratorINS6_10device_ptrIiEEEESG_SG_SG_PmS8_22is_equal_div_10_reduceIiEEE10hipError_tPvRmT2_T3_mT4_T5_T6_T7_T8_P12ihipStream_tbENKUlT_T0_E_clISt17integral_constantIbLb0EES10_IbLb1EEEEDaSW_SX_EUlSW_E_NS1_11comp_targetILNS1_3genE8ELNS1_11target_archE1030ELNS1_3gpuE2ELNS1_3repE0EEENS1_30default_config_static_selectorELNS0_4arch9wavefront6targetE0EEEvT1_
		.amdhsa_group_segment_fixed_size 0
		.amdhsa_private_segment_fixed_size 0
		.amdhsa_kernarg_size 120
		.amdhsa_user_sgpr_count 15
		.amdhsa_user_sgpr_dispatch_ptr 0
		.amdhsa_user_sgpr_queue_ptr 0
		.amdhsa_user_sgpr_kernarg_segment_ptr 1
		.amdhsa_user_sgpr_dispatch_id 0
		.amdhsa_user_sgpr_private_segment_size 0
		.amdhsa_wavefront_size32 1
		.amdhsa_uses_dynamic_stack 0
		.amdhsa_enable_private_segment 0
		.amdhsa_system_sgpr_workgroup_id_x 1
		.amdhsa_system_sgpr_workgroup_id_y 0
		.amdhsa_system_sgpr_workgroup_id_z 0
		.amdhsa_system_sgpr_workgroup_info 0
		.amdhsa_system_vgpr_workitem_id 0
		.amdhsa_next_free_vgpr 1
		.amdhsa_next_free_sgpr 1
		.amdhsa_reserve_vcc 0
		.amdhsa_float_round_mode_32 0
		.amdhsa_float_round_mode_16_64 0
		.amdhsa_float_denorm_mode_32 3
		.amdhsa_float_denorm_mode_16_64 3
		.amdhsa_dx10_clamp 1
		.amdhsa_ieee_mode 1
		.amdhsa_fp16_overflow 0
		.amdhsa_workgroup_processor_mode 1
		.amdhsa_memory_ordered 1
		.amdhsa_forward_progress 0
		.amdhsa_shared_vgpr_count 0
		.amdhsa_exception_fp_ieee_invalid_op 0
		.amdhsa_exception_fp_denorm_src 0
		.amdhsa_exception_fp_ieee_div_zero 0
		.amdhsa_exception_fp_ieee_overflow 0
		.amdhsa_exception_fp_ieee_underflow 0
		.amdhsa_exception_fp_ieee_inexact 0
		.amdhsa_exception_int_div_zero 0
	.end_amdhsa_kernel
	.section	.text._ZN7rocprim17ROCPRIM_400000_NS6detail17trampoline_kernelINS0_14default_configENS1_29reduce_by_key_config_selectorIiiN6thrust23THRUST_200600_302600_NS4plusIiEEEEZZNS1_33reduce_by_key_impl_wrapped_configILNS1_25lookback_scan_determinismE0ES3_S9_NS6_6detail15normal_iteratorINS6_10device_ptrIiEEEESG_SG_SG_PmS8_22is_equal_div_10_reduceIiEEE10hipError_tPvRmT2_T3_mT4_T5_T6_T7_T8_P12ihipStream_tbENKUlT_T0_E_clISt17integral_constantIbLb0EES10_IbLb1EEEEDaSW_SX_EUlSW_E_NS1_11comp_targetILNS1_3genE8ELNS1_11target_archE1030ELNS1_3gpuE2ELNS1_3repE0EEENS1_30default_config_static_selectorELNS0_4arch9wavefront6targetE0EEEvT1_,"axG",@progbits,_ZN7rocprim17ROCPRIM_400000_NS6detail17trampoline_kernelINS0_14default_configENS1_29reduce_by_key_config_selectorIiiN6thrust23THRUST_200600_302600_NS4plusIiEEEEZZNS1_33reduce_by_key_impl_wrapped_configILNS1_25lookback_scan_determinismE0ES3_S9_NS6_6detail15normal_iteratorINS6_10device_ptrIiEEEESG_SG_SG_PmS8_22is_equal_div_10_reduceIiEEE10hipError_tPvRmT2_T3_mT4_T5_T6_T7_T8_P12ihipStream_tbENKUlT_T0_E_clISt17integral_constantIbLb0EES10_IbLb1EEEEDaSW_SX_EUlSW_E_NS1_11comp_targetILNS1_3genE8ELNS1_11target_archE1030ELNS1_3gpuE2ELNS1_3repE0EEENS1_30default_config_static_selectorELNS0_4arch9wavefront6targetE0EEEvT1_,comdat
.Lfunc_end619:
	.size	_ZN7rocprim17ROCPRIM_400000_NS6detail17trampoline_kernelINS0_14default_configENS1_29reduce_by_key_config_selectorIiiN6thrust23THRUST_200600_302600_NS4plusIiEEEEZZNS1_33reduce_by_key_impl_wrapped_configILNS1_25lookback_scan_determinismE0ES3_S9_NS6_6detail15normal_iteratorINS6_10device_ptrIiEEEESG_SG_SG_PmS8_22is_equal_div_10_reduceIiEEE10hipError_tPvRmT2_T3_mT4_T5_T6_T7_T8_P12ihipStream_tbENKUlT_T0_E_clISt17integral_constantIbLb0EES10_IbLb1EEEEDaSW_SX_EUlSW_E_NS1_11comp_targetILNS1_3genE8ELNS1_11target_archE1030ELNS1_3gpuE2ELNS1_3repE0EEENS1_30default_config_static_selectorELNS0_4arch9wavefront6targetE0EEEvT1_, .Lfunc_end619-_ZN7rocprim17ROCPRIM_400000_NS6detail17trampoline_kernelINS0_14default_configENS1_29reduce_by_key_config_selectorIiiN6thrust23THRUST_200600_302600_NS4plusIiEEEEZZNS1_33reduce_by_key_impl_wrapped_configILNS1_25lookback_scan_determinismE0ES3_S9_NS6_6detail15normal_iteratorINS6_10device_ptrIiEEEESG_SG_SG_PmS8_22is_equal_div_10_reduceIiEEE10hipError_tPvRmT2_T3_mT4_T5_T6_T7_T8_P12ihipStream_tbENKUlT_T0_E_clISt17integral_constantIbLb0EES10_IbLb1EEEEDaSW_SX_EUlSW_E_NS1_11comp_targetILNS1_3genE8ELNS1_11target_archE1030ELNS1_3gpuE2ELNS1_3repE0EEENS1_30default_config_static_selectorELNS0_4arch9wavefront6targetE0EEEvT1_
                                        ; -- End function
	.section	.AMDGPU.csdata,"",@progbits
; Kernel info:
; codeLenInByte = 0
; NumSgprs: 0
; NumVgprs: 0
; ScratchSize: 0
; MemoryBound: 0
; FloatMode: 240
; IeeeMode: 1
; LDSByteSize: 0 bytes/workgroup (compile time only)
; SGPRBlocks: 0
; VGPRBlocks: 0
; NumSGPRsForWavesPerEU: 1
; NumVGPRsForWavesPerEU: 1
; Occupancy: 16
; WaveLimiterHint : 0
; COMPUTE_PGM_RSRC2:SCRATCH_EN: 0
; COMPUTE_PGM_RSRC2:USER_SGPR: 15
; COMPUTE_PGM_RSRC2:TRAP_HANDLER: 0
; COMPUTE_PGM_RSRC2:TGID_X_EN: 1
; COMPUTE_PGM_RSRC2:TGID_Y_EN: 0
; COMPUTE_PGM_RSRC2:TGID_Z_EN: 0
; COMPUTE_PGM_RSRC2:TIDIG_COMP_CNT: 0
	.section	.text._ZN6thrust23THRUST_200600_302600_NS11hip_rocprim14__parallel_for6kernelILj256ENS1_20__uninitialized_fill7functorINS0_10device_ptrIsEEsEEmLj1EEEvT0_T1_SA_,"axG",@progbits,_ZN6thrust23THRUST_200600_302600_NS11hip_rocprim14__parallel_for6kernelILj256ENS1_20__uninitialized_fill7functorINS0_10device_ptrIsEEsEEmLj1EEEvT0_T1_SA_,comdat
	.protected	_ZN6thrust23THRUST_200600_302600_NS11hip_rocprim14__parallel_for6kernelILj256ENS1_20__uninitialized_fill7functorINS0_10device_ptrIsEEsEEmLj1EEEvT0_T1_SA_ ; -- Begin function _ZN6thrust23THRUST_200600_302600_NS11hip_rocprim14__parallel_for6kernelILj256ENS1_20__uninitialized_fill7functorINS0_10device_ptrIsEEsEEmLj1EEEvT0_T1_SA_
	.globl	_ZN6thrust23THRUST_200600_302600_NS11hip_rocprim14__parallel_for6kernelILj256ENS1_20__uninitialized_fill7functorINS0_10device_ptrIsEEsEEmLj1EEEvT0_T1_SA_
	.p2align	8
	.type	_ZN6thrust23THRUST_200600_302600_NS11hip_rocprim14__parallel_for6kernelILj256ENS1_20__uninitialized_fill7functorINS0_10device_ptrIsEEsEEmLj1EEEvT0_T1_SA_,@function
_ZN6thrust23THRUST_200600_302600_NS11hip_rocprim14__parallel_for6kernelILj256ENS1_20__uninitialized_fill7functorINS0_10device_ptrIsEEsEEmLj1EEEvT0_T1_SA_: ; @_ZN6thrust23THRUST_200600_302600_NS11hip_rocprim14__parallel_for6kernelILj256ENS1_20__uninitialized_fill7functorINS0_10device_ptrIsEEsEEmLj1EEEvT0_T1_SA_
; %bb.0:
	s_load_b128 s[4:7], s[0:1], 0x10
	s_lshl_b32 s2, s15, 8
	s_waitcnt lgkmcnt(0)
	s_add_u32 s2, s2, s6
	s_addc_u32 s3, 0, s7
	s_sub_u32 s4, s4, s2
	s_subb_u32 s5, s5, s3
	s_delay_alu instid0(SALU_CYCLE_1) | instskip(NEXT) | instid1(VALU_DEP_1)
	v_cmp_gt_u64_e64 s5, 0x100, s[4:5]
	s_and_b32 vcc_lo, exec_lo, s5
	s_mov_b32 s5, 0
	s_cbranch_vccz .LBB620_2
; %bb.1:
	v_cmp_gt_u32_e32 vcc_lo, s4, v0
	s_and_b32 s5, vcc_lo, exec_lo
	s_cbranch_execz .LBB620_3
	s_branch .LBB620_4
.LBB620_2:
.LBB620_3:
	s_or_b32 s5, s5, exec_lo
.LBB620_4:
	s_delay_alu instid0(SALU_CYCLE_1)
	s_and_saveexec_b32 s4, s5
	s_cbranch_execnz .LBB620_6
; %bb.5:
	s_endpgm
.LBB620_6:
	s_clause 0x1
	s_load_b64 s[4:5], s[0:1], 0x0
	s_load_b32 s6, s[0:1], 0x8
	v_mov_b32_e32 v1, 0
	s_lshl_b64 s[0:1], s[2:3], 1
	s_waitcnt lgkmcnt(0)
	s_add_u32 s0, s4, s0
	v_mov_b32_e32 v2, s6
	v_lshlrev_b64 v[0:1], 1, v[0:1]
	s_addc_u32 s1, s5, s1
	s_delay_alu instid0(VALU_DEP_1) | instskip(NEXT) | instid1(VALU_DEP_2)
	v_add_co_u32 v0, vcc_lo, s0, v0
	v_add_co_ci_u32_e32 v1, vcc_lo, s1, v1, vcc_lo
	flat_store_b16 v[0:1], v2
	s_endpgm
	.section	.rodata,"a",@progbits
	.p2align	6, 0x0
	.amdhsa_kernel _ZN6thrust23THRUST_200600_302600_NS11hip_rocprim14__parallel_for6kernelILj256ENS1_20__uninitialized_fill7functorINS0_10device_ptrIsEEsEEmLj1EEEvT0_T1_SA_
		.amdhsa_group_segment_fixed_size 0
		.amdhsa_private_segment_fixed_size 0
		.amdhsa_kernarg_size 32
		.amdhsa_user_sgpr_count 15
		.amdhsa_user_sgpr_dispatch_ptr 0
		.amdhsa_user_sgpr_queue_ptr 0
		.amdhsa_user_sgpr_kernarg_segment_ptr 1
		.amdhsa_user_sgpr_dispatch_id 0
		.amdhsa_user_sgpr_private_segment_size 0
		.amdhsa_wavefront_size32 1
		.amdhsa_uses_dynamic_stack 0
		.amdhsa_enable_private_segment 0
		.amdhsa_system_sgpr_workgroup_id_x 1
		.amdhsa_system_sgpr_workgroup_id_y 0
		.amdhsa_system_sgpr_workgroup_id_z 0
		.amdhsa_system_sgpr_workgroup_info 0
		.amdhsa_system_vgpr_workitem_id 0
		.amdhsa_next_free_vgpr 3
		.amdhsa_next_free_sgpr 16
		.amdhsa_reserve_vcc 1
		.amdhsa_float_round_mode_32 0
		.amdhsa_float_round_mode_16_64 0
		.amdhsa_float_denorm_mode_32 3
		.amdhsa_float_denorm_mode_16_64 3
		.amdhsa_dx10_clamp 1
		.amdhsa_ieee_mode 1
		.amdhsa_fp16_overflow 0
		.amdhsa_workgroup_processor_mode 1
		.amdhsa_memory_ordered 1
		.amdhsa_forward_progress 0
		.amdhsa_shared_vgpr_count 0
		.amdhsa_exception_fp_ieee_invalid_op 0
		.amdhsa_exception_fp_denorm_src 0
		.amdhsa_exception_fp_ieee_div_zero 0
		.amdhsa_exception_fp_ieee_overflow 0
		.amdhsa_exception_fp_ieee_underflow 0
		.amdhsa_exception_fp_ieee_inexact 0
		.amdhsa_exception_int_div_zero 0
	.end_amdhsa_kernel
	.section	.text._ZN6thrust23THRUST_200600_302600_NS11hip_rocprim14__parallel_for6kernelILj256ENS1_20__uninitialized_fill7functorINS0_10device_ptrIsEEsEEmLj1EEEvT0_T1_SA_,"axG",@progbits,_ZN6thrust23THRUST_200600_302600_NS11hip_rocprim14__parallel_for6kernelILj256ENS1_20__uninitialized_fill7functorINS0_10device_ptrIsEEsEEmLj1EEEvT0_T1_SA_,comdat
.Lfunc_end620:
	.size	_ZN6thrust23THRUST_200600_302600_NS11hip_rocprim14__parallel_for6kernelILj256ENS1_20__uninitialized_fill7functorINS0_10device_ptrIsEEsEEmLj1EEEvT0_T1_SA_, .Lfunc_end620-_ZN6thrust23THRUST_200600_302600_NS11hip_rocprim14__parallel_for6kernelILj256ENS1_20__uninitialized_fill7functorINS0_10device_ptrIsEEsEEmLj1EEEvT0_T1_SA_
                                        ; -- End function
	.section	.AMDGPU.csdata,"",@progbits
; Kernel info:
; codeLenInByte = 176
; NumSgprs: 18
; NumVgprs: 3
; ScratchSize: 0
; MemoryBound: 0
; FloatMode: 240
; IeeeMode: 1
; LDSByteSize: 0 bytes/workgroup (compile time only)
; SGPRBlocks: 2
; VGPRBlocks: 0
; NumSGPRsForWavesPerEU: 18
; NumVGPRsForWavesPerEU: 3
; Occupancy: 16
; WaveLimiterHint : 0
; COMPUTE_PGM_RSRC2:SCRATCH_EN: 0
; COMPUTE_PGM_RSRC2:USER_SGPR: 15
; COMPUTE_PGM_RSRC2:TRAP_HANDLER: 0
; COMPUTE_PGM_RSRC2:TGID_X_EN: 1
; COMPUTE_PGM_RSRC2:TGID_Y_EN: 0
; COMPUTE_PGM_RSRC2:TGID_Z_EN: 0
; COMPUTE_PGM_RSRC2:TIDIG_COMP_CNT: 0
	.section	.text._ZN7rocprim17ROCPRIM_400000_NS6detail25reduce_by_key_init_kernelINS1_19lookback_scan_stateINS0_5tupleIJjsEEELb0ELb1EEEsNS1_16block_id_wrapperIjLb0EEEEEvT_jbjPmPT0_T1_,"axG",@progbits,_ZN7rocprim17ROCPRIM_400000_NS6detail25reduce_by_key_init_kernelINS1_19lookback_scan_stateINS0_5tupleIJjsEEELb0ELb1EEEsNS1_16block_id_wrapperIjLb0EEEEEvT_jbjPmPT0_T1_,comdat
	.protected	_ZN7rocprim17ROCPRIM_400000_NS6detail25reduce_by_key_init_kernelINS1_19lookback_scan_stateINS0_5tupleIJjsEEELb0ELb1EEEsNS1_16block_id_wrapperIjLb0EEEEEvT_jbjPmPT0_T1_ ; -- Begin function _ZN7rocprim17ROCPRIM_400000_NS6detail25reduce_by_key_init_kernelINS1_19lookback_scan_stateINS0_5tupleIJjsEEELb0ELb1EEEsNS1_16block_id_wrapperIjLb0EEEEEvT_jbjPmPT0_T1_
	.globl	_ZN7rocprim17ROCPRIM_400000_NS6detail25reduce_by_key_init_kernelINS1_19lookback_scan_stateINS0_5tupleIJjsEEELb0ELb1EEEsNS1_16block_id_wrapperIjLb0EEEEEvT_jbjPmPT0_T1_
	.p2align	8
	.type	_ZN7rocprim17ROCPRIM_400000_NS6detail25reduce_by_key_init_kernelINS1_19lookback_scan_stateINS0_5tupleIJjsEEELb0ELb1EEEsNS1_16block_id_wrapperIjLb0EEEEEvT_jbjPmPT0_T1_,@function
_ZN7rocprim17ROCPRIM_400000_NS6detail25reduce_by_key_init_kernelINS1_19lookback_scan_stateINS0_5tupleIJjsEEELb0ELb1EEEsNS1_16block_id_wrapperIjLb0EEEEEvT_jbjPmPT0_T1_: ; @_ZN7rocprim17ROCPRIM_400000_NS6detail25reduce_by_key_init_kernelINS1_19lookback_scan_stateINS0_5tupleIJjsEEELb0ELb1EEEsNS1_16block_id_wrapperIjLb0EEEEEvT_jbjPmPT0_T1_
; %bb.0:
	s_clause 0x2
	s_load_b32 s2, s[0:1], 0x3c
	s_load_b256 s[4:11], s[0:1], 0x8
	s_load_b64 s[0:1], s[0:1], 0x0
	s_waitcnt lgkmcnt(0)
	s_and_b32 s2, s2, 0xffff
	s_delay_alu instid0(SALU_CYCLE_1) | instskip(SKIP_1) | instid1(SALU_CYCLE_1)
	v_mad_u64_u32 v[1:2], null, s15, s2, v[0:1]
	s_and_b32 s2, s5, 1
	s_cmp_eq_u32 s2, 0
	s_mov_b32 s2, -1
	s_cbranch_scc1 .LBB621_7
; %bb.1:
	s_and_not1_b32 vcc_lo, exec_lo, s2
	s_cbranch_vccz .LBB621_14
.LBB621_2:
	s_mov_b32 s2, exec_lo
	v_cmpx_gt_u32_e64 s4, v1
	s_cbranch_execz .LBB621_4
.LBB621_3:
	v_dual_mov_b32 v3, 0 :: v_dual_add_nc_u32 v2, 32, v1
	s_delay_alu instid0(VALU_DEP_1) | instskip(SKIP_2) | instid1(VALU_DEP_3)
	v_lshlrev_b64 v[5:6], 4, v[2:3]
	v_mov_b32_e32 v2, v3
	v_mov_b32_e32 v4, v3
	v_add_co_u32 v7, vcc_lo, s0, v5
	s_delay_alu instid0(VALU_DEP_4)
	v_add_co_ci_u32_e32 v8, vcc_lo, s1, v6, vcc_lo
	v_mov_b32_e32 v5, v3
	global_store_b128 v[7:8], v[2:5], off
.LBB621_4:
	s_or_b32 exec_lo, exec_lo, s2
	s_delay_alu instid0(SALU_CYCLE_1)
	s_mov_b32 s2, exec_lo
	v_cmpx_gt_u32_e32 32, v1
	s_cbranch_execz .LBB621_6
; %bb.5:
	v_dual_mov_b32 v2, 0 :: v_dual_mov_b32 v3, 0xff
	s_delay_alu instid0(VALU_DEP_1) | instskip(SKIP_1) | instid1(VALU_DEP_2)
	v_lshlrev_b64 v[4:5], 4, v[1:2]
	v_mov_b32_e32 v1, v2
	v_add_co_u32 v6, vcc_lo, s0, v4
	s_delay_alu instid0(VALU_DEP_3)
	v_add_co_ci_u32_e32 v7, vcc_lo, s1, v5, vcc_lo
	v_mov_b32_e32 v4, v2
	global_store_b128 v[6:7], v[1:4], off
.LBB621_6:
	s_nop 0
	s_sendmsg sendmsg(MSG_DEALLOC_VGPRS)
	s_endpgm
.LBB621_7:
	s_cmp_lt_u32 s6, s4
	s_mov_b32 s5, exec_lo
	s_cselect_b32 s2, s6, 0
	s_delay_alu instid0(SALU_CYCLE_1)
	v_cmpx_eq_u32_e64 s2, v1
	s_cbranch_execz .LBB621_13
; %bb.8:
	s_add_i32 s2, s6, 32
	s_mov_b32 s3, 0
	v_mov_b32_e32 v6, 0
	s_lshl_b64 s[6:7], s[2:3], 4
	s_mov_b32 s2, exec_lo
	s_add_u32 s6, s0, s6
	s_addc_u32 s7, s1, s7
	s_delay_alu instid0(SALU_CYCLE_1) | instskip(SKIP_2) | instid1(VALU_DEP_1)
	v_dual_mov_b32 v2, s6 :: v_dual_mov_b32 v3, s7
	;;#ASMSTART
	global_load_dwordx4 v[2:5], v[2:3] off glc	
s_waitcnt vmcnt(0)
	;;#ASMEND
	v_and_b32_e32 v5, 0xff, v4
	v_cmpx_eq_u64_e32 0, v[5:6]
	s_cbranch_execz .LBB621_12
; %bb.9:
	v_dual_mov_b32 v8, s7 :: v_dual_mov_b32 v7, s6
.LBB621_10:                             ; =>This Inner Loop Header: Depth=1
	;;#ASMSTART
	global_load_dwordx4 v[2:5], v[7:8] off glc	
s_waitcnt vmcnt(0)
	;;#ASMEND
	v_and_b32_e32 v5, 0xff, v4
	s_delay_alu instid0(VALU_DEP_1) | instskip(SKIP_1) | instid1(SALU_CYCLE_1)
	v_cmp_ne_u64_e32 vcc_lo, 0, v[5:6]
	s_or_b32 s3, vcc_lo, s3
	s_and_not1_b32 exec_lo, exec_lo, s3
	s_cbranch_execnz .LBB621_10
; %bb.11:
	s_or_b32 exec_lo, exec_lo, s3
.LBB621_12:
	s_delay_alu instid0(SALU_CYCLE_1)
	s_or_b32 exec_lo, exec_lo, s2
	v_mov_b32_e32 v0, 0
	global_load_b64 v[4:5], v0, s[8:9]
	s_waitcnt vmcnt(0)
	v_add_co_u32 v4, vcc_lo, v4, v2
	v_add_co_ci_u32_e32 v5, vcc_lo, 0, v5, vcc_lo
	s_clause 0x1
	global_store_b64 v0, v[4:5], s[8:9]
	global_store_b16 v0, v3, s[10:11]
.LBB621_13:
	s_or_b32 exec_lo, exec_lo, s5
	s_cbranch_execnz .LBB621_2
.LBB621_14:
	s_delay_alu instid0(VALU_DEP_1) | instskip(SKIP_2) | instid1(SALU_CYCLE_1)
	v_cmp_eq_u32_e32 vcc_lo, 0, v1
	s_cmp_lg_u64 s[8:9], 0
	s_cselect_b32 s2, -1, 0
	s_and_b32 s3, s2, vcc_lo
	s_delay_alu instid0(SALU_CYCLE_1)
	s_and_saveexec_b32 s2, s3
	s_cbranch_execz .LBB621_16
; %bb.15:
	v_mov_b32_e32 v2, 0
	s_delay_alu instid0(VALU_DEP_1)
	v_mov_b32_e32 v3, v2
	global_store_b64 v2, v[2:3], s[8:9]
.LBB621_16:
	s_or_b32 exec_lo, exec_lo, s2
	s_delay_alu instid0(SALU_CYCLE_1)
	s_mov_b32 s2, exec_lo
	v_cmpx_gt_u32_e64 s4, v1
	s_cbranch_execnz .LBB621_3
	s_branch .LBB621_4
	.section	.rodata,"a",@progbits
	.p2align	6, 0x0
	.amdhsa_kernel _ZN7rocprim17ROCPRIM_400000_NS6detail25reduce_by_key_init_kernelINS1_19lookback_scan_stateINS0_5tupleIJjsEEELb0ELb1EEEsNS1_16block_id_wrapperIjLb0EEEEEvT_jbjPmPT0_T1_
		.amdhsa_group_segment_fixed_size 0
		.amdhsa_private_segment_fixed_size 0
		.amdhsa_kernarg_size 304
		.amdhsa_user_sgpr_count 15
		.amdhsa_user_sgpr_dispatch_ptr 0
		.amdhsa_user_sgpr_queue_ptr 0
		.amdhsa_user_sgpr_kernarg_segment_ptr 1
		.amdhsa_user_sgpr_dispatch_id 0
		.amdhsa_user_sgpr_private_segment_size 0
		.amdhsa_wavefront_size32 1
		.amdhsa_uses_dynamic_stack 0
		.amdhsa_enable_private_segment 0
		.amdhsa_system_sgpr_workgroup_id_x 1
		.amdhsa_system_sgpr_workgroup_id_y 0
		.amdhsa_system_sgpr_workgroup_id_z 0
		.amdhsa_system_sgpr_workgroup_info 0
		.amdhsa_system_vgpr_workitem_id 0
		.amdhsa_next_free_vgpr 9
		.amdhsa_next_free_sgpr 16
		.amdhsa_reserve_vcc 1
		.amdhsa_float_round_mode_32 0
		.amdhsa_float_round_mode_16_64 0
		.amdhsa_float_denorm_mode_32 3
		.amdhsa_float_denorm_mode_16_64 3
		.amdhsa_dx10_clamp 1
		.amdhsa_ieee_mode 1
		.amdhsa_fp16_overflow 0
		.amdhsa_workgroup_processor_mode 1
		.amdhsa_memory_ordered 1
		.amdhsa_forward_progress 0
		.amdhsa_shared_vgpr_count 0
		.amdhsa_exception_fp_ieee_invalid_op 0
		.amdhsa_exception_fp_denorm_src 0
		.amdhsa_exception_fp_ieee_div_zero 0
		.amdhsa_exception_fp_ieee_overflow 0
		.amdhsa_exception_fp_ieee_underflow 0
		.amdhsa_exception_fp_ieee_inexact 0
		.amdhsa_exception_int_div_zero 0
	.end_amdhsa_kernel
	.section	.text._ZN7rocprim17ROCPRIM_400000_NS6detail25reduce_by_key_init_kernelINS1_19lookback_scan_stateINS0_5tupleIJjsEEELb0ELb1EEEsNS1_16block_id_wrapperIjLb0EEEEEvT_jbjPmPT0_T1_,"axG",@progbits,_ZN7rocprim17ROCPRIM_400000_NS6detail25reduce_by_key_init_kernelINS1_19lookback_scan_stateINS0_5tupleIJjsEEELb0ELb1EEEsNS1_16block_id_wrapperIjLb0EEEEEvT_jbjPmPT0_T1_,comdat
.Lfunc_end621:
	.size	_ZN7rocprim17ROCPRIM_400000_NS6detail25reduce_by_key_init_kernelINS1_19lookback_scan_stateINS0_5tupleIJjsEEELb0ELb1EEEsNS1_16block_id_wrapperIjLb0EEEEEvT_jbjPmPT0_T1_, .Lfunc_end621-_ZN7rocprim17ROCPRIM_400000_NS6detail25reduce_by_key_init_kernelINS1_19lookback_scan_stateINS0_5tupleIJjsEEELb0ELb1EEEsNS1_16block_id_wrapperIjLb0EEEEEvT_jbjPmPT0_T1_
                                        ; -- End function
	.section	.AMDGPU.csdata,"",@progbits
; Kernel info:
; codeLenInByte = 584
; NumSgprs: 18
; NumVgprs: 9
; ScratchSize: 0
; MemoryBound: 0
; FloatMode: 240
; IeeeMode: 1
; LDSByteSize: 0 bytes/workgroup (compile time only)
; SGPRBlocks: 2
; VGPRBlocks: 1
; NumSGPRsForWavesPerEU: 18
; NumVGPRsForWavesPerEU: 9
; Occupancy: 16
; WaveLimiterHint : 0
; COMPUTE_PGM_RSRC2:SCRATCH_EN: 0
; COMPUTE_PGM_RSRC2:USER_SGPR: 15
; COMPUTE_PGM_RSRC2:TRAP_HANDLER: 0
; COMPUTE_PGM_RSRC2:TGID_X_EN: 1
; COMPUTE_PGM_RSRC2:TGID_Y_EN: 0
; COMPUTE_PGM_RSRC2:TGID_Z_EN: 0
; COMPUTE_PGM_RSRC2:TIDIG_COMP_CNT: 0
	.section	.text._ZN7rocprim17ROCPRIM_400000_NS6detail17trampoline_kernelINS0_14default_configENS1_29reduce_by_key_config_selectorIssN6thrust23THRUST_200600_302600_NS4plusIsEEEEZZNS1_33reduce_by_key_impl_wrapped_configILNS1_25lookback_scan_determinismE0ES3_S9_NS6_6detail15normal_iteratorINS6_10device_ptrIsEEEESG_SG_SG_PmS8_NS6_8equal_toIsEEEE10hipError_tPvRmT2_T3_mT4_T5_T6_T7_T8_P12ihipStream_tbENKUlT_T0_E_clISt17integral_constantIbLb0EES11_EEDaSW_SX_EUlSW_E_NS1_11comp_targetILNS1_3genE0ELNS1_11target_archE4294967295ELNS1_3gpuE0ELNS1_3repE0EEENS1_30default_config_static_selectorELNS0_4arch9wavefront6targetE0EEEvT1_,"axG",@progbits,_ZN7rocprim17ROCPRIM_400000_NS6detail17trampoline_kernelINS0_14default_configENS1_29reduce_by_key_config_selectorIssN6thrust23THRUST_200600_302600_NS4plusIsEEEEZZNS1_33reduce_by_key_impl_wrapped_configILNS1_25lookback_scan_determinismE0ES3_S9_NS6_6detail15normal_iteratorINS6_10device_ptrIsEEEESG_SG_SG_PmS8_NS6_8equal_toIsEEEE10hipError_tPvRmT2_T3_mT4_T5_T6_T7_T8_P12ihipStream_tbENKUlT_T0_E_clISt17integral_constantIbLb0EES11_EEDaSW_SX_EUlSW_E_NS1_11comp_targetILNS1_3genE0ELNS1_11target_archE4294967295ELNS1_3gpuE0ELNS1_3repE0EEENS1_30default_config_static_selectorELNS0_4arch9wavefront6targetE0EEEvT1_,comdat
	.protected	_ZN7rocprim17ROCPRIM_400000_NS6detail17trampoline_kernelINS0_14default_configENS1_29reduce_by_key_config_selectorIssN6thrust23THRUST_200600_302600_NS4plusIsEEEEZZNS1_33reduce_by_key_impl_wrapped_configILNS1_25lookback_scan_determinismE0ES3_S9_NS6_6detail15normal_iteratorINS6_10device_ptrIsEEEESG_SG_SG_PmS8_NS6_8equal_toIsEEEE10hipError_tPvRmT2_T3_mT4_T5_T6_T7_T8_P12ihipStream_tbENKUlT_T0_E_clISt17integral_constantIbLb0EES11_EEDaSW_SX_EUlSW_E_NS1_11comp_targetILNS1_3genE0ELNS1_11target_archE4294967295ELNS1_3gpuE0ELNS1_3repE0EEENS1_30default_config_static_selectorELNS0_4arch9wavefront6targetE0EEEvT1_ ; -- Begin function _ZN7rocprim17ROCPRIM_400000_NS6detail17trampoline_kernelINS0_14default_configENS1_29reduce_by_key_config_selectorIssN6thrust23THRUST_200600_302600_NS4plusIsEEEEZZNS1_33reduce_by_key_impl_wrapped_configILNS1_25lookback_scan_determinismE0ES3_S9_NS6_6detail15normal_iteratorINS6_10device_ptrIsEEEESG_SG_SG_PmS8_NS6_8equal_toIsEEEE10hipError_tPvRmT2_T3_mT4_T5_T6_T7_T8_P12ihipStream_tbENKUlT_T0_E_clISt17integral_constantIbLb0EES11_EEDaSW_SX_EUlSW_E_NS1_11comp_targetILNS1_3genE0ELNS1_11target_archE4294967295ELNS1_3gpuE0ELNS1_3repE0EEENS1_30default_config_static_selectorELNS0_4arch9wavefront6targetE0EEEvT1_
	.globl	_ZN7rocprim17ROCPRIM_400000_NS6detail17trampoline_kernelINS0_14default_configENS1_29reduce_by_key_config_selectorIssN6thrust23THRUST_200600_302600_NS4plusIsEEEEZZNS1_33reduce_by_key_impl_wrapped_configILNS1_25lookback_scan_determinismE0ES3_S9_NS6_6detail15normal_iteratorINS6_10device_ptrIsEEEESG_SG_SG_PmS8_NS6_8equal_toIsEEEE10hipError_tPvRmT2_T3_mT4_T5_T6_T7_T8_P12ihipStream_tbENKUlT_T0_E_clISt17integral_constantIbLb0EES11_EEDaSW_SX_EUlSW_E_NS1_11comp_targetILNS1_3genE0ELNS1_11target_archE4294967295ELNS1_3gpuE0ELNS1_3repE0EEENS1_30default_config_static_selectorELNS0_4arch9wavefront6targetE0EEEvT1_
	.p2align	8
	.type	_ZN7rocprim17ROCPRIM_400000_NS6detail17trampoline_kernelINS0_14default_configENS1_29reduce_by_key_config_selectorIssN6thrust23THRUST_200600_302600_NS4plusIsEEEEZZNS1_33reduce_by_key_impl_wrapped_configILNS1_25lookback_scan_determinismE0ES3_S9_NS6_6detail15normal_iteratorINS6_10device_ptrIsEEEESG_SG_SG_PmS8_NS6_8equal_toIsEEEE10hipError_tPvRmT2_T3_mT4_T5_T6_T7_T8_P12ihipStream_tbENKUlT_T0_E_clISt17integral_constantIbLb0EES11_EEDaSW_SX_EUlSW_E_NS1_11comp_targetILNS1_3genE0ELNS1_11target_archE4294967295ELNS1_3gpuE0ELNS1_3repE0EEENS1_30default_config_static_selectorELNS0_4arch9wavefront6targetE0EEEvT1_,@function
_ZN7rocprim17ROCPRIM_400000_NS6detail17trampoline_kernelINS0_14default_configENS1_29reduce_by_key_config_selectorIssN6thrust23THRUST_200600_302600_NS4plusIsEEEEZZNS1_33reduce_by_key_impl_wrapped_configILNS1_25lookback_scan_determinismE0ES3_S9_NS6_6detail15normal_iteratorINS6_10device_ptrIsEEEESG_SG_SG_PmS8_NS6_8equal_toIsEEEE10hipError_tPvRmT2_T3_mT4_T5_T6_T7_T8_P12ihipStream_tbENKUlT_T0_E_clISt17integral_constantIbLb0EES11_EEDaSW_SX_EUlSW_E_NS1_11comp_targetILNS1_3genE0ELNS1_11target_archE4294967295ELNS1_3gpuE0ELNS1_3repE0EEENS1_30default_config_static_selectorELNS0_4arch9wavefront6targetE0EEEvT1_: ; @_ZN7rocprim17ROCPRIM_400000_NS6detail17trampoline_kernelINS0_14default_configENS1_29reduce_by_key_config_selectorIssN6thrust23THRUST_200600_302600_NS4plusIsEEEEZZNS1_33reduce_by_key_impl_wrapped_configILNS1_25lookback_scan_determinismE0ES3_S9_NS6_6detail15normal_iteratorINS6_10device_ptrIsEEEESG_SG_SG_PmS8_NS6_8equal_toIsEEEE10hipError_tPvRmT2_T3_mT4_T5_T6_T7_T8_P12ihipStream_tbENKUlT_T0_E_clISt17integral_constantIbLb0EES11_EEDaSW_SX_EUlSW_E_NS1_11comp_targetILNS1_3genE0ELNS1_11target_archE4294967295ELNS1_3gpuE0ELNS1_3repE0EEENS1_30default_config_static_selectorELNS0_4arch9wavefront6targetE0EEEvT1_
; %bb.0:
	.section	.rodata,"a",@progbits
	.p2align	6, 0x0
	.amdhsa_kernel _ZN7rocprim17ROCPRIM_400000_NS6detail17trampoline_kernelINS0_14default_configENS1_29reduce_by_key_config_selectorIssN6thrust23THRUST_200600_302600_NS4plusIsEEEEZZNS1_33reduce_by_key_impl_wrapped_configILNS1_25lookback_scan_determinismE0ES3_S9_NS6_6detail15normal_iteratorINS6_10device_ptrIsEEEESG_SG_SG_PmS8_NS6_8equal_toIsEEEE10hipError_tPvRmT2_T3_mT4_T5_T6_T7_T8_P12ihipStream_tbENKUlT_T0_E_clISt17integral_constantIbLb0EES11_EEDaSW_SX_EUlSW_E_NS1_11comp_targetILNS1_3genE0ELNS1_11target_archE4294967295ELNS1_3gpuE0ELNS1_3repE0EEENS1_30default_config_static_selectorELNS0_4arch9wavefront6targetE0EEEvT1_
		.amdhsa_group_segment_fixed_size 0
		.amdhsa_private_segment_fixed_size 0
		.amdhsa_kernarg_size 120
		.amdhsa_user_sgpr_count 15
		.amdhsa_user_sgpr_dispatch_ptr 0
		.amdhsa_user_sgpr_queue_ptr 0
		.amdhsa_user_sgpr_kernarg_segment_ptr 1
		.amdhsa_user_sgpr_dispatch_id 0
		.amdhsa_user_sgpr_private_segment_size 0
		.amdhsa_wavefront_size32 1
		.amdhsa_uses_dynamic_stack 0
		.amdhsa_enable_private_segment 0
		.amdhsa_system_sgpr_workgroup_id_x 1
		.amdhsa_system_sgpr_workgroup_id_y 0
		.amdhsa_system_sgpr_workgroup_id_z 0
		.amdhsa_system_sgpr_workgroup_info 0
		.amdhsa_system_vgpr_workitem_id 0
		.amdhsa_next_free_vgpr 1
		.amdhsa_next_free_sgpr 1
		.amdhsa_reserve_vcc 0
		.amdhsa_float_round_mode_32 0
		.amdhsa_float_round_mode_16_64 0
		.amdhsa_float_denorm_mode_32 3
		.amdhsa_float_denorm_mode_16_64 3
		.amdhsa_dx10_clamp 1
		.amdhsa_ieee_mode 1
		.amdhsa_fp16_overflow 0
		.amdhsa_workgroup_processor_mode 1
		.amdhsa_memory_ordered 1
		.amdhsa_forward_progress 0
		.amdhsa_shared_vgpr_count 0
		.amdhsa_exception_fp_ieee_invalid_op 0
		.amdhsa_exception_fp_denorm_src 0
		.amdhsa_exception_fp_ieee_div_zero 0
		.amdhsa_exception_fp_ieee_overflow 0
		.amdhsa_exception_fp_ieee_underflow 0
		.amdhsa_exception_fp_ieee_inexact 0
		.amdhsa_exception_int_div_zero 0
	.end_amdhsa_kernel
	.section	.text._ZN7rocprim17ROCPRIM_400000_NS6detail17trampoline_kernelINS0_14default_configENS1_29reduce_by_key_config_selectorIssN6thrust23THRUST_200600_302600_NS4plusIsEEEEZZNS1_33reduce_by_key_impl_wrapped_configILNS1_25lookback_scan_determinismE0ES3_S9_NS6_6detail15normal_iteratorINS6_10device_ptrIsEEEESG_SG_SG_PmS8_NS6_8equal_toIsEEEE10hipError_tPvRmT2_T3_mT4_T5_T6_T7_T8_P12ihipStream_tbENKUlT_T0_E_clISt17integral_constantIbLb0EES11_EEDaSW_SX_EUlSW_E_NS1_11comp_targetILNS1_3genE0ELNS1_11target_archE4294967295ELNS1_3gpuE0ELNS1_3repE0EEENS1_30default_config_static_selectorELNS0_4arch9wavefront6targetE0EEEvT1_,"axG",@progbits,_ZN7rocprim17ROCPRIM_400000_NS6detail17trampoline_kernelINS0_14default_configENS1_29reduce_by_key_config_selectorIssN6thrust23THRUST_200600_302600_NS4plusIsEEEEZZNS1_33reduce_by_key_impl_wrapped_configILNS1_25lookback_scan_determinismE0ES3_S9_NS6_6detail15normal_iteratorINS6_10device_ptrIsEEEESG_SG_SG_PmS8_NS6_8equal_toIsEEEE10hipError_tPvRmT2_T3_mT4_T5_T6_T7_T8_P12ihipStream_tbENKUlT_T0_E_clISt17integral_constantIbLb0EES11_EEDaSW_SX_EUlSW_E_NS1_11comp_targetILNS1_3genE0ELNS1_11target_archE4294967295ELNS1_3gpuE0ELNS1_3repE0EEENS1_30default_config_static_selectorELNS0_4arch9wavefront6targetE0EEEvT1_,comdat
.Lfunc_end622:
	.size	_ZN7rocprim17ROCPRIM_400000_NS6detail17trampoline_kernelINS0_14default_configENS1_29reduce_by_key_config_selectorIssN6thrust23THRUST_200600_302600_NS4plusIsEEEEZZNS1_33reduce_by_key_impl_wrapped_configILNS1_25lookback_scan_determinismE0ES3_S9_NS6_6detail15normal_iteratorINS6_10device_ptrIsEEEESG_SG_SG_PmS8_NS6_8equal_toIsEEEE10hipError_tPvRmT2_T3_mT4_T5_T6_T7_T8_P12ihipStream_tbENKUlT_T0_E_clISt17integral_constantIbLb0EES11_EEDaSW_SX_EUlSW_E_NS1_11comp_targetILNS1_3genE0ELNS1_11target_archE4294967295ELNS1_3gpuE0ELNS1_3repE0EEENS1_30default_config_static_selectorELNS0_4arch9wavefront6targetE0EEEvT1_, .Lfunc_end622-_ZN7rocprim17ROCPRIM_400000_NS6detail17trampoline_kernelINS0_14default_configENS1_29reduce_by_key_config_selectorIssN6thrust23THRUST_200600_302600_NS4plusIsEEEEZZNS1_33reduce_by_key_impl_wrapped_configILNS1_25lookback_scan_determinismE0ES3_S9_NS6_6detail15normal_iteratorINS6_10device_ptrIsEEEESG_SG_SG_PmS8_NS6_8equal_toIsEEEE10hipError_tPvRmT2_T3_mT4_T5_T6_T7_T8_P12ihipStream_tbENKUlT_T0_E_clISt17integral_constantIbLb0EES11_EEDaSW_SX_EUlSW_E_NS1_11comp_targetILNS1_3genE0ELNS1_11target_archE4294967295ELNS1_3gpuE0ELNS1_3repE0EEENS1_30default_config_static_selectorELNS0_4arch9wavefront6targetE0EEEvT1_
                                        ; -- End function
	.section	.AMDGPU.csdata,"",@progbits
; Kernel info:
; codeLenInByte = 0
; NumSgprs: 0
; NumVgprs: 0
; ScratchSize: 0
; MemoryBound: 0
; FloatMode: 240
; IeeeMode: 1
; LDSByteSize: 0 bytes/workgroup (compile time only)
; SGPRBlocks: 0
; VGPRBlocks: 0
; NumSGPRsForWavesPerEU: 1
; NumVGPRsForWavesPerEU: 1
; Occupancy: 16
; WaveLimiterHint : 0
; COMPUTE_PGM_RSRC2:SCRATCH_EN: 0
; COMPUTE_PGM_RSRC2:USER_SGPR: 15
; COMPUTE_PGM_RSRC2:TRAP_HANDLER: 0
; COMPUTE_PGM_RSRC2:TGID_X_EN: 1
; COMPUTE_PGM_RSRC2:TGID_Y_EN: 0
; COMPUTE_PGM_RSRC2:TGID_Z_EN: 0
; COMPUTE_PGM_RSRC2:TIDIG_COMP_CNT: 0
	.section	.text._ZN7rocprim17ROCPRIM_400000_NS6detail17trampoline_kernelINS0_14default_configENS1_29reduce_by_key_config_selectorIssN6thrust23THRUST_200600_302600_NS4plusIsEEEEZZNS1_33reduce_by_key_impl_wrapped_configILNS1_25lookback_scan_determinismE0ES3_S9_NS6_6detail15normal_iteratorINS6_10device_ptrIsEEEESG_SG_SG_PmS8_NS6_8equal_toIsEEEE10hipError_tPvRmT2_T3_mT4_T5_T6_T7_T8_P12ihipStream_tbENKUlT_T0_E_clISt17integral_constantIbLb0EES11_EEDaSW_SX_EUlSW_E_NS1_11comp_targetILNS1_3genE5ELNS1_11target_archE942ELNS1_3gpuE9ELNS1_3repE0EEENS1_30default_config_static_selectorELNS0_4arch9wavefront6targetE0EEEvT1_,"axG",@progbits,_ZN7rocprim17ROCPRIM_400000_NS6detail17trampoline_kernelINS0_14default_configENS1_29reduce_by_key_config_selectorIssN6thrust23THRUST_200600_302600_NS4plusIsEEEEZZNS1_33reduce_by_key_impl_wrapped_configILNS1_25lookback_scan_determinismE0ES3_S9_NS6_6detail15normal_iteratorINS6_10device_ptrIsEEEESG_SG_SG_PmS8_NS6_8equal_toIsEEEE10hipError_tPvRmT2_T3_mT4_T5_T6_T7_T8_P12ihipStream_tbENKUlT_T0_E_clISt17integral_constantIbLb0EES11_EEDaSW_SX_EUlSW_E_NS1_11comp_targetILNS1_3genE5ELNS1_11target_archE942ELNS1_3gpuE9ELNS1_3repE0EEENS1_30default_config_static_selectorELNS0_4arch9wavefront6targetE0EEEvT1_,comdat
	.protected	_ZN7rocprim17ROCPRIM_400000_NS6detail17trampoline_kernelINS0_14default_configENS1_29reduce_by_key_config_selectorIssN6thrust23THRUST_200600_302600_NS4plusIsEEEEZZNS1_33reduce_by_key_impl_wrapped_configILNS1_25lookback_scan_determinismE0ES3_S9_NS6_6detail15normal_iteratorINS6_10device_ptrIsEEEESG_SG_SG_PmS8_NS6_8equal_toIsEEEE10hipError_tPvRmT2_T3_mT4_T5_T6_T7_T8_P12ihipStream_tbENKUlT_T0_E_clISt17integral_constantIbLb0EES11_EEDaSW_SX_EUlSW_E_NS1_11comp_targetILNS1_3genE5ELNS1_11target_archE942ELNS1_3gpuE9ELNS1_3repE0EEENS1_30default_config_static_selectorELNS0_4arch9wavefront6targetE0EEEvT1_ ; -- Begin function _ZN7rocprim17ROCPRIM_400000_NS6detail17trampoline_kernelINS0_14default_configENS1_29reduce_by_key_config_selectorIssN6thrust23THRUST_200600_302600_NS4plusIsEEEEZZNS1_33reduce_by_key_impl_wrapped_configILNS1_25lookback_scan_determinismE0ES3_S9_NS6_6detail15normal_iteratorINS6_10device_ptrIsEEEESG_SG_SG_PmS8_NS6_8equal_toIsEEEE10hipError_tPvRmT2_T3_mT4_T5_T6_T7_T8_P12ihipStream_tbENKUlT_T0_E_clISt17integral_constantIbLb0EES11_EEDaSW_SX_EUlSW_E_NS1_11comp_targetILNS1_3genE5ELNS1_11target_archE942ELNS1_3gpuE9ELNS1_3repE0EEENS1_30default_config_static_selectorELNS0_4arch9wavefront6targetE0EEEvT1_
	.globl	_ZN7rocprim17ROCPRIM_400000_NS6detail17trampoline_kernelINS0_14default_configENS1_29reduce_by_key_config_selectorIssN6thrust23THRUST_200600_302600_NS4plusIsEEEEZZNS1_33reduce_by_key_impl_wrapped_configILNS1_25lookback_scan_determinismE0ES3_S9_NS6_6detail15normal_iteratorINS6_10device_ptrIsEEEESG_SG_SG_PmS8_NS6_8equal_toIsEEEE10hipError_tPvRmT2_T3_mT4_T5_T6_T7_T8_P12ihipStream_tbENKUlT_T0_E_clISt17integral_constantIbLb0EES11_EEDaSW_SX_EUlSW_E_NS1_11comp_targetILNS1_3genE5ELNS1_11target_archE942ELNS1_3gpuE9ELNS1_3repE0EEENS1_30default_config_static_selectorELNS0_4arch9wavefront6targetE0EEEvT1_
	.p2align	8
	.type	_ZN7rocprim17ROCPRIM_400000_NS6detail17trampoline_kernelINS0_14default_configENS1_29reduce_by_key_config_selectorIssN6thrust23THRUST_200600_302600_NS4plusIsEEEEZZNS1_33reduce_by_key_impl_wrapped_configILNS1_25lookback_scan_determinismE0ES3_S9_NS6_6detail15normal_iteratorINS6_10device_ptrIsEEEESG_SG_SG_PmS8_NS6_8equal_toIsEEEE10hipError_tPvRmT2_T3_mT4_T5_T6_T7_T8_P12ihipStream_tbENKUlT_T0_E_clISt17integral_constantIbLb0EES11_EEDaSW_SX_EUlSW_E_NS1_11comp_targetILNS1_3genE5ELNS1_11target_archE942ELNS1_3gpuE9ELNS1_3repE0EEENS1_30default_config_static_selectorELNS0_4arch9wavefront6targetE0EEEvT1_,@function
_ZN7rocprim17ROCPRIM_400000_NS6detail17trampoline_kernelINS0_14default_configENS1_29reduce_by_key_config_selectorIssN6thrust23THRUST_200600_302600_NS4plusIsEEEEZZNS1_33reduce_by_key_impl_wrapped_configILNS1_25lookback_scan_determinismE0ES3_S9_NS6_6detail15normal_iteratorINS6_10device_ptrIsEEEESG_SG_SG_PmS8_NS6_8equal_toIsEEEE10hipError_tPvRmT2_T3_mT4_T5_T6_T7_T8_P12ihipStream_tbENKUlT_T0_E_clISt17integral_constantIbLb0EES11_EEDaSW_SX_EUlSW_E_NS1_11comp_targetILNS1_3genE5ELNS1_11target_archE942ELNS1_3gpuE9ELNS1_3repE0EEENS1_30default_config_static_selectorELNS0_4arch9wavefront6targetE0EEEvT1_: ; @_ZN7rocprim17ROCPRIM_400000_NS6detail17trampoline_kernelINS0_14default_configENS1_29reduce_by_key_config_selectorIssN6thrust23THRUST_200600_302600_NS4plusIsEEEEZZNS1_33reduce_by_key_impl_wrapped_configILNS1_25lookback_scan_determinismE0ES3_S9_NS6_6detail15normal_iteratorINS6_10device_ptrIsEEEESG_SG_SG_PmS8_NS6_8equal_toIsEEEE10hipError_tPvRmT2_T3_mT4_T5_T6_T7_T8_P12ihipStream_tbENKUlT_T0_E_clISt17integral_constantIbLb0EES11_EEDaSW_SX_EUlSW_E_NS1_11comp_targetILNS1_3genE5ELNS1_11target_archE942ELNS1_3gpuE9ELNS1_3repE0EEENS1_30default_config_static_selectorELNS0_4arch9wavefront6targetE0EEEvT1_
; %bb.0:
	.section	.rodata,"a",@progbits
	.p2align	6, 0x0
	.amdhsa_kernel _ZN7rocprim17ROCPRIM_400000_NS6detail17trampoline_kernelINS0_14default_configENS1_29reduce_by_key_config_selectorIssN6thrust23THRUST_200600_302600_NS4plusIsEEEEZZNS1_33reduce_by_key_impl_wrapped_configILNS1_25lookback_scan_determinismE0ES3_S9_NS6_6detail15normal_iteratorINS6_10device_ptrIsEEEESG_SG_SG_PmS8_NS6_8equal_toIsEEEE10hipError_tPvRmT2_T3_mT4_T5_T6_T7_T8_P12ihipStream_tbENKUlT_T0_E_clISt17integral_constantIbLb0EES11_EEDaSW_SX_EUlSW_E_NS1_11comp_targetILNS1_3genE5ELNS1_11target_archE942ELNS1_3gpuE9ELNS1_3repE0EEENS1_30default_config_static_selectorELNS0_4arch9wavefront6targetE0EEEvT1_
		.amdhsa_group_segment_fixed_size 0
		.amdhsa_private_segment_fixed_size 0
		.amdhsa_kernarg_size 120
		.amdhsa_user_sgpr_count 15
		.amdhsa_user_sgpr_dispatch_ptr 0
		.amdhsa_user_sgpr_queue_ptr 0
		.amdhsa_user_sgpr_kernarg_segment_ptr 1
		.amdhsa_user_sgpr_dispatch_id 0
		.amdhsa_user_sgpr_private_segment_size 0
		.amdhsa_wavefront_size32 1
		.amdhsa_uses_dynamic_stack 0
		.amdhsa_enable_private_segment 0
		.amdhsa_system_sgpr_workgroup_id_x 1
		.amdhsa_system_sgpr_workgroup_id_y 0
		.amdhsa_system_sgpr_workgroup_id_z 0
		.amdhsa_system_sgpr_workgroup_info 0
		.amdhsa_system_vgpr_workitem_id 0
		.amdhsa_next_free_vgpr 1
		.amdhsa_next_free_sgpr 1
		.amdhsa_reserve_vcc 0
		.amdhsa_float_round_mode_32 0
		.amdhsa_float_round_mode_16_64 0
		.amdhsa_float_denorm_mode_32 3
		.amdhsa_float_denorm_mode_16_64 3
		.amdhsa_dx10_clamp 1
		.amdhsa_ieee_mode 1
		.amdhsa_fp16_overflow 0
		.amdhsa_workgroup_processor_mode 1
		.amdhsa_memory_ordered 1
		.amdhsa_forward_progress 0
		.amdhsa_shared_vgpr_count 0
		.amdhsa_exception_fp_ieee_invalid_op 0
		.amdhsa_exception_fp_denorm_src 0
		.amdhsa_exception_fp_ieee_div_zero 0
		.amdhsa_exception_fp_ieee_overflow 0
		.amdhsa_exception_fp_ieee_underflow 0
		.amdhsa_exception_fp_ieee_inexact 0
		.amdhsa_exception_int_div_zero 0
	.end_amdhsa_kernel
	.section	.text._ZN7rocprim17ROCPRIM_400000_NS6detail17trampoline_kernelINS0_14default_configENS1_29reduce_by_key_config_selectorIssN6thrust23THRUST_200600_302600_NS4plusIsEEEEZZNS1_33reduce_by_key_impl_wrapped_configILNS1_25lookback_scan_determinismE0ES3_S9_NS6_6detail15normal_iteratorINS6_10device_ptrIsEEEESG_SG_SG_PmS8_NS6_8equal_toIsEEEE10hipError_tPvRmT2_T3_mT4_T5_T6_T7_T8_P12ihipStream_tbENKUlT_T0_E_clISt17integral_constantIbLb0EES11_EEDaSW_SX_EUlSW_E_NS1_11comp_targetILNS1_3genE5ELNS1_11target_archE942ELNS1_3gpuE9ELNS1_3repE0EEENS1_30default_config_static_selectorELNS0_4arch9wavefront6targetE0EEEvT1_,"axG",@progbits,_ZN7rocprim17ROCPRIM_400000_NS6detail17trampoline_kernelINS0_14default_configENS1_29reduce_by_key_config_selectorIssN6thrust23THRUST_200600_302600_NS4plusIsEEEEZZNS1_33reduce_by_key_impl_wrapped_configILNS1_25lookback_scan_determinismE0ES3_S9_NS6_6detail15normal_iteratorINS6_10device_ptrIsEEEESG_SG_SG_PmS8_NS6_8equal_toIsEEEE10hipError_tPvRmT2_T3_mT4_T5_T6_T7_T8_P12ihipStream_tbENKUlT_T0_E_clISt17integral_constantIbLb0EES11_EEDaSW_SX_EUlSW_E_NS1_11comp_targetILNS1_3genE5ELNS1_11target_archE942ELNS1_3gpuE9ELNS1_3repE0EEENS1_30default_config_static_selectorELNS0_4arch9wavefront6targetE0EEEvT1_,comdat
.Lfunc_end623:
	.size	_ZN7rocprim17ROCPRIM_400000_NS6detail17trampoline_kernelINS0_14default_configENS1_29reduce_by_key_config_selectorIssN6thrust23THRUST_200600_302600_NS4plusIsEEEEZZNS1_33reduce_by_key_impl_wrapped_configILNS1_25lookback_scan_determinismE0ES3_S9_NS6_6detail15normal_iteratorINS6_10device_ptrIsEEEESG_SG_SG_PmS8_NS6_8equal_toIsEEEE10hipError_tPvRmT2_T3_mT4_T5_T6_T7_T8_P12ihipStream_tbENKUlT_T0_E_clISt17integral_constantIbLb0EES11_EEDaSW_SX_EUlSW_E_NS1_11comp_targetILNS1_3genE5ELNS1_11target_archE942ELNS1_3gpuE9ELNS1_3repE0EEENS1_30default_config_static_selectorELNS0_4arch9wavefront6targetE0EEEvT1_, .Lfunc_end623-_ZN7rocprim17ROCPRIM_400000_NS6detail17trampoline_kernelINS0_14default_configENS1_29reduce_by_key_config_selectorIssN6thrust23THRUST_200600_302600_NS4plusIsEEEEZZNS1_33reduce_by_key_impl_wrapped_configILNS1_25lookback_scan_determinismE0ES3_S9_NS6_6detail15normal_iteratorINS6_10device_ptrIsEEEESG_SG_SG_PmS8_NS6_8equal_toIsEEEE10hipError_tPvRmT2_T3_mT4_T5_T6_T7_T8_P12ihipStream_tbENKUlT_T0_E_clISt17integral_constantIbLb0EES11_EEDaSW_SX_EUlSW_E_NS1_11comp_targetILNS1_3genE5ELNS1_11target_archE942ELNS1_3gpuE9ELNS1_3repE0EEENS1_30default_config_static_selectorELNS0_4arch9wavefront6targetE0EEEvT1_
                                        ; -- End function
	.section	.AMDGPU.csdata,"",@progbits
; Kernel info:
; codeLenInByte = 0
; NumSgprs: 0
; NumVgprs: 0
; ScratchSize: 0
; MemoryBound: 0
; FloatMode: 240
; IeeeMode: 1
; LDSByteSize: 0 bytes/workgroup (compile time only)
; SGPRBlocks: 0
; VGPRBlocks: 0
; NumSGPRsForWavesPerEU: 1
; NumVGPRsForWavesPerEU: 1
; Occupancy: 16
; WaveLimiterHint : 0
; COMPUTE_PGM_RSRC2:SCRATCH_EN: 0
; COMPUTE_PGM_RSRC2:USER_SGPR: 15
; COMPUTE_PGM_RSRC2:TRAP_HANDLER: 0
; COMPUTE_PGM_RSRC2:TGID_X_EN: 1
; COMPUTE_PGM_RSRC2:TGID_Y_EN: 0
; COMPUTE_PGM_RSRC2:TGID_Z_EN: 0
; COMPUTE_PGM_RSRC2:TIDIG_COMP_CNT: 0
	.section	.text._ZN7rocprim17ROCPRIM_400000_NS6detail17trampoline_kernelINS0_14default_configENS1_29reduce_by_key_config_selectorIssN6thrust23THRUST_200600_302600_NS4plusIsEEEEZZNS1_33reduce_by_key_impl_wrapped_configILNS1_25lookback_scan_determinismE0ES3_S9_NS6_6detail15normal_iteratorINS6_10device_ptrIsEEEESG_SG_SG_PmS8_NS6_8equal_toIsEEEE10hipError_tPvRmT2_T3_mT4_T5_T6_T7_T8_P12ihipStream_tbENKUlT_T0_E_clISt17integral_constantIbLb0EES11_EEDaSW_SX_EUlSW_E_NS1_11comp_targetILNS1_3genE4ELNS1_11target_archE910ELNS1_3gpuE8ELNS1_3repE0EEENS1_30default_config_static_selectorELNS0_4arch9wavefront6targetE0EEEvT1_,"axG",@progbits,_ZN7rocprim17ROCPRIM_400000_NS6detail17trampoline_kernelINS0_14default_configENS1_29reduce_by_key_config_selectorIssN6thrust23THRUST_200600_302600_NS4plusIsEEEEZZNS1_33reduce_by_key_impl_wrapped_configILNS1_25lookback_scan_determinismE0ES3_S9_NS6_6detail15normal_iteratorINS6_10device_ptrIsEEEESG_SG_SG_PmS8_NS6_8equal_toIsEEEE10hipError_tPvRmT2_T3_mT4_T5_T6_T7_T8_P12ihipStream_tbENKUlT_T0_E_clISt17integral_constantIbLb0EES11_EEDaSW_SX_EUlSW_E_NS1_11comp_targetILNS1_3genE4ELNS1_11target_archE910ELNS1_3gpuE8ELNS1_3repE0EEENS1_30default_config_static_selectorELNS0_4arch9wavefront6targetE0EEEvT1_,comdat
	.protected	_ZN7rocprim17ROCPRIM_400000_NS6detail17trampoline_kernelINS0_14default_configENS1_29reduce_by_key_config_selectorIssN6thrust23THRUST_200600_302600_NS4plusIsEEEEZZNS1_33reduce_by_key_impl_wrapped_configILNS1_25lookback_scan_determinismE0ES3_S9_NS6_6detail15normal_iteratorINS6_10device_ptrIsEEEESG_SG_SG_PmS8_NS6_8equal_toIsEEEE10hipError_tPvRmT2_T3_mT4_T5_T6_T7_T8_P12ihipStream_tbENKUlT_T0_E_clISt17integral_constantIbLb0EES11_EEDaSW_SX_EUlSW_E_NS1_11comp_targetILNS1_3genE4ELNS1_11target_archE910ELNS1_3gpuE8ELNS1_3repE0EEENS1_30default_config_static_selectorELNS0_4arch9wavefront6targetE0EEEvT1_ ; -- Begin function _ZN7rocprim17ROCPRIM_400000_NS6detail17trampoline_kernelINS0_14default_configENS1_29reduce_by_key_config_selectorIssN6thrust23THRUST_200600_302600_NS4plusIsEEEEZZNS1_33reduce_by_key_impl_wrapped_configILNS1_25lookback_scan_determinismE0ES3_S9_NS6_6detail15normal_iteratorINS6_10device_ptrIsEEEESG_SG_SG_PmS8_NS6_8equal_toIsEEEE10hipError_tPvRmT2_T3_mT4_T5_T6_T7_T8_P12ihipStream_tbENKUlT_T0_E_clISt17integral_constantIbLb0EES11_EEDaSW_SX_EUlSW_E_NS1_11comp_targetILNS1_3genE4ELNS1_11target_archE910ELNS1_3gpuE8ELNS1_3repE0EEENS1_30default_config_static_selectorELNS0_4arch9wavefront6targetE0EEEvT1_
	.globl	_ZN7rocprim17ROCPRIM_400000_NS6detail17trampoline_kernelINS0_14default_configENS1_29reduce_by_key_config_selectorIssN6thrust23THRUST_200600_302600_NS4plusIsEEEEZZNS1_33reduce_by_key_impl_wrapped_configILNS1_25lookback_scan_determinismE0ES3_S9_NS6_6detail15normal_iteratorINS6_10device_ptrIsEEEESG_SG_SG_PmS8_NS6_8equal_toIsEEEE10hipError_tPvRmT2_T3_mT4_T5_T6_T7_T8_P12ihipStream_tbENKUlT_T0_E_clISt17integral_constantIbLb0EES11_EEDaSW_SX_EUlSW_E_NS1_11comp_targetILNS1_3genE4ELNS1_11target_archE910ELNS1_3gpuE8ELNS1_3repE0EEENS1_30default_config_static_selectorELNS0_4arch9wavefront6targetE0EEEvT1_
	.p2align	8
	.type	_ZN7rocprim17ROCPRIM_400000_NS6detail17trampoline_kernelINS0_14default_configENS1_29reduce_by_key_config_selectorIssN6thrust23THRUST_200600_302600_NS4plusIsEEEEZZNS1_33reduce_by_key_impl_wrapped_configILNS1_25lookback_scan_determinismE0ES3_S9_NS6_6detail15normal_iteratorINS6_10device_ptrIsEEEESG_SG_SG_PmS8_NS6_8equal_toIsEEEE10hipError_tPvRmT2_T3_mT4_T5_T6_T7_T8_P12ihipStream_tbENKUlT_T0_E_clISt17integral_constantIbLb0EES11_EEDaSW_SX_EUlSW_E_NS1_11comp_targetILNS1_3genE4ELNS1_11target_archE910ELNS1_3gpuE8ELNS1_3repE0EEENS1_30default_config_static_selectorELNS0_4arch9wavefront6targetE0EEEvT1_,@function
_ZN7rocprim17ROCPRIM_400000_NS6detail17trampoline_kernelINS0_14default_configENS1_29reduce_by_key_config_selectorIssN6thrust23THRUST_200600_302600_NS4plusIsEEEEZZNS1_33reduce_by_key_impl_wrapped_configILNS1_25lookback_scan_determinismE0ES3_S9_NS6_6detail15normal_iteratorINS6_10device_ptrIsEEEESG_SG_SG_PmS8_NS6_8equal_toIsEEEE10hipError_tPvRmT2_T3_mT4_T5_T6_T7_T8_P12ihipStream_tbENKUlT_T0_E_clISt17integral_constantIbLb0EES11_EEDaSW_SX_EUlSW_E_NS1_11comp_targetILNS1_3genE4ELNS1_11target_archE910ELNS1_3gpuE8ELNS1_3repE0EEENS1_30default_config_static_selectorELNS0_4arch9wavefront6targetE0EEEvT1_: ; @_ZN7rocprim17ROCPRIM_400000_NS6detail17trampoline_kernelINS0_14default_configENS1_29reduce_by_key_config_selectorIssN6thrust23THRUST_200600_302600_NS4plusIsEEEEZZNS1_33reduce_by_key_impl_wrapped_configILNS1_25lookback_scan_determinismE0ES3_S9_NS6_6detail15normal_iteratorINS6_10device_ptrIsEEEESG_SG_SG_PmS8_NS6_8equal_toIsEEEE10hipError_tPvRmT2_T3_mT4_T5_T6_T7_T8_P12ihipStream_tbENKUlT_T0_E_clISt17integral_constantIbLb0EES11_EEDaSW_SX_EUlSW_E_NS1_11comp_targetILNS1_3genE4ELNS1_11target_archE910ELNS1_3gpuE8ELNS1_3repE0EEENS1_30default_config_static_selectorELNS0_4arch9wavefront6targetE0EEEvT1_
; %bb.0:
	.section	.rodata,"a",@progbits
	.p2align	6, 0x0
	.amdhsa_kernel _ZN7rocprim17ROCPRIM_400000_NS6detail17trampoline_kernelINS0_14default_configENS1_29reduce_by_key_config_selectorIssN6thrust23THRUST_200600_302600_NS4plusIsEEEEZZNS1_33reduce_by_key_impl_wrapped_configILNS1_25lookback_scan_determinismE0ES3_S9_NS6_6detail15normal_iteratorINS6_10device_ptrIsEEEESG_SG_SG_PmS8_NS6_8equal_toIsEEEE10hipError_tPvRmT2_T3_mT4_T5_T6_T7_T8_P12ihipStream_tbENKUlT_T0_E_clISt17integral_constantIbLb0EES11_EEDaSW_SX_EUlSW_E_NS1_11comp_targetILNS1_3genE4ELNS1_11target_archE910ELNS1_3gpuE8ELNS1_3repE0EEENS1_30default_config_static_selectorELNS0_4arch9wavefront6targetE0EEEvT1_
		.amdhsa_group_segment_fixed_size 0
		.amdhsa_private_segment_fixed_size 0
		.amdhsa_kernarg_size 120
		.amdhsa_user_sgpr_count 15
		.amdhsa_user_sgpr_dispatch_ptr 0
		.amdhsa_user_sgpr_queue_ptr 0
		.amdhsa_user_sgpr_kernarg_segment_ptr 1
		.amdhsa_user_sgpr_dispatch_id 0
		.amdhsa_user_sgpr_private_segment_size 0
		.amdhsa_wavefront_size32 1
		.amdhsa_uses_dynamic_stack 0
		.amdhsa_enable_private_segment 0
		.amdhsa_system_sgpr_workgroup_id_x 1
		.amdhsa_system_sgpr_workgroup_id_y 0
		.amdhsa_system_sgpr_workgroup_id_z 0
		.amdhsa_system_sgpr_workgroup_info 0
		.amdhsa_system_vgpr_workitem_id 0
		.amdhsa_next_free_vgpr 1
		.amdhsa_next_free_sgpr 1
		.amdhsa_reserve_vcc 0
		.amdhsa_float_round_mode_32 0
		.amdhsa_float_round_mode_16_64 0
		.amdhsa_float_denorm_mode_32 3
		.amdhsa_float_denorm_mode_16_64 3
		.amdhsa_dx10_clamp 1
		.amdhsa_ieee_mode 1
		.amdhsa_fp16_overflow 0
		.amdhsa_workgroup_processor_mode 1
		.amdhsa_memory_ordered 1
		.amdhsa_forward_progress 0
		.amdhsa_shared_vgpr_count 0
		.amdhsa_exception_fp_ieee_invalid_op 0
		.amdhsa_exception_fp_denorm_src 0
		.amdhsa_exception_fp_ieee_div_zero 0
		.amdhsa_exception_fp_ieee_overflow 0
		.amdhsa_exception_fp_ieee_underflow 0
		.amdhsa_exception_fp_ieee_inexact 0
		.amdhsa_exception_int_div_zero 0
	.end_amdhsa_kernel
	.section	.text._ZN7rocprim17ROCPRIM_400000_NS6detail17trampoline_kernelINS0_14default_configENS1_29reduce_by_key_config_selectorIssN6thrust23THRUST_200600_302600_NS4plusIsEEEEZZNS1_33reduce_by_key_impl_wrapped_configILNS1_25lookback_scan_determinismE0ES3_S9_NS6_6detail15normal_iteratorINS6_10device_ptrIsEEEESG_SG_SG_PmS8_NS6_8equal_toIsEEEE10hipError_tPvRmT2_T3_mT4_T5_T6_T7_T8_P12ihipStream_tbENKUlT_T0_E_clISt17integral_constantIbLb0EES11_EEDaSW_SX_EUlSW_E_NS1_11comp_targetILNS1_3genE4ELNS1_11target_archE910ELNS1_3gpuE8ELNS1_3repE0EEENS1_30default_config_static_selectorELNS0_4arch9wavefront6targetE0EEEvT1_,"axG",@progbits,_ZN7rocprim17ROCPRIM_400000_NS6detail17trampoline_kernelINS0_14default_configENS1_29reduce_by_key_config_selectorIssN6thrust23THRUST_200600_302600_NS4plusIsEEEEZZNS1_33reduce_by_key_impl_wrapped_configILNS1_25lookback_scan_determinismE0ES3_S9_NS6_6detail15normal_iteratorINS6_10device_ptrIsEEEESG_SG_SG_PmS8_NS6_8equal_toIsEEEE10hipError_tPvRmT2_T3_mT4_T5_T6_T7_T8_P12ihipStream_tbENKUlT_T0_E_clISt17integral_constantIbLb0EES11_EEDaSW_SX_EUlSW_E_NS1_11comp_targetILNS1_3genE4ELNS1_11target_archE910ELNS1_3gpuE8ELNS1_3repE0EEENS1_30default_config_static_selectorELNS0_4arch9wavefront6targetE0EEEvT1_,comdat
.Lfunc_end624:
	.size	_ZN7rocprim17ROCPRIM_400000_NS6detail17trampoline_kernelINS0_14default_configENS1_29reduce_by_key_config_selectorIssN6thrust23THRUST_200600_302600_NS4plusIsEEEEZZNS1_33reduce_by_key_impl_wrapped_configILNS1_25lookback_scan_determinismE0ES3_S9_NS6_6detail15normal_iteratorINS6_10device_ptrIsEEEESG_SG_SG_PmS8_NS6_8equal_toIsEEEE10hipError_tPvRmT2_T3_mT4_T5_T6_T7_T8_P12ihipStream_tbENKUlT_T0_E_clISt17integral_constantIbLb0EES11_EEDaSW_SX_EUlSW_E_NS1_11comp_targetILNS1_3genE4ELNS1_11target_archE910ELNS1_3gpuE8ELNS1_3repE0EEENS1_30default_config_static_selectorELNS0_4arch9wavefront6targetE0EEEvT1_, .Lfunc_end624-_ZN7rocprim17ROCPRIM_400000_NS6detail17trampoline_kernelINS0_14default_configENS1_29reduce_by_key_config_selectorIssN6thrust23THRUST_200600_302600_NS4plusIsEEEEZZNS1_33reduce_by_key_impl_wrapped_configILNS1_25lookback_scan_determinismE0ES3_S9_NS6_6detail15normal_iteratorINS6_10device_ptrIsEEEESG_SG_SG_PmS8_NS6_8equal_toIsEEEE10hipError_tPvRmT2_T3_mT4_T5_T6_T7_T8_P12ihipStream_tbENKUlT_T0_E_clISt17integral_constantIbLb0EES11_EEDaSW_SX_EUlSW_E_NS1_11comp_targetILNS1_3genE4ELNS1_11target_archE910ELNS1_3gpuE8ELNS1_3repE0EEENS1_30default_config_static_selectorELNS0_4arch9wavefront6targetE0EEEvT1_
                                        ; -- End function
	.section	.AMDGPU.csdata,"",@progbits
; Kernel info:
; codeLenInByte = 0
; NumSgprs: 0
; NumVgprs: 0
; ScratchSize: 0
; MemoryBound: 0
; FloatMode: 240
; IeeeMode: 1
; LDSByteSize: 0 bytes/workgroup (compile time only)
; SGPRBlocks: 0
; VGPRBlocks: 0
; NumSGPRsForWavesPerEU: 1
; NumVGPRsForWavesPerEU: 1
; Occupancy: 16
; WaveLimiterHint : 0
; COMPUTE_PGM_RSRC2:SCRATCH_EN: 0
; COMPUTE_PGM_RSRC2:USER_SGPR: 15
; COMPUTE_PGM_RSRC2:TRAP_HANDLER: 0
; COMPUTE_PGM_RSRC2:TGID_X_EN: 1
; COMPUTE_PGM_RSRC2:TGID_Y_EN: 0
; COMPUTE_PGM_RSRC2:TGID_Z_EN: 0
; COMPUTE_PGM_RSRC2:TIDIG_COMP_CNT: 0
	.section	.text._ZN7rocprim17ROCPRIM_400000_NS6detail17trampoline_kernelINS0_14default_configENS1_29reduce_by_key_config_selectorIssN6thrust23THRUST_200600_302600_NS4plusIsEEEEZZNS1_33reduce_by_key_impl_wrapped_configILNS1_25lookback_scan_determinismE0ES3_S9_NS6_6detail15normal_iteratorINS6_10device_ptrIsEEEESG_SG_SG_PmS8_NS6_8equal_toIsEEEE10hipError_tPvRmT2_T3_mT4_T5_T6_T7_T8_P12ihipStream_tbENKUlT_T0_E_clISt17integral_constantIbLb0EES11_EEDaSW_SX_EUlSW_E_NS1_11comp_targetILNS1_3genE3ELNS1_11target_archE908ELNS1_3gpuE7ELNS1_3repE0EEENS1_30default_config_static_selectorELNS0_4arch9wavefront6targetE0EEEvT1_,"axG",@progbits,_ZN7rocprim17ROCPRIM_400000_NS6detail17trampoline_kernelINS0_14default_configENS1_29reduce_by_key_config_selectorIssN6thrust23THRUST_200600_302600_NS4plusIsEEEEZZNS1_33reduce_by_key_impl_wrapped_configILNS1_25lookback_scan_determinismE0ES3_S9_NS6_6detail15normal_iteratorINS6_10device_ptrIsEEEESG_SG_SG_PmS8_NS6_8equal_toIsEEEE10hipError_tPvRmT2_T3_mT4_T5_T6_T7_T8_P12ihipStream_tbENKUlT_T0_E_clISt17integral_constantIbLb0EES11_EEDaSW_SX_EUlSW_E_NS1_11comp_targetILNS1_3genE3ELNS1_11target_archE908ELNS1_3gpuE7ELNS1_3repE0EEENS1_30default_config_static_selectorELNS0_4arch9wavefront6targetE0EEEvT1_,comdat
	.protected	_ZN7rocprim17ROCPRIM_400000_NS6detail17trampoline_kernelINS0_14default_configENS1_29reduce_by_key_config_selectorIssN6thrust23THRUST_200600_302600_NS4plusIsEEEEZZNS1_33reduce_by_key_impl_wrapped_configILNS1_25lookback_scan_determinismE0ES3_S9_NS6_6detail15normal_iteratorINS6_10device_ptrIsEEEESG_SG_SG_PmS8_NS6_8equal_toIsEEEE10hipError_tPvRmT2_T3_mT4_T5_T6_T7_T8_P12ihipStream_tbENKUlT_T0_E_clISt17integral_constantIbLb0EES11_EEDaSW_SX_EUlSW_E_NS1_11comp_targetILNS1_3genE3ELNS1_11target_archE908ELNS1_3gpuE7ELNS1_3repE0EEENS1_30default_config_static_selectorELNS0_4arch9wavefront6targetE0EEEvT1_ ; -- Begin function _ZN7rocprim17ROCPRIM_400000_NS6detail17trampoline_kernelINS0_14default_configENS1_29reduce_by_key_config_selectorIssN6thrust23THRUST_200600_302600_NS4plusIsEEEEZZNS1_33reduce_by_key_impl_wrapped_configILNS1_25lookback_scan_determinismE0ES3_S9_NS6_6detail15normal_iteratorINS6_10device_ptrIsEEEESG_SG_SG_PmS8_NS6_8equal_toIsEEEE10hipError_tPvRmT2_T3_mT4_T5_T6_T7_T8_P12ihipStream_tbENKUlT_T0_E_clISt17integral_constantIbLb0EES11_EEDaSW_SX_EUlSW_E_NS1_11comp_targetILNS1_3genE3ELNS1_11target_archE908ELNS1_3gpuE7ELNS1_3repE0EEENS1_30default_config_static_selectorELNS0_4arch9wavefront6targetE0EEEvT1_
	.globl	_ZN7rocprim17ROCPRIM_400000_NS6detail17trampoline_kernelINS0_14default_configENS1_29reduce_by_key_config_selectorIssN6thrust23THRUST_200600_302600_NS4plusIsEEEEZZNS1_33reduce_by_key_impl_wrapped_configILNS1_25lookback_scan_determinismE0ES3_S9_NS6_6detail15normal_iteratorINS6_10device_ptrIsEEEESG_SG_SG_PmS8_NS6_8equal_toIsEEEE10hipError_tPvRmT2_T3_mT4_T5_T6_T7_T8_P12ihipStream_tbENKUlT_T0_E_clISt17integral_constantIbLb0EES11_EEDaSW_SX_EUlSW_E_NS1_11comp_targetILNS1_3genE3ELNS1_11target_archE908ELNS1_3gpuE7ELNS1_3repE0EEENS1_30default_config_static_selectorELNS0_4arch9wavefront6targetE0EEEvT1_
	.p2align	8
	.type	_ZN7rocprim17ROCPRIM_400000_NS6detail17trampoline_kernelINS0_14default_configENS1_29reduce_by_key_config_selectorIssN6thrust23THRUST_200600_302600_NS4plusIsEEEEZZNS1_33reduce_by_key_impl_wrapped_configILNS1_25lookback_scan_determinismE0ES3_S9_NS6_6detail15normal_iteratorINS6_10device_ptrIsEEEESG_SG_SG_PmS8_NS6_8equal_toIsEEEE10hipError_tPvRmT2_T3_mT4_T5_T6_T7_T8_P12ihipStream_tbENKUlT_T0_E_clISt17integral_constantIbLb0EES11_EEDaSW_SX_EUlSW_E_NS1_11comp_targetILNS1_3genE3ELNS1_11target_archE908ELNS1_3gpuE7ELNS1_3repE0EEENS1_30default_config_static_selectorELNS0_4arch9wavefront6targetE0EEEvT1_,@function
_ZN7rocprim17ROCPRIM_400000_NS6detail17trampoline_kernelINS0_14default_configENS1_29reduce_by_key_config_selectorIssN6thrust23THRUST_200600_302600_NS4plusIsEEEEZZNS1_33reduce_by_key_impl_wrapped_configILNS1_25lookback_scan_determinismE0ES3_S9_NS6_6detail15normal_iteratorINS6_10device_ptrIsEEEESG_SG_SG_PmS8_NS6_8equal_toIsEEEE10hipError_tPvRmT2_T3_mT4_T5_T6_T7_T8_P12ihipStream_tbENKUlT_T0_E_clISt17integral_constantIbLb0EES11_EEDaSW_SX_EUlSW_E_NS1_11comp_targetILNS1_3genE3ELNS1_11target_archE908ELNS1_3gpuE7ELNS1_3repE0EEENS1_30default_config_static_selectorELNS0_4arch9wavefront6targetE0EEEvT1_: ; @_ZN7rocprim17ROCPRIM_400000_NS6detail17trampoline_kernelINS0_14default_configENS1_29reduce_by_key_config_selectorIssN6thrust23THRUST_200600_302600_NS4plusIsEEEEZZNS1_33reduce_by_key_impl_wrapped_configILNS1_25lookback_scan_determinismE0ES3_S9_NS6_6detail15normal_iteratorINS6_10device_ptrIsEEEESG_SG_SG_PmS8_NS6_8equal_toIsEEEE10hipError_tPvRmT2_T3_mT4_T5_T6_T7_T8_P12ihipStream_tbENKUlT_T0_E_clISt17integral_constantIbLb0EES11_EEDaSW_SX_EUlSW_E_NS1_11comp_targetILNS1_3genE3ELNS1_11target_archE908ELNS1_3gpuE7ELNS1_3repE0EEENS1_30default_config_static_selectorELNS0_4arch9wavefront6targetE0EEEvT1_
; %bb.0:
	.section	.rodata,"a",@progbits
	.p2align	6, 0x0
	.amdhsa_kernel _ZN7rocprim17ROCPRIM_400000_NS6detail17trampoline_kernelINS0_14default_configENS1_29reduce_by_key_config_selectorIssN6thrust23THRUST_200600_302600_NS4plusIsEEEEZZNS1_33reduce_by_key_impl_wrapped_configILNS1_25lookback_scan_determinismE0ES3_S9_NS6_6detail15normal_iteratorINS6_10device_ptrIsEEEESG_SG_SG_PmS8_NS6_8equal_toIsEEEE10hipError_tPvRmT2_T3_mT4_T5_T6_T7_T8_P12ihipStream_tbENKUlT_T0_E_clISt17integral_constantIbLb0EES11_EEDaSW_SX_EUlSW_E_NS1_11comp_targetILNS1_3genE3ELNS1_11target_archE908ELNS1_3gpuE7ELNS1_3repE0EEENS1_30default_config_static_selectorELNS0_4arch9wavefront6targetE0EEEvT1_
		.amdhsa_group_segment_fixed_size 0
		.amdhsa_private_segment_fixed_size 0
		.amdhsa_kernarg_size 120
		.amdhsa_user_sgpr_count 15
		.amdhsa_user_sgpr_dispatch_ptr 0
		.amdhsa_user_sgpr_queue_ptr 0
		.amdhsa_user_sgpr_kernarg_segment_ptr 1
		.amdhsa_user_sgpr_dispatch_id 0
		.amdhsa_user_sgpr_private_segment_size 0
		.amdhsa_wavefront_size32 1
		.amdhsa_uses_dynamic_stack 0
		.amdhsa_enable_private_segment 0
		.amdhsa_system_sgpr_workgroup_id_x 1
		.amdhsa_system_sgpr_workgroup_id_y 0
		.amdhsa_system_sgpr_workgroup_id_z 0
		.amdhsa_system_sgpr_workgroup_info 0
		.amdhsa_system_vgpr_workitem_id 0
		.amdhsa_next_free_vgpr 1
		.amdhsa_next_free_sgpr 1
		.amdhsa_reserve_vcc 0
		.amdhsa_float_round_mode_32 0
		.amdhsa_float_round_mode_16_64 0
		.amdhsa_float_denorm_mode_32 3
		.amdhsa_float_denorm_mode_16_64 3
		.amdhsa_dx10_clamp 1
		.amdhsa_ieee_mode 1
		.amdhsa_fp16_overflow 0
		.amdhsa_workgroup_processor_mode 1
		.amdhsa_memory_ordered 1
		.amdhsa_forward_progress 0
		.amdhsa_shared_vgpr_count 0
		.amdhsa_exception_fp_ieee_invalid_op 0
		.amdhsa_exception_fp_denorm_src 0
		.amdhsa_exception_fp_ieee_div_zero 0
		.amdhsa_exception_fp_ieee_overflow 0
		.amdhsa_exception_fp_ieee_underflow 0
		.amdhsa_exception_fp_ieee_inexact 0
		.amdhsa_exception_int_div_zero 0
	.end_amdhsa_kernel
	.section	.text._ZN7rocprim17ROCPRIM_400000_NS6detail17trampoline_kernelINS0_14default_configENS1_29reduce_by_key_config_selectorIssN6thrust23THRUST_200600_302600_NS4plusIsEEEEZZNS1_33reduce_by_key_impl_wrapped_configILNS1_25lookback_scan_determinismE0ES3_S9_NS6_6detail15normal_iteratorINS6_10device_ptrIsEEEESG_SG_SG_PmS8_NS6_8equal_toIsEEEE10hipError_tPvRmT2_T3_mT4_T5_T6_T7_T8_P12ihipStream_tbENKUlT_T0_E_clISt17integral_constantIbLb0EES11_EEDaSW_SX_EUlSW_E_NS1_11comp_targetILNS1_3genE3ELNS1_11target_archE908ELNS1_3gpuE7ELNS1_3repE0EEENS1_30default_config_static_selectorELNS0_4arch9wavefront6targetE0EEEvT1_,"axG",@progbits,_ZN7rocprim17ROCPRIM_400000_NS6detail17trampoline_kernelINS0_14default_configENS1_29reduce_by_key_config_selectorIssN6thrust23THRUST_200600_302600_NS4plusIsEEEEZZNS1_33reduce_by_key_impl_wrapped_configILNS1_25lookback_scan_determinismE0ES3_S9_NS6_6detail15normal_iteratorINS6_10device_ptrIsEEEESG_SG_SG_PmS8_NS6_8equal_toIsEEEE10hipError_tPvRmT2_T3_mT4_T5_T6_T7_T8_P12ihipStream_tbENKUlT_T0_E_clISt17integral_constantIbLb0EES11_EEDaSW_SX_EUlSW_E_NS1_11comp_targetILNS1_3genE3ELNS1_11target_archE908ELNS1_3gpuE7ELNS1_3repE0EEENS1_30default_config_static_selectorELNS0_4arch9wavefront6targetE0EEEvT1_,comdat
.Lfunc_end625:
	.size	_ZN7rocprim17ROCPRIM_400000_NS6detail17trampoline_kernelINS0_14default_configENS1_29reduce_by_key_config_selectorIssN6thrust23THRUST_200600_302600_NS4plusIsEEEEZZNS1_33reduce_by_key_impl_wrapped_configILNS1_25lookback_scan_determinismE0ES3_S9_NS6_6detail15normal_iteratorINS6_10device_ptrIsEEEESG_SG_SG_PmS8_NS6_8equal_toIsEEEE10hipError_tPvRmT2_T3_mT4_T5_T6_T7_T8_P12ihipStream_tbENKUlT_T0_E_clISt17integral_constantIbLb0EES11_EEDaSW_SX_EUlSW_E_NS1_11comp_targetILNS1_3genE3ELNS1_11target_archE908ELNS1_3gpuE7ELNS1_3repE0EEENS1_30default_config_static_selectorELNS0_4arch9wavefront6targetE0EEEvT1_, .Lfunc_end625-_ZN7rocprim17ROCPRIM_400000_NS6detail17trampoline_kernelINS0_14default_configENS1_29reduce_by_key_config_selectorIssN6thrust23THRUST_200600_302600_NS4plusIsEEEEZZNS1_33reduce_by_key_impl_wrapped_configILNS1_25lookback_scan_determinismE0ES3_S9_NS6_6detail15normal_iteratorINS6_10device_ptrIsEEEESG_SG_SG_PmS8_NS6_8equal_toIsEEEE10hipError_tPvRmT2_T3_mT4_T5_T6_T7_T8_P12ihipStream_tbENKUlT_T0_E_clISt17integral_constantIbLb0EES11_EEDaSW_SX_EUlSW_E_NS1_11comp_targetILNS1_3genE3ELNS1_11target_archE908ELNS1_3gpuE7ELNS1_3repE0EEENS1_30default_config_static_selectorELNS0_4arch9wavefront6targetE0EEEvT1_
                                        ; -- End function
	.section	.AMDGPU.csdata,"",@progbits
; Kernel info:
; codeLenInByte = 0
; NumSgprs: 0
; NumVgprs: 0
; ScratchSize: 0
; MemoryBound: 0
; FloatMode: 240
; IeeeMode: 1
; LDSByteSize: 0 bytes/workgroup (compile time only)
; SGPRBlocks: 0
; VGPRBlocks: 0
; NumSGPRsForWavesPerEU: 1
; NumVGPRsForWavesPerEU: 1
; Occupancy: 16
; WaveLimiterHint : 0
; COMPUTE_PGM_RSRC2:SCRATCH_EN: 0
; COMPUTE_PGM_RSRC2:USER_SGPR: 15
; COMPUTE_PGM_RSRC2:TRAP_HANDLER: 0
; COMPUTE_PGM_RSRC2:TGID_X_EN: 1
; COMPUTE_PGM_RSRC2:TGID_Y_EN: 0
; COMPUTE_PGM_RSRC2:TGID_Z_EN: 0
; COMPUTE_PGM_RSRC2:TIDIG_COMP_CNT: 0
	.section	.text._ZN7rocprim17ROCPRIM_400000_NS6detail17trampoline_kernelINS0_14default_configENS1_29reduce_by_key_config_selectorIssN6thrust23THRUST_200600_302600_NS4plusIsEEEEZZNS1_33reduce_by_key_impl_wrapped_configILNS1_25lookback_scan_determinismE0ES3_S9_NS6_6detail15normal_iteratorINS6_10device_ptrIsEEEESG_SG_SG_PmS8_NS6_8equal_toIsEEEE10hipError_tPvRmT2_T3_mT4_T5_T6_T7_T8_P12ihipStream_tbENKUlT_T0_E_clISt17integral_constantIbLb0EES11_EEDaSW_SX_EUlSW_E_NS1_11comp_targetILNS1_3genE2ELNS1_11target_archE906ELNS1_3gpuE6ELNS1_3repE0EEENS1_30default_config_static_selectorELNS0_4arch9wavefront6targetE0EEEvT1_,"axG",@progbits,_ZN7rocprim17ROCPRIM_400000_NS6detail17trampoline_kernelINS0_14default_configENS1_29reduce_by_key_config_selectorIssN6thrust23THRUST_200600_302600_NS4plusIsEEEEZZNS1_33reduce_by_key_impl_wrapped_configILNS1_25lookback_scan_determinismE0ES3_S9_NS6_6detail15normal_iteratorINS6_10device_ptrIsEEEESG_SG_SG_PmS8_NS6_8equal_toIsEEEE10hipError_tPvRmT2_T3_mT4_T5_T6_T7_T8_P12ihipStream_tbENKUlT_T0_E_clISt17integral_constantIbLb0EES11_EEDaSW_SX_EUlSW_E_NS1_11comp_targetILNS1_3genE2ELNS1_11target_archE906ELNS1_3gpuE6ELNS1_3repE0EEENS1_30default_config_static_selectorELNS0_4arch9wavefront6targetE0EEEvT1_,comdat
	.protected	_ZN7rocprim17ROCPRIM_400000_NS6detail17trampoline_kernelINS0_14default_configENS1_29reduce_by_key_config_selectorIssN6thrust23THRUST_200600_302600_NS4plusIsEEEEZZNS1_33reduce_by_key_impl_wrapped_configILNS1_25lookback_scan_determinismE0ES3_S9_NS6_6detail15normal_iteratorINS6_10device_ptrIsEEEESG_SG_SG_PmS8_NS6_8equal_toIsEEEE10hipError_tPvRmT2_T3_mT4_T5_T6_T7_T8_P12ihipStream_tbENKUlT_T0_E_clISt17integral_constantIbLb0EES11_EEDaSW_SX_EUlSW_E_NS1_11comp_targetILNS1_3genE2ELNS1_11target_archE906ELNS1_3gpuE6ELNS1_3repE0EEENS1_30default_config_static_selectorELNS0_4arch9wavefront6targetE0EEEvT1_ ; -- Begin function _ZN7rocprim17ROCPRIM_400000_NS6detail17trampoline_kernelINS0_14default_configENS1_29reduce_by_key_config_selectorIssN6thrust23THRUST_200600_302600_NS4plusIsEEEEZZNS1_33reduce_by_key_impl_wrapped_configILNS1_25lookback_scan_determinismE0ES3_S9_NS6_6detail15normal_iteratorINS6_10device_ptrIsEEEESG_SG_SG_PmS8_NS6_8equal_toIsEEEE10hipError_tPvRmT2_T3_mT4_T5_T6_T7_T8_P12ihipStream_tbENKUlT_T0_E_clISt17integral_constantIbLb0EES11_EEDaSW_SX_EUlSW_E_NS1_11comp_targetILNS1_3genE2ELNS1_11target_archE906ELNS1_3gpuE6ELNS1_3repE0EEENS1_30default_config_static_selectorELNS0_4arch9wavefront6targetE0EEEvT1_
	.globl	_ZN7rocprim17ROCPRIM_400000_NS6detail17trampoline_kernelINS0_14default_configENS1_29reduce_by_key_config_selectorIssN6thrust23THRUST_200600_302600_NS4plusIsEEEEZZNS1_33reduce_by_key_impl_wrapped_configILNS1_25lookback_scan_determinismE0ES3_S9_NS6_6detail15normal_iteratorINS6_10device_ptrIsEEEESG_SG_SG_PmS8_NS6_8equal_toIsEEEE10hipError_tPvRmT2_T3_mT4_T5_T6_T7_T8_P12ihipStream_tbENKUlT_T0_E_clISt17integral_constantIbLb0EES11_EEDaSW_SX_EUlSW_E_NS1_11comp_targetILNS1_3genE2ELNS1_11target_archE906ELNS1_3gpuE6ELNS1_3repE0EEENS1_30default_config_static_selectorELNS0_4arch9wavefront6targetE0EEEvT1_
	.p2align	8
	.type	_ZN7rocprim17ROCPRIM_400000_NS6detail17trampoline_kernelINS0_14default_configENS1_29reduce_by_key_config_selectorIssN6thrust23THRUST_200600_302600_NS4plusIsEEEEZZNS1_33reduce_by_key_impl_wrapped_configILNS1_25lookback_scan_determinismE0ES3_S9_NS6_6detail15normal_iteratorINS6_10device_ptrIsEEEESG_SG_SG_PmS8_NS6_8equal_toIsEEEE10hipError_tPvRmT2_T3_mT4_T5_T6_T7_T8_P12ihipStream_tbENKUlT_T0_E_clISt17integral_constantIbLb0EES11_EEDaSW_SX_EUlSW_E_NS1_11comp_targetILNS1_3genE2ELNS1_11target_archE906ELNS1_3gpuE6ELNS1_3repE0EEENS1_30default_config_static_selectorELNS0_4arch9wavefront6targetE0EEEvT1_,@function
_ZN7rocprim17ROCPRIM_400000_NS6detail17trampoline_kernelINS0_14default_configENS1_29reduce_by_key_config_selectorIssN6thrust23THRUST_200600_302600_NS4plusIsEEEEZZNS1_33reduce_by_key_impl_wrapped_configILNS1_25lookback_scan_determinismE0ES3_S9_NS6_6detail15normal_iteratorINS6_10device_ptrIsEEEESG_SG_SG_PmS8_NS6_8equal_toIsEEEE10hipError_tPvRmT2_T3_mT4_T5_T6_T7_T8_P12ihipStream_tbENKUlT_T0_E_clISt17integral_constantIbLb0EES11_EEDaSW_SX_EUlSW_E_NS1_11comp_targetILNS1_3genE2ELNS1_11target_archE906ELNS1_3gpuE6ELNS1_3repE0EEENS1_30default_config_static_selectorELNS0_4arch9wavefront6targetE0EEEvT1_: ; @_ZN7rocprim17ROCPRIM_400000_NS6detail17trampoline_kernelINS0_14default_configENS1_29reduce_by_key_config_selectorIssN6thrust23THRUST_200600_302600_NS4plusIsEEEEZZNS1_33reduce_by_key_impl_wrapped_configILNS1_25lookback_scan_determinismE0ES3_S9_NS6_6detail15normal_iteratorINS6_10device_ptrIsEEEESG_SG_SG_PmS8_NS6_8equal_toIsEEEE10hipError_tPvRmT2_T3_mT4_T5_T6_T7_T8_P12ihipStream_tbENKUlT_T0_E_clISt17integral_constantIbLb0EES11_EEDaSW_SX_EUlSW_E_NS1_11comp_targetILNS1_3genE2ELNS1_11target_archE906ELNS1_3gpuE6ELNS1_3repE0EEENS1_30default_config_static_selectorELNS0_4arch9wavefront6targetE0EEEvT1_
; %bb.0:
	.section	.rodata,"a",@progbits
	.p2align	6, 0x0
	.amdhsa_kernel _ZN7rocprim17ROCPRIM_400000_NS6detail17trampoline_kernelINS0_14default_configENS1_29reduce_by_key_config_selectorIssN6thrust23THRUST_200600_302600_NS4plusIsEEEEZZNS1_33reduce_by_key_impl_wrapped_configILNS1_25lookback_scan_determinismE0ES3_S9_NS6_6detail15normal_iteratorINS6_10device_ptrIsEEEESG_SG_SG_PmS8_NS6_8equal_toIsEEEE10hipError_tPvRmT2_T3_mT4_T5_T6_T7_T8_P12ihipStream_tbENKUlT_T0_E_clISt17integral_constantIbLb0EES11_EEDaSW_SX_EUlSW_E_NS1_11comp_targetILNS1_3genE2ELNS1_11target_archE906ELNS1_3gpuE6ELNS1_3repE0EEENS1_30default_config_static_selectorELNS0_4arch9wavefront6targetE0EEEvT1_
		.amdhsa_group_segment_fixed_size 0
		.amdhsa_private_segment_fixed_size 0
		.amdhsa_kernarg_size 120
		.amdhsa_user_sgpr_count 15
		.amdhsa_user_sgpr_dispatch_ptr 0
		.amdhsa_user_sgpr_queue_ptr 0
		.amdhsa_user_sgpr_kernarg_segment_ptr 1
		.amdhsa_user_sgpr_dispatch_id 0
		.amdhsa_user_sgpr_private_segment_size 0
		.amdhsa_wavefront_size32 1
		.amdhsa_uses_dynamic_stack 0
		.amdhsa_enable_private_segment 0
		.amdhsa_system_sgpr_workgroup_id_x 1
		.amdhsa_system_sgpr_workgroup_id_y 0
		.amdhsa_system_sgpr_workgroup_id_z 0
		.amdhsa_system_sgpr_workgroup_info 0
		.amdhsa_system_vgpr_workitem_id 0
		.amdhsa_next_free_vgpr 1
		.amdhsa_next_free_sgpr 1
		.amdhsa_reserve_vcc 0
		.amdhsa_float_round_mode_32 0
		.amdhsa_float_round_mode_16_64 0
		.amdhsa_float_denorm_mode_32 3
		.amdhsa_float_denorm_mode_16_64 3
		.amdhsa_dx10_clamp 1
		.amdhsa_ieee_mode 1
		.amdhsa_fp16_overflow 0
		.amdhsa_workgroup_processor_mode 1
		.amdhsa_memory_ordered 1
		.amdhsa_forward_progress 0
		.amdhsa_shared_vgpr_count 0
		.amdhsa_exception_fp_ieee_invalid_op 0
		.amdhsa_exception_fp_denorm_src 0
		.amdhsa_exception_fp_ieee_div_zero 0
		.amdhsa_exception_fp_ieee_overflow 0
		.amdhsa_exception_fp_ieee_underflow 0
		.amdhsa_exception_fp_ieee_inexact 0
		.amdhsa_exception_int_div_zero 0
	.end_amdhsa_kernel
	.section	.text._ZN7rocprim17ROCPRIM_400000_NS6detail17trampoline_kernelINS0_14default_configENS1_29reduce_by_key_config_selectorIssN6thrust23THRUST_200600_302600_NS4plusIsEEEEZZNS1_33reduce_by_key_impl_wrapped_configILNS1_25lookback_scan_determinismE0ES3_S9_NS6_6detail15normal_iteratorINS6_10device_ptrIsEEEESG_SG_SG_PmS8_NS6_8equal_toIsEEEE10hipError_tPvRmT2_T3_mT4_T5_T6_T7_T8_P12ihipStream_tbENKUlT_T0_E_clISt17integral_constantIbLb0EES11_EEDaSW_SX_EUlSW_E_NS1_11comp_targetILNS1_3genE2ELNS1_11target_archE906ELNS1_3gpuE6ELNS1_3repE0EEENS1_30default_config_static_selectorELNS0_4arch9wavefront6targetE0EEEvT1_,"axG",@progbits,_ZN7rocprim17ROCPRIM_400000_NS6detail17trampoline_kernelINS0_14default_configENS1_29reduce_by_key_config_selectorIssN6thrust23THRUST_200600_302600_NS4plusIsEEEEZZNS1_33reduce_by_key_impl_wrapped_configILNS1_25lookback_scan_determinismE0ES3_S9_NS6_6detail15normal_iteratorINS6_10device_ptrIsEEEESG_SG_SG_PmS8_NS6_8equal_toIsEEEE10hipError_tPvRmT2_T3_mT4_T5_T6_T7_T8_P12ihipStream_tbENKUlT_T0_E_clISt17integral_constantIbLb0EES11_EEDaSW_SX_EUlSW_E_NS1_11comp_targetILNS1_3genE2ELNS1_11target_archE906ELNS1_3gpuE6ELNS1_3repE0EEENS1_30default_config_static_selectorELNS0_4arch9wavefront6targetE0EEEvT1_,comdat
.Lfunc_end626:
	.size	_ZN7rocprim17ROCPRIM_400000_NS6detail17trampoline_kernelINS0_14default_configENS1_29reduce_by_key_config_selectorIssN6thrust23THRUST_200600_302600_NS4plusIsEEEEZZNS1_33reduce_by_key_impl_wrapped_configILNS1_25lookback_scan_determinismE0ES3_S9_NS6_6detail15normal_iteratorINS6_10device_ptrIsEEEESG_SG_SG_PmS8_NS6_8equal_toIsEEEE10hipError_tPvRmT2_T3_mT4_T5_T6_T7_T8_P12ihipStream_tbENKUlT_T0_E_clISt17integral_constantIbLb0EES11_EEDaSW_SX_EUlSW_E_NS1_11comp_targetILNS1_3genE2ELNS1_11target_archE906ELNS1_3gpuE6ELNS1_3repE0EEENS1_30default_config_static_selectorELNS0_4arch9wavefront6targetE0EEEvT1_, .Lfunc_end626-_ZN7rocprim17ROCPRIM_400000_NS6detail17trampoline_kernelINS0_14default_configENS1_29reduce_by_key_config_selectorIssN6thrust23THRUST_200600_302600_NS4plusIsEEEEZZNS1_33reduce_by_key_impl_wrapped_configILNS1_25lookback_scan_determinismE0ES3_S9_NS6_6detail15normal_iteratorINS6_10device_ptrIsEEEESG_SG_SG_PmS8_NS6_8equal_toIsEEEE10hipError_tPvRmT2_T3_mT4_T5_T6_T7_T8_P12ihipStream_tbENKUlT_T0_E_clISt17integral_constantIbLb0EES11_EEDaSW_SX_EUlSW_E_NS1_11comp_targetILNS1_3genE2ELNS1_11target_archE906ELNS1_3gpuE6ELNS1_3repE0EEENS1_30default_config_static_selectorELNS0_4arch9wavefront6targetE0EEEvT1_
                                        ; -- End function
	.section	.AMDGPU.csdata,"",@progbits
; Kernel info:
; codeLenInByte = 0
; NumSgprs: 0
; NumVgprs: 0
; ScratchSize: 0
; MemoryBound: 0
; FloatMode: 240
; IeeeMode: 1
; LDSByteSize: 0 bytes/workgroup (compile time only)
; SGPRBlocks: 0
; VGPRBlocks: 0
; NumSGPRsForWavesPerEU: 1
; NumVGPRsForWavesPerEU: 1
; Occupancy: 16
; WaveLimiterHint : 0
; COMPUTE_PGM_RSRC2:SCRATCH_EN: 0
; COMPUTE_PGM_RSRC2:USER_SGPR: 15
; COMPUTE_PGM_RSRC2:TRAP_HANDLER: 0
; COMPUTE_PGM_RSRC2:TGID_X_EN: 1
; COMPUTE_PGM_RSRC2:TGID_Y_EN: 0
; COMPUTE_PGM_RSRC2:TGID_Z_EN: 0
; COMPUTE_PGM_RSRC2:TIDIG_COMP_CNT: 0
	.section	.text._ZN7rocprim17ROCPRIM_400000_NS6detail17trampoline_kernelINS0_14default_configENS1_29reduce_by_key_config_selectorIssN6thrust23THRUST_200600_302600_NS4plusIsEEEEZZNS1_33reduce_by_key_impl_wrapped_configILNS1_25lookback_scan_determinismE0ES3_S9_NS6_6detail15normal_iteratorINS6_10device_ptrIsEEEESG_SG_SG_PmS8_NS6_8equal_toIsEEEE10hipError_tPvRmT2_T3_mT4_T5_T6_T7_T8_P12ihipStream_tbENKUlT_T0_E_clISt17integral_constantIbLb0EES11_EEDaSW_SX_EUlSW_E_NS1_11comp_targetILNS1_3genE10ELNS1_11target_archE1201ELNS1_3gpuE5ELNS1_3repE0EEENS1_30default_config_static_selectorELNS0_4arch9wavefront6targetE0EEEvT1_,"axG",@progbits,_ZN7rocprim17ROCPRIM_400000_NS6detail17trampoline_kernelINS0_14default_configENS1_29reduce_by_key_config_selectorIssN6thrust23THRUST_200600_302600_NS4plusIsEEEEZZNS1_33reduce_by_key_impl_wrapped_configILNS1_25lookback_scan_determinismE0ES3_S9_NS6_6detail15normal_iteratorINS6_10device_ptrIsEEEESG_SG_SG_PmS8_NS6_8equal_toIsEEEE10hipError_tPvRmT2_T3_mT4_T5_T6_T7_T8_P12ihipStream_tbENKUlT_T0_E_clISt17integral_constantIbLb0EES11_EEDaSW_SX_EUlSW_E_NS1_11comp_targetILNS1_3genE10ELNS1_11target_archE1201ELNS1_3gpuE5ELNS1_3repE0EEENS1_30default_config_static_selectorELNS0_4arch9wavefront6targetE0EEEvT1_,comdat
	.protected	_ZN7rocprim17ROCPRIM_400000_NS6detail17trampoline_kernelINS0_14default_configENS1_29reduce_by_key_config_selectorIssN6thrust23THRUST_200600_302600_NS4plusIsEEEEZZNS1_33reduce_by_key_impl_wrapped_configILNS1_25lookback_scan_determinismE0ES3_S9_NS6_6detail15normal_iteratorINS6_10device_ptrIsEEEESG_SG_SG_PmS8_NS6_8equal_toIsEEEE10hipError_tPvRmT2_T3_mT4_T5_T6_T7_T8_P12ihipStream_tbENKUlT_T0_E_clISt17integral_constantIbLb0EES11_EEDaSW_SX_EUlSW_E_NS1_11comp_targetILNS1_3genE10ELNS1_11target_archE1201ELNS1_3gpuE5ELNS1_3repE0EEENS1_30default_config_static_selectorELNS0_4arch9wavefront6targetE0EEEvT1_ ; -- Begin function _ZN7rocprim17ROCPRIM_400000_NS6detail17trampoline_kernelINS0_14default_configENS1_29reduce_by_key_config_selectorIssN6thrust23THRUST_200600_302600_NS4plusIsEEEEZZNS1_33reduce_by_key_impl_wrapped_configILNS1_25lookback_scan_determinismE0ES3_S9_NS6_6detail15normal_iteratorINS6_10device_ptrIsEEEESG_SG_SG_PmS8_NS6_8equal_toIsEEEE10hipError_tPvRmT2_T3_mT4_T5_T6_T7_T8_P12ihipStream_tbENKUlT_T0_E_clISt17integral_constantIbLb0EES11_EEDaSW_SX_EUlSW_E_NS1_11comp_targetILNS1_3genE10ELNS1_11target_archE1201ELNS1_3gpuE5ELNS1_3repE0EEENS1_30default_config_static_selectorELNS0_4arch9wavefront6targetE0EEEvT1_
	.globl	_ZN7rocprim17ROCPRIM_400000_NS6detail17trampoline_kernelINS0_14default_configENS1_29reduce_by_key_config_selectorIssN6thrust23THRUST_200600_302600_NS4plusIsEEEEZZNS1_33reduce_by_key_impl_wrapped_configILNS1_25lookback_scan_determinismE0ES3_S9_NS6_6detail15normal_iteratorINS6_10device_ptrIsEEEESG_SG_SG_PmS8_NS6_8equal_toIsEEEE10hipError_tPvRmT2_T3_mT4_T5_T6_T7_T8_P12ihipStream_tbENKUlT_T0_E_clISt17integral_constantIbLb0EES11_EEDaSW_SX_EUlSW_E_NS1_11comp_targetILNS1_3genE10ELNS1_11target_archE1201ELNS1_3gpuE5ELNS1_3repE0EEENS1_30default_config_static_selectorELNS0_4arch9wavefront6targetE0EEEvT1_
	.p2align	8
	.type	_ZN7rocprim17ROCPRIM_400000_NS6detail17trampoline_kernelINS0_14default_configENS1_29reduce_by_key_config_selectorIssN6thrust23THRUST_200600_302600_NS4plusIsEEEEZZNS1_33reduce_by_key_impl_wrapped_configILNS1_25lookback_scan_determinismE0ES3_S9_NS6_6detail15normal_iteratorINS6_10device_ptrIsEEEESG_SG_SG_PmS8_NS6_8equal_toIsEEEE10hipError_tPvRmT2_T3_mT4_T5_T6_T7_T8_P12ihipStream_tbENKUlT_T0_E_clISt17integral_constantIbLb0EES11_EEDaSW_SX_EUlSW_E_NS1_11comp_targetILNS1_3genE10ELNS1_11target_archE1201ELNS1_3gpuE5ELNS1_3repE0EEENS1_30default_config_static_selectorELNS0_4arch9wavefront6targetE0EEEvT1_,@function
_ZN7rocprim17ROCPRIM_400000_NS6detail17trampoline_kernelINS0_14default_configENS1_29reduce_by_key_config_selectorIssN6thrust23THRUST_200600_302600_NS4plusIsEEEEZZNS1_33reduce_by_key_impl_wrapped_configILNS1_25lookback_scan_determinismE0ES3_S9_NS6_6detail15normal_iteratorINS6_10device_ptrIsEEEESG_SG_SG_PmS8_NS6_8equal_toIsEEEE10hipError_tPvRmT2_T3_mT4_T5_T6_T7_T8_P12ihipStream_tbENKUlT_T0_E_clISt17integral_constantIbLb0EES11_EEDaSW_SX_EUlSW_E_NS1_11comp_targetILNS1_3genE10ELNS1_11target_archE1201ELNS1_3gpuE5ELNS1_3repE0EEENS1_30default_config_static_selectorELNS0_4arch9wavefront6targetE0EEEvT1_: ; @_ZN7rocprim17ROCPRIM_400000_NS6detail17trampoline_kernelINS0_14default_configENS1_29reduce_by_key_config_selectorIssN6thrust23THRUST_200600_302600_NS4plusIsEEEEZZNS1_33reduce_by_key_impl_wrapped_configILNS1_25lookback_scan_determinismE0ES3_S9_NS6_6detail15normal_iteratorINS6_10device_ptrIsEEEESG_SG_SG_PmS8_NS6_8equal_toIsEEEE10hipError_tPvRmT2_T3_mT4_T5_T6_T7_T8_P12ihipStream_tbENKUlT_T0_E_clISt17integral_constantIbLb0EES11_EEDaSW_SX_EUlSW_E_NS1_11comp_targetILNS1_3genE10ELNS1_11target_archE1201ELNS1_3gpuE5ELNS1_3repE0EEENS1_30default_config_static_selectorELNS0_4arch9wavefront6targetE0EEEvT1_
; %bb.0:
	.section	.rodata,"a",@progbits
	.p2align	6, 0x0
	.amdhsa_kernel _ZN7rocprim17ROCPRIM_400000_NS6detail17trampoline_kernelINS0_14default_configENS1_29reduce_by_key_config_selectorIssN6thrust23THRUST_200600_302600_NS4plusIsEEEEZZNS1_33reduce_by_key_impl_wrapped_configILNS1_25lookback_scan_determinismE0ES3_S9_NS6_6detail15normal_iteratorINS6_10device_ptrIsEEEESG_SG_SG_PmS8_NS6_8equal_toIsEEEE10hipError_tPvRmT2_T3_mT4_T5_T6_T7_T8_P12ihipStream_tbENKUlT_T0_E_clISt17integral_constantIbLb0EES11_EEDaSW_SX_EUlSW_E_NS1_11comp_targetILNS1_3genE10ELNS1_11target_archE1201ELNS1_3gpuE5ELNS1_3repE0EEENS1_30default_config_static_selectorELNS0_4arch9wavefront6targetE0EEEvT1_
		.amdhsa_group_segment_fixed_size 0
		.amdhsa_private_segment_fixed_size 0
		.amdhsa_kernarg_size 120
		.amdhsa_user_sgpr_count 15
		.amdhsa_user_sgpr_dispatch_ptr 0
		.amdhsa_user_sgpr_queue_ptr 0
		.amdhsa_user_sgpr_kernarg_segment_ptr 1
		.amdhsa_user_sgpr_dispatch_id 0
		.amdhsa_user_sgpr_private_segment_size 0
		.amdhsa_wavefront_size32 1
		.amdhsa_uses_dynamic_stack 0
		.amdhsa_enable_private_segment 0
		.amdhsa_system_sgpr_workgroup_id_x 1
		.amdhsa_system_sgpr_workgroup_id_y 0
		.amdhsa_system_sgpr_workgroup_id_z 0
		.amdhsa_system_sgpr_workgroup_info 0
		.amdhsa_system_vgpr_workitem_id 0
		.amdhsa_next_free_vgpr 1
		.amdhsa_next_free_sgpr 1
		.amdhsa_reserve_vcc 0
		.amdhsa_float_round_mode_32 0
		.amdhsa_float_round_mode_16_64 0
		.amdhsa_float_denorm_mode_32 3
		.amdhsa_float_denorm_mode_16_64 3
		.amdhsa_dx10_clamp 1
		.amdhsa_ieee_mode 1
		.amdhsa_fp16_overflow 0
		.amdhsa_workgroup_processor_mode 1
		.amdhsa_memory_ordered 1
		.amdhsa_forward_progress 0
		.amdhsa_shared_vgpr_count 0
		.amdhsa_exception_fp_ieee_invalid_op 0
		.amdhsa_exception_fp_denorm_src 0
		.amdhsa_exception_fp_ieee_div_zero 0
		.amdhsa_exception_fp_ieee_overflow 0
		.amdhsa_exception_fp_ieee_underflow 0
		.amdhsa_exception_fp_ieee_inexact 0
		.amdhsa_exception_int_div_zero 0
	.end_amdhsa_kernel
	.section	.text._ZN7rocprim17ROCPRIM_400000_NS6detail17trampoline_kernelINS0_14default_configENS1_29reduce_by_key_config_selectorIssN6thrust23THRUST_200600_302600_NS4plusIsEEEEZZNS1_33reduce_by_key_impl_wrapped_configILNS1_25lookback_scan_determinismE0ES3_S9_NS6_6detail15normal_iteratorINS6_10device_ptrIsEEEESG_SG_SG_PmS8_NS6_8equal_toIsEEEE10hipError_tPvRmT2_T3_mT4_T5_T6_T7_T8_P12ihipStream_tbENKUlT_T0_E_clISt17integral_constantIbLb0EES11_EEDaSW_SX_EUlSW_E_NS1_11comp_targetILNS1_3genE10ELNS1_11target_archE1201ELNS1_3gpuE5ELNS1_3repE0EEENS1_30default_config_static_selectorELNS0_4arch9wavefront6targetE0EEEvT1_,"axG",@progbits,_ZN7rocprim17ROCPRIM_400000_NS6detail17trampoline_kernelINS0_14default_configENS1_29reduce_by_key_config_selectorIssN6thrust23THRUST_200600_302600_NS4plusIsEEEEZZNS1_33reduce_by_key_impl_wrapped_configILNS1_25lookback_scan_determinismE0ES3_S9_NS6_6detail15normal_iteratorINS6_10device_ptrIsEEEESG_SG_SG_PmS8_NS6_8equal_toIsEEEE10hipError_tPvRmT2_T3_mT4_T5_T6_T7_T8_P12ihipStream_tbENKUlT_T0_E_clISt17integral_constantIbLb0EES11_EEDaSW_SX_EUlSW_E_NS1_11comp_targetILNS1_3genE10ELNS1_11target_archE1201ELNS1_3gpuE5ELNS1_3repE0EEENS1_30default_config_static_selectorELNS0_4arch9wavefront6targetE0EEEvT1_,comdat
.Lfunc_end627:
	.size	_ZN7rocprim17ROCPRIM_400000_NS6detail17trampoline_kernelINS0_14default_configENS1_29reduce_by_key_config_selectorIssN6thrust23THRUST_200600_302600_NS4plusIsEEEEZZNS1_33reduce_by_key_impl_wrapped_configILNS1_25lookback_scan_determinismE0ES3_S9_NS6_6detail15normal_iteratorINS6_10device_ptrIsEEEESG_SG_SG_PmS8_NS6_8equal_toIsEEEE10hipError_tPvRmT2_T3_mT4_T5_T6_T7_T8_P12ihipStream_tbENKUlT_T0_E_clISt17integral_constantIbLb0EES11_EEDaSW_SX_EUlSW_E_NS1_11comp_targetILNS1_3genE10ELNS1_11target_archE1201ELNS1_3gpuE5ELNS1_3repE0EEENS1_30default_config_static_selectorELNS0_4arch9wavefront6targetE0EEEvT1_, .Lfunc_end627-_ZN7rocprim17ROCPRIM_400000_NS6detail17trampoline_kernelINS0_14default_configENS1_29reduce_by_key_config_selectorIssN6thrust23THRUST_200600_302600_NS4plusIsEEEEZZNS1_33reduce_by_key_impl_wrapped_configILNS1_25lookback_scan_determinismE0ES3_S9_NS6_6detail15normal_iteratorINS6_10device_ptrIsEEEESG_SG_SG_PmS8_NS6_8equal_toIsEEEE10hipError_tPvRmT2_T3_mT4_T5_T6_T7_T8_P12ihipStream_tbENKUlT_T0_E_clISt17integral_constantIbLb0EES11_EEDaSW_SX_EUlSW_E_NS1_11comp_targetILNS1_3genE10ELNS1_11target_archE1201ELNS1_3gpuE5ELNS1_3repE0EEENS1_30default_config_static_selectorELNS0_4arch9wavefront6targetE0EEEvT1_
                                        ; -- End function
	.section	.AMDGPU.csdata,"",@progbits
; Kernel info:
; codeLenInByte = 0
; NumSgprs: 0
; NumVgprs: 0
; ScratchSize: 0
; MemoryBound: 0
; FloatMode: 240
; IeeeMode: 1
; LDSByteSize: 0 bytes/workgroup (compile time only)
; SGPRBlocks: 0
; VGPRBlocks: 0
; NumSGPRsForWavesPerEU: 1
; NumVGPRsForWavesPerEU: 1
; Occupancy: 16
; WaveLimiterHint : 0
; COMPUTE_PGM_RSRC2:SCRATCH_EN: 0
; COMPUTE_PGM_RSRC2:USER_SGPR: 15
; COMPUTE_PGM_RSRC2:TRAP_HANDLER: 0
; COMPUTE_PGM_RSRC2:TGID_X_EN: 1
; COMPUTE_PGM_RSRC2:TGID_Y_EN: 0
; COMPUTE_PGM_RSRC2:TGID_Z_EN: 0
; COMPUTE_PGM_RSRC2:TIDIG_COMP_CNT: 0
	.section	.text._ZN7rocprim17ROCPRIM_400000_NS6detail17trampoline_kernelINS0_14default_configENS1_29reduce_by_key_config_selectorIssN6thrust23THRUST_200600_302600_NS4plusIsEEEEZZNS1_33reduce_by_key_impl_wrapped_configILNS1_25lookback_scan_determinismE0ES3_S9_NS6_6detail15normal_iteratorINS6_10device_ptrIsEEEESG_SG_SG_PmS8_NS6_8equal_toIsEEEE10hipError_tPvRmT2_T3_mT4_T5_T6_T7_T8_P12ihipStream_tbENKUlT_T0_E_clISt17integral_constantIbLb0EES11_EEDaSW_SX_EUlSW_E_NS1_11comp_targetILNS1_3genE10ELNS1_11target_archE1200ELNS1_3gpuE4ELNS1_3repE0EEENS1_30default_config_static_selectorELNS0_4arch9wavefront6targetE0EEEvT1_,"axG",@progbits,_ZN7rocprim17ROCPRIM_400000_NS6detail17trampoline_kernelINS0_14default_configENS1_29reduce_by_key_config_selectorIssN6thrust23THRUST_200600_302600_NS4plusIsEEEEZZNS1_33reduce_by_key_impl_wrapped_configILNS1_25lookback_scan_determinismE0ES3_S9_NS6_6detail15normal_iteratorINS6_10device_ptrIsEEEESG_SG_SG_PmS8_NS6_8equal_toIsEEEE10hipError_tPvRmT2_T3_mT4_T5_T6_T7_T8_P12ihipStream_tbENKUlT_T0_E_clISt17integral_constantIbLb0EES11_EEDaSW_SX_EUlSW_E_NS1_11comp_targetILNS1_3genE10ELNS1_11target_archE1200ELNS1_3gpuE4ELNS1_3repE0EEENS1_30default_config_static_selectorELNS0_4arch9wavefront6targetE0EEEvT1_,comdat
	.protected	_ZN7rocprim17ROCPRIM_400000_NS6detail17trampoline_kernelINS0_14default_configENS1_29reduce_by_key_config_selectorIssN6thrust23THRUST_200600_302600_NS4plusIsEEEEZZNS1_33reduce_by_key_impl_wrapped_configILNS1_25lookback_scan_determinismE0ES3_S9_NS6_6detail15normal_iteratorINS6_10device_ptrIsEEEESG_SG_SG_PmS8_NS6_8equal_toIsEEEE10hipError_tPvRmT2_T3_mT4_T5_T6_T7_T8_P12ihipStream_tbENKUlT_T0_E_clISt17integral_constantIbLb0EES11_EEDaSW_SX_EUlSW_E_NS1_11comp_targetILNS1_3genE10ELNS1_11target_archE1200ELNS1_3gpuE4ELNS1_3repE0EEENS1_30default_config_static_selectorELNS0_4arch9wavefront6targetE0EEEvT1_ ; -- Begin function _ZN7rocprim17ROCPRIM_400000_NS6detail17trampoline_kernelINS0_14default_configENS1_29reduce_by_key_config_selectorIssN6thrust23THRUST_200600_302600_NS4plusIsEEEEZZNS1_33reduce_by_key_impl_wrapped_configILNS1_25lookback_scan_determinismE0ES3_S9_NS6_6detail15normal_iteratorINS6_10device_ptrIsEEEESG_SG_SG_PmS8_NS6_8equal_toIsEEEE10hipError_tPvRmT2_T3_mT4_T5_T6_T7_T8_P12ihipStream_tbENKUlT_T0_E_clISt17integral_constantIbLb0EES11_EEDaSW_SX_EUlSW_E_NS1_11comp_targetILNS1_3genE10ELNS1_11target_archE1200ELNS1_3gpuE4ELNS1_3repE0EEENS1_30default_config_static_selectorELNS0_4arch9wavefront6targetE0EEEvT1_
	.globl	_ZN7rocprim17ROCPRIM_400000_NS6detail17trampoline_kernelINS0_14default_configENS1_29reduce_by_key_config_selectorIssN6thrust23THRUST_200600_302600_NS4plusIsEEEEZZNS1_33reduce_by_key_impl_wrapped_configILNS1_25lookback_scan_determinismE0ES3_S9_NS6_6detail15normal_iteratorINS6_10device_ptrIsEEEESG_SG_SG_PmS8_NS6_8equal_toIsEEEE10hipError_tPvRmT2_T3_mT4_T5_T6_T7_T8_P12ihipStream_tbENKUlT_T0_E_clISt17integral_constantIbLb0EES11_EEDaSW_SX_EUlSW_E_NS1_11comp_targetILNS1_3genE10ELNS1_11target_archE1200ELNS1_3gpuE4ELNS1_3repE0EEENS1_30default_config_static_selectorELNS0_4arch9wavefront6targetE0EEEvT1_
	.p2align	8
	.type	_ZN7rocprim17ROCPRIM_400000_NS6detail17trampoline_kernelINS0_14default_configENS1_29reduce_by_key_config_selectorIssN6thrust23THRUST_200600_302600_NS4plusIsEEEEZZNS1_33reduce_by_key_impl_wrapped_configILNS1_25lookback_scan_determinismE0ES3_S9_NS6_6detail15normal_iteratorINS6_10device_ptrIsEEEESG_SG_SG_PmS8_NS6_8equal_toIsEEEE10hipError_tPvRmT2_T3_mT4_T5_T6_T7_T8_P12ihipStream_tbENKUlT_T0_E_clISt17integral_constantIbLb0EES11_EEDaSW_SX_EUlSW_E_NS1_11comp_targetILNS1_3genE10ELNS1_11target_archE1200ELNS1_3gpuE4ELNS1_3repE0EEENS1_30default_config_static_selectorELNS0_4arch9wavefront6targetE0EEEvT1_,@function
_ZN7rocprim17ROCPRIM_400000_NS6detail17trampoline_kernelINS0_14default_configENS1_29reduce_by_key_config_selectorIssN6thrust23THRUST_200600_302600_NS4plusIsEEEEZZNS1_33reduce_by_key_impl_wrapped_configILNS1_25lookback_scan_determinismE0ES3_S9_NS6_6detail15normal_iteratorINS6_10device_ptrIsEEEESG_SG_SG_PmS8_NS6_8equal_toIsEEEE10hipError_tPvRmT2_T3_mT4_T5_T6_T7_T8_P12ihipStream_tbENKUlT_T0_E_clISt17integral_constantIbLb0EES11_EEDaSW_SX_EUlSW_E_NS1_11comp_targetILNS1_3genE10ELNS1_11target_archE1200ELNS1_3gpuE4ELNS1_3repE0EEENS1_30default_config_static_selectorELNS0_4arch9wavefront6targetE0EEEvT1_: ; @_ZN7rocprim17ROCPRIM_400000_NS6detail17trampoline_kernelINS0_14default_configENS1_29reduce_by_key_config_selectorIssN6thrust23THRUST_200600_302600_NS4plusIsEEEEZZNS1_33reduce_by_key_impl_wrapped_configILNS1_25lookback_scan_determinismE0ES3_S9_NS6_6detail15normal_iteratorINS6_10device_ptrIsEEEESG_SG_SG_PmS8_NS6_8equal_toIsEEEE10hipError_tPvRmT2_T3_mT4_T5_T6_T7_T8_P12ihipStream_tbENKUlT_T0_E_clISt17integral_constantIbLb0EES11_EEDaSW_SX_EUlSW_E_NS1_11comp_targetILNS1_3genE10ELNS1_11target_archE1200ELNS1_3gpuE4ELNS1_3repE0EEENS1_30default_config_static_selectorELNS0_4arch9wavefront6targetE0EEEvT1_
; %bb.0:
	.section	.rodata,"a",@progbits
	.p2align	6, 0x0
	.amdhsa_kernel _ZN7rocprim17ROCPRIM_400000_NS6detail17trampoline_kernelINS0_14default_configENS1_29reduce_by_key_config_selectorIssN6thrust23THRUST_200600_302600_NS4plusIsEEEEZZNS1_33reduce_by_key_impl_wrapped_configILNS1_25lookback_scan_determinismE0ES3_S9_NS6_6detail15normal_iteratorINS6_10device_ptrIsEEEESG_SG_SG_PmS8_NS6_8equal_toIsEEEE10hipError_tPvRmT2_T3_mT4_T5_T6_T7_T8_P12ihipStream_tbENKUlT_T0_E_clISt17integral_constantIbLb0EES11_EEDaSW_SX_EUlSW_E_NS1_11comp_targetILNS1_3genE10ELNS1_11target_archE1200ELNS1_3gpuE4ELNS1_3repE0EEENS1_30default_config_static_selectorELNS0_4arch9wavefront6targetE0EEEvT1_
		.amdhsa_group_segment_fixed_size 0
		.amdhsa_private_segment_fixed_size 0
		.amdhsa_kernarg_size 120
		.amdhsa_user_sgpr_count 15
		.amdhsa_user_sgpr_dispatch_ptr 0
		.amdhsa_user_sgpr_queue_ptr 0
		.amdhsa_user_sgpr_kernarg_segment_ptr 1
		.amdhsa_user_sgpr_dispatch_id 0
		.amdhsa_user_sgpr_private_segment_size 0
		.amdhsa_wavefront_size32 1
		.amdhsa_uses_dynamic_stack 0
		.amdhsa_enable_private_segment 0
		.amdhsa_system_sgpr_workgroup_id_x 1
		.amdhsa_system_sgpr_workgroup_id_y 0
		.amdhsa_system_sgpr_workgroup_id_z 0
		.amdhsa_system_sgpr_workgroup_info 0
		.amdhsa_system_vgpr_workitem_id 0
		.amdhsa_next_free_vgpr 1
		.amdhsa_next_free_sgpr 1
		.amdhsa_reserve_vcc 0
		.amdhsa_float_round_mode_32 0
		.amdhsa_float_round_mode_16_64 0
		.amdhsa_float_denorm_mode_32 3
		.amdhsa_float_denorm_mode_16_64 3
		.amdhsa_dx10_clamp 1
		.amdhsa_ieee_mode 1
		.amdhsa_fp16_overflow 0
		.amdhsa_workgroup_processor_mode 1
		.amdhsa_memory_ordered 1
		.amdhsa_forward_progress 0
		.amdhsa_shared_vgpr_count 0
		.amdhsa_exception_fp_ieee_invalid_op 0
		.amdhsa_exception_fp_denorm_src 0
		.amdhsa_exception_fp_ieee_div_zero 0
		.amdhsa_exception_fp_ieee_overflow 0
		.amdhsa_exception_fp_ieee_underflow 0
		.amdhsa_exception_fp_ieee_inexact 0
		.amdhsa_exception_int_div_zero 0
	.end_amdhsa_kernel
	.section	.text._ZN7rocprim17ROCPRIM_400000_NS6detail17trampoline_kernelINS0_14default_configENS1_29reduce_by_key_config_selectorIssN6thrust23THRUST_200600_302600_NS4plusIsEEEEZZNS1_33reduce_by_key_impl_wrapped_configILNS1_25lookback_scan_determinismE0ES3_S9_NS6_6detail15normal_iteratorINS6_10device_ptrIsEEEESG_SG_SG_PmS8_NS6_8equal_toIsEEEE10hipError_tPvRmT2_T3_mT4_T5_T6_T7_T8_P12ihipStream_tbENKUlT_T0_E_clISt17integral_constantIbLb0EES11_EEDaSW_SX_EUlSW_E_NS1_11comp_targetILNS1_3genE10ELNS1_11target_archE1200ELNS1_3gpuE4ELNS1_3repE0EEENS1_30default_config_static_selectorELNS0_4arch9wavefront6targetE0EEEvT1_,"axG",@progbits,_ZN7rocprim17ROCPRIM_400000_NS6detail17trampoline_kernelINS0_14default_configENS1_29reduce_by_key_config_selectorIssN6thrust23THRUST_200600_302600_NS4plusIsEEEEZZNS1_33reduce_by_key_impl_wrapped_configILNS1_25lookback_scan_determinismE0ES3_S9_NS6_6detail15normal_iteratorINS6_10device_ptrIsEEEESG_SG_SG_PmS8_NS6_8equal_toIsEEEE10hipError_tPvRmT2_T3_mT4_T5_T6_T7_T8_P12ihipStream_tbENKUlT_T0_E_clISt17integral_constantIbLb0EES11_EEDaSW_SX_EUlSW_E_NS1_11comp_targetILNS1_3genE10ELNS1_11target_archE1200ELNS1_3gpuE4ELNS1_3repE0EEENS1_30default_config_static_selectorELNS0_4arch9wavefront6targetE0EEEvT1_,comdat
.Lfunc_end628:
	.size	_ZN7rocprim17ROCPRIM_400000_NS6detail17trampoline_kernelINS0_14default_configENS1_29reduce_by_key_config_selectorIssN6thrust23THRUST_200600_302600_NS4plusIsEEEEZZNS1_33reduce_by_key_impl_wrapped_configILNS1_25lookback_scan_determinismE0ES3_S9_NS6_6detail15normal_iteratorINS6_10device_ptrIsEEEESG_SG_SG_PmS8_NS6_8equal_toIsEEEE10hipError_tPvRmT2_T3_mT4_T5_T6_T7_T8_P12ihipStream_tbENKUlT_T0_E_clISt17integral_constantIbLb0EES11_EEDaSW_SX_EUlSW_E_NS1_11comp_targetILNS1_3genE10ELNS1_11target_archE1200ELNS1_3gpuE4ELNS1_3repE0EEENS1_30default_config_static_selectorELNS0_4arch9wavefront6targetE0EEEvT1_, .Lfunc_end628-_ZN7rocprim17ROCPRIM_400000_NS6detail17trampoline_kernelINS0_14default_configENS1_29reduce_by_key_config_selectorIssN6thrust23THRUST_200600_302600_NS4plusIsEEEEZZNS1_33reduce_by_key_impl_wrapped_configILNS1_25lookback_scan_determinismE0ES3_S9_NS6_6detail15normal_iteratorINS6_10device_ptrIsEEEESG_SG_SG_PmS8_NS6_8equal_toIsEEEE10hipError_tPvRmT2_T3_mT4_T5_T6_T7_T8_P12ihipStream_tbENKUlT_T0_E_clISt17integral_constantIbLb0EES11_EEDaSW_SX_EUlSW_E_NS1_11comp_targetILNS1_3genE10ELNS1_11target_archE1200ELNS1_3gpuE4ELNS1_3repE0EEENS1_30default_config_static_selectorELNS0_4arch9wavefront6targetE0EEEvT1_
                                        ; -- End function
	.section	.AMDGPU.csdata,"",@progbits
; Kernel info:
; codeLenInByte = 0
; NumSgprs: 0
; NumVgprs: 0
; ScratchSize: 0
; MemoryBound: 0
; FloatMode: 240
; IeeeMode: 1
; LDSByteSize: 0 bytes/workgroup (compile time only)
; SGPRBlocks: 0
; VGPRBlocks: 0
; NumSGPRsForWavesPerEU: 1
; NumVGPRsForWavesPerEU: 1
; Occupancy: 16
; WaveLimiterHint : 0
; COMPUTE_PGM_RSRC2:SCRATCH_EN: 0
; COMPUTE_PGM_RSRC2:USER_SGPR: 15
; COMPUTE_PGM_RSRC2:TRAP_HANDLER: 0
; COMPUTE_PGM_RSRC2:TGID_X_EN: 1
; COMPUTE_PGM_RSRC2:TGID_Y_EN: 0
; COMPUTE_PGM_RSRC2:TGID_Z_EN: 0
; COMPUTE_PGM_RSRC2:TIDIG_COMP_CNT: 0
	.section	.text._ZN7rocprim17ROCPRIM_400000_NS6detail17trampoline_kernelINS0_14default_configENS1_29reduce_by_key_config_selectorIssN6thrust23THRUST_200600_302600_NS4plusIsEEEEZZNS1_33reduce_by_key_impl_wrapped_configILNS1_25lookback_scan_determinismE0ES3_S9_NS6_6detail15normal_iteratorINS6_10device_ptrIsEEEESG_SG_SG_PmS8_NS6_8equal_toIsEEEE10hipError_tPvRmT2_T3_mT4_T5_T6_T7_T8_P12ihipStream_tbENKUlT_T0_E_clISt17integral_constantIbLb0EES11_EEDaSW_SX_EUlSW_E_NS1_11comp_targetILNS1_3genE9ELNS1_11target_archE1100ELNS1_3gpuE3ELNS1_3repE0EEENS1_30default_config_static_selectorELNS0_4arch9wavefront6targetE0EEEvT1_,"axG",@progbits,_ZN7rocprim17ROCPRIM_400000_NS6detail17trampoline_kernelINS0_14default_configENS1_29reduce_by_key_config_selectorIssN6thrust23THRUST_200600_302600_NS4plusIsEEEEZZNS1_33reduce_by_key_impl_wrapped_configILNS1_25lookback_scan_determinismE0ES3_S9_NS6_6detail15normal_iteratorINS6_10device_ptrIsEEEESG_SG_SG_PmS8_NS6_8equal_toIsEEEE10hipError_tPvRmT2_T3_mT4_T5_T6_T7_T8_P12ihipStream_tbENKUlT_T0_E_clISt17integral_constantIbLb0EES11_EEDaSW_SX_EUlSW_E_NS1_11comp_targetILNS1_3genE9ELNS1_11target_archE1100ELNS1_3gpuE3ELNS1_3repE0EEENS1_30default_config_static_selectorELNS0_4arch9wavefront6targetE0EEEvT1_,comdat
	.protected	_ZN7rocprim17ROCPRIM_400000_NS6detail17trampoline_kernelINS0_14default_configENS1_29reduce_by_key_config_selectorIssN6thrust23THRUST_200600_302600_NS4plusIsEEEEZZNS1_33reduce_by_key_impl_wrapped_configILNS1_25lookback_scan_determinismE0ES3_S9_NS6_6detail15normal_iteratorINS6_10device_ptrIsEEEESG_SG_SG_PmS8_NS6_8equal_toIsEEEE10hipError_tPvRmT2_T3_mT4_T5_T6_T7_T8_P12ihipStream_tbENKUlT_T0_E_clISt17integral_constantIbLb0EES11_EEDaSW_SX_EUlSW_E_NS1_11comp_targetILNS1_3genE9ELNS1_11target_archE1100ELNS1_3gpuE3ELNS1_3repE0EEENS1_30default_config_static_selectorELNS0_4arch9wavefront6targetE0EEEvT1_ ; -- Begin function _ZN7rocprim17ROCPRIM_400000_NS6detail17trampoline_kernelINS0_14default_configENS1_29reduce_by_key_config_selectorIssN6thrust23THRUST_200600_302600_NS4plusIsEEEEZZNS1_33reduce_by_key_impl_wrapped_configILNS1_25lookback_scan_determinismE0ES3_S9_NS6_6detail15normal_iteratorINS6_10device_ptrIsEEEESG_SG_SG_PmS8_NS6_8equal_toIsEEEE10hipError_tPvRmT2_T3_mT4_T5_T6_T7_T8_P12ihipStream_tbENKUlT_T0_E_clISt17integral_constantIbLb0EES11_EEDaSW_SX_EUlSW_E_NS1_11comp_targetILNS1_3genE9ELNS1_11target_archE1100ELNS1_3gpuE3ELNS1_3repE0EEENS1_30default_config_static_selectorELNS0_4arch9wavefront6targetE0EEEvT1_
	.globl	_ZN7rocprim17ROCPRIM_400000_NS6detail17trampoline_kernelINS0_14default_configENS1_29reduce_by_key_config_selectorIssN6thrust23THRUST_200600_302600_NS4plusIsEEEEZZNS1_33reduce_by_key_impl_wrapped_configILNS1_25lookback_scan_determinismE0ES3_S9_NS6_6detail15normal_iteratorINS6_10device_ptrIsEEEESG_SG_SG_PmS8_NS6_8equal_toIsEEEE10hipError_tPvRmT2_T3_mT4_T5_T6_T7_T8_P12ihipStream_tbENKUlT_T0_E_clISt17integral_constantIbLb0EES11_EEDaSW_SX_EUlSW_E_NS1_11comp_targetILNS1_3genE9ELNS1_11target_archE1100ELNS1_3gpuE3ELNS1_3repE0EEENS1_30default_config_static_selectorELNS0_4arch9wavefront6targetE0EEEvT1_
	.p2align	8
	.type	_ZN7rocprim17ROCPRIM_400000_NS6detail17trampoline_kernelINS0_14default_configENS1_29reduce_by_key_config_selectorIssN6thrust23THRUST_200600_302600_NS4plusIsEEEEZZNS1_33reduce_by_key_impl_wrapped_configILNS1_25lookback_scan_determinismE0ES3_S9_NS6_6detail15normal_iteratorINS6_10device_ptrIsEEEESG_SG_SG_PmS8_NS6_8equal_toIsEEEE10hipError_tPvRmT2_T3_mT4_T5_T6_T7_T8_P12ihipStream_tbENKUlT_T0_E_clISt17integral_constantIbLb0EES11_EEDaSW_SX_EUlSW_E_NS1_11comp_targetILNS1_3genE9ELNS1_11target_archE1100ELNS1_3gpuE3ELNS1_3repE0EEENS1_30default_config_static_selectorELNS0_4arch9wavefront6targetE0EEEvT1_,@function
_ZN7rocprim17ROCPRIM_400000_NS6detail17trampoline_kernelINS0_14default_configENS1_29reduce_by_key_config_selectorIssN6thrust23THRUST_200600_302600_NS4plusIsEEEEZZNS1_33reduce_by_key_impl_wrapped_configILNS1_25lookback_scan_determinismE0ES3_S9_NS6_6detail15normal_iteratorINS6_10device_ptrIsEEEESG_SG_SG_PmS8_NS6_8equal_toIsEEEE10hipError_tPvRmT2_T3_mT4_T5_T6_T7_T8_P12ihipStream_tbENKUlT_T0_E_clISt17integral_constantIbLb0EES11_EEDaSW_SX_EUlSW_E_NS1_11comp_targetILNS1_3genE9ELNS1_11target_archE1100ELNS1_3gpuE3ELNS1_3repE0EEENS1_30default_config_static_selectorELNS0_4arch9wavefront6targetE0EEEvT1_: ; @_ZN7rocprim17ROCPRIM_400000_NS6detail17trampoline_kernelINS0_14default_configENS1_29reduce_by_key_config_selectorIssN6thrust23THRUST_200600_302600_NS4plusIsEEEEZZNS1_33reduce_by_key_impl_wrapped_configILNS1_25lookback_scan_determinismE0ES3_S9_NS6_6detail15normal_iteratorINS6_10device_ptrIsEEEESG_SG_SG_PmS8_NS6_8equal_toIsEEEE10hipError_tPvRmT2_T3_mT4_T5_T6_T7_T8_P12ihipStream_tbENKUlT_T0_E_clISt17integral_constantIbLb0EES11_EEDaSW_SX_EUlSW_E_NS1_11comp_targetILNS1_3genE9ELNS1_11target_archE1100ELNS1_3gpuE3ELNS1_3repE0EEENS1_30default_config_static_selectorELNS0_4arch9wavefront6targetE0EEEvT1_
; %bb.0:
	s_clause 0x4
	s_load_b256 s[16:23], s[0:1], 0x0
	s_load_b256 s[24:31], s[0:1], 0x38
	s_load_b128 s[36:39], s[0:1], 0x20
	s_load_b64 s[34:35], s[0:1], 0x68
	s_load_b128 s[40:43], s[0:1], 0x58
	s_mov_b32 s3, 0
	s_mul_i32 s2, s15, 0xf00
	s_waitcnt lgkmcnt(0)
	s_lshl_b64 s[0:1], s[18:19], 1
	s_mul_i32 s4, s28, s27
	s_add_u32 s8, s16, s0
	s_mul_hi_u32 s5, s28, s26
	s_addc_u32 s9, s17, s1
	s_add_u32 s10, s20, s0
	s_mul_i32 s6, s29, s26
	s_addc_u32 s11, s21, s1
	s_add_i32 s4, s5, s4
	s_lshl_b64 s[0:1], s[2:3], 1
	s_add_i32 s4, s4, s6
	s_add_u32 s21, s8, s0
	s_addc_u32 s14, s9, s1
	s_mul_i32 s7, s28, s26
	s_add_u32 s20, s10, s0
	s_addc_u32 s29, s11, s1
	s_add_u32 s16, s7, s15
	s_addc_u32 s17, s4, 0
	s_add_u32 s0, s30, -1
	s_addc_u32 s1, s31, -1
	s_mul_i32 s19, s0, 0xfffff100
	s_cmp_eq_u64 s[16:17], s[0:1]
	s_cselect_b32 s18, -1, 0
	s_cmp_lg_u64 s[16:17], s[0:1]
	s_cselect_b32 s28, -1, 0
	s_and_b32 vcc_lo, exec_lo, s18
	s_cbranch_vccnz .LBB629_2
; %bb.1:
	v_lshlrev_b32_e32 v13, 1, v0
	s_delay_alu instid0(VALU_DEP_1) | instskip(NEXT) | instid1(VALU_DEP_1)
	v_add_co_u32 v1, s0, s21, v13
	v_add_co_ci_u32_e64 v2, null, s14, 0, s0
	v_add_co_u32 v6, s0, s20, v13
	s_delay_alu instid0(VALU_DEP_3) | instskip(NEXT) | instid1(VALU_DEP_3)
	v_add_co_u32 v3, vcc_lo, 0x1000, v1
	v_add_co_ci_u32_e32 v4, vcc_lo, 0, v2, vcc_lo
	s_clause 0xe
	flat_load_u16 v10, v[1:2]
	flat_load_u16 v11, v[1:2] offset:512
	flat_load_u16 v12, v[1:2] offset:1024
	;; [unrolled: 1-line block ×7, first 2 shown]
	flat_load_u16 v2, v[3:4]
	flat_load_u16 v18, v[3:4] offset:512
	flat_load_u16 v19, v[3:4] offset:1024
	;; [unrolled: 1-line block ×6, first 2 shown]
	v_add_co_ci_u32_e64 v7, null, s29, 0, s0
	v_mad_u32_u24 v5, v0, 28, v13
	v_add_co_u32 v8, vcc_lo, 0x1000, v6
	s_delay_alu instid0(VALU_DEP_3)
	v_add_co_ci_u32_e32 v9, vcc_lo, 0, v7, vcc_lo
	s_waitcnt vmcnt(14) lgkmcnt(14)
	ds_store_b16 v13, v10
	s_waitcnt vmcnt(13) lgkmcnt(14)
	ds_store_b16 v13, v11 offset:512
	s_waitcnt vmcnt(12) lgkmcnt(14)
	ds_store_b16 v13, v12 offset:1024
	;; [unrolled: 2-line block ×14, first 2 shown]
	s_waitcnt lgkmcnt(0)
	s_barrier
	buffer_gl0_inv
	ds_load_u16 v55, v5
	ds_load_b128 v[1:4], v5 offset:2
	ds_load_b96 v[10:12], v5 offset:18
	s_waitcnt lgkmcnt(0)
	s_barrier
	buffer_gl0_inv
	s_clause 0xe
	flat_load_u16 v14, v[6:7]
	flat_load_u16 v15, v[6:7] offset:512
	flat_load_u16 v16, v[6:7] offset:1024
	;; [unrolled: 1-line block ×7, first 2 shown]
	flat_load_u16 v21, v[8:9]
	flat_load_u16 v22, v[8:9] offset:512
	flat_load_u16 v23, v[8:9] offset:1024
	;; [unrolled: 1-line block ×6, first 2 shown]
	v_mul_u32_u24_e32 v6, 15, v0
	s_waitcnt vmcnt(14) lgkmcnt(14)
	ds_store_b16 v13, v14
	s_waitcnt vmcnt(13) lgkmcnt(14)
	ds_store_b16 v13, v15 offset:512
	s_waitcnt vmcnt(12) lgkmcnt(14)
	ds_store_b16 v13, v16 offset:1024
	;; [unrolled: 2-line block ×14, first 2 shown]
	s_waitcnt lgkmcnt(0)
	s_barrier
	s_and_not1_b32 vcc_lo, exec_lo, s3
	s_add_i32 s19, s19, s40
	s_cbranch_vccz .LBB629_3
	s_branch .LBB629_50
.LBB629_2:
                                        ; implicit-def: $vgpr1
                                        ; implicit-def: $vgpr10
                                        ; implicit-def: $vgpr6
                                        ; implicit-def: $vgpr5
                                        ; implicit-def: $vgpr55
	s_add_i32 s19, s19, s40
.LBB629_3:
	s_delay_alu instid0(SALU_CYCLE_1)
	v_cmp_gt_u32_e32 vcc_lo, s19, v0
                                        ; implicit-def: $vgpr1
	s_and_saveexec_b32 s0, vcc_lo
	s_cbranch_execz .LBB629_5
; %bb.4:
	v_lshlrev_b32_e32 v1, 1, v0
	s_delay_alu instid0(VALU_DEP_1) | instskip(NEXT) | instid1(VALU_DEP_1)
	v_add_co_u32 v1, s1, s21, v1
	v_add_co_ci_u32_e64 v2, null, s14, 0, s1
	flat_load_u16 v1, v[1:2]
.LBB629_5:
	s_or_b32 exec_lo, exec_lo, s0
	v_or_b32_e32 v2, 0x100, v0
	s_delay_alu instid0(VALU_DEP_1) | instskip(NEXT) | instid1(VALU_DEP_1)
	v_cmp_gt_u32_e64 s0, s19, v2
                                        ; implicit-def: $vgpr2
	s_and_saveexec_b32 s1, s0
	s_cbranch_execz .LBB629_7
; %bb.6:
	v_lshlrev_b32_e32 v2, 1, v0
	s_delay_alu instid0(VALU_DEP_1) | instskip(NEXT) | instid1(VALU_DEP_1)
	v_add_co_u32 v2, s2, s21, v2
	v_add_co_ci_u32_e64 v3, null, s14, 0, s2
	flat_load_u16 v2, v[2:3] offset:512
.LBB629_7:
	s_or_b32 exec_lo, exec_lo, s1
	v_or_b32_e32 v3, 0x200, v0
	s_delay_alu instid0(VALU_DEP_1) | instskip(NEXT) | instid1(VALU_DEP_1)
	v_cmp_gt_u32_e64 s1, s19, v3
                                        ; implicit-def: $vgpr3
	s_and_saveexec_b32 s2, s1
	s_cbranch_execz .LBB629_9
; %bb.8:
	v_lshlrev_b32_e32 v3, 1, v0
	s_delay_alu instid0(VALU_DEP_1) | instskip(NEXT) | instid1(VALU_DEP_1)
	v_add_co_u32 v3, s3, s21, v3
	v_add_co_ci_u32_e64 v4, null, s14, 0, s3
	flat_load_u16 v3, v[3:4] offset:1024
.LBB629_9:
	s_or_b32 exec_lo, exec_lo, s2
	v_or_b32_e32 v4, 0x300, v0
	s_delay_alu instid0(VALU_DEP_1) | instskip(NEXT) | instid1(VALU_DEP_1)
	v_cmp_gt_u32_e64 s2, s19, v4
                                        ; implicit-def: $vgpr4
	s_and_saveexec_b32 s3, s2
	s_cbranch_execz .LBB629_11
; %bb.10:
	v_lshlrev_b32_e32 v4, 1, v0
	s_delay_alu instid0(VALU_DEP_1) | instskip(NEXT) | instid1(VALU_DEP_1)
	v_add_co_u32 v4, s4, s21, v4
	v_add_co_ci_u32_e64 v5, null, s14, 0, s4
	flat_load_u16 v4, v[4:5] offset:1536
.LBB629_11:
	s_or_b32 exec_lo, exec_lo, s3
	v_or_b32_e32 v5, 0x400, v0
	s_delay_alu instid0(VALU_DEP_1) | instskip(NEXT) | instid1(VALU_DEP_1)
	v_cmp_gt_u32_e64 s3, s19, v5
                                        ; implicit-def: $vgpr5
	s_and_saveexec_b32 s4, s3
	s_cbranch_execz .LBB629_13
; %bb.12:
	v_lshlrev_b32_e32 v5, 1, v0
	s_delay_alu instid0(VALU_DEP_1) | instskip(NEXT) | instid1(VALU_DEP_1)
	v_add_co_u32 v5, s5, s21, v5
	v_add_co_ci_u32_e64 v6, null, s14, 0, s5
	flat_load_u16 v5, v[5:6] offset:2048
.LBB629_13:
	s_or_b32 exec_lo, exec_lo, s4
	v_or_b32_e32 v6, 0x500, v0
                                        ; implicit-def: $vgpr10
	s_delay_alu instid0(VALU_DEP_1) | instskip(NEXT) | instid1(VALU_DEP_1)
	v_cmp_gt_u32_e64 s4, s19, v6
	s_and_saveexec_b32 s5, s4
	s_cbranch_execz .LBB629_15
; %bb.14:
	v_lshlrev_b32_e32 v6, 1, v0
	s_delay_alu instid0(VALU_DEP_1) | instskip(NEXT) | instid1(VALU_DEP_1)
	v_add_co_u32 v6, s6, s21, v6
	v_add_co_ci_u32_e64 v7, null, s14, 0, s6
	flat_load_u16 v10, v[6:7] offset:2560
.LBB629_15:
	s_or_b32 exec_lo, exec_lo, s5
	v_or_b32_e32 v6, 0x600, v0
                                        ; implicit-def: $vgpr11
	s_delay_alu instid0(VALU_DEP_1) | instskip(NEXT) | instid1(VALU_DEP_1)
	v_cmp_gt_u32_e64 s5, s19, v6
	s_and_saveexec_b32 s6, s5
	s_cbranch_execz .LBB629_17
; %bb.16:
	v_lshlrev_b32_e32 v6, 1, v0
	s_delay_alu instid0(VALU_DEP_1) | instskip(NEXT) | instid1(VALU_DEP_1)
	v_add_co_u32 v6, s7, s21, v6
	v_add_co_ci_u32_e64 v7, null, s14, 0, s7
	flat_load_u16 v11, v[6:7] offset:3072
.LBB629_17:
	s_or_b32 exec_lo, exec_lo, s6
	v_or_b32_e32 v6, 0x700, v0
                                        ; implicit-def: $vgpr12
	s_delay_alu instid0(VALU_DEP_1) | instskip(NEXT) | instid1(VALU_DEP_1)
	v_cmp_gt_u32_e64 s6, s19, v6
	s_and_saveexec_b32 s7, s6
	s_cbranch_execz .LBB629_19
; %bb.18:
	v_lshlrev_b32_e32 v6, 1, v0
	s_delay_alu instid0(VALU_DEP_1) | instskip(NEXT) | instid1(VALU_DEP_1)
	v_add_co_u32 v6, s8, s21, v6
	v_add_co_ci_u32_e64 v7, null, s14, 0, s8
	flat_load_u16 v12, v[6:7] offset:3584
.LBB629_19:
	s_or_b32 exec_lo, exec_lo, s7
	v_or_b32_e32 v6, 0x800, v0
                                        ; implicit-def: $vgpr17
	s_delay_alu instid0(VALU_DEP_1) | instskip(SKIP_1) | instid1(VALU_DEP_2)
	v_cmp_gt_u32_e64 s7, s19, v6
	v_lshlrev_b32_e32 v6, 1, v6
	s_and_saveexec_b32 s8, s7
	s_cbranch_execz .LBB629_21
; %bb.20:
	s_delay_alu instid0(VALU_DEP_1) | instskip(NEXT) | instid1(VALU_DEP_1)
	v_add_co_u32 v7, s9, s21, v6
	v_add_co_ci_u32_e64 v8, null, s14, 0, s9
	flat_load_u16 v17, v[7:8]
.LBB629_21:
	s_or_b32 exec_lo, exec_lo, s8
	v_or_b32_e32 v7, 0x900, v0
                                        ; implicit-def: $vgpr18
	s_delay_alu instid0(VALU_DEP_1) | instskip(SKIP_1) | instid1(VALU_DEP_2)
	v_cmp_gt_u32_e64 s8, s19, v7
	v_lshlrev_b32_e32 v7, 1, v7
	s_and_saveexec_b32 s9, s8
	s_cbranch_execz .LBB629_23
; %bb.22:
	s_delay_alu instid0(VALU_DEP_1) | instskip(NEXT) | instid1(VALU_DEP_1)
	v_add_co_u32 v8, s10, s21, v7
	v_add_co_ci_u32_e64 v9, null, s14, 0, s10
	flat_load_u16 v18, v[8:9]
.LBB629_23:
	s_or_b32 exec_lo, exec_lo, s9
	v_or_b32_e32 v8, 0xa00, v0
                                        ; implicit-def: $vgpr19
	s_delay_alu instid0(VALU_DEP_1) | instskip(SKIP_1) | instid1(VALU_DEP_2)
	v_cmp_gt_u32_e64 s9, s19, v8
	v_lshlrev_b32_e32 v9, 1, v8
	s_and_saveexec_b32 s10, s9
	s_cbranch_execz .LBB629_25
; %bb.24:
	s_delay_alu instid0(VALU_DEP_1) | instskip(NEXT) | instid1(VALU_DEP_1)
	v_add_co_u32 v13, s11, s21, v9
	v_add_co_ci_u32_e64 v14, null, s14, 0, s11
	flat_load_u16 v19, v[13:14]
.LBB629_25:
	s_or_b32 exec_lo, exec_lo, s10
	v_or_b32_e32 v8, 0xb00, v0
                                        ; implicit-def: $vgpr20
	s_delay_alu instid0(VALU_DEP_1) | instskip(SKIP_1) | instid1(VALU_DEP_2)
	v_cmp_gt_u32_e64 s10, s19, v8
	v_lshlrev_b32_e32 v13, 1, v8
	s_and_saveexec_b32 s11, s10
	s_cbranch_execz .LBB629_27
; %bb.26:
	s_delay_alu instid0(VALU_DEP_1) | instskip(NEXT) | instid1(VALU_DEP_1)
	v_add_co_u32 v14, s12, s21, v13
	v_add_co_ci_u32_e64 v15, null, s14, 0, s12
	flat_load_u16 v20, v[14:15]
.LBB629_27:
	s_or_b32 exec_lo, exec_lo, s11
	v_or_b32_e32 v8, 0xc00, v0
                                        ; implicit-def: $vgpr21
	s_delay_alu instid0(VALU_DEP_1) | instskip(SKIP_1) | instid1(VALU_DEP_2)
	v_cmp_gt_u32_e64 s11, s19, v8
	v_lshlrev_b32_e32 v14, 1, v8
	s_and_saveexec_b32 s12, s11
	s_cbranch_execz .LBB629_29
; %bb.28:
	s_delay_alu instid0(VALU_DEP_1) | instskip(NEXT) | instid1(VALU_DEP_1)
	v_add_co_u32 v15, s13, s21, v14
	v_add_co_ci_u32_e64 v16, null, s14, 0, s13
	flat_load_u16 v21, v[15:16]
.LBB629_29:
	s_or_b32 exec_lo, exec_lo, s12
	v_or_b32_e32 v8, 0xd00, v0
                                        ; implicit-def: $vgpr22
	s_delay_alu instid0(VALU_DEP_1) | instskip(SKIP_1) | instid1(VALU_DEP_2)
	v_cmp_gt_u32_e64 s12, s19, v8
	v_lshlrev_b32_e32 v15, 1, v8
	s_and_saveexec_b32 s13, s12
	s_cbranch_execz .LBB629_31
; %bb.30:
	s_delay_alu instid0(VALU_DEP_1) | instskip(NEXT) | instid1(VALU_DEP_1)
	v_add_co_u32 v22, s30, s21, v15
	v_add_co_ci_u32_e64 v23, null, s14, 0, s30
	flat_load_u16 v22, v[22:23]
.LBB629_31:
	s_or_b32 exec_lo, exec_lo, s13
	v_or_b32_e32 v8, 0xe00, v0
                                        ; implicit-def: $vgpr23
	s_delay_alu instid0(VALU_DEP_1) | instskip(SKIP_1) | instid1(VALU_DEP_2)
	v_cmp_gt_u32_e64 s13, s19, v8
	v_lshlrev_b32_e32 v16, 1, v8
	s_and_saveexec_b32 s30, s13
	s_cbranch_execz .LBB629_33
; %bb.32:
	s_delay_alu instid0(VALU_DEP_1) | instskip(NEXT) | instid1(VALU_DEP_1)
	v_add_co_u32 v23, s31, s21, v16
	v_add_co_ci_u32_e64 v24, null, s14, 0, s31
	flat_load_u16 v23, v[23:24]
.LBB629_33:
	s_or_b32 exec_lo, exec_lo, s30
	v_lshlrev_b32_e32 v8, 1, v0
	s_waitcnt vmcnt(0) lgkmcnt(0)
	ds_store_b16 v8, v1
	ds_store_b16 v8, v2 offset:512
	ds_store_b16 v8, v3 offset:1024
	;; [unrolled: 1-line block ×7, first 2 shown]
	v_mad_u32_u24 v5, v0, 28, v8
	ds_store_b16 v8, v17 offset:4096
	ds_store_b16 v8, v18 offset:4608
	;; [unrolled: 1-line block ×7, first 2 shown]
	s_waitcnt lgkmcnt(0)
	s_barrier
	buffer_gl0_inv
	ds_load_u16 v55, v5
	ds_load_b128 v[1:4], v5 offset:2
	ds_load_b96 v[10:12], v5 offset:18
	s_waitcnt lgkmcnt(0)
	s_barrier
	buffer_gl0_inv
                                        ; implicit-def: $vgpr17
	s_and_saveexec_b32 s30, vcc_lo
	s_cbranch_execnz .LBB629_57
; %bb.34:
	s_or_b32 exec_lo, exec_lo, s30
                                        ; implicit-def: $vgpr18
	s_and_saveexec_b32 s30, s0
	s_cbranch_execnz .LBB629_58
.LBB629_35:
	s_or_b32 exec_lo, exec_lo, s30
                                        ; implicit-def: $vgpr19
	s_and_saveexec_b32 s0, s1
	s_cbranch_execnz .LBB629_59
.LBB629_36:
	s_or_b32 exec_lo, exec_lo, s0
                                        ; implicit-def: $vgpr20
	s_and_saveexec_b32 s0, s2
	s_cbranch_execnz .LBB629_60
.LBB629_37:
	s_or_b32 exec_lo, exec_lo, s0
                                        ; implicit-def: $vgpr21
	s_and_saveexec_b32 s0, s3
	s_cbranch_execnz .LBB629_61
.LBB629_38:
	s_or_b32 exec_lo, exec_lo, s0
                                        ; implicit-def: $vgpr22
	s_and_saveexec_b32 s0, s4
	s_cbranch_execnz .LBB629_62
.LBB629_39:
	s_or_b32 exec_lo, exec_lo, s0
                                        ; implicit-def: $vgpr23
	s_and_saveexec_b32 s0, s5
	s_cbranch_execnz .LBB629_63
.LBB629_40:
	s_or_b32 exec_lo, exec_lo, s0
                                        ; implicit-def: $vgpr24
	s_and_saveexec_b32 s0, s6
	s_cbranch_execnz .LBB629_64
.LBB629_41:
	s_or_b32 exec_lo, exec_lo, s0
                                        ; implicit-def: $vgpr25
	s_and_saveexec_b32 s0, s7
	s_cbranch_execnz .LBB629_65
.LBB629_42:
	s_or_b32 exec_lo, exec_lo, s0
                                        ; implicit-def: $vgpr26
	s_and_saveexec_b32 s0, s8
	s_cbranch_execnz .LBB629_66
.LBB629_43:
	s_or_b32 exec_lo, exec_lo, s0
                                        ; implicit-def: $vgpr7
	s_and_saveexec_b32 s0, s9
	s_cbranch_execnz .LBB629_67
.LBB629_44:
	s_or_b32 exec_lo, exec_lo, s0
                                        ; implicit-def: $vgpr9
	s_and_saveexec_b32 s0, s10
	s_cbranch_execnz .LBB629_68
.LBB629_45:
	s_or_b32 exec_lo, exec_lo, s0
                                        ; implicit-def: $vgpr13
	s_and_saveexec_b32 s0, s11
	s_cbranch_execnz .LBB629_69
.LBB629_46:
	s_or_b32 exec_lo, exec_lo, s0
                                        ; implicit-def: $vgpr14
	s_and_saveexec_b32 s0, s12
	s_cbranch_execnz .LBB629_70
.LBB629_47:
	s_or_b32 exec_lo, exec_lo, s0
                                        ; implicit-def: $vgpr15
	s_and_saveexec_b32 s0, s13
	s_cbranch_execz .LBB629_49
.LBB629_48:
	v_add_co_u32 v15, s1, s20, v16
	s_delay_alu instid0(VALU_DEP_1)
	v_add_co_ci_u32_e64 v16, null, s29, 0, s1
	flat_load_u16 v15, v[15:16]
.LBB629_49:
	s_or_b32 exec_lo, exec_lo, s0
	v_mul_u32_u24_e32 v6, 15, v0
	s_waitcnt vmcnt(0) lgkmcnt(0)
	ds_store_b16 v8, v17
	ds_store_b16 v8, v18 offset:512
	ds_store_b16 v8, v19 offset:1024
	ds_store_b16 v8, v20 offset:1536
	ds_store_b16 v8, v21 offset:2048
	ds_store_b16 v8, v22 offset:2560
	ds_store_b16 v8, v23 offset:3072
	ds_store_b16 v8, v24 offset:3584
	ds_store_b16 v8, v25 offset:4096
	ds_store_b16 v8, v26 offset:4608
	ds_store_b16 v8, v7 offset:5120
	ds_store_b16 v8, v9 offset:5632
	ds_store_b16 v8, v13 offset:6144
	ds_store_b16 v8, v14 offset:6656
	ds_store_b16 v8, v15 offset:7168
	s_waitcnt lgkmcnt(0)
	s_barrier
.LBB629_50:
	v_lshlrev_b32_e32 v6, 1, v6
	buffer_gl0_inv
	ds_load_u16 v74, v5
	ds_load_u16 v73, v5 offset:2
	ds_load_u16 v71, v5 offset:6
	;; [unrolled: 1-line block ×14, first 2 shown]
	s_cmp_eq_u64 s[16:17], 0
	s_waitcnt lgkmcnt(0)
	s_cselect_b32 s20, -1, 0
	s_cmp_lg_u64 s[16:17], 0
	s_barrier
	s_cselect_b32 s29, -1, 0
	s_and_b32 vcc_lo, exec_lo, s28
	buffer_gl0_inv
	s_cbranch_vccz .LBB629_56
; %bb.51:
	s_and_b32 vcc_lo, exec_lo, s29
	s_cbranch_vccz .LBB629_71
; %bb.52:
	v_add_co_u32 v5, s0, -2, s21
	s_delay_alu instid0(VALU_DEP_1)
	v_add_co_ci_u32_e64 v6, null, -1, s14, s0
	v_lshrrev_b32_e32 v7, 16, v12
	v_lshrrev_b32_e32 v8, 16, v11
	;; [unrolled: 1-line block ×3, first 2 shown]
	flat_load_u16 v5, v[5:6]
	v_lshlrev_b32_e32 v6, 1, v0
	v_cmp_ne_u16_e32 vcc_lo, v12, v7
	v_cmp_ne_u16_e64 s0, v8, v12
	v_cmp_ne_u16_e64 s1, v11, v8
	;; [unrolled: 1-line block ×3, first 2 shown]
	ds_store_b16 v6, v7
	v_lshrrev_b32_e32 v7, 16, v4
	v_cmp_ne_u16_e64 s3, v10, v9
	v_lshrrev_b32_e32 v8, 16, v3
	v_lshrrev_b32_e32 v9, 16, v2
	v_cmp_ne_u16_e64 s12, v55, v1
	v_cmp_ne_u16_e64 s4, v7, v10
	v_cmp_ne_u16_e64 s5, v4, v7
	v_lshrrev_b32_e32 v7, 16, v1
	v_cmp_ne_u16_e64 s6, v8, v4
	v_cmp_ne_u16_e64 s7, v3, v8
	v_cmp_ne_u16_e64 s8, v9, v3
	v_cmp_ne_u16_e64 s9, v2, v9
	v_cmp_ne_u16_e64 s10, v7, v2
	v_cmp_ne_u16_e64 s11, v1, v7
	s_mov_b32 s28, -1
	s_mov_b32 s30, 0
	s_mov_b32 s31, exec_lo
	s_waitcnt vmcnt(0) lgkmcnt(0)
	s_barrier
	buffer_gl0_inv
	v_cmpx_ne_u32_e32 0, v0
	s_cbranch_execz .LBB629_54
; %bb.53:
	v_add_nc_u32_e32 v5, -2, v6
	ds_load_u16 v5, v5
.LBB629_54:
	s_or_b32 exec_lo, exec_lo, s31
	v_cndmask_b32_e64 v52, 0, 1, vcc_lo
	v_cndmask_b32_e64 v47, 0, 1, s0
	v_cndmask_b32_e64 v48, 0, 1, s1
	;; [unrolled: 1-line block ×13, first 2 shown]
	s_waitcnt lgkmcnt(0)
	v_cmp_ne_u16_e64 s0, v5, v55
	s_and_b32 vcc_lo, exec_lo, s30
	s_cbranch_vccnz .LBB629_72
.LBB629_55:
                                        ; implicit-def: $sgpr5
	s_branch .LBB629_83
.LBB629_56:
	s_mov_b32 s28, 0
                                        ; implicit-def: $sgpr0
                                        ; implicit-def: $vgpr52
                                        ; implicit-def: $vgpr47
                                        ; implicit-def: $vgpr48
                                        ; implicit-def: $vgpr49
                                        ; implicit-def: $vgpr50
                                        ; implicit-def: $vgpr51
                                        ; implicit-def: $vgpr53
                                        ; implicit-def: $vgpr54
                                        ; implicit-def: $vgpr56
                                        ; implicit-def: $vgpr57
                                        ; implicit-def: $vgpr58
                                        ; implicit-def: $vgpr59
                                        ; implicit-def: $vgpr60
                                        ; implicit-def: $vgpr61
                                        ; implicit-def: $sgpr5
	s_cbranch_execnz .LBB629_75
	s_branch .LBB629_83
.LBB629_57:
	v_add_co_u32 v17, s31, s20, v8
	s_delay_alu instid0(VALU_DEP_1)
	v_add_co_ci_u32_e64 v18, null, s29, 0, s31
	flat_load_u16 v17, v[17:18]
	s_or_b32 exec_lo, exec_lo, s30
                                        ; implicit-def: $vgpr18
	s_and_saveexec_b32 s30, s0
	s_cbranch_execz .LBB629_35
.LBB629_58:
	v_add_co_u32 v18, s0, s20, v8
	s_delay_alu instid0(VALU_DEP_1)
	v_add_co_ci_u32_e64 v19, null, s29, 0, s0
	flat_load_u16 v18, v[18:19] offset:512
	s_or_b32 exec_lo, exec_lo, s30
                                        ; implicit-def: $vgpr19
	s_and_saveexec_b32 s0, s1
	s_cbranch_execz .LBB629_36
.LBB629_59:
	v_add_co_u32 v19, s1, s20, v8
	s_delay_alu instid0(VALU_DEP_1)
	v_add_co_ci_u32_e64 v20, null, s29, 0, s1
	flat_load_u16 v19, v[19:20] offset:1024
	s_or_b32 exec_lo, exec_lo, s0
                                        ; implicit-def: $vgpr20
	s_and_saveexec_b32 s0, s2
	s_cbranch_execz .LBB629_37
.LBB629_60:
	v_add_co_u32 v20, s1, s20, v8
	s_delay_alu instid0(VALU_DEP_1)
	v_add_co_ci_u32_e64 v21, null, s29, 0, s1
	flat_load_u16 v20, v[20:21] offset:1536
	s_or_b32 exec_lo, exec_lo, s0
                                        ; implicit-def: $vgpr21
	s_and_saveexec_b32 s0, s3
	s_cbranch_execz .LBB629_38
.LBB629_61:
	v_add_co_u32 v21, s1, s20, v8
	s_delay_alu instid0(VALU_DEP_1)
	v_add_co_ci_u32_e64 v22, null, s29, 0, s1
	flat_load_u16 v21, v[21:22] offset:2048
	s_or_b32 exec_lo, exec_lo, s0
                                        ; implicit-def: $vgpr22
	s_and_saveexec_b32 s0, s4
	s_cbranch_execz .LBB629_39
.LBB629_62:
	v_add_co_u32 v22, s1, s20, v8
	s_delay_alu instid0(VALU_DEP_1)
	v_add_co_ci_u32_e64 v23, null, s29, 0, s1
	flat_load_u16 v22, v[22:23] offset:2560
	s_or_b32 exec_lo, exec_lo, s0
                                        ; implicit-def: $vgpr23
	s_and_saveexec_b32 s0, s5
	s_cbranch_execz .LBB629_40
.LBB629_63:
	v_add_co_u32 v23, s1, s20, v8
	s_delay_alu instid0(VALU_DEP_1)
	v_add_co_ci_u32_e64 v24, null, s29, 0, s1
	flat_load_u16 v23, v[23:24] offset:3072
	s_or_b32 exec_lo, exec_lo, s0
                                        ; implicit-def: $vgpr24
	s_and_saveexec_b32 s0, s6
	s_cbranch_execz .LBB629_41
.LBB629_64:
	v_add_co_u32 v24, s1, s20, v8
	s_delay_alu instid0(VALU_DEP_1)
	v_add_co_ci_u32_e64 v25, null, s29, 0, s1
	flat_load_u16 v24, v[24:25] offset:3584
	s_or_b32 exec_lo, exec_lo, s0
                                        ; implicit-def: $vgpr25
	s_and_saveexec_b32 s0, s7
	s_cbranch_execz .LBB629_42
.LBB629_65:
	v_add_co_u32 v25, s1, s20, v6
	s_delay_alu instid0(VALU_DEP_1)
	v_add_co_ci_u32_e64 v26, null, s29, 0, s1
	flat_load_u16 v25, v[25:26]
	s_or_b32 exec_lo, exec_lo, s0
                                        ; implicit-def: $vgpr26
	s_and_saveexec_b32 s0, s8
	s_cbranch_execz .LBB629_43
.LBB629_66:
	v_add_co_u32 v6, s1, s20, v7
	s_delay_alu instid0(VALU_DEP_1)
	v_add_co_ci_u32_e64 v7, null, s29, 0, s1
	flat_load_u16 v26, v[6:7]
	s_or_b32 exec_lo, exec_lo, s0
                                        ; implicit-def: $vgpr7
	s_and_saveexec_b32 s0, s9
	s_cbranch_execz .LBB629_44
.LBB629_67:
	v_add_co_u32 v6, s1, s20, v9
	s_delay_alu instid0(VALU_DEP_1)
	v_add_co_ci_u32_e64 v7, null, s29, 0, s1
	flat_load_u16 v7, v[6:7]
	s_or_b32 exec_lo, exec_lo, s0
                                        ; implicit-def: $vgpr9
	s_and_saveexec_b32 s0, s10
	s_cbranch_execz .LBB629_45
.LBB629_68:
	v_add_co_u32 v27, s1, s20, v13
	s_delay_alu instid0(VALU_DEP_1)
	v_add_co_ci_u32_e64 v28, null, s29, 0, s1
	flat_load_u16 v9, v[27:28]
	s_or_b32 exec_lo, exec_lo, s0
                                        ; implicit-def: $vgpr13
	s_and_saveexec_b32 s0, s11
	s_cbranch_execz .LBB629_46
.LBB629_69:
	v_add_co_u32 v13, s1, s20, v14
	s_delay_alu instid0(VALU_DEP_1)
	v_add_co_ci_u32_e64 v14, null, s29, 0, s1
	flat_load_u16 v13, v[13:14]
	s_or_b32 exec_lo, exec_lo, s0
                                        ; implicit-def: $vgpr14
	s_and_saveexec_b32 s0, s12
	s_cbranch_execz .LBB629_47
.LBB629_70:
	v_add_co_u32 v14, s1, s20, v15
	s_delay_alu instid0(VALU_DEP_1)
	v_add_co_ci_u32_e64 v15, null, s29, 0, s1
	flat_load_u16 v14, v[14:15]
	s_or_b32 exec_lo, exec_lo, s0
                                        ; implicit-def: $vgpr15
	s_and_saveexec_b32 s0, s13
	s_cbranch_execnz .LBB629_48
	s_branch .LBB629_49
.LBB629_71:
	s_mov_b32 s28, 0
                                        ; implicit-def: $sgpr0
                                        ; implicit-def: $vgpr52
                                        ; implicit-def: $vgpr47
                                        ; implicit-def: $vgpr48
                                        ; implicit-def: $vgpr49
                                        ; implicit-def: $vgpr50
                                        ; implicit-def: $vgpr51
                                        ; implicit-def: $vgpr53
                                        ; implicit-def: $vgpr54
                                        ; implicit-def: $vgpr56
                                        ; implicit-def: $vgpr57
                                        ; implicit-def: $vgpr58
                                        ; implicit-def: $vgpr59
                                        ; implicit-def: $vgpr60
                                        ; implicit-def: $vgpr61
	s_cbranch_execz .LBB629_55
.LBB629_72:
	v_lshrrev_b32_e32 v6, 16, v12
	v_lshrrev_b32_e32 v7, 16, v11
	;; [unrolled: 1-line block ×3, first 2 shown]
	v_lshlrev_b32_e32 v5, 1, v0
	s_mov_b32 s5, 1
	v_cmp_ne_u16_e32 vcc_lo, v12, v6
	s_mov_b32 s1, exec_lo
                                        ; implicit-def: $sgpr0
	ds_store_b16 v5, v6
	s_waitcnt lgkmcnt(0)
	v_cndmask_b32_e64 v52, 0, 1, vcc_lo
	v_cmp_ne_u16_e32 vcc_lo, v7, v12
	s_barrier
	buffer_gl0_inv
	v_cndmask_b32_e64 v47, 0, 1, vcc_lo
	v_cmp_ne_u16_e32 vcc_lo, v11, v7
	v_lshrrev_b32_e32 v7, 16, v4
	v_cndmask_b32_e64 v48, 0, 1, vcc_lo
	v_cmp_ne_u16_e32 vcc_lo, v8, v11
	v_cndmask_b32_e64 v49, 0, 1, vcc_lo
	v_cmp_ne_u16_e32 vcc_lo, v10, v8
	v_lshrrev_b32_e32 v8, 16, v3
	v_cndmask_b32_e64 v50, 0, 1, vcc_lo
	v_cmp_ne_u16_e32 vcc_lo, v7, v10
	;; [unrolled: 5-line block ×4, first 2 shown]
	v_cndmask_b32_e64 v57, 0, 1, vcc_lo
	v_cmp_ne_u16_e32 vcc_lo, v2, v7
	v_cndmask_b32_e64 v58, 0, 1, vcc_lo
	v_cmp_ne_u16_e32 vcc_lo, v8, v2
	;; [unrolled: 2-line block ×4, first 2 shown]
	v_cndmask_b32_e64 v61, 0, 1, vcc_lo
	v_cmpx_ne_u32_e32 0, v0
	s_xor_b32 s1, exec_lo, s1
	s_cbranch_execz .LBB629_74
; %bb.73:
	v_add_nc_u32_e32 v5, -2, v5
	s_or_b32 s28, s28, exec_lo
	ds_load_u16 v5, v5
	s_waitcnt lgkmcnt(0)
	v_cmp_ne_u16_e32 vcc_lo, v5, v55
	s_and_b32 s0, vcc_lo, exec_lo
.LBB629_74:
	s_or_b32 exec_lo, exec_lo, s1
	s_branch .LBB629_83
.LBB629_75:
	s_mul_hi_u32 s0, s16, 0xfffff100
	s_mul_i32 s1, s17, 0xfffff100
	s_sub_i32 s0, s0, s16
	s_mul_i32 s2, s16, 0xfffff100
	s_add_i32 s0, s0, s1
	s_add_u32 s12, s2, s40
	s_addc_u32 s13, s0, s41
	v_lshrrev_b32_e32 v9, 16, v12
	v_mad_u32_u24 v5, v0, 15, 14
	v_mad_u32_u24 v35, v0, 15, 13
	v_lshrrev_b32_e32 v44, 16, v11
	v_mad_u32_u24 v33, v0, 15, 12
	v_mad_u32_u24 v31, v0, 15, 11
	;; [unrolled: 3-line block ×7, first 2 shown]
	v_cmp_ne_u16_e64 s1, v55, v1
	v_cmp_ne_u32_e64 s0, 0, v0
	s_and_b32 vcc_lo, exec_lo, s29
	s_cbranch_vccz .LBB629_80
; %bb.76:
	v_add_co_u32 v36, s2, -2, s21
	s_delay_alu instid0(VALU_DEP_1)
	v_add_co_ci_u32_e64 v37, null, -1, s14, s2
	v_mov_b32_e32 v6, 0
	v_cmp_ne_u16_e64 s2, v12, v9
	v_cmp_ne_u16_e64 s4, v44, v12
	flat_load_u16 v60, v[36:37]
	v_cmp_ne_u16_e64 s6, v10, v43
	v_mov_b32_e32 v36, v6
	v_cmp_gt_u64_e32 vcc_lo, s[12:13], v[5:6]
	v_mov_b32_e32 v34, v6
	v_mov_b32_e32 v32, v6
	;; [unrolled: 1-line block ×3, first 2 shown]
	v_cmp_gt_u64_e64 s3, s[12:13], v[35:36]
	v_mov_b32_e32 v28, v6
	s_and_b32 s16, vcc_lo, s2
	v_cmp_gt_u64_e32 vcc_lo, s[12:13], v[33:34]
	v_cmp_gt_u64_e64 s5, s[12:13], v[29:30]
	v_cmp_ne_u16_e64 s2, v11, v44
	s_and_b32 s17, s3, s4
	v_cmp_gt_u64_e64 s3, s[12:13], v[31:32]
	v_cmp_ne_u16_e64 s4, v43, v11
	v_mov_b32_e32 v26, v6
	v_mov_b32_e32 v24, v6
	s_and_b32 s21, vcc_lo, s2
	s_and_b32 s30, s5, s6
	s_and_b32 s29, s3, s4
	v_cmp_gt_u64_e32 vcc_lo, s[12:13], v[27:28]
	v_cmp_gt_u64_e64 s3, s[12:13], v[25:26]
	v_cmp_gt_u64_e64 s5, s[12:13], v[23:24]
	v_cmp_ne_u16_e64 s2, v42, v10
	v_cmp_ne_u16_e64 s4, v4, v42
	;; [unrolled: 1-line block ×3, first 2 shown]
	v_mov_b32_e32 v22, v6
	v_mov_b32_e32 v20, v6
	;; [unrolled: 1-line block ×6, first 2 shown]
	s_and_b32 s31, vcc_lo, s2
	s_and_b32 s33, s3, s4
	s_and_b32 s40, s5, s6
	v_cmp_gt_u64_e32 vcc_lo, s[12:13], v[21:22]
	v_cmp_gt_u64_e64 s3, s[12:13], v[19:20]
	v_cmp_gt_u64_e64 s5, s[12:13], v[17:18]
	;; [unrolled: 1-line block ×5, first 2 shown]
	v_cmp_ne_u16_e64 s2, v3, v41
	v_cmp_ne_u16_e64 s4, v40, v3
	;; [unrolled: 1-line block ×5, first 2 shown]
	v_lshlrev_b32_e32 v38, 1, v0
	v_mul_u32_u24_e32 v37, 15, v0
	s_mov_b32 s28, -1
	s_mov_b32 s14, 0
	s_and_b32 s41, vcc_lo, s2
	s_and_b32 s3, s3, s4
	s_and_b32 s4, s5, s6
	;; [unrolled: 1-line block ×5, first 2 shown]
	ds_store_b16 v38, v9
	s_waitcnt vmcnt(0) lgkmcnt(0)
	s_barrier
	buffer_gl0_inv
	s_and_saveexec_b32 s6, s0
	s_cbranch_execz .LBB629_78
; %bb.77:
	v_add_nc_u32_e32 v8, -2, v38
	ds_load_u16 v60, v8
.LBB629_78:
	s_or_b32 exec_lo, exec_lo, s6
	v_mov_b32_e32 v38, v6
	s_waitcnt lgkmcnt(0)
	v_cmp_ne_u16_e64 s0, v60, v55
	v_cndmask_b32_e64 v52, 0, 1, s16
	v_cndmask_b32_e64 v47, 0, 1, s17
	;; [unrolled: 1-line block ×3, first 2 shown]
	v_cmp_gt_u64_e32 vcc_lo, s[12:13], v[37:38]
	v_cndmask_b32_e64 v49, 0, 1, s29
	v_cndmask_b32_e64 v50, 0, 1, s30
	;; [unrolled: 1-line block ×11, first 2 shown]
	s_and_b32 s0, vcc_lo, s0
	s_and_b32 vcc_lo, exec_lo, s14
	s_cbranch_vccnz .LBB629_81
.LBB629_79:
                                        ; implicit-def: $sgpr5
	v_mov_b32_e32 v63, s5
	s_and_saveexec_b32 s1, s28
	s_cbranch_execnz .LBB629_84
	s_branch .LBB629_85
.LBB629_80:
                                        ; implicit-def: $sgpr0
                                        ; implicit-def: $vgpr52
                                        ; implicit-def: $vgpr47
                                        ; implicit-def: $vgpr48
                                        ; implicit-def: $vgpr49
                                        ; implicit-def: $vgpr50
                                        ; implicit-def: $vgpr51
                                        ; implicit-def: $vgpr53
                                        ; implicit-def: $vgpr54
                                        ; implicit-def: $vgpr56
                                        ; implicit-def: $vgpr57
                                        ; implicit-def: $vgpr58
                                        ; implicit-def: $vgpr59
                                        ; implicit-def: $vgpr60
                                        ; implicit-def: $vgpr61
	s_cbranch_execz .LBB629_79
.LBB629_81:
	v_dual_mov_b32 v6, 0 :: v_dual_lshlrev_b32 v37, 1, v0
	v_cmp_ne_u16_e32 vcc_lo, v12, v9
	v_cmp_ne_u16_e64 s2, v11, v44
	v_cmp_ne_u16_e64 s0, v44, v12
	s_delay_alu instid0(VALU_DEP_4)
	v_mov_b32_e32 v34, v6
	v_mov_b32_e32 v36, v6
	v_cmp_gt_u64_e64 s1, s[12:13], v[5:6]
	v_mov_b32_e32 v30, v6
	v_mov_b32_e32 v32, v6
	v_cmp_gt_u64_e64 s4, s[12:13], v[33:34]
	v_cmp_gt_u64_e64 s3, s[12:13], v[35:36]
	v_mov_b32_e32 v28, v6
	s_and_b32 s1, s1, vcc_lo
	v_cmp_gt_u64_e32 vcc_lo, s[12:13], v[31:32]
	v_cndmask_b32_e64 v52, 0, 1, s1
	s_and_b32 s1, s4, s2
	s_and_b32 s0, s3, s0
	v_cndmask_b32_e64 v48, 0, 1, s1
	v_cmp_gt_u64_e64 s1, s[12:13], v[29:30]
	v_cmp_ne_u16_e64 s2, v10, v43
	v_cndmask_b32_e64 v47, 0, 1, s0
	v_cmp_ne_u16_e64 s0, v43, v11
	v_mov_b32_e32 v26, v6
	v_mov_b32_e32 v24, v6
	s_and_b32 s1, s1, s2
	v_cmp_ne_u16_e64 s2, v4, v42
	s_and_b32 s0, vcc_lo, s0
	v_cmp_gt_u64_e32 vcc_lo, s[12:13], v[27:28]
	v_cndmask_b32_e64 v50, 0, 1, s1
	v_cmp_gt_u64_e64 s1, s[12:13], v[25:26]
	v_cndmask_b32_e64 v49, 0, 1, s0
	v_cmp_ne_u16_e64 s0, v42, v10
	v_mov_b32_e32 v22, v6
	v_mov_b32_e32 v20, v6
	;; [unrolled: 1-line block ×3, first 2 shown]
	s_and_b32 s1, s1, s2
	s_and_b32 s0, vcc_lo, s0
	v_cmp_gt_u64_e32 vcc_lo, s[12:13], v[23:24]
	v_cndmask_b32_e64 v51, 0, 1, s0
	v_cmp_ne_u16_e64 s0, v41, v4
	v_cndmask_b32_e64 v53, 0, 1, s1
	v_cmp_gt_u64_e64 s1, s[12:13], v[21:22]
	v_cmp_ne_u16_e64 s2, v3, v41
	v_mov_b32_e32 v16, v6
	s_and_b32 s0, vcc_lo, s0
	v_cmp_gt_u64_e32 vcc_lo, s[12:13], v[19:20]
	v_cndmask_b32_e64 v54, 0, 1, s0
	s_and_b32 s1, s1, s2
	v_cmp_ne_u16_e64 s0, v40, v3
	v_cndmask_b32_e64 v56, 0, 1, s1
	v_cmp_gt_u64_e64 s1, s[12:13], v[17:18]
	v_cmp_ne_u16_e64 s2, v2, v40
	v_mov_b32_e32 v14, v6
	s_and_b32 s0, vcc_lo, s0
	v_mov_b32_e32 v8, v6
	v_cndmask_b32_e64 v57, 0, 1, s0
	s_and_b32 s0, s1, s2
	v_cmp_gt_u64_e32 vcc_lo, s[12:13], v[15:16]
	v_cndmask_b32_e64 v58, 0, 1, s0
	v_cmp_ne_u16_e64 s0, v39, v2
	v_cmp_gt_u64_e64 s1, s[12:13], v[13:14]
	v_cmp_ne_u16_e64 s2, v1, v39
	v_cmp_gt_u64_e64 s3, s[12:13], v[7:8]
	v_cmp_ne_u16_e64 s4, v55, v1
	s_and_b32 s0, vcc_lo, s0
	s_mov_b32 s5, 1
	v_cndmask_b32_e64 v59, 0, 1, s0
	s_and_b32 s0, s1, s2
	s_mov_b32 s1, exec_lo
	v_cndmask_b32_e64 v60, 0, 1, s0
	s_and_b32 s0, s3, s4
	ds_store_b16 v37, v9
	v_cndmask_b32_e64 v61, 0, 1, s0
	s_waitcnt lgkmcnt(0)
	s_barrier
	buffer_gl0_inv
                                        ; implicit-def: $sgpr0
	v_cmpx_ne_u32_e32 0, v0
	s_cbranch_execz .LBB629_187
; %bb.82:
	v_add_nc_u32_e32 v5, -2, v37
	s_or_b32 s28, s28, exec_lo
	ds_load_u16 v7, v5
	v_mul_u32_u24_e32 v5, 15, v0
	s_delay_alu instid0(VALU_DEP_1) | instskip(SKIP_2) | instid1(VALU_DEP_1)
	v_cmp_gt_u64_e32 vcc_lo, s[12:13], v[5:6]
	s_waitcnt lgkmcnt(0)
	v_cmp_ne_u16_e64 s0, v7, v55
	s_and_b32 s0, vcc_lo, s0
	s_delay_alu instid0(SALU_CYCLE_1)
	s_and_b32 s0, s0, exec_lo
	s_or_b32 exec_lo, exec_lo, s1
.LBB629_83:
	v_mov_b32_e32 v63, s5
	s_and_saveexec_b32 s1, s28
.LBB629_84:
	v_cndmask_b32_e64 v63, 0, 1, s0
.LBB629_85:
	s_or_b32 exec_lo, exec_lo, s1
	s_delay_alu instid0(VALU_DEP_1)
	v_add3_u32 v5, v61, v63, v60
	v_cmp_eq_u32_e64 s12, 0, v61
	v_cmp_eq_u32_e64 s11, 0, v60
	;; [unrolled: 1-line block ×4, first 2 shown]
	v_add3_u32 v80, v5, v59, v58
	v_cmp_eq_u32_e64 s8, 0, v57
	v_cmp_eq_u32_e64 s7, 0, v56
	;; [unrolled: 1-line block ×9, first 2 shown]
	v_cmp_eq_u32_e32 vcc_lo, 0, v52
	v_mbcnt_lo_u32_b32 v77, -1, 0
	v_lshrrev_b32_e32 v78, 5, v0
	v_or_b32_e32 v79, 31, v0
	s_cmp_eq_u64 s[26:27], 0
	s_cselect_b32 s16, -1, 0
	s_cmp_lg_u32 s15, 0
	s_cbranch_scc0 .LBB629_111
; %bb.86:
	v_cndmask_b32_e64 v5, 0, v74, s12
	v_add3_u32 v6, v80, v57, v56
	v_and_b32_e32 v9, 15, v77
	s_delay_alu instid0(VALU_DEP_3) | instskip(NEXT) | instid1(VALU_DEP_3)
	v_add_nc_u16 v5, v5, v73
	v_add3_u32 v6, v6, v54, v53
	s_delay_alu instid0(VALU_DEP_2) | instskip(NEXT) | instid1(VALU_DEP_2)
	v_cndmask_b32_e64 v5, 0, v5, s11
	v_add3_u32 v6, v6, v51, v50
	s_delay_alu instid0(VALU_DEP_2) | instskip(NEXT) | instid1(VALU_DEP_2)
	v_add_nc_u16 v5, v5, v75
	v_add3_u32 v6, v6, v49, v48
	s_delay_alu instid0(VALU_DEP_2) | instskip(NEXT) | instid1(VALU_DEP_2)
	v_cndmask_b32_e64 v5, 0, v5, s10
	v_add3_u32 v6, v6, v47, v52
	s_delay_alu instid0(VALU_DEP_2) | instskip(NEXT) | instid1(VALU_DEP_2)
	v_add_nc_u16 v5, v5, v71
	v_mov_b32_dpp v13, v6 row_shr:1 row_mask:0xf bank_mask:0xf
	s_delay_alu instid0(VALU_DEP_2) | instskip(NEXT) | instid1(VALU_DEP_1)
	v_cndmask_b32_e64 v5, 0, v5, s9
	v_add_nc_u16 v5, v5, v72
	s_delay_alu instid0(VALU_DEP_1) | instskip(NEXT) | instid1(VALU_DEP_1)
	v_cndmask_b32_e64 v5, 0, v5, s8
	v_add_nc_u16 v5, v5, v69
	s_delay_alu instid0(VALU_DEP_1) | instskip(NEXT) | instid1(VALU_DEP_1)
	;; [unrolled: 3-line block ×9, first 2 shown]
	v_cndmask_b32_e64 v5, 0, v5, s0
	v_add_nc_u16 v5, v5, v45
	s_delay_alu instid0(VALU_DEP_1) | instskip(SKIP_1) | instid1(VALU_DEP_2)
	v_cndmask_b32_e32 v5, 0, v5, vcc_lo
	v_cmp_eq_u32_e32 vcc_lo, 0, v6
	v_add_nc_u16 v5, v5, v76
	s_delay_alu instid0(VALU_DEP_1) | instskip(NEXT) | instid1(VALU_DEP_1)
	v_and_b32_e32 v7, 0xffff, v5
	v_mov_b32_dpp v8, v7 row_shr:1 row_mask:0xf bank_mask:0xf
	s_delay_alu instid0(VALU_DEP_1) | instskip(SKIP_1) | instid1(VALU_DEP_2)
	v_cndmask_b32_e32 v8, 0, v8, vcc_lo
	v_cmp_eq_u32_e32 vcc_lo, 0, v9
	v_add_nc_u16 v8, v8, v5
	v_cndmask_b32_e64 v13, v13, 0, vcc_lo
	s_delay_alu instid0(VALU_DEP_2) | instskip(NEXT) | instid1(VALU_DEP_1)
	v_dual_cndmask_b32 v5, v8, v5 :: v_dual_and_b32 v14, 0xffff, v8
	v_dual_cndmask_b32 v7, v14, v7 :: v_dual_add_nc_u32 v6, v13, v6
	s_delay_alu instid0(VALU_DEP_1) | instskip(NEXT) | instid1(VALU_DEP_2)
	v_cmp_eq_u32_e32 vcc_lo, 0, v6
	v_mov_b32_dpp v13, v7 row_shr:2 row_mask:0xf bank_mask:0xf
	s_delay_alu instid0(VALU_DEP_1) | instskip(SKIP_2) | instid1(VALU_DEP_3)
	v_cndmask_b32_e32 v8, 0, v13, vcc_lo
	v_mov_b32_dpp v13, v6 row_shr:2 row_mask:0xf bank_mask:0xf
	v_cmp_lt_u32_e32 vcc_lo, 1, v9
	v_add_nc_u16 v8, v8, v5
	s_delay_alu instid0(VALU_DEP_1) | instskip(NEXT) | instid1(VALU_DEP_4)
	v_and_b32_e32 v14, 0xffff, v8
	v_dual_cndmask_b32 v5, v5, v8 :: v_dual_cndmask_b32 v8, 0, v13
	s_delay_alu instid0(VALU_DEP_1) | instskip(NEXT) | instid1(VALU_DEP_1)
	v_dual_cndmask_b32 v7, v7, v14 :: v_dual_add_nc_u32 v6, v6, v8
	v_mov_b32_dpp v8, v7 row_shr:4 row_mask:0xf bank_mask:0xf
	s_delay_alu instid0(VALU_DEP_2) | instskip(NEXT) | instid1(VALU_DEP_2)
	v_cmp_eq_u32_e32 vcc_lo, 0, v6
	v_cndmask_b32_e32 v8, 0, v8, vcc_lo
	v_cmp_lt_u32_e32 vcc_lo, 3, v9
	s_delay_alu instid0(VALU_DEP_2) | instskip(NEXT) | instid1(VALU_DEP_1)
	v_add_nc_u16 v8, v8, v5
	v_and_b32_e32 v14, 0xffff, v8
	s_delay_alu instid0(VALU_DEP_1) | instskip(SKIP_1) | instid1(VALU_DEP_1)
	v_cndmask_b32_e32 v7, v7, v14, vcc_lo
	v_mov_b32_dpp v13, v6 row_shr:4 row_mask:0xf bank_mask:0xf
	v_dual_cndmask_b32 v5, v5, v8 :: v_dual_cndmask_b32 v8, 0, v13
	s_delay_alu instid0(VALU_DEP_1) | instskip(NEXT) | instid1(VALU_DEP_4)
	v_add_nc_u32_e32 v6, v8, v6
	v_mov_b32_dpp v8, v7 row_shr:8 row_mask:0xf bank_mask:0xf
	s_delay_alu instid0(VALU_DEP_2) | instskip(NEXT) | instid1(VALU_DEP_2)
	v_cmp_eq_u32_e32 vcc_lo, 0, v6
	v_cndmask_b32_e32 v8, 0, v8, vcc_lo
	v_cmp_lt_u32_e32 vcc_lo, 7, v9
	s_delay_alu instid0(VALU_DEP_2) | instskip(NEXT) | instid1(VALU_DEP_1)
	v_add_nc_u16 v8, v8, v5
	v_cndmask_b32_e32 v5, v5, v8, vcc_lo
	v_mov_b32_dpp v13, v6 row_shr:8 row_mask:0xf bank_mask:0xf
	s_delay_alu instid0(VALU_DEP_1) | instskip(NEXT) | instid1(VALU_DEP_1)
	v_dual_cndmask_b32 v9, 0, v13 :: v_dual_and_b32 v8, 0xffff, v8
	v_cndmask_b32_e32 v7, v7, v8, vcc_lo
	v_bfe_i32 v13, v77, 4, 1
	s_delay_alu instid0(VALU_DEP_3)
	v_add_nc_u32_e32 v6, v9, v6
	ds_swizzle_b32 v7, v7 offset:swizzle(BROADCAST,32,15)
	v_and_b32_e32 v9, 16, v77
	ds_swizzle_b32 v8, v6 offset:swizzle(BROADCAST,32,15)
	v_cmp_eq_u32_e64 s13, 0, v6
	v_cmp_ne_u32_e32 vcc_lo, 0, v9
	s_delay_alu instid0(VALU_DEP_2) | instskip(SKIP_3) | instid1(VALU_DEP_1)
	s_and_b32 vcc_lo, vcc_lo, s13
	s_mov_b32 s13, exec_lo
	s_waitcnt lgkmcnt(0)
	v_dual_cndmask_b32 v7, 0, v7 :: v_dual_and_b32 v8, v13, v8
	v_add_nc_u16 v5, v7, v5
	v_lshlrev_b32_e32 v7, 3, v78
	s_delay_alu instid0(VALU_DEP_3)
	v_add_nc_u32_e32 v6, v8, v6
	v_cmpx_eq_u32_e64 v79, v0
	s_cbranch_execz .LBB629_88
; %bb.87:
	ds_store_b32 v7, v6 offset:1040
	ds_store_b16 v7, v5 offset:1044
.LBB629_88:
	s_or_b32 exec_lo, exec_lo, s13
	s_delay_alu instid0(SALU_CYCLE_1)
	s_mov_b32 s14, exec_lo
	s_waitcnt lgkmcnt(0)
	s_barrier
	buffer_gl0_inv
	v_cmpx_gt_u32_e32 8, v0
	s_cbranch_execz .LBB629_90
; %bb.89:
	v_lshlrev_b32_e32 v13, 3, v0
	v_and_b32_e32 v17, 7, v77
	ds_load_b64 v[8:9], v13 offset:1040
	s_waitcnt lgkmcnt(0)
	v_mov_b32_dpp v14, v9 row_shr:1 row_mask:0xf bank_mask:0xf
	v_cmp_eq_u32_e32 vcc_lo, 0, v8
	v_and_b32_e32 v15, 0xffff0000, v9
	v_mov_b32_dpp v18, v8 row_shr:1 row_mask:0xf bank_mask:0xf
	s_delay_alu instid0(VALU_DEP_4) | instskip(SKIP_1) | instid1(VALU_DEP_2)
	v_cndmask_b32_e32 v14, 0, v14, vcc_lo
	v_cmp_eq_u32_e32 vcc_lo, 0, v17
	v_add_nc_u16 v14, v14, v9
	s_delay_alu instid0(VALU_DEP_4) | instskip(NEXT) | instid1(VALU_DEP_2)
	v_cndmask_b32_e64 v18, v18, 0, vcc_lo
	v_and_b32_e32 v16, 0xffff, v14
	s_delay_alu instid0(VALU_DEP_1) | instskip(NEXT) | instid1(VALU_DEP_1)
	v_or_b32_e32 v16, v15, v16
	v_cndmask_b32_e32 v16, v16, v9, vcc_lo
	v_cndmask_b32_e32 v9, v14, v9, vcc_lo
	v_add_nc_u32_e32 v8, v18, v8
	s_delay_alu instid0(VALU_DEP_3) | instskip(NEXT) | instid1(VALU_DEP_2)
	v_mov_b32_dpp v18, v16 row_shr:2 row_mask:0xf bank_mask:0xf
	v_cmp_eq_u32_e32 vcc_lo, 0, v8
	s_delay_alu instid0(VALU_DEP_2) | instskip(SKIP_1) | instid1(VALU_DEP_2)
	v_cndmask_b32_e32 v14, 0, v18, vcc_lo
	v_cmp_lt_u32_e32 vcc_lo, 1, v17
	v_add_nc_u16 v14, v14, v9
	s_delay_alu instid0(VALU_DEP_1) | instskip(SKIP_2) | instid1(VALU_DEP_2)
	v_cndmask_b32_e32 v9, v9, v14, vcc_lo
	v_mov_b32_dpp v18, v8 row_shr:2 row_mask:0xf bank_mask:0xf
	v_and_b32_e32 v19, 0xffff, v14
	v_cndmask_b32_e32 v14, 0, v18, vcc_lo
	s_delay_alu instid0(VALU_DEP_2) | instskip(SKIP_1) | instid1(VALU_DEP_3)
	v_or_b32_e32 v15, v15, v19
	v_cmp_lt_u32_e64 s13, 3, v17
	v_add_nc_u32_e32 v8, v14, v8
	s_delay_alu instid0(VALU_DEP_3) | instskip(NEXT) | instid1(VALU_DEP_2)
	v_cndmask_b32_e32 v14, v16, v15, vcc_lo
	v_cmp_eq_u32_e32 vcc_lo, 0, v8
	v_mov_b32_dpp v15, v8 row_shr:4 row_mask:0xf bank_mask:0xf
	s_delay_alu instid0(VALU_DEP_3) | instskip(SKIP_1) | instid1(VALU_DEP_2)
	v_mov_b32_dpp v14, v14 row_shr:4 row_mask:0xf bank_mask:0xf
	s_and_b32 vcc_lo, s13, vcc_lo
	v_cndmask_b32_e64 v15, 0, v15, s13
	s_delay_alu instid0(VALU_DEP_2) | instskip(NEXT) | instid1(VALU_DEP_2)
	v_cndmask_b32_e32 v14, 0, v14, vcc_lo
	v_add_nc_u32_e32 v8, v15, v8
	s_delay_alu instid0(VALU_DEP_2)
	v_add_nc_u16 v9, v9, v14
	ds_store_b32 v13, v8 offset:1040
	ds_store_b16 v13, v9 offset:1044
.LBB629_90:
	s_or_b32 exec_lo, exec_lo, s14
	v_cmp_gt_u32_e32 vcc_lo, 32, v0
	v_dual_mov_b32 v18, 0 :: v_dual_mov_b32 v17, 0
	s_mov_b32 s14, exec_lo
	s_waitcnt lgkmcnt(0)
	s_barrier
	buffer_gl0_inv
	v_cmpx_lt_u32_e32 31, v0
	s_cbranch_execz .LBB629_92
; %bb.91:
	ds_load_u16 v17, v7 offset:1036
	ds_load_b32 v18, v7 offset:1032
	v_cmp_eq_u32_e64 s13, 0, v6
	s_waitcnt lgkmcnt(1)
	s_delay_alu instid0(VALU_DEP_1) | instskip(SKIP_2) | instid1(VALU_DEP_2)
	v_cndmask_b32_e64 v7, 0, v17, s13
	s_waitcnt lgkmcnt(0)
	v_add_nc_u32_e32 v6, v18, v6
	v_add_nc_u16 v5, v7, v5
.LBB629_92:
	s_or_b32 exec_lo, exec_lo, s14
	v_add_nc_u32_e32 v7, -1, v77
	s_delay_alu instid0(VALU_DEP_2) | instskip(NEXT) | instid1(VALU_DEP_2)
	v_and_b32_e32 v5, 0xffff, v5
	v_cmp_gt_i32_e64 s13, 0, v7
	s_delay_alu instid0(VALU_DEP_1) | instskip(SKIP_1) | instid1(VALU_DEP_2)
	v_cndmask_b32_e64 v7, v7, v77, s13
	v_cmp_eq_u32_e64 s13, 0, v77
	v_lshlrev_b32_e32 v7, 2, v7
	ds_bpermute_b32 v19, v7, v6
	ds_bpermute_b32 v20, v7, v5
	s_and_saveexec_b32 s17, vcc_lo
	s_cbranch_execz .LBB629_110
; %bb.93:
	v_mov_b32_e32 v8, 0
	ds_load_b64 v[5:6], v8 offset:1096
	s_waitcnt lgkmcnt(0)
	v_readfirstlane_b32 s21, v6
	s_and_saveexec_b32 s14, s13
	s_cbranch_execz .LBB629_95
; %bb.94:
	s_add_i32 s26, s15, 32
	s_mov_b32 s27, 0
	v_mov_b32_e32 v7, 1
	s_lshl_b64 s[28:29], s[26:27], 4
	s_mov_b32 s30, s27
	s_add_u32 s28, s24, s28
	s_addc_u32 s29, s25, s29
	s_and_b32 s31, s21, 0xff000000
	s_and_b32 s41, s21, 0xff0000
	s_mov_b32 s40, s27
	v_dual_mov_b32 v13, s28 :: v_dual_mov_b32 v14, s29
	s_or_b64 s[30:31], s[40:41], s[30:31]
	s_and_b32 s41, s21, 0xff00
	s_delay_alu instid0(SALU_CYCLE_1) | instskip(SKIP_1) | instid1(SALU_CYCLE_1)
	s_or_b64 s[30:31], s[30:31], s[40:41]
	s_and_b32 s41, s21, 0xff
	s_or_b64 s[26:27], s[30:31], s[40:41]
	s_delay_alu instid0(SALU_CYCLE_1)
	v_mov_b32_e32 v6, s27
	;;#ASMSTART
	global_store_dwordx4 v[13:14], v[5:8] off	
s_waitcnt vmcnt(0)
	;;#ASMEND
.LBB629_95:
	s_or_b32 exec_lo, exec_lo, s14
	v_xad_u32 v13, v77, -1, s15
	s_mov_b32 s26, 0
	s_mov_b32 s14, exec_lo
	s_delay_alu instid0(VALU_DEP_1) | instskip(NEXT) | instid1(VALU_DEP_1)
	v_add_nc_u32_e32 v7, 32, v13
	v_lshlrev_b64 v[6:7], 4, v[7:8]
	s_delay_alu instid0(VALU_DEP_1) | instskip(NEXT) | instid1(VALU_DEP_2)
	v_add_co_u32 v14, vcc_lo, s24, v6
	v_add_co_ci_u32_e32 v15, vcc_lo, s25, v7, vcc_lo
	;;#ASMSTART
	global_load_dwordx4 v[6:9], v[14:15] off glc	
s_waitcnt vmcnt(0)
	;;#ASMEND
	v_and_b32_e32 v9, 0xffffff, v6
	v_and_b32_e32 v6, 0xff000000, v6
	;; [unrolled: 1-line block ×4, first 2 shown]
	s_delay_alu instid0(VALU_DEP_3) | instskip(SKIP_1) | instid1(VALU_DEP_3)
	v_or_b32_e32 v6, v9, v6
	v_and_b32_e32 v9, 0xff, v8
	v_or3_b32 v7, 0, v16, v7
	s_delay_alu instid0(VALU_DEP_3) | instskip(NEXT) | instid1(VALU_DEP_3)
	v_or3_b32 v6, v6, 0, 0
	v_cmpx_eq_u16_e32 0, v9
	s_cbranch_execz .LBB629_98
.LBB629_96:                             ; =>This Inner Loop Header: Depth=1
	;;#ASMSTART
	global_load_dwordx4 v[6:9], v[14:15] off glc	
s_waitcnt vmcnt(0)
	;;#ASMEND
	v_and_b32_e32 v9, 0xff, v8
	s_delay_alu instid0(VALU_DEP_1) | instskip(SKIP_1) | instid1(SALU_CYCLE_1)
	v_cmp_ne_u16_e32 vcc_lo, 0, v9
	s_or_b32 s26, vcc_lo, s26
	s_and_not1_b32 exec_lo, exec_lo, s26
	s_cbranch_execnz .LBB629_96
; %bb.97:
	s_or_b32 exec_lo, exec_lo, s26
	v_and_b32_e32 v7, 0xffff, v7
.LBB629_98:
	s_or_b32 exec_lo, exec_lo, s14
	v_cmp_ne_u32_e32 vcc_lo, 31, v77
	v_and_b32_e32 v14, 0xff, v8
	v_lshlrev_b32_e64 v22, v77, -1
	v_cmp_eq_u32_e64 s14, 0, v6
	v_add_co_ci_u32_e32 v9, vcc_lo, 0, v77, vcc_lo
	s_delay_alu instid0(VALU_DEP_4) | instskip(NEXT) | instid1(VALU_DEP_4)
	v_cmp_eq_u16_e32 vcc_lo, 2, v14
	v_and_or_b32 v14, vcc_lo, v22, 0x80000000
	v_cmp_gt_u32_e32 vcc_lo, 30, v77
	s_delay_alu instid0(VALU_DEP_2) | instskip(SKIP_1) | instid1(VALU_DEP_2)
	v_ctz_i32_b32_e32 v14, v14
	v_cndmask_b32_e64 v15, 0, 1, vcc_lo
	v_cmp_lt_u32_e32 vcc_lo, v77, v14
	v_lshlrev_b32_e32 v21, 2, v9
	s_delay_alu instid0(VALU_DEP_3)
	v_lshlrev_b32_e32 v15, 1, v15
	ds_bpermute_b32 v16, v21, v6
	v_add_lshl_u32 v23, v15, v77, 2
	s_waitcnt lgkmcnt(0)
	v_cndmask_b32_e32 v16, 0, v16, vcc_lo
	ds_bpermute_b32 v9, v21, v7
	v_add_nc_u32_e32 v6, v16, v6
	ds_bpermute_b32 v26, v23, v6
	s_waitcnt lgkmcnt(1)
	v_cndmask_b32_e64 v9, 0, v9, s14
	s_delay_alu instid0(VALU_DEP_1) | instskip(NEXT) | instid1(VALU_DEP_1)
	v_add_nc_u16 v9, v9, v7
	v_and_b32_e32 v24, 0xffff, v9
	v_cndmask_b32_e32 v9, v7, v9, vcc_lo
	s_delay_alu instid0(VALU_DEP_2)
	v_cndmask_b32_e32 v7, v7, v24, vcc_lo
	v_cmp_eq_u32_e32 vcc_lo, 0, v6
	ds_bpermute_b32 v15, v23, v7
	s_waitcnt lgkmcnt(0)
	v_cndmask_b32_e32 v15, 0, v15, vcc_lo
	v_cmp_gt_u32_e32 vcc_lo, 28, v77
	s_delay_alu instid0(VALU_DEP_2) | instskip(SKIP_1) | instid1(VALU_DEP_2)
	v_add_nc_u16 v15, v15, v9
	v_cndmask_b32_e64 v16, 0, 1, vcc_lo
	v_and_b32_e32 v27, 0xffff, v15
	v_add_nc_u32_e32 v24, 2, v77
	s_delay_alu instid0(VALU_DEP_1) | instskip(NEXT) | instid1(VALU_DEP_4)
	v_cmp_gt_u32_e32 vcc_lo, v24, v14
	v_dual_cndmask_b32 v9, v15, v9 :: v_dual_lshlrev_b32 v16, 2, v16
	s_delay_alu instid0(VALU_DEP_1) | instskip(SKIP_4) | instid1(VALU_DEP_1)
	v_add_lshl_u32 v25, v16, v77, 2
	v_cndmask_b32_e32 v7, v27, v7, vcc_lo
	v_cndmask_b32_e64 v16, v26, 0, vcc_lo
	ds_bpermute_b32 v15, v25, v7
	v_add_nc_u32_e32 v6, v6, v16
	v_cmp_eq_u32_e32 vcc_lo, 0, v6
	s_waitcnt lgkmcnt(0)
	v_cndmask_b32_e32 v15, 0, v15, vcc_lo
	v_cmp_gt_u32_e32 vcc_lo, 24, v77
	ds_bpermute_b32 v27, v25, v6
	v_add_nc_u16 v15, v9, v15
	v_cndmask_b32_e64 v16, 0, 1, vcc_lo
	s_delay_alu instid0(VALU_DEP_2) | instskip(SKIP_1) | instid1(VALU_DEP_1)
	v_and_b32_e32 v29, 0xffff, v15
	v_add_nc_u32_e32 v26, 4, v77
	v_cmp_gt_u32_e32 vcc_lo, v26, v14
	s_delay_alu instid0(VALU_DEP_4) | instskip(NEXT) | instid1(VALU_DEP_1)
	v_dual_cndmask_b32 v9, v15, v9 :: v_dual_lshlrev_b32 v16, 3, v16
	v_add_lshl_u32 v28, v16, v77, 2
	v_cndmask_b32_e32 v7, v29, v7, vcc_lo
	s_waitcnt lgkmcnt(0)
	v_cndmask_b32_e64 v16, v27, 0, vcc_lo
	ds_bpermute_b32 v15, v28, v7
	v_add_nc_u32_e32 v6, v6, v16
	s_delay_alu instid0(VALU_DEP_1)
	v_cmp_eq_u32_e32 vcc_lo, 0, v6
	s_waitcnt lgkmcnt(0)
	v_cndmask_b32_e32 v15, 0, v15, vcc_lo
	ds_bpermute_b32 v16, v28, v6
	v_cmp_gt_u32_e32 vcc_lo, 16, v77
	v_add_nc_u16 v15, v9, v15
	v_cndmask_b32_e64 v27, 0, 1, vcc_lo
	s_delay_alu instid0(VALU_DEP_2) | instskip(SKIP_1) | instid1(VALU_DEP_3)
	v_and_b32_e32 v29, 0xffff, v15
	v_add_nc_u32_e32 v30, 8, v77
	v_lshlrev_b32_e32 v27, 4, v27
	s_delay_alu instid0(VALU_DEP_2) | instskip(NEXT) | instid1(VALU_DEP_2)
	v_cmp_gt_u32_e32 vcc_lo, v30, v14
	v_add_lshl_u32 v31, v27, v77, 2
	v_cndmask_b32_e32 v7, v29, v7, vcc_lo
	v_cndmask_b32_e32 v9, v15, v9, vcc_lo
	s_waitcnt lgkmcnt(0)
	v_cndmask_b32_e64 v15, v16, 0, vcc_lo
	ds_bpermute_b32 v7, v31, v7
	v_add_nc_u32_e32 v6, v6, v15
	ds_bpermute_b32 v15, v31, v6
	v_cmp_eq_u32_e32 vcc_lo, 0, v6
	s_waitcnt lgkmcnt(1)
	v_dual_cndmask_b32 v7, 0, v7 :: v_dual_add_nc_u32 v32, 16, v77
	s_delay_alu instid0(VALU_DEP_1) | instskip(NEXT) | instid1(VALU_DEP_2)
	v_cmp_gt_u32_e32 vcc_lo, v32, v14
	v_cndmask_b32_e64 v7, v7, 0, vcc_lo
	s_waitcnt lgkmcnt(0)
	v_cndmask_b32_e64 v14, v15, 0, vcc_lo
	s_delay_alu instid0(VALU_DEP_2) | instskip(NEXT) | instid1(VALU_DEP_2)
	v_add_nc_u16 v7, v9, v7
	v_add_nc_u32_e32 v6, v14, v6
	v_mov_b32_e32 v14, 0
	s_branch .LBB629_100
.LBB629_99:                             ;   in Loop: Header=BB629_100 Depth=1
	s_or_b32 exec_lo, exec_lo, s14
	ds_bpermute_b32 v9, v21, v7
	v_and_b32_e32 v15, 0xff, v8
	v_cmp_eq_u32_e64 s14, 0, v6
	ds_bpermute_b32 v16, v21, v6
	v_subrev_nc_u32_e32 v13, 32, v13
	v_cmp_eq_u16_e32 vcc_lo, 2, v15
	v_and_or_b32 v15, vcc_lo, v22, 0x80000000
	s_delay_alu instid0(VALU_DEP_1) | instskip(SKIP_2) | instid1(VALU_DEP_2)
	v_ctz_i32_b32_e32 v15, v15
	s_waitcnt lgkmcnt(1)
	v_cndmask_b32_e64 v9, 0, v9, s14
	v_cmp_lt_u32_e32 vcc_lo, v77, v15
	s_delay_alu instid0(VALU_DEP_2) | instskip(SKIP_1) | instid1(VALU_DEP_1)
	v_add_nc_u16 v9, v9, v7
	s_waitcnt lgkmcnt(0)
	v_dual_cndmask_b32 v16, 0, v16 :: v_dual_and_b32 v33, 0xffff, v9
	s_delay_alu instid0(VALU_DEP_1) | instskip(NEXT) | instid1(VALU_DEP_2)
	v_dual_cndmask_b32 v9, v7, v9 :: v_dual_add_nc_u32 v6, v16, v6
	v_cndmask_b32_e32 v7, v7, v33, vcc_lo
	s_delay_alu instid0(VALU_DEP_2)
	v_cmp_eq_u32_e32 vcc_lo, 0, v6
	ds_bpermute_b32 v33, v23, v7
	s_waitcnt lgkmcnt(0)
	v_cndmask_b32_e32 v16, 0, v33, vcc_lo
	ds_bpermute_b32 v33, v23, v6
	v_cmp_gt_u32_e32 vcc_lo, v24, v15
	v_add_nc_u16 v16, v16, v9
	s_delay_alu instid0(VALU_DEP_1) | instskip(NEXT) | instid1(VALU_DEP_1)
	v_dual_cndmask_b32 v9, v16, v9 :: v_dual_and_b32 v34, 0xffff, v16
	v_cndmask_b32_e32 v7, v34, v7, vcc_lo
	ds_bpermute_b32 v16, v25, v7
	s_waitcnt lgkmcnt(1)
	v_cndmask_b32_e64 v33, v33, 0, vcc_lo
	s_delay_alu instid0(VALU_DEP_1) | instskip(NEXT) | instid1(VALU_DEP_1)
	v_add_nc_u32_e32 v6, v6, v33
	v_cmp_eq_u32_e32 vcc_lo, 0, v6
	ds_bpermute_b32 v33, v25, v6
	s_waitcnt lgkmcnt(1)
	v_cndmask_b32_e32 v16, 0, v16, vcc_lo
	v_cmp_gt_u32_e32 vcc_lo, v26, v15
	s_delay_alu instid0(VALU_DEP_2) | instskip(NEXT) | instid1(VALU_DEP_1)
	v_add_nc_u16 v16, v9, v16
	v_dual_cndmask_b32 v9, v16, v9 :: v_dual_and_b32 v34, 0xffff, v16
	s_waitcnt lgkmcnt(0)
	v_cndmask_b32_e64 v33, v33, 0, vcc_lo
	s_delay_alu instid0(VALU_DEP_2) | instskip(NEXT) | instid1(VALU_DEP_2)
	v_cndmask_b32_e32 v7, v34, v7, vcc_lo
	v_add_nc_u32_e32 v6, v6, v33
	ds_bpermute_b32 v16, v28, v7
	v_cmp_eq_u32_e32 vcc_lo, 0, v6
	ds_bpermute_b32 v33, v28, v6
	s_waitcnt lgkmcnt(1)
	v_cndmask_b32_e32 v16, 0, v16, vcc_lo
	v_cmp_gt_u32_e32 vcc_lo, v30, v15
	s_delay_alu instid0(VALU_DEP_2) | instskip(NEXT) | instid1(VALU_DEP_1)
	v_add_nc_u16 v16, v9, v16
	v_dual_cndmask_b32 v9, v16, v9 :: v_dual_and_b32 v34, 0xffff, v16
	s_waitcnt lgkmcnt(0)
	v_cndmask_b32_e64 v16, v33, 0, vcc_lo
	s_delay_alu instid0(VALU_DEP_2) | instskip(NEXT) | instid1(VALU_DEP_2)
	v_cndmask_b32_e32 v7, v34, v7, vcc_lo
	v_add_nc_u32_e32 v6, v6, v16
	ds_bpermute_b32 v7, v31, v7
	ds_bpermute_b32 v16, v31, v6
	v_cmp_eq_u32_e32 vcc_lo, 0, v6
	s_waitcnt lgkmcnt(1)
	v_cndmask_b32_e32 v7, 0, v7, vcc_lo
	v_cmp_gt_u32_e32 vcc_lo, v32, v15
	s_delay_alu instid0(VALU_DEP_2) | instskip(NEXT) | instid1(VALU_DEP_1)
	v_cndmask_b32_e64 v7, v7, 0, vcc_lo
	v_add_nc_u16 v7, v9, v7
	s_waitcnt lgkmcnt(0)
	v_cndmask_b32_e64 v9, v16, 0, vcc_lo
	v_cmp_eq_u32_e32 vcc_lo, 0, v29
	s_delay_alu instid0(VALU_DEP_2) | instskip(SKIP_1) | instid1(VALU_DEP_1)
	v_add3_u32 v6, v6, v29, v9
	v_cndmask_b32_e32 v7, 0, v7, vcc_lo
	v_add_nc_u16 v7, v7, v27
.LBB629_100:                            ; =>This Loop Header: Depth=1
                                        ;     Child Loop BB629_103 Depth 2
	s_delay_alu instid0(VALU_DEP_1) | instskip(NEXT) | instid1(VALU_DEP_3)
	v_dual_mov_b32 v27, v7 :: v_dual_and_b32 v8, 0xff, v8
	v_mov_b32_e32 v29, v6
	s_delay_alu instid0(VALU_DEP_2) | instskip(SKIP_2) | instid1(VALU_DEP_1)
	v_cmp_ne_u16_e32 vcc_lo, 2, v8
	v_cndmask_b32_e64 v8, 0, 1, vcc_lo
	;;#ASMSTART
	;;#ASMEND
	v_cmp_ne_u32_e32 vcc_lo, 0, v8
	s_cmp_lg_u32 vcc_lo, exec_lo
	s_cbranch_scc1 .LBB629_105
; %bb.101:                              ;   in Loop: Header=BB629_100 Depth=1
	v_lshlrev_b64 v[6:7], 4, v[13:14]
	s_mov_b32 s14, exec_lo
	s_delay_alu instid0(VALU_DEP_1) | instskip(NEXT) | instid1(VALU_DEP_2)
	v_add_co_u32 v15, vcc_lo, s24, v6
	v_add_co_ci_u32_e32 v16, vcc_lo, s25, v7, vcc_lo
	;;#ASMSTART
	global_load_dwordx4 v[6:9], v[15:16] off glc	
s_waitcnt vmcnt(0)
	;;#ASMEND
	v_and_b32_e32 v9, 0xffffff, v6
	v_and_b32_e32 v6, 0xff000000, v6
	;; [unrolled: 1-line block ×4, first 2 shown]
	s_delay_alu instid0(VALU_DEP_3) | instskip(SKIP_1) | instid1(VALU_DEP_3)
	v_or_b32_e32 v6, v9, v6
	v_and_b32_e32 v9, 0xff, v8
	v_or3_b32 v7, 0, v33, v7
	s_delay_alu instid0(VALU_DEP_3) | instskip(NEXT) | instid1(VALU_DEP_3)
	v_or3_b32 v6, v6, 0, 0
	v_cmpx_eq_u16_e32 0, v9
	s_cbranch_execz .LBB629_99
; %bb.102:                              ;   in Loop: Header=BB629_100 Depth=1
	s_mov_b32 s26, 0
.LBB629_103:                            ;   Parent Loop BB629_100 Depth=1
                                        ; =>  This Inner Loop Header: Depth=2
	;;#ASMSTART
	global_load_dwordx4 v[6:9], v[15:16] off glc	
s_waitcnt vmcnt(0)
	;;#ASMEND
	v_and_b32_e32 v9, 0xff, v8
	s_delay_alu instid0(VALU_DEP_1) | instskip(SKIP_1) | instid1(SALU_CYCLE_1)
	v_cmp_ne_u16_e32 vcc_lo, 0, v9
	s_or_b32 s26, vcc_lo, s26
	s_and_not1_b32 exec_lo, exec_lo, s26
	s_cbranch_execnz .LBB629_103
; %bb.104:                              ;   in Loop: Header=BB629_100 Depth=1
	s_or_b32 exec_lo, exec_lo, s26
	v_and_b32_e32 v7, 0xffff, v7
	s_branch .LBB629_99
.LBB629_105:                            ;   in Loop: Header=BB629_100 Depth=1
                                        ; implicit-def: $vgpr7
                                        ; implicit-def: $vgpr6
                                        ; implicit-def: $vgpr8
	s_cbranch_execz .LBB629_100
; %bb.106:
	s_and_saveexec_b32 s14, s13
	s_cbranch_execz .LBB629_108
; %bb.107:
	v_cmp_eq_u32_e32 vcc_lo, 0, v5
	s_mov_b32 s27, 0
	s_add_i32 s26, s15, 32
	v_add_nc_u32_e64 v15, 0x400, 0
	s_lshl_b64 s[26:27], s[26:27], 4
	v_dual_cndmask_b32 v6, 0, v27 :: v_dual_mov_b32 v9, 0
	s_add_u32 s26, s24, s26
	s_addc_u32 s27, s25, s27
	v_mov_b32_e32 v16, s21
	s_delay_alu instid0(VALU_DEP_2) | instskip(SKIP_1) | instid1(VALU_DEP_2)
	v_add_nc_u16 v7, v6, s21
	v_add_nc_u32_e32 v6, v29, v5
	v_dual_mov_b32 v8, 2 :: v_dual_and_b32 v13, 0xff00, v7
	v_and_b32_e32 v7, 0xff, v7
	s_delay_alu instid0(VALU_DEP_1)
	v_or_b32_e32 v7, v13, v7
	v_dual_mov_b32 v13, s26 :: v_dual_mov_b32 v14, s27
	;;#ASMSTART
	global_store_dwordx4 v[13:14], v[6:9] off	
s_waitcnt vmcnt(0)
	;;#ASMEND
	ds_store_2addr_b32 v15, v5, v29 offset1:2
	ds_store_b16 v9, v16 offset:1028
	ds_store_b16 v9, v27 offset:1036
.LBB629_108:
	s_or_b32 exec_lo, exec_lo, s14
	v_cmp_eq_u32_e32 vcc_lo, 0, v0
	s_and_b32 exec_lo, exec_lo, vcc_lo
	s_cbranch_execz .LBB629_110
; %bb.109:
	v_mov_b32_e32 v5, 0
	ds_store_b32 v5, v29 offset:1096
	ds_store_b16 v5, v27 offset:1100
.LBB629_110:
	s_or_b32 exec_lo, exec_lo, s17
	v_mov_b32_e32 v7, 0
	s_waitcnt lgkmcnt(0)
	s_barrier
	buffer_gl0_inv
	v_cndmask_b32_e64 v8, v19, v18, s13
	ds_load_b64 v[5:6], v7 offset:1096
	v_cndmask_b32_e64 v9, v20, v17, s13
	v_cmp_eq_u32_e64 s13, 0, v63
	s_waitcnt lgkmcnt(0)
	v_cmp_eq_u32_e32 vcc_lo, 0, v8
	s_barrier
	buffer_gl0_inv
	v_cndmask_b32_e32 v13, 0, v6, vcc_lo
	v_cmp_eq_u32_e32 vcc_lo, 0, v0
	s_delay_alu instid0(VALU_DEP_2) | instskip(NEXT) | instid1(VALU_DEP_1)
	v_add_nc_u16 v9, v13, v9
	v_cndmask_b32_e32 v9, v9, v6, vcc_lo
	s_delay_alu instid0(VALU_DEP_1) | instskip(NEXT) | instid1(VALU_DEP_1)
	v_cndmask_b32_e64 v6, 0, v9, s13
	v_add_nc_u16 v13, v6, v74
	s_delay_alu instid0(VALU_DEP_1) | instskip(SKIP_2) | instid1(VALU_DEP_2)
	v_and_b32_e32 v36, 0xffff, v13
	v_cndmask_b32_e64 v6, 0, v13, s12
	v_and_b32_e32 v42, 0xffff, v9
	v_add_nc_u16 v14, v6, v73
	s_delay_alu instid0(VALU_DEP_1) | instskip(SKIP_1) | instid1(VALU_DEP_2)
	v_cndmask_b32_e64 v6, 0, v14, s11
	v_and_b32_e32 v38, 0xffff, v14
	v_add_nc_u16 v15, v6, v75
	s_delay_alu instid0(VALU_DEP_1) | instskip(SKIP_1) | instid1(VALU_DEP_2)
	v_cndmask_b32_e64 v6, 0, v15, s10
	v_and_b32_e32 v34, 0xffff, v15
	v_add_nc_u16 v16, v6, v71
	s_delay_alu instid0(VALU_DEP_1) | instskip(NEXT) | instid1(VALU_DEP_1)
	v_cndmask_b32_e64 v6, 0, v16, s9
	v_add_nc_u16 v18, v6, v72
	s_delay_alu instid0(VALU_DEP_1) | instskip(SKIP_1) | instid1(VALU_DEP_2)
	v_cndmask_b32_e64 v6, 0, v18, s8
	v_and_b32_e32 v18, 0xffff, v18
	v_add_nc_u16 v20, v6, v69
	v_cndmask_b32_e64 v6, v8, 0, vcc_lo
	s_delay_alu instid0(VALU_DEP_2) | instskip(NEXT) | instid1(VALU_DEP_2)
	v_cndmask_b32_e64 v8, 0, v20, s7
	v_add_nc_u32_e32 v41, v5, v6
	v_and_b32_e32 v20, 0xffff, v20
	s_delay_alu instid0(VALU_DEP_3) | instskip(NEXT) | instid1(VALU_DEP_3)
	v_add_nc_u16 v24, v8, v70
	v_add_nc_u32_e32 v35, v41, v63
	s_delay_alu instid0(VALU_DEP_2) | instskip(NEXT) | instid1(VALU_DEP_2)
	v_cndmask_b32_e64 v5, 0, v24, s6
	v_add_nc_u32_e32 v37, v35, v61
	v_and_b32_e32 v40, 0xffff, v24
	s_delay_alu instid0(VALU_DEP_3) | instskip(NEXT) | instid1(VALU_DEP_3)
	v_add_nc_u16 v26, v5, v67
	v_add_nc_u32_e32 v33, v37, v60
	;; [unrolled: 7-line block ×4, first 2 shown]
	ds_load_b128 v[5:8], v7 offset:1024
	v_cndmask_b32_e64 v22, 0, v30, s3
	v_add_nc_u32_e32 v43, v39, v54
	v_and_b32_e32 v30, 0xffff, v30
	s_delay_alu instid0(VALU_DEP_3) | instskip(NEXT) | instid1(VALU_DEP_3)
	v_add_nc_u16 v62, v22, v65
	v_add_nc_u32_e32 v31, v43, v53
	s_delay_alu instid0(VALU_DEP_2) | instskip(NEXT) | instid1(VALU_DEP_2)
	v_cndmask_b32_e64 v22, 0, v62, s2
	v_add_nc_u32_e32 v29, v31, v51
	v_and_b32_e32 v24, 0xffff, v62
	s_delay_alu instid0(VALU_DEP_3) | instskip(NEXT) | instid1(VALU_DEP_3)
	v_add_nc_u16 v81, v22, v64
	v_add_nc_u32_e32 v23, v29, v50
	s_waitcnt lgkmcnt(0)
	v_cmp_eq_u32_e32 vcc_lo, 0, v5
	v_and_b32_e32 v22, 0xffff, v16
	v_cndmask_b32_e64 v9, 0, v81, s1
	v_dual_cndmask_b32 v8, 0, v8 :: v_dual_add_nc_u32 v27, v23, v49
	v_and_b32_e32 v28, 0xffff, v81
	s_delay_alu instid0(VALU_DEP_3) | instskip(NEXT) | instid1(VALU_DEP_3)
	v_add_nc_u16 v9, v9, v46
	v_add_nc_u32_e32 v25, v27, v48
	s_delay_alu instid0(VALU_DEP_4) | instskip(NEXT) | instid1(VALU_DEP_3)
	v_add_nc_u32_e32 v62, v8, v6
	v_cndmask_b32_e64 v13, 0, v9, s0
	s_delay_alu instid0(VALU_DEP_3) | instskip(SKIP_1) | instid1(VALU_DEP_3)
	v_add_nc_u32_e32 v15, v25, v47
	v_and_b32_e32 v26, 0xffff, v9
	v_add_nc_u16 v13, v13, v45
	s_delay_alu instid0(VALU_DEP_1)
	v_and_b32_e32 v16, 0xffff, v13
	s_branch .LBB629_123
.LBB629_111:
                                        ; implicit-def: $vgpr5
                                        ; implicit-def: $vgpr62
                                        ; implicit-def: $vgpr41_vgpr42
                                        ; implicit-def: $vgpr35_vgpr36
                                        ; implicit-def: $vgpr37_vgpr38
                                        ; implicit-def: $vgpr33_vgpr34
                                        ; implicit-def: $vgpr21_vgpr22
                                        ; implicit-def: $vgpr17_vgpr18
                                        ; implicit-def: $vgpr19_vgpr20
                                        ; implicit-def: $vgpr39_vgpr40
                                        ; implicit-def: $vgpr43_vgpr44
                                        ; implicit-def: $vgpr31_vgpr32
                                        ; implicit-def: $vgpr29_vgpr30
                                        ; implicit-def: $vgpr23_vgpr24
                                        ; implicit-def: $vgpr27_vgpr28
                                        ; implicit-def: $vgpr25_vgpr26
                                        ; implicit-def: $vgpr15_vgpr16
	s_cbranch_execz .LBB629_123
; %bb.112:
	s_and_b32 s0, s16, exec_lo
	v_mov_b32_e32 v6, v74
	s_cselect_b32 s1, 0, s35
	s_cselect_b32 s0, 0, s34
	s_delay_alu instid0(SALU_CYCLE_1)
	s_cmp_eq_u64 s[0:1], 0
	s_cbranch_scc1 .LBB629_114
; %bb.113:
	v_mov_b32_e32 v5, 0
	global_load_u16 v6, v5, s[0:1]
.LBB629_114:
	v_cmp_eq_u32_e64 s11, 0, v61
	v_cmp_eq_u32_e64 s10, 0, v60
	;; [unrolled: 1-line block ×5, first 2 shown]
	v_cndmask_b32_e64 v5, 0, v74, s11
	v_cmp_eq_u32_e64 s7, 0, v56
	v_cmp_eq_u32_e64 s5, 0, v54
	;; [unrolled: 1-line block ×4, first 2 shown]
	v_add_nc_u16 v5, v5, v73
	v_cmp_eq_u32_e64 s2, 0, v50
	v_cmp_eq_u32_e64 s1, 0, v49
	;; [unrolled: 1-line block ×3, first 2 shown]
	v_cmp_eq_u32_e32 vcc_lo, 0, v47
	v_cndmask_b32_e64 v5, 0, v5, s10
	v_add3_u32 v7, v80, v57, v56
	v_cmp_eq_u32_e64 s12, 0, v52
	v_and_b32_e32 v13, 15, v77
	s_delay_alu instid0(VALU_DEP_4) | instskip(NEXT) | instid1(VALU_DEP_4)
	v_add_nc_u16 v5, v5, v75
	v_add3_u32 v7, v7, v54, v53
	s_delay_alu instid0(VALU_DEP_2) | instskip(NEXT) | instid1(VALU_DEP_2)
	v_cndmask_b32_e64 v5, 0, v5, s9
	v_add3_u32 v7, v7, v51, v50
	s_delay_alu instid0(VALU_DEP_2) | instskip(NEXT) | instid1(VALU_DEP_2)
	v_add_nc_u16 v5, v5, v71
	v_add3_u32 v7, v7, v49, v48
	s_delay_alu instid0(VALU_DEP_2) | instskip(NEXT) | instid1(VALU_DEP_2)
	v_cndmask_b32_e64 v5, 0, v5, s8
	v_add3_u32 v7, v7, v47, v52
	s_delay_alu instid0(VALU_DEP_2) | instskip(NEXT) | instid1(VALU_DEP_2)
	v_add_nc_u16 v5, v5, v72
	v_mov_b32_dpp v14, v7 row_shr:1 row_mask:0xf bank_mask:0xf
	s_delay_alu instid0(VALU_DEP_2) | instskip(NEXT) | instid1(VALU_DEP_1)
	v_cndmask_b32_e64 v5, 0, v5, s6
	v_add_nc_u16 v5, v5, v69
	s_delay_alu instid0(VALU_DEP_1) | instskip(NEXT) | instid1(VALU_DEP_1)
	v_cndmask_b32_e64 v5, 0, v5, s7
	v_add_nc_u16 v5, v5, v70
	s_delay_alu instid0(VALU_DEP_1) | instskip(NEXT) | instid1(VALU_DEP_1)
	v_cndmask_b32_e64 v5, 0, v5, s5
	v_add_nc_u16 v5, v5, v67
	s_delay_alu instid0(VALU_DEP_1) | instskip(NEXT) | instid1(VALU_DEP_1)
	v_cndmask_b32_e64 v5, 0, v5, s4
	v_add_nc_u16 v5, v5, v68
	s_delay_alu instid0(VALU_DEP_1) | instskip(NEXT) | instid1(VALU_DEP_1)
	v_cndmask_b32_e64 v5, 0, v5, s3
	v_add_nc_u16 v5, v5, v66
	s_delay_alu instid0(VALU_DEP_1) | instskip(NEXT) | instid1(VALU_DEP_1)
	v_cndmask_b32_e64 v5, 0, v5, s2
	v_add_nc_u16 v5, v5, v65
	s_delay_alu instid0(VALU_DEP_1) | instskip(NEXT) | instid1(VALU_DEP_1)
	v_cndmask_b32_e64 v5, 0, v5, s1
	v_add_nc_u16 v5, v5, v64
	s_delay_alu instid0(VALU_DEP_1) | instskip(NEXT) | instid1(VALU_DEP_1)
	v_cndmask_b32_e64 v5, 0, v5, s0
	v_add_nc_u16 v5, v5, v46
	s_delay_alu instid0(VALU_DEP_1) | instskip(NEXT) | instid1(VALU_DEP_1)
	v_cndmask_b32_e32 v5, 0, v5, vcc_lo
	v_add_nc_u16 v5, v5, v45
	s_delay_alu instid0(VALU_DEP_1) | instskip(SKIP_1) | instid1(VALU_DEP_2)
	v_cndmask_b32_e64 v5, 0, v5, s12
	v_cmp_eq_u32_e64 s12, 0, v7
	v_add_nc_u16 v5, v5, v76
	s_delay_alu instid0(VALU_DEP_1) | instskip(NEXT) | instid1(VALU_DEP_1)
	v_and_b32_e32 v8, 0xffff, v5
	v_mov_b32_dpp v9, v8 row_shr:1 row_mask:0xf bank_mask:0xf
	s_delay_alu instid0(VALU_DEP_1) | instskip(SKIP_1) | instid1(VALU_DEP_2)
	v_cndmask_b32_e64 v9, 0, v9, s12
	v_cmp_eq_u32_e64 s12, 0, v13
	v_add_nc_u16 v9, v9, v5
	s_delay_alu instid0(VALU_DEP_2) | instskip(NEXT) | instid1(VALU_DEP_2)
	v_cndmask_b32_e64 v14, v14, 0, s12
	v_and_b32_e32 v15, 0xffff, v9
	s_delay_alu instid0(VALU_DEP_2) | instskip(SKIP_1) | instid1(VALU_DEP_3)
	v_add_nc_u32_e32 v7, v14, v7
	v_cndmask_b32_e64 v5, v9, v5, s12
	v_cndmask_b32_e64 v8, v15, v8, s12
	s_delay_alu instid0(VALU_DEP_3) | instskip(NEXT) | instid1(VALU_DEP_2)
	v_cmp_eq_u32_e64 s12, 0, v7
	v_mov_b32_dpp v14, v8 row_shr:2 row_mask:0xf bank_mask:0xf
	s_delay_alu instid0(VALU_DEP_1) | instskip(SKIP_2) | instid1(VALU_DEP_3)
	v_cndmask_b32_e64 v9, 0, v14, s12
	v_mov_b32_dpp v14, v7 row_shr:2 row_mask:0xf bank_mask:0xf
	v_cmp_lt_u32_e64 s12, 1, v13
	v_add_nc_u16 v9, v9, v5
	s_delay_alu instid0(VALU_DEP_1) | instskip(NEXT) | instid1(VALU_DEP_3)
	v_and_b32_e32 v15, 0xffff, v9
	v_cndmask_b32_e64 v5, v5, v9, s12
	v_cndmask_b32_e64 v9, 0, v14, s12
	s_delay_alu instid0(VALU_DEP_3) | instskip(NEXT) | instid1(VALU_DEP_2)
	v_cndmask_b32_e64 v8, v8, v15, s12
	v_add_nc_u32_e32 v7, v7, v9
	s_delay_alu instid0(VALU_DEP_2) | instskip(NEXT) | instid1(VALU_DEP_2)
	v_mov_b32_dpp v9, v8 row_shr:4 row_mask:0xf bank_mask:0xf
	v_cmp_eq_u32_e64 s12, 0, v7
	v_mov_b32_dpp v14, v7 row_shr:4 row_mask:0xf bank_mask:0xf
	s_delay_alu instid0(VALU_DEP_2) | instskip(SKIP_1) | instid1(VALU_DEP_2)
	v_cndmask_b32_e64 v9, 0, v9, s12
	v_cmp_lt_u32_e64 s12, 3, v13
	v_add_nc_u16 v9, v9, v5
	s_delay_alu instid0(VALU_DEP_1) | instskip(NEXT) | instid1(VALU_DEP_3)
	v_and_b32_e32 v15, 0xffff, v9
	v_cndmask_b32_e64 v5, v5, v9, s12
	v_cndmask_b32_e64 v9, 0, v14, s12
	s_delay_alu instid0(VALU_DEP_3) | instskip(NEXT) | instid1(VALU_DEP_2)
	v_cndmask_b32_e64 v8, v8, v15, s12
	v_add_nc_u32_e32 v7, v9, v7
	s_delay_alu instid0(VALU_DEP_2) | instskip(NEXT) | instid1(VALU_DEP_2)
	v_mov_b32_dpp v9, v8 row_shr:8 row_mask:0xf bank_mask:0xf
	v_cmp_eq_u32_e64 s12, 0, v7
	v_mov_b32_dpp v14, v7 row_shr:8 row_mask:0xf bank_mask:0xf
	s_delay_alu instid0(VALU_DEP_2) | instskip(SKIP_1) | instid1(VALU_DEP_2)
	v_cndmask_b32_e64 v9, 0, v9, s12
	v_cmp_lt_u32_e64 s12, 7, v13
	v_add_nc_u16 v9, v9, v5
	s_delay_alu instid0(VALU_DEP_1) | instskip(SKIP_3) | instid1(VALU_DEP_3)
	v_cndmask_b32_e64 v13, v5, v9, s12
	v_cndmask_b32_e64 v5, 0, v14, s12
	v_and_b32_e32 v9, 0xffff, v9
	v_bfe_i32 v14, v77, 4, 1
	v_add_nc_u32_e32 v5, v5, v7
	s_delay_alu instid0(VALU_DEP_3)
	v_cndmask_b32_e64 v7, v8, v9, s12
	v_and_b32_e32 v9, 16, v77
	ds_swizzle_b32 v8, v5 offset:swizzle(BROADCAST,32,15)
	ds_swizzle_b32 v7, v7 offset:swizzle(BROADCAST,32,15)
	v_cmp_ne_u32_e64 s12, 0, v9
	v_cmp_eq_u32_e64 s13, 0, v5
	v_lshlrev_b32_e32 v9, 3, v78
	s_delay_alu instid0(VALU_DEP_2)
	s_and_b32 s12, s12, s13
	s_mov_b32 s13, exec_lo
	s_waitcnt lgkmcnt(1)
	v_and_b32_e32 v8, v14, v8
	s_waitcnt lgkmcnt(0)
	v_cndmask_b32_e64 v7, 0, v7, s12
	s_delay_alu instid0(VALU_DEP_2) | instskip(NEXT) | instid1(VALU_DEP_2)
	v_add_nc_u32_e32 v5, v8, v5
	v_add_nc_u16 v8, v7, v13
	v_cmpx_eq_u32_e64 v79, v0
	s_cbranch_execz .LBB629_116
; %bb.115:
	ds_store_b32 v9, v5 offset:1040
	ds_store_b16 v9, v8 offset:1044
.LBB629_116:
	s_or_b32 exec_lo, exec_lo, s13
	s_delay_alu instid0(SALU_CYCLE_1)
	s_mov_b32 s14, exec_lo
	s_waitcnt vmcnt(0) lgkmcnt(0)
	s_barrier
	buffer_gl0_inv
	v_cmpx_gt_u32_e32 8, v0
	s_cbranch_execz .LBB629_118
; %bb.117:
	v_lshlrev_b32_e32 v7, 3, v0
	v_and_b32_e32 v18, 7, v77
	ds_load_b64 v[13:14], v7 offset:1040
	v_cmp_lt_u32_e64 s13, 3, v18
	s_waitcnt lgkmcnt(0)
	v_mov_b32_dpp v15, v14 row_shr:1 row_mask:0xf bank_mask:0xf
	v_cmp_eq_u32_e64 s12, 0, v13
	v_and_b32_e32 v16, 0xffff0000, v14
	v_mov_b32_dpp v19, v13 row_shr:1 row_mask:0xf bank_mask:0xf
	s_delay_alu instid0(VALU_DEP_3) | instskip(SKIP_1) | instid1(VALU_DEP_2)
	v_cndmask_b32_e64 v15, 0, v15, s12
	v_cmp_eq_u32_e64 s12, 0, v18
	v_add_nc_u16 v15, v15, v14
	s_delay_alu instid0(VALU_DEP_2) | instskip(NEXT) | instid1(VALU_DEP_2)
	v_cndmask_b32_e64 v19, v19, 0, s12
	v_and_b32_e32 v17, 0xffff, v15
	s_delay_alu instid0(VALU_DEP_2) | instskip(NEXT) | instid1(VALU_DEP_2)
	v_add_nc_u32_e32 v13, v19, v13
	v_or_b32_e32 v17, v16, v17
	s_delay_alu instid0(VALU_DEP_1) | instskip(SKIP_1) | instid1(VALU_DEP_4)
	v_cndmask_b32_e64 v17, v17, v14, s12
	v_cndmask_b32_e64 v14, v15, v14, s12
	v_cmp_eq_u32_e64 s12, 0, v13
	s_delay_alu instid0(VALU_DEP_3) | instskip(NEXT) | instid1(VALU_DEP_1)
	v_mov_b32_dpp v19, v17 row_shr:2 row_mask:0xf bank_mask:0xf
	v_cndmask_b32_e64 v15, 0, v19, s12
	v_mov_b32_dpp v19, v13 row_shr:2 row_mask:0xf bank_mask:0xf
	v_cmp_lt_u32_e64 s12, 1, v18
	s_delay_alu instid0(VALU_DEP_3) | instskip(NEXT) | instid1(VALU_DEP_1)
	v_add_nc_u16 v15, v15, v14
	v_and_b32_e32 v20, 0xffff, v15
	s_delay_alu instid0(VALU_DEP_3) | instskip(SKIP_1) | instid1(VALU_DEP_3)
	v_cndmask_b32_e64 v14, v14, v15, s12
	v_cndmask_b32_e64 v15, 0, v19, s12
	v_or_b32_e32 v16, v16, v20
	s_delay_alu instid0(VALU_DEP_2) | instskip(NEXT) | instid1(VALU_DEP_2)
	v_add_nc_u32_e32 v13, v15, v13
	v_cndmask_b32_e64 v15, v17, v16, s12
	s_delay_alu instid0(VALU_DEP_2) | instskip(SKIP_1) | instid1(VALU_DEP_3)
	v_cmp_eq_u32_e64 s12, 0, v13
	v_mov_b32_dpp v16, v13 row_shr:4 row_mask:0xf bank_mask:0xf
	v_mov_b32_dpp v15, v15 row_shr:4 row_mask:0xf bank_mask:0xf
	s_delay_alu instid0(VALU_DEP_3) | instskip(NEXT) | instid1(VALU_DEP_2)
	s_and_b32 s12, s13, s12
	v_cndmask_b32_e64 v16, 0, v16, s13
	s_delay_alu instid0(VALU_DEP_2) | instskip(NEXT) | instid1(VALU_DEP_2)
	v_cndmask_b32_e64 v15, 0, v15, s12
	v_add_nc_u32_e32 v13, v16, v13
	s_delay_alu instid0(VALU_DEP_2)
	v_add_nc_u16 v14, v14, v15
	ds_store_b32 v7, v13 offset:1040
	ds_store_b16 v7, v14 offset:1044
.LBB629_118:
	s_or_b32 exec_lo, exec_lo, s14
	v_dual_mov_b32 v7, 0 :: v_dual_mov_b32 v14, v6
	v_mov_b32_e32 v13, 0
	s_mov_b32 s13, exec_lo
	s_waitcnt lgkmcnt(0)
	s_barrier
	buffer_gl0_inv
	v_cmpx_lt_u32_e32 31, v0
	s_cbranch_execz .LBB629_120
; %bb.119:
	ds_load_b32 v13, v9 offset:1032
	ds_load_u16 v9, v9 offset:1036
	s_waitcnt lgkmcnt(1)
	v_cmp_eq_u32_e64 s12, 0, v13
	s_delay_alu instid0(VALU_DEP_1) | instskip(SKIP_1) | instid1(VALU_DEP_1)
	v_cndmask_b32_e64 v14, 0, v6, s12
	s_waitcnt lgkmcnt(0)
	v_add_nc_u16 v14, v14, v9
.LBB629_120:
	s_or_b32 exec_lo, exec_lo, s13
	v_add_nc_u32_e32 v9, -1, v77
	v_cmp_eq_u32_e64 s12, 0, v5
	v_add_nc_u32_e32 v5, v13, v5
	v_cmp_eq_u32_e64 s13, 0, v63
	s_delay_alu instid0(VALU_DEP_3) | instskip(SKIP_1) | instid1(VALU_DEP_2)
	v_cndmask_b32_e64 v15, 0, v14, s12
	v_cmp_gt_i32_e64 s12, 0, v9
	v_add_nc_u16 v8, v15, v8
	s_delay_alu instid0(VALU_DEP_2) | instskip(SKIP_1) | instid1(VALU_DEP_3)
	v_cndmask_b32_e64 v9, v9, v77, s12
	v_cmp_eq_u32_e64 s12, 0, v77
	v_and_b32_e32 v8, 0xffff, v8
	s_delay_alu instid0(VALU_DEP_3)
	v_lshlrev_b32_e32 v9, 2, v9
	ds_bpermute_b32 v5, v9, v5
	ds_bpermute_b32 v8, v9, v8
	s_waitcnt lgkmcnt(1)
	v_cndmask_b32_e64 v5, v5, v13, s12
	s_waitcnt lgkmcnt(0)
	v_cndmask_b32_e64 v8, v8, v14, s12
	v_cmp_eq_u32_e64 s12, 0, v0
	s_delay_alu instid0(VALU_DEP_1) | instskip(SKIP_1) | instid1(VALU_DEP_2)
	v_cndmask_b32_e64 v8, v8, v6, s12
	v_cndmask_b32_e64 v41, v5, 0, s12
	v_cndmask_b32_e64 v9, 0, v8, s13
	s_delay_alu instid0(VALU_DEP_2) | instskip(SKIP_1) | instid1(VALU_DEP_3)
	v_add_nc_u32_e32 v35, v41, v63
	v_and_b32_e32 v42, 0xffff, v8
	v_add_nc_u16 v9, v9, v74
	s_delay_alu instid0(VALU_DEP_3) | instskip(NEXT) | instid1(VALU_DEP_2)
	v_add_nc_u32_e32 v37, v35, v61
	v_cndmask_b32_e64 v13, 0, v9, s11
	s_delay_alu instid0(VALU_DEP_2) | instskip(NEXT) | instid1(VALU_DEP_2)
	v_add_nc_u32_e32 v33, v37, v60
	v_add_nc_u16 v13, v13, v73
	s_delay_alu instid0(VALU_DEP_2) | instskip(NEXT) | instid1(VALU_DEP_2)
	v_add_nc_u32_e32 v21, v33, v59
	v_cndmask_b32_e64 v14, 0, v13, s10
	v_and_b32_e32 v38, 0xffff, v13
	s_delay_alu instid0(VALU_DEP_2) | instskip(NEXT) | instid1(VALU_DEP_1)
	v_add_nc_u16 v14, v14, v75
	v_cndmask_b32_e64 v15, 0, v14, s9
	v_and_b32_e32 v34, 0xffff, v14
	s_delay_alu instid0(VALU_DEP_2) | instskip(NEXT) | instid1(VALU_DEP_1)
	v_add_nc_u16 v15, v15, v71
	;; [unrolled: 4-line block ×3, first 2 shown]
	v_cndmask_b32_e64 v17, 0, v16, s6
	s_delay_alu instid0(VALU_DEP_1) | instskip(NEXT) | instid1(VALU_DEP_1)
	v_add_nc_u16 v20, v17, v69
	v_cndmask_b32_e64 v17, 0, v20, s7
	v_and_b32_e32 v20, 0xffff, v20
	s_delay_alu instid0(VALU_DEP_2) | instskip(SKIP_1) | instid1(VALU_DEP_2)
	v_add_nc_u16 v24, v17, v70
	v_add_nc_u32_e32 v17, v21, v58
	v_cndmask_b32_e64 v5, 0, v24, s5
	s_delay_alu instid0(VALU_DEP_2) | instskip(SKIP_1) | instid1(VALU_DEP_3)
	v_add_nc_u32_e32 v19, v17, v57
	v_and_b32_e32 v40, 0xffff, v24
	v_add_nc_u16 v26, v5, v67
	s_delay_alu instid0(VALU_DEP_3) | instskip(NEXT) | instid1(VALU_DEP_2)
	v_add_nc_u32_e32 v39, v19, v56
	v_cndmask_b32_e64 v5, 0, v26, s4
	s_delay_alu instid0(VALU_DEP_2) | instskip(SKIP_1) | instid1(VALU_DEP_3)
	v_add_nc_u32_e32 v43, v39, v54
	v_and_b32_e32 v44, 0xffff, v26
	v_add_nc_u16 v28, v5, v68
	s_delay_alu instid0(VALU_DEP_3) | instskip(NEXT) | instid1(VALU_DEP_2)
	v_add_nc_u32_e32 v31, v43, v53
	v_cndmask_b32_e64 v5, 0, v28, s3
	s_delay_alu instid0(VALU_DEP_2) | instskip(SKIP_1) | instid1(VALU_DEP_3)
	v_add_nc_u32_e32 v29, v31, v51
	v_and_b32_e32 v32, 0xffff, v28
	v_add_nc_u16 v30, v5, v66
	ds_load_b32 v5, v7 offset:1096
	ds_load_u16 v7, v7 offset:1100
	v_add_nc_u32_e32 v23, v29, v50
	v_cndmask_b32_e64 v18, 0, v30, s2
	v_and_b32_e32 v30, 0xffff, v30
	s_delay_alu instid0(VALU_DEP_3) | instskip(NEXT) | instid1(VALU_DEP_3)
	v_add_nc_u32_e32 v27, v23, v49
	v_add_nc_u16 v62, v18, v65
	s_delay_alu instid0(VALU_DEP_2) | instskip(NEXT) | instid1(VALU_DEP_2)
	v_add_nc_u32_e32 v25, v27, v48
	v_cndmask_b32_e64 v18, 0, v62, s1
	v_and_b32_e32 v24, 0xffff, v62
	s_delay_alu instid0(VALU_DEP_3) | instskip(NEXT) | instid1(VALU_DEP_3)
	v_add_nc_u32_e32 v15, v25, v47
	v_add_nc_u16 v64, v18, v64
	s_waitcnt lgkmcnt(1)
	v_cmp_eq_u32_e64 s1, 0, v5
	v_and_b32_e32 v18, 0xffff, v16
	s_delay_alu instid0(VALU_DEP_3) | instskip(NEXT) | instid1(VALU_DEP_3)
	v_cndmask_b32_e64 v8, 0, v64, s0
	v_cndmask_b32_e64 v6, 0, v6, s1
	v_and_b32_e32 v28, 0xffff, v64
	s_delay_alu instid0(VALU_DEP_3) | instskip(SKIP_3) | instid1(VALU_DEP_3)
	v_add_nc_u16 v8, v8, v46
	v_and_b32_e32 v36, 0xffff, v9
	s_waitcnt lgkmcnt(0)
	v_add_nc_u16 v62, v6, v7
	v_cndmask_b32_e32 v9, 0, v8, vcc_lo
	v_and_b32_e32 v26, 0xffff, v8
	s_delay_alu instid0(VALU_DEP_2) | instskip(NEXT) | instid1(VALU_DEP_1)
	v_add_nc_u16 v9, v9, v45
	v_and_b32_e32 v16, 0xffff, v9
	s_and_saveexec_b32 s0, s12
	s_cbranch_execz .LBB629_122
; %bb.121:
	v_and_b32_e32 v6, 0xff00, v62
	v_dual_mov_b32 v8, 0 :: v_dual_and_b32 v7, 0xff, v62
	s_add_u32 s2, s24, 0x200
	s_addc_u32 s3, s25, 0
	s_delay_alu instid0(VALU_DEP_1)
	v_or_b32_e32 v6, v6, v7
	v_dual_mov_b32 v7, 2 :: v_dual_mov_b32 v14, s3
	v_mov_b32_e32 v13, s2
	;;#ASMSTART
	global_store_dwordx4 v[13:14], v[5:8] off	
s_waitcnt vmcnt(0)
	;;#ASMEND
.LBB629_122:
	s_or_b32 exec_lo, exec_lo, s0
	v_mov_b32_e32 v7, 0
.LBB629_123:
	v_mov_b32_e32 v13, 0
	s_and_b32 s0, s16, exec_lo
	v_mov_b32_e32 v14, 0
	s_cselect_b32 s1, 0, s43
	s_cselect_b32 s0, 0, s42
	s_delay_alu instid0(SALU_CYCLE_1)
	s_cmp_eq_u64 s[0:1], 0
	s_barrier
	buffer_gl0_inv
	s_cbranch_scc1 .LBB629_125
; %bb.124:
	v_mov_b32_e32 v6, 0
	global_load_b64 v[13:14], v6, s[0:1]
.LBB629_125:
	v_cmp_eq_u32_e32 vcc_lo, 0, v63
	s_waitcnt vmcnt(0)
	v_lshlrev_b64 v[45:46], 1, v[13:14]
	v_cmp_ne_u32_e64 s14, 0, v63
	v_cmp_ne_u32_e64 s13, 0, v61
	v_cmp_ne_u32_e64 s12, 0, v60
	v_cndmask_b32_e64 v6, 1, 2, vcc_lo
	v_cmp_eq_u32_e32 vcc_lo, 0, v61
	v_cmp_ne_u32_e64 s11, 0, v59
	v_cmp_ne_u32_e64 s10, 0, v58
	;; [unrolled: 1-line block ×4, first 2 shown]
	v_cndmask_b32_e64 v8, 1, 2, vcc_lo
	v_cmp_eq_u32_e32 vcc_lo, 0, v60
	v_cmp_ne_u32_e64 s5, 0, v54
	v_cmp_ne_u32_e64 s8, 0, v53
	;; [unrolled: 1-line block ×3, first 2 shown]
	v_and_b32_e32 v6, v8, v6
	v_cndmask_b32_e64 v9, 1, 2, vcc_lo
	v_cmp_eq_u32_e32 vcc_lo, 0, v59
	v_cmp_ne_u32_e64 s4, 0, v50
	v_cmp_ne_u32_e64 s3, 0, v49
	;; [unrolled: 1-line block ×3, first 2 shown]
	v_and_b32_e32 v6, v6, v9
	v_cndmask_b32_e64 v8, 1, 2, vcc_lo
	v_cmp_eq_u32_e32 vcc_lo, 0, v58
	v_cmp_ne_u32_e64 s1, 0, v47
	v_cmp_ne_u32_e64 s0, 0, v52
	s_mov_b32 s16, -1
	v_and_b32_e32 v6, v6, v8
	v_cndmask_b32_e64 v9, 1, 2, vcc_lo
	v_cmp_eq_u32_e32 vcc_lo, 0, v57
	s_delay_alu instid0(VALU_DEP_2) | instskip(SKIP_2) | instid1(VALU_DEP_2)
	v_and_b32_e32 v6, v6, v9
	v_cndmask_b32_e64 v8, 1, 2, vcc_lo
	v_cmp_eq_u32_e32 vcc_lo, 0, v56
	v_and_b32_e32 v6, v6, v8
	v_cndmask_b32_e64 v9, 1, 2, vcc_lo
	v_cmp_eq_u32_e32 vcc_lo, 0, v54
	s_delay_alu instid0(VALU_DEP_2) | instskip(SKIP_2) | instid1(VALU_DEP_2)
	v_and_b32_e32 v6, v6, v9
	v_cndmask_b32_e64 v64, 1, 2, vcc_lo
	v_cmp_eq_u32_e32 vcc_lo, 0, v53
	;; [unrolled: 7-line block ×4, first 2 shown]
	v_and_b32_e32 v6, v6, v64
	v_cndmask_b32_e64 v65, 1, 2, vcc_lo
	v_mov_b32_e32 v8, 0
	v_cmp_eq_u32_e32 vcc_lo, 0, v47
	s_delay_alu instid0(VALU_DEP_3) | instskip(NEXT) | instid1(VALU_DEP_3)
	v_and_b32_e32 v65, v6, v65
	v_lshlrev_b64 v[8:9], 1, v[7:8]
	v_cndmask_b32_e64 v66, 1, 2, vcc_lo
	v_add_co_u32 v64, vcc_lo, s22, v45
	v_add_co_ci_u32_e32 v67, vcc_lo, s23, v46, vcc_lo
	s_delay_alu instid0(VALU_DEP_3) | instskip(NEXT) | instid1(VALU_DEP_3)
	v_and_b32_e32 v65, v65, v66
	v_add_co_u32 v6, vcc_lo, v64, v8
	s_delay_alu instid0(VALU_DEP_3) | instskip(SKIP_3) | instid1(VALU_DEP_2)
	v_add_co_ci_u32_e32 v64, vcc_lo, v67, v9, vcc_lo
	v_cmp_eq_u32_e32 vcc_lo, 0, v52
	v_cndmask_b32_e64 v66, 1, 2, vcc_lo
	v_cmp_gt_u32_e32 vcc_lo, 0x100, v5
	v_and_b32_e32 v65, v65, v66
	s_delay_alu instid0(VALU_DEP_1)
	v_cmp_gt_i16_e64 s15, 2, v65
	s_cbranch_vccz .LBB629_132
; %bb.126:
	s_delay_alu instid0(VALU_DEP_1)
	s_and_saveexec_b32 s16, s15
	s_cbranch_execz .LBB629_131
; %bb.127:
	s_mov_b32 s17, 0
	s_mov_b32 s15, exec_lo
	v_cmpx_ne_u16_e32 1, v65
	s_xor_b32 s15, exec_lo, s15
	s_cbranch_execnz .LBB629_188
; %bb.128:
	s_and_not1_saveexec_b32 s15, s15
	s_cbranch_execnz .LBB629_204
.LBB629_129:
	s_or_b32 exec_lo, exec_lo, s15
	s_delay_alu instid0(SALU_CYCLE_1)
	s_and_b32 exec_lo, exec_lo, s17
	s_cbranch_execz .LBB629_131
.LBB629_130:
	v_sub_nc_u32_e32 v66, v15, v7
	v_mov_b32_e32 v67, 0
	s_delay_alu instid0(VALU_DEP_1) | instskip(NEXT) | instid1(VALU_DEP_1)
	v_lshlrev_b64 v[66:67], 1, v[66:67]
	v_add_co_u32 v66, vcc_lo, v6, v66
	s_delay_alu instid0(VALU_DEP_2)
	v_add_co_ci_u32_e32 v67, vcc_lo, v64, v67, vcc_lo
	global_store_d16_hi_b16 v[66:67], v12, off
.LBB629_131:
	s_or_b32 exec_lo, exec_lo, s16
	s_mov_b32 s16, 0
.LBB629_132:
	s_delay_alu instid0(SALU_CYCLE_1)
	s_and_b32 vcc_lo, exec_lo, s16
	s_cbranch_vccz .LBB629_154
; %bb.133:
	s_mov_b32 s15, exec_lo
	v_cmpx_gt_i16_e32 2, v65
	s_cbranch_execz .LBB629_138
; %bb.134:
	s_mov_b32 s17, 0
	s_mov_b32 s16, exec_lo
	v_cmpx_ne_u16_e32 1, v65
	s_xor_b32 s16, exec_lo, s16
	s_cbranch_execnz .LBB629_205
; %bb.135:
	s_and_not1_saveexec_b32 s0, s16
	s_cbranch_execnz .LBB629_221
.LBB629_136:
	s_or_b32 exec_lo, exec_lo, s0
	s_delay_alu instid0(SALU_CYCLE_1)
	s_and_b32 exec_lo, exec_lo, s17
	s_cbranch_execz .LBB629_138
.LBB629_137:
	v_sub_nc_u32_e32 v1, v15, v7
	s_delay_alu instid0(VALU_DEP_1)
	v_lshlrev_b32_e32 v1, 1, v1
	ds_store_b16_d16_hi v1, v12
.LBB629_138:
	s_or_b32 exec_lo, exec_lo, s15
	s_delay_alu instid0(SALU_CYCLE_1)
	s_mov_b32 s1, exec_lo
	s_waitcnt lgkmcnt(0)
	s_waitcnt_vscnt null, 0x0
	s_barrier
	buffer_gl0_inv
	v_cmpx_lt_u32_e64 v0, v5
	s_cbranch_execz .LBB629_153
; %bb.139:
	v_xad_u32 v2, v0, -1, v5
	v_mov_b32_e32 v1, v0
	s_mov_b32 s0, -1
	s_mov_b32 s3, exec_lo
	s_delay_alu instid0(VALU_DEP_2)
	v_cmp_gt_u32_e64 s2, 0x1900, v2
	v_cmpx_lt_u32_e32 0x18ff, v2
	s_cbranch_execz .LBB629_150
; %bb.140:
	v_sub_nc_u32_e32 v1, v0, v5
	s_delay_alu instid0(VALU_DEP_1) | instskip(NEXT) | instid1(VALU_DEP_1)
	v_or_b32_e32 v1, 0xff, v1
	v_cmp_ge_u32_e32 vcc_lo, v1, v0
	v_mov_b32_e32 v1, v0
	s_and_saveexec_b32 s4, vcc_lo
	s_cbranch_execz .LBB629_149
; %bb.141:
	v_lshrrev_b32_e32 v4, 8, v2
	v_or_b32_e32 v1, 0x100, v0
	v_mov_b32_e32 v66, 0
	s_delay_alu instid0(VALU_DEP_3) | instskip(NEXT) | instid1(VALU_DEP_1)
	v_add_nc_u32_e32 v2, -1, v4
	v_lshrrev_b32_e32 v3, 1, v2
	v_cmp_lt_u32_e32 vcc_lo, 13, v2
	s_delay_alu instid0(VALU_DEP_2)
	v_dual_mov_b32 v3, v1 :: v_dual_add_nc_u32 v12, 1, v3
	v_mov_b32_e32 v2, v0
	s_and_saveexec_b32 s0, vcc_lo
	s_cbranch_execz .LBB629_145
; %bb.142:
	v_mov_b32_e32 v3, v1
	v_dual_mov_b32 v2, v0 :: v_dual_and_b32 v55, -8, v12
	v_lshlrev_b32_e32 v65, 1, v0
	v_mov_b32_e32 v11, 0
	s_mov_b32 s5, 0
	s_mov_b32 s6, 0
.LBB629_143:                            ; =>This Inner Loop Header: Depth=1
	v_dual_mov_b32 v10, v2 :: v_dual_add_nc_u32 v67, 0x200, v3
	s_add_i32 s6, s6, 16
	s_delay_alu instid0(SALU_CYCLE_1) | instskip(SKIP_1) | instid1(VALU_DEP_3)
	v_dual_mov_b32 v66, s6 :: v_dual_add_nc_u32 v55, -8, v55
	v_dual_mov_b32 v68, v11 :: v_dual_add_nc_u32 v69, 0x400, v3
	v_lshlrev_b64 v[81:82], 1, v[10:11]
	v_dual_mov_b32 v70, v11 :: v_dual_add_nc_u32 v71, 0x600, v3
	s_delay_alu instid0(VALU_DEP_4) | instskip(NEXT) | instid1(VALU_DEP_4)
	v_cmp_eq_u32_e32 vcc_lo, 0, v55
	v_lshlrev_b64 v[67:68], 1, v[67:68]
	v_dual_mov_b32 v72, v11 :: v_dual_add_nc_u32 v73, 0x800, v3
	s_delay_alu instid0(VALU_DEP_4)
	v_lshlrev_b64 v[69:70], 1, v[69:70]
	s_or_b32 s5, vcc_lo, s5
	v_add_co_u32 v81, vcc_lo, v6, v81
	v_dual_mov_b32 v74, v11 :: v_dual_add_nc_u32 v75, 0xa00, v3
	v_add_co_ci_u32_e32 v82, vcc_lo, v64, v82, vcc_lo
	v_lshlrev_b64 v[71:72], 1, v[71:72]
	v_add_co_u32 v67, vcc_lo, v6, v67
	v_dual_mov_b32 v76, v11 :: v_dual_add_nc_u32 v77, 0xc00, v3
	v_add_co_ci_u32_e32 v68, vcc_lo, v64, v68, vcc_lo
	v_lshlrev_b64 v[73:74], 1, v[73:74]
	;; [unrolled: 4-line block ×3, first 2 shown]
	v_add_co_u32 v71, vcc_lo, v6, v71
	v_mov_b32_e32 v80, v11
	v_dual_mov_b32 v10, v3 :: v_dual_add_nc_u32 v3, 0x1000, v3
	v_add_co_ci_u32_e32 v72, vcc_lo, v64, v72, vcc_lo
	v_lshlrev_b64 v[77:78], 1, v[77:78]
	v_add_co_u32 v73, vcc_lo, v6, v73
	ds_load_u16 v1, v65
	ds_load_u16 v87, v65 offset:512
	ds_load_u16 v88, v65 offset:1024
	;; [unrolled: 1-line block ×7, first 2 shown]
	v_add_co_ci_u32_e32 v74, vcc_lo, v64, v74, vcc_lo
	ds_load_u16 v94, v65 offset:4096
	ds_load_u16 v95, v65 offset:4608
	;; [unrolled: 1-line block ×8, first 2 shown]
	v_add_nc_u32_e32 v65, 0x2000, v65
	v_lshlrev_b64 v[79:80], 1, v[79:80]
	v_add_co_u32 v75, vcc_lo, v6, v75
	v_lshlrev_b64 v[83:84], 1, v[10:11]
	v_add_nc_u32_e32 v10, 0x200, v2
	v_add_co_ci_u32_e32 v76, vcc_lo, v64, v76, vcc_lo
	v_add_co_u32 v77, vcc_lo, v6, v77
	v_add_co_ci_u32_e32 v78, vcc_lo, v64, v78, vcc_lo
	v_add_co_u32 v79, vcc_lo, v6, v79
	v_lshlrev_b64 v[85:86], 1, v[10:11]
	v_add_nc_u32_e32 v10, 0x400, v2
	v_add_co_ci_u32_e32 v80, vcc_lo, v64, v80, vcc_lo
	v_add_co_u32 v83, vcc_lo, v6, v83
	v_add_co_ci_u32_e32 v84, vcc_lo, v64, v84, vcc_lo
	s_waitcnt lgkmcnt(15)
	global_store_b16 v[81:82], v1, off
	v_lshlrev_b64 v[81:82], 1, v[10:11]
	v_add_nc_u32_e32 v10, 0x600, v2
	v_add_co_u32 v85, vcc_lo, v6, v85
	v_add_co_ci_u32_e32 v86, vcc_lo, v64, v86, vcc_lo
	s_waitcnt lgkmcnt(14)
	global_store_b16 v[83:84], v87, off
	v_lshlrev_b64 v[83:84], 1, v[10:11]
	v_add_nc_u32_e32 v10, 0x800, v2
	s_waitcnt lgkmcnt(13)
	global_store_b16 v[85:86], v88, off
	s_waitcnt lgkmcnt(12)
	global_store_b16 v[67:68], v89, off
	v_add_co_u32 v67, vcc_lo, v6, v81
	v_add_co_ci_u32_e32 v68, vcc_lo, v64, v82, vcc_lo
	v_lshlrev_b64 v[81:82], 1, v[10:11]
	v_add_nc_u32_e32 v10, 0xa00, v2
	v_add_co_u32 v83, vcc_lo, v6, v83
	v_add_co_ci_u32_e32 v84, vcc_lo, v64, v84, vcc_lo
	s_waitcnt lgkmcnt(11)
	global_store_b16 v[67:68], v90, off
	s_waitcnt lgkmcnt(10)
	global_store_b16 v[69:70], v91, off
	v_lshlrev_b64 v[67:68], 1, v[10:11]
	v_add_nc_u32_e32 v10, 0xc00, v2
	v_add_co_u32 v69, vcc_lo, v6, v81
	s_waitcnt lgkmcnt(9)
	global_store_b16 v[83:84], v92, off
	s_waitcnt lgkmcnt(8)
	global_store_b16 v[71:72], v93, off
	v_add_co_ci_u32_e32 v70, vcc_lo, v64, v82, vcc_lo
	v_lshlrev_b64 v[71:72], 1, v[10:11]
	v_add_nc_u32_e32 v10, 0xe00, v2
	v_add_co_u32 v67, vcc_lo, v6, v67
	v_add_co_ci_u32_e32 v68, vcc_lo, v64, v68, vcc_lo
	s_waitcnt lgkmcnt(7)
	global_store_b16 v[69:70], v94, off
	s_waitcnt lgkmcnt(6)
	global_store_b16 v[73:74], v95, off
	v_lshlrev_b64 v[69:70], 1, v[10:11]
	v_add_nc_u32_e32 v2, 0x1000, v2
	s_waitcnt lgkmcnt(5)
	global_store_b16 v[67:68], v96, off
	v_add_co_u32 v67, vcc_lo, v6, v71
	v_add_co_ci_u32_e32 v68, vcc_lo, v64, v72, vcc_lo
	v_add_co_u32 v69, vcc_lo, v6, v69
	v_add_co_ci_u32_e32 v70, vcc_lo, v64, v70, vcc_lo
	s_waitcnt lgkmcnt(4)
	global_store_b16 v[75:76], v97, off
	s_waitcnt lgkmcnt(3)
	global_store_b16 v[67:68], v98, off
	;; [unrolled: 2-line block ×5, first 2 shown]
	s_and_not1_b32 exec_lo, exec_lo, s5
	s_cbranch_execnz .LBB629_143
; %bb.144:
	s_or_b32 exec_lo, exec_lo, s5
.LBB629_145:
	s_delay_alu instid0(SALU_CYCLE_1) | instskip(SKIP_3) | instid1(VALU_DEP_1)
	s_or_b32 exec_lo, exec_lo, s0
	v_and_b32_e32 v1, 7, v12
	s_mov_b32 s6, 0
	s_mov_b32 s5, exec_lo
	v_cmpx_ne_u32_e32 0, v1
	s_cbranch_execz .LBB629_148
; %bb.146:
	v_dual_mov_b32 v11, 0 :: v_dual_lshlrev_b32 v10, 1, v0
	s_delay_alu instid0(VALU_DEP_1)
	v_lshl_or_b32 v12, v66, 9, v10
	s_set_inst_prefetch_distance 0x1
	.p2align	6
.LBB629_147:                            ; =>This Inner Loop Header: Depth=1
	v_dual_mov_b32 v10, v2 :: v_dual_add_nc_u32 v1, -1, v1
	ds_load_u16 v55, v12
	ds_load_u16 v69, v12 offset:512
	v_add_nc_u32_e32 v2, 0x200, v2
	v_add_nc_u32_e32 v12, 0x400, v12
	v_lshlrev_b64 v[65:66], 1, v[10:11]
	v_dual_mov_b32 v10, v3 :: v_dual_add_nc_u32 v3, 0x200, v3
	v_cmp_eq_u32_e32 vcc_lo, 0, v1
	s_delay_alu instid0(VALU_DEP_2) | instskip(NEXT) | instid1(VALU_DEP_4)
	v_lshlrev_b64 v[67:68], 1, v[10:11]
	v_add_co_u32 v65, s0, v6, v65
	s_delay_alu instid0(VALU_DEP_1) | instskip(SKIP_1) | instid1(VALU_DEP_3)
	v_add_co_ci_u32_e64 v66, s0, v64, v66, s0
	s_or_b32 s6, vcc_lo, s6
	v_add_co_u32 v67, s0, v6, v67
	s_delay_alu instid0(VALU_DEP_1)
	v_add_co_ci_u32_e64 v68, s0, v64, v68, s0
	s_waitcnt lgkmcnt(1)
	global_store_b16 v[65:66], v55, off
	s_waitcnt lgkmcnt(0)
	global_store_b16 v[67:68], v69, off
	s_and_not1_b32 exec_lo, exec_lo, s6
	s_cbranch_execnz .LBB629_147
.LBB629_148:
	s_set_inst_prefetch_distance 0x2
	s_or_b32 exec_lo, exec_lo, s5
	v_add_nc_u32_e32 v1, 1, v4
	s_delay_alu instid0(VALU_DEP_1) | instskip(NEXT) | instid1(VALU_DEP_1)
	v_and_b32_e32 v2, 0x1fffffe, v1
	v_cmp_ne_u32_e32 vcc_lo, v1, v2
	v_lshl_or_b32 v1, v2, 8, v0
	s_or_not1_b32 s0, vcc_lo, exec_lo
.LBB629_149:
	s_or_b32 exec_lo, exec_lo, s4
	s_delay_alu instid0(SALU_CYCLE_1) | instskip(SKIP_1) | instid1(SALU_CYCLE_1)
	s_and_not1_b32 s2, s2, exec_lo
	s_and_b32 s0, s0, exec_lo
	s_or_b32 s2, s2, s0
.LBB629_150:
	s_or_b32 exec_lo, exec_lo, s3
	s_delay_alu instid0(VALU_DEP_2) | instid1(SALU_CYCLE_1)
	s_and_b32 exec_lo, exec_lo, s2
	s_cbranch_execz .LBB629_153
; %bb.151:
	v_dual_mov_b32 v2, 0 :: v_dual_lshlrev_b32 v3, 1, v1
	s_mov_b32 s2, 0
	.p2align	6
.LBB629_152:                            ; =>This Inner Loop Header: Depth=1
	ds_load_u16 v4, v3
	v_lshlrev_b64 v[10:11], 1, v[1:2]
	v_add_nc_u32_e32 v1, 0x100, v1
	v_add_nc_u32_e32 v3, 0x200, v3
	s_delay_alu instid0(VALU_DEP_2) | instskip(NEXT) | instid1(VALU_DEP_4)
	v_cmp_ge_u32_e32 vcc_lo, v1, v5
	v_add_co_u32 v10, s0, v6, v10
	s_delay_alu instid0(VALU_DEP_1)
	v_add_co_ci_u32_e64 v11, s0, v64, v11, s0
	s_or_b32 s2, vcc_lo, s2
	s_waitcnt lgkmcnt(0)
	global_store_b16 v[10:11], v4, off
	s_and_not1_b32 exec_lo, exec_lo, s2
	s_cbranch_execnz .LBB629_152
.LBB629_153:
	s_or_b32 exec_lo, exec_lo, s1
.LBB629_154:
	s_cmpk_lg_i32 s19, 0xf00
	v_cmp_eq_u32_e32 vcc_lo, 0, v0
	s_cselect_b32 s0, -1, 0
	v_cndmask_b32_e64 v2, 0, 1, s20
	s_and_b32 s0, s18, s0
	v_mad_i32_i24 v6, v0, -15, s19
	v_cndmask_b32_e64 v1, 0, 1, s0
	s_mul_hi_u32 s0, s19, 0x88888889
	s_and_b32 s1, vcc_lo, s20
	s_lshr_b32 s0, s0, 3
	v_sub_nc_u32_e32 v3, v5, v2
	v_cndmask_b32_e64 v10, v63, 0, s1
	v_cmp_eq_u32_e32 vcc_lo, s0, v0
	v_cmp_ne_u32_e64 s0, 0, v6
	s_mov_b32 s16, -1
	s_waitcnt_vscnt null, 0x0
	s_barrier
	s_and_b32 vcc_lo, s18, vcc_lo
	v_add_nc_u32_e32 v4, v3, v1
	v_cndmask_b32_e64 v3, 1, v10, s0
	v_cmp_ne_u32_e64 s0, 1, v6
	buffer_gl0_inv
	v_cndmask_b32_e32 v64, v10, v3, vcc_lo
	v_cndmask_b32_e64 v11, 1, v61, s0
	v_cmp_ne_u32_e64 s0, 14, v6
	s_delay_alu instid0(VALU_DEP_2) | instskip(NEXT) | instid1(VALU_DEP_2)
	v_cndmask_b32_e32 v61, v61, v11, vcc_lo
	v_cndmask_b32_e64 v12, 1, v52, s0
	v_cmp_ne_u32_e64 s0, 2, v6
	s_delay_alu instid0(VALU_DEP_3) | instskip(NEXT) | instid1(VALU_DEP_2)
	v_cmp_ne_u32_e64 s13, 0, v61
	v_cndmask_b32_e64 v55, 1, v60, s0
	v_cmp_ne_u32_e64 s0, 3, v6
	s_delay_alu instid0(VALU_DEP_2) | instskip(NEXT) | instid1(VALU_DEP_2)
	v_cndmask_b32_e32 v55, v60, v55, vcc_lo
	v_cndmask_b32_e64 v63, 1, v59, s0
	v_cmp_ne_u32_e64 s0, 4, v6
	s_delay_alu instid0(VALU_DEP_2) | instskip(NEXT) | instid1(VALU_DEP_2)
	v_dual_cndmask_b32 v52, v52, v12 :: v_dual_cndmask_b32 v59, v59, v63
	v_cndmask_b32_e64 v3, 1, v58, s0
	v_cmp_ne_u32_e64 s0, 5, v6
	s_delay_alu instid0(VALU_DEP_3) | instskip(NEXT) | instid1(VALU_DEP_2)
	v_cmp_ne_u32_e64 s11, 0, v59
	v_cndmask_b32_e64 v10, 1, v57, s0
	v_cmp_eq_u32_e64 s0, 0, v64
	s_delay_alu instid0(VALU_DEP_2) | instskip(NEXT) | instid1(VALU_DEP_2)
	v_dual_cndmask_b32 v58, v58, v3 :: v_dual_cndmask_b32 v57, v57, v10
	v_cndmask_b32_e64 v11, 1, 2, s0
	v_cmp_eq_u32_e64 s0, 0, v61
	s_delay_alu instid0(VALU_DEP_3) | instskip(NEXT) | instid1(VALU_DEP_4)
	v_cmp_ne_u32_e64 s10, 0, v58
	v_cmp_ne_u32_e64 s9, 0, v57
	s_delay_alu instid0(VALU_DEP_3) | instskip(SKIP_1) | instid1(VALU_DEP_2)
	v_cndmask_b32_e64 v12, 1, 2, s0
	v_cmp_ne_u32_e64 s0, 6, v6
	v_and_b32_e32 v11, v12, v11
	s_delay_alu instid0(VALU_DEP_2) | instskip(SKIP_1) | instid1(VALU_DEP_1)
	v_cndmask_b32_e64 v60, 1, v56, s0
	v_cmp_eq_u32_e64 s0, 0, v55
	v_cndmask_b32_e64 v12, 1, 2, s0
	v_cmp_ne_u32_e64 s0, 7, v6
	s_delay_alu instid0(VALU_DEP_2) | instskip(NEXT) | instid1(VALU_DEP_2)
	v_and_b32_e32 v11, v11, v12
	v_cndmask_b32_e64 v63, 1, v54, s0
	v_cmp_ne_u32_e64 s0, 8, v6
	v_cmp_ne_u32_e64 s14, 0, v64
	s_delay_alu instid0(VALU_DEP_2) | instskip(SKIP_1) | instid1(VALU_DEP_2)
	v_cndmask_b32_e64 v65, 1, v53, s0
	v_cmp_eq_u32_e64 s0, 0, v59
	v_dual_cndmask_b32 v56, v56, v60 :: v_dual_cndmask_b32 v53, v53, v65
	s_delay_alu instid0(VALU_DEP_2) | instskip(SKIP_1) | instid1(VALU_DEP_3)
	v_cndmask_b32_e64 v12, 1, 2, s0
	v_cmp_ne_u32_e64 s0, 9, v6
	v_cmp_ne_u32_e64 s8, 0, v56
	s_delay_alu instid0(VALU_DEP_4) | instskip(NEXT) | instid1(VALU_DEP_4)
	v_cmp_ne_u32_e64 s6, 0, v53
	v_and_b32_e32 v10, v11, v12
	s_delay_alu instid0(VALU_DEP_4) | instskip(SKIP_2) | instid1(VALU_DEP_3)
	v_cndmask_b32_e64 v3, 1, v51, s0
	v_cmp_eq_u32_e64 s0, 0, v58
	v_cmp_ne_u32_e64 s12, 0, v55
	v_cndmask_b32_e32 v51, v51, v3, vcc_lo
	s_delay_alu instid0(VALU_DEP_3) | instskip(SKIP_1) | instid1(VALU_DEP_3)
	v_cndmask_b32_e64 v11, 1, 2, s0
	v_cmp_ne_u32_e64 s0, 10, v6
	v_cmp_ne_u32_e64 s5, 0, v51
	s_delay_alu instid0(VALU_DEP_3) | instskip(NEXT) | instid1(VALU_DEP_3)
	v_and_b32_e32 v10, v10, v11
	v_cndmask_b32_e64 v12, 1, v50, s0
	v_cmp_ne_u32_e64 s0, 12, v6
	s_delay_alu instid0(VALU_DEP_2) | instskip(NEXT) | instid1(VALU_DEP_2)
	v_cndmask_b32_e32 v50, v50, v12, vcc_lo
	v_cndmask_b32_e64 v66, 1, v48, s0
	v_cmp_eq_u32_e64 s0, 0, v57
	s_delay_alu instid0(VALU_DEP_3) | instskip(NEXT) | instid1(VALU_DEP_3)
	v_cmp_ne_u32_e64 s4, 0, v50
	v_cndmask_b32_e32 v48, v48, v66, vcc_lo
	s_delay_alu instid0(VALU_DEP_3) | instskip(SKIP_1) | instid1(VALU_DEP_3)
	v_cndmask_b32_e64 v11, 1, 2, s0
	v_cmp_ne_u32_e64 s0, 13, v6
	v_cmp_ne_u32_e64 s2, 0, v48
	s_delay_alu instid0(VALU_DEP_2) | instskip(SKIP_1) | instid1(VALU_DEP_2)
	v_cndmask_b32_e64 v60, 1, v47, s0
	v_cmp_eq_u32_e64 s0, 0, v56
	v_dual_cndmask_b32 v47, v47, v60 :: v_dual_and_b32 v10, v10, v11
	s_delay_alu instid0(VALU_DEP_2) | instskip(SKIP_1) | instid1(VALU_DEP_3)
	v_cndmask_b32_e64 v11, 1, 2, s0
	v_cmp_ne_u32_e64 s0, 11, v6
	v_cmp_ne_u32_e64 s1, 0, v47
	s_delay_alu instid0(VALU_DEP_3) | instskip(NEXT) | instid1(VALU_DEP_3)
	v_and_b32_e32 v10, v10, v11
	v_cndmask_b32_e64 v6, 1, v49, s0
	s_delay_alu instid0(VALU_DEP_1) | instskip(NEXT) | instid1(VALU_DEP_1)
	v_dual_cndmask_b32 v54, v54, v63 :: v_dual_cndmask_b32 v49, v49, v6
	v_cmp_eq_u32_e64 s0, 0, v54
	v_cmp_eq_u32_e32 vcc_lo, 0, v53
	v_cmp_ne_u32_e64 s7, 0, v54
	s_delay_alu instid0(VALU_DEP_4) | instskip(NEXT) | instid1(VALU_DEP_4)
	v_cmp_ne_u32_e64 s3, 0, v49
	v_cndmask_b32_e64 v11, 1, 2, s0
	v_cndmask_b32_e64 v6, 1, 2, vcc_lo
	v_cmp_ne_u32_e64 s0, 0, v52
	s_delay_alu instid0(VALU_DEP_3) | instskip(SKIP_3) | instid1(VALU_DEP_4)
	v_and_b32_e32 v3, v10, v11
	v_add_co_u32 v10, vcc_lo, s36, v45
	v_add_co_ci_u32_e32 v11, vcc_lo, s37, v46, vcc_lo
	v_cmp_eq_u32_e32 vcc_lo, 0, v51
	v_and_b32_e32 v3, v3, v6
	v_cndmask_b32_e64 v6, 1, 2, vcc_lo
	v_add_co_u32 v10, vcc_lo, v10, v8
	v_add_co_ci_u32_e32 v11, vcc_lo, v11, v9, vcc_lo
	v_lshlrev_b32_e32 v8, 1, v2
	v_cmp_eq_u32_e32 vcc_lo, 0, v50
	v_and_b32_e32 v3, v3, v6
	v_cndmask_b32_e64 v6, 1, 2, vcc_lo
	s_delay_alu instid0(VALU_DEP_4) | instskip(SKIP_2) | instid1(VALU_DEP_4)
	v_add_co_u32 v8, vcc_lo, v8, v10
	v_add_co_ci_u32_e32 v9, vcc_lo, 0, v11, vcc_lo
	v_cmp_eq_u32_e32 vcc_lo, 0, v49
	v_and_b32_e32 v45, v3, v6
	v_add_nc_u32_e32 v3, v7, v2
	v_cndmask_b32_e64 v46, 1, 2, vcc_lo
	v_add_co_u32 v6, vcc_lo, v8, -2
	v_add_co_ci_u32_e32 v12, vcc_lo, -1, v9, vcc_lo
	v_cmp_eq_u32_e32 vcc_lo, 0, v48
	s_delay_alu instid0(VALU_DEP_4) | instskip(SKIP_2) | instid1(VALU_DEP_2)
	v_and_b32_e32 v8, v45, v46
	v_cndmask_b32_e64 v9, 1, 2, vcc_lo
	v_cmp_eq_u32_e32 vcc_lo, 0, v47
	v_and_b32_e32 v8, v8, v9
	v_cndmask_b32_e64 v9, 1, 2, vcc_lo
	v_cmp_eq_u32_e32 vcc_lo, 0, v52
	s_delay_alu instid0(VALU_DEP_2) | instskip(SKIP_2) | instid1(VALU_DEP_2)
	v_and_b32_e32 v8, v8, v9
	v_cndmask_b32_e64 v9, 1, 2, vcc_lo
	v_cmp_gt_u32_e32 vcc_lo, 0x100, v4
	v_and_b32_e32 v8, v8, v9
	s_delay_alu instid0(VALU_DEP_1)
	v_cmp_gt_i16_e64 s15, 2, v8
	s_cbranch_vccnz .LBB629_158
; %bb.155:
	s_and_b32 vcc_lo, exec_lo, s16
	s_cbranch_vccnz .LBB629_164
.LBB629_156:
	v_cmp_eq_u32_e32 vcc_lo, 0xff, v0
	s_and_b32 s0, vcc_lo, s18
	s_delay_alu instid0(SALU_CYCLE_1)
	s_and_saveexec_b32 s1, s0
	s_cbranch_execnz .LBB629_185
.LBB629_157:
	s_nop 0
	s_sendmsg sendmsg(MSG_DEALLOC_VGPRS)
	s_endpgm
.LBB629_158:
	s_delay_alu instid0(VALU_DEP_1)
	s_and_saveexec_b32 s16, s15
	s_cbranch_execz .LBB629_163
; %bb.159:
	s_mov_b32 s17, 0
	s_mov_b32 s15, exec_lo
	v_cmpx_ne_u16_e32 1, v8
	s_xor_b32 s15, exec_lo, s15
	s_cbranch_execnz .LBB629_222
; %bb.160:
	s_and_not1_saveexec_b32 s15, s15
	s_cbranch_execnz .LBB629_238
.LBB629_161:
	s_or_b32 exec_lo, exec_lo, s15
	s_delay_alu instid0(SALU_CYCLE_1)
	s_and_b32 exec_lo, exec_lo, s17
	s_cbranch_execz .LBB629_163
.LBB629_162:
	v_sub_nc_u32_e32 v45, v15, v3
	v_mov_b32_e32 v46, 0
	s_delay_alu instid0(VALU_DEP_1) | instskip(NEXT) | instid1(VALU_DEP_1)
	v_lshlrev_b64 v[45:46], 1, v[45:46]
	v_add_co_u32 v45, vcc_lo, v6, v45
	s_delay_alu instid0(VALU_DEP_2)
	v_add_co_ci_u32_e32 v46, vcc_lo, v12, v46, vcc_lo
	global_store_b16 v[45:46], v16, off
.LBB629_163:
	s_or_b32 exec_lo, exec_lo, s16
	s_branch .LBB629_156
.LBB629_164:
	s_mov_b32 s15, exec_lo
	v_cmpx_gt_i16_e32 2, v8
	s_cbranch_execz .LBB629_169
; %bb.165:
	s_mov_b32 s17, 0
	s_mov_b32 s16, exec_lo
	v_cmpx_ne_u16_e32 1, v8
	s_xor_b32 s16, exec_lo, s16
	s_cbranch_execnz .LBB629_239
; %bb.166:
	s_and_not1_saveexec_b32 s0, s16
	s_cbranch_execnz .LBB629_255
.LBB629_167:
	s_or_b32 exec_lo, exec_lo, s0
	s_delay_alu instid0(SALU_CYCLE_1)
	s_and_b32 exec_lo, exec_lo, s17
	s_cbranch_execz .LBB629_169
.LBB629_168:
	v_sub_nc_u32_e32 v3, v15, v3
	s_delay_alu instid0(VALU_DEP_1)
	v_lshlrev_b32_e32 v3, 1, v3
	ds_store_b16 v3, v16
.LBB629_169:
	s_or_b32 exec_lo, exec_lo, s15
	s_delay_alu instid0(SALU_CYCLE_1)
	s_mov_b32 s1, exec_lo
	s_waitcnt lgkmcnt(0)
	s_waitcnt_vscnt null, 0x0
	s_barrier
	buffer_gl0_inv
	v_cmpx_lt_u32_e64 v0, v4
	s_cbranch_execz .LBB629_184
; %bb.170:
	v_add_nc_u32_e32 v8, v5, v1
	s_mov_b32 s0, -1
	s_mov_b32 s3, exec_lo
	s_delay_alu instid0(VALU_DEP_1) | instskip(NEXT) | instid1(VALU_DEP_1)
	v_xad_u32 v1, v0, -1, v8
	v_sub_nc_u32_e32 v3, v1, v2
	v_mov_b32_e32 v1, v0
	s_delay_alu instid0(VALU_DEP_2)
	v_cmp_gt_u32_e64 s2, 0x1b00, v3
	v_cmpx_lt_u32_e32 0x1aff, v3
	s_cbranch_execz .LBB629_181
; %bb.171:
	v_sub_nc_u32_e32 v1, v0, v8
	s_delay_alu instid0(VALU_DEP_1) | instskip(NEXT) | instid1(VALU_DEP_1)
	v_add_nc_u32_e32 v1, v1, v2
	v_or_b32_e32 v1, 0xff, v1
	s_delay_alu instid0(VALU_DEP_1)
	v_cmp_ge_u32_e32 vcc_lo, v1, v0
	v_mov_b32_e32 v1, v0
	s_and_saveexec_b32 s4, vcc_lo
	s_cbranch_execz .LBB629_180
; %bb.172:
	v_lshrrev_b32_e32 v15, 8, v3
	v_or_b32_e32 v1, 0x100, v0
	v_lshlrev_b32_e32 v16, 1, v0
	s_delay_alu instid0(VALU_DEP_3) | instskip(NEXT) | instid1(VALU_DEP_1)
	v_add_nc_u32_e32 v2, -1, v15
	v_lshrrev_b32_e32 v3, 1, v2
	v_mov_b32_e32 v20, 0
	v_cmp_lt_u32_e32 vcc_lo, 13, v2
	s_delay_alu instid0(VALU_DEP_3)
	v_add_nc_u32_e32 v17, 1, v3
	v_dual_mov_b32 v3, v1 :: v_dual_mov_b32 v2, v0
	s_and_saveexec_b32 s0, vcc_lo
	s_cbranch_execz .LBB629_176
; %bb.173:
	s_delay_alu instid0(VALU_DEP_2)
	v_dual_mov_b32 v9, 0 :: v_dual_and_b32 v18, -8, v17
	v_mov_b32_e32 v19, v16
	v_dual_mov_b32 v3, v1 :: v_dual_mov_b32 v2, v0
	s_mov_b32 s5, 0
	s_mov_b32 s6, 0
.LBB629_174:                            ; =>This Inner Loop Header: Depth=1
	s_delay_alu instid0(VALU_DEP_1) | instskip(SKIP_2) | instid1(VALU_DEP_3)
	v_dual_mov_b32 v8, v2 :: v_dual_add_nc_u32 v21, 0x200, v3
	v_add_nc_u32_e32 v18, -8, v18
	v_dual_mov_b32 v22, v9 :: v_dual_add_nc_u32 v23, 0x400, v3
	v_lshlrev_b64 v[35:36], 1, v[8:9]
	v_dual_mov_b32 v24, v9 :: v_dual_add_nc_u32 v25, 0x600, v3
	s_delay_alu instid0(VALU_DEP_4) | instskip(NEXT) | instid1(VALU_DEP_4)
	v_cmp_eq_u32_e32 vcc_lo, 0, v18
	v_lshlrev_b64 v[21:22], 1, v[21:22]
	v_dual_mov_b32 v26, v9 :: v_dual_add_nc_u32 v27, 0x800, v3
	s_add_i32 s6, s6, 16
	v_lshlrev_b64 v[23:24], 1, v[23:24]
	s_or_b32 s5, vcc_lo, s5
	v_add_co_u32 v35, vcc_lo, v6, v35
	v_dual_mov_b32 v28, v9 :: v_dual_add_nc_u32 v29, 0xa00, v3
	v_add_co_ci_u32_e32 v36, vcc_lo, v12, v36, vcc_lo
	v_lshlrev_b64 v[25:26], 1, v[25:26]
	v_add_co_u32 v21, vcc_lo, v6, v21
	v_dual_mov_b32 v30, v9 :: v_dual_add_nc_u32 v31, 0xc00, v3
	v_add_co_ci_u32_e32 v22, vcc_lo, v12, v22, vcc_lo
	v_lshlrev_b64 v[27:28], 1, v[27:28]
	;; [unrolled: 4-line block ×3, first 2 shown]
	v_add_co_u32 v25, vcc_lo, v6, v25
	v_mov_b32_e32 v34, v9
	v_mov_b32_e32 v8, v3
	v_add_co_ci_u32_e32 v26, vcc_lo, v12, v26, vcc_lo
	v_lshlrev_b64 v[31:32], 1, v[31:32]
	v_add_co_u32 v27, vcc_lo, v6, v27
	ds_load_u16 v1, v19
	ds_load_u16 v41, v19 offset:512
	ds_load_u16 v42, v19 offset:1024
	ds_load_u16 v43, v19 offset:1536
	ds_load_u16 v44, v19 offset:2048
	ds_load_u16 v45, v19 offset:2560
	ds_load_u16 v46, v19 offset:3072
	ds_load_u16 v47, v19 offset:3584
	v_add_co_ci_u32_e32 v28, vcc_lo, v12, v28, vcc_lo
	ds_load_u16 v48, v19 offset:4096
	ds_load_u16 v49, v19 offset:4608
	;; [unrolled: 1-line block ×8, first 2 shown]
	v_add_nc_u32_e32 v19, 0x2000, v19
	v_lshlrev_b64 v[33:34], 1, v[33:34]
	v_add_co_u32 v29, vcc_lo, v6, v29
	v_lshlrev_b64 v[37:38], 1, v[8:9]
	v_add_nc_u32_e32 v8, 0x200, v2
	v_add_co_ci_u32_e32 v30, vcc_lo, v12, v30, vcc_lo
	v_add_co_u32 v31, vcc_lo, v6, v31
	v_add_co_ci_u32_e32 v32, vcc_lo, v12, v32, vcc_lo
	v_add_co_u32 v33, vcc_lo, v6, v33
	v_lshlrev_b64 v[39:40], 1, v[8:9]
	v_add_nc_u32_e32 v8, 0x400, v2
	v_add_co_ci_u32_e32 v34, vcc_lo, v12, v34, vcc_lo
	v_add_co_u32 v37, vcc_lo, v6, v37
	v_add_co_ci_u32_e32 v38, vcc_lo, v12, v38, vcc_lo
	s_waitcnt lgkmcnt(15)
	global_store_b16 v[35:36], v1, off
	v_lshlrev_b64 v[35:36], 1, v[8:9]
	v_add_nc_u32_e32 v8, 0x600, v2
	v_add_co_u32 v39, vcc_lo, v6, v39
	v_add_co_ci_u32_e32 v40, vcc_lo, v12, v40, vcc_lo
	s_waitcnt lgkmcnt(14)
	global_store_b16 v[37:38], v41, off
	v_lshlrev_b64 v[37:38], 1, v[8:9]
	v_add_nc_u32_e32 v8, 0x800, v2
	s_waitcnt lgkmcnt(13)
	global_store_b16 v[39:40], v42, off
	s_waitcnt lgkmcnt(12)
	global_store_b16 v[21:22], v43, off
	v_add_co_u32 v21, vcc_lo, v6, v35
	v_add_co_ci_u32_e32 v22, vcc_lo, v12, v36, vcc_lo
	v_lshlrev_b64 v[35:36], 1, v[8:9]
	v_add_nc_u32_e32 v8, 0xa00, v2
	v_add_co_u32 v37, vcc_lo, v6, v37
	v_add_co_ci_u32_e32 v38, vcc_lo, v12, v38, vcc_lo
	s_waitcnt lgkmcnt(11)
	global_store_b16 v[21:22], v44, off
	s_waitcnt lgkmcnt(10)
	global_store_b16 v[23:24], v45, off
	v_lshlrev_b64 v[21:22], 1, v[8:9]
	v_add_nc_u32_e32 v8, 0xc00, v2
	v_add_co_u32 v23, vcc_lo, v6, v35
	s_waitcnt lgkmcnt(9)
	global_store_b16 v[37:38], v46, off
	s_waitcnt lgkmcnt(8)
	global_store_b16 v[25:26], v47, off
	v_add_co_ci_u32_e32 v24, vcc_lo, v12, v36, vcc_lo
	v_lshlrev_b64 v[25:26], 1, v[8:9]
	v_add_nc_u32_e32 v8, 0xe00, v2
	v_add_co_u32 v21, vcc_lo, v6, v21
	v_add_co_ci_u32_e32 v22, vcc_lo, v12, v22, vcc_lo
	s_waitcnt lgkmcnt(7)
	global_store_b16 v[23:24], v48, off
	s_waitcnt lgkmcnt(6)
	global_store_b16 v[27:28], v49, off
	v_lshlrev_b64 v[23:24], 1, v[8:9]
	v_dual_mov_b32 v20, s6 :: v_dual_add_nc_u32 v3, 0x1000, v3
	s_waitcnt lgkmcnt(5)
	global_store_b16 v[21:22], v50, off
	v_add_co_u32 v21, vcc_lo, v6, v25
	v_add_nc_u32_e32 v2, 0x1000, v2
	v_add_co_ci_u32_e32 v22, vcc_lo, v12, v26, vcc_lo
	v_add_co_u32 v23, vcc_lo, v6, v23
	v_add_co_ci_u32_e32 v24, vcc_lo, v12, v24, vcc_lo
	s_waitcnt lgkmcnt(4)
	global_store_b16 v[29:30], v51, off
	s_waitcnt lgkmcnt(3)
	global_store_b16 v[21:22], v52, off
	s_waitcnt lgkmcnt(2)
	global_store_b16 v[31:32], v53, off
	s_waitcnt lgkmcnt(1)
	global_store_b16 v[23:24], v54, off
	s_waitcnt lgkmcnt(0)
	global_store_b16 v[33:34], v55, off
	s_and_not1_b32 exec_lo, exec_lo, s5
	s_cbranch_execnz .LBB629_174
; %bb.175:
	s_or_b32 exec_lo, exec_lo, s5
.LBB629_176:
	s_delay_alu instid0(SALU_CYCLE_1) | instskip(SKIP_3) | instid1(VALU_DEP_1)
	s_or_b32 exec_lo, exec_lo, s0
	v_and_b32_e32 v1, 7, v17
	s_mov_b32 s6, 0
	s_mov_b32 s5, exec_lo
	v_cmpx_ne_u32_e32 0, v1
	s_cbranch_execz .LBB629_179
; %bb.177:
	v_lshl_or_b32 v16, v20, 9, v16
	v_mov_b32_e32 v9, 0
	s_set_inst_prefetch_distance 0x1
	.p2align	6
.LBB629_178:                            ; =>This Inner Loop Header: Depth=1
	v_dual_mov_b32 v8, v2 :: v_dual_add_nc_u32 v1, -1, v1
	ds_load_u16 v21, v16
	ds_load_u16 v22, v16 offset:512
	v_add_nc_u32_e32 v2, 0x200, v2
	v_add_nc_u32_e32 v16, 0x400, v16
	v_lshlrev_b64 v[17:18], 1, v[8:9]
	v_dual_mov_b32 v8, v3 :: v_dual_add_nc_u32 v3, 0x200, v3
	v_cmp_eq_u32_e32 vcc_lo, 0, v1
	s_delay_alu instid0(VALU_DEP_2) | instskip(NEXT) | instid1(VALU_DEP_4)
	v_lshlrev_b64 v[19:20], 1, v[8:9]
	v_add_co_u32 v17, s0, v6, v17
	s_delay_alu instid0(VALU_DEP_1) | instskip(SKIP_1) | instid1(VALU_DEP_3)
	v_add_co_ci_u32_e64 v18, s0, v12, v18, s0
	s_or_b32 s6, vcc_lo, s6
	v_add_co_u32 v19, s0, v6, v19
	s_delay_alu instid0(VALU_DEP_1)
	v_add_co_ci_u32_e64 v20, s0, v12, v20, s0
	s_waitcnt lgkmcnt(1)
	global_store_b16 v[17:18], v21, off
	s_waitcnt lgkmcnt(0)
	global_store_b16 v[19:20], v22, off
	s_and_not1_b32 exec_lo, exec_lo, s6
	s_cbranch_execnz .LBB629_178
.LBB629_179:
	s_set_inst_prefetch_distance 0x2
	s_or_b32 exec_lo, exec_lo, s5
	v_add_nc_u32_e32 v1, 1, v15
	s_delay_alu instid0(VALU_DEP_1) | instskip(NEXT) | instid1(VALU_DEP_1)
	v_and_b32_e32 v2, 0x1fffffe, v1
	v_cmp_ne_u32_e32 vcc_lo, v1, v2
	v_lshl_or_b32 v1, v2, 8, v0
	s_or_not1_b32 s0, vcc_lo, exec_lo
.LBB629_180:
	s_or_b32 exec_lo, exec_lo, s4
	s_delay_alu instid0(SALU_CYCLE_1) | instskip(SKIP_1) | instid1(SALU_CYCLE_1)
	s_and_not1_b32 s2, s2, exec_lo
	s_and_b32 s0, s0, exec_lo
	s_or_b32 s2, s2, s0
.LBB629_181:
	s_or_b32 exec_lo, exec_lo, s3
	s_delay_alu instid0(VALU_DEP_2) | instid1(SALU_CYCLE_1)
	s_and_b32 exec_lo, exec_lo, s2
	s_cbranch_execz .LBB629_184
; %bb.182:
	v_dual_mov_b32 v2, 0 :: v_dual_lshlrev_b32 v3, 1, v1
	s_mov_b32 s2, 0
	.p2align	6
.LBB629_183:                            ; =>This Inner Loop Header: Depth=1
	ds_load_u16 v15, v3
	v_lshlrev_b64 v[8:9], 1, v[1:2]
	v_add_nc_u32_e32 v1, 0x100, v1
	v_add_nc_u32_e32 v3, 0x200, v3
	s_delay_alu instid0(VALU_DEP_2) | instskip(NEXT) | instid1(VALU_DEP_4)
	v_cmp_ge_u32_e32 vcc_lo, v1, v4
	v_add_co_u32 v8, s0, v6, v8
	s_delay_alu instid0(VALU_DEP_1)
	v_add_co_ci_u32_e64 v9, s0, v12, v9, s0
	s_or_b32 s2, vcc_lo, s2
	s_waitcnt lgkmcnt(0)
	global_store_b16 v[8:9], v15, off
	s_and_not1_b32 exec_lo, exec_lo, s2
	s_cbranch_execnz .LBB629_183
.LBB629_184:
	s_or_b32 exec_lo, exec_lo, s1
	v_cmp_eq_u32_e32 vcc_lo, 0xff, v0
	s_and_b32 s0, vcc_lo, s18
	s_delay_alu instid0(SALU_CYCLE_1)
	s_and_saveexec_b32 s1, s0
	s_cbranch_execz .LBB629_157
.LBB629_185:
	v_add_co_u32 v0, s0, v5, v7
	s_delay_alu instid0(VALU_DEP_1) | instskip(SKIP_1) | instid1(VALU_DEP_3)
	v_add_co_ci_u32_e64 v1, null, 0, 0, s0
	v_mov_b32_e32 v6, 0
	v_add_co_u32 v0, vcc_lo, v0, v13
	s_delay_alu instid0(VALU_DEP_3)
	v_add_co_ci_u32_e32 v1, vcc_lo, v1, v14, vcc_lo
	s_cmpk_lg_i32 s19, 0xf00
	global_store_b64 v6, v[0:1], s[38:39]
	s_cbranch_scc1 .LBB629_157
; %bb.186:
	v_lshlrev_b64 v[0:1], 1, v[5:6]
	s_delay_alu instid0(VALU_DEP_1) | instskip(NEXT) | instid1(VALU_DEP_2)
	v_add_co_u32 v0, vcc_lo, v10, v0
	v_add_co_ci_u32_e32 v1, vcc_lo, v11, v1, vcc_lo
	global_store_b16 v[0:1], v62, off offset:-2
	s_nop 0
	s_sendmsg sendmsg(MSG_DEALLOC_VGPRS)
	s_endpgm
.LBB629_187:
	s_or_b32 exec_lo, exec_lo, s1
	v_mov_b32_e32 v63, s5
	s_and_saveexec_b32 s1, s28
	s_cbranch_execnz .LBB629_84
	s_branch .LBB629_85
.LBB629_188:
	s_and_saveexec_b32 s17, s14
	s_cbranch_execnz .LBB629_256
; %bb.189:
	s_or_b32 exec_lo, exec_lo, s17
	s_and_saveexec_b32 s17, s13
	s_cbranch_execnz .LBB629_257
.LBB629_190:
	s_or_b32 exec_lo, exec_lo, s17
	s_and_saveexec_b32 s17, s12
	s_cbranch_execnz .LBB629_258
.LBB629_191:
	s_or_b32 exec_lo, exec_lo, s17
	s_and_saveexec_b32 s17, s11
	s_cbranch_execnz .LBB629_259
.LBB629_192:
	s_or_b32 exec_lo, exec_lo, s17
	s_and_saveexec_b32 s17, s10
	s_cbranch_execnz .LBB629_260
.LBB629_193:
	s_or_b32 exec_lo, exec_lo, s17
	s_and_saveexec_b32 s17, s9
	s_cbranch_execnz .LBB629_261
.LBB629_194:
	s_or_b32 exec_lo, exec_lo, s17
	s_and_saveexec_b32 s17, s7
	s_cbranch_execnz .LBB629_262
.LBB629_195:
	s_or_b32 exec_lo, exec_lo, s17
	s_and_saveexec_b32 s17, s5
	s_cbranch_execnz .LBB629_263
.LBB629_196:
	s_or_b32 exec_lo, exec_lo, s17
	s_and_saveexec_b32 s17, s8
	s_cbranch_execnz .LBB629_264
.LBB629_197:
	s_or_b32 exec_lo, exec_lo, s17
	s_and_saveexec_b32 s17, s6
	s_cbranch_execnz .LBB629_265
.LBB629_198:
	s_or_b32 exec_lo, exec_lo, s17
	s_and_saveexec_b32 s17, s4
	s_cbranch_execnz .LBB629_266
.LBB629_199:
	s_or_b32 exec_lo, exec_lo, s17
	s_and_saveexec_b32 s17, s3
	s_cbranch_execnz .LBB629_267
.LBB629_200:
	s_or_b32 exec_lo, exec_lo, s17
	s_and_saveexec_b32 s17, s2
	s_cbranch_execnz .LBB629_268
.LBB629_201:
	s_or_b32 exec_lo, exec_lo, s17
	s_and_saveexec_b32 s17, s1
	s_cbranch_execz .LBB629_203
.LBB629_202:
	v_sub_nc_u32_e32 v66, v25, v7
	v_mov_b32_e32 v67, 0
	s_delay_alu instid0(VALU_DEP_1) | instskip(NEXT) | instid1(VALU_DEP_1)
	v_lshlrev_b64 v[66:67], 1, v[66:67]
	v_add_co_u32 v66, vcc_lo, v6, v66
	s_delay_alu instid0(VALU_DEP_2)
	v_add_co_ci_u32_e32 v67, vcc_lo, v64, v67, vcc_lo
	global_store_b16 v[66:67], v12, off
.LBB629_203:
	s_or_b32 exec_lo, exec_lo, s17
	s_delay_alu instid0(SALU_CYCLE_1)
	s_and_b32 s17, s0, exec_lo
	s_and_not1_saveexec_b32 s15, s15
	s_cbranch_execz .LBB629_129
.LBB629_204:
	v_sub_nc_u32_e32 v66, v41, v7
	v_mov_b32_e32 v67, 0
	s_or_b32 s17, s17, exec_lo
	s_delay_alu instid0(VALU_DEP_1) | instskip(SKIP_1) | instid1(VALU_DEP_1)
	v_lshlrev_b64 v[68:69], 1, v[66:67]
	v_sub_nc_u32_e32 v66, v35, v7
	v_lshlrev_b64 v[70:71], 1, v[66:67]
	v_sub_nc_u32_e32 v66, v37, v7
	s_delay_alu instid0(VALU_DEP_4) | instskip(SKIP_1) | instid1(VALU_DEP_3)
	v_add_co_u32 v68, vcc_lo, v6, v68
	v_add_co_ci_u32_e32 v69, vcc_lo, v64, v69, vcc_lo
	v_lshlrev_b64 v[72:73], 1, v[66:67]
	v_sub_nc_u32_e32 v66, v33, v7
	v_add_co_u32 v70, vcc_lo, v6, v70
	v_add_co_ci_u32_e32 v71, vcc_lo, v64, v71, vcc_lo
	global_store_b16 v[68:69], v55, off
	v_lshlrev_b64 v[68:69], 1, v[66:67]
	v_sub_nc_u32_e32 v66, v21, v7
	global_store_b16 v[70:71], v1, off
	v_add_co_u32 v70, vcc_lo, v6, v72
	v_add_co_ci_u32_e32 v71, vcc_lo, v64, v73, vcc_lo
	v_lshlrev_b64 v[72:73], 1, v[66:67]
	v_sub_nc_u32_e32 v66, v17, v7
	v_add_co_u32 v68, vcc_lo, v6, v68
	v_add_co_ci_u32_e32 v69, vcc_lo, v64, v69, vcc_lo
	s_delay_alu instid0(VALU_DEP_3) | instskip(SKIP_3) | instid1(VALU_DEP_3)
	v_lshlrev_b64 v[74:75], 1, v[66:67]
	v_sub_nc_u32_e32 v66, v19, v7
	v_add_co_u32 v72, vcc_lo, v6, v72
	v_add_co_ci_u32_e32 v73, vcc_lo, v64, v73, vcc_lo
	v_lshlrev_b64 v[76:77], 1, v[66:67]
	v_sub_nc_u32_e32 v66, v39, v7
	v_add_co_u32 v74, vcc_lo, v6, v74
	v_add_co_ci_u32_e32 v75, vcc_lo, v64, v75, vcc_lo
	s_clause 0x3
	global_store_d16_hi_b16 v[70:71], v1, off
	global_store_b16 v[68:69], v2, off
	global_store_d16_hi_b16 v[72:73], v2, off
	global_store_b16 v[74:75], v3, off
	v_lshlrev_b64 v[68:69], 1, v[66:67]
	v_sub_nc_u32_e32 v66, v43, v7
	v_add_co_u32 v70, vcc_lo, v6, v76
	v_add_co_ci_u32_e32 v71, vcc_lo, v64, v77, vcc_lo
	s_delay_alu instid0(VALU_DEP_3) | instskip(SKIP_3) | instid1(VALU_DEP_3)
	v_lshlrev_b64 v[72:73], 1, v[66:67]
	v_sub_nc_u32_e32 v66, v31, v7
	v_add_co_u32 v68, vcc_lo, v6, v68
	v_add_co_ci_u32_e32 v69, vcc_lo, v64, v69, vcc_lo
	v_lshlrev_b64 v[74:75], 1, v[66:67]
	v_sub_nc_u32_e32 v66, v29, v7
	v_add_co_u32 v72, vcc_lo, v6, v72
	v_add_co_ci_u32_e32 v73, vcc_lo, v64, v73, vcc_lo
	s_delay_alu instid0(VALU_DEP_3)
	v_lshlrev_b64 v[76:77], 1, v[66:67]
	v_sub_nc_u32_e32 v66, v23, v7
	v_add_co_u32 v74, vcc_lo, v6, v74
	v_add_co_ci_u32_e32 v75, vcc_lo, v64, v75, vcc_lo
	s_clause 0x3
	global_store_d16_hi_b16 v[70:71], v3, off
	global_store_b16 v[68:69], v4, off
	global_store_d16_hi_b16 v[72:73], v4, off
	global_store_b16 v[74:75], v10, off
	v_lshlrev_b64 v[68:69], 1, v[66:67]
	v_sub_nc_u32_e32 v66, v27, v7
	v_add_co_u32 v70, vcc_lo, v6, v76
	v_add_co_ci_u32_e32 v71, vcc_lo, v64, v77, vcc_lo
	s_delay_alu instid0(VALU_DEP_3) | instskip(SKIP_3) | instid1(VALU_DEP_3)
	v_lshlrev_b64 v[72:73], 1, v[66:67]
	v_sub_nc_u32_e32 v66, v25, v7
	v_add_co_u32 v68, vcc_lo, v6, v68
	v_add_co_ci_u32_e32 v69, vcc_lo, v64, v69, vcc_lo
	v_lshlrev_b64 v[66:67], 1, v[66:67]
	v_add_co_u32 v72, vcc_lo, v6, v72
	v_add_co_ci_u32_e32 v73, vcc_lo, v64, v73, vcc_lo
	s_clause 0x2
	global_store_d16_hi_b16 v[70:71], v10, off
	global_store_b16 v[68:69], v11, off
	global_store_d16_hi_b16 v[72:73], v11, off
	v_add_co_u32 v66, vcc_lo, v6, v66
	v_add_co_ci_u32_e32 v67, vcc_lo, v64, v67, vcc_lo
	global_store_b16 v[66:67], v12, off
	s_or_b32 exec_lo, exec_lo, s15
	s_delay_alu instid0(SALU_CYCLE_1)
	s_and_b32 exec_lo, exec_lo, s17
	s_cbranch_execnz .LBB629_130
	s_branch .LBB629_131
.LBB629_205:
	s_and_saveexec_b32 s17, s14
	s_cbranch_execnz .LBB629_269
; %bb.206:
	s_or_b32 exec_lo, exec_lo, s17
	s_and_saveexec_b32 s14, s13
	s_cbranch_execnz .LBB629_270
.LBB629_207:
	s_or_b32 exec_lo, exec_lo, s14
	s_and_saveexec_b32 s13, s12
	s_cbranch_execnz .LBB629_271
.LBB629_208:
	s_or_b32 exec_lo, exec_lo, s13
	s_and_saveexec_b32 s12, s11
	s_cbranch_execnz .LBB629_272
.LBB629_209:
	s_or_b32 exec_lo, exec_lo, s12
	s_and_saveexec_b32 s11, s10
	s_cbranch_execnz .LBB629_273
.LBB629_210:
	s_or_b32 exec_lo, exec_lo, s11
	s_and_saveexec_b32 s10, s9
	s_cbranch_execnz .LBB629_274
.LBB629_211:
	s_or_b32 exec_lo, exec_lo, s10
	s_and_saveexec_b32 s9, s7
	s_cbranch_execnz .LBB629_275
.LBB629_212:
	s_or_b32 exec_lo, exec_lo, s9
	s_and_saveexec_b32 s7, s5
	s_cbranch_execnz .LBB629_276
.LBB629_213:
	s_or_b32 exec_lo, exec_lo, s7
	s_and_saveexec_b32 s5, s8
	s_cbranch_execnz .LBB629_277
.LBB629_214:
	s_or_b32 exec_lo, exec_lo, s5
	s_and_saveexec_b32 s5, s6
	s_cbranch_execnz .LBB629_278
.LBB629_215:
	s_or_b32 exec_lo, exec_lo, s5
	s_and_saveexec_b32 s5, s4
	s_cbranch_execnz .LBB629_279
.LBB629_216:
	s_or_b32 exec_lo, exec_lo, s5
	s_and_saveexec_b32 s4, s3
	s_cbranch_execnz .LBB629_280
.LBB629_217:
	s_or_b32 exec_lo, exec_lo, s4
	s_and_saveexec_b32 s3, s2
	s_cbranch_execnz .LBB629_281
.LBB629_218:
	s_or_b32 exec_lo, exec_lo, s3
	s_and_saveexec_b32 s2, s1
	s_cbranch_execz .LBB629_220
.LBB629_219:
	v_sub_nc_u32_e32 v1, v25, v7
	s_delay_alu instid0(VALU_DEP_1)
	v_lshlrev_b32_e32 v1, 1, v1
	ds_store_b16 v1, v12
.LBB629_220:
	s_or_b32 exec_lo, exec_lo, s2
	s_delay_alu instid0(SALU_CYCLE_1)
	s_and_b32 s17, s0, exec_lo
                                        ; implicit-def: $vgpr55
                                        ; implicit-def: $vgpr1
	s_and_not1_saveexec_b32 s0, s16
	s_cbranch_execz .LBB629_136
.LBB629_221:
	v_sub_nc_u32_e32 v65, v41, v7
	v_sub_nc_u32_e32 v66, v35, v7
	;; [unrolled: 1-line block ×4, first 2 shown]
	s_or_b32 s17, s17, exec_lo
	v_lshlrev_b32_e32 v65, 1, v65
	v_lshlrev_b32_e32 v66, 1, v66
	;; [unrolled: 1-line block ×4, first 2 shown]
	ds_store_b16 v65, v55
	ds_store_b16 v66, v1
	ds_store_b16_d16_hi v67, v1
	v_sub_nc_u32_e32 v1, v21, v7
	v_sub_nc_u32_e32 v55, v17, v7
	;; [unrolled: 1-line block ×5, first 2 shown]
	v_lshlrev_b32_e32 v1, 1, v1
	ds_store_b16 v68, v2
	v_lshlrev_b32_e32 v55, 1, v55
	v_lshlrev_b32_e32 v65, 1, v65
	;; [unrolled: 1-line block ×3, first 2 shown]
	ds_store_b16_d16_hi v1, v2
	v_lshlrev_b32_e32 v1, 1, v67
	v_sub_nc_u32_e32 v2, v31, v7
	ds_store_b16 v55, v3
	ds_store_b16_d16_hi v65, v3
	ds_store_b16 v66, v4
	v_sub_nc_u32_e32 v55, v25, v7
	v_sub_nc_u32_e32 v3, v23, v7
	ds_store_b16_d16_hi v1, v4
	v_sub_nc_u32_e32 v1, v29, v7
	v_lshlrev_b32_e32 v2, 1, v2
	v_sub_nc_u32_e32 v4, v27, v7
	v_lshlrev_b32_e32 v3, 1, v3
	s_delay_alu instid0(VALU_DEP_4)
	v_lshlrev_b32_e32 v1, 1, v1
	ds_store_b16 v2, v10
	v_lshlrev_b32_e32 v2, 1, v55
	v_lshlrev_b32_e32 v4, 1, v4
	ds_store_b16_d16_hi v1, v10
	ds_store_b16 v3, v11
	ds_store_b16_d16_hi v4, v11
	ds_store_b16 v2, v12
	s_or_b32 exec_lo, exec_lo, s0
	s_delay_alu instid0(SALU_CYCLE_1)
	s_and_b32 exec_lo, exec_lo, s17
	s_cbranch_execnz .LBB629_137
	s_branch .LBB629_138
.LBB629_222:
	s_and_saveexec_b32 s17, s14
	s_cbranch_execnz .LBB629_282
; %bb.223:
	s_or_b32 exec_lo, exec_lo, s17
	s_and_saveexec_b32 s17, s13
	s_cbranch_execnz .LBB629_283
.LBB629_224:
	s_or_b32 exec_lo, exec_lo, s17
	s_and_saveexec_b32 s17, s12
	s_cbranch_execnz .LBB629_284
.LBB629_225:
	s_or_b32 exec_lo, exec_lo, s17
	s_and_saveexec_b32 s17, s11
	s_cbranch_execnz .LBB629_285
.LBB629_226:
	s_or_b32 exec_lo, exec_lo, s17
	s_and_saveexec_b32 s17, s10
	s_cbranch_execnz .LBB629_286
.LBB629_227:
	s_or_b32 exec_lo, exec_lo, s17
	s_and_saveexec_b32 s17, s9
	s_cbranch_execnz .LBB629_287
.LBB629_228:
	s_or_b32 exec_lo, exec_lo, s17
	s_and_saveexec_b32 s17, s8
	s_cbranch_execnz .LBB629_288
.LBB629_229:
	s_or_b32 exec_lo, exec_lo, s17
	s_and_saveexec_b32 s17, s7
	s_cbranch_execnz .LBB629_289
.LBB629_230:
	s_or_b32 exec_lo, exec_lo, s17
	s_and_saveexec_b32 s17, s6
	s_cbranch_execnz .LBB629_290
.LBB629_231:
	s_or_b32 exec_lo, exec_lo, s17
	s_and_saveexec_b32 s17, s5
	s_cbranch_execnz .LBB629_291
.LBB629_232:
	s_or_b32 exec_lo, exec_lo, s17
	s_and_saveexec_b32 s17, s4
	s_cbranch_execnz .LBB629_292
.LBB629_233:
	s_or_b32 exec_lo, exec_lo, s17
	s_and_saveexec_b32 s17, s3
	s_cbranch_execnz .LBB629_293
.LBB629_234:
	s_or_b32 exec_lo, exec_lo, s17
	s_and_saveexec_b32 s17, s2
	s_cbranch_execnz .LBB629_294
.LBB629_235:
	s_or_b32 exec_lo, exec_lo, s17
	s_and_saveexec_b32 s17, s1
	s_cbranch_execz .LBB629_237
.LBB629_236:
	v_sub_nc_u32_e32 v45, v25, v3
	v_mov_b32_e32 v46, 0
	s_delay_alu instid0(VALU_DEP_1) | instskip(NEXT) | instid1(VALU_DEP_1)
	v_lshlrev_b64 v[45:46], 1, v[45:46]
	v_add_co_u32 v45, vcc_lo, v6, v45
	s_delay_alu instid0(VALU_DEP_2)
	v_add_co_ci_u32_e32 v46, vcc_lo, v12, v46, vcc_lo
	global_store_b16 v[45:46], v26, off
.LBB629_237:
	s_or_b32 exec_lo, exec_lo, s17
	s_delay_alu instid0(SALU_CYCLE_1)
	s_and_b32 s17, s0, exec_lo
	s_and_not1_saveexec_b32 s15, s15
	s_cbranch_execz .LBB629_161
.LBB629_238:
	v_sub_nc_u32_e32 v45, v41, v3
	v_mov_b32_e32 v46, 0
	s_or_b32 s17, s17, exec_lo
	s_delay_alu instid0(VALU_DEP_1) | instskip(SKIP_1) | instid1(VALU_DEP_1)
	v_lshlrev_b64 v[47:48], 1, v[45:46]
	v_sub_nc_u32_e32 v45, v35, v3
	v_lshlrev_b64 v[49:50], 1, v[45:46]
	v_sub_nc_u32_e32 v45, v37, v3
	s_delay_alu instid0(VALU_DEP_4) | instskip(SKIP_1) | instid1(VALU_DEP_3)
	v_add_co_u32 v47, vcc_lo, v6, v47
	v_add_co_ci_u32_e32 v48, vcc_lo, v12, v48, vcc_lo
	v_lshlrev_b64 v[51:52], 1, v[45:46]
	v_sub_nc_u32_e32 v45, v33, v3
	v_add_co_u32 v49, vcc_lo, v6, v49
	v_add_co_ci_u32_e32 v50, vcc_lo, v12, v50, vcc_lo
	global_store_b16 v[47:48], v42, off
	v_lshlrev_b64 v[47:48], 1, v[45:46]
	v_sub_nc_u32_e32 v45, v21, v3
	global_store_b16 v[49:50], v36, off
	v_add_co_u32 v49, vcc_lo, v6, v51
	v_add_co_ci_u32_e32 v50, vcc_lo, v12, v52, vcc_lo
	v_lshlrev_b64 v[51:52], 1, v[45:46]
	v_sub_nc_u32_e32 v45, v17, v3
	v_add_co_u32 v47, vcc_lo, v6, v47
	v_add_co_ci_u32_e32 v48, vcc_lo, v12, v48, vcc_lo
	s_delay_alu instid0(VALU_DEP_3) | instskip(SKIP_3) | instid1(VALU_DEP_3)
	v_lshlrev_b64 v[53:54], 1, v[45:46]
	v_sub_nc_u32_e32 v45, v19, v3
	v_add_co_u32 v51, vcc_lo, v6, v51
	v_add_co_ci_u32_e32 v52, vcc_lo, v12, v52, vcc_lo
	v_lshlrev_b64 v[55:56], 1, v[45:46]
	v_sub_nc_u32_e32 v45, v39, v3
	v_add_co_u32 v53, vcc_lo, v6, v53
	v_add_co_ci_u32_e32 v54, vcc_lo, v12, v54, vcc_lo
	s_clause 0x3
	global_store_b16 v[49:50], v38, off
	global_store_b16 v[47:48], v34, off
	global_store_b16 v[51:52], v22, off
	global_store_b16 v[53:54], v18, off
	v_lshlrev_b64 v[47:48], 1, v[45:46]
	v_sub_nc_u32_e32 v45, v43, v3
	v_add_co_u32 v49, vcc_lo, v6, v55
	v_add_co_ci_u32_e32 v50, vcc_lo, v12, v56, vcc_lo
	s_delay_alu instid0(VALU_DEP_3) | instskip(SKIP_3) | instid1(VALU_DEP_3)
	v_lshlrev_b64 v[51:52], 1, v[45:46]
	v_sub_nc_u32_e32 v45, v31, v3
	v_add_co_u32 v47, vcc_lo, v6, v47
	v_add_co_ci_u32_e32 v48, vcc_lo, v12, v48, vcc_lo
	v_lshlrev_b64 v[53:54], 1, v[45:46]
	v_sub_nc_u32_e32 v45, v29, v3
	v_add_co_u32 v51, vcc_lo, v6, v51
	v_add_co_ci_u32_e32 v52, vcc_lo, v12, v52, vcc_lo
	s_delay_alu instid0(VALU_DEP_3)
	v_lshlrev_b64 v[55:56], 1, v[45:46]
	v_sub_nc_u32_e32 v45, v23, v3
	v_add_co_u32 v53, vcc_lo, v6, v53
	v_add_co_ci_u32_e32 v54, vcc_lo, v12, v54, vcc_lo
	s_clause 0x3
	global_store_b16 v[49:50], v20, off
	global_store_b16 v[47:48], v40, off
	;; [unrolled: 1-line block ×4, first 2 shown]
	v_lshlrev_b64 v[47:48], 1, v[45:46]
	v_sub_nc_u32_e32 v45, v27, v3
	v_add_co_u32 v49, vcc_lo, v6, v55
	v_add_co_ci_u32_e32 v50, vcc_lo, v12, v56, vcc_lo
	s_delay_alu instid0(VALU_DEP_3) | instskip(SKIP_3) | instid1(VALU_DEP_3)
	v_lshlrev_b64 v[51:52], 1, v[45:46]
	v_sub_nc_u32_e32 v45, v25, v3
	v_add_co_u32 v47, vcc_lo, v6, v47
	v_add_co_ci_u32_e32 v48, vcc_lo, v12, v48, vcc_lo
	v_lshlrev_b64 v[45:46], 1, v[45:46]
	v_add_co_u32 v51, vcc_lo, v6, v51
	v_add_co_ci_u32_e32 v52, vcc_lo, v12, v52, vcc_lo
	s_clause 0x2
	global_store_b16 v[49:50], v30, off
	global_store_b16 v[47:48], v24, off
	;; [unrolled: 1-line block ×3, first 2 shown]
	v_add_co_u32 v45, vcc_lo, v6, v45
	v_add_co_ci_u32_e32 v46, vcc_lo, v12, v46, vcc_lo
	global_store_b16 v[45:46], v26, off
	s_or_b32 exec_lo, exec_lo, s15
	s_delay_alu instid0(SALU_CYCLE_1)
	s_and_b32 exec_lo, exec_lo, s17
	s_cbranch_execnz .LBB629_162
	s_branch .LBB629_163
.LBB629_239:
	s_and_saveexec_b32 s17, s14
	s_cbranch_execnz .LBB629_295
; %bb.240:
	s_or_b32 exec_lo, exec_lo, s17
	s_and_saveexec_b32 s14, s13
	s_cbranch_execnz .LBB629_296
.LBB629_241:
	s_or_b32 exec_lo, exec_lo, s14
	s_and_saveexec_b32 s13, s12
	s_cbranch_execnz .LBB629_297
.LBB629_242:
	s_or_b32 exec_lo, exec_lo, s13
	s_and_saveexec_b32 s12, s11
	s_cbranch_execnz .LBB629_298
.LBB629_243:
	s_or_b32 exec_lo, exec_lo, s12
	s_and_saveexec_b32 s11, s10
	s_cbranch_execnz .LBB629_299
.LBB629_244:
	s_or_b32 exec_lo, exec_lo, s11
	s_and_saveexec_b32 s10, s9
	s_cbranch_execnz .LBB629_300
.LBB629_245:
	s_or_b32 exec_lo, exec_lo, s10
	s_and_saveexec_b32 s9, s8
	s_cbranch_execnz .LBB629_301
.LBB629_246:
	s_or_b32 exec_lo, exec_lo, s9
	s_and_saveexec_b32 s8, s7
	s_cbranch_execnz .LBB629_302
.LBB629_247:
	s_or_b32 exec_lo, exec_lo, s8
	s_and_saveexec_b32 s7, s6
	s_cbranch_execnz .LBB629_303
.LBB629_248:
	s_or_b32 exec_lo, exec_lo, s7
	s_and_saveexec_b32 s6, s5
	s_cbranch_execnz .LBB629_304
.LBB629_249:
	s_or_b32 exec_lo, exec_lo, s6
	s_and_saveexec_b32 s5, s4
	s_cbranch_execnz .LBB629_305
.LBB629_250:
	s_or_b32 exec_lo, exec_lo, s5
	s_and_saveexec_b32 s4, s3
	s_cbranch_execnz .LBB629_306
.LBB629_251:
	s_or_b32 exec_lo, exec_lo, s4
	s_and_saveexec_b32 s3, s2
	s_cbranch_execnz .LBB629_307
.LBB629_252:
	s_or_b32 exec_lo, exec_lo, s3
	s_and_saveexec_b32 s2, s1
	s_cbranch_execz .LBB629_254
.LBB629_253:
	v_sub_nc_u32_e32 v8, v25, v3
	s_delay_alu instid0(VALU_DEP_1)
	v_lshlrev_b32_e32 v8, 1, v8
	ds_store_b16 v8, v26
.LBB629_254:
	s_or_b32 exec_lo, exec_lo, s2
	s_delay_alu instid0(SALU_CYCLE_1)
	s_and_b32 s17, s0, exec_lo
                                        ; implicit-def: $vgpr41_vgpr42
                                        ; implicit-def: $vgpr35_vgpr36
                                        ; implicit-def: $vgpr37_vgpr38
                                        ; implicit-def: $vgpr33_vgpr34
                                        ; implicit-def: $vgpr21_vgpr22
                                        ; implicit-def: $vgpr17_vgpr18
                                        ; implicit-def: $vgpr19_vgpr20
                                        ; implicit-def: $vgpr39_vgpr40
                                        ; implicit-def: $vgpr43_vgpr44
                                        ; implicit-def: $vgpr31_vgpr32
                                        ; implicit-def: $vgpr29_vgpr30
                                        ; implicit-def: $vgpr23_vgpr24
                                        ; implicit-def: $vgpr27_vgpr28
                                        ; implicit-def: $vgpr25_vgpr26
	s_and_not1_saveexec_b32 s0, s16
	s_cbranch_execz .LBB629_167
.LBB629_255:
	v_sub_nc_u32_e32 v8, v41, v3
	v_sub_nc_u32_e32 v9, v35, v3
	;; [unrolled: 1-line block ×4, first 2 shown]
	s_or_b32 s17, s17, exec_lo
	v_lshlrev_b32_e32 v8, 1, v8
	v_lshlrev_b32_e32 v9, 1, v9
	;; [unrolled: 1-line block ×4, first 2 shown]
	ds_store_b16 v8, v42
	ds_store_b16 v9, v36
	;; [unrolled: 1-line block ×3, first 2 shown]
	v_sub_nc_u32_e32 v8, v21, v3
	v_sub_nc_u32_e32 v9, v17, v3
	;; [unrolled: 1-line block ×5, first 2 shown]
	v_lshlrev_b32_e32 v8, 1, v8
	v_lshlrev_b32_e32 v9, 1, v9
	;; [unrolled: 1-line block ×4, first 2 shown]
	ds_store_b16 v33, v34
	ds_store_b16 v8, v22
	v_lshlrev_b32_e32 v8, 1, v21
	ds_store_b16 v9, v18
	ds_store_b16 v17, v20
	;; [unrolled: 1-line block ×3, first 2 shown]
	v_sub_nc_u32_e32 v9, v31, v3
	v_sub_nc_u32_e32 v19, v25, v3
	;; [unrolled: 1-line block ×3, first 2 shown]
	ds_store_b16 v8, v44
	v_sub_nc_u32_e32 v8, v29, v3
	v_lshlrev_b32_e32 v9, 1, v9
	v_sub_nc_u32_e32 v18, v27, v3
	v_lshlrev_b32_e32 v17, 1, v17
	s_delay_alu instid0(VALU_DEP_4)
	v_lshlrev_b32_e32 v8, 1, v8
	ds_store_b16 v9, v32
	v_lshlrev_b32_e32 v9, 1, v19
	v_lshlrev_b32_e32 v18, 1, v18
	ds_store_b16 v8, v30
	ds_store_b16 v17, v24
	;; [unrolled: 1-line block ×4, first 2 shown]
	s_or_b32 exec_lo, exec_lo, s0
	s_delay_alu instid0(SALU_CYCLE_1)
	s_and_b32 exec_lo, exec_lo, s17
	s_cbranch_execnz .LBB629_168
	s_branch .LBB629_169
.LBB629_256:
	v_sub_nc_u32_e32 v66, v41, v7
	v_mov_b32_e32 v67, 0
	s_delay_alu instid0(VALU_DEP_1) | instskip(NEXT) | instid1(VALU_DEP_1)
	v_lshlrev_b64 v[66:67], 1, v[66:67]
	v_add_co_u32 v66, vcc_lo, v6, v66
	s_delay_alu instid0(VALU_DEP_2)
	v_add_co_ci_u32_e32 v67, vcc_lo, v64, v67, vcc_lo
	global_store_b16 v[66:67], v55, off
	s_or_b32 exec_lo, exec_lo, s17
	s_and_saveexec_b32 s17, s13
	s_cbranch_execz .LBB629_190
.LBB629_257:
	v_sub_nc_u32_e32 v66, v35, v7
	v_mov_b32_e32 v67, 0
	s_delay_alu instid0(VALU_DEP_1) | instskip(NEXT) | instid1(VALU_DEP_1)
	v_lshlrev_b64 v[66:67], 1, v[66:67]
	v_add_co_u32 v66, vcc_lo, v6, v66
	s_delay_alu instid0(VALU_DEP_2)
	v_add_co_ci_u32_e32 v67, vcc_lo, v64, v67, vcc_lo
	global_store_b16 v[66:67], v1, off
	s_or_b32 exec_lo, exec_lo, s17
	s_and_saveexec_b32 s17, s12
	s_cbranch_execz .LBB629_191
.LBB629_258:
	v_sub_nc_u32_e32 v66, v37, v7
	v_mov_b32_e32 v67, 0
	s_delay_alu instid0(VALU_DEP_1) | instskip(NEXT) | instid1(VALU_DEP_1)
	v_lshlrev_b64 v[66:67], 1, v[66:67]
	v_add_co_u32 v66, vcc_lo, v6, v66
	s_delay_alu instid0(VALU_DEP_2)
	v_add_co_ci_u32_e32 v67, vcc_lo, v64, v67, vcc_lo
	global_store_d16_hi_b16 v[66:67], v1, off
	s_or_b32 exec_lo, exec_lo, s17
	s_and_saveexec_b32 s17, s11
	s_cbranch_execz .LBB629_192
.LBB629_259:
	v_sub_nc_u32_e32 v66, v33, v7
	v_mov_b32_e32 v67, 0
	s_delay_alu instid0(VALU_DEP_1) | instskip(NEXT) | instid1(VALU_DEP_1)
	v_lshlrev_b64 v[66:67], 1, v[66:67]
	v_add_co_u32 v66, vcc_lo, v6, v66
	s_delay_alu instid0(VALU_DEP_2)
	v_add_co_ci_u32_e32 v67, vcc_lo, v64, v67, vcc_lo
	global_store_b16 v[66:67], v2, off
	s_or_b32 exec_lo, exec_lo, s17
	s_and_saveexec_b32 s17, s10
	s_cbranch_execz .LBB629_193
.LBB629_260:
	v_sub_nc_u32_e32 v66, v21, v7
	v_mov_b32_e32 v67, 0
	s_delay_alu instid0(VALU_DEP_1) | instskip(NEXT) | instid1(VALU_DEP_1)
	v_lshlrev_b64 v[66:67], 1, v[66:67]
	v_add_co_u32 v66, vcc_lo, v6, v66
	s_delay_alu instid0(VALU_DEP_2)
	v_add_co_ci_u32_e32 v67, vcc_lo, v64, v67, vcc_lo
	global_store_d16_hi_b16 v[66:67], v2, off
	s_or_b32 exec_lo, exec_lo, s17
	s_and_saveexec_b32 s17, s9
	s_cbranch_execz .LBB629_194
.LBB629_261:
	v_sub_nc_u32_e32 v66, v17, v7
	v_mov_b32_e32 v67, 0
	s_delay_alu instid0(VALU_DEP_1) | instskip(NEXT) | instid1(VALU_DEP_1)
	v_lshlrev_b64 v[66:67], 1, v[66:67]
	v_add_co_u32 v66, vcc_lo, v6, v66
	s_delay_alu instid0(VALU_DEP_2)
	v_add_co_ci_u32_e32 v67, vcc_lo, v64, v67, vcc_lo
	global_store_b16 v[66:67], v3, off
	s_or_b32 exec_lo, exec_lo, s17
	s_and_saveexec_b32 s17, s7
	s_cbranch_execz .LBB629_195
.LBB629_262:
	v_sub_nc_u32_e32 v66, v19, v7
	v_mov_b32_e32 v67, 0
	s_delay_alu instid0(VALU_DEP_1) | instskip(NEXT) | instid1(VALU_DEP_1)
	v_lshlrev_b64 v[66:67], 1, v[66:67]
	v_add_co_u32 v66, vcc_lo, v6, v66
	s_delay_alu instid0(VALU_DEP_2)
	v_add_co_ci_u32_e32 v67, vcc_lo, v64, v67, vcc_lo
	global_store_d16_hi_b16 v[66:67], v3, off
	s_or_b32 exec_lo, exec_lo, s17
	s_and_saveexec_b32 s17, s5
	s_cbranch_execz .LBB629_196
.LBB629_263:
	v_sub_nc_u32_e32 v66, v39, v7
	v_mov_b32_e32 v67, 0
	s_delay_alu instid0(VALU_DEP_1) | instskip(NEXT) | instid1(VALU_DEP_1)
	v_lshlrev_b64 v[66:67], 1, v[66:67]
	v_add_co_u32 v66, vcc_lo, v6, v66
	s_delay_alu instid0(VALU_DEP_2)
	v_add_co_ci_u32_e32 v67, vcc_lo, v64, v67, vcc_lo
	global_store_b16 v[66:67], v4, off
	s_or_b32 exec_lo, exec_lo, s17
	s_and_saveexec_b32 s17, s8
	s_cbranch_execz .LBB629_197
.LBB629_264:
	v_sub_nc_u32_e32 v66, v43, v7
	v_mov_b32_e32 v67, 0
	s_delay_alu instid0(VALU_DEP_1) | instskip(NEXT) | instid1(VALU_DEP_1)
	v_lshlrev_b64 v[66:67], 1, v[66:67]
	v_add_co_u32 v66, vcc_lo, v6, v66
	s_delay_alu instid0(VALU_DEP_2)
	v_add_co_ci_u32_e32 v67, vcc_lo, v64, v67, vcc_lo
	global_store_d16_hi_b16 v[66:67], v4, off
	s_or_b32 exec_lo, exec_lo, s17
	s_and_saveexec_b32 s17, s6
	s_cbranch_execz .LBB629_198
.LBB629_265:
	v_sub_nc_u32_e32 v66, v31, v7
	v_mov_b32_e32 v67, 0
	s_delay_alu instid0(VALU_DEP_1) | instskip(NEXT) | instid1(VALU_DEP_1)
	v_lshlrev_b64 v[66:67], 1, v[66:67]
	v_add_co_u32 v66, vcc_lo, v6, v66
	s_delay_alu instid0(VALU_DEP_2)
	v_add_co_ci_u32_e32 v67, vcc_lo, v64, v67, vcc_lo
	global_store_b16 v[66:67], v10, off
	s_or_b32 exec_lo, exec_lo, s17
	s_and_saveexec_b32 s17, s4
	s_cbranch_execz .LBB629_199
.LBB629_266:
	v_sub_nc_u32_e32 v66, v29, v7
	v_mov_b32_e32 v67, 0
	s_delay_alu instid0(VALU_DEP_1) | instskip(NEXT) | instid1(VALU_DEP_1)
	v_lshlrev_b64 v[66:67], 1, v[66:67]
	v_add_co_u32 v66, vcc_lo, v6, v66
	s_delay_alu instid0(VALU_DEP_2)
	v_add_co_ci_u32_e32 v67, vcc_lo, v64, v67, vcc_lo
	global_store_d16_hi_b16 v[66:67], v10, off
	s_or_b32 exec_lo, exec_lo, s17
	s_and_saveexec_b32 s17, s3
	s_cbranch_execz .LBB629_200
.LBB629_267:
	v_sub_nc_u32_e32 v66, v23, v7
	v_mov_b32_e32 v67, 0
	s_delay_alu instid0(VALU_DEP_1) | instskip(NEXT) | instid1(VALU_DEP_1)
	v_lshlrev_b64 v[66:67], 1, v[66:67]
	v_add_co_u32 v66, vcc_lo, v6, v66
	s_delay_alu instid0(VALU_DEP_2)
	v_add_co_ci_u32_e32 v67, vcc_lo, v64, v67, vcc_lo
	global_store_b16 v[66:67], v11, off
	s_or_b32 exec_lo, exec_lo, s17
	s_and_saveexec_b32 s17, s2
	s_cbranch_execz .LBB629_201
.LBB629_268:
	v_sub_nc_u32_e32 v66, v27, v7
	v_mov_b32_e32 v67, 0
	s_delay_alu instid0(VALU_DEP_1) | instskip(NEXT) | instid1(VALU_DEP_1)
	v_lshlrev_b64 v[66:67], 1, v[66:67]
	v_add_co_u32 v66, vcc_lo, v6, v66
	s_delay_alu instid0(VALU_DEP_2)
	v_add_co_ci_u32_e32 v67, vcc_lo, v64, v67, vcc_lo
	global_store_d16_hi_b16 v[66:67], v11, off
	s_or_b32 exec_lo, exec_lo, s17
	s_and_saveexec_b32 s17, s1
	s_cbranch_execnz .LBB629_202
	s_branch .LBB629_203
.LBB629_269:
	v_sub_nc_u32_e32 v65, v41, v7
	s_delay_alu instid0(VALU_DEP_1)
	v_lshlrev_b32_e32 v65, 1, v65
	ds_store_b16 v65, v55
	s_or_b32 exec_lo, exec_lo, s17
	s_and_saveexec_b32 s14, s13
	s_cbranch_execz .LBB629_207
.LBB629_270:
	v_sub_nc_u32_e32 v55, v35, v7
	s_delay_alu instid0(VALU_DEP_1)
	v_lshlrev_b32_e32 v55, 1, v55
	ds_store_b16 v55, v1
	s_or_b32 exec_lo, exec_lo, s14
	s_and_saveexec_b32 s13, s12
	s_cbranch_execz .LBB629_208
.LBB629_271:
	v_sub_nc_u32_e32 v55, v37, v7
	s_delay_alu instid0(VALU_DEP_1)
	v_lshlrev_b32_e32 v55, 1, v55
	ds_store_b16_d16_hi v55, v1
	s_or_b32 exec_lo, exec_lo, s13
	s_and_saveexec_b32 s12, s11
	s_cbranch_execz .LBB629_209
.LBB629_272:
	v_sub_nc_u32_e32 v1, v33, v7
	s_delay_alu instid0(VALU_DEP_1)
	v_lshlrev_b32_e32 v1, 1, v1
	ds_store_b16 v1, v2
	s_or_b32 exec_lo, exec_lo, s12
	s_and_saveexec_b32 s11, s10
	s_cbranch_execz .LBB629_210
.LBB629_273:
	v_sub_nc_u32_e32 v1, v21, v7
	s_delay_alu instid0(VALU_DEP_1)
	v_lshlrev_b32_e32 v1, 1, v1
	ds_store_b16_d16_hi v1, v2
	s_or_b32 exec_lo, exec_lo, s11
	s_and_saveexec_b32 s10, s9
	s_cbranch_execz .LBB629_211
.LBB629_274:
	v_sub_nc_u32_e32 v1, v17, v7
	s_delay_alu instid0(VALU_DEP_1)
	v_lshlrev_b32_e32 v1, 1, v1
	ds_store_b16 v1, v3
	s_or_b32 exec_lo, exec_lo, s10
	s_and_saveexec_b32 s9, s7
	s_cbranch_execz .LBB629_212
.LBB629_275:
	v_sub_nc_u32_e32 v1, v19, v7
	s_delay_alu instid0(VALU_DEP_1)
	v_lshlrev_b32_e32 v1, 1, v1
	ds_store_b16_d16_hi v1, v3
	s_or_b32 exec_lo, exec_lo, s9
	s_and_saveexec_b32 s7, s5
	s_cbranch_execz .LBB629_213
.LBB629_276:
	v_sub_nc_u32_e32 v1, v39, v7
	s_delay_alu instid0(VALU_DEP_1)
	v_lshlrev_b32_e32 v1, 1, v1
	ds_store_b16 v1, v4
	s_or_b32 exec_lo, exec_lo, s7
	s_and_saveexec_b32 s5, s8
	s_cbranch_execz .LBB629_214
.LBB629_277:
	v_sub_nc_u32_e32 v1, v43, v7
	s_delay_alu instid0(VALU_DEP_1)
	v_lshlrev_b32_e32 v1, 1, v1
	ds_store_b16_d16_hi v1, v4
	s_or_b32 exec_lo, exec_lo, s5
	s_and_saveexec_b32 s5, s6
	s_cbranch_execz .LBB629_215
.LBB629_278:
	v_sub_nc_u32_e32 v1, v31, v7
	s_delay_alu instid0(VALU_DEP_1)
	v_lshlrev_b32_e32 v1, 1, v1
	ds_store_b16 v1, v10
	s_or_b32 exec_lo, exec_lo, s5
	s_and_saveexec_b32 s5, s4
	s_cbranch_execz .LBB629_216
.LBB629_279:
	v_sub_nc_u32_e32 v1, v29, v7
	s_delay_alu instid0(VALU_DEP_1)
	v_lshlrev_b32_e32 v1, 1, v1
	ds_store_b16_d16_hi v1, v10
	s_or_b32 exec_lo, exec_lo, s5
	s_and_saveexec_b32 s4, s3
	s_cbranch_execz .LBB629_217
.LBB629_280:
	v_sub_nc_u32_e32 v1, v23, v7
	s_delay_alu instid0(VALU_DEP_1)
	v_lshlrev_b32_e32 v1, 1, v1
	ds_store_b16 v1, v11
	s_or_b32 exec_lo, exec_lo, s4
	s_and_saveexec_b32 s3, s2
	s_cbranch_execz .LBB629_218
.LBB629_281:
	v_sub_nc_u32_e32 v1, v27, v7
	s_delay_alu instid0(VALU_DEP_1)
	v_lshlrev_b32_e32 v1, 1, v1
	ds_store_b16_d16_hi v1, v11
	s_or_b32 exec_lo, exec_lo, s3
	s_and_saveexec_b32 s2, s1
	s_cbranch_execnz .LBB629_219
	s_branch .LBB629_220
.LBB629_282:
	v_sub_nc_u32_e32 v45, v41, v3
	v_mov_b32_e32 v46, 0
	s_delay_alu instid0(VALU_DEP_1) | instskip(NEXT) | instid1(VALU_DEP_1)
	v_lshlrev_b64 v[45:46], 1, v[45:46]
	v_add_co_u32 v45, vcc_lo, v6, v45
	s_delay_alu instid0(VALU_DEP_2)
	v_add_co_ci_u32_e32 v46, vcc_lo, v12, v46, vcc_lo
	global_store_b16 v[45:46], v42, off
	s_or_b32 exec_lo, exec_lo, s17
	s_and_saveexec_b32 s17, s13
	s_cbranch_execz .LBB629_224
.LBB629_283:
	v_sub_nc_u32_e32 v45, v35, v3
	v_mov_b32_e32 v46, 0
	s_delay_alu instid0(VALU_DEP_1) | instskip(NEXT) | instid1(VALU_DEP_1)
	v_lshlrev_b64 v[45:46], 1, v[45:46]
	v_add_co_u32 v45, vcc_lo, v6, v45
	s_delay_alu instid0(VALU_DEP_2)
	v_add_co_ci_u32_e32 v46, vcc_lo, v12, v46, vcc_lo
	global_store_b16 v[45:46], v36, off
	s_or_b32 exec_lo, exec_lo, s17
	s_and_saveexec_b32 s17, s12
	s_cbranch_execz .LBB629_225
.LBB629_284:
	v_sub_nc_u32_e32 v45, v37, v3
	v_mov_b32_e32 v46, 0
	s_delay_alu instid0(VALU_DEP_1) | instskip(NEXT) | instid1(VALU_DEP_1)
	v_lshlrev_b64 v[45:46], 1, v[45:46]
	v_add_co_u32 v45, vcc_lo, v6, v45
	s_delay_alu instid0(VALU_DEP_2)
	v_add_co_ci_u32_e32 v46, vcc_lo, v12, v46, vcc_lo
	global_store_b16 v[45:46], v38, off
	s_or_b32 exec_lo, exec_lo, s17
	s_and_saveexec_b32 s17, s11
	s_cbranch_execz .LBB629_226
.LBB629_285:
	v_sub_nc_u32_e32 v45, v33, v3
	v_mov_b32_e32 v46, 0
	s_delay_alu instid0(VALU_DEP_1) | instskip(NEXT) | instid1(VALU_DEP_1)
	v_lshlrev_b64 v[45:46], 1, v[45:46]
	v_add_co_u32 v45, vcc_lo, v6, v45
	s_delay_alu instid0(VALU_DEP_2)
	v_add_co_ci_u32_e32 v46, vcc_lo, v12, v46, vcc_lo
	global_store_b16 v[45:46], v34, off
	s_or_b32 exec_lo, exec_lo, s17
	s_and_saveexec_b32 s17, s10
	s_cbranch_execz .LBB629_227
.LBB629_286:
	v_sub_nc_u32_e32 v45, v21, v3
	v_mov_b32_e32 v46, 0
	s_delay_alu instid0(VALU_DEP_1) | instskip(NEXT) | instid1(VALU_DEP_1)
	v_lshlrev_b64 v[45:46], 1, v[45:46]
	v_add_co_u32 v45, vcc_lo, v6, v45
	s_delay_alu instid0(VALU_DEP_2)
	v_add_co_ci_u32_e32 v46, vcc_lo, v12, v46, vcc_lo
	global_store_b16 v[45:46], v22, off
	s_or_b32 exec_lo, exec_lo, s17
	s_and_saveexec_b32 s17, s9
	s_cbranch_execz .LBB629_228
.LBB629_287:
	v_sub_nc_u32_e32 v45, v17, v3
	v_mov_b32_e32 v46, 0
	s_delay_alu instid0(VALU_DEP_1) | instskip(NEXT) | instid1(VALU_DEP_1)
	v_lshlrev_b64 v[45:46], 1, v[45:46]
	v_add_co_u32 v45, vcc_lo, v6, v45
	s_delay_alu instid0(VALU_DEP_2)
	v_add_co_ci_u32_e32 v46, vcc_lo, v12, v46, vcc_lo
	global_store_b16 v[45:46], v18, off
	s_or_b32 exec_lo, exec_lo, s17
	s_and_saveexec_b32 s17, s8
	s_cbranch_execz .LBB629_229
.LBB629_288:
	v_sub_nc_u32_e32 v45, v19, v3
	v_mov_b32_e32 v46, 0
	s_delay_alu instid0(VALU_DEP_1) | instskip(NEXT) | instid1(VALU_DEP_1)
	v_lshlrev_b64 v[45:46], 1, v[45:46]
	v_add_co_u32 v45, vcc_lo, v6, v45
	s_delay_alu instid0(VALU_DEP_2)
	v_add_co_ci_u32_e32 v46, vcc_lo, v12, v46, vcc_lo
	global_store_b16 v[45:46], v20, off
	s_or_b32 exec_lo, exec_lo, s17
	s_and_saveexec_b32 s17, s7
	s_cbranch_execz .LBB629_230
.LBB629_289:
	v_sub_nc_u32_e32 v45, v39, v3
	v_mov_b32_e32 v46, 0
	s_delay_alu instid0(VALU_DEP_1) | instskip(NEXT) | instid1(VALU_DEP_1)
	v_lshlrev_b64 v[45:46], 1, v[45:46]
	v_add_co_u32 v45, vcc_lo, v6, v45
	s_delay_alu instid0(VALU_DEP_2)
	v_add_co_ci_u32_e32 v46, vcc_lo, v12, v46, vcc_lo
	global_store_b16 v[45:46], v40, off
	s_or_b32 exec_lo, exec_lo, s17
	s_and_saveexec_b32 s17, s6
	s_cbranch_execz .LBB629_231
.LBB629_290:
	v_sub_nc_u32_e32 v45, v43, v3
	v_mov_b32_e32 v46, 0
	s_delay_alu instid0(VALU_DEP_1) | instskip(NEXT) | instid1(VALU_DEP_1)
	v_lshlrev_b64 v[45:46], 1, v[45:46]
	v_add_co_u32 v45, vcc_lo, v6, v45
	s_delay_alu instid0(VALU_DEP_2)
	v_add_co_ci_u32_e32 v46, vcc_lo, v12, v46, vcc_lo
	global_store_b16 v[45:46], v44, off
	s_or_b32 exec_lo, exec_lo, s17
	s_and_saveexec_b32 s17, s5
	s_cbranch_execz .LBB629_232
.LBB629_291:
	v_sub_nc_u32_e32 v45, v31, v3
	v_mov_b32_e32 v46, 0
	s_delay_alu instid0(VALU_DEP_1) | instskip(NEXT) | instid1(VALU_DEP_1)
	v_lshlrev_b64 v[45:46], 1, v[45:46]
	v_add_co_u32 v45, vcc_lo, v6, v45
	s_delay_alu instid0(VALU_DEP_2)
	v_add_co_ci_u32_e32 v46, vcc_lo, v12, v46, vcc_lo
	global_store_b16 v[45:46], v32, off
	s_or_b32 exec_lo, exec_lo, s17
	s_and_saveexec_b32 s17, s4
	s_cbranch_execz .LBB629_233
.LBB629_292:
	v_sub_nc_u32_e32 v45, v29, v3
	v_mov_b32_e32 v46, 0
	s_delay_alu instid0(VALU_DEP_1) | instskip(NEXT) | instid1(VALU_DEP_1)
	v_lshlrev_b64 v[45:46], 1, v[45:46]
	v_add_co_u32 v45, vcc_lo, v6, v45
	s_delay_alu instid0(VALU_DEP_2)
	v_add_co_ci_u32_e32 v46, vcc_lo, v12, v46, vcc_lo
	global_store_b16 v[45:46], v30, off
	s_or_b32 exec_lo, exec_lo, s17
	s_and_saveexec_b32 s17, s3
	s_cbranch_execz .LBB629_234
.LBB629_293:
	v_sub_nc_u32_e32 v45, v23, v3
	v_mov_b32_e32 v46, 0
	s_delay_alu instid0(VALU_DEP_1) | instskip(NEXT) | instid1(VALU_DEP_1)
	v_lshlrev_b64 v[45:46], 1, v[45:46]
	v_add_co_u32 v45, vcc_lo, v6, v45
	s_delay_alu instid0(VALU_DEP_2)
	v_add_co_ci_u32_e32 v46, vcc_lo, v12, v46, vcc_lo
	global_store_b16 v[45:46], v24, off
	s_or_b32 exec_lo, exec_lo, s17
	s_and_saveexec_b32 s17, s2
	s_cbranch_execz .LBB629_235
.LBB629_294:
	v_sub_nc_u32_e32 v45, v27, v3
	v_mov_b32_e32 v46, 0
	s_delay_alu instid0(VALU_DEP_1) | instskip(NEXT) | instid1(VALU_DEP_1)
	v_lshlrev_b64 v[45:46], 1, v[45:46]
	v_add_co_u32 v45, vcc_lo, v6, v45
	s_delay_alu instid0(VALU_DEP_2)
	v_add_co_ci_u32_e32 v46, vcc_lo, v12, v46, vcc_lo
	global_store_b16 v[45:46], v28, off
	s_or_b32 exec_lo, exec_lo, s17
	s_and_saveexec_b32 s17, s1
	s_cbranch_execnz .LBB629_236
	s_branch .LBB629_237
.LBB629_295:
	v_sub_nc_u32_e32 v8, v41, v3
	s_delay_alu instid0(VALU_DEP_1)
	v_lshlrev_b32_e32 v8, 1, v8
	ds_store_b16 v8, v42
	s_or_b32 exec_lo, exec_lo, s17
	s_and_saveexec_b32 s14, s13
	s_cbranch_execz .LBB629_241
.LBB629_296:
	v_sub_nc_u32_e32 v8, v35, v3
	s_delay_alu instid0(VALU_DEP_1)
	v_lshlrev_b32_e32 v8, 1, v8
	ds_store_b16 v8, v36
	s_or_b32 exec_lo, exec_lo, s14
	s_and_saveexec_b32 s13, s12
	s_cbranch_execz .LBB629_242
.LBB629_297:
	v_sub_nc_u32_e32 v8, v37, v3
	s_delay_alu instid0(VALU_DEP_1)
	v_lshlrev_b32_e32 v8, 1, v8
	ds_store_b16 v8, v38
	s_or_b32 exec_lo, exec_lo, s13
	s_and_saveexec_b32 s12, s11
	s_cbranch_execz .LBB629_243
.LBB629_298:
	v_sub_nc_u32_e32 v8, v33, v3
	s_delay_alu instid0(VALU_DEP_1)
	v_lshlrev_b32_e32 v8, 1, v8
	ds_store_b16 v8, v34
	s_or_b32 exec_lo, exec_lo, s12
	s_and_saveexec_b32 s11, s10
	s_cbranch_execz .LBB629_244
.LBB629_299:
	v_sub_nc_u32_e32 v8, v21, v3
	s_delay_alu instid0(VALU_DEP_1)
	v_lshlrev_b32_e32 v8, 1, v8
	ds_store_b16 v8, v22
	s_or_b32 exec_lo, exec_lo, s11
	s_and_saveexec_b32 s10, s9
	s_cbranch_execz .LBB629_245
.LBB629_300:
	v_sub_nc_u32_e32 v8, v17, v3
	s_delay_alu instid0(VALU_DEP_1)
	v_lshlrev_b32_e32 v8, 1, v8
	ds_store_b16 v8, v18
	s_or_b32 exec_lo, exec_lo, s10
	s_and_saveexec_b32 s9, s8
	s_cbranch_execz .LBB629_246
.LBB629_301:
	v_sub_nc_u32_e32 v8, v19, v3
	s_delay_alu instid0(VALU_DEP_1)
	v_lshlrev_b32_e32 v8, 1, v8
	ds_store_b16 v8, v20
	s_or_b32 exec_lo, exec_lo, s9
	s_and_saveexec_b32 s8, s7
	s_cbranch_execz .LBB629_247
.LBB629_302:
	v_sub_nc_u32_e32 v8, v39, v3
	s_delay_alu instid0(VALU_DEP_1)
	v_lshlrev_b32_e32 v8, 1, v8
	ds_store_b16 v8, v40
	s_or_b32 exec_lo, exec_lo, s8
	s_and_saveexec_b32 s7, s6
	s_cbranch_execz .LBB629_248
.LBB629_303:
	v_sub_nc_u32_e32 v8, v43, v3
	s_delay_alu instid0(VALU_DEP_1)
	v_lshlrev_b32_e32 v8, 1, v8
	ds_store_b16 v8, v44
	s_or_b32 exec_lo, exec_lo, s7
	s_and_saveexec_b32 s6, s5
	s_cbranch_execz .LBB629_249
.LBB629_304:
	v_sub_nc_u32_e32 v8, v31, v3
	s_delay_alu instid0(VALU_DEP_1)
	v_lshlrev_b32_e32 v8, 1, v8
	ds_store_b16 v8, v32
	s_or_b32 exec_lo, exec_lo, s6
	s_and_saveexec_b32 s5, s4
	s_cbranch_execz .LBB629_250
.LBB629_305:
	v_sub_nc_u32_e32 v8, v29, v3
	s_delay_alu instid0(VALU_DEP_1)
	v_lshlrev_b32_e32 v8, 1, v8
	ds_store_b16 v8, v30
	s_or_b32 exec_lo, exec_lo, s5
	s_and_saveexec_b32 s4, s3
	s_cbranch_execz .LBB629_251
.LBB629_306:
	v_sub_nc_u32_e32 v8, v23, v3
	s_delay_alu instid0(VALU_DEP_1)
	v_lshlrev_b32_e32 v8, 1, v8
	ds_store_b16 v8, v24
	s_or_b32 exec_lo, exec_lo, s4
	s_and_saveexec_b32 s3, s2
	s_cbranch_execz .LBB629_252
.LBB629_307:
	v_sub_nc_u32_e32 v8, v27, v3
	s_delay_alu instid0(VALU_DEP_1)
	v_lshlrev_b32_e32 v8, 1, v8
	ds_store_b16 v8, v28
	s_or_b32 exec_lo, exec_lo, s3
	s_and_saveexec_b32 s2, s1
	s_cbranch_execnz .LBB629_253
	s_branch .LBB629_254
	.section	.rodata,"a",@progbits
	.p2align	6, 0x0
	.amdhsa_kernel _ZN7rocprim17ROCPRIM_400000_NS6detail17trampoline_kernelINS0_14default_configENS1_29reduce_by_key_config_selectorIssN6thrust23THRUST_200600_302600_NS4plusIsEEEEZZNS1_33reduce_by_key_impl_wrapped_configILNS1_25lookback_scan_determinismE0ES3_S9_NS6_6detail15normal_iteratorINS6_10device_ptrIsEEEESG_SG_SG_PmS8_NS6_8equal_toIsEEEE10hipError_tPvRmT2_T3_mT4_T5_T6_T7_T8_P12ihipStream_tbENKUlT_T0_E_clISt17integral_constantIbLb0EES11_EEDaSW_SX_EUlSW_E_NS1_11comp_targetILNS1_3genE9ELNS1_11target_archE1100ELNS1_3gpuE3ELNS1_3repE0EEENS1_30default_config_static_selectorELNS0_4arch9wavefront6targetE0EEEvT1_
		.amdhsa_group_segment_fixed_size 7680
		.amdhsa_private_segment_fixed_size 0
		.amdhsa_kernarg_size 120
		.amdhsa_user_sgpr_count 15
		.amdhsa_user_sgpr_dispatch_ptr 0
		.amdhsa_user_sgpr_queue_ptr 0
		.amdhsa_user_sgpr_kernarg_segment_ptr 1
		.amdhsa_user_sgpr_dispatch_id 0
		.amdhsa_user_sgpr_private_segment_size 0
		.amdhsa_wavefront_size32 1
		.amdhsa_uses_dynamic_stack 0
		.amdhsa_enable_private_segment 0
		.amdhsa_system_sgpr_workgroup_id_x 1
		.amdhsa_system_sgpr_workgroup_id_y 0
		.amdhsa_system_sgpr_workgroup_id_z 0
		.amdhsa_system_sgpr_workgroup_info 0
		.amdhsa_system_vgpr_workitem_id 0
		.amdhsa_next_free_vgpr 102
		.amdhsa_next_free_sgpr 44
		.amdhsa_reserve_vcc 1
		.amdhsa_float_round_mode_32 0
		.amdhsa_float_round_mode_16_64 0
		.amdhsa_float_denorm_mode_32 3
		.amdhsa_float_denorm_mode_16_64 3
		.amdhsa_dx10_clamp 1
		.amdhsa_ieee_mode 1
		.amdhsa_fp16_overflow 0
		.amdhsa_workgroup_processor_mode 1
		.amdhsa_memory_ordered 1
		.amdhsa_forward_progress 0
		.amdhsa_shared_vgpr_count 0
		.amdhsa_exception_fp_ieee_invalid_op 0
		.amdhsa_exception_fp_denorm_src 0
		.amdhsa_exception_fp_ieee_div_zero 0
		.amdhsa_exception_fp_ieee_overflow 0
		.amdhsa_exception_fp_ieee_underflow 0
		.amdhsa_exception_fp_ieee_inexact 0
		.amdhsa_exception_int_div_zero 0
	.end_amdhsa_kernel
	.section	.text._ZN7rocprim17ROCPRIM_400000_NS6detail17trampoline_kernelINS0_14default_configENS1_29reduce_by_key_config_selectorIssN6thrust23THRUST_200600_302600_NS4plusIsEEEEZZNS1_33reduce_by_key_impl_wrapped_configILNS1_25lookback_scan_determinismE0ES3_S9_NS6_6detail15normal_iteratorINS6_10device_ptrIsEEEESG_SG_SG_PmS8_NS6_8equal_toIsEEEE10hipError_tPvRmT2_T3_mT4_T5_T6_T7_T8_P12ihipStream_tbENKUlT_T0_E_clISt17integral_constantIbLb0EES11_EEDaSW_SX_EUlSW_E_NS1_11comp_targetILNS1_3genE9ELNS1_11target_archE1100ELNS1_3gpuE3ELNS1_3repE0EEENS1_30default_config_static_selectorELNS0_4arch9wavefront6targetE0EEEvT1_,"axG",@progbits,_ZN7rocprim17ROCPRIM_400000_NS6detail17trampoline_kernelINS0_14default_configENS1_29reduce_by_key_config_selectorIssN6thrust23THRUST_200600_302600_NS4plusIsEEEEZZNS1_33reduce_by_key_impl_wrapped_configILNS1_25lookback_scan_determinismE0ES3_S9_NS6_6detail15normal_iteratorINS6_10device_ptrIsEEEESG_SG_SG_PmS8_NS6_8equal_toIsEEEE10hipError_tPvRmT2_T3_mT4_T5_T6_T7_T8_P12ihipStream_tbENKUlT_T0_E_clISt17integral_constantIbLb0EES11_EEDaSW_SX_EUlSW_E_NS1_11comp_targetILNS1_3genE9ELNS1_11target_archE1100ELNS1_3gpuE3ELNS1_3repE0EEENS1_30default_config_static_selectorELNS0_4arch9wavefront6targetE0EEEvT1_,comdat
.Lfunc_end629:
	.size	_ZN7rocprim17ROCPRIM_400000_NS6detail17trampoline_kernelINS0_14default_configENS1_29reduce_by_key_config_selectorIssN6thrust23THRUST_200600_302600_NS4plusIsEEEEZZNS1_33reduce_by_key_impl_wrapped_configILNS1_25lookback_scan_determinismE0ES3_S9_NS6_6detail15normal_iteratorINS6_10device_ptrIsEEEESG_SG_SG_PmS8_NS6_8equal_toIsEEEE10hipError_tPvRmT2_T3_mT4_T5_T6_T7_T8_P12ihipStream_tbENKUlT_T0_E_clISt17integral_constantIbLb0EES11_EEDaSW_SX_EUlSW_E_NS1_11comp_targetILNS1_3genE9ELNS1_11target_archE1100ELNS1_3gpuE3ELNS1_3repE0EEENS1_30default_config_static_selectorELNS0_4arch9wavefront6targetE0EEEvT1_, .Lfunc_end629-_ZN7rocprim17ROCPRIM_400000_NS6detail17trampoline_kernelINS0_14default_configENS1_29reduce_by_key_config_selectorIssN6thrust23THRUST_200600_302600_NS4plusIsEEEEZZNS1_33reduce_by_key_impl_wrapped_configILNS1_25lookback_scan_determinismE0ES3_S9_NS6_6detail15normal_iteratorINS6_10device_ptrIsEEEESG_SG_SG_PmS8_NS6_8equal_toIsEEEE10hipError_tPvRmT2_T3_mT4_T5_T6_T7_T8_P12ihipStream_tbENKUlT_T0_E_clISt17integral_constantIbLb0EES11_EEDaSW_SX_EUlSW_E_NS1_11comp_targetILNS1_3genE9ELNS1_11target_archE1100ELNS1_3gpuE3ELNS1_3repE0EEENS1_30default_config_static_selectorELNS0_4arch9wavefront6targetE0EEEvT1_
                                        ; -- End function
	.section	.AMDGPU.csdata,"",@progbits
; Kernel info:
; codeLenInByte = 21068
; NumSgprs: 46
; NumVgprs: 102
; ScratchSize: 0
; MemoryBound: 0
; FloatMode: 240
; IeeeMode: 1
; LDSByteSize: 7680 bytes/workgroup (compile time only)
; SGPRBlocks: 5
; VGPRBlocks: 12
; NumSGPRsForWavesPerEU: 46
; NumVGPRsForWavesPerEU: 102
; Occupancy: 12
; WaveLimiterHint : 1
; COMPUTE_PGM_RSRC2:SCRATCH_EN: 0
; COMPUTE_PGM_RSRC2:USER_SGPR: 15
; COMPUTE_PGM_RSRC2:TRAP_HANDLER: 0
; COMPUTE_PGM_RSRC2:TGID_X_EN: 1
; COMPUTE_PGM_RSRC2:TGID_Y_EN: 0
; COMPUTE_PGM_RSRC2:TGID_Z_EN: 0
; COMPUTE_PGM_RSRC2:TIDIG_COMP_CNT: 0
	.section	.text._ZN7rocprim17ROCPRIM_400000_NS6detail17trampoline_kernelINS0_14default_configENS1_29reduce_by_key_config_selectorIssN6thrust23THRUST_200600_302600_NS4plusIsEEEEZZNS1_33reduce_by_key_impl_wrapped_configILNS1_25lookback_scan_determinismE0ES3_S9_NS6_6detail15normal_iteratorINS6_10device_ptrIsEEEESG_SG_SG_PmS8_NS6_8equal_toIsEEEE10hipError_tPvRmT2_T3_mT4_T5_T6_T7_T8_P12ihipStream_tbENKUlT_T0_E_clISt17integral_constantIbLb0EES11_EEDaSW_SX_EUlSW_E_NS1_11comp_targetILNS1_3genE8ELNS1_11target_archE1030ELNS1_3gpuE2ELNS1_3repE0EEENS1_30default_config_static_selectorELNS0_4arch9wavefront6targetE0EEEvT1_,"axG",@progbits,_ZN7rocprim17ROCPRIM_400000_NS6detail17trampoline_kernelINS0_14default_configENS1_29reduce_by_key_config_selectorIssN6thrust23THRUST_200600_302600_NS4plusIsEEEEZZNS1_33reduce_by_key_impl_wrapped_configILNS1_25lookback_scan_determinismE0ES3_S9_NS6_6detail15normal_iteratorINS6_10device_ptrIsEEEESG_SG_SG_PmS8_NS6_8equal_toIsEEEE10hipError_tPvRmT2_T3_mT4_T5_T6_T7_T8_P12ihipStream_tbENKUlT_T0_E_clISt17integral_constantIbLb0EES11_EEDaSW_SX_EUlSW_E_NS1_11comp_targetILNS1_3genE8ELNS1_11target_archE1030ELNS1_3gpuE2ELNS1_3repE0EEENS1_30default_config_static_selectorELNS0_4arch9wavefront6targetE0EEEvT1_,comdat
	.protected	_ZN7rocprim17ROCPRIM_400000_NS6detail17trampoline_kernelINS0_14default_configENS1_29reduce_by_key_config_selectorIssN6thrust23THRUST_200600_302600_NS4plusIsEEEEZZNS1_33reduce_by_key_impl_wrapped_configILNS1_25lookback_scan_determinismE0ES3_S9_NS6_6detail15normal_iteratorINS6_10device_ptrIsEEEESG_SG_SG_PmS8_NS6_8equal_toIsEEEE10hipError_tPvRmT2_T3_mT4_T5_T6_T7_T8_P12ihipStream_tbENKUlT_T0_E_clISt17integral_constantIbLb0EES11_EEDaSW_SX_EUlSW_E_NS1_11comp_targetILNS1_3genE8ELNS1_11target_archE1030ELNS1_3gpuE2ELNS1_3repE0EEENS1_30default_config_static_selectorELNS0_4arch9wavefront6targetE0EEEvT1_ ; -- Begin function _ZN7rocprim17ROCPRIM_400000_NS6detail17trampoline_kernelINS0_14default_configENS1_29reduce_by_key_config_selectorIssN6thrust23THRUST_200600_302600_NS4plusIsEEEEZZNS1_33reduce_by_key_impl_wrapped_configILNS1_25lookback_scan_determinismE0ES3_S9_NS6_6detail15normal_iteratorINS6_10device_ptrIsEEEESG_SG_SG_PmS8_NS6_8equal_toIsEEEE10hipError_tPvRmT2_T3_mT4_T5_T6_T7_T8_P12ihipStream_tbENKUlT_T0_E_clISt17integral_constantIbLb0EES11_EEDaSW_SX_EUlSW_E_NS1_11comp_targetILNS1_3genE8ELNS1_11target_archE1030ELNS1_3gpuE2ELNS1_3repE0EEENS1_30default_config_static_selectorELNS0_4arch9wavefront6targetE0EEEvT1_
	.globl	_ZN7rocprim17ROCPRIM_400000_NS6detail17trampoline_kernelINS0_14default_configENS1_29reduce_by_key_config_selectorIssN6thrust23THRUST_200600_302600_NS4plusIsEEEEZZNS1_33reduce_by_key_impl_wrapped_configILNS1_25lookback_scan_determinismE0ES3_S9_NS6_6detail15normal_iteratorINS6_10device_ptrIsEEEESG_SG_SG_PmS8_NS6_8equal_toIsEEEE10hipError_tPvRmT2_T3_mT4_T5_T6_T7_T8_P12ihipStream_tbENKUlT_T0_E_clISt17integral_constantIbLb0EES11_EEDaSW_SX_EUlSW_E_NS1_11comp_targetILNS1_3genE8ELNS1_11target_archE1030ELNS1_3gpuE2ELNS1_3repE0EEENS1_30default_config_static_selectorELNS0_4arch9wavefront6targetE0EEEvT1_
	.p2align	8
	.type	_ZN7rocprim17ROCPRIM_400000_NS6detail17trampoline_kernelINS0_14default_configENS1_29reduce_by_key_config_selectorIssN6thrust23THRUST_200600_302600_NS4plusIsEEEEZZNS1_33reduce_by_key_impl_wrapped_configILNS1_25lookback_scan_determinismE0ES3_S9_NS6_6detail15normal_iteratorINS6_10device_ptrIsEEEESG_SG_SG_PmS8_NS6_8equal_toIsEEEE10hipError_tPvRmT2_T3_mT4_T5_T6_T7_T8_P12ihipStream_tbENKUlT_T0_E_clISt17integral_constantIbLb0EES11_EEDaSW_SX_EUlSW_E_NS1_11comp_targetILNS1_3genE8ELNS1_11target_archE1030ELNS1_3gpuE2ELNS1_3repE0EEENS1_30default_config_static_selectorELNS0_4arch9wavefront6targetE0EEEvT1_,@function
_ZN7rocprim17ROCPRIM_400000_NS6detail17trampoline_kernelINS0_14default_configENS1_29reduce_by_key_config_selectorIssN6thrust23THRUST_200600_302600_NS4plusIsEEEEZZNS1_33reduce_by_key_impl_wrapped_configILNS1_25lookback_scan_determinismE0ES3_S9_NS6_6detail15normal_iteratorINS6_10device_ptrIsEEEESG_SG_SG_PmS8_NS6_8equal_toIsEEEE10hipError_tPvRmT2_T3_mT4_T5_T6_T7_T8_P12ihipStream_tbENKUlT_T0_E_clISt17integral_constantIbLb0EES11_EEDaSW_SX_EUlSW_E_NS1_11comp_targetILNS1_3genE8ELNS1_11target_archE1030ELNS1_3gpuE2ELNS1_3repE0EEENS1_30default_config_static_selectorELNS0_4arch9wavefront6targetE0EEEvT1_: ; @_ZN7rocprim17ROCPRIM_400000_NS6detail17trampoline_kernelINS0_14default_configENS1_29reduce_by_key_config_selectorIssN6thrust23THRUST_200600_302600_NS4plusIsEEEEZZNS1_33reduce_by_key_impl_wrapped_configILNS1_25lookback_scan_determinismE0ES3_S9_NS6_6detail15normal_iteratorINS6_10device_ptrIsEEEESG_SG_SG_PmS8_NS6_8equal_toIsEEEE10hipError_tPvRmT2_T3_mT4_T5_T6_T7_T8_P12ihipStream_tbENKUlT_T0_E_clISt17integral_constantIbLb0EES11_EEDaSW_SX_EUlSW_E_NS1_11comp_targetILNS1_3genE8ELNS1_11target_archE1030ELNS1_3gpuE2ELNS1_3repE0EEENS1_30default_config_static_selectorELNS0_4arch9wavefront6targetE0EEEvT1_
; %bb.0:
	.section	.rodata,"a",@progbits
	.p2align	6, 0x0
	.amdhsa_kernel _ZN7rocprim17ROCPRIM_400000_NS6detail17trampoline_kernelINS0_14default_configENS1_29reduce_by_key_config_selectorIssN6thrust23THRUST_200600_302600_NS4plusIsEEEEZZNS1_33reduce_by_key_impl_wrapped_configILNS1_25lookback_scan_determinismE0ES3_S9_NS6_6detail15normal_iteratorINS6_10device_ptrIsEEEESG_SG_SG_PmS8_NS6_8equal_toIsEEEE10hipError_tPvRmT2_T3_mT4_T5_T6_T7_T8_P12ihipStream_tbENKUlT_T0_E_clISt17integral_constantIbLb0EES11_EEDaSW_SX_EUlSW_E_NS1_11comp_targetILNS1_3genE8ELNS1_11target_archE1030ELNS1_3gpuE2ELNS1_3repE0EEENS1_30default_config_static_selectorELNS0_4arch9wavefront6targetE0EEEvT1_
		.amdhsa_group_segment_fixed_size 0
		.amdhsa_private_segment_fixed_size 0
		.amdhsa_kernarg_size 120
		.amdhsa_user_sgpr_count 15
		.amdhsa_user_sgpr_dispatch_ptr 0
		.amdhsa_user_sgpr_queue_ptr 0
		.amdhsa_user_sgpr_kernarg_segment_ptr 1
		.amdhsa_user_sgpr_dispatch_id 0
		.amdhsa_user_sgpr_private_segment_size 0
		.amdhsa_wavefront_size32 1
		.amdhsa_uses_dynamic_stack 0
		.amdhsa_enable_private_segment 0
		.amdhsa_system_sgpr_workgroup_id_x 1
		.amdhsa_system_sgpr_workgroup_id_y 0
		.amdhsa_system_sgpr_workgroup_id_z 0
		.amdhsa_system_sgpr_workgroup_info 0
		.amdhsa_system_vgpr_workitem_id 0
		.amdhsa_next_free_vgpr 1
		.amdhsa_next_free_sgpr 1
		.amdhsa_reserve_vcc 0
		.amdhsa_float_round_mode_32 0
		.amdhsa_float_round_mode_16_64 0
		.amdhsa_float_denorm_mode_32 3
		.amdhsa_float_denorm_mode_16_64 3
		.amdhsa_dx10_clamp 1
		.amdhsa_ieee_mode 1
		.amdhsa_fp16_overflow 0
		.amdhsa_workgroup_processor_mode 1
		.amdhsa_memory_ordered 1
		.amdhsa_forward_progress 0
		.amdhsa_shared_vgpr_count 0
		.amdhsa_exception_fp_ieee_invalid_op 0
		.amdhsa_exception_fp_denorm_src 0
		.amdhsa_exception_fp_ieee_div_zero 0
		.amdhsa_exception_fp_ieee_overflow 0
		.amdhsa_exception_fp_ieee_underflow 0
		.amdhsa_exception_fp_ieee_inexact 0
		.amdhsa_exception_int_div_zero 0
	.end_amdhsa_kernel
	.section	.text._ZN7rocprim17ROCPRIM_400000_NS6detail17trampoline_kernelINS0_14default_configENS1_29reduce_by_key_config_selectorIssN6thrust23THRUST_200600_302600_NS4plusIsEEEEZZNS1_33reduce_by_key_impl_wrapped_configILNS1_25lookback_scan_determinismE0ES3_S9_NS6_6detail15normal_iteratorINS6_10device_ptrIsEEEESG_SG_SG_PmS8_NS6_8equal_toIsEEEE10hipError_tPvRmT2_T3_mT4_T5_T6_T7_T8_P12ihipStream_tbENKUlT_T0_E_clISt17integral_constantIbLb0EES11_EEDaSW_SX_EUlSW_E_NS1_11comp_targetILNS1_3genE8ELNS1_11target_archE1030ELNS1_3gpuE2ELNS1_3repE0EEENS1_30default_config_static_selectorELNS0_4arch9wavefront6targetE0EEEvT1_,"axG",@progbits,_ZN7rocprim17ROCPRIM_400000_NS6detail17trampoline_kernelINS0_14default_configENS1_29reduce_by_key_config_selectorIssN6thrust23THRUST_200600_302600_NS4plusIsEEEEZZNS1_33reduce_by_key_impl_wrapped_configILNS1_25lookback_scan_determinismE0ES3_S9_NS6_6detail15normal_iteratorINS6_10device_ptrIsEEEESG_SG_SG_PmS8_NS6_8equal_toIsEEEE10hipError_tPvRmT2_T3_mT4_T5_T6_T7_T8_P12ihipStream_tbENKUlT_T0_E_clISt17integral_constantIbLb0EES11_EEDaSW_SX_EUlSW_E_NS1_11comp_targetILNS1_3genE8ELNS1_11target_archE1030ELNS1_3gpuE2ELNS1_3repE0EEENS1_30default_config_static_selectorELNS0_4arch9wavefront6targetE0EEEvT1_,comdat
.Lfunc_end630:
	.size	_ZN7rocprim17ROCPRIM_400000_NS6detail17trampoline_kernelINS0_14default_configENS1_29reduce_by_key_config_selectorIssN6thrust23THRUST_200600_302600_NS4plusIsEEEEZZNS1_33reduce_by_key_impl_wrapped_configILNS1_25lookback_scan_determinismE0ES3_S9_NS6_6detail15normal_iteratorINS6_10device_ptrIsEEEESG_SG_SG_PmS8_NS6_8equal_toIsEEEE10hipError_tPvRmT2_T3_mT4_T5_T6_T7_T8_P12ihipStream_tbENKUlT_T0_E_clISt17integral_constantIbLb0EES11_EEDaSW_SX_EUlSW_E_NS1_11comp_targetILNS1_3genE8ELNS1_11target_archE1030ELNS1_3gpuE2ELNS1_3repE0EEENS1_30default_config_static_selectorELNS0_4arch9wavefront6targetE0EEEvT1_, .Lfunc_end630-_ZN7rocprim17ROCPRIM_400000_NS6detail17trampoline_kernelINS0_14default_configENS1_29reduce_by_key_config_selectorIssN6thrust23THRUST_200600_302600_NS4plusIsEEEEZZNS1_33reduce_by_key_impl_wrapped_configILNS1_25lookback_scan_determinismE0ES3_S9_NS6_6detail15normal_iteratorINS6_10device_ptrIsEEEESG_SG_SG_PmS8_NS6_8equal_toIsEEEE10hipError_tPvRmT2_T3_mT4_T5_T6_T7_T8_P12ihipStream_tbENKUlT_T0_E_clISt17integral_constantIbLb0EES11_EEDaSW_SX_EUlSW_E_NS1_11comp_targetILNS1_3genE8ELNS1_11target_archE1030ELNS1_3gpuE2ELNS1_3repE0EEENS1_30default_config_static_selectorELNS0_4arch9wavefront6targetE0EEEvT1_
                                        ; -- End function
	.section	.AMDGPU.csdata,"",@progbits
; Kernel info:
; codeLenInByte = 0
; NumSgprs: 0
; NumVgprs: 0
; ScratchSize: 0
; MemoryBound: 0
; FloatMode: 240
; IeeeMode: 1
; LDSByteSize: 0 bytes/workgroup (compile time only)
; SGPRBlocks: 0
; VGPRBlocks: 0
; NumSGPRsForWavesPerEU: 1
; NumVGPRsForWavesPerEU: 1
; Occupancy: 16
; WaveLimiterHint : 0
; COMPUTE_PGM_RSRC2:SCRATCH_EN: 0
; COMPUTE_PGM_RSRC2:USER_SGPR: 15
; COMPUTE_PGM_RSRC2:TRAP_HANDLER: 0
; COMPUTE_PGM_RSRC2:TGID_X_EN: 1
; COMPUTE_PGM_RSRC2:TGID_Y_EN: 0
; COMPUTE_PGM_RSRC2:TGID_Z_EN: 0
; COMPUTE_PGM_RSRC2:TIDIG_COMP_CNT: 0
	.section	.text._ZN7rocprim17ROCPRIM_400000_NS6detail25reduce_by_key_init_kernelINS1_19lookback_scan_stateINS0_5tupleIJjsEEELb1ELb1EEEsNS1_16block_id_wrapperIjLb1EEEEEvT_jbjPmPT0_T1_,"axG",@progbits,_ZN7rocprim17ROCPRIM_400000_NS6detail25reduce_by_key_init_kernelINS1_19lookback_scan_stateINS0_5tupleIJjsEEELb1ELb1EEEsNS1_16block_id_wrapperIjLb1EEEEEvT_jbjPmPT0_T1_,comdat
	.protected	_ZN7rocprim17ROCPRIM_400000_NS6detail25reduce_by_key_init_kernelINS1_19lookback_scan_stateINS0_5tupleIJjsEEELb1ELb1EEEsNS1_16block_id_wrapperIjLb1EEEEEvT_jbjPmPT0_T1_ ; -- Begin function _ZN7rocprim17ROCPRIM_400000_NS6detail25reduce_by_key_init_kernelINS1_19lookback_scan_stateINS0_5tupleIJjsEEELb1ELb1EEEsNS1_16block_id_wrapperIjLb1EEEEEvT_jbjPmPT0_T1_
	.globl	_ZN7rocprim17ROCPRIM_400000_NS6detail25reduce_by_key_init_kernelINS1_19lookback_scan_stateINS0_5tupleIJjsEEELb1ELb1EEEsNS1_16block_id_wrapperIjLb1EEEEEvT_jbjPmPT0_T1_
	.p2align	8
	.type	_ZN7rocprim17ROCPRIM_400000_NS6detail25reduce_by_key_init_kernelINS1_19lookback_scan_stateINS0_5tupleIJjsEEELb1ELb1EEEsNS1_16block_id_wrapperIjLb1EEEEEvT_jbjPmPT0_T1_,@function
_ZN7rocprim17ROCPRIM_400000_NS6detail25reduce_by_key_init_kernelINS1_19lookback_scan_stateINS0_5tupleIJjsEEELb1ELb1EEEsNS1_16block_id_wrapperIjLb1EEEEEvT_jbjPmPT0_T1_: ; @_ZN7rocprim17ROCPRIM_400000_NS6detail25reduce_by_key_init_kernelINS1_19lookback_scan_stateINS0_5tupleIJjsEEELb1ELb1EEEsNS1_16block_id_wrapperIjLb1EEEEEvT_jbjPmPT0_T1_
; %bb.0:
	s_clause 0x3
	s_load_b32 s14, s[0:1], 0x3c
	s_load_b256 s[4:11], s[0:1], 0x8
	s_load_b64 s[12:13], s[0:1], 0x28
	s_load_b64 s[2:3], s[0:1], 0x0
	s_mov_b32 s1, -1
	s_waitcnt lgkmcnt(0)
	s_and_b32 s0, s14, 0xffff
	s_delay_alu instid0(SALU_CYCLE_1) | instskip(SKIP_1) | instid1(SALU_CYCLE_1)
	v_mad_u64_u32 v[1:2], null, s15, s0, v[0:1]
	s_and_b32 s0, s5, 1
	s_cmp_eq_u32 s0, 0
	s_cbranch_scc0 .LBB631_10
; %bb.1:
	s_cmp_lt_u32 s6, s4
	s_mov_b32 s5, exec_lo
	s_cselect_b32 s0, s6, 0
	s_delay_alu instid0(VALU_DEP_1) | instid1(SALU_CYCLE_1)
	v_cmpx_eq_u32_e64 s0, v1
	s_cbranch_execz .LBB631_9
; %bb.2:
	s_add_i32 s0, s6, 32
	s_mov_b32 s1, 0
	v_mov_b32_e32 v6, 0
	s_lshl_b64 s[6:7], s[0:1], 4
	s_mov_b32 s0, exec_lo
	s_add_u32 s6, s2, s6
	s_addc_u32 s7, s3, s7
	s_delay_alu instid0(SALU_CYCLE_1) | instskip(SKIP_2) | instid1(VALU_DEP_1)
	v_dual_mov_b32 v2, s6 :: v_dual_mov_b32 v3, s7
	;;#ASMSTART
	global_load_dwordx4 v[2:5], v[2:3] off glc	
s_waitcnt vmcnt(0)
	;;#ASMEND
	v_and_b32_e32 v5, 0xff, v4
	v_cmpx_eq_u64_e32 0, v[5:6]
	s_cbranch_execz .LBB631_8
; %bb.3:
	v_dual_mov_b32 v8, s7 :: v_dual_mov_b32 v7, s6
	s_mov_b32 s6, 1
	.p2align	6
.LBB631_4:                              ; =>This Loop Header: Depth=1
                                        ;     Child Loop BB631_5 Depth 2
	s_delay_alu instid0(SALU_CYCLE_1)
	s_max_u32 s7, s6, 1
.LBB631_5:                              ;   Parent Loop BB631_4 Depth=1
                                        ; =>  This Inner Loop Header: Depth=2
	s_delay_alu instid0(SALU_CYCLE_1)
	s_add_i32 s7, s7, -1
	s_sleep 1
	s_cmp_eq_u32 s7, 0
	s_cbranch_scc0 .LBB631_5
; %bb.6:                                ;   in Loop: Header=BB631_4 Depth=1
	;;#ASMSTART
	global_load_dwordx4 v[2:5], v[7:8] off glc	
s_waitcnt vmcnt(0)
	;;#ASMEND
	v_and_b32_e32 v5, 0xff, v4
	s_cmp_lt_u32 s6, 32
	s_cselect_b32 s7, -1, 0
	s_delay_alu instid0(SALU_CYCLE_1) | instskip(NEXT) | instid1(VALU_DEP_1)
	s_cmp_lg_u32 s7, 0
	v_cmp_ne_u64_e32 vcc_lo, 0, v[5:6]
	s_addc_u32 s6, s6, 0
	s_or_b32 s1, vcc_lo, s1
	s_delay_alu instid0(SALU_CYCLE_1)
	s_and_not1_b32 exec_lo, exec_lo, s1
	s_cbranch_execnz .LBB631_4
; %bb.7:
	s_or_b32 exec_lo, exec_lo, s1
.LBB631_8:
	s_delay_alu instid0(SALU_CYCLE_1)
	s_or_b32 exec_lo, exec_lo, s0
	v_mov_b32_e32 v0, 0
	global_load_b64 v[4:5], v0, s[8:9]
	s_waitcnt vmcnt(0)
	v_add_co_u32 v4, vcc_lo, v4, v2
	v_add_co_ci_u32_e32 v5, vcc_lo, 0, v5, vcc_lo
	s_clause 0x1
	global_store_b64 v0, v[4:5], s[8:9]
	global_store_b16 v0, v3, s[10:11]
.LBB631_9:
	s_or_b32 exec_lo, exec_lo, s5
	s_mov_b32 s1, 0
.LBB631_10:
	s_delay_alu instid0(VALU_DEP_1)
	v_cmp_eq_u32_e64 s0, 0, v1
	s_and_not1_b32 vcc_lo, exec_lo, s1
	s_cbranch_vccnz .LBB631_14
; %bb.11:
	s_cmp_lg_u64 s[8:9], 0
	s_cselect_b32 s1, -1, 0
	s_delay_alu instid0(SALU_CYCLE_1) | instskip(NEXT) | instid1(SALU_CYCLE_1)
	s_and_b32 s1, s1, s0
	s_and_saveexec_b32 s0, s1
	s_cbranch_execz .LBB631_13
; %bb.12:
	v_mov_b32_e32 v2, 0
	s_delay_alu instid0(VALU_DEP_1)
	v_mov_b32_e32 v3, v2
	global_store_b64 v2, v[2:3], s[8:9]
.LBB631_13:
	s_or_b32 exec_lo, exec_lo, s0
.LBB631_14:
	s_delay_alu instid0(SALU_CYCLE_1)
	s_mov_b32 s0, exec_lo
	v_cmpx_eq_u32_e32 0, v1
	s_cbranch_execz .LBB631_16
; %bb.15:
	v_mov_b32_e32 v0, 0
	global_store_b32 v0, v0, s[12:13]
.LBB631_16:
	s_or_b32 exec_lo, exec_lo, s0
	s_delay_alu instid0(SALU_CYCLE_1)
	s_mov_b32 s0, exec_lo
	v_cmpx_gt_u32_e64 s4, v1
	s_cbranch_execz .LBB631_18
; %bb.17:
	v_dual_mov_b32 v3, 0 :: v_dual_add_nc_u32 v2, 32, v1
	s_delay_alu instid0(VALU_DEP_1) | instskip(SKIP_2) | instid1(VALU_DEP_3)
	v_lshlrev_b64 v[5:6], 4, v[2:3]
	v_mov_b32_e32 v2, v3
	v_mov_b32_e32 v4, v3
	v_add_co_u32 v7, vcc_lo, s2, v5
	s_delay_alu instid0(VALU_DEP_4)
	v_add_co_ci_u32_e32 v8, vcc_lo, s3, v6, vcc_lo
	v_mov_b32_e32 v5, v3
	global_store_b128 v[7:8], v[2:5], off
.LBB631_18:
	s_or_b32 exec_lo, exec_lo, s0
	s_delay_alu instid0(SALU_CYCLE_1)
	s_mov_b32 s0, exec_lo
	v_cmpx_gt_u32_e32 32, v1
	s_cbranch_execz .LBB631_20
; %bb.19:
	v_dual_mov_b32 v2, 0 :: v_dual_mov_b32 v3, 0xff
	s_delay_alu instid0(VALU_DEP_1) | instskip(SKIP_1) | instid1(VALU_DEP_2)
	v_lshlrev_b64 v[4:5], 4, v[1:2]
	v_mov_b32_e32 v1, v2
	v_add_co_u32 v6, vcc_lo, s2, v4
	s_delay_alu instid0(VALU_DEP_3)
	v_add_co_ci_u32_e32 v7, vcc_lo, s3, v5, vcc_lo
	v_mov_b32_e32 v4, v2
	global_store_b128 v[6:7], v[1:4], off
.LBB631_20:
	s_nop 0
	s_sendmsg sendmsg(MSG_DEALLOC_VGPRS)
	s_endpgm
	.section	.rodata,"a",@progbits
	.p2align	6, 0x0
	.amdhsa_kernel _ZN7rocprim17ROCPRIM_400000_NS6detail25reduce_by_key_init_kernelINS1_19lookback_scan_stateINS0_5tupleIJjsEEELb1ELb1EEEsNS1_16block_id_wrapperIjLb1EEEEEvT_jbjPmPT0_T1_
		.amdhsa_group_segment_fixed_size 0
		.amdhsa_private_segment_fixed_size 0
		.amdhsa_kernarg_size 304
		.amdhsa_user_sgpr_count 15
		.amdhsa_user_sgpr_dispatch_ptr 0
		.amdhsa_user_sgpr_queue_ptr 0
		.amdhsa_user_sgpr_kernarg_segment_ptr 1
		.amdhsa_user_sgpr_dispatch_id 0
		.amdhsa_user_sgpr_private_segment_size 0
		.amdhsa_wavefront_size32 1
		.amdhsa_uses_dynamic_stack 0
		.amdhsa_enable_private_segment 0
		.amdhsa_system_sgpr_workgroup_id_x 1
		.amdhsa_system_sgpr_workgroup_id_y 0
		.amdhsa_system_sgpr_workgroup_id_z 0
		.amdhsa_system_sgpr_workgroup_info 0
		.amdhsa_system_vgpr_workitem_id 0
		.amdhsa_next_free_vgpr 9
		.amdhsa_next_free_sgpr 16
		.amdhsa_reserve_vcc 1
		.amdhsa_float_round_mode_32 0
		.amdhsa_float_round_mode_16_64 0
		.amdhsa_float_denorm_mode_32 3
		.amdhsa_float_denorm_mode_16_64 3
		.amdhsa_dx10_clamp 1
		.amdhsa_ieee_mode 1
		.amdhsa_fp16_overflow 0
		.amdhsa_workgroup_processor_mode 1
		.amdhsa_memory_ordered 1
		.amdhsa_forward_progress 0
		.amdhsa_shared_vgpr_count 0
		.amdhsa_exception_fp_ieee_invalid_op 0
		.amdhsa_exception_fp_denorm_src 0
		.amdhsa_exception_fp_ieee_div_zero 0
		.amdhsa_exception_fp_ieee_overflow 0
		.amdhsa_exception_fp_ieee_underflow 0
		.amdhsa_exception_fp_ieee_inexact 0
		.amdhsa_exception_int_div_zero 0
	.end_amdhsa_kernel
	.section	.text._ZN7rocprim17ROCPRIM_400000_NS6detail25reduce_by_key_init_kernelINS1_19lookback_scan_stateINS0_5tupleIJjsEEELb1ELb1EEEsNS1_16block_id_wrapperIjLb1EEEEEvT_jbjPmPT0_T1_,"axG",@progbits,_ZN7rocprim17ROCPRIM_400000_NS6detail25reduce_by_key_init_kernelINS1_19lookback_scan_stateINS0_5tupleIJjsEEELb1ELb1EEEsNS1_16block_id_wrapperIjLb1EEEEEvT_jbjPmPT0_T1_,comdat
.Lfunc_end631:
	.size	_ZN7rocprim17ROCPRIM_400000_NS6detail25reduce_by_key_init_kernelINS1_19lookback_scan_stateINS0_5tupleIJjsEEELb1ELb1EEEsNS1_16block_id_wrapperIjLb1EEEEEvT_jbjPmPT0_T1_, .Lfunc_end631-_ZN7rocprim17ROCPRIM_400000_NS6detail25reduce_by_key_init_kernelINS1_19lookback_scan_stateINS0_5tupleIJjsEEELb1ELb1EEEsNS1_16block_id_wrapperIjLb1EEEEEvT_jbjPmPT0_T1_
                                        ; -- End function
	.section	.AMDGPU.csdata,"",@progbits
; Kernel info:
; codeLenInByte = 660
; NumSgprs: 18
; NumVgprs: 9
; ScratchSize: 0
; MemoryBound: 0
; FloatMode: 240
; IeeeMode: 1
; LDSByteSize: 0 bytes/workgroup (compile time only)
; SGPRBlocks: 2
; VGPRBlocks: 1
; NumSGPRsForWavesPerEU: 18
; NumVGPRsForWavesPerEU: 9
; Occupancy: 16
; WaveLimiterHint : 0
; COMPUTE_PGM_RSRC2:SCRATCH_EN: 0
; COMPUTE_PGM_RSRC2:USER_SGPR: 15
; COMPUTE_PGM_RSRC2:TRAP_HANDLER: 0
; COMPUTE_PGM_RSRC2:TGID_X_EN: 1
; COMPUTE_PGM_RSRC2:TGID_Y_EN: 0
; COMPUTE_PGM_RSRC2:TGID_Z_EN: 0
; COMPUTE_PGM_RSRC2:TIDIG_COMP_CNT: 0
	.section	.text._ZN7rocprim17ROCPRIM_400000_NS6detail17trampoline_kernelINS0_14default_configENS1_29reduce_by_key_config_selectorIssN6thrust23THRUST_200600_302600_NS4plusIsEEEEZZNS1_33reduce_by_key_impl_wrapped_configILNS1_25lookback_scan_determinismE0ES3_S9_NS6_6detail15normal_iteratorINS6_10device_ptrIsEEEESG_SG_SG_PmS8_NS6_8equal_toIsEEEE10hipError_tPvRmT2_T3_mT4_T5_T6_T7_T8_P12ihipStream_tbENKUlT_T0_E_clISt17integral_constantIbLb1EES11_EEDaSW_SX_EUlSW_E_NS1_11comp_targetILNS1_3genE0ELNS1_11target_archE4294967295ELNS1_3gpuE0ELNS1_3repE0EEENS1_30default_config_static_selectorELNS0_4arch9wavefront6targetE0EEEvT1_,"axG",@progbits,_ZN7rocprim17ROCPRIM_400000_NS6detail17trampoline_kernelINS0_14default_configENS1_29reduce_by_key_config_selectorIssN6thrust23THRUST_200600_302600_NS4plusIsEEEEZZNS1_33reduce_by_key_impl_wrapped_configILNS1_25lookback_scan_determinismE0ES3_S9_NS6_6detail15normal_iteratorINS6_10device_ptrIsEEEESG_SG_SG_PmS8_NS6_8equal_toIsEEEE10hipError_tPvRmT2_T3_mT4_T5_T6_T7_T8_P12ihipStream_tbENKUlT_T0_E_clISt17integral_constantIbLb1EES11_EEDaSW_SX_EUlSW_E_NS1_11comp_targetILNS1_3genE0ELNS1_11target_archE4294967295ELNS1_3gpuE0ELNS1_3repE0EEENS1_30default_config_static_selectorELNS0_4arch9wavefront6targetE0EEEvT1_,comdat
	.protected	_ZN7rocprim17ROCPRIM_400000_NS6detail17trampoline_kernelINS0_14default_configENS1_29reduce_by_key_config_selectorIssN6thrust23THRUST_200600_302600_NS4plusIsEEEEZZNS1_33reduce_by_key_impl_wrapped_configILNS1_25lookback_scan_determinismE0ES3_S9_NS6_6detail15normal_iteratorINS6_10device_ptrIsEEEESG_SG_SG_PmS8_NS6_8equal_toIsEEEE10hipError_tPvRmT2_T3_mT4_T5_T6_T7_T8_P12ihipStream_tbENKUlT_T0_E_clISt17integral_constantIbLb1EES11_EEDaSW_SX_EUlSW_E_NS1_11comp_targetILNS1_3genE0ELNS1_11target_archE4294967295ELNS1_3gpuE0ELNS1_3repE0EEENS1_30default_config_static_selectorELNS0_4arch9wavefront6targetE0EEEvT1_ ; -- Begin function _ZN7rocprim17ROCPRIM_400000_NS6detail17trampoline_kernelINS0_14default_configENS1_29reduce_by_key_config_selectorIssN6thrust23THRUST_200600_302600_NS4plusIsEEEEZZNS1_33reduce_by_key_impl_wrapped_configILNS1_25lookback_scan_determinismE0ES3_S9_NS6_6detail15normal_iteratorINS6_10device_ptrIsEEEESG_SG_SG_PmS8_NS6_8equal_toIsEEEE10hipError_tPvRmT2_T3_mT4_T5_T6_T7_T8_P12ihipStream_tbENKUlT_T0_E_clISt17integral_constantIbLb1EES11_EEDaSW_SX_EUlSW_E_NS1_11comp_targetILNS1_3genE0ELNS1_11target_archE4294967295ELNS1_3gpuE0ELNS1_3repE0EEENS1_30default_config_static_selectorELNS0_4arch9wavefront6targetE0EEEvT1_
	.globl	_ZN7rocprim17ROCPRIM_400000_NS6detail17trampoline_kernelINS0_14default_configENS1_29reduce_by_key_config_selectorIssN6thrust23THRUST_200600_302600_NS4plusIsEEEEZZNS1_33reduce_by_key_impl_wrapped_configILNS1_25lookback_scan_determinismE0ES3_S9_NS6_6detail15normal_iteratorINS6_10device_ptrIsEEEESG_SG_SG_PmS8_NS6_8equal_toIsEEEE10hipError_tPvRmT2_T3_mT4_T5_T6_T7_T8_P12ihipStream_tbENKUlT_T0_E_clISt17integral_constantIbLb1EES11_EEDaSW_SX_EUlSW_E_NS1_11comp_targetILNS1_3genE0ELNS1_11target_archE4294967295ELNS1_3gpuE0ELNS1_3repE0EEENS1_30default_config_static_selectorELNS0_4arch9wavefront6targetE0EEEvT1_
	.p2align	8
	.type	_ZN7rocprim17ROCPRIM_400000_NS6detail17trampoline_kernelINS0_14default_configENS1_29reduce_by_key_config_selectorIssN6thrust23THRUST_200600_302600_NS4plusIsEEEEZZNS1_33reduce_by_key_impl_wrapped_configILNS1_25lookback_scan_determinismE0ES3_S9_NS6_6detail15normal_iteratorINS6_10device_ptrIsEEEESG_SG_SG_PmS8_NS6_8equal_toIsEEEE10hipError_tPvRmT2_T3_mT4_T5_T6_T7_T8_P12ihipStream_tbENKUlT_T0_E_clISt17integral_constantIbLb1EES11_EEDaSW_SX_EUlSW_E_NS1_11comp_targetILNS1_3genE0ELNS1_11target_archE4294967295ELNS1_3gpuE0ELNS1_3repE0EEENS1_30default_config_static_selectorELNS0_4arch9wavefront6targetE0EEEvT1_,@function
_ZN7rocprim17ROCPRIM_400000_NS6detail17trampoline_kernelINS0_14default_configENS1_29reduce_by_key_config_selectorIssN6thrust23THRUST_200600_302600_NS4plusIsEEEEZZNS1_33reduce_by_key_impl_wrapped_configILNS1_25lookback_scan_determinismE0ES3_S9_NS6_6detail15normal_iteratorINS6_10device_ptrIsEEEESG_SG_SG_PmS8_NS6_8equal_toIsEEEE10hipError_tPvRmT2_T3_mT4_T5_T6_T7_T8_P12ihipStream_tbENKUlT_T0_E_clISt17integral_constantIbLb1EES11_EEDaSW_SX_EUlSW_E_NS1_11comp_targetILNS1_3genE0ELNS1_11target_archE4294967295ELNS1_3gpuE0ELNS1_3repE0EEENS1_30default_config_static_selectorELNS0_4arch9wavefront6targetE0EEEvT1_: ; @_ZN7rocprim17ROCPRIM_400000_NS6detail17trampoline_kernelINS0_14default_configENS1_29reduce_by_key_config_selectorIssN6thrust23THRUST_200600_302600_NS4plusIsEEEEZZNS1_33reduce_by_key_impl_wrapped_configILNS1_25lookback_scan_determinismE0ES3_S9_NS6_6detail15normal_iteratorINS6_10device_ptrIsEEEESG_SG_SG_PmS8_NS6_8equal_toIsEEEE10hipError_tPvRmT2_T3_mT4_T5_T6_T7_T8_P12ihipStream_tbENKUlT_T0_E_clISt17integral_constantIbLb1EES11_EEDaSW_SX_EUlSW_E_NS1_11comp_targetILNS1_3genE0ELNS1_11target_archE4294967295ELNS1_3gpuE0ELNS1_3repE0EEENS1_30default_config_static_selectorELNS0_4arch9wavefront6targetE0EEEvT1_
; %bb.0:
	.section	.rodata,"a",@progbits
	.p2align	6, 0x0
	.amdhsa_kernel _ZN7rocprim17ROCPRIM_400000_NS6detail17trampoline_kernelINS0_14default_configENS1_29reduce_by_key_config_selectorIssN6thrust23THRUST_200600_302600_NS4plusIsEEEEZZNS1_33reduce_by_key_impl_wrapped_configILNS1_25lookback_scan_determinismE0ES3_S9_NS6_6detail15normal_iteratorINS6_10device_ptrIsEEEESG_SG_SG_PmS8_NS6_8equal_toIsEEEE10hipError_tPvRmT2_T3_mT4_T5_T6_T7_T8_P12ihipStream_tbENKUlT_T0_E_clISt17integral_constantIbLb1EES11_EEDaSW_SX_EUlSW_E_NS1_11comp_targetILNS1_3genE0ELNS1_11target_archE4294967295ELNS1_3gpuE0ELNS1_3repE0EEENS1_30default_config_static_selectorELNS0_4arch9wavefront6targetE0EEEvT1_
		.amdhsa_group_segment_fixed_size 0
		.amdhsa_private_segment_fixed_size 0
		.amdhsa_kernarg_size 120
		.amdhsa_user_sgpr_count 15
		.amdhsa_user_sgpr_dispatch_ptr 0
		.amdhsa_user_sgpr_queue_ptr 0
		.amdhsa_user_sgpr_kernarg_segment_ptr 1
		.amdhsa_user_sgpr_dispatch_id 0
		.amdhsa_user_sgpr_private_segment_size 0
		.amdhsa_wavefront_size32 1
		.amdhsa_uses_dynamic_stack 0
		.amdhsa_enable_private_segment 0
		.amdhsa_system_sgpr_workgroup_id_x 1
		.amdhsa_system_sgpr_workgroup_id_y 0
		.amdhsa_system_sgpr_workgroup_id_z 0
		.amdhsa_system_sgpr_workgroup_info 0
		.amdhsa_system_vgpr_workitem_id 0
		.amdhsa_next_free_vgpr 1
		.amdhsa_next_free_sgpr 1
		.amdhsa_reserve_vcc 0
		.amdhsa_float_round_mode_32 0
		.amdhsa_float_round_mode_16_64 0
		.amdhsa_float_denorm_mode_32 3
		.amdhsa_float_denorm_mode_16_64 3
		.amdhsa_dx10_clamp 1
		.amdhsa_ieee_mode 1
		.amdhsa_fp16_overflow 0
		.amdhsa_workgroup_processor_mode 1
		.amdhsa_memory_ordered 1
		.amdhsa_forward_progress 0
		.amdhsa_shared_vgpr_count 0
		.amdhsa_exception_fp_ieee_invalid_op 0
		.amdhsa_exception_fp_denorm_src 0
		.amdhsa_exception_fp_ieee_div_zero 0
		.amdhsa_exception_fp_ieee_overflow 0
		.amdhsa_exception_fp_ieee_underflow 0
		.amdhsa_exception_fp_ieee_inexact 0
		.amdhsa_exception_int_div_zero 0
	.end_amdhsa_kernel
	.section	.text._ZN7rocprim17ROCPRIM_400000_NS6detail17trampoline_kernelINS0_14default_configENS1_29reduce_by_key_config_selectorIssN6thrust23THRUST_200600_302600_NS4plusIsEEEEZZNS1_33reduce_by_key_impl_wrapped_configILNS1_25lookback_scan_determinismE0ES3_S9_NS6_6detail15normal_iteratorINS6_10device_ptrIsEEEESG_SG_SG_PmS8_NS6_8equal_toIsEEEE10hipError_tPvRmT2_T3_mT4_T5_T6_T7_T8_P12ihipStream_tbENKUlT_T0_E_clISt17integral_constantIbLb1EES11_EEDaSW_SX_EUlSW_E_NS1_11comp_targetILNS1_3genE0ELNS1_11target_archE4294967295ELNS1_3gpuE0ELNS1_3repE0EEENS1_30default_config_static_selectorELNS0_4arch9wavefront6targetE0EEEvT1_,"axG",@progbits,_ZN7rocprim17ROCPRIM_400000_NS6detail17trampoline_kernelINS0_14default_configENS1_29reduce_by_key_config_selectorIssN6thrust23THRUST_200600_302600_NS4plusIsEEEEZZNS1_33reduce_by_key_impl_wrapped_configILNS1_25lookback_scan_determinismE0ES3_S9_NS6_6detail15normal_iteratorINS6_10device_ptrIsEEEESG_SG_SG_PmS8_NS6_8equal_toIsEEEE10hipError_tPvRmT2_T3_mT4_T5_T6_T7_T8_P12ihipStream_tbENKUlT_T0_E_clISt17integral_constantIbLb1EES11_EEDaSW_SX_EUlSW_E_NS1_11comp_targetILNS1_3genE0ELNS1_11target_archE4294967295ELNS1_3gpuE0ELNS1_3repE0EEENS1_30default_config_static_selectorELNS0_4arch9wavefront6targetE0EEEvT1_,comdat
.Lfunc_end632:
	.size	_ZN7rocprim17ROCPRIM_400000_NS6detail17trampoline_kernelINS0_14default_configENS1_29reduce_by_key_config_selectorIssN6thrust23THRUST_200600_302600_NS4plusIsEEEEZZNS1_33reduce_by_key_impl_wrapped_configILNS1_25lookback_scan_determinismE0ES3_S9_NS6_6detail15normal_iteratorINS6_10device_ptrIsEEEESG_SG_SG_PmS8_NS6_8equal_toIsEEEE10hipError_tPvRmT2_T3_mT4_T5_T6_T7_T8_P12ihipStream_tbENKUlT_T0_E_clISt17integral_constantIbLb1EES11_EEDaSW_SX_EUlSW_E_NS1_11comp_targetILNS1_3genE0ELNS1_11target_archE4294967295ELNS1_3gpuE0ELNS1_3repE0EEENS1_30default_config_static_selectorELNS0_4arch9wavefront6targetE0EEEvT1_, .Lfunc_end632-_ZN7rocprim17ROCPRIM_400000_NS6detail17trampoline_kernelINS0_14default_configENS1_29reduce_by_key_config_selectorIssN6thrust23THRUST_200600_302600_NS4plusIsEEEEZZNS1_33reduce_by_key_impl_wrapped_configILNS1_25lookback_scan_determinismE0ES3_S9_NS6_6detail15normal_iteratorINS6_10device_ptrIsEEEESG_SG_SG_PmS8_NS6_8equal_toIsEEEE10hipError_tPvRmT2_T3_mT4_T5_T6_T7_T8_P12ihipStream_tbENKUlT_T0_E_clISt17integral_constantIbLb1EES11_EEDaSW_SX_EUlSW_E_NS1_11comp_targetILNS1_3genE0ELNS1_11target_archE4294967295ELNS1_3gpuE0ELNS1_3repE0EEENS1_30default_config_static_selectorELNS0_4arch9wavefront6targetE0EEEvT1_
                                        ; -- End function
	.section	.AMDGPU.csdata,"",@progbits
; Kernel info:
; codeLenInByte = 0
; NumSgprs: 0
; NumVgprs: 0
; ScratchSize: 0
; MemoryBound: 0
; FloatMode: 240
; IeeeMode: 1
; LDSByteSize: 0 bytes/workgroup (compile time only)
; SGPRBlocks: 0
; VGPRBlocks: 0
; NumSGPRsForWavesPerEU: 1
; NumVGPRsForWavesPerEU: 1
; Occupancy: 16
; WaveLimiterHint : 0
; COMPUTE_PGM_RSRC2:SCRATCH_EN: 0
; COMPUTE_PGM_RSRC2:USER_SGPR: 15
; COMPUTE_PGM_RSRC2:TRAP_HANDLER: 0
; COMPUTE_PGM_RSRC2:TGID_X_EN: 1
; COMPUTE_PGM_RSRC2:TGID_Y_EN: 0
; COMPUTE_PGM_RSRC2:TGID_Z_EN: 0
; COMPUTE_PGM_RSRC2:TIDIG_COMP_CNT: 0
	.section	.text._ZN7rocprim17ROCPRIM_400000_NS6detail17trampoline_kernelINS0_14default_configENS1_29reduce_by_key_config_selectorIssN6thrust23THRUST_200600_302600_NS4plusIsEEEEZZNS1_33reduce_by_key_impl_wrapped_configILNS1_25lookback_scan_determinismE0ES3_S9_NS6_6detail15normal_iteratorINS6_10device_ptrIsEEEESG_SG_SG_PmS8_NS6_8equal_toIsEEEE10hipError_tPvRmT2_T3_mT4_T5_T6_T7_T8_P12ihipStream_tbENKUlT_T0_E_clISt17integral_constantIbLb1EES11_EEDaSW_SX_EUlSW_E_NS1_11comp_targetILNS1_3genE5ELNS1_11target_archE942ELNS1_3gpuE9ELNS1_3repE0EEENS1_30default_config_static_selectorELNS0_4arch9wavefront6targetE0EEEvT1_,"axG",@progbits,_ZN7rocprim17ROCPRIM_400000_NS6detail17trampoline_kernelINS0_14default_configENS1_29reduce_by_key_config_selectorIssN6thrust23THRUST_200600_302600_NS4plusIsEEEEZZNS1_33reduce_by_key_impl_wrapped_configILNS1_25lookback_scan_determinismE0ES3_S9_NS6_6detail15normal_iteratorINS6_10device_ptrIsEEEESG_SG_SG_PmS8_NS6_8equal_toIsEEEE10hipError_tPvRmT2_T3_mT4_T5_T6_T7_T8_P12ihipStream_tbENKUlT_T0_E_clISt17integral_constantIbLb1EES11_EEDaSW_SX_EUlSW_E_NS1_11comp_targetILNS1_3genE5ELNS1_11target_archE942ELNS1_3gpuE9ELNS1_3repE0EEENS1_30default_config_static_selectorELNS0_4arch9wavefront6targetE0EEEvT1_,comdat
	.protected	_ZN7rocprim17ROCPRIM_400000_NS6detail17trampoline_kernelINS0_14default_configENS1_29reduce_by_key_config_selectorIssN6thrust23THRUST_200600_302600_NS4plusIsEEEEZZNS1_33reduce_by_key_impl_wrapped_configILNS1_25lookback_scan_determinismE0ES3_S9_NS6_6detail15normal_iteratorINS6_10device_ptrIsEEEESG_SG_SG_PmS8_NS6_8equal_toIsEEEE10hipError_tPvRmT2_T3_mT4_T5_T6_T7_T8_P12ihipStream_tbENKUlT_T0_E_clISt17integral_constantIbLb1EES11_EEDaSW_SX_EUlSW_E_NS1_11comp_targetILNS1_3genE5ELNS1_11target_archE942ELNS1_3gpuE9ELNS1_3repE0EEENS1_30default_config_static_selectorELNS0_4arch9wavefront6targetE0EEEvT1_ ; -- Begin function _ZN7rocprim17ROCPRIM_400000_NS6detail17trampoline_kernelINS0_14default_configENS1_29reduce_by_key_config_selectorIssN6thrust23THRUST_200600_302600_NS4plusIsEEEEZZNS1_33reduce_by_key_impl_wrapped_configILNS1_25lookback_scan_determinismE0ES3_S9_NS6_6detail15normal_iteratorINS6_10device_ptrIsEEEESG_SG_SG_PmS8_NS6_8equal_toIsEEEE10hipError_tPvRmT2_T3_mT4_T5_T6_T7_T8_P12ihipStream_tbENKUlT_T0_E_clISt17integral_constantIbLb1EES11_EEDaSW_SX_EUlSW_E_NS1_11comp_targetILNS1_3genE5ELNS1_11target_archE942ELNS1_3gpuE9ELNS1_3repE0EEENS1_30default_config_static_selectorELNS0_4arch9wavefront6targetE0EEEvT1_
	.globl	_ZN7rocprim17ROCPRIM_400000_NS6detail17trampoline_kernelINS0_14default_configENS1_29reduce_by_key_config_selectorIssN6thrust23THRUST_200600_302600_NS4plusIsEEEEZZNS1_33reduce_by_key_impl_wrapped_configILNS1_25lookback_scan_determinismE0ES3_S9_NS6_6detail15normal_iteratorINS6_10device_ptrIsEEEESG_SG_SG_PmS8_NS6_8equal_toIsEEEE10hipError_tPvRmT2_T3_mT4_T5_T6_T7_T8_P12ihipStream_tbENKUlT_T0_E_clISt17integral_constantIbLb1EES11_EEDaSW_SX_EUlSW_E_NS1_11comp_targetILNS1_3genE5ELNS1_11target_archE942ELNS1_3gpuE9ELNS1_3repE0EEENS1_30default_config_static_selectorELNS0_4arch9wavefront6targetE0EEEvT1_
	.p2align	8
	.type	_ZN7rocprim17ROCPRIM_400000_NS6detail17trampoline_kernelINS0_14default_configENS1_29reduce_by_key_config_selectorIssN6thrust23THRUST_200600_302600_NS4plusIsEEEEZZNS1_33reduce_by_key_impl_wrapped_configILNS1_25lookback_scan_determinismE0ES3_S9_NS6_6detail15normal_iteratorINS6_10device_ptrIsEEEESG_SG_SG_PmS8_NS6_8equal_toIsEEEE10hipError_tPvRmT2_T3_mT4_T5_T6_T7_T8_P12ihipStream_tbENKUlT_T0_E_clISt17integral_constantIbLb1EES11_EEDaSW_SX_EUlSW_E_NS1_11comp_targetILNS1_3genE5ELNS1_11target_archE942ELNS1_3gpuE9ELNS1_3repE0EEENS1_30default_config_static_selectorELNS0_4arch9wavefront6targetE0EEEvT1_,@function
_ZN7rocprim17ROCPRIM_400000_NS6detail17trampoline_kernelINS0_14default_configENS1_29reduce_by_key_config_selectorIssN6thrust23THRUST_200600_302600_NS4plusIsEEEEZZNS1_33reduce_by_key_impl_wrapped_configILNS1_25lookback_scan_determinismE0ES3_S9_NS6_6detail15normal_iteratorINS6_10device_ptrIsEEEESG_SG_SG_PmS8_NS6_8equal_toIsEEEE10hipError_tPvRmT2_T3_mT4_T5_T6_T7_T8_P12ihipStream_tbENKUlT_T0_E_clISt17integral_constantIbLb1EES11_EEDaSW_SX_EUlSW_E_NS1_11comp_targetILNS1_3genE5ELNS1_11target_archE942ELNS1_3gpuE9ELNS1_3repE0EEENS1_30default_config_static_selectorELNS0_4arch9wavefront6targetE0EEEvT1_: ; @_ZN7rocprim17ROCPRIM_400000_NS6detail17trampoline_kernelINS0_14default_configENS1_29reduce_by_key_config_selectorIssN6thrust23THRUST_200600_302600_NS4plusIsEEEEZZNS1_33reduce_by_key_impl_wrapped_configILNS1_25lookback_scan_determinismE0ES3_S9_NS6_6detail15normal_iteratorINS6_10device_ptrIsEEEESG_SG_SG_PmS8_NS6_8equal_toIsEEEE10hipError_tPvRmT2_T3_mT4_T5_T6_T7_T8_P12ihipStream_tbENKUlT_T0_E_clISt17integral_constantIbLb1EES11_EEDaSW_SX_EUlSW_E_NS1_11comp_targetILNS1_3genE5ELNS1_11target_archE942ELNS1_3gpuE9ELNS1_3repE0EEENS1_30default_config_static_selectorELNS0_4arch9wavefront6targetE0EEEvT1_
; %bb.0:
	.section	.rodata,"a",@progbits
	.p2align	6, 0x0
	.amdhsa_kernel _ZN7rocprim17ROCPRIM_400000_NS6detail17trampoline_kernelINS0_14default_configENS1_29reduce_by_key_config_selectorIssN6thrust23THRUST_200600_302600_NS4plusIsEEEEZZNS1_33reduce_by_key_impl_wrapped_configILNS1_25lookback_scan_determinismE0ES3_S9_NS6_6detail15normal_iteratorINS6_10device_ptrIsEEEESG_SG_SG_PmS8_NS6_8equal_toIsEEEE10hipError_tPvRmT2_T3_mT4_T5_T6_T7_T8_P12ihipStream_tbENKUlT_T0_E_clISt17integral_constantIbLb1EES11_EEDaSW_SX_EUlSW_E_NS1_11comp_targetILNS1_3genE5ELNS1_11target_archE942ELNS1_3gpuE9ELNS1_3repE0EEENS1_30default_config_static_selectorELNS0_4arch9wavefront6targetE0EEEvT1_
		.amdhsa_group_segment_fixed_size 0
		.amdhsa_private_segment_fixed_size 0
		.amdhsa_kernarg_size 120
		.amdhsa_user_sgpr_count 15
		.amdhsa_user_sgpr_dispatch_ptr 0
		.amdhsa_user_sgpr_queue_ptr 0
		.amdhsa_user_sgpr_kernarg_segment_ptr 1
		.amdhsa_user_sgpr_dispatch_id 0
		.amdhsa_user_sgpr_private_segment_size 0
		.amdhsa_wavefront_size32 1
		.amdhsa_uses_dynamic_stack 0
		.amdhsa_enable_private_segment 0
		.amdhsa_system_sgpr_workgroup_id_x 1
		.amdhsa_system_sgpr_workgroup_id_y 0
		.amdhsa_system_sgpr_workgroup_id_z 0
		.amdhsa_system_sgpr_workgroup_info 0
		.amdhsa_system_vgpr_workitem_id 0
		.amdhsa_next_free_vgpr 1
		.amdhsa_next_free_sgpr 1
		.amdhsa_reserve_vcc 0
		.amdhsa_float_round_mode_32 0
		.amdhsa_float_round_mode_16_64 0
		.amdhsa_float_denorm_mode_32 3
		.amdhsa_float_denorm_mode_16_64 3
		.amdhsa_dx10_clamp 1
		.amdhsa_ieee_mode 1
		.amdhsa_fp16_overflow 0
		.amdhsa_workgroup_processor_mode 1
		.amdhsa_memory_ordered 1
		.amdhsa_forward_progress 0
		.amdhsa_shared_vgpr_count 0
		.amdhsa_exception_fp_ieee_invalid_op 0
		.amdhsa_exception_fp_denorm_src 0
		.amdhsa_exception_fp_ieee_div_zero 0
		.amdhsa_exception_fp_ieee_overflow 0
		.amdhsa_exception_fp_ieee_underflow 0
		.amdhsa_exception_fp_ieee_inexact 0
		.amdhsa_exception_int_div_zero 0
	.end_amdhsa_kernel
	.section	.text._ZN7rocprim17ROCPRIM_400000_NS6detail17trampoline_kernelINS0_14default_configENS1_29reduce_by_key_config_selectorIssN6thrust23THRUST_200600_302600_NS4plusIsEEEEZZNS1_33reduce_by_key_impl_wrapped_configILNS1_25lookback_scan_determinismE0ES3_S9_NS6_6detail15normal_iteratorINS6_10device_ptrIsEEEESG_SG_SG_PmS8_NS6_8equal_toIsEEEE10hipError_tPvRmT2_T3_mT4_T5_T6_T7_T8_P12ihipStream_tbENKUlT_T0_E_clISt17integral_constantIbLb1EES11_EEDaSW_SX_EUlSW_E_NS1_11comp_targetILNS1_3genE5ELNS1_11target_archE942ELNS1_3gpuE9ELNS1_3repE0EEENS1_30default_config_static_selectorELNS0_4arch9wavefront6targetE0EEEvT1_,"axG",@progbits,_ZN7rocprim17ROCPRIM_400000_NS6detail17trampoline_kernelINS0_14default_configENS1_29reduce_by_key_config_selectorIssN6thrust23THRUST_200600_302600_NS4plusIsEEEEZZNS1_33reduce_by_key_impl_wrapped_configILNS1_25lookback_scan_determinismE0ES3_S9_NS6_6detail15normal_iteratorINS6_10device_ptrIsEEEESG_SG_SG_PmS8_NS6_8equal_toIsEEEE10hipError_tPvRmT2_T3_mT4_T5_T6_T7_T8_P12ihipStream_tbENKUlT_T0_E_clISt17integral_constantIbLb1EES11_EEDaSW_SX_EUlSW_E_NS1_11comp_targetILNS1_3genE5ELNS1_11target_archE942ELNS1_3gpuE9ELNS1_3repE0EEENS1_30default_config_static_selectorELNS0_4arch9wavefront6targetE0EEEvT1_,comdat
.Lfunc_end633:
	.size	_ZN7rocprim17ROCPRIM_400000_NS6detail17trampoline_kernelINS0_14default_configENS1_29reduce_by_key_config_selectorIssN6thrust23THRUST_200600_302600_NS4plusIsEEEEZZNS1_33reduce_by_key_impl_wrapped_configILNS1_25lookback_scan_determinismE0ES3_S9_NS6_6detail15normal_iteratorINS6_10device_ptrIsEEEESG_SG_SG_PmS8_NS6_8equal_toIsEEEE10hipError_tPvRmT2_T3_mT4_T5_T6_T7_T8_P12ihipStream_tbENKUlT_T0_E_clISt17integral_constantIbLb1EES11_EEDaSW_SX_EUlSW_E_NS1_11comp_targetILNS1_3genE5ELNS1_11target_archE942ELNS1_3gpuE9ELNS1_3repE0EEENS1_30default_config_static_selectorELNS0_4arch9wavefront6targetE0EEEvT1_, .Lfunc_end633-_ZN7rocprim17ROCPRIM_400000_NS6detail17trampoline_kernelINS0_14default_configENS1_29reduce_by_key_config_selectorIssN6thrust23THRUST_200600_302600_NS4plusIsEEEEZZNS1_33reduce_by_key_impl_wrapped_configILNS1_25lookback_scan_determinismE0ES3_S9_NS6_6detail15normal_iteratorINS6_10device_ptrIsEEEESG_SG_SG_PmS8_NS6_8equal_toIsEEEE10hipError_tPvRmT2_T3_mT4_T5_T6_T7_T8_P12ihipStream_tbENKUlT_T0_E_clISt17integral_constantIbLb1EES11_EEDaSW_SX_EUlSW_E_NS1_11comp_targetILNS1_3genE5ELNS1_11target_archE942ELNS1_3gpuE9ELNS1_3repE0EEENS1_30default_config_static_selectorELNS0_4arch9wavefront6targetE0EEEvT1_
                                        ; -- End function
	.section	.AMDGPU.csdata,"",@progbits
; Kernel info:
; codeLenInByte = 0
; NumSgprs: 0
; NumVgprs: 0
; ScratchSize: 0
; MemoryBound: 0
; FloatMode: 240
; IeeeMode: 1
; LDSByteSize: 0 bytes/workgroup (compile time only)
; SGPRBlocks: 0
; VGPRBlocks: 0
; NumSGPRsForWavesPerEU: 1
; NumVGPRsForWavesPerEU: 1
; Occupancy: 16
; WaveLimiterHint : 0
; COMPUTE_PGM_RSRC2:SCRATCH_EN: 0
; COMPUTE_PGM_RSRC2:USER_SGPR: 15
; COMPUTE_PGM_RSRC2:TRAP_HANDLER: 0
; COMPUTE_PGM_RSRC2:TGID_X_EN: 1
; COMPUTE_PGM_RSRC2:TGID_Y_EN: 0
; COMPUTE_PGM_RSRC2:TGID_Z_EN: 0
; COMPUTE_PGM_RSRC2:TIDIG_COMP_CNT: 0
	.section	.text._ZN7rocprim17ROCPRIM_400000_NS6detail17trampoline_kernelINS0_14default_configENS1_29reduce_by_key_config_selectorIssN6thrust23THRUST_200600_302600_NS4plusIsEEEEZZNS1_33reduce_by_key_impl_wrapped_configILNS1_25lookback_scan_determinismE0ES3_S9_NS6_6detail15normal_iteratorINS6_10device_ptrIsEEEESG_SG_SG_PmS8_NS6_8equal_toIsEEEE10hipError_tPvRmT2_T3_mT4_T5_T6_T7_T8_P12ihipStream_tbENKUlT_T0_E_clISt17integral_constantIbLb1EES11_EEDaSW_SX_EUlSW_E_NS1_11comp_targetILNS1_3genE4ELNS1_11target_archE910ELNS1_3gpuE8ELNS1_3repE0EEENS1_30default_config_static_selectorELNS0_4arch9wavefront6targetE0EEEvT1_,"axG",@progbits,_ZN7rocprim17ROCPRIM_400000_NS6detail17trampoline_kernelINS0_14default_configENS1_29reduce_by_key_config_selectorIssN6thrust23THRUST_200600_302600_NS4plusIsEEEEZZNS1_33reduce_by_key_impl_wrapped_configILNS1_25lookback_scan_determinismE0ES3_S9_NS6_6detail15normal_iteratorINS6_10device_ptrIsEEEESG_SG_SG_PmS8_NS6_8equal_toIsEEEE10hipError_tPvRmT2_T3_mT4_T5_T6_T7_T8_P12ihipStream_tbENKUlT_T0_E_clISt17integral_constantIbLb1EES11_EEDaSW_SX_EUlSW_E_NS1_11comp_targetILNS1_3genE4ELNS1_11target_archE910ELNS1_3gpuE8ELNS1_3repE0EEENS1_30default_config_static_selectorELNS0_4arch9wavefront6targetE0EEEvT1_,comdat
	.protected	_ZN7rocprim17ROCPRIM_400000_NS6detail17trampoline_kernelINS0_14default_configENS1_29reduce_by_key_config_selectorIssN6thrust23THRUST_200600_302600_NS4plusIsEEEEZZNS1_33reduce_by_key_impl_wrapped_configILNS1_25lookback_scan_determinismE0ES3_S9_NS6_6detail15normal_iteratorINS6_10device_ptrIsEEEESG_SG_SG_PmS8_NS6_8equal_toIsEEEE10hipError_tPvRmT2_T3_mT4_T5_T6_T7_T8_P12ihipStream_tbENKUlT_T0_E_clISt17integral_constantIbLb1EES11_EEDaSW_SX_EUlSW_E_NS1_11comp_targetILNS1_3genE4ELNS1_11target_archE910ELNS1_3gpuE8ELNS1_3repE0EEENS1_30default_config_static_selectorELNS0_4arch9wavefront6targetE0EEEvT1_ ; -- Begin function _ZN7rocprim17ROCPRIM_400000_NS6detail17trampoline_kernelINS0_14default_configENS1_29reduce_by_key_config_selectorIssN6thrust23THRUST_200600_302600_NS4plusIsEEEEZZNS1_33reduce_by_key_impl_wrapped_configILNS1_25lookback_scan_determinismE0ES3_S9_NS6_6detail15normal_iteratorINS6_10device_ptrIsEEEESG_SG_SG_PmS8_NS6_8equal_toIsEEEE10hipError_tPvRmT2_T3_mT4_T5_T6_T7_T8_P12ihipStream_tbENKUlT_T0_E_clISt17integral_constantIbLb1EES11_EEDaSW_SX_EUlSW_E_NS1_11comp_targetILNS1_3genE4ELNS1_11target_archE910ELNS1_3gpuE8ELNS1_3repE0EEENS1_30default_config_static_selectorELNS0_4arch9wavefront6targetE0EEEvT1_
	.globl	_ZN7rocprim17ROCPRIM_400000_NS6detail17trampoline_kernelINS0_14default_configENS1_29reduce_by_key_config_selectorIssN6thrust23THRUST_200600_302600_NS4plusIsEEEEZZNS1_33reduce_by_key_impl_wrapped_configILNS1_25lookback_scan_determinismE0ES3_S9_NS6_6detail15normal_iteratorINS6_10device_ptrIsEEEESG_SG_SG_PmS8_NS6_8equal_toIsEEEE10hipError_tPvRmT2_T3_mT4_T5_T6_T7_T8_P12ihipStream_tbENKUlT_T0_E_clISt17integral_constantIbLb1EES11_EEDaSW_SX_EUlSW_E_NS1_11comp_targetILNS1_3genE4ELNS1_11target_archE910ELNS1_3gpuE8ELNS1_3repE0EEENS1_30default_config_static_selectorELNS0_4arch9wavefront6targetE0EEEvT1_
	.p2align	8
	.type	_ZN7rocprim17ROCPRIM_400000_NS6detail17trampoline_kernelINS0_14default_configENS1_29reduce_by_key_config_selectorIssN6thrust23THRUST_200600_302600_NS4plusIsEEEEZZNS1_33reduce_by_key_impl_wrapped_configILNS1_25lookback_scan_determinismE0ES3_S9_NS6_6detail15normal_iteratorINS6_10device_ptrIsEEEESG_SG_SG_PmS8_NS6_8equal_toIsEEEE10hipError_tPvRmT2_T3_mT4_T5_T6_T7_T8_P12ihipStream_tbENKUlT_T0_E_clISt17integral_constantIbLb1EES11_EEDaSW_SX_EUlSW_E_NS1_11comp_targetILNS1_3genE4ELNS1_11target_archE910ELNS1_3gpuE8ELNS1_3repE0EEENS1_30default_config_static_selectorELNS0_4arch9wavefront6targetE0EEEvT1_,@function
_ZN7rocprim17ROCPRIM_400000_NS6detail17trampoline_kernelINS0_14default_configENS1_29reduce_by_key_config_selectorIssN6thrust23THRUST_200600_302600_NS4plusIsEEEEZZNS1_33reduce_by_key_impl_wrapped_configILNS1_25lookback_scan_determinismE0ES3_S9_NS6_6detail15normal_iteratorINS6_10device_ptrIsEEEESG_SG_SG_PmS8_NS6_8equal_toIsEEEE10hipError_tPvRmT2_T3_mT4_T5_T6_T7_T8_P12ihipStream_tbENKUlT_T0_E_clISt17integral_constantIbLb1EES11_EEDaSW_SX_EUlSW_E_NS1_11comp_targetILNS1_3genE4ELNS1_11target_archE910ELNS1_3gpuE8ELNS1_3repE0EEENS1_30default_config_static_selectorELNS0_4arch9wavefront6targetE0EEEvT1_: ; @_ZN7rocprim17ROCPRIM_400000_NS6detail17trampoline_kernelINS0_14default_configENS1_29reduce_by_key_config_selectorIssN6thrust23THRUST_200600_302600_NS4plusIsEEEEZZNS1_33reduce_by_key_impl_wrapped_configILNS1_25lookback_scan_determinismE0ES3_S9_NS6_6detail15normal_iteratorINS6_10device_ptrIsEEEESG_SG_SG_PmS8_NS6_8equal_toIsEEEE10hipError_tPvRmT2_T3_mT4_T5_T6_T7_T8_P12ihipStream_tbENKUlT_T0_E_clISt17integral_constantIbLb1EES11_EEDaSW_SX_EUlSW_E_NS1_11comp_targetILNS1_3genE4ELNS1_11target_archE910ELNS1_3gpuE8ELNS1_3repE0EEENS1_30default_config_static_selectorELNS0_4arch9wavefront6targetE0EEEvT1_
; %bb.0:
	.section	.rodata,"a",@progbits
	.p2align	6, 0x0
	.amdhsa_kernel _ZN7rocprim17ROCPRIM_400000_NS6detail17trampoline_kernelINS0_14default_configENS1_29reduce_by_key_config_selectorIssN6thrust23THRUST_200600_302600_NS4plusIsEEEEZZNS1_33reduce_by_key_impl_wrapped_configILNS1_25lookback_scan_determinismE0ES3_S9_NS6_6detail15normal_iteratorINS6_10device_ptrIsEEEESG_SG_SG_PmS8_NS6_8equal_toIsEEEE10hipError_tPvRmT2_T3_mT4_T5_T6_T7_T8_P12ihipStream_tbENKUlT_T0_E_clISt17integral_constantIbLb1EES11_EEDaSW_SX_EUlSW_E_NS1_11comp_targetILNS1_3genE4ELNS1_11target_archE910ELNS1_3gpuE8ELNS1_3repE0EEENS1_30default_config_static_selectorELNS0_4arch9wavefront6targetE0EEEvT1_
		.amdhsa_group_segment_fixed_size 0
		.amdhsa_private_segment_fixed_size 0
		.amdhsa_kernarg_size 120
		.amdhsa_user_sgpr_count 15
		.amdhsa_user_sgpr_dispatch_ptr 0
		.amdhsa_user_sgpr_queue_ptr 0
		.amdhsa_user_sgpr_kernarg_segment_ptr 1
		.amdhsa_user_sgpr_dispatch_id 0
		.amdhsa_user_sgpr_private_segment_size 0
		.amdhsa_wavefront_size32 1
		.amdhsa_uses_dynamic_stack 0
		.amdhsa_enable_private_segment 0
		.amdhsa_system_sgpr_workgroup_id_x 1
		.amdhsa_system_sgpr_workgroup_id_y 0
		.amdhsa_system_sgpr_workgroup_id_z 0
		.amdhsa_system_sgpr_workgroup_info 0
		.amdhsa_system_vgpr_workitem_id 0
		.amdhsa_next_free_vgpr 1
		.amdhsa_next_free_sgpr 1
		.amdhsa_reserve_vcc 0
		.amdhsa_float_round_mode_32 0
		.amdhsa_float_round_mode_16_64 0
		.amdhsa_float_denorm_mode_32 3
		.amdhsa_float_denorm_mode_16_64 3
		.amdhsa_dx10_clamp 1
		.amdhsa_ieee_mode 1
		.amdhsa_fp16_overflow 0
		.amdhsa_workgroup_processor_mode 1
		.amdhsa_memory_ordered 1
		.amdhsa_forward_progress 0
		.amdhsa_shared_vgpr_count 0
		.amdhsa_exception_fp_ieee_invalid_op 0
		.amdhsa_exception_fp_denorm_src 0
		.amdhsa_exception_fp_ieee_div_zero 0
		.amdhsa_exception_fp_ieee_overflow 0
		.amdhsa_exception_fp_ieee_underflow 0
		.amdhsa_exception_fp_ieee_inexact 0
		.amdhsa_exception_int_div_zero 0
	.end_amdhsa_kernel
	.section	.text._ZN7rocprim17ROCPRIM_400000_NS6detail17trampoline_kernelINS0_14default_configENS1_29reduce_by_key_config_selectorIssN6thrust23THRUST_200600_302600_NS4plusIsEEEEZZNS1_33reduce_by_key_impl_wrapped_configILNS1_25lookback_scan_determinismE0ES3_S9_NS6_6detail15normal_iteratorINS6_10device_ptrIsEEEESG_SG_SG_PmS8_NS6_8equal_toIsEEEE10hipError_tPvRmT2_T3_mT4_T5_T6_T7_T8_P12ihipStream_tbENKUlT_T0_E_clISt17integral_constantIbLb1EES11_EEDaSW_SX_EUlSW_E_NS1_11comp_targetILNS1_3genE4ELNS1_11target_archE910ELNS1_3gpuE8ELNS1_3repE0EEENS1_30default_config_static_selectorELNS0_4arch9wavefront6targetE0EEEvT1_,"axG",@progbits,_ZN7rocprim17ROCPRIM_400000_NS6detail17trampoline_kernelINS0_14default_configENS1_29reduce_by_key_config_selectorIssN6thrust23THRUST_200600_302600_NS4plusIsEEEEZZNS1_33reduce_by_key_impl_wrapped_configILNS1_25lookback_scan_determinismE0ES3_S9_NS6_6detail15normal_iteratorINS6_10device_ptrIsEEEESG_SG_SG_PmS8_NS6_8equal_toIsEEEE10hipError_tPvRmT2_T3_mT4_T5_T6_T7_T8_P12ihipStream_tbENKUlT_T0_E_clISt17integral_constantIbLb1EES11_EEDaSW_SX_EUlSW_E_NS1_11comp_targetILNS1_3genE4ELNS1_11target_archE910ELNS1_3gpuE8ELNS1_3repE0EEENS1_30default_config_static_selectorELNS0_4arch9wavefront6targetE0EEEvT1_,comdat
.Lfunc_end634:
	.size	_ZN7rocprim17ROCPRIM_400000_NS6detail17trampoline_kernelINS0_14default_configENS1_29reduce_by_key_config_selectorIssN6thrust23THRUST_200600_302600_NS4plusIsEEEEZZNS1_33reduce_by_key_impl_wrapped_configILNS1_25lookback_scan_determinismE0ES3_S9_NS6_6detail15normal_iteratorINS6_10device_ptrIsEEEESG_SG_SG_PmS8_NS6_8equal_toIsEEEE10hipError_tPvRmT2_T3_mT4_T5_T6_T7_T8_P12ihipStream_tbENKUlT_T0_E_clISt17integral_constantIbLb1EES11_EEDaSW_SX_EUlSW_E_NS1_11comp_targetILNS1_3genE4ELNS1_11target_archE910ELNS1_3gpuE8ELNS1_3repE0EEENS1_30default_config_static_selectorELNS0_4arch9wavefront6targetE0EEEvT1_, .Lfunc_end634-_ZN7rocprim17ROCPRIM_400000_NS6detail17trampoline_kernelINS0_14default_configENS1_29reduce_by_key_config_selectorIssN6thrust23THRUST_200600_302600_NS4plusIsEEEEZZNS1_33reduce_by_key_impl_wrapped_configILNS1_25lookback_scan_determinismE0ES3_S9_NS6_6detail15normal_iteratorINS6_10device_ptrIsEEEESG_SG_SG_PmS8_NS6_8equal_toIsEEEE10hipError_tPvRmT2_T3_mT4_T5_T6_T7_T8_P12ihipStream_tbENKUlT_T0_E_clISt17integral_constantIbLb1EES11_EEDaSW_SX_EUlSW_E_NS1_11comp_targetILNS1_3genE4ELNS1_11target_archE910ELNS1_3gpuE8ELNS1_3repE0EEENS1_30default_config_static_selectorELNS0_4arch9wavefront6targetE0EEEvT1_
                                        ; -- End function
	.section	.AMDGPU.csdata,"",@progbits
; Kernel info:
; codeLenInByte = 0
; NumSgprs: 0
; NumVgprs: 0
; ScratchSize: 0
; MemoryBound: 0
; FloatMode: 240
; IeeeMode: 1
; LDSByteSize: 0 bytes/workgroup (compile time only)
; SGPRBlocks: 0
; VGPRBlocks: 0
; NumSGPRsForWavesPerEU: 1
; NumVGPRsForWavesPerEU: 1
; Occupancy: 16
; WaveLimiterHint : 0
; COMPUTE_PGM_RSRC2:SCRATCH_EN: 0
; COMPUTE_PGM_RSRC2:USER_SGPR: 15
; COMPUTE_PGM_RSRC2:TRAP_HANDLER: 0
; COMPUTE_PGM_RSRC2:TGID_X_EN: 1
; COMPUTE_PGM_RSRC2:TGID_Y_EN: 0
; COMPUTE_PGM_RSRC2:TGID_Z_EN: 0
; COMPUTE_PGM_RSRC2:TIDIG_COMP_CNT: 0
	.section	.text._ZN7rocprim17ROCPRIM_400000_NS6detail17trampoline_kernelINS0_14default_configENS1_29reduce_by_key_config_selectorIssN6thrust23THRUST_200600_302600_NS4plusIsEEEEZZNS1_33reduce_by_key_impl_wrapped_configILNS1_25lookback_scan_determinismE0ES3_S9_NS6_6detail15normal_iteratorINS6_10device_ptrIsEEEESG_SG_SG_PmS8_NS6_8equal_toIsEEEE10hipError_tPvRmT2_T3_mT4_T5_T6_T7_T8_P12ihipStream_tbENKUlT_T0_E_clISt17integral_constantIbLb1EES11_EEDaSW_SX_EUlSW_E_NS1_11comp_targetILNS1_3genE3ELNS1_11target_archE908ELNS1_3gpuE7ELNS1_3repE0EEENS1_30default_config_static_selectorELNS0_4arch9wavefront6targetE0EEEvT1_,"axG",@progbits,_ZN7rocprim17ROCPRIM_400000_NS6detail17trampoline_kernelINS0_14default_configENS1_29reduce_by_key_config_selectorIssN6thrust23THRUST_200600_302600_NS4plusIsEEEEZZNS1_33reduce_by_key_impl_wrapped_configILNS1_25lookback_scan_determinismE0ES3_S9_NS6_6detail15normal_iteratorINS6_10device_ptrIsEEEESG_SG_SG_PmS8_NS6_8equal_toIsEEEE10hipError_tPvRmT2_T3_mT4_T5_T6_T7_T8_P12ihipStream_tbENKUlT_T0_E_clISt17integral_constantIbLb1EES11_EEDaSW_SX_EUlSW_E_NS1_11comp_targetILNS1_3genE3ELNS1_11target_archE908ELNS1_3gpuE7ELNS1_3repE0EEENS1_30default_config_static_selectorELNS0_4arch9wavefront6targetE0EEEvT1_,comdat
	.protected	_ZN7rocprim17ROCPRIM_400000_NS6detail17trampoline_kernelINS0_14default_configENS1_29reduce_by_key_config_selectorIssN6thrust23THRUST_200600_302600_NS4plusIsEEEEZZNS1_33reduce_by_key_impl_wrapped_configILNS1_25lookback_scan_determinismE0ES3_S9_NS6_6detail15normal_iteratorINS6_10device_ptrIsEEEESG_SG_SG_PmS8_NS6_8equal_toIsEEEE10hipError_tPvRmT2_T3_mT4_T5_T6_T7_T8_P12ihipStream_tbENKUlT_T0_E_clISt17integral_constantIbLb1EES11_EEDaSW_SX_EUlSW_E_NS1_11comp_targetILNS1_3genE3ELNS1_11target_archE908ELNS1_3gpuE7ELNS1_3repE0EEENS1_30default_config_static_selectorELNS0_4arch9wavefront6targetE0EEEvT1_ ; -- Begin function _ZN7rocprim17ROCPRIM_400000_NS6detail17trampoline_kernelINS0_14default_configENS1_29reduce_by_key_config_selectorIssN6thrust23THRUST_200600_302600_NS4plusIsEEEEZZNS1_33reduce_by_key_impl_wrapped_configILNS1_25lookback_scan_determinismE0ES3_S9_NS6_6detail15normal_iteratorINS6_10device_ptrIsEEEESG_SG_SG_PmS8_NS6_8equal_toIsEEEE10hipError_tPvRmT2_T3_mT4_T5_T6_T7_T8_P12ihipStream_tbENKUlT_T0_E_clISt17integral_constantIbLb1EES11_EEDaSW_SX_EUlSW_E_NS1_11comp_targetILNS1_3genE3ELNS1_11target_archE908ELNS1_3gpuE7ELNS1_3repE0EEENS1_30default_config_static_selectorELNS0_4arch9wavefront6targetE0EEEvT1_
	.globl	_ZN7rocprim17ROCPRIM_400000_NS6detail17trampoline_kernelINS0_14default_configENS1_29reduce_by_key_config_selectorIssN6thrust23THRUST_200600_302600_NS4plusIsEEEEZZNS1_33reduce_by_key_impl_wrapped_configILNS1_25lookback_scan_determinismE0ES3_S9_NS6_6detail15normal_iteratorINS6_10device_ptrIsEEEESG_SG_SG_PmS8_NS6_8equal_toIsEEEE10hipError_tPvRmT2_T3_mT4_T5_T6_T7_T8_P12ihipStream_tbENKUlT_T0_E_clISt17integral_constantIbLb1EES11_EEDaSW_SX_EUlSW_E_NS1_11comp_targetILNS1_3genE3ELNS1_11target_archE908ELNS1_3gpuE7ELNS1_3repE0EEENS1_30default_config_static_selectorELNS0_4arch9wavefront6targetE0EEEvT1_
	.p2align	8
	.type	_ZN7rocprim17ROCPRIM_400000_NS6detail17trampoline_kernelINS0_14default_configENS1_29reduce_by_key_config_selectorIssN6thrust23THRUST_200600_302600_NS4plusIsEEEEZZNS1_33reduce_by_key_impl_wrapped_configILNS1_25lookback_scan_determinismE0ES3_S9_NS6_6detail15normal_iteratorINS6_10device_ptrIsEEEESG_SG_SG_PmS8_NS6_8equal_toIsEEEE10hipError_tPvRmT2_T3_mT4_T5_T6_T7_T8_P12ihipStream_tbENKUlT_T0_E_clISt17integral_constantIbLb1EES11_EEDaSW_SX_EUlSW_E_NS1_11comp_targetILNS1_3genE3ELNS1_11target_archE908ELNS1_3gpuE7ELNS1_3repE0EEENS1_30default_config_static_selectorELNS0_4arch9wavefront6targetE0EEEvT1_,@function
_ZN7rocprim17ROCPRIM_400000_NS6detail17trampoline_kernelINS0_14default_configENS1_29reduce_by_key_config_selectorIssN6thrust23THRUST_200600_302600_NS4plusIsEEEEZZNS1_33reduce_by_key_impl_wrapped_configILNS1_25lookback_scan_determinismE0ES3_S9_NS6_6detail15normal_iteratorINS6_10device_ptrIsEEEESG_SG_SG_PmS8_NS6_8equal_toIsEEEE10hipError_tPvRmT2_T3_mT4_T5_T6_T7_T8_P12ihipStream_tbENKUlT_T0_E_clISt17integral_constantIbLb1EES11_EEDaSW_SX_EUlSW_E_NS1_11comp_targetILNS1_3genE3ELNS1_11target_archE908ELNS1_3gpuE7ELNS1_3repE0EEENS1_30default_config_static_selectorELNS0_4arch9wavefront6targetE0EEEvT1_: ; @_ZN7rocprim17ROCPRIM_400000_NS6detail17trampoline_kernelINS0_14default_configENS1_29reduce_by_key_config_selectorIssN6thrust23THRUST_200600_302600_NS4plusIsEEEEZZNS1_33reduce_by_key_impl_wrapped_configILNS1_25lookback_scan_determinismE0ES3_S9_NS6_6detail15normal_iteratorINS6_10device_ptrIsEEEESG_SG_SG_PmS8_NS6_8equal_toIsEEEE10hipError_tPvRmT2_T3_mT4_T5_T6_T7_T8_P12ihipStream_tbENKUlT_T0_E_clISt17integral_constantIbLb1EES11_EEDaSW_SX_EUlSW_E_NS1_11comp_targetILNS1_3genE3ELNS1_11target_archE908ELNS1_3gpuE7ELNS1_3repE0EEENS1_30default_config_static_selectorELNS0_4arch9wavefront6targetE0EEEvT1_
; %bb.0:
	.section	.rodata,"a",@progbits
	.p2align	6, 0x0
	.amdhsa_kernel _ZN7rocprim17ROCPRIM_400000_NS6detail17trampoline_kernelINS0_14default_configENS1_29reduce_by_key_config_selectorIssN6thrust23THRUST_200600_302600_NS4plusIsEEEEZZNS1_33reduce_by_key_impl_wrapped_configILNS1_25lookback_scan_determinismE0ES3_S9_NS6_6detail15normal_iteratorINS6_10device_ptrIsEEEESG_SG_SG_PmS8_NS6_8equal_toIsEEEE10hipError_tPvRmT2_T3_mT4_T5_T6_T7_T8_P12ihipStream_tbENKUlT_T0_E_clISt17integral_constantIbLb1EES11_EEDaSW_SX_EUlSW_E_NS1_11comp_targetILNS1_3genE3ELNS1_11target_archE908ELNS1_3gpuE7ELNS1_3repE0EEENS1_30default_config_static_selectorELNS0_4arch9wavefront6targetE0EEEvT1_
		.amdhsa_group_segment_fixed_size 0
		.amdhsa_private_segment_fixed_size 0
		.amdhsa_kernarg_size 120
		.amdhsa_user_sgpr_count 15
		.amdhsa_user_sgpr_dispatch_ptr 0
		.amdhsa_user_sgpr_queue_ptr 0
		.amdhsa_user_sgpr_kernarg_segment_ptr 1
		.amdhsa_user_sgpr_dispatch_id 0
		.amdhsa_user_sgpr_private_segment_size 0
		.amdhsa_wavefront_size32 1
		.amdhsa_uses_dynamic_stack 0
		.amdhsa_enable_private_segment 0
		.amdhsa_system_sgpr_workgroup_id_x 1
		.amdhsa_system_sgpr_workgroup_id_y 0
		.amdhsa_system_sgpr_workgroup_id_z 0
		.amdhsa_system_sgpr_workgroup_info 0
		.amdhsa_system_vgpr_workitem_id 0
		.amdhsa_next_free_vgpr 1
		.amdhsa_next_free_sgpr 1
		.amdhsa_reserve_vcc 0
		.amdhsa_float_round_mode_32 0
		.amdhsa_float_round_mode_16_64 0
		.amdhsa_float_denorm_mode_32 3
		.amdhsa_float_denorm_mode_16_64 3
		.amdhsa_dx10_clamp 1
		.amdhsa_ieee_mode 1
		.amdhsa_fp16_overflow 0
		.amdhsa_workgroup_processor_mode 1
		.amdhsa_memory_ordered 1
		.amdhsa_forward_progress 0
		.amdhsa_shared_vgpr_count 0
		.amdhsa_exception_fp_ieee_invalid_op 0
		.amdhsa_exception_fp_denorm_src 0
		.amdhsa_exception_fp_ieee_div_zero 0
		.amdhsa_exception_fp_ieee_overflow 0
		.amdhsa_exception_fp_ieee_underflow 0
		.amdhsa_exception_fp_ieee_inexact 0
		.amdhsa_exception_int_div_zero 0
	.end_amdhsa_kernel
	.section	.text._ZN7rocprim17ROCPRIM_400000_NS6detail17trampoline_kernelINS0_14default_configENS1_29reduce_by_key_config_selectorIssN6thrust23THRUST_200600_302600_NS4plusIsEEEEZZNS1_33reduce_by_key_impl_wrapped_configILNS1_25lookback_scan_determinismE0ES3_S9_NS6_6detail15normal_iteratorINS6_10device_ptrIsEEEESG_SG_SG_PmS8_NS6_8equal_toIsEEEE10hipError_tPvRmT2_T3_mT4_T5_T6_T7_T8_P12ihipStream_tbENKUlT_T0_E_clISt17integral_constantIbLb1EES11_EEDaSW_SX_EUlSW_E_NS1_11comp_targetILNS1_3genE3ELNS1_11target_archE908ELNS1_3gpuE7ELNS1_3repE0EEENS1_30default_config_static_selectorELNS0_4arch9wavefront6targetE0EEEvT1_,"axG",@progbits,_ZN7rocprim17ROCPRIM_400000_NS6detail17trampoline_kernelINS0_14default_configENS1_29reduce_by_key_config_selectorIssN6thrust23THRUST_200600_302600_NS4plusIsEEEEZZNS1_33reduce_by_key_impl_wrapped_configILNS1_25lookback_scan_determinismE0ES3_S9_NS6_6detail15normal_iteratorINS6_10device_ptrIsEEEESG_SG_SG_PmS8_NS6_8equal_toIsEEEE10hipError_tPvRmT2_T3_mT4_T5_T6_T7_T8_P12ihipStream_tbENKUlT_T0_E_clISt17integral_constantIbLb1EES11_EEDaSW_SX_EUlSW_E_NS1_11comp_targetILNS1_3genE3ELNS1_11target_archE908ELNS1_3gpuE7ELNS1_3repE0EEENS1_30default_config_static_selectorELNS0_4arch9wavefront6targetE0EEEvT1_,comdat
.Lfunc_end635:
	.size	_ZN7rocprim17ROCPRIM_400000_NS6detail17trampoline_kernelINS0_14default_configENS1_29reduce_by_key_config_selectorIssN6thrust23THRUST_200600_302600_NS4plusIsEEEEZZNS1_33reduce_by_key_impl_wrapped_configILNS1_25lookback_scan_determinismE0ES3_S9_NS6_6detail15normal_iteratorINS6_10device_ptrIsEEEESG_SG_SG_PmS8_NS6_8equal_toIsEEEE10hipError_tPvRmT2_T3_mT4_T5_T6_T7_T8_P12ihipStream_tbENKUlT_T0_E_clISt17integral_constantIbLb1EES11_EEDaSW_SX_EUlSW_E_NS1_11comp_targetILNS1_3genE3ELNS1_11target_archE908ELNS1_3gpuE7ELNS1_3repE0EEENS1_30default_config_static_selectorELNS0_4arch9wavefront6targetE0EEEvT1_, .Lfunc_end635-_ZN7rocprim17ROCPRIM_400000_NS6detail17trampoline_kernelINS0_14default_configENS1_29reduce_by_key_config_selectorIssN6thrust23THRUST_200600_302600_NS4plusIsEEEEZZNS1_33reduce_by_key_impl_wrapped_configILNS1_25lookback_scan_determinismE0ES3_S9_NS6_6detail15normal_iteratorINS6_10device_ptrIsEEEESG_SG_SG_PmS8_NS6_8equal_toIsEEEE10hipError_tPvRmT2_T3_mT4_T5_T6_T7_T8_P12ihipStream_tbENKUlT_T0_E_clISt17integral_constantIbLb1EES11_EEDaSW_SX_EUlSW_E_NS1_11comp_targetILNS1_3genE3ELNS1_11target_archE908ELNS1_3gpuE7ELNS1_3repE0EEENS1_30default_config_static_selectorELNS0_4arch9wavefront6targetE0EEEvT1_
                                        ; -- End function
	.section	.AMDGPU.csdata,"",@progbits
; Kernel info:
; codeLenInByte = 0
; NumSgprs: 0
; NumVgprs: 0
; ScratchSize: 0
; MemoryBound: 0
; FloatMode: 240
; IeeeMode: 1
; LDSByteSize: 0 bytes/workgroup (compile time only)
; SGPRBlocks: 0
; VGPRBlocks: 0
; NumSGPRsForWavesPerEU: 1
; NumVGPRsForWavesPerEU: 1
; Occupancy: 16
; WaveLimiterHint : 0
; COMPUTE_PGM_RSRC2:SCRATCH_EN: 0
; COMPUTE_PGM_RSRC2:USER_SGPR: 15
; COMPUTE_PGM_RSRC2:TRAP_HANDLER: 0
; COMPUTE_PGM_RSRC2:TGID_X_EN: 1
; COMPUTE_PGM_RSRC2:TGID_Y_EN: 0
; COMPUTE_PGM_RSRC2:TGID_Z_EN: 0
; COMPUTE_PGM_RSRC2:TIDIG_COMP_CNT: 0
	.section	.text._ZN7rocprim17ROCPRIM_400000_NS6detail17trampoline_kernelINS0_14default_configENS1_29reduce_by_key_config_selectorIssN6thrust23THRUST_200600_302600_NS4plusIsEEEEZZNS1_33reduce_by_key_impl_wrapped_configILNS1_25lookback_scan_determinismE0ES3_S9_NS6_6detail15normal_iteratorINS6_10device_ptrIsEEEESG_SG_SG_PmS8_NS6_8equal_toIsEEEE10hipError_tPvRmT2_T3_mT4_T5_T6_T7_T8_P12ihipStream_tbENKUlT_T0_E_clISt17integral_constantIbLb1EES11_EEDaSW_SX_EUlSW_E_NS1_11comp_targetILNS1_3genE2ELNS1_11target_archE906ELNS1_3gpuE6ELNS1_3repE0EEENS1_30default_config_static_selectorELNS0_4arch9wavefront6targetE0EEEvT1_,"axG",@progbits,_ZN7rocprim17ROCPRIM_400000_NS6detail17trampoline_kernelINS0_14default_configENS1_29reduce_by_key_config_selectorIssN6thrust23THRUST_200600_302600_NS4plusIsEEEEZZNS1_33reduce_by_key_impl_wrapped_configILNS1_25lookback_scan_determinismE0ES3_S9_NS6_6detail15normal_iteratorINS6_10device_ptrIsEEEESG_SG_SG_PmS8_NS6_8equal_toIsEEEE10hipError_tPvRmT2_T3_mT4_T5_T6_T7_T8_P12ihipStream_tbENKUlT_T0_E_clISt17integral_constantIbLb1EES11_EEDaSW_SX_EUlSW_E_NS1_11comp_targetILNS1_3genE2ELNS1_11target_archE906ELNS1_3gpuE6ELNS1_3repE0EEENS1_30default_config_static_selectorELNS0_4arch9wavefront6targetE0EEEvT1_,comdat
	.protected	_ZN7rocprim17ROCPRIM_400000_NS6detail17trampoline_kernelINS0_14default_configENS1_29reduce_by_key_config_selectorIssN6thrust23THRUST_200600_302600_NS4plusIsEEEEZZNS1_33reduce_by_key_impl_wrapped_configILNS1_25lookback_scan_determinismE0ES3_S9_NS6_6detail15normal_iteratorINS6_10device_ptrIsEEEESG_SG_SG_PmS8_NS6_8equal_toIsEEEE10hipError_tPvRmT2_T3_mT4_T5_T6_T7_T8_P12ihipStream_tbENKUlT_T0_E_clISt17integral_constantIbLb1EES11_EEDaSW_SX_EUlSW_E_NS1_11comp_targetILNS1_3genE2ELNS1_11target_archE906ELNS1_3gpuE6ELNS1_3repE0EEENS1_30default_config_static_selectorELNS0_4arch9wavefront6targetE0EEEvT1_ ; -- Begin function _ZN7rocprim17ROCPRIM_400000_NS6detail17trampoline_kernelINS0_14default_configENS1_29reduce_by_key_config_selectorIssN6thrust23THRUST_200600_302600_NS4plusIsEEEEZZNS1_33reduce_by_key_impl_wrapped_configILNS1_25lookback_scan_determinismE0ES3_S9_NS6_6detail15normal_iteratorINS6_10device_ptrIsEEEESG_SG_SG_PmS8_NS6_8equal_toIsEEEE10hipError_tPvRmT2_T3_mT4_T5_T6_T7_T8_P12ihipStream_tbENKUlT_T0_E_clISt17integral_constantIbLb1EES11_EEDaSW_SX_EUlSW_E_NS1_11comp_targetILNS1_3genE2ELNS1_11target_archE906ELNS1_3gpuE6ELNS1_3repE0EEENS1_30default_config_static_selectorELNS0_4arch9wavefront6targetE0EEEvT1_
	.globl	_ZN7rocprim17ROCPRIM_400000_NS6detail17trampoline_kernelINS0_14default_configENS1_29reduce_by_key_config_selectorIssN6thrust23THRUST_200600_302600_NS4plusIsEEEEZZNS1_33reduce_by_key_impl_wrapped_configILNS1_25lookback_scan_determinismE0ES3_S9_NS6_6detail15normal_iteratorINS6_10device_ptrIsEEEESG_SG_SG_PmS8_NS6_8equal_toIsEEEE10hipError_tPvRmT2_T3_mT4_T5_T6_T7_T8_P12ihipStream_tbENKUlT_T0_E_clISt17integral_constantIbLb1EES11_EEDaSW_SX_EUlSW_E_NS1_11comp_targetILNS1_3genE2ELNS1_11target_archE906ELNS1_3gpuE6ELNS1_3repE0EEENS1_30default_config_static_selectorELNS0_4arch9wavefront6targetE0EEEvT1_
	.p2align	8
	.type	_ZN7rocprim17ROCPRIM_400000_NS6detail17trampoline_kernelINS0_14default_configENS1_29reduce_by_key_config_selectorIssN6thrust23THRUST_200600_302600_NS4plusIsEEEEZZNS1_33reduce_by_key_impl_wrapped_configILNS1_25lookback_scan_determinismE0ES3_S9_NS6_6detail15normal_iteratorINS6_10device_ptrIsEEEESG_SG_SG_PmS8_NS6_8equal_toIsEEEE10hipError_tPvRmT2_T3_mT4_T5_T6_T7_T8_P12ihipStream_tbENKUlT_T0_E_clISt17integral_constantIbLb1EES11_EEDaSW_SX_EUlSW_E_NS1_11comp_targetILNS1_3genE2ELNS1_11target_archE906ELNS1_3gpuE6ELNS1_3repE0EEENS1_30default_config_static_selectorELNS0_4arch9wavefront6targetE0EEEvT1_,@function
_ZN7rocprim17ROCPRIM_400000_NS6detail17trampoline_kernelINS0_14default_configENS1_29reduce_by_key_config_selectorIssN6thrust23THRUST_200600_302600_NS4plusIsEEEEZZNS1_33reduce_by_key_impl_wrapped_configILNS1_25lookback_scan_determinismE0ES3_S9_NS6_6detail15normal_iteratorINS6_10device_ptrIsEEEESG_SG_SG_PmS8_NS6_8equal_toIsEEEE10hipError_tPvRmT2_T3_mT4_T5_T6_T7_T8_P12ihipStream_tbENKUlT_T0_E_clISt17integral_constantIbLb1EES11_EEDaSW_SX_EUlSW_E_NS1_11comp_targetILNS1_3genE2ELNS1_11target_archE906ELNS1_3gpuE6ELNS1_3repE0EEENS1_30default_config_static_selectorELNS0_4arch9wavefront6targetE0EEEvT1_: ; @_ZN7rocprim17ROCPRIM_400000_NS6detail17trampoline_kernelINS0_14default_configENS1_29reduce_by_key_config_selectorIssN6thrust23THRUST_200600_302600_NS4plusIsEEEEZZNS1_33reduce_by_key_impl_wrapped_configILNS1_25lookback_scan_determinismE0ES3_S9_NS6_6detail15normal_iteratorINS6_10device_ptrIsEEEESG_SG_SG_PmS8_NS6_8equal_toIsEEEE10hipError_tPvRmT2_T3_mT4_T5_T6_T7_T8_P12ihipStream_tbENKUlT_T0_E_clISt17integral_constantIbLb1EES11_EEDaSW_SX_EUlSW_E_NS1_11comp_targetILNS1_3genE2ELNS1_11target_archE906ELNS1_3gpuE6ELNS1_3repE0EEENS1_30default_config_static_selectorELNS0_4arch9wavefront6targetE0EEEvT1_
; %bb.0:
	.section	.rodata,"a",@progbits
	.p2align	6, 0x0
	.amdhsa_kernel _ZN7rocprim17ROCPRIM_400000_NS6detail17trampoline_kernelINS0_14default_configENS1_29reduce_by_key_config_selectorIssN6thrust23THRUST_200600_302600_NS4plusIsEEEEZZNS1_33reduce_by_key_impl_wrapped_configILNS1_25lookback_scan_determinismE0ES3_S9_NS6_6detail15normal_iteratorINS6_10device_ptrIsEEEESG_SG_SG_PmS8_NS6_8equal_toIsEEEE10hipError_tPvRmT2_T3_mT4_T5_T6_T7_T8_P12ihipStream_tbENKUlT_T0_E_clISt17integral_constantIbLb1EES11_EEDaSW_SX_EUlSW_E_NS1_11comp_targetILNS1_3genE2ELNS1_11target_archE906ELNS1_3gpuE6ELNS1_3repE0EEENS1_30default_config_static_selectorELNS0_4arch9wavefront6targetE0EEEvT1_
		.amdhsa_group_segment_fixed_size 0
		.amdhsa_private_segment_fixed_size 0
		.amdhsa_kernarg_size 120
		.amdhsa_user_sgpr_count 15
		.amdhsa_user_sgpr_dispatch_ptr 0
		.amdhsa_user_sgpr_queue_ptr 0
		.amdhsa_user_sgpr_kernarg_segment_ptr 1
		.amdhsa_user_sgpr_dispatch_id 0
		.amdhsa_user_sgpr_private_segment_size 0
		.amdhsa_wavefront_size32 1
		.amdhsa_uses_dynamic_stack 0
		.amdhsa_enable_private_segment 0
		.amdhsa_system_sgpr_workgroup_id_x 1
		.amdhsa_system_sgpr_workgroup_id_y 0
		.amdhsa_system_sgpr_workgroup_id_z 0
		.amdhsa_system_sgpr_workgroup_info 0
		.amdhsa_system_vgpr_workitem_id 0
		.amdhsa_next_free_vgpr 1
		.amdhsa_next_free_sgpr 1
		.amdhsa_reserve_vcc 0
		.amdhsa_float_round_mode_32 0
		.amdhsa_float_round_mode_16_64 0
		.amdhsa_float_denorm_mode_32 3
		.amdhsa_float_denorm_mode_16_64 3
		.amdhsa_dx10_clamp 1
		.amdhsa_ieee_mode 1
		.amdhsa_fp16_overflow 0
		.amdhsa_workgroup_processor_mode 1
		.amdhsa_memory_ordered 1
		.amdhsa_forward_progress 0
		.amdhsa_shared_vgpr_count 0
		.amdhsa_exception_fp_ieee_invalid_op 0
		.amdhsa_exception_fp_denorm_src 0
		.amdhsa_exception_fp_ieee_div_zero 0
		.amdhsa_exception_fp_ieee_overflow 0
		.amdhsa_exception_fp_ieee_underflow 0
		.amdhsa_exception_fp_ieee_inexact 0
		.amdhsa_exception_int_div_zero 0
	.end_amdhsa_kernel
	.section	.text._ZN7rocprim17ROCPRIM_400000_NS6detail17trampoline_kernelINS0_14default_configENS1_29reduce_by_key_config_selectorIssN6thrust23THRUST_200600_302600_NS4plusIsEEEEZZNS1_33reduce_by_key_impl_wrapped_configILNS1_25lookback_scan_determinismE0ES3_S9_NS6_6detail15normal_iteratorINS6_10device_ptrIsEEEESG_SG_SG_PmS8_NS6_8equal_toIsEEEE10hipError_tPvRmT2_T3_mT4_T5_T6_T7_T8_P12ihipStream_tbENKUlT_T0_E_clISt17integral_constantIbLb1EES11_EEDaSW_SX_EUlSW_E_NS1_11comp_targetILNS1_3genE2ELNS1_11target_archE906ELNS1_3gpuE6ELNS1_3repE0EEENS1_30default_config_static_selectorELNS0_4arch9wavefront6targetE0EEEvT1_,"axG",@progbits,_ZN7rocprim17ROCPRIM_400000_NS6detail17trampoline_kernelINS0_14default_configENS1_29reduce_by_key_config_selectorIssN6thrust23THRUST_200600_302600_NS4plusIsEEEEZZNS1_33reduce_by_key_impl_wrapped_configILNS1_25lookback_scan_determinismE0ES3_S9_NS6_6detail15normal_iteratorINS6_10device_ptrIsEEEESG_SG_SG_PmS8_NS6_8equal_toIsEEEE10hipError_tPvRmT2_T3_mT4_T5_T6_T7_T8_P12ihipStream_tbENKUlT_T0_E_clISt17integral_constantIbLb1EES11_EEDaSW_SX_EUlSW_E_NS1_11comp_targetILNS1_3genE2ELNS1_11target_archE906ELNS1_3gpuE6ELNS1_3repE0EEENS1_30default_config_static_selectorELNS0_4arch9wavefront6targetE0EEEvT1_,comdat
.Lfunc_end636:
	.size	_ZN7rocprim17ROCPRIM_400000_NS6detail17trampoline_kernelINS0_14default_configENS1_29reduce_by_key_config_selectorIssN6thrust23THRUST_200600_302600_NS4plusIsEEEEZZNS1_33reduce_by_key_impl_wrapped_configILNS1_25lookback_scan_determinismE0ES3_S9_NS6_6detail15normal_iteratorINS6_10device_ptrIsEEEESG_SG_SG_PmS8_NS6_8equal_toIsEEEE10hipError_tPvRmT2_T3_mT4_T5_T6_T7_T8_P12ihipStream_tbENKUlT_T0_E_clISt17integral_constantIbLb1EES11_EEDaSW_SX_EUlSW_E_NS1_11comp_targetILNS1_3genE2ELNS1_11target_archE906ELNS1_3gpuE6ELNS1_3repE0EEENS1_30default_config_static_selectorELNS0_4arch9wavefront6targetE0EEEvT1_, .Lfunc_end636-_ZN7rocprim17ROCPRIM_400000_NS6detail17trampoline_kernelINS0_14default_configENS1_29reduce_by_key_config_selectorIssN6thrust23THRUST_200600_302600_NS4plusIsEEEEZZNS1_33reduce_by_key_impl_wrapped_configILNS1_25lookback_scan_determinismE0ES3_S9_NS6_6detail15normal_iteratorINS6_10device_ptrIsEEEESG_SG_SG_PmS8_NS6_8equal_toIsEEEE10hipError_tPvRmT2_T3_mT4_T5_T6_T7_T8_P12ihipStream_tbENKUlT_T0_E_clISt17integral_constantIbLb1EES11_EEDaSW_SX_EUlSW_E_NS1_11comp_targetILNS1_3genE2ELNS1_11target_archE906ELNS1_3gpuE6ELNS1_3repE0EEENS1_30default_config_static_selectorELNS0_4arch9wavefront6targetE0EEEvT1_
                                        ; -- End function
	.section	.AMDGPU.csdata,"",@progbits
; Kernel info:
; codeLenInByte = 0
; NumSgprs: 0
; NumVgprs: 0
; ScratchSize: 0
; MemoryBound: 0
; FloatMode: 240
; IeeeMode: 1
; LDSByteSize: 0 bytes/workgroup (compile time only)
; SGPRBlocks: 0
; VGPRBlocks: 0
; NumSGPRsForWavesPerEU: 1
; NumVGPRsForWavesPerEU: 1
; Occupancy: 16
; WaveLimiterHint : 0
; COMPUTE_PGM_RSRC2:SCRATCH_EN: 0
; COMPUTE_PGM_RSRC2:USER_SGPR: 15
; COMPUTE_PGM_RSRC2:TRAP_HANDLER: 0
; COMPUTE_PGM_RSRC2:TGID_X_EN: 1
; COMPUTE_PGM_RSRC2:TGID_Y_EN: 0
; COMPUTE_PGM_RSRC2:TGID_Z_EN: 0
; COMPUTE_PGM_RSRC2:TIDIG_COMP_CNT: 0
	.section	.text._ZN7rocprim17ROCPRIM_400000_NS6detail17trampoline_kernelINS0_14default_configENS1_29reduce_by_key_config_selectorIssN6thrust23THRUST_200600_302600_NS4plusIsEEEEZZNS1_33reduce_by_key_impl_wrapped_configILNS1_25lookback_scan_determinismE0ES3_S9_NS6_6detail15normal_iteratorINS6_10device_ptrIsEEEESG_SG_SG_PmS8_NS6_8equal_toIsEEEE10hipError_tPvRmT2_T3_mT4_T5_T6_T7_T8_P12ihipStream_tbENKUlT_T0_E_clISt17integral_constantIbLb1EES11_EEDaSW_SX_EUlSW_E_NS1_11comp_targetILNS1_3genE10ELNS1_11target_archE1201ELNS1_3gpuE5ELNS1_3repE0EEENS1_30default_config_static_selectorELNS0_4arch9wavefront6targetE0EEEvT1_,"axG",@progbits,_ZN7rocprim17ROCPRIM_400000_NS6detail17trampoline_kernelINS0_14default_configENS1_29reduce_by_key_config_selectorIssN6thrust23THRUST_200600_302600_NS4plusIsEEEEZZNS1_33reduce_by_key_impl_wrapped_configILNS1_25lookback_scan_determinismE0ES3_S9_NS6_6detail15normal_iteratorINS6_10device_ptrIsEEEESG_SG_SG_PmS8_NS6_8equal_toIsEEEE10hipError_tPvRmT2_T3_mT4_T5_T6_T7_T8_P12ihipStream_tbENKUlT_T0_E_clISt17integral_constantIbLb1EES11_EEDaSW_SX_EUlSW_E_NS1_11comp_targetILNS1_3genE10ELNS1_11target_archE1201ELNS1_3gpuE5ELNS1_3repE0EEENS1_30default_config_static_selectorELNS0_4arch9wavefront6targetE0EEEvT1_,comdat
	.protected	_ZN7rocprim17ROCPRIM_400000_NS6detail17trampoline_kernelINS0_14default_configENS1_29reduce_by_key_config_selectorIssN6thrust23THRUST_200600_302600_NS4plusIsEEEEZZNS1_33reduce_by_key_impl_wrapped_configILNS1_25lookback_scan_determinismE0ES3_S9_NS6_6detail15normal_iteratorINS6_10device_ptrIsEEEESG_SG_SG_PmS8_NS6_8equal_toIsEEEE10hipError_tPvRmT2_T3_mT4_T5_T6_T7_T8_P12ihipStream_tbENKUlT_T0_E_clISt17integral_constantIbLb1EES11_EEDaSW_SX_EUlSW_E_NS1_11comp_targetILNS1_3genE10ELNS1_11target_archE1201ELNS1_3gpuE5ELNS1_3repE0EEENS1_30default_config_static_selectorELNS0_4arch9wavefront6targetE0EEEvT1_ ; -- Begin function _ZN7rocprim17ROCPRIM_400000_NS6detail17trampoline_kernelINS0_14default_configENS1_29reduce_by_key_config_selectorIssN6thrust23THRUST_200600_302600_NS4plusIsEEEEZZNS1_33reduce_by_key_impl_wrapped_configILNS1_25lookback_scan_determinismE0ES3_S9_NS6_6detail15normal_iteratorINS6_10device_ptrIsEEEESG_SG_SG_PmS8_NS6_8equal_toIsEEEE10hipError_tPvRmT2_T3_mT4_T5_T6_T7_T8_P12ihipStream_tbENKUlT_T0_E_clISt17integral_constantIbLb1EES11_EEDaSW_SX_EUlSW_E_NS1_11comp_targetILNS1_3genE10ELNS1_11target_archE1201ELNS1_3gpuE5ELNS1_3repE0EEENS1_30default_config_static_selectorELNS0_4arch9wavefront6targetE0EEEvT1_
	.globl	_ZN7rocprim17ROCPRIM_400000_NS6detail17trampoline_kernelINS0_14default_configENS1_29reduce_by_key_config_selectorIssN6thrust23THRUST_200600_302600_NS4plusIsEEEEZZNS1_33reduce_by_key_impl_wrapped_configILNS1_25lookback_scan_determinismE0ES3_S9_NS6_6detail15normal_iteratorINS6_10device_ptrIsEEEESG_SG_SG_PmS8_NS6_8equal_toIsEEEE10hipError_tPvRmT2_T3_mT4_T5_T6_T7_T8_P12ihipStream_tbENKUlT_T0_E_clISt17integral_constantIbLb1EES11_EEDaSW_SX_EUlSW_E_NS1_11comp_targetILNS1_3genE10ELNS1_11target_archE1201ELNS1_3gpuE5ELNS1_3repE0EEENS1_30default_config_static_selectorELNS0_4arch9wavefront6targetE0EEEvT1_
	.p2align	8
	.type	_ZN7rocprim17ROCPRIM_400000_NS6detail17trampoline_kernelINS0_14default_configENS1_29reduce_by_key_config_selectorIssN6thrust23THRUST_200600_302600_NS4plusIsEEEEZZNS1_33reduce_by_key_impl_wrapped_configILNS1_25lookback_scan_determinismE0ES3_S9_NS6_6detail15normal_iteratorINS6_10device_ptrIsEEEESG_SG_SG_PmS8_NS6_8equal_toIsEEEE10hipError_tPvRmT2_T3_mT4_T5_T6_T7_T8_P12ihipStream_tbENKUlT_T0_E_clISt17integral_constantIbLb1EES11_EEDaSW_SX_EUlSW_E_NS1_11comp_targetILNS1_3genE10ELNS1_11target_archE1201ELNS1_3gpuE5ELNS1_3repE0EEENS1_30default_config_static_selectorELNS0_4arch9wavefront6targetE0EEEvT1_,@function
_ZN7rocprim17ROCPRIM_400000_NS6detail17trampoline_kernelINS0_14default_configENS1_29reduce_by_key_config_selectorIssN6thrust23THRUST_200600_302600_NS4plusIsEEEEZZNS1_33reduce_by_key_impl_wrapped_configILNS1_25lookback_scan_determinismE0ES3_S9_NS6_6detail15normal_iteratorINS6_10device_ptrIsEEEESG_SG_SG_PmS8_NS6_8equal_toIsEEEE10hipError_tPvRmT2_T3_mT4_T5_T6_T7_T8_P12ihipStream_tbENKUlT_T0_E_clISt17integral_constantIbLb1EES11_EEDaSW_SX_EUlSW_E_NS1_11comp_targetILNS1_3genE10ELNS1_11target_archE1201ELNS1_3gpuE5ELNS1_3repE0EEENS1_30default_config_static_selectorELNS0_4arch9wavefront6targetE0EEEvT1_: ; @_ZN7rocprim17ROCPRIM_400000_NS6detail17trampoline_kernelINS0_14default_configENS1_29reduce_by_key_config_selectorIssN6thrust23THRUST_200600_302600_NS4plusIsEEEEZZNS1_33reduce_by_key_impl_wrapped_configILNS1_25lookback_scan_determinismE0ES3_S9_NS6_6detail15normal_iteratorINS6_10device_ptrIsEEEESG_SG_SG_PmS8_NS6_8equal_toIsEEEE10hipError_tPvRmT2_T3_mT4_T5_T6_T7_T8_P12ihipStream_tbENKUlT_T0_E_clISt17integral_constantIbLb1EES11_EEDaSW_SX_EUlSW_E_NS1_11comp_targetILNS1_3genE10ELNS1_11target_archE1201ELNS1_3gpuE5ELNS1_3repE0EEENS1_30default_config_static_selectorELNS0_4arch9wavefront6targetE0EEEvT1_
; %bb.0:
	.section	.rodata,"a",@progbits
	.p2align	6, 0x0
	.amdhsa_kernel _ZN7rocprim17ROCPRIM_400000_NS6detail17trampoline_kernelINS0_14default_configENS1_29reduce_by_key_config_selectorIssN6thrust23THRUST_200600_302600_NS4plusIsEEEEZZNS1_33reduce_by_key_impl_wrapped_configILNS1_25lookback_scan_determinismE0ES3_S9_NS6_6detail15normal_iteratorINS6_10device_ptrIsEEEESG_SG_SG_PmS8_NS6_8equal_toIsEEEE10hipError_tPvRmT2_T3_mT4_T5_T6_T7_T8_P12ihipStream_tbENKUlT_T0_E_clISt17integral_constantIbLb1EES11_EEDaSW_SX_EUlSW_E_NS1_11comp_targetILNS1_3genE10ELNS1_11target_archE1201ELNS1_3gpuE5ELNS1_3repE0EEENS1_30default_config_static_selectorELNS0_4arch9wavefront6targetE0EEEvT1_
		.amdhsa_group_segment_fixed_size 0
		.amdhsa_private_segment_fixed_size 0
		.amdhsa_kernarg_size 120
		.amdhsa_user_sgpr_count 15
		.amdhsa_user_sgpr_dispatch_ptr 0
		.amdhsa_user_sgpr_queue_ptr 0
		.amdhsa_user_sgpr_kernarg_segment_ptr 1
		.amdhsa_user_sgpr_dispatch_id 0
		.amdhsa_user_sgpr_private_segment_size 0
		.amdhsa_wavefront_size32 1
		.amdhsa_uses_dynamic_stack 0
		.amdhsa_enable_private_segment 0
		.amdhsa_system_sgpr_workgroup_id_x 1
		.amdhsa_system_sgpr_workgroup_id_y 0
		.amdhsa_system_sgpr_workgroup_id_z 0
		.amdhsa_system_sgpr_workgroup_info 0
		.amdhsa_system_vgpr_workitem_id 0
		.amdhsa_next_free_vgpr 1
		.amdhsa_next_free_sgpr 1
		.amdhsa_reserve_vcc 0
		.amdhsa_float_round_mode_32 0
		.amdhsa_float_round_mode_16_64 0
		.amdhsa_float_denorm_mode_32 3
		.amdhsa_float_denorm_mode_16_64 3
		.amdhsa_dx10_clamp 1
		.amdhsa_ieee_mode 1
		.amdhsa_fp16_overflow 0
		.amdhsa_workgroup_processor_mode 1
		.amdhsa_memory_ordered 1
		.amdhsa_forward_progress 0
		.amdhsa_shared_vgpr_count 0
		.amdhsa_exception_fp_ieee_invalid_op 0
		.amdhsa_exception_fp_denorm_src 0
		.amdhsa_exception_fp_ieee_div_zero 0
		.amdhsa_exception_fp_ieee_overflow 0
		.amdhsa_exception_fp_ieee_underflow 0
		.amdhsa_exception_fp_ieee_inexact 0
		.amdhsa_exception_int_div_zero 0
	.end_amdhsa_kernel
	.section	.text._ZN7rocprim17ROCPRIM_400000_NS6detail17trampoline_kernelINS0_14default_configENS1_29reduce_by_key_config_selectorIssN6thrust23THRUST_200600_302600_NS4plusIsEEEEZZNS1_33reduce_by_key_impl_wrapped_configILNS1_25lookback_scan_determinismE0ES3_S9_NS6_6detail15normal_iteratorINS6_10device_ptrIsEEEESG_SG_SG_PmS8_NS6_8equal_toIsEEEE10hipError_tPvRmT2_T3_mT4_T5_T6_T7_T8_P12ihipStream_tbENKUlT_T0_E_clISt17integral_constantIbLb1EES11_EEDaSW_SX_EUlSW_E_NS1_11comp_targetILNS1_3genE10ELNS1_11target_archE1201ELNS1_3gpuE5ELNS1_3repE0EEENS1_30default_config_static_selectorELNS0_4arch9wavefront6targetE0EEEvT1_,"axG",@progbits,_ZN7rocprim17ROCPRIM_400000_NS6detail17trampoline_kernelINS0_14default_configENS1_29reduce_by_key_config_selectorIssN6thrust23THRUST_200600_302600_NS4plusIsEEEEZZNS1_33reduce_by_key_impl_wrapped_configILNS1_25lookback_scan_determinismE0ES3_S9_NS6_6detail15normal_iteratorINS6_10device_ptrIsEEEESG_SG_SG_PmS8_NS6_8equal_toIsEEEE10hipError_tPvRmT2_T3_mT4_T5_T6_T7_T8_P12ihipStream_tbENKUlT_T0_E_clISt17integral_constantIbLb1EES11_EEDaSW_SX_EUlSW_E_NS1_11comp_targetILNS1_3genE10ELNS1_11target_archE1201ELNS1_3gpuE5ELNS1_3repE0EEENS1_30default_config_static_selectorELNS0_4arch9wavefront6targetE0EEEvT1_,comdat
.Lfunc_end637:
	.size	_ZN7rocprim17ROCPRIM_400000_NS6detail17trampoline_kernelINS0_14default_configENS1_29reduce_by_key_config_selectorIssN6thrust23THRUST_200600_302600_NS4plusIsEEEEZZNS1_33reduce_by_key_impl_wrapped_configILNS1_25lookback_scan_determinismE0ES3_S9_NS6_6detail15normal_iteratorINS6_10device_ptrIsEEEESG_SG_SG_PmS8_NS6_8equal_toIsEEEE10hipError_tPvRmT2_T3_mT4_T5_T6_T7_T8_P12ihipStream_tbENKUlT_T0_E_clISt17integral_constantIbLb1EES11_EEDaSW_SX_EUlSW_E_NS1_11comp_targetILNS1_3genE10ELNS1_11target_archE1201ELNS1_3gpuE5ELNS1_3repE0EEENS1_30default_config_static_selectorELNS0_4arch9wavefront6targetE0EEEvT1_, .Lfunc_end637-_ZN7rocprim17ROCPRIM_400000_NS6detail17trampoline_kernelINS0_14default_configENS1_29reduce_by_key_config_selectorIssN6thrust23THRUST_200600_302600_NS4plusIsEEEEZZNS1_33reduce_by_key_impl_wrapped_configILNS1_25lookback_scan_determinismE0ES3_S9_NS6_6detail15normal_iteratorINS6_10device_ptrIsEEEESG_SG_SG_PmS8_NS6_8equal_toIsEEEE10hipError_tPvRmT2_T3_mT4_T5_T6_T7_T8_P12ihipStream_tbENKUlT_T0_E_clISt17integral_constantIbLb1EES11_EEDaSW_SX_EUlSW_E_NS1_11comp_targetILNS1_3genE10ELNS1_11target_archE1201ELNS1_3gpuE5ELNS1_3repE0EEENS1_30default_config_static_selectorELNS0_4arch9wavefront6targetE0EEEvT1_
                                        ; -- End function
	.section	.AMDGPU.csdata,"",@progbits
; Kernel info:
; codeLenInByte = 0
; NumSgprs: 0
; NumVgprs: 0
; ScratchSize: 0
; MemoryBound: 0
; FloatMode: 240
; IeeeMode: 1
; LDSByteSize: 0 bytes/workgroup (compile time only)
; SGPRBlocks: 0
; VGPRBlocks: 0
; NumSGPRsForWavesPerEU: 1
; NumVGPRsForWavesPerEU: 1
; Occupancy: 16
; WaveLimiterHint : 0
; COMPUTE_PGM_RSRC2:SCRATCH_EN: 0
; COMPUTE_PGM_RSRC2:USER_SGPR: 15
; COMPUTE_PGM_RSRC2:TRAP_HANDLER: 0
; COMPUTE_PGM_RSRC2:TGID_X_EN: 1
; COMPUTE_PGM_RSRC2:TGID_Y_EN: 0
; COMPUTE_PGM_RSRC2:TGID_Z_EN: 0
; COMPUTE_PGM_RSRC2:TIDIG_COMP_CNT: 0
	.section	.text._ZN7rocprim17ROCPRIM_400000_NS6detail17trampoline_kernelINS0_14default_configENS1_29reduce_by_key_config_selectorIssN6thrust23THRUST_200600_302600_NS4plusIsEEEEZZNS1_33reduce_by_key_impl_wrapped_configILNS1_25lookback_scan_determinismE0ES3_S9_NS6_6detail15normal_iteratorINS6_10device_ptrIsEEEESG_SG_SG_PmS8_NS6_8equal_toIsEEEE10hipError_tPvRmT2_T3_mT4_T5_T6_T7_T8_P12ihipStream_tbENKUlT_T0_E_clISt17integral_constantIbLb1EES11_EEDaSW_SX_EUlSW_E_NS1_11comp_targetILNS1_3genE10ELNS1_11target_archE1200ELNS1_3gpuE4ELNS1_3repE0EEENS1_30default_config_static_selectorELNS0_4arch9wavefront6targetE0EEEvT1_,"axG",@progbits,_ZN7rocprim17ROCPRIM_400000_NS6detail17trampoline_kernelINS0_14default_configENS1_29reduce_by_key_config_selectorIssN6thrust23THRUST_200600_302600_NS4plusIsEEEEZZNS1_33reduce_by_key_impl_wrapped_configILNS1_25lookback_scan_determinismE0ES3_S9_NS6_6detail15normal_iteratorINS6_10device_ptrIsEEEESG_SG_SG_PmS8_NS6_8equal_toIsEEEE10hipError_tPvRmT2_T3_mT4_T5_T6_T7_T8_P12ihipStream_tbENKUlT_T0_E_clISt17integral_constantIbLb1EES11_EEDaSW_SX_EUlSW_E_NS1_11comp_targetILNS1_3genE10ELNS1_11target_archE1200ELNS1_3gpuE4ELNS1_3repE0EEENS1_30default_config_static_selectorELNS0_4arch9wavefront6targetE0EEEvT1_,comdat
	.protected	_ZN7rocprim17ROCPRIM_400000_NS6detail17trampoline_kernelINS0_14default_configENS1_29reduce_by_key_config_selectorIssN6thrust23THRUST_200600_302600_NS4plusIsEEEEZZNS1_33reduce_by_key_impl_wrapped_configILNS1_25lookback_scan_determinismE0ES3_S9_NS6_6detail15normal_iteratorINS6_10device_ptrIsEEEESG_SG_SG_PmS8_NS6_8equal_toIsEEEE10hipError_tPvRmT2_T3_mT4_T5_T6_T7_T8_P12ihipStream_tbENKUlT_T0_E_clISt17integral_constantIbLb1EES11_EEDaSW_SX_EUlSW_E_NS1_11comp_targetILNS1_3genE10ELNS1_11target_archE1200ELNS1_3gpuE4ELNS1_3repE0EEENS1_30default_config_static_selectorELNS0_4arch9wavefront6targetE0EEEvT1_ ; -- Begin function _ZN7rocprim17ROCPRIM_400000_NS6detail17trampoline_kernelINS0_14default_configENS1_29reduce_by_key_config_selectorIssN6thrust23THRUST_200600_302600_NS4plusIsEEEEZZNS1_33reduce_by_key_impl_wrapped_configILNS1_25lookback_scan_determinismE0ES3_S9_NS6_6detail15normal_iteratorINS6_10device_ptrIsEEEESG_SG_SG_PmS8_NS6_8equal_toIsEEEE10hipError_tPvRmT2_T3_mT4_T5_T6_T7_T8_P12ihipStream_tbENKUlT_T0_E_clISt17integral_constantIbLb1EES11_EEDaSW_SX_EUlSW_E_NS1_11comp_targetILNS1_3genE10ELNS1_11target_archE1200ELNS1_3gpuE4ELNS1_3repE0EEENS1_30default_config_static_selectorELNS0_4arch9wavefront6targetE0EEEvT1_
	.globl	_ZN7rocprim17ROCPRIM_400000_NS6detail17trampoline_kernelINS0_14default_configENS1_29reduce_by_key_config_selectorIssN6thrust23THRUST_200600_302600_NS4plusIsEEEEZZNS1_33reduce_by_key_impl_wrapped_configILNS1_25lookback_scan_determinismE0ES3_S9_NS6_6detail15normal_iteratorINS6_10device_ptrIsEEEESG_SG_SG_PmS8_NS6_8equal_toIsEEEE10hipError_tPvRmT2_T3_mT4_T5_T6_T7_T8_P12ihipStream_tbENKUlT_T0_E_clISt17integral_constantIbLb1EES11_EEDaSW_SX_EUlSW_E_NS1_11comp_targetILNS1_3genE10ELNS1_11target_archE1200ELNS1_3gpuE4ELNS1_3repE0EEENS1_30default_config_static_selectorELNS0_4arch9wavefront6targetE0EEEvT1_
	.p2align	8
	.type	_ZN7rocprim17ROCPRIM_400000_NS6detail17trampoline_kernelINS0_14default_configENS1_29reduce_by_key_config_selectorIssN6thrust23THRUST_200600_302600_NS4plusIsEEEEZZNS1_33reduce_by_key_impl_wrapped_configILNS1_25lookback_scan_determinismE0ES3_S9_NS6_6detail15normal_iteratorINS6_10device_ptrIsEEEESG_SG_SG_PmS8_NS6_8equal_toIsEEEE10hipError_tPvRmT2_T3_mT4_T5_T6_T7_T8_P12ihipStream_tbENKUlT_T0_E_clISt17integral_constantIbLb1EES11_EEDaSW_SX_EUlSW_E_NS1_11comp_targetILNS1_3genE10ELNS1_11target_archE1200ELNS1_3gpuE4ELNS1_3repE0EEENS1_30default_config_static_selectorELNS0_4arch9wavefront6targetE0EEEvT1_,@function
_ZN7rocprim17ROCPRIM_400000_NS6detail17trampoline_kernelINS0_14default_configENS1_29reduce_by_key_config_selectorIssN6thrust23THRUST_200600_302600_NS4plusIsEEEEZZNS1_33reduce_by_key_impl_wrapped_configILNS1_25lookback_scan_determinismE0ES3_S9_NS6_6detail15normal_iteratorINS6_10device_ptrIsEEEESG_SG_SG_PmS8_NS6_8equal_toIsEEEE10hipError_tPvRmT2_T3_mT4_T5_T6_T7_T8_P12ihipStream_tbENKUlT_T0_E_clISt17integral_constantIbLb1EES11_EEDaSW_SX_EUlSW_E_NS1_11comp_targetILNS1_3genE10ELNS1_11target_archE1200ELNS1_3gpuE4ELNS1_3repE0EEENS1_30default_config_static_selectorELNS0_4arch9wavefront6targetE0EEEvT1_: ; @_ZN7rocprim17ROCPRIM_400000_NS6detail17trampoline_kernelINS0_14default_configENS1_29reduce_by_key_config_selectorIssN6thrust23THRUST_200600_302600_NS4plusIsEEEEZZNS1_33reduce_by_key_impl_wrapped_configILNS1_25lookback_scan_determinismE0ES3_S9_NS6_6detail15normal_iteratorINS6_10device_ptrIsEEEESG_SG_SG_PmS8_NS6_8equal_toIsEEEE10hipError_tPvRmT2_T3_mT4_T5_T6_T7_T8_P12ihipStream_tbENKUlT_T0_E_clISt17integral_constantIbLb1EES11_EEDaSW_SX_EUlSW_E_NS1_11comp_targetILNS1_3genE10ELNS1_11target_archE1200ELNS1_3gpuE4ELNS1_3repE0EEENS1_30default_config_static_selectorELNS0_4arch9wavefront6targetE0EEEvT1_
; %bb.0:
	.section	.rodata,"a",@progbits
	.p2align	6, 0x0
	.amdhsa_kernel _ZN7rocprim17ROCPRIM_400000_NS6detail17trampoline_kernelINS0_14default_configENS1_29reduce_by_key_config_selectorIssN6thrust23THRUST_200600_302600_NS4plusIsEEEEZZNS1_33reduce_by_key_impl_wrapped_configILNS1_25lookback_scan_determinismE0ES3_S9_NS6_6detail15normal_iteratorINS6_10device_ptrIsEEEESG_SG_SG_PmS8_NS6_8equal_toIsEEEE10hipError_tPvRmT2_T3_mT4_T5_T6_T7_T8_P12ihipStream_tbENKUlT_T0_E_clISt17integral_constantIbLb1EES11_EEDaSW_SX_EUlSW_E_NS1_11comp_targetILNS1_3genE10ELNS1_11target_archE1200ELNS1_3gpuE4ELNS1_3repE0EEENS1_30default_config_static_selectorELNS0_4arch9wavefront6targetE0EEEvT1_
		.amdhsa_group_segment_fixed_size 0
		.amdhsa_private_segment_fixed_size 0
		.amdhsa_kernarg_size 120
		.amdhsa_user_sgpr_count 15
		.amdhsa_user_sgpr_dispatch_ptr 0
		.amdhsa_user_sgpr_queue_ptr 0
		.amdhsa_user_sgpr_kernarg_segment_ptr 1
		.amdhsa_user_sgpr_dispatch_id 0
		.amdhsa_user_sgpr_private_segment_size 0
		.amdhsa_wavefront_size32 1
		.amdhsa_uses_dynamic_stack 0
		.amdhsa_enable_private_segment 0
		.amdhsa_system_sgpr_workgroup_id_x 1
		.amdhsa_system_sgpr_workgroup_id_y 0
		.amdhsa_system_sgpr_workgroup_id_z 0
		.amdhsa_system_sgpr_workgroup_info 0
		.amdhsa_system_vgpr_workitem_id 0
		.amdhsa_next_free_vgpr 1
		.amdhsa_next_free_sgpr 1
		.amdhsa_reserve_vcc 0
		.amdhsa_float_round_mode_32 0
		.amdhsa_float_round_mode_16_64 0
		.amdhsa_float_denorm_mode_32 3
		.amdhsa_float_denorm_mode_16_64 3
		.amdhsa_dx10_clamp 1
		.amdhsa_ieee_mode 1
		.amdhsa_fp16_overflow 0
		.amdhsa_workgroup_processor_mode 1
		.amdhsa_memory_ordered 1
		.amdhsa_forward_progress 0
		.amdhsa_shared_vgpr_count 0
		.amdhsa_exception_fp_ieee_invalid_op 0
		.amdhsa_exception_fp_denorm_src 0
		.amdhsa_exception_fp_ieee_div_zero 0
		.amdhsa_exception_fp_ieee_overflow 0
		.amdhsa_exception_fp_ieee_underflow 0
		.amdhsa_exception_fp_ieee_inexact 0
		.amdhsa_exception_int_div_zero 0
	.end_amdhsa_kernel
	.section	.text._ZN7rocprim17ROCPRIM_400000_NS6detail17trampoline_kernelINS0_14default_configENS1_29reduce_by_key_config_selectorIssN6thrust23THRUST_200600_302600_NS4plusIsEEEEZZNS1_33reduce_by_key_impl_wrapped_configILNS1_25lookback_scan_determinismE0ES3_S9_NS6_6detail15normal_iteratorINS6_10device_ptrIsEEEESG_SG_SG_PmS8_NS6_8equal_toIsEEEE10hipError_tPvRmT2_T3_mT4_T5_T6_T7_T8_P12ihipStream_tbENKUlT_T0_E_clISt17integral_constantIbLb1EES11_EEDaSW_SX_EUlSW_E_NS1_11comp_targetILNS1_3genE10ELNS1_11target_archE1200ELNS1_3gpuE4ELNS1_3repE0EEENS1_30default_config_static_selectorELNS0_4arch9wavefront6targetE0EEEvT1_,"axG",@progbits,_ZN7rocprim17ROCPRIM_400000_NS6detail17trampoline_kernelINS0_14default_configENS1_29reduce_by_key_config_selectorIssN6thrust23THRUST_200600_302600_NS4plusIsEEEEZZNS1_33reduce_by_key_impl_wrapped_configILNS1_25lookback_scan_determinismE0ES3_S9_NS6_6detail15normal_iteratorINS6_10device_ptrIsEEEESG_SG_SG_PmS8_NS6_8equal_toIsEEEE10hipError_tPvRmT2_T3_mT4_T5_T6_T7_T8_P12ihipStream_tbENKUlT_T0_E_clISt17integral_constantIbLb1EES11_EEDaSW_SX_EUlSW_E_NS1_11comp_targetILNS1_3genE10ELNS1_11target_archE1200ELNS1_3gpuE4ELNS1_3repE0EEENS1_30default_config_static_selectorELNS0_4arch9wavefront6targetE0EEEvT1_,comdat
.Lfunc_end638:
	.size	_ZN7rocprim17ROCPRIM_400000_NS6detail17trampoline_kernelINS0_14default_configENS1_29reduce_by_key_config_selectorIssN6thrust23THRUST_200600_302600_NS4plusIsEEEEZZNS1_33reduce_by_key_impl_wrapped_configILNS1_25lookback_scan_determinismE0ES3_S9_NS6_6detail15normal_iteratorINS6_10device_ptrIsEEEESG_SG_SG_PmS8_NS6_8equal_toIsEEEE10hipError_tPvRmT2_T3_mT4_T5_T6_T7_T8_P12ihipStream_tbENKUlT_T0_E_clISt17integral_constantIbLb1EES11_EEDaSW_SX_EUlSW_E_NS1_11comp_targetILNS1_3genE10ELNS1_11target_archE1200ELNS1_3gpuE4ELNS1_3repE0EEENS1_30default_config_static_selectorELNS0_4arch9wavefront6targetE0EEEvT1_, .Lfunc_end638-_ZN7rocprim17ROCPRIM_400000_NS6detail17trampoline_kernelINS0_14default_configENS1_29reduce_by_key_config_selectorIssN6thrust23THRUST_200600_302600_NS4plusIsEEEEZZNS1_33reduce_by_key_impl_wrapped_configILNS1_25lookback_scan_determinismE0ES3_S9_NS6_6detail15normal_iteratorINS6_10device_ptrIsEEEESG_SG_SG_PmS8_NS6_8equal_toIsEEEE10hipError_tPvRmT2_T3_mT4_T5_T6_T7_T8_P12ihipStream_tbENKUlT_T0_E_clISt17integral_constantIbLb1EES11_EEDaSW_SX_EUlSW_E_NS1_11comp_targetILNS1_3genE10ELNS1_11target_archE1200ELNS1_3gpuE4ELNS1_3repE0EEENS1_30default_config_static_selectorELNS0_4arch9wavefront6targetE0EEEvT1_
                                        ; -- End function
	.section	.AMDGPU.csdata,"",@progbits
; Kernel info:
; codeLenInByte = 0
; NumSgprs: 0
; NumVgprs: 0
; ScratchSize: 0
; MemoryBound: 0
; FloatMode: 240
; IeeeMode: 1
; LDSByteSize: 0 bytes/workgroup (compile time only)
; SGPRBlocks: 0
; VGPRBlocks: 0
; NumSGPRsForWavesPerEU: 1
; NumVGPRsForWavesPerEU: 1
; Occupancy: 16
; WaveLimiterHint : 0
; COMPUTE_PGM_RSRC2:SCRATCH_EN: 0
; COMPUTE_PGM_RSRC2:USER_SGPR: 15
; COMPUTE_PGM_RSRC2:TRAP_HANDLER: 0
; COMPUTE_PGM_RSRC2:TGID_X_EN: 1
; COMPUTE_PGM_RSRC2:TGID_Y_EN: 0
; COMPUTE_PGM_RSRC2:TGID_Z_EN: 0
; COMPUTE_PGM_RSRC2:TIDIG_COMP_CNT: 0
	.section	.text._ZN7rocprim17ROCPRIM_400000_NS6detail17trampoline_kernelINS0_14default_configENS1_29reduce_by_key_config_selectorIssN6thrust23THRUST_200600_302600_NS4plusIsEEEEZZNS1_33reduce_by_key_impl_wrapped_configILNS1_25lookback_scan_determinismE0ES3_S9_NS6_6detail15normal_iteratorINS6_10device_ptrIsEEEESG_SG_SG_PmS8_NS6_8equal_toIsEEEE10hipError_tPvRmT2_T3_mT4_T5_T6_T7_T8_P12ihipStream_tbENKUlT_T0_E_clISt17integral_constantIbLb1EES11_EEDaSW_SX_EUlSW_E_NS1_11comp_targetILNS1_3genE9ELNS1_11target_archE1100ELNS1_3gpuE3ELNS1_3repE0EEENS1_30default_config_static_selectorELNS0_4arch9wavefront6targetE0EEEvT1_,"axG",@progbits,_ZN7rocprim17ROCPRIM_400000_NS6detail17trampoline_kernelINS0_14default_configENS1_29reduce_by_key_config_selectorIssN6thrust23THRUST_200600_302600_NS4plusIsEEEEZZNS1_33reduce_by_key_impl_wrapped_configILNS1_25lookback_scan_determinismE0ES3_S9_NS6_6detail15normal_iteratorINS6_10device_ptrIsEEEESG_SG_SG_PmS8_NS6_8equal_toIsEEEE10hipError_tPvRmT2_T3_mT4_T5_T6_T7_T8_P12ihipStream_tbENKUlT_T0_E_clISt17integral_constantIbLb1EES11_EEDaSW_SX_EUlSW_E_NS1_11comp_targetILNS1_3genE9ELNS1_11target_archE1100ELNS1_3gpuE3ELNS1_3repE0EEENS1_30default_config_static_selectorELNS0_4arch9wavefront6targetE0EEEvT1_,comdat
	.protected	_ZN7rocprim17ROCPRIM_400000_NS6detail17trampoline_kernelINS0_14default_configENS1_29reduce_by_key_config_selectorIssN6thrust23THRUST_200600_302600_NS4plusIsEEEEZZNS1_33reduce_by_key_impl_wrapped_configILNS1_25lookback_scan_determinismE0ES3_S9_NS6_6detail15normal_iteratorINS6_10device_ptrIsEEEESG_SG_SG_PmS8_NS6_8equal_toIsEEEE10hipError_tPvRmT2_T3_mT4_T5_T6_T7_T8_P12ihipStream_tbENKUlT_T0_E_clISt17integral_constantIbLb1EES11_EEDaSW_SX_EUlSW_E_NS1_11comp_targetILNS1_3genE9ELNS1_11target_archE1100ELNS1_3gpuE3ELNS1_3repE0EEENS1_30default_config_static_selectorELNS0_4arch9wavefront6targetE0EEEvT1_ ; -- Begin function _ZN7rocprim17ROCPRIM_400000_NS6detail17trampoline_kernelINS0_14default_configENS1_29reduce_by_key_config_selectorIssN6thrust23THRUST_200600_302600_NS4plusIsEEEEZZNS1_33reduce_by_key_impl_wrapped_configILNS1_25lookback_scan_determinismE0ES3_S9_NS6_6detail15normal_iteratorINS6_10device_ptrIsEEEESG_SG_SG_PmS8_NS6_8equal_toIsEEEE10hipError_tPvRmT2_T3_mT4_T5_T6_T7_T8_P12ihipStream_tbENKUlT_T0_E_clISt17integral_constantIbLb1EES11_EEDaSW_SX_EUlSW_E_NS1_11comp_targetILNS1_3genE9ELNS1_11target_archE1100ELNS1_3gpuE3ELNS1_3repE0EEENS1_30default_config_static_selectorELNS0_4arch9wavefront6targetE0EEEvT1_
	.globl	_ZN7rocprim17ROCPRIM_400000_NS6detail17trampoline_kernelINS0_14default_configENS1_29reduce_by_key_config_selectorIssN6thrust23THRUST_200600_302600_NS4plusIsEEEEZZNS1_33reduce_by_key_impl_wrapped_configILNS1_25lookback_scan_determinismE0ES3_S9_NS6_6detail15normal_iteratorINS6_10device_ptrIsEEEESG_SG_SG_PmS8_NS6_8equal_toIsEEEE10hipError_tPvRmT2_T3_mT4_T5_T6_T7_T8_P12ihipStream_tbENKUlT_T0_E_clISt17integral_constantIbLb1EES11_EEDaSW_SX_EUlSW_E_NS1_11comp_targetILNS1_3genE9ELNS1_11target_archE1100ELNS1_3gpuE3ELNS1_3repE0EEENS1_30default_config_static_selectorELNS0_4arch9wavefront6targetE0EEEvT1_
	.p2align	8
	.type	_ZN7rocprim17ROCPRIM_400000_NS6detail17trampoline_kernelINS0_14default_configENS1_29reduce_by_key_config_selectorIssN6thrust23THRUST_200600_302600_NS4plusIsEEEEZZNS1_33reduce_by_key_impl_wrapped_configILNS1_25lookback_scan_determinismE0ES3_S9_NS6_6detail15normal_iteratorINS6_10device_ptrIsEEEESG_SG_SG_PmS8_NS6_8equal_toIsEEEE10hipError_tPvRmT2_T3_mT4_T5_T6_T7_T8_P12ihipStream_tbENKUlT_T0_E_clISt17integral_constantIbLb1EES11_EEDaSW_SX_EUlSW_E_NS1_11comp_targetILNS1_3genE9ELNS1_11target_archE1100ELNS1_3gpuE3ELNS1_3repE0EEENS1_30default_config_static_selectorELNS0_4arch9wavefront6targetE0EEEvT1_,@function
_ZN7rocprim17ROCPRIM_400000_NS6detail17trampoline_kernelINS0_14default_configENS1_29reduce_by_key_config_selectorIssN6thrust23THRUST_200600_302600_NS4plusIsEEEEZZNS1_33reduce_by_key_impl_wrapped_configILNS1_25lookback_scan_determinismE0ES3_S9_NS6_6detail15normal_iteratorINS6_10device_ptrIsEEEESG_SG_SG_PmS8_NS6_8equal_toIsEEEE10hipError_tPvRmT2_T3_mT4_T5_T6_T7_T8_P12ihipStream_tbENKUlT_T0_E_clISt17integral_constantIbLb1EES11_EEDaSW_SX_EUlSW_E_NS1_11comp_targetILNS1_3genE9ELNS1_11target_archE1100ELNS1_3gpuE3ELNS1_3repE0EEENS1_30default_config_static_selectorELNS0_4arch9wavefront6targetE0EEEvT1_: ; @_ZN7rocprim17ROCPRIM_400000_NS6detail17trampoline_kernelINS0_14default_configENS1_29reduce_by_key_config_selectorIssN6thrust23THRUST_200600_302600_NS4plusIsEEEEZZNS1_33reduce_by_key_impl_wrapped_configILNS1_25lookback_scan_determinismE0ES3_S9_NS6_6detail15normal_iteratorINS6_10device_ptrIsEEEESG_SG_SG_PmS8_NS6_8equal_toIsEEEE10hipError_tPvRmT2_T3_mT4_T5_T6_T7_T8_P12ihipStream_tbENKUlT_T0_E_clISt17integral_constantIbLb1EES11_EEDaSW_SX_EUlSW_E_NS1_11comp_targetILNS1_3genE9ELNS1_11target_archE1100ELNS1_3gpuE3ELNS1_3repE0EEENS1_30default_config_static_selectorELNS0_4arch9wavefront6targetE0EEEvT1_
; %bb.0:
	s_clause 0x4
	s_load_b256 s[12:19], s[0:1], 0x0
	s_load_b128 s[28:31], s[0:1], 0x20
	s_load_b256 s[20:27], s[0:1], 0x38
	s_load_b64 s[34:35], s[0:1], 0x68
	s_load_b128 s[36:39], s[0:1], 0x58
	v_cmp_ne_u32_e64 s3, 0, v0
	v_cmp_eq_u32_e64 s2, 0, v0
	s_delay_alu instid0(VALU_DEP_1)
	s_and_saveexec_b32 s4, s2
	s_cbranch_execz .LBB639_4
; %bb.1:
	s_mov_b32 s6, exec_lo
	s_mov_b32 s5, exec_lo
	v_mbcnt_lo_u32_b32 v1, s6, 0
                                        ; implicit-def: $vgpr2
	s_delay_alu instid0(VALU_DEP_1)
	v_cmpx_eq_u32_e32 0, v1
	s_cbranch_execz .LBB639_3
; %bb.2:
	s_load_b64 s[0:1], s[0:1], 0x70
	s_bcnt1_i32_b32 s6, s6
	s_delay_alu instid0(SALU_CYCLE_1)
	v_dual_mov_b32 v2, 0 :: v_dual_mov_b32 v3, s6
	s_waitcnt lgkmcnt(0)
	global_atomic_add_u32 v2, v2, v3, s[0:1] glc
.LBB639_3:
	s_or_b32 exec_lo, exec_lo, s5
	s_waitcnt vmcnt(0)
	v_readfirstlane_b32 s0, v2
	s_delay_alu instid0(VALU_DEP_1)
	v_dual_mov_b32 v2, 0 :: v_dual_add_nc_u32 v1, s0, v1
	ds_store_b32 v2, v1
.LBB639_4:
	s_or_b32 exec_lo, exec_lo, s4
	v_mov_b32_e32 v2, 0
	s_waitcnt lgkmcnt(0)
	s_barrier
	buffer_gl0_inv
	s_lshl_b64 s[4:5], s[14:15], 1
	ds_load_b32 v1, v2
	s_add_u32 s9, s12, s4
	s_mul_i32 s1, s24, s23
	s_mul_hi_u32 s6, s24, s22
	s_addc_u32 s10, s13, s5
	s_add_u32 s11, s16, s4
	s_mul_i32 s7, s25, s22
	s_addc_u32 s12, s17, s5
	s_add_i32 s1, s6, s1
	s_mul_i32 s8, s24, s22
	s_add_i32 s1, s1, s7
	s_mov_b32 s0, 0
	s_waitcnt lgkmcnt(0)
	s_barrier
	buffer_gl0_inv
	v_readfirstlane_b32 s40, v1
	v_mul_lo_u32 v1, 0xf00, v1
	s_delay_alu instid0(VALU_DEP_2) | instskip(SKIP_3) | instid1(VALU_DEP_1)
	s_add_u32 s24, s8, s40
	s_addc_u32 s25, s1, 0
	s_add_u32 s4, s26, -1
	s_addc_u32 s5, s27, -1
	v_lshlrev_b64 v[1:2], 1, v[1:2]
	s_cmp_eq_u64 s[24:25], s[4:5]
	s_mul_i32 s27, s4, 0xfffff100
	s_cselect_b32 s26, -1, 0
	s_cmp_lg_u64 s[24:25], s[4:5]
	s_delay_alu instid0(VALU_DEP_1)
	v_add_co_u32 v6, vcc_lo, s9, v1
	v_add_co_ci_u32_e32 v5, vcc_lo, s10, v2, vcc_lo
	v_add_co_u32 v7, vcc_lo, s11, v1
	v_add_co_ci_u32_e32 v8, vcc_lo, s12, v2, vcc_lo
	s_cselect_b32 s17, -1, 0
	s_and_b32 vcc_lo, exec_lo, s26
	s_cbranch_vccnz .LBB639_6
; %bb.5:
	v_lshlrev_b32_e32 v17, 1, v0
	s_delay_alu instid0(VALU_DEP_1) | instskip(SKIP_2) | instid1(VALU_DEP_3)
	v_add_co_u32 v1, vcc_lo, v6, v17
	v_add_co_ci_u32_e32 v2, vcc_lo, 0, v5, vcc_lo
	v_mad_u32_u24 v9, v0, 28, v17
	v_add_co_u32 v3, vcc_lo, 0x1000, v1
	s_delay_alu instid0(VALU_DEP_3)
	v_add_co_ci_u32_e32 v4, vcc_lo, 0, v2, vcc_lo
	s_clause 0xe
	flat_load_u16 v10, v[1:2]
	flat_load_u16 v11, v[1:2] offset:512
	flat_load_u16 v12, v[1:2] offset:1024
	;; [unrolled: 1-line block ×7, first 2 shown]
	flat_load_u16 v2, v[3:4]
	flat_load_u16 v22, v[3:4] offset:512
	flat_load_u16 v23, v[3:4] offset:1024
	;; [unrolled: 1-line block ×6, first 2 shown]
	v_add_co_u32 v13, vcc_lo, v7, v17
	v_add_co_ci_u32_e32 v14, vcc_lo, 0, v8, vcc_lo
	s_waitcnt vmcnt(14) lgkmcnt(14)
	ds_store_b16 v17, v10
	s_waitcnt vmcnt(13) lgkmcnt(14)
	ds_store_b16 v17, v11 offset:512
	s_waitcnt vmcnt(12) lgkmcnt(14)
	ds_store_b16 v17, v12 offset:1024
	s_waitcnt vmcnt(11) lgkmcnt(14)
	ds_store_b16 v17, v18 offset:1536
	s_waitcnt vmcnt(10) lgkmcnt(14)
	ds_store_b16 v17, v19 offset:2048
	s_waitcnt vmcnt(9) lgkmcnt(14)
	ds_store_b16 v17, v20 offset:2560
	s_waitcnt vmcnt(8) lgkmcnt(14)
	ds_store_b16 v17, v21 offset:3072
	s_waitcnt vmcnt(7) lgkmcnt(14)
	ds_store_b16 v17, v1 offset:3584
	s_waitcnt vmcnt(6) lgkmcnt(14)
	ds_store_b16 v17, v2 offset:4096
	s_waitcnt vmcnt(5) lgkmcnt(14)
	ds_store_b16 v17, v22 offset:4608
	s_waitcnt vmcnt(4) lgkmcnt(14)
	ds_store_b16 v17, v23 offset:5120
	s_waitcnt vmcnt(3) lgkmcnt(14)
	ds_store_b16 v17, v24 offset:5632
	s_waitcnt vmcnt(2) lgkmcnt(14)
	ds_store_b16 v17, v25 offset:6144
	s_waitcnt vmcnt(1) lgkmcnt(14)
	ds_store_b16 v17, v26 offset:6656
	s_waitcnt vmcnt(0) lgkmcnt(14)
	ds_store_b16 v17, v3 offset:7168
	v_add_co_u32 v15, vcc_lo, 0x1000, v13
	v_add_co_ci_u32_e32 v16, vcc_lo, 0, v14, vcc_lo
	s_waitcnt lgkmcnt(0)
	s_barrier
	buffer_gl0_inv
	ds_load_u16 v52, v9
	ds_load_b128 v[1:4], v9 offset:2
	ds_load_b96 v[10:12], v9 offset:18
	s_waitcnt lgkmcnt(0)
	s_barrier
	buffer_gl0_inv
	s_clause 0xe
	flat_load_u16 v18, v[13:14]
	flat_load_u16 v19, v[13:14] offset:512
	flat_load_u16 v20, v[13:14] offset:1024
	;; [unrolled: 1-line block ×7, first 2 shown]
	flat_load_u16 v25, v[15:16]
	flat_load_u16 v26, v[15:16] offset:512
	flat_load_u16 v27, v[15:16] offset:1024
	;; [unrolled: 1-line block ×6, first 2 shown]
	v_mul_u32_u24_e32 v14, 15, v0
	s_waitcnt vmcnt(14) lgkmcnt(14)
	ds_store_b16 v17, v18
	s_waitcnt vmcnt(13) lgkmcnt(14)
	ds_store_b16 v17, v19 offset:512
	s_waitcnt vmcnt(12) lgkmcnt(14)
	ds_store_b16 v17, v20 offset:1024
	;; [unrolled: 2-line block ×14, first 2 shown]
	s_waitcnt lgkmcnt(0)
	s_barrier
	s_and_not1_b32 vcc_lo, exec_lo, s0
	s_add_i32 s27, s27, s36
	s_cbranch_vccz .LBB639_7
	s_branch .LBB639_54
.LBB639_6:
                                        ; implicit-def: $vgpr1
                                        ; implicit-def: $vgpr10
                                        ; implicit-def: $vgpr14
                                        ; implicit-def: $vgpr9
                                        ; implicit-def: $vgpr52
	s_add_i32 s27, s27, s36
.LBB639_7:
	s_delay_alu instid0(SALU_CYCLE_1)
	v_cmp_gt_u32_e32 vcc_lo, s27, v0
                                        ; implicit-def: $vgpr1
	s_and_saveexec_b32 s1, vcc_lo
	s_cbranch_execz .LBB639_9
; %bb.8:
	v_lshlrev_b32_e32 v1, 1, v0
	s_delay_alu instid0(VALU_DEP_1) | instskip(NEXT) | instid1(VALU_DEP_1)
	v_add_co_u32 v1, s0, v6, v1
	v_add_co_ci_u32_e64 v2, s0, 0, v5, s0
	flat_load_u16 v1, v[1:2]
.LBB639_9:
	s_or_b32 exec_lo, exec_lo, s1
	v_or_b32_e32 v2, 0x100, v0
	s_delay_alu instid0(VALU_DEP_1) | instskip(NEXT) | instid1(VALU_DEP_1)
	v_cmp_gt_u32_e64 s0, s27, v2
                                        ; implicit-def: $vgpr2
	s_and_saveexec_b32 s4, s0
	s_cbranch_execz .LBB639_11
; %bb.10:
	v_lshlrev_b32_e32 v2, 1, v0
	s_delay_alu instid0(VALU_DEP_1) | instskip(NEXT) | instid1(VALU_DEP_1)
	v_add_co_u32 v2, s1, v6, v2
	v_add_co_ci_u32_e64 v3, s1, 0, v5, s1
	flat_load_u16 v2, v[2:3] offset:512
.LBB639_11:
	s_or_b32 exec_lo, exec_lo, s4
	v_or_b32_e32 v3, 0x200, v0
	s_delay_alu instid0(VALU_DEP_1) | instskip(NEXT) | instid1(VALU_DEP_1)
	v_cmp_gt_u32_e64 s1, s27, v3
                                        ; implicit-def: $vgpr3
	s_and_saveexec_b32 s5, s1
	s_cbranch_execz .LBB639_13
; %bb.12:
	v_lshlrev_b32_e32 v3, 1, v0
	s_delay_alu instid0(VALU_DEP_1) | instskip(NEXT) | instid1(VALU_DEP_1)
	v_add_co_u32 v3, s4, v6, v3
	v_add_co_ci_u32_e64 v4, s4, 0, v5, s4
	flat_load_u16 v3, v[3:4] offset:1024
.LBB639_13:
	s_or_b32 exec_lo, exec_lo, s5
	v_or_b32_e32 v4, 0x300, v0
	s_delay_alu instid0(VALU_DEP_1) | instskip(NEXT) | instid1(VALU_DEP_1)
	v_cmp_gt_u32_e64 s4, s27, v4
                                        ; implicit-def: $vgpr4
	s_and_saveexec_b32 s6, s4
	s_cbranch_execz .LBB639_15
; %bb.14:
	v_lshlrev_b32_e32 v4, 1, v0
	s_delay_alu instid0(VALU_DEP_1) | instskip(NEXT) | instid1(VALU_DEP_1)
	v_add_co_u32 v9, s5, v6, v4
	v_add_co_ci_u32_e64 v10, s5, 0, v5, s5
	flat_load_u16 v4, v[9:10] offset:1536
.LBB639_15:
	s_or_b32 exec_lo, exec_lo, s6
	v_or_b32_e32 v9, 0x400, v0
	s_delay_alu instid0(VALU_DEP_1) | instskip(NEXT) | instid1(VALU_DEP_1)
	v_cmp_gt_u32_e64 s5, s27, v9
                                        ; implicit-def: $vgpr9
	s_and_saveexec_b32 s7, s5
	s_cbranch_execz .LBB639_17
; %bb.16:
	v_lshlrev_b32_e32 v9, 1, v0
	s_delay_alu instid0(VALU_DEP_1) | instskip(NEXT) | instid1(VALU_DEP_1)
	v_add_co_u32 v9, s6, v6, v9
	v_add_co_ci_u32_e64 v10, s6, 0, v5, s6
	flat_load_u16 v9, v[9:10] offset:2048
.LBB639_17:
	s_or_b32 exec_lo, exec_lo, s7
	v_or_b32_e32 v10, 0x500, v0
	s_delay_alu instid0(VALU_DEP_1) | instskip(NEXT) | instid1(VALU_DEP_1)
	v_cmp_gt_u32_e64 s6, s27, v10
                                        ; implicit-def: $vgpr10
	s_and_saveexec_b32 s8, s6
	s_cbranch_execz .LBB639_19
; %bb.18:
	v_lshlrev_b32_e32 v10, 1, v0
	s_delay_alu instid0(VALU_DEP_1) | instskip(NEXT) | instid1(VALU_DEP_1)
	v_add_co_u32 v10, s7, v6, v10
	v_add_co_ci_u32_e64 v11, s7, 0, v5, s7
	flat_load_u16 v10, v[10:11] offset:2560
.LBB639_19:
	s_or_b32 exec_lo, exec_lo, s8
	v_or_b32_e32 v11, 0x600, v0
	s_delay_alu instid0(VALU_DEP_1) | instskip(NEXT) | instid1(VALU_DEP_1)
	v_cmp_gt_u32_e64 s7, s27, v11
                                        ; implicit-def: $vgpr11
	s_and_saveexec_b32 s9, s7
	s_cbranch_execz .LBB639_21
; %bb.20:
	v_lshlrev_b32_e32 v11, 1, v0
	s_delay_alu instid0(VALU_DEP_1) | instskip(NEXT) | instid1(VALU_DEP_1)
	v_add_co_u32 v11, s8, v6, v11
	v_add_co_ci_u32_e64 v12, s8, 0, v5, s8
	flat_load_u16 v11, v[11:12] offset:3072
.LBB639_21:
	s_or_b32 exec_lo, exec_lo, s9
	v_or_b32_e32 v12, 0x700, v0
	s_delay_alu instid0(VALU_DEP_1) | instskip(NEXT) | instid1(VALU_DEP_1)
	v_cmp_gt_u32_e64 s8, s27, v12
                                        ; implicit-def: $vgpr12
	s_and_saveexec_b32 s10, s8
	s_cbranch_execz .LBB639_23
; %bb.22:
	v_lshlrev_b32_e32 v12, 1, v0
	s_delay_alu instid0(VALU_DEP_1) | instskip(NEXT) | instid1(VALU_DEP_1)
	v_add_co_u32 v12, s9, v6, v12
	v_add_co_ci_u32_e64 v13, s9, 0, v5, s9
	flat_load_u16 v12, v[12:13] offset:3584
.LBB639_23:
	s_or_b32 exec_lo, exec_lo, s10
	v_or_b32_e32 v14, 0x800, v0
                                        ; implicit-def: $vgpr21
	s_delay_alu instid0(VALU_DEP_1) | instskip(NEXT) | instid1(VALU_DEP_1)
	v_cmp_gt_u32_e64 s9, s27, v14
	s_and_saveexec_b32 s11, s9
	s_cbranch_execz .LBB639_25
; %bb.24:
	v_lshlrev_b32_e32 v13, 1, v14
	s_delay_alu instid0(VALU_DEP_1) | instskip(NEXT) | instid1(VALU_DEP_1)
	v_add_co_u32 v15, s10, v6, v13
	v_add_co_ci_u32_e64 v16, s10, 0, v5, s10
	flat_load_u16 v21, v[15:16]
.LBB639_25:
	s_or_b32 exec_lo, exec_lo, s11
	v_or_b32_e32 v15, 0x900, v0
                                        ; implicit-def: $vgpr22
	s_delay_alu instid0(VALU_DEP_1) | instskip(NEXT) | instid1(VALU_DEP_1)
	v_cmp_gt_u32_e64 s10, s27, v15
	s_and_saveexec_b32 s12, s10
	s_cbranch_execz .LBB639_27
; %bb.26:
	v_lshlrev_b32_e32 v13, 1, v15
	s_delay_alu instid0(VALU_DEP_1) | instskip(NEXT) | instid1(VALU_DEP_1)
	v_add_co_u32 v16, s11, v6, v13
	v_add_co_ci_u32_e64 v17, s11, 0, v5, s11
	flat_load_u16 v22, v[16:17]
.LBB639_27:
	s_or_b32 exec_lo, exec_lo, s12
	v_or_b32_e32 v16, 0xa00, v0
                                        ; implicit-def: $vgpr23
	s_delay_alu instid0(VALU_DEP_1) | instskip(NEXT) | instid1(VALU_DEP_1)
	v_cmp_gt_u32_e64 s11, s27, v16
	s_and_saveexec_b32 s13, s11
	s_cbranch_execz .LBB639_29
; %bb.28:
	v_lshlrev_b32_e32 v13, 1, v16
	s_delay_alu instid0(VALU_DEP_1) | instskip(NEXT) | instid1(VALU_DEP_1)
	v_add_co_u32 v17, s12, v6, v13
	v_add_co_ci_u32_e64 v18, s12, 0, v5, s12
	flat_load_u16 v23, v[17:18]
.LBB639_29:
	s_or_b32 exec_lo, exec_lo, s13
	v_or_b32_e32 v17, 0xb00, v0
                                        ; implicit-def: $vgpr24
	s_delay_alu instid0(VALU_DEP_1) | instskip(NEXT) | instid1(VALU_DEP_1)
	v_cmp_gt_u32_e64 s12, s27, v17
	s_and_saveexec_b32 s14, s12
	s_cbranch_execz .LBB639_31
; %bb.30:
	v_lshlrev_b32_e32 v13, 1, v17
	s_delay_alu instid0(VALU_DEP_1) | instskip(NEXT) | instid1(VALU_DEP_1)
	v_add_co_u32 v18, s13, v6, v13
	v_add_co_ci_u32_e64 v19, s13, 0, v5, s13
	flat_load_u16 v24, v[18:19]
.LBB639_31:
	s_or_b32 exec_lo, exec_lo, s14
	v_or_b32_e32 v18, 0xc00, v0
                                        ; implicit-def: $vgpr25
	s_delay_alu instid0(VALU_DEP_1) | instskip(NEXT) | instid1(VALU_DEP_1)
	v_cmp_gt_u32_e64 s13, s27, v18
	s_and_saveexec_b32 s15, s13
	s_cbranch_execz .LBB639_33
; %bb.32:
	v_lshlrev_b32_e32 v13, 1, v18
	s_delay_alu instid0(VALU_DEP_1) | instskip(NEXT) | instid1(VALU_DEP_1)
	v_add_co_u32 v19, s14, v6, v13
	v_add_co_ci_u32_e64 v20, s14, 0, v5, s14
	flat_load_u16 v25, v[19:20]
.LBB639_33:
	s_or_b32 exec_lo, exec_lo, s15
	v_or_b32_e32 v19, 0xd00, v0
                                        ; implicit-def: $vgpr26
	s_delay_alu instid0(VALU_DEP_1) | instskip(NEXT) | instid1(VALU_DEP_1)
	v_cmp_gt_u32_e64 s14, s27, v19
	s_and_saveexec_b32 s16, s14
	s_cbranch_execz .LBB639_35
; %bb.34:
	v_lshlrev_b32_e32 v13, 1, v19
	s_delay_alu instid0(VALU_DEP_1) | instskip(NEXT) | instid1(VALU_DEP_1)
	v_add_co_u32 v26, s15, v6, v13
	v_add_co_ci_u32_e64 v27, s15, 0, v5, s15
	flat_load_u16 v26, v[26:27]
.LBB639_35:
	s_or_b32 exec_lo, exec_lo, s16
	v_or_b32_e32 v20, 0xe00, v0
                                        ; implicit-def: $vgpr27
	s_delay_alu instid0(VALU_DEP_1) | instskip(NEXT) | instid1(VALU_DEP_1)
	v_cmp_gt_u32_e64 s15, s27, v20
	s_and_saveexec_b32 s33, s15
	s_cbranch_execz .LBB639_37
; %bb.36:
	v_lshlrev_b32_e32 v13, 1, v20
	s_delay_alu instid0(VALU_DEP_1) | instskip(NEXT) | instid1(VALU_DEP_1)
	v_add_co_u32 v27, s16, v6, v13
	v_add_co_ci_u32_e64 v28, s16, 0, v5, s16
	flat_load_u16 v27, v[27:28]
.LBB639_37:
	s_or_b32 exec_lo, exec_lo, s33
	v_lshlrev_b32_e32 v13, 1, v0
	s_waitcnt vmcnt(0) lgkmcnt(0)
	ds_store_b16 v13, v1
	ds_store_b16 v13, v2 offset:512
	ds_store_b16 v13, v3 offset:1024
	;; [unrolled: 1-line block ×7, first 2 shown]
	v_mad_u32_u24 v9, v0, 28, v13
	ds_store_b16 v13, v21 offset:4096
	ds_store_b16 v13, v22 offset:4608
	;; [unrolled: 1-line block ×7, first 2 shown]
	s_waitcnt lgkmcnt(0)
	s_barrier
	buffer_gl0_inv
	ds_load_u16 v52, v9
	ds_load_b128 v[1:4], v9 offset:2
	ds_load_b96 v[10:12], v9 offset:18
	s_waitcnt lgkmcnt(0)
	s_barrier
	buffer_gl0_inv
                                        ; implicit-def: $vgpr21
	s_and_saveexec_b32 s16, vcc_lo
	s_cbranch_execnz .LBB639_61
; %bb.38:
	s_or_b32 exec_lo, exec_lo, s16
                                        ; implicit-def: $vgpr22
	s_and_saveexec_b32 s16, s0
	s_cbranch_execnz .LBB639_62
.LBB639_39:
	s_or_b32 exec_lo, exec_lo, s16
                                        ; implicit-def: $vgpr23
	s_and_saveexec_b32 s0, s1
	s_cbranch_execnz .LBB639_63
.LBB639_40:
	s_or_b32 exec_lo, exec_lo, s0
                                        ; implicit-def: $vgpr24
	s_and_saveexec_b32 s0, s4
	s_cbranch_execnz .LBB639_64
.LBB639_41:
	s_or_b32 exec_lo, exec_lo, s0
                                        ; implicit-def: $vgpr25
	s_and_saveexec_b32 s0, s5
	s_cbranch_execnz .LBB639_65
.LBB639_42:
	s_or_b32 exec_lo, exec_lo, s0
                                        ; implicit-def: $vgpr26
	s_and_saveexec_b32 s0, s6
	s_cbranch_execnz .LBB639_66
.LBB639_43:
	s_or_b32 exec_lo, exec_lo, s0
                                        ; implicit-def: $vgpr27
	s_and_saveexec_b32 s0, s7
	s_cbranch_execnz .LBB639_67
.LBB639_44:
	s_or_b32 exec_lo, exec_lo, s0
                                        ; implicit-def: $vgpr28
	s_and_saveexec_b32 s0, s8
	s_cbranch_execnz .LBB639_68
.LBB639_45:
	s_or_b32 exec_lo, exec_lo, s0
                                        ; implicit-def: $vgpr29
	s_and_saveexec_b32 s0, s9
	s_cbranch_execnz .LBB639_69
.LBB639_46:
	s_or_b32 exec_lo, exec_lo, s0
                                        ; implicit-def: $vgpr30
	s_and_saveexec_b32 s0, s10
	s_cbranch_execnz .LBB639_70
.LBB639_47:
	s_or_b32 exec_lo, exec_lo, s0
                                        ; implicit-def: $vgpr15
	s_and_saveexec_b32 s0, s11
	s_cbranch_execnz .LBB639_71
.LBB639_48:
	s_or_b32 exec_lo, exec_lo, s0
                                        ; implicit-def: $vgpr16
	s_and_saveexec_b32 s0, s12
	s_cbranch_execnz .LBB639_72
.LBB639_49:
	s_or_b32 exec_lo, exec_lo, s0
                                        ; implicit-def: $vgpr17
	s_and_saveexec_b32 s0, s13
	s_cbranch_execnz .LBB639_73
.LBB639_50:
	s_or_b32 exec_lo, exec_lo, s0
                                        ; implicit-def: $vgpr18
	s_and_saveexec_b32 s0, s14
	s_cbranch_execnz .LBB639_74
.LBB639_51:
	s_or_b32 exec_lo, exec_lo, s0
                                        ; implicit-def: $vgpr19
	s_and_saveexec_b32 s0, s15
	s_cbranch_execz .LBB639_53
.LBB639_52:
	v_lshlrev_b32_e32 v14, 1, v20
	s_delay_alu instid0(VALU_DEP_1)
	v_add_co_u32 v7, vcc_lo, v7, v14
	v_add_co_ci_u32_e32 v8, vcc_lo, 0, v8, vcc_lo
	flat_load_u16 v19, v[7:8]
.LBB639_53:
	s_or_b32 exec_lo, exec_lo, s0
	v_mul_u32_u24_e32 v14, 15, v0
	s_waitcnt vmcnt(0) lgkmcnt(0)
	ds_store_b16 v13, v21
	ds_store_b16 v13, v22 offset:512
	ds_store_b16 v13, v23 offset:1024
	;; [unrolled: 1-line block ×14, first 2 shown]
	s_waitcnt lgkmcnt(0)
	s_barrier
.LBB639_54:
	v_lshlrev_b32_e32 v7, 1, v14
	buffer_gl0_inv
	ds_load_u16 v74, v9
	ds_load_u16 v73, v9 offset:2
	ds_load_u16 v71, v9 offset:6
	;; [unrolled: 1-line block ×14, first 2 shown]
	s_cmp_eq_u64 s[24:25], 0
	s_waitcnt lgkmcnt(0)
	s_cselect_b32 s33, -1, 0
	s_cmp_lg_u64 s[24:25], 0
	s_barrier
	s_cselect_b32 s15, -1, 0
	s_and_b32 vcc_lo, exec_lo, s17
	buffer_gl0_inv
	s_cbranch_vccz .LBB639_60
; %bb.55:
	s_and_b32 vcc_lo, exec_lo, s15
	s_cbranch_vccz .LBB639_75
; %bb.56:
	v_add_co_u32 v7, vcc_lo, -2, v6
	v_add_co_ci_u32_e32 v8, vcc_lo, -1, v5, vcc_lo
	v_lshrrev_b32_e32 v13, 16, v11
	v_lshrrev_b32_e32 v14, 16, v10
	;; [unrolled: 1-line block ×3, first 2 shown]
	flat_load_u16 v7, v[7:8]
	v_lshrrev_b32_e32 v9, 16, v12
	v_cmp_ne_u16_e64 s0, v13, v12
	v_cmp_ne_u16_e64 s1, v11, v13
	;; [unrolled: 1-line block ×4, first 2 shown]
	v_lshrrev_b32_e32 v13, 16, v3
	v_cmp_ne_u16_e64 s6, v15, v10
	v_lshrrev_b32_e32 v14, 16, v2
	v_cmp_ne_u16_e64 s7, v4, v15
	v_lshrrev_b32_e32 v15, 16, v1
	v_lshlrev_b32_e32 v8, 1, v0
	v_cmp_ne_u16_e32 vcc_lo, v12, v9
	v_cmp_ne_u16_e64 s8, v13, v4
	v_cmp_ne_u16_e64 s9, v3, v13
	v_cmp_ne_u16_e64 s10, v14, v3
	v_cmp_ne_u16_e64 s11, v2, v14
	v_cmp_ne_u16_e64 s12, v15, v2
	v_cmp_ne_u16_e64 s13, v1, v15
	v_cmp_ne_u16_e64 s14, v52, v1
	s_mov_b32 s41, -1
	ds_store_b16 v8, v9
	s_waitcnt vmcnt(0) lgkmcnt(0)
	s_barrier
	buffer_gl0_inv
	s_and_saveexec_b32 s16, s3
	s_cbranch_execz .LBB639_58
; %bb.57:
	v_add_nc_u32_e32 v7, -2, v8
	ds_load_u16 v7, v7
.LBB639_58:
	s_or_b32 exec_lo, exec_lo, s16
	v_cndmask_b32_e64 v54, 0, 1, vcc_lo
	v_cndmask_b32_e64 v47, 0, 1, s0
	v_cndmask_b32_e64 v48, 0, 1, s1
	;; [unrolled: 1-line block ×13, first 2 shown]
	s_waitcnt lgkmcnt(0)
	v_cmp_ne_u16_e64 s0, v7, v52
.LBB639_59:
                                        ; implicit-def: $sgpr42
	s_branch .LBB639_87
.LBB639_60:
	s_mov_b32 s41, 0
                                        ; implicit-def: $sgpr0
                                        ; implicit-def: $vgpr54
                                        ; implicit-def: $vgpr47
                                        ; implicit-def: $vgpr48
                                        ; implicit-def: $vgpr49
                                        ; implicit-def: $vgpr50
                                        ; implicit-def: $vgpr51
                                        ; implicit-def: $vgpr53
                                        ; implicit-def: $vgpr55
                                        ; implicit-def: $vgpr56
                                        ; implicit-def: $vgpr57
                                        ; implicit-def: $vgpr58
                                        ; implicit-def: $vgpr59
                                        ; implicit-def: $vgpr60
                                        ; implicit-def: $vgpr61
                                        ; implicit-def: $sgpr42
	s_cbranch_execnz .LBB639_79
	s_branch .LBB639_87
.LBB639_61:
	v_add_co_u32 v21, vcc_lo, v7, v13
	v_add_co_ci_u32_e32 v22, vcc_lo, 0, v8, vcc_lo
	flat_load_u16 v21, v[21:22]
	s_or_b32 exec_lo, exec_lo, s16
                                        ; implicit-def: $vgpr22
	s_and_saveexec_b32 s16, s0
	s_cbranch_execz .LBB639_39
.LBB639_62:
	v_add_co_u32 v22, vcc_lo, v7, v13
	v_add_co_ci_u32_e32 v23, vcc_lo, 0, v8, vcc_lo
	flat_load_u16 v22, v[22:23] offset:512
	s_or_b32 exec_lo, exec_lo, s16
                                        ; implicit-def: $vgpr23
	s_and_saveexec_b32 s0, s1
	s_cbranch_execz .LBB639_40
.LBB639_63:
	v_add_co_u32 v23, vcc_lo, v7, v13
	v_add_co_ci_u32_e32 v24, vcc_lo, 0, v8, vcc_lo
	flat_load_u16 v23, v[23:24] offset:1024
	s_or_b32 exec_lo, exec_lo, s0
                                        ; implicit-def: $vgpr24
	s_and_saveexec_b32 s0, s4
	s_cbranch_execz .LBB639_41
.LBB639_64:
	v_add_co_u32 v24, vcc_lo, v7, v13
	v_add_co_ci_u32_e32 v25, vcc_lo, 0, v8, vcc_lo
	flat_load_u16 v24, v[24:25] offset:1536
	s_or_b32 exec_lo, exec_lo, s0
                                        ; implicit-def: $vgpr25
	s_and_saveexec_b32 s0, s5
	s_cbranch_execz .LBB639_42
.LBB639_65:
	v_add_co_u32 v25, vcc_lo, v7, v13
	v_add_co_ci_u32_e32 v26, vcc_lo, 0, v8, vcc_lo
	flat_load_u16 v25, v[25:26] offset:2048
	s_or_b32 exec_lo, exec_lo, s0
                                        ; implicit-def: $vgpr26
	s_and_saveexec_b32 s0, s6
	s_cbranch_execz .LBB639_43
.LBB639_66:
	v_add_co_u32 v26, vcc_lo, v7, v13
	v_add_co_ci_u32_e32 v27, vcc_lo, 0, v8, vcc_lo
	flat_load_u16 v26, v[26:27] offset:2560
	s_or_b32 exec_lo, exec_lo, s0
                                        ; implicit-def: $vgpr27
	s_and_saveexec_b32 s0, s7
	s_cbranch_execz .LBB639_44
.LBB639_67:
	v_add_co_u32 v27, vcc_lo, v7, v13
	v_add_co_ci_u32_e32 v28, vcc_lo, 0, v8, vcc_lo
	flat_load_u16 v27, v[27:28] offset:3072
	s_or_b32 exec_lo, exec_lo, s0
                                        ; implicit-def: $vgpr28
	s_and_saveexec_b32 s0, s8
	s_cbranch_execz .LBB639_45
.LBB639_68:
	v_add_co_u32 v28, vcc_lo, v7, v13
	v_add_co_ci_u32_e32 v29, vcc_lo, 0, v8, vcc_lo
	flat_load_u16 v28, v[28:29] offset:3584
	s_or_b32 exec_lo, exec_lo, s0
                                        ; implicit-def: $vgpr29
	s_and_saveexec_b32 s0, s9
	s_cbranch_execz .LBB639_46
.LBB639_69:
	v_lshlrev_b32_e32 v14, 1, v14
	s_delay_alu instid0(VALU_DEP_1)
	v_add_co_u32 v29, vcc_lo, v7, v14
	v_add_co_ci_u32_e32 v30, vcc_lo, 0, v8, vcc_lo
	flat_load_u16 v29, v[29:30]
	s_or_b32 exec_lo, exec_lo, s0
                                        ; implicit-def: $vgpr30
	s_and_saveexec_b32 s0, s10
	s_cbranch_execz .LBB639_47
.LBB639_70:
	v_lshlrev_b32_e32 v14, 1, v15
	s_delay_alu instid0(VALU_DEP_1)
	v_add_co_u32 v14, vcc_lo, v7, v14
	v_add_co_ci_u32_e32 v15, vcc_lo, 0, v8, vcc_lo
	flat_load_u16 v30, v[14:15]
	s_or_b32 exec_lo, exec_lo, s0
                                        ; implicit-def: $vgpr15
	s_and_saveexec_b32 s0, s11
	s_cbranch_execz .LBB639_48
.LBB639_71:
	v_lshlrev_b32_e32 v14, 1, v16
	s_delay_alu instid0(VALU_DEP_1)
	v_add_co_u32 v14, vcc_lo, v7, v14
	v_add_co_ci_u32_e32 v15, vcc_lo, 0, v8, vcc_lo
	flat_load_u16 v15, v[14:15]
	s_or_b32 exec_lo, exec_lo, s0
                                        ; implicit-def: $vgpr16
	s_and_saveexec_b32 s0, s12
	s_cbranch_execz .LBB639_49
.LBB639_72:
	v_lshlrev_b32_e32 v14, 1, v17
	s_delay_alu instid0(VALU_DEP_1)
	v_add_co_u32 v16, vcc_lo, v7, v14
	v_add_co_ci_u32_e32 v17, vcc_lo, 0, v8, vcc_lo
	flat_load_u16 v16, v[16:17]
	s_or_b32 exec_lo, exec_lo, s0
                                        ; implicit-def: $vgpr17
	s_and_saveexec_b32 s0, s13
	s_cbranch_execz .LBB639_50
.LBB639_73:
	v_lshlrev_b32_e32 v14, 1, v18
	s_delay_alu instid0(VALU_DEP_1)
	v_add_co_u32 v17, vcc_lo, v7, v14
	v_add_co_ci_u32_e32 v18, vcc_lo, 0, v8, vcc_lo
	flat_load_u16 v17, v[17:18]
	s_or_b32 exec_lo, exec_lo, s0
                                        ; implicit-def: $vgpr18
	s_and_saveexec_b32 s0, s14
	s_cbranch_execz .LBB639_51
.LBB639_74:
	v_lshlrev_b32_e32 v14, 1, v19
	s_delay_alu instid0(VALU_DEP_1)
	v_add_co_u32 v18, vcc_lo, v7, v14
	v_add_co_ci_u32_e32 v19, vcc_lo, 0, v8, vcc_lo
	flat_load_u16 v18, v[18:19]
	s_or_b32 exec_lo, exec_lo, s0
                                        ; implicit-def: $vgpr19
	s_and_saveexec_b32 s0, s15
	s_cbranch_execnz .LBB639_52
	s_branch .LBB639_53
.LBB639_75:
	s_mov_b32 s41, 0
                                        ; implicit-def: $sgpr0
                                        ; implicit-def: $vgpr54
                                        ; implicit-def: $vgpr47
                                        ; implicit-def: $vgpr48
                                        ; implicit-def: $vgpr49
                                        ; implicit-def: $vgpr50
                                        ; implicit-def: $vgpr51
                                        ; implicit-def: $vgpr53
                                        ; implicit-def: $vgpr55
                                        ; implicit-def: $vgpr56
                                        ; implicit-def: $vgpr57
                                        ; implicit-def: $vgpr58
                                        ; implicit-def: $vgpr59
                                        ; implicit-def: $vgpr60
                                        ; implicit-def: $vgpr61
	s_cbranch_execz .LBB639_59
; %bb.76:
	v_lshrrev_b32_e32 v8, 16, v12
	v_lshrrev_b32_e32 v9, 16, v11
	v_lshrrev_b32_e32 v13, 16, v10
	v_lshlrev_b32_e32 v7, 1, v0
	s_mov_b32 s42, 1
	v_cmp_ne_u16_e32 vcc_lo, v12, v8
                                        ; implicit-def: $sgpr0
	ds_store_b16 v7, v8
	s_waitcnt lgkmcnt(0)
	v_cndmask_b32_e64 v54, 0, 1, vcc_lo
	v_cmp_ne_u16_e32 vcc_lo, v9, v12
	s_barrier
	buffer_gl0_inv
	v_cndmask_b32_e64 v47, 0, 1, vcc_lo
	v_cmp_ne_u16_e32 vcc_lo, v11, v9
	v_lshrrev_b32_e32 v9, 16, v4
	v_cndmask_b32_e64 v48, 0, 1, vcc_lo
	v_cmp_ne_u16_e32 vcc_lo, v13, v11
	v_cndmask_b32_e64 v49, 0, 1, vcc_lo
	v_cmp_ne_u16_e32 vcc_lo, v10, v13
	v_lshrrev_b32_e32 v13, 16, v3
	v_cndmask_b32_e64 v50, 0, 1, vcc_lo
	v_cmp_ne_u16_e32 vcc_lo, v9, v10
	;; [unrolled: 5-line block ×4, first 2 shown]
	v_cndmask_b32_e64 v57, 0, 1, vcc_lo
	v_cmp_ne_u16_e32 vcc_lo, v2, v9
	v_cndmask_b32_e64 v58, 0, 1, vcc_lo
	v_cmp_ne_u16_e32 vcc_lo, v13, v2
	v_cndmask_b32_e64 v59, 0, 1, vcc_lo
	v_cmp_ne_u16_e32 vcc_lo, v1, v13
	v_cndmask_b32_e64 v60, 0, 1, vcc_lo
	v_cmp_ne_u16_e32 vcc_lo, v52, v1
	v_cndmask_b32_e64 v61, 0, 1, vcc_lo
	s_and_saveexec_b32 s1, s3
	s_delay_alu instid0(SALU_CYCLE_1)
	s_xor_b32 s1, exec_lo, s1
	s_cbranch_execz .LBB639_78
; %bb.77:
	v_add_nc_u32_e32 v7, -2, v7
	s_or_b32 s41, s41, exec_lo
	ds_load_u16 v7, v7
	s_waitcnt lgkmcnt(0)
	v_cmp_ne_u16_e32 vcc_lo, v7, v52
	s_and_b32 s0, vcc_lo, exec_lo
.LBB639_78:
	s_or_b32 exec_lo, exec_lo, s1
	s_branch .LBB639_87
.LBB639_79:
	s_mul_hi_u32 s0, s24, 0xfffff100
	s_mul_i32 s1, s25, 0xfffff100
	s_sub_i32 s0, s0, s24
	s_mul_i32 s4, s24, 0xfffff100
	s_add_i32 s0, s0, s1
	s_add_u32 s24, s4, s36
	s_addc_u32 s25, s0, s37
	s_and_b32 vcc_lo, exec_lo, s15
	s_cbranch_vccz .LBB639_84
; %bb.80:
	v_add_co_u32 v6, vcc_lo, -2, v6
	v_add_co_ci_u32_e32 v7, vcc_lo, -1, v5, vcc_lo
	v_mad_u32_u24 v5, v0, 15, 14
	v_lshlrev_b32_e32 v8, 1, v0
	v_lshrrev_b32_e32 v13, 16, v12
	flat_load_u16 v9, v[6:7]
	v_mov_b32_e32 v6, 0
	v_lshrrev_b32_e32 v14, 16, v11
	v_mul_u32_u24_e32 v7, 15, v0
	ds_store_b16 v8, v13
	v_cmp_ne_u16_e64 s8, v12, v13
	v_cmp_gt_u64_e32 vcc_lo, s[24:25], v[5:6]
	v_mad_u32_u24 v5, v0, 15, 13
	v_cmp_ne_u16_e64 s9, v14, v12
	v_lshrrev_b32_e32 v13, 16, v10
	s_mov_b32 s41, -1
	s_mov_b32 s11, 0
	v_cmp_gt_u64_e64 s0, s[24:25], v[5:6]
	v_mad_u32_u24 v5, v0, 15, 12
	s_and_b32 s12, vcc_lo, s8
	v_cmp_ne_u16_e32 vcc_lo, v11, v14
	v_lshrrev_b32_e32 v14, 16, v3
	s_waitcnt vmcnt(0) lgkmcnt(0)
	v_cmp_gt_u64_e64 s1, s[24:25], v[5:6]
	v_mad_u32_u24 v5, v0, 15, 11
	s_and_b32 s13, s0, s9
	v_cmp_ne_u16_e64 s0, v13, v11
	s_barrier
	buffer_gl0_inv
	v_cmp_gt_u64_e64 s4, s[24:25], v[5:6]
	v_mad_u32_u24 v5, v0, 15, 10
	s_and_b32 s14, s1, vcc_lo
	v_cmp_ne_u16_e32 vcc_lo, v10, v13
	v_lshrrev_b32_e32 v13, 16, v4
	s_delay_alu instid0(VALU_DEP_3) | instskip(SKIP_2) | instid1(VALU_DEP_3)
	v_cmp_gt_u64_e64 s5, s[24:25], v[5:6]
	v_mad_u32_u24 v5, v0, 15, 9
	s_and_b32 s15, s4, s0
	v_cmp_ne_u16_e64 s1, v4, v13
	s_delay_alu instid0(VALU_DEP_2) | instskip(SKIP_4) | instid1(VALU_DEP_3)
	v_cmp_gt_u64_e64 s6, s[24:25], v[5:6]
	v_mad_u32_u24 v5, v0, 15, 8
	s_and_b32 s16, s5, vcc_lo
	v_cmp_ne_u16_e32 vcc_lo, v13, v10
	v_lshrrev_b32_e32 v13, 16, v2
	v_cmp_gt_u64_e64 s7, s[24:25], v[5:6]
	v_mad_u32_u24 v5, v0, 15, 7
	s_and_b32 s17, s6, vcc_lo
	v_cmp_ne_u16_e32 vcc_lo, v14, v4
	v_cmp_ne_u16_e64 s6, v2, v13
	s_delay_alu instid0(VALU_DEP_3) | instskip(SKIP_4) | instid1(VALU_DEP_3)
	v_cmp_gt_u64_e64 s10, s[24:25], v[5:6]
	v_mad_u32_u24 v5, v0, 15, 6
	s_and_b32 s36, s7, s1
	v_cmp_ne_u16_e64 s1, v3, v14
	v_lshrrev_b32_e32 v14, 16, v1
	v_cmp_gt_u64_e64 s8, s[24:25], v[5:6]
	v_mad_u32_u24 v5, v0, 15, 5
	s_and_b32 s42, s10, vcc_lo
	s_delay_alu instid0(VALU_DEP_3) | instskip(SKIP_1) | instid1(VALU_DEP_3)
	v_cmp_ne_u16_e64 s7, v14, v2
	v_cmp_ne_u16_e64 s10, v52, v1
	v_cmp_gt_u64_e64 s0, s[24:25], v[5:6]
	v_mad_u32_u24 v5, v0, 15, 4
	s_and_b32 s37, s8, s1
	v_cmp_ne_u16_e64 s1, v13, v3
	v_cmp_ne_u16_e64 s8, v1, v14
	s_delay_alu instid0(VALU_DEP_3) | instskip(SKIP_1) | instid1(VALU_DEP_4)
	v_cmp_gt_u64_e64 s4, s[24:25], v[5:6]
	v_mad_u32_u24 v5, v0, 15, 3
	s_and_b32 s0, s0, s1
	s_delay_alu instid0(VALU_DEP_1) | instskip(SKIP_1) | instid1(VALU_DEP_4)
	v_cmp_gt_u64_e64 s5, s[24:25], v[5:6]
	v_mad_u32_u24 v5, v0, 15, 2
	s_and_b32 s6, s4, s6
	s_delay_alu instid0(VALU_DEP_1) | instskip(SKIP_1) | instid1(VALU_DEP_4)
	v_cmp_gt_u64_e32 vcc_lo, s[24:25], v[5:6]
	v_mad_u32_u24 v5, v0, 15, 1
	s_and_b32 s5, s5, s7
	s_delay_alu instid0(VALU_DEP_1) | instskip(SKIP_1) | instid1(VALU_DEP_1)
	v_cmp_gt_u64_e64 s9, s[24:25], v[5:6]
	s_and_b32 s1, vcc_lo, s8
	s_and_b32 s4, s9, s10
	s_and_saveexec_b32 s7, s3
	s_cbranch_execz .LBB639_82
; %bb.81:
	v_add_nc_u32_e32 v5, -2, v8
	ds_load_u16 v9, v5
.LBB639_82:
	s_or_b32 exec_lo, exec_lo, s7
	v_mov_b32_e32 v8, v6
	v_cndmask_b32_e64 v57, 0, 1, s0
	s_waitcnt lgkmcnt(0)
	v_cmp_ne_u16_e64 s0, v9, v52
	v_cndmask_b32_e64 v54, 0, 1, s12
	v_cndmask_b32_e64 v47, 0, 1, s13
	v_cmp_gt_u64_e32 vcc_lo, s[24:25], v[7:8]
	v_cndmask_b32_e64 v48, 0, 1, s14
	v_cndmask_b32_e64 v49, 0, 1, s15
	;; [unrolled: 1-line block ×11, first 2 shown]
	s_and_b32 s0, vcc_lo, s0
	s_and_b32 vcc_lo, exec_lo, s11
	s_cbranch_vccnz .LBB639_85
.LBB639_83:
                                        ; implicit-def: $sgpr42
	v_mov_b32_e32 v63, s42
	s_and_saveexec_b32 s1, s41
	s_cbranch_execnz .LBB639_88
	s_branch .LBB639_89
.LBB639_84:
                                        ; implicit-def: $sgpr0
                                        ; implicit-def: $vgpr54
                                        ; implicit-def: $vgpr47
                                        ; implicit-def: $vgpr48
                                        ; implicit-def: $vgpr49
                                        ; implicit-def: $vgpr50
                                        ; implicit-def: $vgpr51
                                        ; implicit-def: $vgpr53
                                        ; implicit-def: $vgpr55
                                        ; implicit-def: $vgpr56
                                        ; implicit-def: $vgpr57
                                        ; implicit-def: $vgpr58
                                        ; implicit-def: $vgpr59
                                        ; implicit-def: $vgpr60
                                        ; implicit-def: $vgpr61
	s_cbranch_execz .LBB639_83
.LBB639_85:
	v_mad_u32_u24 v5, v0, 15, 14
	v_dual_mov_b32 v6, 0 :: v_dual_lshlrev_b32 v7, 1, v0
	v_lshrrev_b32_e32 v8, 16, v12
	v_lshrrev_b32_e32 v9, 16, v11
	;; [unrolled: 1-line block ×3, first 2 shown]
	s_delay_alu instid0(VALU_DEP_4)
	v_cmp_gt_u64_e32 vcc_lo, s[24:25], v[5:6]
	v_mad_u32_u24 v5, v0, 15, 13
	v_cmp_ne_u16_e64 s6, v12, v8
	v_cmp_ne_u16_e64 s7, v9, v12
	;; [unrolled: 1-line block ×3, first 2 shown]
	v_lshrrev_b32_e32 v14, 16, v4
	v_cmp_gt_u64_e64 s0, s[24:25], v[5:6]
	v_mad_u32_u24 v5, v0, 15, 12
	s_and_b32 s6, vcc_lo, s6
	v_cmp_ne_u16_e64 s9, v13, v11
	v_cmp_ne_u16_e64 s11, v10, v13
	;; [unrolled: 1-line block ×3, first 2 shown]
	v_cmp_gt_u64_e64 s1, s[24:25], v[5:6]
	v_mad_u32_u24 v5, v0, 15, 11
	s_and_b32 s0, s0, s7
	v_cmp_ne_u16_e64 s13, v4, v14
	v_cndmask_b32_e64 v47, 0, 1, s0
	v_lshrrev_b32_e32 v15, 16, v3
	v_cmp_gt_u64_e64 s4, s[24:25], v[5:6]
	v_mad_u32_u24 v5, v0, 15, 10
	s_and_b32 s0, s1, s8
	v_lshrrev_b32_e32 v16, 16, v2
	v_cndmask_b32_e64 v48, 0, 1, s0
	v_cmp_ne_u16_e64 s14, v15, v4
	v_cmp_gt_u64_e64 s5, s[24:25], v[5:6]
	v_mad_u32_u24 v5, v0, 15, 9
	s_and_b32 s1, s4, s9
	v_cmp_ne_u16_e64 s16, v3, v15
	v_cndmask_b32_e64 v49, 0, 1, s1
	v_cmp_ne_u16_e64 s17, v16, v3
	v_cmp_gt_u64_e64 s10, s[24:25], v[5:6]
	v_mad_u32_u24 v5, v0, 15, 8
	s_and_b32 s1, s5, s11
	v_lshrrev_b32_e32 v9, 16, v1
	v_cndmask_b32_e64 v50, 0, 1, s1
	v_cndmask_b32_e64 v54, 0, 1, s6
	v_cmp_gt_u64_e64 s15, s[24:25], v[5:6]
	v_mad_u32_u24 v5, v0, 15, 7
	s_and_b32 s4, s10, s12
	v_cmp_ne_u16_e64 s6, v52, v1
	v_cndmask_b32_e64 v51, 0, 1, s4
	s_mov_b32 s42, 1
	v_cmp_gt_u64_e32 vcc_lo, s[24:25], v[5:6]
	v_mad_u32_u24 v5, v0, 15, 6
	s_and_b32 s4, s15, s13
	ds_store_b16 v7, v8
	v_cndmask_b32_e64 v53, 0, 1, s4
	s_waitcnt lgkmcnt(0)
	v_cmp_gt_u64_e64 s0, s[24:25], v[5:6]
	v_mad_u32_u24 v5, v0, 15, 5
	s_and_b32 s5, vcc_lo, s14
	s_barrier
	v_cndmask_b32_e64 v55, 0, 1, s5
	v_cmp_ne_u16_e64 s5, v9, v2
	v_cmp_gt_u64_e64 s1, s[24:25], v[5:6]
	v_mad_u32_u24 v5, v0, 15, 4
	s_and_b32 s0, s0, s16
	buffer_gl0_inv
	v_cndmask_b32_e64 v56, 0, 1, s0
	v_cmp_ne_u16_e64 s0, v2, v16
	v_cmp_gt_u64_e64 s4, s[24:25], v[5:6]
	v_mad_u32_u24 v5, v0, 15, 3
	s_and_b32 s1, s1, s17
	s_delay_alu instid0(SALU_CYCLE_1) | instskip(NEXT) | instid1(VALU_DEP_2)
	v_cndmask_b32_e64 v57, 0, 1, s1
	v_cmp_gt_u64_e32 vcc_lo, s[24:25], v[5:6]
	v_mad_u32_u24 v5, v0, 15, 2
	s_and_b32 s0, s4, s0
	s_delay_alu instid0(SALU_CYCLE_1) | instskip(SKIP_1) | instid1(VALU_DEP_3)
	v_cndmask_b32_e64 v58, 0, 1, s0
	v_cmp_ne_u16_e64 s0, v1, v9
	v_cmp_gt_u64_e64 s1, s[24:25], v[5:6]
	v_mad_u32_u24 v5, v0, 15, 1
	s_and_b32 s5, vcc_lo, s5
	s_delay_alu instid0(SALU_CYCLE_1) | instskip(NEXT) | instid1(VALU_DEP_2)
	v_cndmask_b32_e64 v59, 0, 1, s5
	v_cmp_gt_u64_e64 s4, s[24:25], v[5:6]
	s_delay_alu instid0(VALU_DEP_4) | instskip(NEXT) | instid1(SALU_CYCLE_1)
	s_and_b32 s0, s1, s0
	v_cndmask_b32_e64 v60, 0, 1, s0
	s_delay_alu instid0(VALU_DEP_2) | instskip(NEXT) | instid1(SALU_CYCLE_1)
	s_and_b32 s0, s4, s6
	v_cndmask_b32_e64 v61, 0, 1, s0
                                        ; implicit-def: $sgpr0
	s_and_saveexec_b32 s1, s3
	s_cbranch_execz .LBB639_196
; %bb.86:
	v_add_nc_u32_e32 v5, -2, v7
	s_or_b32 s41, s41, exec_lo
	ds_load_u16 v7, v5
	v_mul_u32_u24_e32 v5, 15, v0
	s_delay_alu instid0(VALU_DEP_1) | instskip(SKIP_2) | instid1(VALU_DEP_1)
	v_cmp_gt_u64_e32 vcc_lo, s[24:25], v[5:6]
	s_waitcnt lgkmcnt(0)
	v_cmp_ne_u16_e64 s0, v7, v52
	s_and_b32 s0, vcc_lo, s0
	s_delay_alu instid0(SALU_CYCLE_1)
	s_and_b32 s0, s0, exec_lo
	s_or_b32 exec_lo, exec_lo, s1
.LBB639_87:
	v_mov_b32_e32 v63, s42
	s_and_saveexec_b32 s1, s41
.LBB639_88:
	s_delay_alu instid0(VALU_DEP_2)
	v_cndmask_b32_e64 v63, 0, 1, s0
.LBB639_89:
	s_or_b32 exec_lo, exec_lo, s1
	s_delay_alu instid0(VALU_DEP_1)
	v_add3_u32 v5, v61, v63, v60
	v_cmp_eq_u32_e64 s13, 0, v61
	v_cmp_eq_u32_e64 s12, 0, v60
	;; [unrolled: 1-line block ×4, first 2 shown]
	v_add3_u32 v80, v5, v59, v58
	v_cmp_eq_u32_e64 s9, 0, v57
	v_cmp_eq_u32_e64 s8, 0, v56
	;; [unrolled: 1-line block ×9, first 2 shown]
	v_cmp_eq_u32_e32 vcc_lo, 0, v54
	v_mbcnt_lo_u32_b32 v77, -1, 0
	v_lshrrev_b32_e32 v78, 5, v0
	v_or_b32_e32 v79, 31, v0
	s_cmp_eq_u64 s[22:23], 0
	s_cselect_b32 s16, -1, 0
	s_cmp_lg_u32 s40, 0
	s_cbranch_scc0 .LBB639_120
; %bb.90:
	v_cndmask_b32_e64 v5, 0, v74, s13
	v_add3_u32 v6, v80, v57, v56
	v_and_b32_e32 v9, 15, v77
	s_delay_alu instid0(VALU_DEP_3) | instskip(NEXT) | instid1(VALU_DEP_3)
	v_add_nc_u16 v5, v5, v73
	v_add3_u32 v6, v6, v55, v53
	s_delay_alu instid0(VALU_DEP_2) | instskip(NEXT) | instid1(VALU_DEP_2)
	v_cndmask_b32_e64 v5, 0, v5, s12
	v_add3_u32 v6, v6, v51, v50
	s_delay_alu instid0(VALU_DEP_2) | instskip(NEXT) | instid1(VALU_DEP_2)
	v_add_nc_u16 v5, v5, v75
	v_add3_u32 v6, v6, v49, v48
	s_delay_alu instid0(VALU_DEP_2) | instskip(NEXT) | instid1(VALU_DEP_2)
	v_cndmask_b32_e64 v5, 0, v5, s11
	v_add3_u32 v6, v6, v47, v54
	s_delay_alu instid0(VALU_DEP_2) | instskip(NEXT) | instid1(VALU_DEP_2)
	v_add_nc_u16 v5, v5, v71
	v_mov_b32_dpp v13, v6 row_shr:1 row_mask:0xf bank_mask:0xf
	s_delay_alu instid0(VALU_DEP_2) | instskip(NEXT) | instid1(VALU_DEP_1)
	v_cndmask_b32_e64 v5, 0, v5, s10
	v_add_nc_u16 v5, v5, v72
	s_delay_alu instid0(VALU_DEP_1) | instskip(NEXT) | instid1(VALU_DEP_1)
	v_cndmask_b32_e64 v5, 0, v5, s9
	v_add_nc_u16 v5, v5, v69
	s_delay_alu instid0(VALU_DEP_1) | instskip(NEXT) | instid1(VALU_DEP_1)
	;; [unrolled: 3-line block ×9, first 2 shown]
	v_cndmask_b32_e64 v5, 0, v5, s0
	v_add_nc_u16 v5, v5, v45
	s_delay_alu instid0(VALU_DEP_1) | instskip(SKIP_1) | instid1(VALU_DEP_2)
	v_cndmask_b32_e32 v5, 0, v5, vcc_lo
	v_cmp_eq_u32_e32 vcc_lo, 0, v6
	v_add_nc_u16 v5, v5, v76
	s_delay_alu instid0(VALU_DEP_1) | instskip(NEXT) | instid1(VALU_DEP_1)
	v_and_b32_e32 v7, 0xffff, v5
	v_mov_b32_dpp v8, v7 row_shr:1 row_mask:0xf bank_mask:0xf
	s_delay_alu instid0(VALU_DEP_1) | instskip(SKIP_1) | instid1(VALU_DEP_2)
	v_cndmask_b32_e32 v8, 0, v8, vcc_lo
	v_cmp_eq_u32_e32 vcc_lo, 0, v9
	v_add_nc_u16 v8, v8, v5
	v_cndmask_b32_e64 v13, v13, 0, vcc_lo
	s_delay_alu instid0(VALU_DEP_2) | instskip(NEXT) | instid1(VALU_DEP_1)
	v_dual_cndmask_b32 v5, v8, v5 :: v_dual_and_b32 v14, 0xffff, v8
	v_dual_cndmask_b32 v7, v14, v7 :: v_dual_add_nc_u32 v6, v13, v6
	s_delay_alu instid0(VALU_DEP_1) | instskip(NEXT) | instid1(VALU_DEP_2)
	v_cmp_eq_u32_e32 vcc_lo, 0, v6
	v_mov_b32_dpp v13, v7 row_shr:2 row_mask:0xf bank_mask:0xf
	s_delay_alu instid0(VALU_DEP_1) | instskip(SKIP_2) | instid1(VALU_DEP_3)
	v_cndmask_b32_e32 v8, 0, v13, vcc_lo
	v_mov_b32_dpp v13, v6 row_shr:2 row_mask:0xf bank_mask:0xf
	v_cmp_lt_u32_e32 vcc_lo, 1, v9
	v_add_nc_u16 v8, v8, v5
	s_delay_alu instid0(VALU_DEP_1) | instskip(NEXT) | instid1(VALU_DEP_4)
	v_and_b32_e32 v14, 0xffff, v8
	v_dual_cndmask_b32 v5, v5, v8 :: v_dual_cndmask_b32 v8, 0, v13
	s_delay_alu instid0(VALU_DEP_1) | instskip(NEXT) | instid1(VALU_DEP_1)
	v_dual_cndmask_b32 v7, v7, v14 :: v_dual_add_nc_u32 v6, v6, v8
	v_mov_b32_dpp v8, v7 row_shr:4 row_mask:0xf bank_mask:0xf
	s_delay_alu instid0(VALU_DEP_2) | instskip(NEXT) | instid1(VALU_DEP_2)
	v_cmp_eq_u32_e32 vcc_lo, 0, v6
	v_cndmask_b32_e32 v8, 0, v8, vcc_lo
	v_cmp_lt_u32_e32 vcc_lo, 3, v9
	s_delay_alu instid0(VALU_DEP_2) | instskip(NEXT) | instid1(VALU_DEP_1)
	v_add_nc_u16 v8, v8, v5
	v_and_b32_e32 v14, 0xffff, v8
	s_delay_alu instid0(VALU_DEP_1) | instskip(SKIP_1) | instid1(VALU_DEP_1)
	v_cndmask_b32_e32 v7, v7, v14, vcc_lo
	v_mov_b32_dpp v13, v6 row_shr:4 row_mask:0xf bank_mask:0xf
	v_dual_cndmask_b32 v5, v5, v8 :: v_dual_cndmask_b32 v8, 0, v13
	s_delay_alu instid0(VALU_DEP_1) | instskip(NEXT) | instid1(VALU_DEP_4)
	v_add_nc_u32_e32 v6, v8, v6
	v_mov_b32_dpp v8, v7 row_shr:8 row_mask:0xf bank_mask:0xf
	s_delay_alu instid0(VALU_DEP_2) | instskip(NEXT) | instid1(VALU_DEP_2)
	v_cmp_eq_u32_e32 vcc_lo, 0, v6
	v_cndmask_b32_e32 v8, 0, v8, vcc_lo
	v_cmp_lt_u32_e32 vcc_lo, 7, v9
	s_delay_alu instid0(VALU_DEP_2) | instskip(NEXT) | instid1(VALU_DEP_1)
	v_add_nc_u16 v8, v8, v5
	v_cndmask_b32_e32 v5, v5, v8, vcc_lo
	v_mov_b32_dpp v13, v6 row_shr:8 row_mask:0xf bank_mask:0xf
	s_delay_alu instid0(VALU_DEP_1) | instskip(NEXT) | instid1(VALU_DEP_1)
	v_dual_cndmask_b32 v9, 0, v13 :: v_dual_and_b32 v8, 0xffff, v8
	v_cndmask_b32_e32 v7, v7, v8, vcc_lo
	v_bfe_i32 v13, v77, 4, 1
	s_delay_alu instid0(VALU_DEP_3)
	v_add_nc_u32_e32 v6, v9, v6
	ds_swizzle_b32 v7, v7 offset:swizzle(BROADCAST,32,15)
	v_and_b32_e32 v9, 16, v77
	ds_swizzle_b32 v8, v6 offset:swizzle(BROADCAST,32,15)
	v_cmp_eq_u32_e64 s14, 0, v6
	v_cmp_ne_u32_e32 vcc_lo, 0, v9
	s_delay_alu instid0(VALU_DEP_2) | instskip(SKIP_3) | instid1(VALU_DEP_1)
	s_and_b32 vcc_lo, vcc_lo, s14
	s_mov_b32 s14, exec_lo
	s_waitcnt lgkmcnt(0)
	v_dual_cndmask_b32 v7, 0, v7 :: v_dual_and_b32 v8, v13, v8
	v_add_nc_u16 v5, v7, v5
	v_lshlrev_b32_e32 v7, 3, v78
	s_delay_alu instid0(VALU_DEP_3)
	v_add_nc_u32_e32 v6, v8, v6
	v_cmpx_eq_u32_e64 v79, v0
	s_cbranch_execz .LBB639_92
; %bb.91:
	ds_store_b32 v7, v6 offset:1040
	ds_store_b16 v7, v5 offset:1044
.LBB639_92:
	s_or_b32 exec_lo, exec_lo, s14
	s_delay_alu instid0(SALU_CYCLE_1)
	s_mov_b32 s15, exec_lo
	s_waitcnt lgkmcnt(0)
	s_barrier
	buffer_gl0_inv
	v_cmpx_gt_u32_e32 8, v0
	s_cbranch_execz .LBB639_94
; %bb.93:
	v_lshlrev_b32_e32 v13, 3, v0
	v_and_b32_e32 v17, 7, v77
	ds_load_b64 v[8:9], v13 offset:1040
	s_waitcnt lgkmcnt(0)
	v_mov_b32_dpp v14, v9 row_shr:1 row_mask:0xf bank_mask:0xf
	v_cmp_eq_u32_e32 vcc_lo, 0, v8
	v_and_b32_e32 v15, 0xffff0000, v9
	v_mov_b32_dpp v18, v8 row_shr:1 row_mask:0xf bank_mask:0xf
	s_delay_alu instid0(VALU_DEP_4) | instskip(SKIP_1) | instid1(VALU_DEP_2)
	v_cndmask_b32_e32 v14, 0, v14, vcc_lo
	v_cmp_eq_u32_e32 vcc_lo, 0, v17
	v_add_nc_u16 v14, v14, v9
	s_delay_alu instid0(VALU_DEP_4) | instskip(NEXT) | instid1(VALU_DEP_2)
	v_cndmask_b32_e64 v18, v18, 0, vcc_lo
	v_and_b32_e32 v16, 0xffff, v14
	s_delay_alu instid0(VALU_DEP_1) | instskip(NEXT) | instid1(VALU_DEP_1)
	v_or_b32_e32 v16, v15, v16
	v_cndmask_b32_e32 v16, v16, v9, vcc_lo
	v_cndmask_b32_e32 v9, v14, v9, vcc_lo
	v_add_nc_u32_e32 v8, v18, v8
	s_delay_alu instid0(VALU_DEP_3) | instskip(NEXT) | instid1(VALU_DEP_2)
	v_mov_b32_dpp v18, v16 row_shr:2 row_mask:0xf bank_mask:0xf
	v_cmp_eq_u32_e32 vcc_lo, 0, v8
	s_delay_alu instid0(VALU_DEP_2) | instskip(SKIP_1) | instid1(VALU_DEP_2)
	v_cndmask_b32_e32 v14, 0, v18, vcc_lo
	v_cmp_lt_u32_e32 vcc_lo, 1, v17
	v_add_nc_u16 v14, v14, v9
	s_delay_alu instid0(VALU_DEP_1) | instskip(SKIP_2) | instid1(VALU_DEP_2)
	v_cndmask_b32_e32 v9, v9, v14, vcc_lo
	v_mov_b32_dpp v18, v8 row_shr:2 row_mask:0xf bank_mask:0xf
	v_and_b32_e32 v19, 0xffff, v14
	v_cndmask_b32_e32 v14, 0, v18, vcc_lo
	s_delay_alu instid0(VALU_DEP_2) | instskip(SKIP_1) | instid1(VALU_DEP_3)
	v_or_b32_e32 v15, v15, v19
	v_cmp_lt_u32_e64 s14, 3, v17
	v_add_nc_u32_e32 v8, v14, v8
	s_delay_alu instid0(VALU_DEP_3) | instskip(NEXT) | instid1(VALU_DEP_2)
	v_cndmask_b32_e32 v14, v16, v15, vcc_lo
	v_cmp_eq_u32_e32 vcc_lo, 0, v8
	v_mov_b32_dpp v15, v8 row_shr:4 row_mask:0xf bank_mask:0xf
	s_delay_alu instid0(VALU_DEP_3) | instskip(SKIP_1) | instid1(VALU_DEP_2)
	v_mov_b32_dpp v14, v14 row_shr:4 row_mask:0xf bank_mask:0xf
	s_and_b32 vcc_lo, s14, vcc_lo
	v_cndmask_b32_e64 v15, 0, v15, s14
	s_delay_alu instid0(VALU_DEP_2) | instskip(NEXT) | instid1(VALU_DEP_2)
	v_cndmask_b32_e32 v14, 0, v14, vcc_lo
	v_add_nc_u32_e32 v8, v15, v8
	s_delay_alu instid0(VALU_DEP_2)
	v_add_nc_u16 v9, v9, v14
	ds_store_b32 v13, v8 offset:1040
	ds_store_b16 v13, v9 offset:1044
.LBB639_94:
	s_or_b32 exec_lo, exec_lo, s15
	v_cmp_gt_u32_e32 vcc_lo, 32, v0
	v_dual_mov_b32 v18, 0 :: v_dual_mov_b32 v17, 0
	s_mov_b32 s15, exec_lo
	s_waitcnt lgkmcnt(0)
	s_barrier
	buffer_gl0_inv
	v_cmpx_lt_u32_e32 31, v0
	s_cbranch_execz .LBB639_96
; %bb.95:
	ds_load_u16 v17, v7 offset:1036
	ds_load_b32 v18, v7 offset:1032
	v_cmp_eq_u32_e64 s14, 0, v6
	s_waitcnt lgkmcnt(1)
	s_delay_alu instid0(VALU_DEP_1) | instskip(SKIP_2) | instid1(VALU_DEP_2)
	v_cndmask_b32_e64 v7, 0, v17, s14
	s_waitcnt lgkmcnt(0)
	v_add_nc_u32_e32 v6, v18, v6
	v_add_nc_u16 v5, v7, v5
.LBB639_96:
	s_or_b32 exec_lo, exec_lo, s15
	v_add_nc_u32_e32 v7, -1, v77
	s_delay_alu instid0(VALU_DEP_2) | instskip(NEXT) | instid1(VALU_DEP_2)
	v_and_b32_e32 v5, 0xffff, v5
	v_cmp_gt_i32_e64 s14, 0, v7
	s_delay_alu instid0(VALU_DEP_1) | instskip(SKIP_1) | instid1(VALU_DEP_2)
	v_cndmask_b32_e64 v7, v7, v77, s14
	v_cmp_eq_u32_e64 s14, 0, v77
	v_lshlrev_b32_e32 v7, 2, v7
	ds_bpermute_b32 v19, v7, v6
	ds_bpermute_b32 v20, v7, v5
	s_and_saveexec_b32 s17, vcc_lo
	s_cbranch_execz .LBB639_119
; %bb.97:
	v_mov_b32_e32 v8, 0
	ds_load_b64 v[5:6], v8 offset:1096
	s_waitcnt lgkmcnt(0)
	v_readfirstlane_b32 s22, v6
	s_and_saveexec_b32 s15, s14
	s_cbranch_execz .LBB639_99
; %bb.98:
	s_add_i32 s24, s40, 32
	s_mov_b32 s25, 0
	v_mov_b32_e32 v7, 1
	s_lshl_b64 s[36:37], s[24:25], 4
	s_mov_b32 s42, s25
	s_add_u32 s36, s20, s36
	s_addc_u32 s37, s21, s37
	s_and_b32 s43, s22, 0xff000000
	s_and_b32 s45, s22, 0xff0000
	s_mov_b32 s44, s25
	v_dual_mov_b32 v13, s36 :: v_dual_mov_b32 v14, s37
	s_or_b64 s[42:43], s[44:45], s[42:43]
	s_and_b32 s45, s22, 0xff00
	s_delay_alu instid0(SALU_CYCLE_1) | instskip(SKIP_1) | instid1(SALU_CYCLE_1)
	s_or_b64 s[42:43], s[42:43], s[44:45]
	s_and_b32 s45, s22, 0xff
	s_or_b64 s[24:25], s[42:43], s[44:45]
	s_delay_alu instid0(SALU_CYCLE_1)
	v_mov_b32_e32 v6, s25
	;;#ASMSTART
	global_store_dwordx4 v[13:14], v[5:8] off	
s_waitcnt vmcnt(0)
	;;#ASMEND
.LBB639_99:
	s_or_b32 exec_lo, exec_lo, s15
	v_xad_u32 v13, v77, -1, s40
	s_mov_b32 s23, 0
	s_mov_b32 s15, exec_lo
	s_delay_alu instid0(VALU_DEP_1) | instskip(NEXT) | instid1(VALU_DEP_1)
	v_add_nc_u32_e32 v7, 32, v13
	v_lshlrev_b64 v[6:7], 4, v[7:8]
	s_delay_alu instid0(VALU_DEP_1) | instskip(NEXT) | instid1(VALU_DEP_2)
	v_add_co_u32 v14, vcc_lo, s20, v6
	v_add_co_ci_u32_e32 v15, vcc_lo, s21, v7, vcc_lo
	;;#ASMSTART
	global_load_dwordx4 v[6:9], v[14:15] off glc	
s_waitcnt vmcnt(0)
	;;#ASMEND
	v_and_b32_e32 v9, 0xffffff, v6
	v_and_b32_e32 v6, 0xff000000, v6
	;; [unrolled: 1-line block ×4, first 2 shown]
	s_delay_alu instid0(VALU_DEP_3) | instskip(SKIP_1) | instid1(VALU_DEP_3)
	v_or_b32_e32 v6, v9, v6
	v_and_b32_e32 v9, 0xff, v8
	v_or3_b32 v7, 0, v16, v7
	s_delay_alu instid0(VALU_DEP_3) | instskip(NEXT) | instid1(VALU_DEP_3)
	v_or3_b32 v6, v6, 0, 0
	v_cmpx_eq_u16_e32 0, v9
	s_cbranch_execz .LBB639_105
; %bb.100:
	s_mov_b32 s24, 1
	.p2align	6
.LBB639_101:                            ; =>This Loop Header: Depth=1
                                        ;     Child Loop BB639_102 Depth 2
	s_delay_alu instid0(SALU_CYCLE_1)
	s_max_u32 s25, s24, 1
.LBB639_102:                            ;   Parent Loop BB639_101 Depth=1
                                        ; =>  This Inner Loop Header: Depth=2
	s_delay_alu instid0(SALU_CYCLE_1)
	s_add_i32 s25, s25, -1
	s_sleep 1
	s_cmp_eq_u32 s25, 0
	s_cbranch_scc0 .LBB639_102
; %bb.103:                              ;   in Loop: Header=BB639_101 Depth=1
	;;#ASMSTART
	global_load_dwordx4 v[6:9], v[14:15] off glc	
s_waitcnt vmcnt(0)
	;;#ASMEND
	v_and_b32_e32 v9, 0xff, v8
	s_cmp_lt_u32 s24, 32
	s_cselect_b32 s25, -1, 0
	s_delay_alu instid0(SALU_CYCLE_1) | instskip(NEXT) | instid1(VALU_DEP_1)
	s_cmp_lg_u32 s25, 0
	v_cmp_ne_u16_e32 vcc_lo, 0, v9
	s_addc_u32 s24, s24, 0
	s_or_b32 s23, vcc_lo, s23
	s_delay_alu instid0(SALU_CYCLE_1)
	s_and_not1_b32 exec_lo, exec_lo, s23
	s_cbranch_execnz .LBB639_101
; %bb.104:
	s_or_b32 exec_lo, exec_lo, s23
	v_and_b32_e32 v7, 0xffff, v7
.LBB639_105:
	s_or_b32 exec_lo, exec_lo, s15
	v_cmp_ne_u32_e32 vcc_lo, 31, v77
	v_and_b32_e32 v14, 0xff, v8
	v_lshlrev_b32_e64 v22, v77, -1
	v_cmp_eq_u32_e64 s15, 0, v6
	v_add_co_ci_u32_e32 v9, vcc_lo, 0, v77, vcc_lo
	s_delay_alu instid0(VALU_DEP_4) | instskip(NEXT) | instid1(VALU_DEP_4)
	v_cmp_eq_u16_e32 vcc_lo, 2, v14
	v_and_or_b32 v14, vcc_lo, v22, 0x80000000
	v_cmp_gt_u32_e32 vcc_lo, 30, v77
	s_delay_alu instid0(VALU_DEP_2) | instskip(SKIP_1) | instid1(VALU_DEP_2)
	v_ctz_i32_b32_e32 v14, v14
	v_cndmask_b32_e64 v15, 0, 1, vcc_lo
	v_cmp_lt_u32_e32 vcc_lo, v77, v14
	v_lshlrev_b32_e32 v21, 2, v9
	s_delay_alu instid0(VALU_DEP_3)
	v_lshlrev_b32_e32 v15, 1, v15
	ds_bpermute_b32 v16, v21, v6
	v_add_lshl_u32 v23, v15, v77, 2
	s_waitcnt lgkmcnt(0)
	v_cndmask_b32_e32 v16, 0, v16, vcc_lo
	ds_bpermute_b32 v9, v21, v7
	v_add_nc_u32_e32 v6, v16, v6
	ds_bpermute_b32 v26, v23, v6
	s_waitcnt lgkmcnt(1)
	v_cndmask_b32_e64 v9, 0, v9, s15
	s_delay_alu instid0(VALU_DEP_1) | instskip(NEXT) | instid1(VALU_DEP_1)
	v_add_nc_u16 v9, v9, v7
	v_and_b32_e32 v24, 0xffff, v9
	v_cndmask_b32_e32 v9, v7, v9, vcc_lo
	s_delay_alu instid0(VALU_DEP_2)
	v_cndmask_b32_e32 v7, v7, v24, vcc_lo
	v_cmp_eq_u32_e32 vcc_lo, 0, v6
	ds_bpermute_b32 v15, v23, v7
	s_waitcnt lgkmcnt(0)
	v_cndmask_b32_e32 v15, 0, v15, vcc_lo
	v_cmp_gt_u32_e32 vcc_lo, 28, v77
	s_delay_alu instid0(VALU_DEP_2) | instskip(SKIP_1) | instid1(VALU_DEP_2)
	v_add_nc_u16 v15, v15, v9
	v_cndmask_b32_e64 v16, 0, 1, vcc_lo
	v_and_b32_e32 v27, 0xffff, v15
	v_add_nc_u32_e32 v24, 2, v77
	s_delay_alu instid0(VALU_DEP_1) | instskip(NEXT) | instid1(VALU_DEP_4)
	v_cmp_gt_u32_e32 vcc_lo, v24, v14
	v_dual_cndmask_b32 v9, v15, v9 :: v_dual_lshlrev_b32 v16, 2, v16
	s_delay_alu instid0(VALU_DEP_1) | instskip(SKIP_4) | instid1(VALU_DEP_1)
	v_add_lshl_u32 v25, v16, v77, 2
	v_cndmask_b32_e32 v7, v27, v7, vcc_lo
	v_cndmask_b32_e64 v16, v26, 0, vcc_lo
	ds_bpermute_b32 v15, v25, v7
	v_add_nc_u32_e32 v6, v6, v16
	v_cmp_eq_u32_e32 vcc_lo, 0, v6
	s_waitcnt lgkmcnt(0)
	v_cndmask_b32_e32 v15, 0, v15, vcc_lo
	v_cmp_gt_u32_e32 vcc_lo, 24, v77
	ds_bpermute_b32 v28, v25, v6
	v_add_nc_u16 v15, v9, v15
	v_cndmask_b32_e64 v16, 0, 1, vcc_lo
	s_delay_alu instid0(VALU_DEP_2) | instskip(SKIP_1) | instid1(VALU_DEP_1)
	v_and_b32_e32 v29, 0xffff, v15
	v_add_nc_u32_e32 v26, 4, v77
	v_cmp_gt_u32_e32 vcc_lo, v26, v14
	s_delay_alu instid0(VALU_DEP_4) | instskip(NEXT) | instid1(VALU_DEP_1)
	v_dual_cndmask_b32 v9, v15, v9 :: v_dual_lshlrev_b32 v16, 3, v16
	v_add_lshl_u32 v27, v16, v77, 2
	v_cndmask_b32_e32 v7, v29, v7, vcc_lo
	s_waitcnt lgkmcnt(0)
	v_cndmask_b32_e64 v16, v28, 0, vcc_lo
	ds_bpermute_b32 v15, v27, v7
	v_add_nc_u32_e32 v6, v6, v16
	s_delay_alu instid0(VALU_DEP_1)
	v_cmp_eq_u32_e32 vcc_lo, 0, v6
	s_waitcnt lgkmcnt(0)
	v_cndmask_b32_e32 v15, 0, v15, vcc_lo
	ds_bpermute_b32 v16, v27, v6
	v_cmp_gt_u32_e32 vcc_lo, 16, v77
	v_add_nc_u16 v15, v9, v15
	v_cndmask_b32_e64 v28, 0, 1, vcc_lo
	s_delay_alu instid0(VALU_DEP_2) | instskip(SKIP_1) | instid1(VALU_DEP_1)
	v_and_b32_e32 v29, 0xffff, v15
	v_add_nc_u32_e32 v30, 8, v77
	v_cmp_gt_u32_e32 vcc_lo, v30, v14
	s_delay_alu instid0(VALU_DEP_4) | instskip(NEXT) | instid1(VALU_DEP_1)
	v_dual_cndmask_b32 v9, v15, v9 :: v_dual_lshlrev_b32 v28, 4, v28
	v_add_lshl_u32 v31, v28, v77, 2
	v_cndmask_b32_e32 v7, v29, v7, vcc_lo
	s_waitcnt lgkmcnt(0)
	v_cndmask_b32_e64 v15, v16, 0, vcc_lo
	ds_bpermute_b32 v7, v31, v7
	v_add_nc_u32_e32 v6, v6, v15
	ds_bpermute_b32 v15, v31, v6
	v_cmp_eq_u32_e32 vcc_lo, 0, v6
	s_waitcnt lgkmcnt(1)
	v_dual_cndmask_b32 v7, 0, v7 :: v_dual_add_nc_u32 v32, 16, v77
	s_delay_alu instid0(VALU_DEP_1) | instskip(NEXT) | instid1(VALU_DEP_2)
	v_cmp_gt_u32_e32 vcc_lo, v32, v14
	v_cndmask_b32_e64 v7, v7, 0, vcc_lo
	s_waitcnt lgkmcnt(0)
	v_cndmask_b32_e64 v14, v15, 0, vcc_lo
	s_delay_alu instid0(VALU_DEP_2) | instskip(NEXT) | instid1(VALU_DEP_2)
	v_add_nc_u16 v7, v9, v7
	v_add_nc_u32_e32 v6, v14, v6
	v_mov_b32_e32 v14, 0
	s_branch .LBB639_107
.LBB639_106:                            ;   in Loop: Header=BB639_107 Depth=1
	s_or_b32 exec_lo, exec_lo, s15
	ds_bpermute_b32 v9, v21, v7
	v_and_b32_e32 v15, 0xff, v8
	v_cmp_eq_u32_e64 s15, 0, v6
	ds_bpermute_b32 v16, v21, v6
	v_subrev_nc_u32_e32 v13, 32, v13
	v_cmp_eq_u16_e32 vcc_lo, 2, v15
	v_and_or_b32 v15, vcc_lo, v22, 0x80000000
	s_delay_alu instid0(VALU_DEP_1) | instskip(SKIP_2) | instid1(VALU_DEP_2)
	v_ctz_i32_b32_e32 v15, v15
	s_waitcnt lgkmcnt(1)
	v_cndmask_b32_e64 v9, 0, v9, s15
	v_cmp_lt_u32_e32 vcc_lo, v77, v15
	s_delay_alu instid0(VALU_DEP_2) | instskip(SKIP_1) | instid1(VALU_DEP_1)
	v_add_nc_u16 v9, v9, v7
	s_waitcnt lgkmcnt(0)
	v_dual_cndmask_b32 v16, 0, v16 :: v_dual_and_b32 v33, 0xffff, v9
	s_delay_alu instid0(VALU_DEP_1) | instskip(NEXT) | instid1(VALU_DEP_2)
	v_dual_cndmask_b32 v9, v7, v9 :: v_dual_add_nc_u32 v6, v16, v6
	v_cndmask_b32_e32 v7, v7, v33, vcc_lo
	s_delay_alu instid0(VALU_DEP_2)
	v_cmp_eq_u32_e32 vcc_lo, 0, v6
	ds_bpermute_b32 v33, v23, v7
	s_waitcnt lgkmcnt(0)
	v_cndmask_b32_e32 v16, 0, v33, vcc_lo
	ds_bpermute_b32 v33, v23, v6
	v_cmp_gt_u32_e32 vcc_lo, v24, v15
	v_add_nc_u16 v16, v16, v9
	s_delay_alu instid0(VALU_DEP_1) | instskip(NEXT) | instid1(VALU_DEP_1)
	v_dual_cndmask_b32 v9, v16, v9 :: v_dual_and_b32 v34, 0xffff, v16
	v_cndmask_b32_e32 v7, v34, v7, vcc_lo
	ds_bpermute_b32 v16, v25, v7
	s_waitcnt lgkmcnt(1)
	v_cndmask_b32_e64 v33, v33, 0, vcc_lo
	s_delay_alu instid0(VALU_DEP_1) | instskip(NEXT) | instid1(VALU_DEP_1)
	v_add_nc_u32_e32 v6, v6, v33
	v_cmp_eq_u32_e32 vcc_lo, 0, v6
	ds_bpermute_b32 v33, v25, v6
	s_waitcnt lgkmcnt(1)
	v_cndmask_b32_e32 v16, 0, v16, vcc_lo
	v_cmp_gt_u32_e32 vcc_lo, v26, v15
	s_delay_alu instid0(VALU_DEP_2) | instskip(NEXT) | instid1(VALU_DEP_1)
	v_add_nc_u16 v16, v9, v16
	v_dual_cndmask_b32 v9, v16, v9 :: v_dual_and_b32 v34, 0xffff, v16
	s_waitcnt lgkmcnt(0)
	v_cndmask_b32_e64 v33, v33, 0, vcc_lo
	s_delay_alu instid0(VALU_DEP_2) | instskip(NEXT) | instid1(VALU_DEP_2)
	v_cndmask_b32_e32 v7, v34, v7, vcc_lo
	v_add_nc_u32_e32 v6, v6, v33
	ds_bpermute_b32 v16, v27, v7
	v_cmp_eq_u32_e32 vcc_lo, 0, v6
	ds_bpermute_b32 v33, v27, v6
	s_waitcnt lgkmcnt(1)
	v_cndmask_b32_e32 v16, 0, v16, vcc_lo
	v_cmp_gt_u32_e32 vcc_lo, v30, v15
	s_delay_alu instid0(VALU_DEP_2) | instskip(NEXT) | instid1(VALU_DEP_1)
	v_add_nc_u16 v16, v9, v16
	v_dual_cndmask_b32 v9, v16, v9 :: v_dual_and_b32 v34, 0xffff, v16
	s_waitcnt lgkmcnt(0)
	v_cndmask_b32_e64 v16, v33, 0, vcc_lo
	s_delay_alu instid0(VALU_DEP_2) | instskip(NEXT) | instid1(VALU_DEP_2)
	v_cndmask_b32_e32 v7, v34, v7, vcc_lo
	v_add_nc_u32_e32 v6, v6, v16
	ds_bpermute_b32 v7, v31, v7
	ds_bpermute_b32 v16, v31, v6
	v_cmp_eq_u32_e32 vcc_lo, 0, v6
	s_waitcnt lgkmcnt(1)
	v_cndmask_b32_e32 v7, 0, v7, vcc_lo
	v_cmp_gt_u32_e32 vcc_lo, v32, v15
	s_delay_alu instid0(VALU_DEP_2) | instskip(NEXT) | instid1(VALU_DEP_1)
	v_cndmask_b32_e64 v7, v7, 0, vcc_lo
	v_add_nc_u16 v7, v9, v7
	s_waitcnt lgkmcnt(0)
	v_cndmask_b32_e64 v9, v16, 0, vcc_lo
	v_cmp_eq_u32_e32 vcc_lo, 0, v29
	s_delay_alu instid0(VALU_DEP_2) | instskip(SKIP_1) | instid1(VALU_DEP_1)
	v_add3_u32 v6, v6, v29, v9
	v_cndmask_b32_e32 v7, 0, v7, vcc_lo
	v_add_nc_u16 v7, v7, v28
.LBB639_107:                            ; =>This Loop Header: Depth=1
                                        ;     Child Loop BB639_110 Depth 2
                                        ;       Child Loop BB639_111 Depth 3
	s_delay_alu instid0(VALU_DEP_2) | instskip(NEXT) | instid1(VALU_DEP_2)
	v_dual_mov_b32 v29, v6 :: v_dual_and_b32 v8, 0xff, v8
	v_mov_b32_e32 v28, v7
	s_delay_alu instid0(VALU_DEP_2) | instskip(SKIP_2) | instid1(VALU_DEP_1)
	v_cmp_ne_u16_e32 vcc_lo, 2, v8
	v_cndmask_b32_e64 v8, 0, 1, vcc_lo
	;;#ASMSTART
	;;#ASMEND
	v_cmp_ne_u32_e32 vcc_lo, 0, v8
	s_cmp_lg_u32 vcc_lo, exec_lo
	s_cbranch_scc1 .LBB639_114
; %bb.108:                              ;   in Loop: Header=BB639_107 Depth=1
	v_lshlrev_b64 v[6:7], 4, v[13:14]
	s_mov_b32 s15, exec_lo
	s_delay_alu instid0(VALU_DEP_1) | instskip(NEXT) | instid1(VALU_DEP_2)
	v_add_co_u32 v15, vcc_lo, s20, v6
	v_add_co_ci_u32_e32 v16, vcc_lo, s21, v7, vcc_lo
	;;#ASMSTART
	global_load_dwordx4 v[6:9], v[15:16] off glc	
s_waitcnt vmcnt(0)
	;;#ASMEND
	v_and_b32_e32 v9, 0xffffff, v6
	v_and_b32_e32 v6, 0xff000000, v6
	;; [unrolled: 1-line block ×4, first 2 shown]
	s_delay_alu instid0(VALU_DEP_3) | instskip(SKIP_1) | instid1(VALU_DEP_3)
	v_or_b32_e32 v6, v9, v6
	v_and_b32_e32 v9, 0xff, v8
	v_or3_b32 v7, 0, v33, v7
	s_delay_alu instid0(VALU_DEP_3) | instskip(NEXT) | instid1(VALU_DEP_3)
	v_or3_b32 v6, v6, 0, 0
	v_cmpx_eq_u16_e32 0, v9
	s_cbranch_execz .LBB639_106
; %bb.109:                              ;   in Loop: Header=BB639_107 Depth=1
	s_mov_b32 s24, 1
	s_mov_b32 s23, 0
	.p2align	6
.LBB639_110:                            ;   Parent Loop BB639_107 Depth=1
                                        ; =>  This Loop Header: Depth=2
                                        ;       Child Loop BB639_111 Depth 3
	s_max_u32 s25, s24, 1
.LBB639_111:                            ;   Parent Loop BB639_107 Depth=1
                                        ;     Parent Loop BB639_110 Depth=2
                                        ; =>    This Inner Loop Header: Depth=3
	s_delay_alu instid0(SALU_CYCLE_1)
	s_add_i32 s25, s25, -1
	s_sleep 1
	s_cmp_eq_u32 s25, 0
	s_cbranch_scc0 .LBB639_111
; %bb.112:                              ;   in Loop: Header=BB639_110 Depth=2
	;;#ASMSTART
	global_load_dwordx4 v[6:9], v[15:16] off glc	
s_waitcnt vmcnt(0)
	;;#ASMEND
	v_and_b32_e32 v9, 0xff, v8
	s_cmp_lt_u32 s24, 32
	s_cselect_b32 s25, -1, 0
	s_delay_alu instid0(SALU_CYCLE_1) | instskip(NEXT) | instid1(VALU_DEP_1)
	s_cmp_lg_u32 s25, 0
	v_cmp_ne_u16_e32 vcc_lo, 0, v9
	s_addc_u32 s24, s24, 0
	s_or_b32 s23, vcc_lo, s23
	s_delay_alu instid0(SALU_CYCLE_1)
	s_and_not1_b32 exec_lo, exec_lo, s23
	s_cbranch_execnz .LBB639_110
; %bb.113:                              ;   in Loop: Header=BB639_107 Depth=1
	s_or_b32 exec_lo, exec_lo, s23
	v_and_b32_e32 v7, 0xffff, v7
	s_branch .LBB639_106
.LBB639_114:                            ;   in Loop: Header=BB639_107 Depth=1
                                        ; implicit-def: $vgpr7
                                        ; implicit-def: $vgpr6
                                        ; implicit-def: $vgpr8
	s_cbranch_execz .LBB639_107
; %bb.115:
	s_and_saveexec_b32 s15, s14
	s_cbranch_execz .LBB639_117
; %bb.116:
	v_cmp_eq_u32_e32 vcc_lo, 0, v5
	s_mov_b32 s25, 0
	s_add_i32 s24, s40, 32
	v_add_nc_u32_e64 v15, 0x400, 0
	s_lshl_b64 s[24:25], s[24:25], 4
	v_dual_cndmask_b32 v6, 0, v28 :: v_dual_mov_b32 v9, 0
	s_add_u32 s24, s20, s24
	s_addc_u32 s25, s21, s25
	v_mov_b32_e32 v16, s22
	s_delay_alu instid0(VALU_DEP_2) | instskip(SKIP_1) | instid1(VALU_DEP_2)
	v_add_nc_u16 v7, v6, s22
	v_add_nc_u32_e32 v6, v29, v5
	v_dual_mov_b32 v8, 2 :: v_dual_and_b32 v13, 0xff00, v7
	v_and_b32_e32 v7, 0xff, v7
	s_delay_alu instid0(VALU_DEP_1)
	v_or_b32_e32 v7, v13, v7
	v_dual_mov_b32 v13, s24 :: v_dual_mov_b32 v14, s25
	;;#ASMSTART
	global_store_dwordx4 v[13:14], v[6:9] off	
s_waitcnt vmcnt(0)
	;;#ASMEND
	ds_store_2addr_b32 v15, v5, v29 offset1:2
	ds_store_b16 v9, v16 offset:1028
	ds_store_b16 v9, v28 offset:1036
.LBB639_117:
	s_or_b32 exec_lo, exec_lo, s15
	s_delay_alu instid0(SALU_CYCLE_1)
	s_and_b32 exec_lo, exec_lo, s2
	s_cbranch_execz .LBB639_119
; %bb.118:
	v_mov_b32_e32 v5, 0
	ds_store_b32 v5, v29 offset:1096
	ds_store_b16 v5, v28 offset:1100
.LBB639_119:
	s_or_b32 exec_lo, exec_lo, s17
	v_mov_b32_e32 v7, 0
	s_waitcnt lgkmcnt(0)
	s_barrier
	buffer_gl0_inv
	v_cndmask_b32_e64 v8, v19, v18, s14
	ds_load_b64 v[5:6], v7 offset:1096
	v_cndmask_b32_e64 v9, v20, v17, s14
	s_waitcnt lgkmcnt(0)
	s_barrier
	v_cmp_eq_u32_e32 vcc_lo, 0, v8
	v_cndmask_b32_e64 v8, v8, 0, s2
	buffer_gl0_inv
	v_cndmask_b32_e32 v13, 0, v6, vcc_lo
	v_cmp_eq_u32_e32 vcc_lo, 0, v63
	v_add_nc_u32_e32 v41, v5, v8
	s_delay_alu instid0(VALU_DEP_3) | instskip(NEXT) | instid1(VALU_DEP_2)
	v_add_nc_u16 v9, v13, v9
	v_add_nc_u32_e32 v37, v41, v63
	s_delay_alu instid0(VALU_DEP_2) | instskip(NEXT) | instid1(VALU_DEP_2)
	v_cndmask_b32_e64 v9, v9, v6, s2
	v_add_nc_u32_e32 v35, v37, v61
	s_delay_alu instid0(VALU_DEP_2) | instskip(SKIP_1) | instid1(VALU_DEP_3)
	v_cndmask_b32_e32 v6, 0, v9, vcc_lo
	v_and_b32_e32 v42, 0xffff, v9
	v_add_nc_u32_e32 v33, v35, v60
	s_delay_alu instid0(VALU_DEP_3) | instskip(NEXT) | instid1(VALU_DEP_2)
	v_add_nc_u16 v13, v6, v74
	v_add_nc_u32_e32 v21, v33, v59
	s_delay_alu instid0(VALU_DEP_2) | instskip(SKIP_1) | instid1(VALU_DEP_3)
	v_cndmask_b32_e64 v6, 0, v13, s13
	v_and_b32_e32 v38, 0xffff, v13
	v_add_nc_u32_e32 v19, v21, v58
	s_delay_alu instid0(VALU_DEP_3) | instskip(NEXT) | instid1(VALU_DEP_2)
	v_add_nc_u16 v14, v6, v73
	v_add_nc_u32_e32 v17, v19, v57
	s_delay_alu instid0(VALU_DEP_2) | instskip(SKIP_1) | instid1(VALU_DEP_3)
	v_cndmask_b32_e64 v6, 0, v14, s12
	;; [unrolled: 7-line block ×4, first 2 shown]
	v_and_b32_e32 v22, 0xffff, v16
	v_add_nc_u32_e32 v25, v29, v50
	s_delay_alu instid0(VALU_DEP_3) | instskip(NEXT) | instid1(VALU_DEP_2)
	v_add_nc_u16 v18, v6, v72
	v_add_nc_u32_e32 v27, v25, v49
	s_delay_alu instid0(VALU_DEP_2) | instskip(NEXT) | instid1(VALU_DEP_2)
	v_cndmask_b32_e64 v6, 0, v18, s9
	v_add_nc_u32_e32 v23, v27, v48
	s_delay_alu instid0(VALU_DEP_2) | instskip(NEXT) | instid1(VALU_DEP_2)
	v_add_nc_u16 v24, v6, v69
	v_add_nc_u32_e32 v15, v23, v47
	s_delay_alu instid0(VALU_DEP_2) | instskip(NEXT) | instid1(VALU_DEP_1)
	v_cndmask_b32_e64 v5, 0, v24, s8
	v_add_nc_u16 v26, v5, v70
	s_delay_alu instid0(VALU_DEP_1) | instskip(SKIP_1) | instid1(VALU_DEP_2)
	v_cndmask_b32_e64 v5, 0, v26, s7
	v_and_b32_e32 v40, 0xffff, v26
	v_add_nc_u16 v28, v5, v67
	s_delay_alu instid0(VALU_DEP_1) | instskip(SKIP_1) | instid1(VALU_DEP_2)
	v_cndmask_b32_e64 v5, 0, v28, s6
	v_and_b32_e32 v44, 0xffff, v28
	;; [unrolled: 4-line block ×3, first 2 shown]
	v_add_nc_u16 v62, v5, v66
	ds_load_b128 v[5:8], v7 offset:1024
	v_cndmask_b32_e64 v20, 0, v62, s4
	v_and_b32_e32 v30, 0xffff, v62
	s_delay_alu instid0(VALU_DEP_2) | instskip(NEXT) | instid1(VALU_DEP_1)
	v_add_nc_u16 v81, v20, v65
	v_cndmask_b32_e64 v20, 0, v81, s3
	v_and_b32_e32 v26, 0xffff, v81
	s_delay_alu instid0(VALU_DEP_2) | instskip(SKIP_2) | instid1(VALU_DEP_2)
	v_add_nc_u16 v82, v20, v64
	s_waitcnt lgkmcnt(0)
	v_cmp_eq_u32_e32 vcc_lo, 0, v5
	v_cndmask_b32_e64 v20, 0, v82, s1
	v_cndmask_b32_e32 v8, 0, v8, vcc_lo
	v_and_b32_e32 v28, 0xffff, v82
	s_delay_alu instid0(VALU_DEP_3) | instskip(SKIP_3) | instid1(VALU_DEP_4)
	v_add_nc_u16 v9, v20, v46
	v_and_b32_e32 v20, 0xffff, v18
	v_and_b32_e32 v18, 0xffff, v24
	v_add_nc_u32_e32 v62, v8, v6
	v_cndmask_b32_e64 v13, 0, v9, s0
	v_and_b32_e32 v24, 0xffff, v9
	s_delay_alu instid0(VALU_DEP_2) | instskip(NEXT) | instid1(VALU_DEP_1)
	v_add_nc_u16 v13, v13, v45
	v_and_b32_e32 v16, 0xffff, v13
	s_branch .LBB639_132
.LBB639_120:
                                        ; implicit-def: $vgpr5
                                        ; implicit-def: $vgpr62
                                        ; implicit-def: $vgpr41_vgpr42
                                        ; implicit-def: $vgpr37_vgpr38
                                        ; implicit-def: $vgpr35_vgpr36
                                        ; implicit-def: $vgpr33_vgpr34
                                        ; implicit-def: $vgpr21_vgpr22
                                        ; implicit-def: $vgpr19_vgpr20
                                        ; implicit-def: $vgpr17_vgpr18
                                        ; implicit-def: $vgpr39_vgpr40
                                        ; implicit-def: $vgpr43_vgpr44
                                        ; implicit-def: $vgpr31_vgpr32
                                        ; implicit-def: $vgpr29_vgpr30
                                        ; implicit-def: $vgpr25_vgpr26
                                        ; implicit-def: $vgpr27_vgpr28
                                        ; implicit-def: $vgpr23_vgpr24
                                        ; implicit-def: $vgpr15_vgpr16
	s_cbranch_execz .LBB639_132
; %bb.121:
	s_and_b32 s0, s16, exec_lo
	v_mov_b32_e32 v6, v74
	s_cselect_b32 s1, 0, s35
	s_cselect_b32 s0, 0, s34
	s_delay_alu instid0(SALU_CYCLE_1)
	s_cmp_eq_u64 s[0:1], 0
	s_cbranch_scc1 .LBB639_123
; %bb.122:
	v_mov_b32_e32 v5, 0
	global_load_u16 v6, v5, s[0:1]
.LBB639_123:
	v_cmp_eq_u32_e64 s12, 0, v61
	v_cmp_eq_u32_e64 s11, 0, v60
	;; [unrolled: 1-line block ×5, first 2 shown]
	v_cndmask_b32_e64 v5, 0, v74, s12
	v_cmp_eq_u32_e64 s8, 0, v56
	v_cmp_eq_u32_e64 s6, 0, v55
	;; [unrolled: 1-line block ×4, first 2 shown]
	v_add_nc_u16 v5, v5, v73
	v_cmp_eq_u32_e64 s3, 0, v50
	v_cmp_eq_u32_e64 s1, 0, v49
	;; [unrolled: 1-line block ×3, first 2 shown]
	v_cmp_eq_u32_e32 vcc_lo, 0, v47
	v_cndmask_b32_e64 v5, 0, v5, s11
	v_add3_u32 v7, v80, v57, v56
	v_cmp_eq_u32_e64 s13, 0, v54
	v_and_b32_e32 v13, 15, v77
	s_delay_alu instid0(VALU_DEP_4) | instskip(NEXT) | instid1(VALU_DEP_4)
	v_add_nc_u16 v5, v5, v75
	v_add3_u32 v7, v7, v55, v53
	s_delay_alu instid0(VALU_DEP_2) | instskip(NEXT) | instid1(VALU_DEP_2)
	v_cndmask_b32_e64 v5, 0, v5, s10
	v_add3_u32 v7, v7, v51, v50
	s_delay_alu instid0(VALU_DEP_2) | instskip(NEXT) | instid1(VALU_DEP_2)
	v_add_nc_u16 v5, v5, v71
	v_add3_u32 v7, v7, v49, v48
	s_delay_alu instid0(VALU_DEP_2) | instskip(NEXT) | instid1(VALU_DEP_2)
	v_cndmask_b32_e64 v5, 0, v5, s9
	v_add3_u32 v7, v7, v47, v54
	s_delay_alu instid0(VALU_DEP_2) | instskip(NEXT) | instid1(VALU_DEP_2)
	v_add_nc_u16 v5, v5, v72
	v_mov_b32_dpp v14, v7 row_shr:1 row_mask:0xf bank_mask:0xf
	s_delay_alu instid0(VALU_DEP_2) | instskip(NEXT) | instid1(VALU_DEP_1)
	v_cndmask_b32_e64 v5, 0, v5, s7
	v_add_nc_u16 v5, v5, v69
	s_delay_alu instid0(VALU_DEP_1) | instskip(NEXT) | instid1(VALU_DEP_1)
	v_cndmask_b32_e64 v5, 0, v5, s8
	v_add_nc_u16 v5, v5, v70
	s_delay_alu instid0(VALU_DEP_1) | instskip(NEXT) | instid1(VALU_DEP_1)
	;; [unrolled: 3-line block ×8, first 2 shown]
	v_cndmask_b32_e32 v5, 0, v5, vcc_lo
	v_add_nc_u16 v5, v5, v45
	s_delay_alu instid0(VALU_DEP_1) | instskip(SKIP_1) | instid1(VALU_DEP_2)
	v_cndmask_b32_e64 v5, 0, v5, s13
	v_cmp_eq_u32_e64 s13, 0, v7
	v_add_nc_u16 v5, v5, v76
	s_delay_alu instid0(VALU_DEP_1) | instskip(NEXT) | instid1(VALU_DEP_1)
	v_and_b32_e32 v8, 0xffff, v5
	v_mov_b32_dpp v9, v8 row_shr:1 row_mask:0xf bank_mask:0xf
	s_delay_alu instid0(VALU_DEP_1) | instskip(SKIP_1) | instid1(VALU_DEP_2)
	v_cndmask_b32_e64 v9, 0, v9, s13
	v_cmp_eq_u32_e64 s13, 0, v13
	v_add_nc_u16 v9, v9, v5
	s_delay_alu instid0(VALU_DEP_2) | instskip(NEXT) | instid1(VALU_DEP_2)
	v_cndmask_b32_e64 v14, v14, 0, s13
	v_and_b32_e32 v15, 0xffff, v9
	s_delay_alu instid0(VALU_DEP_2) | instskip(SKIP_1) | instid1(VALU_DEP_3)
	v_add_nc_u32_e32 v7, v14, v7
	v_cndmask_b32_e64 v5, v9, v5, s13
	v_cndmask_b32_e64 v8, v15, v8, s13
	s_delay_alu instid0(VALU_DEP_3) | instskip(NEXT) | instid1(VALU_DEP_2)
	v_cmp_eq_u32_e64 s13, 0, v7
	v_mov_b32_dpp v14, v8 row_shr:2 row_mask:0xf bank_mask:0xf
	s_delay_alu instid0(VALU_DEP_1) | instskip(SKIP_2) | instid1(VALU_DEP_3)
	v_cndmask_b32_e64 v9, 0, v14, s13
	v_mov_b32_dpp v14, v7 row_shr:2 row_mask:0xf bank_mask:0xf
	v_cmp_lt_u32_e64 s13, 1, v13
	v_add_nc_u16 v9, v9, v5
	s_delay_alu instid0(VALU_DEP_1) | instskip(NEXT) | instid1(VALU_DEP_3)
	v_and_b32_e32 v15, 0xffff, v9
	v_cndmask_b32_e64 v5, v5, v9, s13
	v_cndmask_b32_e64 v9, 0, v14, s13
	s_delay_alu instid0(VALU_DEP_3) | instskip(NEXT) | instid1(VALU_DEP_2)
	v_cndmask_b32_e64 v8, v8, v15, s13
	v_add_nc_u32_e32 v7, v7, v9
	s_delay_alu instid0(VALU_DEP_2) | instskip(NEXT) | instid1(VALU_DEP_2)
	v_mov_b32_dpp v9, v8 row_shr:4 row_mask:0xf bank_mask:0xf
	v_cmp_eq_u32_e64 s13, 0, v7
	v_mov_b32_dpp v14, v7 row_shr:4 row_mask:0xf bank_mask:0xf
	s_delay_alu instid0(VALU_DEP_2) | instskip(SKIP_1) | instid1(VALU_DEP_2)
	v_cndmask_b32_e64 v9, 0, v9, s13
	v_cmp_lt_u32_e64 s13, 3, v13
	v_add_nc_u16 v9, v9, v5
	s_delay_alu instid0(VALU_DEP_1) | instskip(NEXT) | instid1(VALU_DEP_3)
	v_and_b32_e32 v15, 0xffff, v9
	v_cndmask_b32_e64 v5, v5, v9, s13
	v_cndmask_b32_e64 v9, 0, v14, s13
	s_delay_alu instid0(VALU_DEP_3) | instskip(NEXT) | instid1(VALU_DEP_2)
	v_cndmask_b32_e64 v8, v8, v15, s13
	v_add_nc_u32_e32 v7, v9, v7
	s_delay_alu instid0(VALU_DEP_2) | instskip(NEXT) | instid1(VALU_DEP_2)
	v_mov_b32_dpp v9, v8 row_shr:8 row_mask:0xf bank_mask:0xf
	v_cmp_eq_u32_e64 s13, 0, v7
	v_mov_b32_dpp v14, v7 row_shr:8 row_mask:0xf bank_mask:0xf
	s_delay_alu instid0(VALU_DEP_2) | instskip(SKIP_1) | instid1(VALU_DEP_2)
	v_cndmask_b32_e64 v9, 0, v9, s13
	v_cmp_lt_u32_e64 s13, 7, v13
	v_add_nc_u16 v9, v9, v5
	s_delay_alu instid0(VALU_DEP_1) | instskip(SKIP_3) | instid1(VALU_DEP_3)
	v_cndmask_b32_e64 v13, v5, v9, s13
	v_cndmask_b32_e64 v5, 0, v14, s13
	v_and_b32_e32 v9, 0xffff, v9
	v_bfe_i32 v14, v77, 4, 1
	v_add_nc_u32_e32 v5, v5, v7
	s_delay_alu instid0(VALU_DEP_3)
	v_cndmask_b32_e64 v7, v8, v9, s13
	v_and_b32_e32 v9, 16, v77
	ds_swizzle_b32 v8, v5 offset:swizzle(BROADCAST,32,15)
	ds_swizzle_b32 v7, v7 offset:swizzle(BROADCAST,32,15)
	v_cmp_ne_u32_e64 s13, 0, v9
	v_cmp_eq_u32_e64 s14, 0, v5
	s_delay_alu instid0(VALU_DEP_1)
	s_and_b32 s13, s13, s14
	s_mov_b32 s14, exec_lo
	s_waitcnt lgkmcnt(1)
	v_and_b32_e32 v8, v14, v8
	s_waitcnt lgkmcnt(0)
	v_cndmask_b32_e64 v7, 0, v7, s13
	s_delay_alu instid0(VALU_DEP_2) | instskip(NEXT) | instid1(VALU_DEP_2)
	v_add_nc_u32_e32 v5, v8, v5
	v_add_nc_u16 v7, v7, v13
	v_cmpx_eq_u32_e64 v79, v0
	s_cbranch_execz .LBB639_125
; %bb.124:
	v_lshlrev_b32_e32 v8, 3, v78
	ds_store_b32 v8, v5 offset:1040
	ds_store_b16 v8, v7 offset:1044
.LBB639_125:
	s_or_b32 exec_lo, exec_lo, s14
	s_delay_alu instid0(SALU_CYCLE_1)
	s_mov_b32 s15, exec_lo
	s_waitcnt vmcnt(0) lgkmcnt(0)
	s_barrier
	buffer_gl0_inv
	v_cmpx_gt_u32_e32 8, v0
	s_cbranch_execz .LBB639_127
; %bb.126:
	v_lshlrev_b32_e32 v13, 3, v0
	v_and_b32_e32 v17, 7, v77
	ds_load_b64 v[8:9], v13 offset:1040
	v_cmp_lt_u32_e64 s14, 3, v17
	s_waitcnt lgkmcnt(0)
	v_mov_b32_dpp v14, v9 row_shr:1 row_mask:0xf bank_mask:0xf
	v_cmp_eq_u32_e64 s13, 0, v8
	v_and_b32_e32 v15, 0xffff0000, v9
	v_mov_b32_dpp v18, v8 row_shr:1 row_mask:0xf bank_mask:0xf
	s_delay_alu instid0(VALU_DEP_3) | instskip(SKIP_1) | instid1(VALU_DEP_2)
	v_cndmask_b32_e64 v14, 0, v14, s13
	v_cmp_eq_u32_e64 s13, 0, v17
	v_add_nc_u16 v14, v14, v9
	s_delay_alu instid0(VALU_DEP_2) | instskip(NEXT) | instid1(VALU_DEP_2)
	v_cndmask_b32_e64 v18, v18, 0, s13
	v_and_b32_e32 v16, 0xffff, v14
	s_delay_alu instid0(VALU_DEP_2) | instskip(NEXT) | instid1(VALU_DEP_2)
	v_add_nc_u32_e32 v8, v18, v8
	v_or_b32_e32 v16, v15, v16
	s_delay_alu instid0(VALU_DEP_1) | instskip(SKIP_1) | instid1(VALU_DEP_4)
	v_cndmask_b32_e64 v16, v16, v9, s13
	v_cndmask_b32_e64 v9, v14, v9, s13
	v_cmp_eq_u32_e64 s13, 0, v8
	s_delay_alu instid0(VALU_DEP_3) | instskip(NEXT) | instid1(VALU_DEP_1)
	v_mov_b32_dpp v18, v16 row_shr:2 row_mask:0xf bank_mask:0xf
	v_cndmask_b32_e64 v14, 0, v18, s13
	v_mov_b32_dpp v18, v8 row_shr:2 row_mask:0xf bank_mask:0xf
	v_cmp_lt_u32_e64 s13, 1, v17
	s_delay_alu instid0(VALU_DEP_3) | instskip(NEXT) | instid1(VALU_DEP_1)
	v_add_nc_u16 v14, v14, v9
	v_and_b32_e32 v19, 0xffff, v14
	s_delay_alu instid0(VALU_DEP_3) | instskip(SKIP_1) | instid1(VALU_DEP_3)
	v_cndmask_b32_e64 v9, v9, v14, s13
	v_cndmask_b32_e64 v14, 0, v18, s13
	v_or_b32_e32 v15, v15, v19
	s_delay_alu instid0(VALU_DEP_2) | instskip(NEXT) | instid1(VALU_DEP_2)
	v_add_nc_u32_e32 v8, v14, v8
	v_cndmask_b32_e64 v14, v16, v15, s13
	s_delay_alu instid0(VALU_DEP_2) | instskip(SKIP_1) | instid1(VALU_DEP_3)
	v_cmp_eq_u32_e64 s13, 0, v8
	v_mov_b32_dpp v15, v8 row_shr:4 row_mask:0xf bank_mask:0xf
	v_mov_b32_dpp v14, v14 row_shr:4 row_mask:0xf bank_mask:0xf
	s_delay_alu instid0(VALU_DEP_3) | instskip(NEXT) | instid1(VALU_DEP_2)
	s_and_b32 s13, s14, s13
	v_cndmask_b32_e64 v15, 0, v15, s14
	s_delay_alu instid0(VALU_DEP_2) | instskip(NEXT) | instid1(VALU_DEP_2)
	v_cndmask_b32_e64 v14, 0, v14, s13
	v_add_nc_u32_e32 v8, v15, v8
	s_delay_alu instid0(VALU_DEP_2)
	v_add_nc_u16 v9, v9, v14
	ds_store_b32 v13, v8 offset:1040
	ds_store_b16 v13, v9 offset:1044
.LBB639_127:
	s_or_b32 exec_lo, exec_lo, s15
	v_dual_mov_b32 v8, 0 :: v_dual_mov_b32 v9, 0
	v_mov_b32_e32 v13, v6
	s_mov_b32 s14, exec_lo
	s_waitcnt lgkmcnt(0)
	s_barrier
	buffer_gl0_inv
	v_cmpx_lt_u32_e32 31, v0
	s_cbranch_execz .LBB639_129
; %bb.128:
	v_lshlrev_b32_e32 v13, 3, v78
	ds_load_b32 v9, v13 offset:1032
	ds_load_u16 v13, v13 offset:1036
	s_waitcnt lgkmcnt(1)
	v_cmp_eq_u32_e64 s13, 0, v9
	s_delay_alu instid0(VALU_DEP_1) | instskip(SKIP_1) | instid1(VALU_DEP_1)
	v_cndmask_b32_e64 v14, 0, v6, s13
	s_waitcnt lgkmcnt(0)
	v_add_nc_u16 v13, v14, v13
.LBB639_129:
	s_or_b32 exec_lo, exec_lo, s14
	v_add_nc_u32_e32 v14, -1, v77
	v_cmp_eq_u32_e64 s13, 0, v5
	v_add_nc_u32_e32 v5, v9, v5
	s_delay_alu instid0(VALU_DEP_2) | instskip(NEXT) | instid1(VALU_DEP_4)
	v_cndmask_b32_e64 v15, 0, v13, s13
	v_cmp_gt_i32_e64 s13, 0, v14
	s_delay_alu instid0(VALU_DEP_2) | instskip(NEXT) | instid1(VALU_DEP_2)
	v_add_nc_u16 v7, v15, v7
	v_cndmask_b32_e64 v14, v14, v77, s13
	v_cmp_eq_u32_e64 s13, 0, v77
	s_delay_alu instid0(VALU_DEP_3) | instskip(NEXT) | instid1(VALU_DEP_3)
	v_and_b32_e32 v7, 0xffff, v7
	v_lshlrev_b32_e32 v14, 2, v14
	ds_bpermute_b32 v7, v14, v7
	ds_bpermute_b32 v5, v14, v5
	s_waitcnt lgkmcnt(1)
	v_cndmask_b32_e64 v7, v7, v13, s13
	s_waitcnt lgkmcnt(0)
	v_cndmask_b32_e64 v5, v5, v9, s13
	v_cmp_eq_u32_e64 s13, 0, v63
	s_delay_alu instid0(VALU_DEP_3) | instskip(NEXT) | instid1(VALU_DEP_3)
	v_cndmask_b32_e64 v7, v7, v6, s2
	v_cndmask_b32_e64 v41, v5, 0, s2
	s_delay_alu instid0(VALU_DEP_2) | instskip(NEXT) | instid1(VALU_DEP_2)
	v_cndmask_b32_e64 v9, 0, v7, s13
	v_add_nc_u32_e32 v37, v41, v63
	v_and_b32_e32 v42, 0xffff, v7
	s_delay_alu instid0(VALU_DEP_3) | instskip(NEXT) | instid1(VALU_DEP_3)
	v_add_nc_u16 v9, v9, v74
	v_add_nc_u32_e32 v35, v37, v61
	s_delay_alu instid0(VALU_DEP_2) | instskip(NEXT) | instid1(VALU_DEP_2)
	v_cndmask_b32_e64 v13, 0, v9, s12
	v_add_nc_u32_e32 v33, v35, v60
	v_and_b32_e32 v38, 0xffff, v9
	s_delay_alu instid0(VALU_DEP_3) | instskip(NEXT) | instid1(VALU_DEP_3)
	v_add_nc_u16 v13, v13, v73
	v_add_nc_u32_e32 v21, v33, v59
	s_delay_alu instid0(VALU_DEP_2) | instskip(NEXT) | instid1(VALU_DEP_2)
	v_cndmask_b32_e64 v14, 0, v13, s11
	v_add_nc_u32_e32 v19, v21, v58
	v_and_b32_e32 v36, 0xffff, v13
	s_delay_alu instid0(VALU_DEP_3) | instskip(NEXT) | instid1(VALU_DEP_1)
	v_add_nc_u16 v14, v14, v75
	v_cndmask_b32_e64 v15, 0, v14, s10
	v_and_b32_e32 v34, 0xffff, v14
	s_delay_alu instid0(VALU_DEP_2) | instskip(NEXT) | instid1(VALU_DEP_1)
	v_add_nc_u16 v15, v15, v71
	v_cndmask_b32_e64 v16, 0, v15, s9
	v_and_b32_e32 v22, 0xffff, v15
	s_delay_alu instid0(VALU_DEP_2) | instskip(NEXT) | instid1(VALU_DEP_1)
	v_add_nc_u16 v16, v16, v72
	v_cndmask_b32_e64 v17, 0, v16, s7
	s_delay_alu instid0(VALU_DEP_1) | instskip(NEXT) | instid1(VALU_DEP_1)
	v_add_nc_u16 v18, v17, v69
	v_cndmask_b32_e64 v17, 0, v18, s8
	v_and_b32_e32 v18, 0xffff, v18
	s_delay_alu instid0(VALU_DEP_2) | instskip(SKIP_1) | instid1(VALU_DEP_2)
	v_add_nc_u16 v24, v17, v70
	v_add_nc_u32_e32 v17, v19, v57
	v_cndmask_b32_e64 v5, 0, v24, s6
	s_delay_alu instid0(VALU_DEP_2) | instskip(SKIP_1) | instid1(VALU_DEP_3)
	v_add_nc_u32_e32 v39, v17, v56
	v_and_b32_e32 v40, 0xffff, v24
	v_add_nc_u16 v26, v5, v67
	s_delay_alu instid0(VALU_DEP_3) | instskip(NEXT) | instid1(VALU_DEP_2)
	v_add_nc_u32_e32 v43, v39, v55
	v_cndmask_b32_e64 v5, 0, v26, s5
	s_delay_alu instid0(VALU_DEP_2) | instskip(SKIP_1) | instid1(VALU_DEP_3)
	v_add_nc_u32_e32 v31, v43, v53
	v_and_b32_e32 v44, 0xffff, v26
	v_add_nc_u16 v28, v5, v68
	s_delay_alu instid0(VALU_DEP_3) | instskip(NEXT) | instid1(VALU_DEP_2)
	v_add_nc_u32_e32 v29, v31, v51
	v_cndmask_b32_e64 v5, 0, v28, s4
	s_delay_alu instid0(VALU_DEP_2) | instskip(SKIP_1) | instid1(VALU_DEP_3)
	v_add_nc_u32_e32 v25, v29, v50
	v_and_b32_e32 v32, 0xffff, v28
	v_add_nc_u16 v30, v5, v66
	ds_load_b32 v5, v8 offset:1096
	ds_load_u16 v8, v8 offset:1100
	v_add_nc_u32_e32 v27, v25, v49
	v_cndmask_b32_e64 v20, 0, v30, s3
	v_and_b32_e32 v30, 0xffff, v30
	s_delay_alu instid0(VALU_DEP_3) | instskip(NEXT) | instid1(VALU_DEP_3)
	v_add_nc_u32_e32 v23, v27, v48
	v_add_nc_u16 v62, v20, v65
	s_delay_alu instid0(VALU_DEP_2) | instskip(NEXT) | instid1(VALU_DEP_2)
	v_add_nc_u32_e32 v15, v23, v47
	v_cndmask_b32_e64 v20, 0, v62, s1
	v_and_b32_e32 v26, 0xffff, v62
	s_delay_alu instid0(VALU_DEP_2) | instskip(SKIP_3) | instid1(VALU_DEP_3)
	v_add_nc_u16 v64, v20, v64
	s_waitcnt lgkmcnt(1)
	v_cmp_eq_u32_e64 s1, 0, v5
	v_and_b32_e32 v20, 0xffff, v16
	v_cndmask_b32_e64 v7, 0, v64, s0
	s_delay_alu instid0(VALU_DEP_3) | instskip(SKIP_1) | instid1(VALU_DEP_3)
	v_cndmask_b32_e64 v6, 0, v6, s1
	v_and_b32_e32 v28, 0xffff, v64
	v_add_nc_u16 v7, v7, v46
	s_waitcnt lgkmcnt(0)
	s_delay_alu instid0(VALU_DEP_3) | instskip(NEXT) | instid1(VALU_DEP_2)
	v_add_nc_u16 v62, v6, v8
	v_cndmask_b32_e32 v9, 0, v7, vcc_lo
	v_and_b32_e32 v24, 0xffff, v7
	s_delay_alu instid0(VALU_DEP_2) | instskip(NEXT) | instid1(VALU_DEP_1)
	v_add_nc_u16 v9, v9, v45
	v_and_b32_e32 v16, 0xffff, v9
	s_and_saveexec_b32 s0, s2
	s_cbranch_execz .LBB639_131
; %bb.130:
	v_and_b32_e32 v6, 0xff00, v62
	v_dual_mov_b32 v8, 0 :: v_dual_and_b32 v7, 0xff, v62
	s_add_u32 s4, s20, 0x200
	s_addc_u32 s5, s21, 0
	s_delay_alu instid0(VALU_DEP_1)
	v_or_b32_e32 v6, v6, v7
	v_dual_mov_b32 v7, 2 :: v_dual_mov_b32 v14, s5
	v_mov_b32_e32 v13, s4
	;;#ASMSTART
	global_store_dwordx4 v[13:14], v[5:8] off	
s_waitcnt vmcnt(0)
	;;#ASMEND
.LBB639_131:
	s_or_b32 exec_lo, exec_lo, s0
	v_mov_b32_e32 v7, 0
.LBB639_132:
	v_mov_b32_e32 v13, 0
	s_and_b32 s0, s16, exec_lo
	v_mov_b32_e32 v14, 0
	s_cselect_b32 s1, 0, s39
	s_cselect_b32 s0, 0, s38
	s_delay_alu instid0(SALU_CYCLE_1)
	s_cmp_eq_u64 s[0:1], 0
	s_barrier
	buffer_gl0_inv
	s_cbranch_scc1 .LBB639_134
; %bb.133:
	v_mov_b32_e32 v6, 0
	global_load_b64 v[13:14], v6, s[0:1]
.LBB639_134:
	v_cmp_eq_u32_e32 vcc_lo, 0, v63
	s_waitcnt vmcnt(0)
	v_lshlrev_b64 v[45:46], 1, v[13:14]
	v_cmp_ne_u32_e64 s15, 0, v63
	v_cmp_ne_u32_e64 s14, 0, v61
	;; [unrolled: 1-line block ×3, first 2 shown]
	v_cndmask_b32_e64 v6, 1, 2, vcc_lo
	v_cmp_eq_u32_e32 vcc_lo, 0, v61
	v_cmp_ne_u32_e64 s12, 0, v59
	v_cmp_ne_u32_e64 s11, 0, v58
	;; [unrolled: 1-line block ×4, first 2 shown]
	v_cndmask_b32_e64 v8, 1, 2, vcc_lo
	v_cmp_eq_u32_e32 vcc_lo, 0, v60
	v_cmp_ne_u32_e64 s6, 0, v55
	v_cmp_ne_u32_e64 s9, 0, v53
	;; [unrolled: 1-line block ×3, first 2 shown]
	v_and_b32_e32 v6, v8, v6
	v_cndmask_b32_e64 v9, 1, 2, vcc_lo
	v_cmp_eq_u32_e32 vcc_lo, 0, v59
	v_cmp_ne_u32_e64 s5, 0, v50
	v_cmp_ne_u32_e64 s4, 0, v49
	;; [unrolled: 1-line block ×3, first 2 shown]
	v_and_b32_e32 v6, v6, v9
	v_cndmask_b32_e64 v8, 1, 2, vcc_lo
	v_cmp_eq_u32_e32 vcc_lo, 0, v58
	v_cmp_ne_u32_e64 s1, 0, v47
	v_cmp_ne_u32_e64 s0, 0, v54
	s_mov_b32 s17, -1
	v_and_b32_e32 v6, v6, v8
	v_cndmask_b32_e64 v9, 1, 2, vcc_lo
	v_cmp_eq_u32_e32 vcc_lo, 0, v57
	s_delay_alu instid0(VALU_DEP_2) | instskip(SKIP_2) | instid1(VALU_DEP_2)
	v_and_b32_e32 v6, v6, v9
	v_cndmask_b32_e64 v8, 1, 2, vcc_lo
	v_cmp_eq_u32_e32 vcc_lo, 0, v56
	v_and_b32_e32 v6, v6, v8
	v_cndmask_b32_e64 v9, 1, 2, vcc_lo
	v_cmp_eq_u32_e32 vcc_lo, 0, v55
	s_delay_alu instid0(VALU_DEP_2) | instskip(SKIP_2) | instid1(VALU_DEP_2)
	v_and_b32_e32 v6, v6, v9
	v_cndmask_b32_e64 v64, 1, 2, vcc_lo
	v_cmp_eq_u32_e32 vcc_lo, 0, v53
	;; [unrolled: 7-line block ×4, first 2 shown]
	v_and_b32_e32 v6, v6, v64
	v_cndmask_b32_e64 v65, 1, 2, vcc_lo
	v_mov_b32_e32 v8, 0
	v_cmp_eq_u32_e32 vcc_lo, 0, v47
	s_delay_alu instid0(VALU_DEP_3) | instskip(NEXT) | instid1(VALU_DEP_3)
	v_and_b32_e32 v65, v6, v65
	v_lshlrev_b64 v[8:9], 1, v[7:8]
	v_cndmask_b32_e64 v66, 1, 2, vcc_lo
	v_add_co_u32 v64, vcc_lo, s18, v45
	v_add_co_ci_u32_e32 v67, vcc_lo, s19, v46, vcc_lo
	s_delay_alu instid0(VALU_DEP_3) | instskip(NEXT) | instid1(VALU_DEP_3)
	v_and_b32_e32 v65, v65, v66
	v_add_co_u32 v6, vcc_lo, v64, v8
	s_delay_alu instid0(VALU_DEP_3) | instskip(SKIP_3) | instid1(VALU_DEP_2)
	v_add_co_ci_u32_e32 v64, vcc_lo, v67, v9, vcc_lo
	v_cmp_eq_u32_e32 vcc_lo, 0, v54
	v_cndmask_b32_e64 v66, 1, 2, vcc_lo
	v_cmp_gt_u32_e32 vcc_lo, 0x100, v5
	v_and_b32_e32 v65, v65, v66
	s_delay_alu instid0(VALU_DEP_1)
	v_cmp_gt_i16_e64 s16, 2, v65
	s_cbranch_vccz .LBB639_141
; %bb.135:
	s_delay_alu instid0(VALU_DEP_1)
	s_and_saveexec_b32 s17, s16
	s_cbranch_execz .LBB639_140
; %bb.136:
	s_mov_b32 s18, 0
	s_mov_b32 s16, exec_lo
	v_cmpx_ne_u16_e32 1, v65
	s_xor_b32 s16, exec_lo, s16
	s_cbranch_execnz .LBB639_197
; %bb.137:
	s_and_not1_saveexec_b32 s16, s16
	s_cbranch_execnz .LBB639_213
.LBB639_138:
	s_or_b32 exec_lo, exec_lo, s16
	s_delay_alu instid0(SALU_CYCLE_1)
	s_and_b32 exec_lo, exec_lo, s18
	s_cbranch_execz .LBB639_140
.LBB639_139:
	v_sub_nc_u32_e32 v66, v15, v7
	v_mov_b32_e32 v67, 0
	s_delay_alu instid0(VALU_DEP_1) | instskip(NEXT) | instid1(VALU_DEP_1)
	v_lshlrev_b64 v[66:67], 1, v[66:67]
	v_add_co_u32 v66, vcc_lo, v6, v66
	s_delay_alu instid0(VALU_DEP_2)
	v_add_co_ci_u32_e32 v67, vcc_lo, v64, v67, vcc_lo
	global_store_d16_hi_b16 v[66:67], v12, off
.LBB639_140:
	s_or_b32 exec_lo, exec_lo, s17
	s_mov_b32 s17, 0
.LBB639_141:
	s_delay_alu instid0(SALU_CYCLE_1)
	s_and_b32 vcc_lo, exec_lo, s17
	s_cbranch_vccz .LBB639_163
; %bb.142:
	s_mov_b32 s16, exec_lo
	v_cmpx_gt_i16_e32 2, v65
	s_cbranch_execz .LBB639_147
; %bb.143:
	s_mov_b32 s18, 0
	s_mov_b32 s17, exec_lo
	v_cmpx_ne_u16_e32 1, v65
	s_xor_b32 s17, exec_lo, s17
	s_cbranch_execnz .LBB639_214
; %bb.144:
	s_and_not1_saveexec_b32 s0, s17
	s_cbranch_execnz .LBB639_230
.LBB639_145:
	s_or_b32 exec_lo, exec_lo, s0
	s_delay_alu instid0(SALU_CYCLE_1)
	s_and_b32 exec_lo, exec_lo, s18
	s_cbranch_execz .LBB639_147
.LBB639_146:
	v_sub_nc_u32_e32 v1, v15, v7
	s_delay_alu instid0(VALU_DEP_1)
	v_lshlrev_b32_e32 v1, 1, v1
	ds_store_b16_d16_hi v1, v12
.LBB639_147:
	s_or_b32 exec_lo, exec_lo, s16
	s_delay_alu instid0(SALU_CYCLE_1)
	s_mov_b32 s1, exec_lo
	s_waitcnt lgkmcnt(0)
	s_waitcnt_vscnt null, 0x0
	s_barrier
	buffer_gl0_inv
	v_cmpx_lt_u32_e64 v0, v5
	s_cbranch_execz .LBB639_162
; %bb.148:
	v_xad_u32 v2, v0, -1, v5
	v_mov_b32_e32 v1, v0
	s_mov_b32 s0, -1
	s_mov_b32 s4, exec_lo
	s_delay_alu instid0(VALU_DEP_2)
	v_cmp_gt_u32_e64 s3, 0x1900, v2
	v_cmpx_lt_u32_e32 0x18ff, v2
	s_cbranch_execz .LBB639_159
; %bb.149:
	v_sub_nc_u32_e32 v1, v0, v5
	s_delay_alu instid0(VALU_DEP_1) | instskip(NEXT) | instid1(VALU_DEP_1)
	v_or_b32_e32 v1, 0xff, v1
	v_cmp_ge_u32_e32 vcc_lo, v1, v0
	v_mov_b32_e32 v1, v0
	s_and_saveexec_b32 s5, vcc_lo
	s_cbranch_execz .LBB639_158
; %bb.150:
	v_lshrrev_b32_e32 v4, 8, v2
	v_or_b32_e32 v1, 0x100, v0
	v_mov_b32_e32 v66, 0
	s_delay_alu instid0(VALU_DEP_3) | instskip(NEXT) | instid1(VALU_DEP_1)
	v_add_nc_u32_e32 v2, -1, v4
	v_lshrrev_b32_e32 v3, 1, v2
	v_cmp_lt_u32_e32 vcc_lo, 13, v2
	s_delay_alu instid0(VALU_DEP_2)
	v_dual_mov_b32 v3, v1 :: v_dual_add_nc_u32 v12, 1, v3
	v_mov_b32_e32 v2, v0
	s_and_saveexec_b32 s0, vcc_lo
	s_cbranch_execz .LBB639_154
; %bb.151:
	s_delay_alu instid0(VALU_DEP_2)
	v_dual_mov_b32 v3, v1 :: v_dual_and_b32 v52, -8, v12
	v_mov_b32_e32 v11, 0
	v_dual_mov_b32 v2, v0 :: v_dual_lshlrev_b32 v65, 1, v0
	s_mov_b32 s6, 0
	s_mov_b32 s7, 0
.LBB639_152:                            ; =>This Inner Loop Header: Depth=1
	s_delay_alu instid0(VALU_DEP_1) | instskip(SKIP_2) | instid1(VALU_DEP_3)
	v_dual_mov_b32 v10, v2 :: v_dual_add_nc_u32 v67, 0x200, v3
	v_add_nc_u32_e32 v52, -8, v52
	v_dual_mov_b32 v68, v11 :: v_dual_add_nc_u32 v69, 0x400, v3
	v_lshlrev_b64 v[81:82], 1, v[10:11]
	v_dual_mov_b32 v70, v11 :: v_dual_add_nc_u32 v71, 0x600, v3
	s_delay_alu instid0(VALU_DEP_4) | instskip(NEXT) | instid1(VALU_DEP_4)
	v_cmp_eq_u32_e32 vcc_lo, 0, v52
	v_lshlrev_b64 v[67:68], 1, v[67:68]
	v_dual_mov_b32 v72, v11 :: v_dual_add_nc_u32 v73, 0x800, v3
	s_add_i32 s7, s7, 16
	v_lshlrev_b64 v[69:70], 1, v[69:70]
	s_or_b32 s6, vcc_lo, s6
	v_add_co_u32 v81, vcc_lo, v6, v81
	v_dual_mov_b32 v74, v11 :: v_dual_add_nc_u32 v75, 0xa00, v3
	v_add_co_ci_u32_e32 v82, vcc_lo, v64, v82, vcc_lo
	v_lshlrev_b64 v[71:72], 1, v[71:72]
	v_add_co_u32 v67, vcc_lo, v6, v67
	v_dual_mov_b32 v76, v11 :: v_dual_add_nc_u32 v77, 0xc00, v3
	v_add_co_ci_u32_e32 v68, vcc_lo, v64, v68, vcc_lo
	v_lshlrev_b64 v[73:74], 1, v[73:74]
	;; [unrolled: 4-line block ×3, first 2 shown]
	v_add_co_u32 v71, vcc_lo, v6, v71
	v_mov_b32_e32 v80, v11
	v_mov_b32_e32 v10, v3
	v_add_co_ci_u32_e32 v72, vcc_lo, v64, v72, vcc_lo
	v_lshlrev_b64 v[77:78], 1, v[77:78]
	v_add_co_u32 v73, vcc_lo, v6, v73
	ds_load_u16 v1, v65
	ds_load_u16 v87, v65 offset:512
	ds_load_u16 v88, v65 offset:1024
	;; [unrolled: 1-line block ×7, first 2 shown]
	v_add_co_ci_u32_e32 v74, vcc_lo, v64, v74, vcc_lo
	ds_load_u16 v94, v65 offset:4096
	ds_load_u16 v95, v65 offset:4608
	;; [unrolled: 1-line block ×8, first 2 shown]
	v_add_nc_u32_e32 v65, 0x2000, v65
	v_lshlrev_b64 v[79:80], 1, v[79:80]
	v_add_co_u32 v75, vcc_lo, v6, v75
	v_lshlrev_b64 v[83:84], 1, v[10:11]
	v_add_nc_u32_e32 v10, 0x200, v2
	v_add_co_ci_u32_e32 v76, vcc_lo, v64, v76, vcc_lo
	v_add_co_u32 v77, vcc_lo, v6, v77
	v_add_co_ci_u32_e32 v78, vcc_lo, v64, v78, vcc_lo
	v_add_co_u32 v79, vcc_lo, v6, v79
	v_lshlrev_b64 v[85:86], 1, v[10:11]
	v_add_nc_u32_e32 v10, 0x400, v2
	v_add_co_ci_u32_e32 v80, vcc_lo, v64, v80, vcc_lo
	v_add_co_u32 v83, vcc_lo, v6, v83
	v_add_co_ci_u32_e32 v84, vcc_lo, v64, v84, vcc_lo
	s_waitcnt lgkmcnt(15)
	global_store_b16 v[81:82], v1, off
	v_lshlrev_b64 v[81:82], 1, v[10:11]
	v_add_nc_u32_e32 v10, 0x600, v2
	v_add_co_u32 v85, vcc_lo, v6, v85
	v_add_co_ci_u32_e32 v86, vcc_lo, v64, v86, vcc_lo
	s_waitcnt lgkmcnt(14)
	global_store_b16 v[83:84], v87, off
	v_lshlrev_b64 v[83:84], 1, v[10:11]
	v_add_nc_u32_e32 v10, 0x800, v2
	s_waitcnt lgkmcnt(13)
	global_store_b16 v[85:86], v88, off
	s_waitcnt lgkmcnt(12)
	global_store_b16 v[67:68], v89, off
	v_add_co_u32 v67, vcc_lo, v6, v81
	v_add_co_ci_u32_e32 v68, vcc_lo, v64, v82, vcc_lo
	v_lshlrev_b64 v[81:82], 1, v[10:11]
	v_add_nc_u32_e32 v10, 0xa00, v2
	v_add_co_u32 v83, vcc_lo, v6, v83
	v_add_co_ci_u32_e32 v84, vcc_lo, v64, v84, vcc_lo
	s_waitcnt lgkmcnt(11)
	global_store_b16 v[67:68], v90, off
	s_waitcnt lgkmcnt(10)
	global_store_b16 v[69:70], v91, off
	v_lshlrev_b64 v[67:68], 1, v[10:11]
	v_add_nc_u32_e32 v10, 0xc00, v2
	v_add_co_u32 v69, vcc_lo, v6, v81
	s_waitcnt lgkmcnt(9)
	global_store_b16 v[83:84], v92, off
	s_waitcnt lgkmcnt(8)
	global_store_b16 v[71:72], v93, off
	v_add_co_ci_u32_e32 v70, vcc_lo, v64, v82, vcc_lo
	v_lshlrev_b64 v[71:72], 1, v[10:11]
	v_add_nc_u32_e32 v10, 0xe00, v2
	v_add_co_u32 v67, vcc_lo, v6, v67
	v_add_co_ci_u32_e32 v68, vcc_lo, v64, v68, vcc_lo
	s_waitcnt lgkmcnt(7)
	global_store_b16 v[69:70], v94, off
	s_waitcnt lgkmcnt(6)
	global_store_b16 v[73:74], v95, off
	v_lshlrev_b64 v[69:70], 1, v[10:11]
	v_dual_mov_b32 v66, s7 :: v_dual_add_nc_u32 v3, 0x1000, v3
	s_waitcnt lgkmcnt(5)
	global_store_b16 v[67:68], v96, off
	v_add_co_u32 v67, vcc_lo, v6, v71
	v_add_nc_u32_e32 v2, 0x1000, v2
	v_add_co_ci_u32_e32 v68, vcc_lo, v64, v72, vcc_lo
	v_add_co_u32 v69, vcc_lo, v6, v69
	v_add_co_ci_u32_e32 v70, vcc_lo, v64, v70, vcc_lo
	s_waitcnt lgkmcnt(4)
	global_store_b16 v[75:76], v97, off
	s_waitcnt lgkmcnt(3)
	global_store_b16 v[67:68], v98, off
	;; [unrolled: 2-line block ×5, first 2 shown]
	s_and_not1_b32 exec_lo, exec_lo, s6
	s_cbranch_execnz .LBB639_152
; %bb.153:
	s_or_b32 exec_lo, exec_lo, s6
.LBB639_154:
	s_delay_alu instid0(SALU_CYCLE_1) | instskip(SKIP_3) | instid1(VALU_DEP_1)
	s_or_b32 exec_lo, exec_lo, s0
	v_and_b32_e32 v1, 7, v12
	s_mov_b32 s7, 0
	s_mov_b32 s6, exec_lo
	v_cmpx_ne_u32_e32 0, v1
	s_cbranch_execz .LBB639_157
; %bb.155:
	v_dual_mov_b32 v11, 0 :: v_dual_lshlrev_b32 v10, 1, v0
	s_delay_alu instid0(VALU_DEP_1)
	v_lshl_or_b32 v12, v66, 9, v10
	s_set_inst_prefetch_distance 0x1
	.p2align	6
.LBB639_156:                            ; =>This Inner Loop Header: Depth=1
	v_dual_mov_b32 v10, v2 :: v_dual_add_nc_u32 v1, -1, v1
	ds_load_u16 v52, v12
	ds_load_u16 v69, v12 offset:512
	v_add_nc_u32_e32 v2, 0x200, v2
	v_add_nc_u32_e32 v12, 0x400, v12
	v_lshlrev_b64 v[65:66], 1, v[10:11]
	v_dual_mov_b32 v10, v3 :: v_dual_add_nc_u32 v3, 0x200, v3
	v_cmp_eq_u32_e32 vcc_lo, 0, v1
	s_delay_alu instid0(VALU_DEP_2) | instskip(NEXT) | instid1(VALU_DEP_4)
	v_lshlrev_b64 v[67:68], 1, v[10:11]
	v_add_co_u32 v65, s0, v6, v65
	s_delay_alu instid0(VALU_DEP_1) | instskip(SKIP_1) | instid1(VALU_DEP_3)
	v_add_co_ci_u32_e64 v66, s0, v64, v66, s0
	s_or_b32 s7, vcc_lo, s7
	v_add_co_u32 v67, s0, v6, v67
	s_delay_alu instid0(VALU_DEP_1)
	v_add_co_ci_u32_e64 v68, s0, v64, v68, s0
	s_waitcnt lgkmcnt(1)
	global_store_b16 v[65:66], v52, off
	s_waitcnt lgkmcnt(0)
	global_store_b16 v[67:68], v69, off
	s_and_not1_b32 exec_lo, exec_lo, s7
	s_cbranch_execnz .LBB639_156
.LBB639_157:
	s_set_inst_prefetch_distance 0x2
	s_or_b32 exec_lo, exec_lo, s6
	v_add_nc_u32_e32 v1, 1, v4
	s_delay_alu instid0(VALU_DEP_1) | instskip(NEXT) | instid1(VALU_DEP_1)
	v_and_b32_e32 v2, 0x1fffffe, v1
	v_cmp_ne_u32_e32 vcc_lo, v1, v2
	v_lshl_or_b32 v1, v2, 8, v0
	s_or_not1_b32 s0, vcc_lo, exec_lo
.LBB639_158:
	s_or_b32 exec_lo, exec_lo, s5
	s_delay_alu instid0(SALU_CYCLE_1) | instskip(SKIP_1) | instid1(SALU_CYCLE_1)
	s_and_not1_b32 s3, s3, exec_lo
	s_and_b32 s0, s0, exec_lo
	s_or_b32 s3, s3, s0
.LBB639_159:
	s_or_b32 exec_lo, exec_lo, s4
	s_delay_alu instid0(VALU_DEP_2) | instid1(SALU_CYCLE_1)
	s_and_b32 exec_lo, exec_lo, s3
	s_cbranch_execz .LBB639_162
; %bb.160:
	v_dual_mov_b32 v2, 0 :: v_dual_lshlrev_b32 v3, 1, v1
	s_mov_b32 s3, 0
	.p2align	6
.LBB639_161:                            ; =>This Inner Loop Header: Depth=1
	ds_load_u16 v4, v3
	v_lshlrev_b64 v[10:11], 1, v[1:2]
	v_add_nc_u32_e32 v1, 0x100, v1
	v_add_nc_u32_e32 v3, 0x200, v3
	s_delay_alu instid0(VALU_DEP_2) | instskip(NEXT) | instid1(VALU_DEP_4)
	v_cmp_ge_u32_e32 vcc_lo, v1, v5
	v_add_co_u32 v10, s0, v6, v10
	s_delay_alu instid0(VALU_DEP_1)
	v_add_co_ci_u32_e64 v11, s0, v64, v11, s0
	s_or_b32 s3, vcc_lo, s3
	s_waitcnt lgkmcnt(0)
	global_store_b16 v[10:11], v4, off
	s_and_not1_b32 exec_lo, exec_lo, s3
	s_cbranch_execnz .LBB639_161
.LBB639_162:
	s_or_b32 exec_lo, exec_lo, s1
.LBB639_163:
	s_cmpk_lg_i32 s27, 0xf00
	v_cndmask_b32_e64 v2, 0, 1, s33
	s_cselect_b32 s0, -1, 0
	v_mad_i32_i24 v6, v0, -15, s27
	s_and_b32 s0, s0, s26
	s_and_b32 s1, s2, s33
	v_cndmask_b32_e64 v1, 0, 1, s0
	s_mul_hi_u32 s0, s27, 0x88888889
	v_sub_nc_u32_e32 v3, v5, v2
	s_lshr_b32 s0, s0, 3
	v_cndmask_b32_e64 v10, v63, 0, s1
	v_cmp_eq_u32_e32 vcc_lo, s0, v0
	v_cmp_ne_u32_e64 s0, 0, v6
	s_mov_b32 s16, -1
	s_waitcnt_vscnt null, 0x0
	s_barrier
	s_and_b32 vcc_lo, vcc_lo, s26
	v_add_nc_u32_e32 v4, v3, v1
	v_cndmask_b32_e64 v3, 1, v10, s0
	v_cmp_ne_u32_e64 s0, 1, v6
	buffer_gl0_inv
	v_cndmask_b32_e32 v64, v10, v3, vcc_lo
	v_cndmask_b32_e64 v11, 1, v61, s0
	v_cmp_ne_u32_e64 s0, 14, v6
	s_delay_alu instid0(VALU_DEP_2) | instskip(NEXT) | instid1(VALU_DEP_2)
	v_cndmask_b32_e32 v61, v61, v11, vcc_lo
	v_cndmask_b32_e64 v12, 1, v54, s0
	v_cmp_ne_u32_e64 s0, 2, v6
	s_delay_alu instid0(VALU_DEP_3) | instskip(NEXT) | instid1(VALU_DEP_2)
	v_cmp_ne_u32_e64 s13, 0, v61
	v_cndmask_b32_e64 v52, 1, v60, s0
	v_cmp_ne_u32_e64 s0, 3, v6
	s_delay_alu instid0(VALU_DEP_1) | instskip(SKIP_1) | instid1(VALU_DEP_2)
	v_cndmask_b32_e64 v63, 1, v59, s0
	v_cmp_ne_u32_e64 s0, 4, v6
	v_dual_cndmask_b32 v54, v54, v12 :: v_dual_cndmask_b32 v59, v59, v63
	s_delay_alu instid0(VALU_DEP_2) | instskip(SKIP_1) | instid1(VALU_DEP_3)
	v_cndmask_b32_e64 v3, 1, v58, s0
	v_cmp_ne_u32_e64 s0, 5, v6
	v_cmp_ne_u32_e64 s11, 0, v59
	s_delay_alu instid0(VALU_DEP_3) | instskip(NEXT) | instid1(VALU_DEP_3)
	v_cndmask_b32_e32 v58, v58, v3, vcc_lo
	v_cndmask_b32_e64 v10, 1, v57, s0
	v_cmp_eq_u32_e64 s0, 0, v64
	s_delay_alu instid0(VALU_DEP_2) | instskip(NEXT) | instid1(VALU_DEP_2)
	v_dual_cndmask_b32 v52, v60, v52 :: v_dual_cndmask_b32 v57, v57, v10
	v_cndmask_b32_e64 v11, 1, 2, s0
	v_cmp_eq_u32_e64 s0, 0, v61
	s_delay_alu instid0(VALU_DEP_3) | instskip(NEXT) | instid1(VALU_DEP_4)
	v_cmp_ne_u32_e64 s12, 0, v52
	v_cmp_ne_u32_e64 s9, 0, v57
	s_delay_alu instid0(VALU_DEP_3) | instskip(SKIP_1) | instid1(VALU_DEP_2)
	v_cndmask_b32_e64 v12, 1, 2, s0
	v_cmp_ne_u32_e64 s0, 6, v6
	v_and_b32_e32 v11, v12, v11
	s_delay_alu instid0(VALU_DEP_2) | instskip(SKIP_1) | instid1(VALU_DEP_1)
	v_cndmask_b32_e64 v60, 1, v56, s0
	v_cmp_eq_u32_e64 s0, 0, v52
	v_cndmask_b32_e64 v12, 1, 2, s0
	v_cmp_ne_u32_e64 s0, 7, v6
	s_delay_alu instid0(VALU_DEP_2) | instskip(NEXT) | instid1(VALU_DEP_2)
	v_and_b32_e32 v11, v11, v12
	v_cndmask_b32_e64 v63, 1, v55, s0
	v_cmp_ne_u32_e64 s0, 8, v6
	v_cndmask_b32_e32 v56, v56, v60, vcc_lo
	v_cmp_ne_u32_e64 s14, 0, v64
	s_delay_alu instid0(VALU_DEP_4) | instskip(NEXT) | instid1(VALU_DEP_4)
	v_cndmask_b32_e32 v55, v55, v63, vcc_lo
	v_cndmask_b32_e64 v65, 1, v53, s0
	v_cmp_eq_u32_e64 s0, 0, v59
	v_cmp_ne_u32_e64 s8, 0, v56
	s_delay_alu instid0(VALU_DEP_4) | instskip(NEXT) | instid1(VALU_DEP_4)
	v_cmp_ne_u32_e64 s7, 0, v55
	v_cndmask_b32_e32 v53, v53, v65, vcc_lo
	s_delay_alu instid0(VALU_DEP_4) | instskip(SKIP_1) | instid1(VALU_DEP_3)
	v_cndmask_b32_e64 v12, 1, 2, s0
	v_cmp_ne_u32_e64 s0, 9, v6
	v_cmp_ne_u32_e64 s6, 0, v53
	s_delay_alu instid0(VALU_DEP_3) | instskip(NEXT) | instid1(VALU_DEP_3)
	v_and_b32_e32 v10, v11, v12
	v_cndmask_b32_e64 v3, 1, v51, s0
	v_cmp_eq_u32_e64 s0, 0, v58
	s_delay_alu instid0(VALU_DEP_2) | instskip(NEXT) | instid1(VALU_DEP_2)
	v_cndmask_b32_e32 v51, v51, v3, vcc_lo
	v_cndmask_b32_e64 v11, 1, 2, s0
	v_cmp_ne_u32_e64 s0, 10, v6
	s_delay_alu instid0(VALU_DEP_3) | instskip(NEXT) | instid1(VALU_DEP_3)
	v_cmp_ne_u32_e64 s5, 0, v51
	v_and_b32_e32 v10, v10, v11
	s_delay_alu instid0(VALU_DEP_3) | instskip(SKIP_1) | instid1(VALU_DEP_2)
	v_cndmask_b32_e64 v12, 1, v50, s0
	v_cmp_ne_u32_e64 s0, 12, v6
	v_cndmask_b32_e32 v50, v50, v12, vcc_lo
	s_delay_alu instid0(VALU_DEP_2) | instskip(SKIP_1) | instid1(VALU_DEP_3)
	v_cndmask_b32_e64 v66, 1, v48, s0
	v_cmp_eq_u32_e64 s0, 0, v57
	v_cmp_ne_u32_e64 s4, 0, v50
	s_delay_alu instid0(VALU_DEP_3) | instskip(NEXT) | instid1(VALU_DEP_3)
	v_cndmask_b32_e32 v48, v48, v66, vcc_lo
	v_cndmask_b32_e64 v11, 1, 2, s0
	v_cmp_ne_u32_e64 s0, 13, v6
	s_delay_alu instid0(VALU_DEP_3) | instskip(NEXT) | instid1(VALU_DEP_3)
	v_cmp_ne_u32_e64 s2, 0, v48
	v_and_b32_e32 v10, v10, v11
	s_delay_alu instid0(VALU_DEP_3) | instskip(SKIP_1) | instid1(VALU_DEP_2)
	v_cndmask_b32_e64 v60, 1, v47, s0
	v_cmp_eq_u32_e64 s0, 0, v56
	v_cndmask_b32_e32 v47, v47, v60, vcc_lo
	s_delay_alu instid0(VALU_DEP_2) | instskip(SKIP_2) | instid1(VALU_DEP_4)
	v_cndmask_b32_e64 v11, 1, 2, s0
	v_cmp_ne_u32_e64 s0, 11, v6
	v_cmp_ne_u32_e64 s10, 0, v58
	;; [unrolled: 1-line block ×3, first 2 shown]
	s_delay_alu instid0(VALU_DEP_4) | instskip(NEXT) | instid1(VALU_DEP_4)
	v_and_b32_e32 v10, v10, v11
	v_cndmask_b32_e64 v6, 1, v49, s0
	v_cmp_eq_u32_e64 s0, 0, v55
	s_delay_alu instid0(VALU_DEP_2) | instskip(NEXT) | instid1(VALU_DEP_2)
	v_cndmask_b32_e32 v49, v49, v6, vcc_lo
	v_cndmask_b32_e64 v11, 1, 2, s0
	v_cmp_eq_u32_e32 vcc_lo, 0, v53
	v_cmp_ne_u32_e64 s0, 0, v54
	s_delay_alu instid0(VALU_DEP_4) | instskip(NEXT) | instid1(VALU_DEP_4)
	v_cmp_ne_u32_e64 s3, 0, v49
	v_and_b32_e32 v3, v10, v11
	v_cndmask_b32_e64 v6, 1, 2, vcc_lo
	v_add_co_u32 v10, vcc_lo, s28, v45
	v_add_co_ci_u32_e32 v11, vcc_lo, s29, v46, vcc_lo
	v_cmp_eq_u32_e32 vcc_lo, 0, v51
	s_delay_alu instid0(VALU_DEP_4)
	v_and_b32_e32 v3, v3, v6
	v_cndmask_b32_e64 v6, 1, 2, vcc_lo
	v_add_co_u32 v10, vcc_lo, v10, v8
	v_add_co_ci_u32_e32 v11, vcc_lo, v11, v9, vcc_lo
	v_lshlrev_b32_e32 v8, 1, v2
	v_cmp_eq_u32_e32 vcc_lo, 0, v50
	v_and_b32_e32 v3, v3, v6
	v_cndmask_b32_e64 v6, 1, 2, vcc_lo
	s_delay_alu instid0(VALU_DEP_4) | instskip(SKIP_2) | instid1(VALU_DEP_4)
	v_add_co_u32 v8, vcc_lo, v8, v10
	v_add_co_ci_u32_e32 v9, vcc_lo, 0, v11, vcc_lo
	v_cmp_eq_u32_e32 vcc_lo, 0, v49
	v_and_b32_e32 v45, v3, v6
	v_add_nc_u32_e32 v3, v7, v2
	v_cndmask_b32_e64 v46, 1, 2, vcc_lo
	v_add_co_u32 v6, vcc_lo, v8, -2
	v_add_co_ci_u32_e32 v12, vcc_lo, -1, v9, vcc_lo
	v_cmp_eq_u32_e32 vcc_lo, 0, v48
	s_delay_alu instid0(VALU_DEP_4) | instskip(SKIP_2) | instid1(VALU_DEP_2)
	v_and_b32_e32 v8, v45, v46
	v_cndmask_b32_e64 v9, 1, 2, vcc_lo
	v_cmp_eq_u32_e32 vcc_lo, 0, v47
	v_and_b32_e32 v8, v8, v9
	v_cndmask_b32_e64 v9, 1, 2, vcc_lo
	v_cmp_eq_u32_e32 vcc_lo, 0, v54
	s_delay_alu instid0(VALU_DEP_2) | instskip(SKIP_2) | instid1(VALU_DEP_2)
	v_and_b32_e32 v8, v8, v9
	v_cndmask_b32_e64 v9, 1, 2, vcc_lo
	v_cmp_gt_u32_e32 vcc_lo, 0x100, v4
	v_and_b32_e32 v8, v8, v9
	s_delay_alu instid0(VALU_DEP_1)
	v_cmp_gt_i16_e64 s15, 2, v8
	s_cbranch_vccnz .LBB639_167
; %bb.164:
	s_and_b32 vcc_lo, exec_lo, s16
	s_cbranch_vccnz .LBB639_173
.LBB639_165:
	v_cmp_eq_u32_e32 vcc_lo, 0xff, v0
	s_and_b32 s0, vcc_lo, s26
	s_delay_alu instid0(SALU_CYCLE_1)
	s_and_saveexec_b32 s1, s0
	s_cbranch_execnz .LBB639_194
.LBB639_166:
	s_nop 0
	s_sendmsg sendmsg(MSG_DEALLOC_VGPRS)
	s_endpgm
.LBB639_167:
	s_delay_alu instid0(VALU_DEP_1)
	s_and_saveexec_b32 s16, s15
	s_cbranch_execz .LBB639_172
; %bb.168:
	s_mov_b32 s17, 0
	s_mov_b32 s15, exec_lo
	v_cmpx_ne_u16_e32 1, v8
	s_xor_b32 s15, exec_lo, s15
	s_cbranch_execnz .LBB639_231
; %bb.169:
	s_and_not1_saveexec_b32 s15, s15
	s_cbranch_execnz .LBB639_247
.LBB639_170:
	s_or_b32 exec_lo, exec_lo, s15
	s_delay_alu instid0(SALU_CYCLE_1)
	s_and_b32 exec_lo, exec_lo, s17
	s_cbranch_execz .LBB639_172
.LBB639_171:
	v_sub_nc_u32_e32 v45, v15, v3
	v_mov_b32_e32 v46, 0
	s_delay_alu instid0(VALU_DEP_1) | instskip(NEXT) | instid1(VALU_DEP_1)
	v_lshlrev_b64 v[45:46], 1, v[45:46]
	v_add_co_u32 v45, vcc_lo, v6, v45
	s_delay_alu instid0(VALU_DEP_2)
	v_add_co_ci_u32_e32 v46, vcc_lo, v12, v46, vcc_lo
	global_store_b16 v[45:46], v16, off
.LBB639_172:
	s_or_b32 exec_lo, exec_lo, s16
	s_branch .LBB639_165
.LBB639_173:
	s_mov_b32 s15, exec_lo
	v_cmpx_gt_i16_e32 2, v8
	s_cbranch_execz .LBB639_178
; %bb.174:
	s_mov_b32 s17, 0
	s_mov_b32 s16, exec_lo
	v_cmpx_ne_u16_e32 1, v8
	s_xor_b32 s16, exec_lo, s16
	s_cbranch_execnz .LBB639_248
; %bb.175:
	s_and_not1_saveexec_b32 s0, s16
	s_cbranch_execnz .LBB639_264
.LBB639_176:
	s_or_b32 exec_lo, exec_lo, s0
	s_delay_alu instid0(SALU_CYCLE_1)
	s_and_b32 exec_lo, exec_lo, s17
	s_cbranch_execz .LBB639_178
.LBB639_177:
	v_sub_nc_u32_e32 v3, v15, v3
	s_delay_alu instid0(VALU_DEP_1)
	v_lshlrev_b32_e32 v3, 1, v3
	ds_store_b16 v3, v16
.LBB639_178:
	s_or_b32 exec_lo, exec_lo, s15
	s_delay_alu instid0(SALU_CYCLE_1)
	s_mov_b32 s1, exec_lo
	s_waitcnt lgkmcnt(0)
	s_waitcnt_vscnt null, 0x0
	s_barrier
	buffer_gl0_inv
	v_cmpx_lt_u32_e64 v0, v4
	s_cbranch_execz .LBB639_193
; %bb.179:
	v_add_nc_u32_e32 v8, v5, v1
	s_mov_b32 s0, -1
	s_mov_b32 s3, exec_lo
	s_delay_alu instid0(VALU_DEP_1) | instskip(NEXT) | instid1(VALU_DEP_1)
	v_xad_u32 v1, v0, -1, v8
	v_sub_nc_u32_e32 v3, v1, v2
	v_mov_b32_e32 v1, v0
	s_delay_alu instid0(VALU_DEP_2)
	v_cmp_gt_u32_e64 s2, 0x1b00, v3
	v_cmpx_lt_u32_e32 0x1aff, v3
	s_cbranch_execz .LBB639_190
; %bb.180:
	v_sub_nc_u32_e32 v1, v0, v8
	s_delay_alu instid0(VALU_DEP_1) | instskip(NEXT) | instid1(VALU_DEP_1)
	v_add_nc_u32_e32 v1, v1, v2
	v_or_b32_e32 v1, 0xff, v1
	s_delay_alu instid0(VALU_DEP_1)
	v_cmp_ge_u32_e32 vcc_lo, v1, v0
	v_mov_b32_e32 v1, v0
	s_and_saveexec_b32 s4, vcc_lo
	s_cbranch_execz .LBB639_189
; %bb.181:
	v_lshrrev_b32_e32 v15, 8, v3
	v_or_b32_e32 v1, 0x100, v0
	v_lshlrev_b32_e32 v16, 1, v0
	s_delay_alu instid0(VALU_DEP_3) | instskip(NEXT) | instid1(VALU_DEP_1)
	v_add_nc_u32_e32 v2, -1, v15
	v_lshrrev_b32_e32 v3, 1, v2
	v_mov_b32_e32 v20, 0
	v_cmp_lt_u32_e32 vcc_lo, 13, v2
	s_delay_alu instid0(VALU_DEP_3)
	v_add_nc_u32_e32 v17, 1, v3
	v_dual_mov_b32 v3, v1 :: v_dual_mov_b32 v2, v0
	s_and_saveexec_b32 s0, vcc_lo
	s_cbranch_execz .LBB639_185
; %bb.182:
	s_delay_alu instid0(VALU_DEP_2)
	v_dual_mov_b32 v9, 0 :: v_dual_and_b32 v18, -8, v17
	v_mov_b32_e32 v19, v16
	v_dual_mov_b32 v3, v1 :: v_dual_mov_b32 v2, v0
	s_mov_b32 s5, 0
	s_mov_b32 s6, 0
.LBB639_183:                            ; =>This Inner Loop Header: Depth=1
	s_delay_alu instid0(VALU_DEP_1) | instskip(SKIP_2) | instid1(VALU_DEP_3)
	v_dual_mov_b32 v8, v2 :: v_dual_add_nc_u32 v21, 0x200, v3
	v_add_nc_u32_e32 v18, -8, v18
	v_dual_mov_b32 v22, v9 :: v_dual_add_nc_u32 v23, 0x400, v3
	v_lshlrev_b64 v[35:36], 1, v[8:9]
	v_dual_mov_b32 v24, v9 :: v_dual_add_nc_u32 v25, 0x600, v3
	s_delay_alu instid0(VALU_DEP_4) | instskip(NEXT) | instid1(VALU_DEP_4)
	v_cmp_eq_u32_e32 vcc_lo, 0, v18
	v_lshlrev_b64 v[21:22], 1, v[21:22]
	v_dual_mov_b32 v26, v9 :: v_dual_add_nc_u32 v27, 0x800, v3
	s_add_i32 s6, s6, 16
	v_lshlrev_b64 v[23:24], 1, v[23:24]
	s_or_b32 s5, vcc_lo, s5
	v_add_co_u32 v35, vcc_lo, v6, v35
	v_dual_mov_b32 v28, v9 :: v_dual_add_nc_u32 v29, 0xa00, v3
	v_add_co_ci_u32_e32 v36, vcc_lo, v12, v36, vcc_lo
	v_lshlrev_b64 v[25:26], 1, v[25:26]
	v_add_co_u32 v21, vcc_lo, v6, v21
	v_dual_mov_b32 v30, v9 :: v_dual_add_nc_u32 v31, 0xc00, v3
	v_add_co_ci_u32_e32 v22, vcc_lo, v12, v22, vcc_lo
	v_lshlrev_b64 v[27:28], 1, v[27:28]
	;; [unrolled: 4-line block ×3, first 2 shown]
	v_add_co_u32 v25, vcc_lo, v6, v25
	v_mov_b32_e32 v34, v9
	v_mov_b32_e32 v8, v3
	v_add_co_ci_u32_e32 v26, vcc_lo, v12, v26, vcc_lo
	v_lshlrev_b64 v[31:32], 1, v[31:32]
	v_add_co_u32 v27, vcc_lo, v6, v27
	ds_load_u16 v1, v19
	ds_load_u16 v41, v19 offset:512
	ds_load_u16 v42, v19 offset:1024
	;; [unrolled: 1-line block ×7, first 2 shown]
	v_add_co_ci_u32_e32 v28, vcc_lo, v12, v28, vcc_lo
	ds_load_u16 v48, v19 offset:4096
	ds_load_u16 v49, v19 offset:4608
	;; [unrolled: 1-line block ×8, first 2 shown]
	v_add_nc_u32_e32 v19, 0x2000, v19
	v_lshlrev_b64 v[33:34], 1, v[33:34]
	v_add_co_u32 v29, vcc_lo, v6, v29
	v_lshlrev_b64 v[37:38], 1, v[8:9]
	v_add_nc_u32_e32 v8, 0x200, v2
	v_add_co_ci_u32_e32 v30, vcc_lo, v12, v30, vcc_lo
	v_add_co_u32 v31, vcc_lo, v6, v31
	v_add_co_ci_u32_e32 v32, vcc_lo, v12, v32, vcc_lo
	v_add_co_u32 v33, vcc_lo, v6, v33
	v_lshlrev_b64 v[39:40], 1, v[8:9]
	v_add_nc_u32_e32 v8, 0x400, v2
	v_add_co_ci_u32_e32 v34, vcc_lo, v12, v34, vcc_lo
	v_add_co_u32 v37, vcc_lo, v6, v37
	v_add_co_ci_u32_e32 v38, vcc_lo, v12, v38, vcc_lo
	s_waitcnt lgkmcnt(15)
	global_store_b16 v[35:36], v1, off
	v_lshlrev_b64 v[35:36], 1, v[8:9]
	v_add_nc_u32_e32 v8, 0x600, v2
	v_add_co_u32 v39, vcc_lo, v6, v39
	v_add_co_ci_u32_e32 v40, vcc_lo, v12, v40, vcc_lo
	s_waitcnt lgkmcnt(14)
	global_store_b16 v[37:38], v41, off
	v_lshlrev_b64 v[37:38], 1, v[8:9]
	v_add_nc_u32_e32 v8, 0x800, v2
	s_waitcnt lgkmcnt(13)
	global_store_b16 v[39:40], v42, off
	s_waitcnt lgkmcnt(12)
	global_store_b16 v[21:22], v43, off
	v_add_co_u32 v21, vcc_lo, v6, v35
	v_add_co_ci_u32_e32 v22, vcc_lo, v12, v36, vcc_lo
	v_lshlrev_b64 v[35:36], 1, v[8:9]
	v_add_nc_u32_e32 v8, 0xa00, v2
	v_add_co_u32 v37, vcc_lo, v6, v37
	v_add_co_ci_u32_e32 v38, vcc_lo, v12, v38, vcc_lo
	s_waitcnt lgkmcnt(11)
	global_store_b16 v[21:22], v44, off
	s_waitcnt lgkmcnt(10)
	global_store_b16 v[23:24], v45, off
	v_lshlrev_b64 v[21:22], 1, v[8:9]
	v_add_nc_u32_e32 v8, 0xc00, v2
	v_add_co_u32 v23, vcc_lo, v6, v35
	s_waitcnt lgkmcnt(9)
	global_store_b16 v[37:38], v46, off
	s_waitcnt lgkmcnt(8)
	global_store_b16 v[25:26], v47, off
	v_add_co_ci_u32_e32 v24, vcc_lo, v12, v36, vcc_lo
	v_lshlrev_b64 v[25:26], 1, v[8:9]
	v_add_nc_u32_e32 v8, 0xe00, v2
	v_add_co_u32 v21, vcc_lo, v6, v21
	v_add_co_ci_u32_e32 v22, vcc_lo, v12, v22, vcc_lo
	s_waitcnt lgkmcnt(7)
	global_store_b16 v[23:24], v48, off
	s_waitcnt lgkmcnt(6)
	global_store_b16 v[27:28], v49, off
	v_lshlrev_b64 v[23:24], 1, v[8:9]
	v_dual_mov_b32 v20, s6 :: v_dual_add_nc_u32 v3, 0x1000, v3
	s_waitcnt lgkmcnt(5)
	global_store_b16 v[21:22], v50, off
	v_add_co_u32 v21, vcc_lo, v6, v25
	v_add_nc_u32_e32 v2, 0x1000, v2
	v_add_co_ci_u32_e32 v22, vcc_lo, v12, v26, vcc_lo
	v_add_co_u32 v23, vcc_lo, v6, v23
	v_add_co_ci_u32_e32 v24, vcc_lo, v12, v24, vcc_lo
	s_waitcnt lgkmcnt(4)
	global_store_b16 v[29:30], v51, off
	s_waitcnt lgkmcnt(3)
	global_store_b16 v[21:22], v52, off
	;; [unrolled: 2-line block ×5, first 2 shown]
	s_and_not1_b32 exec_lo, exec_lo, s5
	s_cbranch_execnz .LBB639_183
; %bb.184:
	s_or_b32 exec_lo, exec_lo, s5
.LBB639_185:
	s_delay_alu instid0(SALU_CYCLE_1) | instskip(SKIP_3) | instid1(VALU_DEP_1)
	s_or_b32 exec_lo, exec_lo, s0
	v_and_b32_e32 v1, 7, v17
	s_mov_b32 s6, 0
	s_mov_b32 s5, exec_lo
	v_cmpx_ne_u32_e32 0, v1
	s_cbranch_execz .LBB639_188
; %bb.186:
	v_lshl_or_b32 v16, v20, 9, v16
	v_mov_b32_e32 v9, 0
	s_set_inst_prefetch_distance 0x1
	.p2align	6
.LBB639_187:                            ; =>This Inner Loop Header: Depth=1
	v_dual_mov_b32 v8, v2 :: v_dual_add_nc_u32 v1, -1, v1
	ds_load_u16 v21, v16
	ds_load_u16 v22, v16 offset:512
	v_add_nc_u32_e32 v2, 0x200, v2
	v_add_nc_u32_e32 v16, 0x400, v16
	v_lshlrev_b64 v[17:18], 1, v[8:9]
	v_dual_mov_b32 v8, v3 :: v_dual_add_nc_u32 v3, 0x200, v3
	v_cmp_eq_u32_e32 vcc_lo, 0, v1
	s_delay_alu instid0(VALU_DEP_2) | instskip(NEXT) | instid1(VALU_DEP_4)
	v_lshlrev_b64 v[19:20], 1, v[8:9]
	v_add_co_u32 v17, s0, v6, v17
	s_delay_alu instid0(VALU_DEP_1) | instskip(SKIP_1) | instid1(VALU_DEP_3)
	v_add_co_ci_u32_e64 v18, s0, v12, v18, s0
	s_or_b32 s6, vcc_lo, s6
	v_add_co_u32 v19, s0, v6, v19
	s_delay_alu instid0(VALU_DEP_1)
	v_add_co_ci_u32_e64 v20, s0, v12, v20, s0
	s_waitcnt lgkmcnt(1)
	global_store_b16 v[17:18], v21, off
	s_waitcnt lgkmcnt(0)
	global_store_b16 v[19:20], v22, off
	s_and_not1_b32 exec_lo, exec_lo, s6
	s_cbranch_execnz .LBB639_187
.LBB639_188:
	s_set_inst_prefetch_distance 0x2
	s_or_b32 exec_lo, exec_lo, s5
	v_add_nc_u32_e32 v1, 1, v15
	s_delay_alu instid0(VALU_DEP_1) | instskip(NEXT) | instid1(VALU_DEP_1)
	v_and_b32_e32 v2, 0x1fffffe, v1
	v_cmp_ne_u32_e32 vcc_lo, v1, v2
	v_lshl_or_b32 v1, v2, 8, v0
	s_or_not1_b32 s0, vcc_lo, exec_lo
.LBB639_189:
	s_or_b32 exec_lo, exec_lo, s4
	s_delay_alu instid0(SALU_CYCLE_1) | instskip(SKIP_1) | instid1(SALU_CYCLE_1)
	s_and_not1_b32 s2, s2, exec_lo
	s_and_b32 s0, s0, exec_lo
	s_or_b32 s2, s2, s0
.LBB639_190:
	s_or_b32 exec_lo, exec_lo, s3
	s_delay_alu instid0(VALU_DEP_2) | instid1(SALU_CYCLE_1)
	s_and_b32 exec_lo, exec_lo, s2
	s_cbranch_execz .LBB639_193
; %bb.191:
	v_dual_mov_b32 v2, 0 :: v_dual_lshlrev_b32 v3, 1, v1
	s_mov_b32 s2, 0
	.p2align	6
.LBB639_192:                            ; =>This Inner Loop Header: Depth=1
	ds_load_u16 v15, v3
	v_lshlrev_b64 v[8:9], 1, v[1:2]
	v_add_nc_u32_e32 v1, 0x100, v1
	v_add_nc_u32_e32 v3, 0x200, v3
	s_delay_alu instid0(VALU_DEP_2) | instskip(NEXT) | instid1(VALU_DEP_4)
	v_cmp_ge_u32_e32 vcc_lo, v1, v4
	v_add_co_u32 v8, s0, v6, v8
	s_delay_alu instid0(VALU_DEP_1)
	v_add_co_ci_u32_e64 v9, s0, v12, v9, s0
	s_or_b32 s2, vcc_lo, s2
	s_waitcnt lgkmcnt(0)
	global_store_b16 v[8:9], v15, off
	s_and_not1_b32 exec_lo, exec_lo, s2
	s_cbranch_execnz .LBB639_192
.LBB639_193:
	s_or_b32 exec_lo, exec_lo, s1
	v_cmp_eq_u32_e32 vcc_lo, 0xff, v0
	s_and_b32 s0, vcc_lo, s26
	s_delay_alu instid0(SALU_CYCLE_1)
	s_and_saveexec_b32 s1, s0
	s_cbranch_execz .LBB639_166
.LBB639_194:
	v_add_co_u32 v0, s0, v5, v7
	s_delay_alu instid0(VALU_DEP_1) | instskip(SKIP_1) | instid1(VALU_DEP_3)
	v_add_co_ci_u32_e64 v1, null, 0, 0, s0
	v_mov_b32_e32 v6, 0
	v_add_co_u32 v0, vcc_lo, v0, v13
	s_delay_alu instid0(VALU_DEP_3)
	v_add_co_ci_u32_e32 v1, vcc_lo, v1, v14, vcc_lo
	s_cmpk_lg_i32 s27, 0xf00
	global_store_b64 v6, v[0:1], s[30:31]
	s_cbranch_scc1 .LBB639_166
; %bb.195:
	v_lshlrev_b64 v[0:1], 1, v[5:6]
	s_delay_alu instid0(VALU_DEP_1) | instskip(NEXT) | instid1(VALU_DEP_2)
	v_add_co_u32 v0, vcc_lo, v10, v0
	v_add_co_ci_u32_e32 v1, vcc_lo, v11, v1, vcc_lo
	global_store_b16 v[0:1], v62, off offset:-2
	s_nop 0
	s_sendmsg sendmsg(MSG_DEALLOC_VGPRS)
	s_endpgm
.LBB639_196:
	s_or_b32 exec_lo, exec_lo, s1
	v_mov_b32_e32 v63, s42
	s_and_saveexec_b32 s1, s41
	s_cbranch_execnz .LBB639_88
	s_branch .LBB639_89
.LBB639_197:
	s_and_saveexec_b32 s18, s15
	s_cbranch_execnz .LBB639_265
; %bb.198:
	s_or_b32 exec_lo, exec_lo, s18
	s_and_saveexec_b32 s18, s14
	s_cbranch_execnz .LBB639_266
.LBB639_199:
	s_or_b32 exec_lo, exec_lo, s18
	s_and_saveexec_b32 s18, s13
	s_cbranch_execnz .LBB639_267
.LBB639_200:
	s_or_b32 exec_lo, exec_lo, s18
	s_and_saveexec_b32 s18, s12
	s_cbranch_execnz .LBB639_268
.LBB639_201:
	s_or_b32 exec_lo, exec_lo, s18
	s_and_saveexec_b32 s18, s11
	s_cbranch_execnz .LBB639_269
.LBB639_202:
	s_or_b32 exec_lo, exec_lo, s18
	s_and_saveexec_b32 s18, s10
	s_cbranch_execnz .LBB639_270
.LBB639_203:
	s_or_b32 exec_lo, exec_lo, s18
	s_and_saveexec_b32 s18, s8
	s_cbranch_execnz .LBB639_271
.LBB639_204:
	s_or_b32 exec_lo, exec_lo, s18
	s_and_saveexec_b32 s18, s6
	s_cbranch_execnz .LBB639_272
.LBB639_205:
	s_or_b32 exec_lo, exec_lo, s18
	s_and_saveexec_b32 s18, s9
	s_cbranch_execnz .LBB639_273
.LBB639_206:
	s_or_b32 exec_lo, exec_lo, s18
	s_and_saveexec_b32 s18, s7
	s_cbranch_execnz .LBB639_274
.LBB639_207:
	s_or_b32 exec_lo, exec_lo, s18
	s_and_saveexec_b32 s18, s5
	s_cbranch_execnz .LBB639_275
.LBB639_208:
	s_or_b32 exec_lo, exec_lo, s18
	s_and_saveexec_b32 s18, s4
	s_cbranch_execnz .LBB639_276
.LBB639_209:
	s_or_b32 exec_lo, exec_lo, s18
	s_and_saveexec_b32 s18, s3
	s_cbranch_execnz .LBB639_277
.LBB639_210:
	s_or_b32 exec_lo, exec_lo, s18
	s_and_saveexec_b32 s18, s1
	s_cbranch_execz .LBB639_212
.LBB639_211:
	v_sub_nc_u32_e32 v66, v23, v7
	v_mov_b32_e32 v67, 0
	s_delay_alu instid0(VALU_DEP_1) | instskip(NEXT) | instid1(VALU_DEP_1)
	v_lshlrev_b64 v[66:67], 1, v[66:67]
	v_add_co_u32 v66, vcc_lo, v6, v66
	s_delay_alu instid0(VALU_DEP_2)
	v_add_co_ci_u32_e32 v67, vcc_lo, v64, v67, vcc_lo
	global_store_b16 v[66:67], v12, off
.LBB639_212:
	s_or_b32 exec_lo, exec_lo, s18
	s_delay_alu instid0(SALU_CYCLE_1)
	s_and_b32 s18, s0, exec_lo
	s_and_not1_saveexec_b32 s16, s16
	s_cbranch_execz .LBB639_138
.LBB639_213:
	v_sub_nc_u32_e32 v66, v41, v7
	v_mov_b32_e32 v67, 0
	s_or_b32 s18, s18, exec_lo
	s_delay_alu instid0(VALU_DEP_1) | instskip(SKIP_1) | instid1(VALU_DEP_1)
	v_lshlrev_b64 v[68:69], 1, v[66:67]
	v_sub_nc_u32_e32 v66, v37, v7
	v_lshlrev_b64 v[70:71], 1, v[66:67]
	v_sub_nc_u32_e32 v66, v35, v7
	s_delay_alu instid0(VALU_DEP_4) | instskip(SKIP_1) | instid1(VALU_DEP_3)
	v_add_co_u32 v68, vcc_lo, v6, v68
	v_add_co_ci_u32_e32 v69, vcc_lo, v64, v69, vcc_lo
	v_lshlrev_b64 v[72:73], 1, v[66:67]
	v_sub_nc_u32_e32 v66, v33, v7
	v_add_co_u32 v70, vcc_lo, v6, v70
	v_add_co_ci_u32_e32 v71, vcc_lo, v64, v71, vcc_lo
	global_store_b16 v[68:69], v52, off
	v_lshlrev_b64 v[68:69], 1, v[66:67]
	v_sub_nc_u32_e32 v66, v21, v7
	global_store_b16 v[70:71], v1, off
	v_add_co_u32 v70, vcc_lo, v6, v72
	v_add_co_ci_u32_e32 v71, vcc_lo, v64, v73, vcc_lo
	v_lshlrev_b64 v[72:73], 1, v[66:67]
	v_sub_nc_u32_e32 v66, v19, v7
	v_add_co_u32 v68, vcc_lo, v6, v68
	v_add_co_ci_u32_e32 v69, vcc_lo, v64, v69, vcc_lo
	s_delay_alu instid0(VALU_DEP_3) | instskip(SKIP_3) | instid1(VALU_DEP_3)
	v_lshlrev_b64 v[74:75], 1, v[66:67]
	v_sub_nc_u32_e32 v66, v17, v7
	v_add_co_u32 v72, vcc_lo, v6, v72
	v_add_co_ci_u32_e32 v73, vcc_lo, v64, v73, vcc_lo
	v_lshlrev_b64 v[76:77], 1, v[66:67]
	v_sub_nc_u32_e32 v66, v39, v7
	v_add_co_u32 v74, vcc_lo, v6, v74
	v_add_co_ci_u32_e32 v75, vcc_lo, v64, v75, vcc_lo
	s_clause 0x3
	global_store_d16_hi_b16 v[70:71], v1, off
	global_store_b16 v[68:69], v2, off
	global_store_d16_hi_b16 v[72:73], v2, off
	global_store_b16 v[74:75], v3, off
	v_lshlrev_b64 v[68:69], 1, v[66:67]
	v_sub_nc_u32_e32 v66, v43, v7
	v_add_co_u32 v70, vcc_lo, v6, v76
	v_add_co_ci_u32_e32 v71, vcc_lo, v64, v77, vcc_lo
	s_delay_alu instid0(VALU_DEP_3) | instskip(SKIP_3) | instid1(VALU_DEP_3)
	v_lshlrev_b64 v[72:73], 1, v[66:67]
	v_sub_nc_u32_e32 v66, v31, v7
	v_add_co_u32 v68, vcc_lo, v6, v68
	v_add_co_ci_u32_e32 v69, vcc_lo, v64, v69, vcc_lo
	v_lshlrev_b64 v[74:75], 1, v[66:67]
	v_sub_nc_u32_e32 v66, v29, v7
	v_add_co_u32 v72, vcc_lo, v6, v72
	v_add_co_ci_u32_e32 v73, vcc_lo, v64, v73, vcc_lo
	s_delay_alu instid0(VALU_DEP_3)
	v_lshlrev_b64 v[76:77], 1, v[66:67]
	v_sub_nc_u32_e32 v66, v25, v7
	v_add_co_u32 v74, vcc_lo, v6, v74
	v_add_co_ci_u32_e32 v75, vcc_lo, v64, v75, vcc_lo
	s_clause 0x3
	global_store_d16_hi_b16 v[70:71], v3, off
	global_store_b16 v[68:69], v4, off
	global_store_d16_hi_b16 v[72:73], v4, off
	global_store_b16 v[74:75], v10, off
	v_lshlrev_b64 v[68:69], 1, v[66:67]
	v_sub_nc_u32_e32 v66, v27, v7
	v_add_co_u32 v70, vcc_lo, v6, v76
	v_add_co_ci_u32_e32 v71, vcc_lo, v64, v77, vcc_lo
	s_delay_alu instid0(VALU_DEP_3) | instskip(SKIP_3) | instid1(VALU_DEP_3)
	v_lshlrev_b64 v[72:73], 1, v[66:67]
	v_sub_nc_u32_e32 v66, v23, v7
	v_add_co_u32 v68, vcc_lo, v6, v68
	v_add_co_ci_u32_e32 v69, vcc_lo, v64, v69, vcc_lo
	v_lshlrev_b64 v[66:67], 1, v[66:67]
	v_add_co_u32 v72, vcc_lo, v6, v72
	v_add_co_ci_u32_e32 v73, vcc_lo, v64, v73, vcc_lo
	s_clause 0x2
	global_store_d16_hi_b16 v[70:71], v10, off
	global_store_b16 v[68:69], v11, off
	global_store_d16_hi_b16 v[72:73], v11, off
	v_add_co_u32 v66, vcc_lo, v6, v66
	v_add_co_ci_u32_e32 v67, vcc_lo, v64, v67, vcc_lo
	global_store_b16 v[66:67], v12, off
	s_or_b32 exec_lo, exec_lo, s16
	s_delay_alu instid0(SALU_CYCLE_1)
	s_and_b32 exec_lo, exec_lo, s18
	s_cbranch_execnz .LBB639_139
	s_branch .LBB639_140
.LBB639_214:
	s_and_saveexec_b32 s18, s15
	s_cbranch_execnz .LBB639_278
; %bb.215:
	s_or_b32 exec_lo, exec_lo, s18
	s_and_saveexec_b32 s15, s14
	s_cbranch_execnz .LBB639_279
.LBB639_216:
	s_or_b32 exec_lo, exec_lo, s15
	s_and_saveexec_b32 s14, s13
	s_cbranch_execnz .LBB639_280
.LBB639_217:
	s_or_b32 exec_lo, exec_lo, s14
	s_and_saveexec_b32 s13, s12
	s_cbranch_execnz .LBB639_281
.LBB639_218:
	s_or_b32 exec_lo, exec_lo, s13
	s_and_saveexec_b32 s12, s11
	s_cbranch_execnz .LBB639_282
.LBB639_219:
	s_or_b32 exec_lo, exec_lo, s12
	s_and_saveexec_b32 s11, s10
	s_cbranch_execnz .LBB639_283
.LBB639_220:
	s_or_b32 exec_lo, exec_lo, s11
	s_and_saveexec_b32 s10, s8
	s_cbranch_execnz .LBB639_284
.LBB639_221:
	s_or_b32 exec_lo, exec_lo, s10
	s_and_saveexec_b32 s8, s6
	s_cbranch_execnz .LBB639_285
.LBB639_222:
	s_or_b32 exec_lo, exec_lo, s8
	s_and_saveexec_b32 s6, s9
	s_cbranch_execnz .LBB639_286
.LBB639_223:
	s_or_b32 exec_lo, exec_lo, s6
	s_and_saveexec_b32 s6, s7
	s_cbranch_execnz .LBB639_287
.LBB639_224:
	s_or_b32 exec_lo, exec_lo, s6
	s_and_saveexec_b32 s6, s5
	s_cbranch_execnz .LBB639_288
.LBB639_225:
	s_or_b32 exec_lo, exec_lo, s6
	s_and_saveexec_b32 s5, s4
	s_cbranch_execnz .LBB639_289
.LBB639_226:
	s_or_b32 exec_lo, exec_lo, s5
	s_and_saveexec_b32 s4, s3
	s_cbranch_execnz .LBB639_290
.LBB639_227:
	s_or_b32 exec_lo, exec_lo, s4
	s_and_saveexec_b32 s3, s1
	s_cbranch_execz .LBB639_229
.LBB639_228:
	v_sub_nc_u32_e32 v1, v23, v7
	s_delay_alu instid0(VALU_DEP_1)
	v_lshlrev_b32_e32 v1, 1, v1
	ds_store_b16 v1, v12
.LBB639_229:
	s_or_b32 exec_lo, exec_lo, s3
	s_delay_alu instid0(SALU_CYCLE_1)
	s_and_b32 s18, s0, exec_lo
                                        ; implicit-def: $vgpr52
                                        ; implicit-def: $vgpr1
	s_and_not1_saveexec_b32 s0, s17
	s_cbranch_execz .LBB639_145
.LBB639_230:
	v_sub_nc_u32_e32 v65, v41, v7
	v_sub_nc_u32_e32 v66, v37, v7
	;; [unrolled: 1-line block ×4, first 2 shown]
	s_or_b32 s18, s18, exec_lo
	v_lshlrev_b32_e32 v65, 1, v65
	v_lshlrev_b32_e32 v66, 1, v66
	;; [unrolled: 1-line block ×4, first 2 shown]
	ds_store_b16 v65, v52
	ds_store_b16 v66, v1
	ds_store_b16_d16_hi v67, v1
	v_sub_nc_u32_e32 v1, v21, v7
	v_sub_nc_u32_e32 v52, v19, v7
	;; [unrolled: 1-line block ×5, first 2 shown]
	v_lshlrev_b32_e32 v1, 1, v1
	ds_store_b16 v68, v2
	v_lshlrev_b32_e32 v52, 1, v52
	v_lshlrev_b32_e32 v65, 1, v65
	;; [unrolled: 1-line block ×3, first 2 shown]
	ds_store_b16_d16_hi v1, v2
	v_lshlrev_b32_e32 v1, 1, v67
	v_sub_nc_u32_e32 v2, v31, v7
	ds_store_b16 v52, v3
	ds_store_b16_d16_hi v65, v3
	ds_store_b16 v66, v4
	v_sub_nc_u32_e32 v52, v23, v7
	v_sub_nc_u32_e32 v3, v25, v7
	ds_store_b16_d16_hi v1, v4
	v_sub_nc_u32_e32 v1, v29, v7
	v_lshlrev_b32_e32 v2, 1, v2
	v_sub_nc_u32_e32 v4, v27, v7
	v_lshlrev_b32_e32 v3, 1, v3
	s_delay_alu instid0(VALU_DEP_4)
	v_lshlrev_b32_e32 v1, 1, v1
	ds_store_b16 v2, v10
	v_lshlrev_b32_e32 v2, 1, v52
	v_lshlrev_b32_e32 v4, 1, v4
	ds_store_b16_d16_hi v1, v10
	ds_store_b16 v3, v11
	ds_store_b16_d16_hi v4, v11
	ds_store_b16 v2, v12
	s_or_b32 exec_lo, exec_lo, s0
	s_delay_alu instid0(SALU_CYCLE_1)
	s_and_b32 exec_lo, exec_lo, s18
	s_cbranch_execnz .LBB639_146
	s_branch .LBB639_147
.LBB639_231:
	s_and_saveexec_b32 s17, s14
	s_cbranch_execnz .LBB639_291
; %bb.232:
	s_or_b32 exec_lo, exec_lo, s17
	s_and_saveexec_b32 s17, s13
	s_cbranch_execnz .LBB639_292
.LBB639_233:
	s_or_b32 exec_lo, exec_lo, s17
	s_and_saveexec_b32 s17, s12
	s_cbranch_execnz .LBB639_293
.LBB639_234:
	s_or_b32 exec_lo, exec_lo, s17
	s_and_saveexec_b32 s17, s11
	s_cbranch_execnz .LBB639_294
.LBB639_235:
	s_or_b32 exec_lo, exec_lo, s17
	s_and_saveexec_b32 s17, s10
	s_cbranch_execnz .LBB639_295
.LBB639_236:
	s_or_b32 exec_lo, exec_lo, s17
	s_and_saveexec_b32 s17, s9
	s_cbranch_execnz .LBB639_296
.LBB639_237:
	s_or_b32 exec_lo, exec_lo, s17
	s_and_saveexec_b32 s17, s8
	s_cbranch_execnz .LBB639_297
.LBB639_238:
	s_or_b32 exec_lo, exec_lo, s17
	s_and_saveexec_b32 s17, s7
	s_cbranch_execnz .LBB639_298
.LBB639_239:
	s_or_b32 exec_lo, exec_lo, s17
	s_and_saveexec_b32 s17, s6
	s_cbranch_execnz .LBB639_299
.LBB639_240:
	s_or_b32 exec_lo, exec_lo, s17
	s_and_saveexec_b32 s17, s5
	s_cbranch_execnz .LBB639_300
.LBB639_241:
	s_or_b32 exec_lo, exec_lo, s17
	s_and_saveexec_b32 s17, s4
	s_cbranch_execnz .LBB639_301
.LBB639_242:
	s_or_b32 exec_lo, exec_lo, s17
	s_and_saveexec_b32 s17, s3
	s_cbranch_execnz .LBB639_302
.LBB639_243:
	s_or_b32 exec_lo, exec_lo, s17
	s_and_saveexec_b32 s17, s2
	s_cbranch_execnz .LBB639_303
.LBB639_244:
	s_or_b32 exec_lo, exec_lo, s17
	s_and_saveexec_b32 s17, s1
	s_cbranch_execz .LBB639_246
.LBB639_245:
	v_sub_nc_u32_e32 v45, v23, v3
	v_mov_b32_e32 v46, 0
	s_delay_alu instid0(VALU_DEP_1) | instskip(NEXT) | instid1(VALU_DEP_1)
	v_lshlrev_b64 v[45:46], 1, v[45:46]
	v_add_co_u32 v45, vcc_lo, v6, v45
	s_delay_alu instid0(VALU_DEP_2)
	v_add_co_ci_u32_e32 v46, vcc_lo, v12, v46, vcc_lo
	global_store_b16 v[45:46], v24, off
.LBB639_246:
	s_or_b32 exec_lo, exec_lo, s17
	s_delay_alu instid0(SALU_CYCLE_1)
	s_and_b32 s17, s0, exec_lo
	s_and_not1_saveexec_b32 s15, s15
	s_cbranch_execz .LBB639_170
.LBB639_247:
	v_sub_nc_u32_e32 v45, v41, v3
	v_mov_b32_e32 v46, 0
	s_or_b32 s17, s17, exec_lo
	s_delay_alu instid0(VALU_DEP_1) | instskip(SKIP_1) | instid1(VALU_DEP_1)
	v_lshlrev_b64 v[47:48], 1, v[45:46]
	v_sub_nc_u32_e32 v45, v37, v3
	v_lshlrev_b64 v[49:50], 1, v[45:46]
	v_sub_nc_u32_e32 v45, v35, v3
	s_delay_alu instid0(VALU_DEP_4) | instskip(SKIP_1) | instid1(VALU_DEP_3)
	v_add_co_u32 v47, vcc_lo, v6, v47
	v_add_co_ci_u32_e32 v48, vcc_lo, v12, v48, vcc_lo
	v_lshlrev_b64 v[51:52], 1, v[45:46]
	v_sub_nc_u32_e32 v45, v33, v3
	v_add_co_u32 v49, vcc_lo, v6, v49
	v_add_co_ci_u32_e32 v50, vcc_lo, v12, v50, vcc_lo
	global_store_b16 v[47:48], v42, off
	v_lshlrev_b64 v[47:48], 1, v[45:46]
	v_sub_nc_u32_e32 v45, v21, v3
	global_store_b16 v[49:50], v38, off
	v_add_co_u32 v49, vcc_lo, v6, v51
	v_add_co_ci_u32_e32 v50, vcc_lo, v12, v52, vcc_lo
	v_lshlrev_b64 v[51:52], 1, v[45:46]
	v_sub_nc_u32_e32 v45, v19, v3
	v_add_co_u32 v47, vcc_lo, v6, v47
	v_add_co_ci_u32_e32 v48, vcc_lo, v12, v48, vcc_lo
	s_delay_alu instid0(VALU_DEP_3) | instskip(SKIP_3) | instid1(VALU_DEP_3)
	v_lshlrev_b64 v[53:54], 1, v[45:46]
	v_sub_nc_u32_e32 v45, v17, v3
	v_add_co_u32 v51, vcc_lo, v6, v51
	v_add_co_ci_u32_e32 v52, vcc_lo, v12, v52, vcc_lo
	v_lshlrev_b64 v[55:56], 1, v[45:46]
	v_sub_nc_u32_e32 v45, v39, v3
	v_add_co_u32 v53, vcc_lo, v6, v53
	v_add_co_ci_u32_e32 v54, vcc_lo, v12, v54, vcc_lo
	s_clause 0x3
	global_store_b16 v[49:50], v36, off
	global_store_b16 v[47:48], v34, off
	;; [unrolled: 1-line block ×4, first 2 shown]
	v_lshlrev_b64 v[47:48], 1, v[45:46]
	v_sub_nc_u32_e32 v45, v43, v3
	v_add_co_u32 v49, vcc_lo, v6, v55
	v_add_co_ci_u32_e32 v50, vcc_lo, v12, v56, vcc_lo
	s_delay_alu instid0(VALU_DEP_3) | instskip(SKIP_3) | instid1(VALU_DEP_3)
	v_lshlrev_b64 v[51:52], 1, v[45:46]
	v_sub_nc_u32_e32 v45, v31, v3
	v_add_co_u32 v47, vcc_lo, v6, v47
	v_add_co_ci_u32_e32 v48, vcc_lo, v12, v48, vcc_lo
	v_lshlrev_b64 v[53:54], 1, v[45:46]
	v_sub_nc_u32_e32 v45, v29, v3
	v_add_co_u32 v51, vcc_lo, v6, v51
	v_add_co_ci_u32_e32 v52, vcc_lo, v12, v52, vcc_lo
	s_delay_alu instid0(VALU_DEP_3)
	v_lshlrev_b64 v[55:56], 1, v[45:46]
	v_sub_nc_u32_e32 v45, v25, v3
	v_add_co_u32 v53, vcc_lo, v6, v53
	v_add_co_ci_u32_e32 v54, vcc_lo, v12, v54, vcc_lo
	s_clause 0x3
	global_store_b16 v[49:50], v18, off
	global_store_b16 v[47:48], v40, off
	;; [unrolled: 1-line block ×4, first 2 shown]
	v_lshlrev_b64 v[47:48], 1, v[45:46]
	v_sub_nc_u32_e32 v45, v27, v3
	v_add_co_u32 v49, vcc_lo, v6, v55
	v_add_co_ci_u32_e32 v50, vcc_lo, v12, v56, vcc_lo
	s_delay_alu instid0(VALU_DEP_3) | instskip(SKIP_3) | instid1(VALU_DEP_3)
	v_lshlrev_b64 v[51:52], 1, v[45:46]
	v_sub_nc_u32_e32 v45, v23, v3
	v_add_co_u32 v47, vcc_lo, v6, v47
	v_add_co_ci_u32_e32 v48, vcc_lo, v12, v48, vcc_lo
	v_lshlrev_b64 v[45:46], 1, v[45:46]
	v_add_co_u32 v51, vcc_lo, v6, v51
	v_add_co_ci_u32_e32 v52, vcc_lo, v12, v52, vcc_lo
	s_clause 0x2
	global_store_b16 v[49:50], v30, off
	global_store_b16 v[47:48], v26, off
	;; [unrolled: 1-line block ×3, first 2 shown]
	v_add_co_u32 v45, vcc_lo, v6, v45
	v_add_co_ci_u32_e32 v46, vcc_lo, v12, v46, vcc_lo
	global_store_b16 v[45:46], v24, off
	s_or_b32 exec_lo, exec_lo, s15
	s_delay_alu instid0(SALU_CYCLE_1)
	s_and_b32 exec_lo, exec_lo, s17
	s_cbranch_execnz .LBB639_171
	s_branch .LBB639_172
.LBB639_248:
	s_and_saveexec_b32 s17, s14
	s_cbranch_execnz .LBB639_304
; %bb.249:
	s_or_b32 exec_lo, exec_lo, s17
	s_and_saveexec_b32 s14, s13
	s_cbranch_execnz .LBB639_305
.LBB639_250:
	s_or_b32 exec_lo, exec_lo, s14
	s_and_saveexec_b32 s13, s12
	s_cbranch_execnz .LBB639_306
.LBB639_251:
	s_or_b32 exec_lo, exec_lo, s13
	s_and_saveexec_b32 s12, s11
	s_cbranch_execnz .LBB639_307
.LBB639_252:
	s_or_b32 exec_lo, exec_lo, s12
	s_and_saveexec_b32 s11, s10
	s_cbranch_execnz .LBB639_308
.LBB639_253:
	s_or_b32 exec_lo, exec_lo, s11
	s_and_saveexec_b32 s10, s9
	s_cbranch_execnz .LBB639_309
.LBB639_254:
	s_or_b32 exec_lo, exec_lo, s10
	s_and_saveexec_b32 s9, s8
	s_cbranch_execnz .LBB639_310
.LBB639_255:
	s_or_b32 exec_lo, exec_lo, s9
	s_and_saveexec_b32 s8, s7
	s_cbranch_execnz .LBB639_311
.LBB639_256:
	s_or_b32 exec_lo, exec_lo, s8
	s_and_saveexec_b32 s7, s6
	s_cbranch_execnz .LBB639_312
.LBB639_257:
	s_or_b32 exec_lo, exec_lo, s7
	s_and_saveexec_b32 s6, s5
	s_cbranch_execnz .LBB639_313
.LBB639_258:
	s_or_b32 exec_lo, exec_lo, s6
	s_and_saveexec_b32 s5, s4
	s_cbranch_execnz .LBB639_314
.LBB639_259:
	s_or_b32 exec_lo, exec_lo, s5
	s_and_saveexec_b32 s4, s3
	s_cbranch_execnz .LBB639_315
.LBB639_260:
	s_or_b32 exec_lo, exec_lo, s4
	s_and_saveexec_b32 s3, s2
	s_cbranch_execnz .LBB639_316
.LBB639_261:
	s_or_b32 exec_lo, exec_lo, s3
	s_and_saveexec_b32 s2, s1
	s_cbranch_execz .LBB639_263
.LBB639_262:
	v_sub_nc_u32_e32 v8, v23, v3
	s_delay_alu instid0(VALU_DEP_1)
	v_lshlrev_b32_e32 v8, 1, v8
	ds_store_b16 v8, v24
.LBB639_263:
	s_or_b32 exec_lo, exec_lo, s2
	s_delay_alu instid0(SALU_CYCLE_1)
	s_and_b32 s17, s0, exec_lo
                                        ; implicit-def: $vgpr41_vgpr42
                                        ; implicit-def: $vgpr37_vgpr38
                                        ; implicit-def: $vgpr35_vgpr36
                                        ; implicit-def: $vgpr33_vgpr34
                                        ; implicit-def: $vgpr21_vgpr22
                                        ; implicit-def: $vgpr19_vgpr20
                                        ; implicit-def: $vgpr17_vgpr18
                                        ; implicit-def: $vgpr39_vgpr40
                                        ; implicit-def: $vgpr43_vgpr44
                                        ; implicit-def: $vgpr31_vgpr32
                                        ; implicit-def: $vgpr29_vgpr30
                                        ; implicit-def: $vgpr25_vgpr26
                                        ; implicit-def: $vgpr27_vgpr28
                                        ; implicit-def: $vgpr23_vgpr24
	s_and_not1_saveexec_b32 s0, s16
	s_cbranch_execz .LBB639_176
.LBB639_264:
	v_sub_nc_u32_e32 v8, v41, v3
	v_sub_nc_u32_e32 v9, v37, v3
	;; [unrolled: 1-line block ×5, first 2 shown]
	v_lshlrev_b32_e32 v8, 1, v8
	v_lshlrev_b32_e32 v9, 1, v9
	;; [unrolled: 1-line block ×5, first 2 shown]
	ds_store_b16 v8, v42
	ds_store_b16 v9, v38
	;; [unrolled: 1-line block ×3, first 2 shown]
	v_sub_nc_u32_e32 v8, v21, v3
	v_sub_nc_u32_e32 v9, v19, v3
	;; [unrolled: 1-line block ×4, first 2 shown]
	ds_store_b16 v33, v34
	v_lshlrev_b32_e32 v8, 1, v8
	v_lshlrev_b32_e32 v9, 1, v9
	v_lshlrev_b32_e32 v19, 1, v19
	s_or_b32 s17, s17, exec_lo
	ds_store_b16 v8, v22
	v_lshlrev_b32_e32 v8, 1, v21
	ds_store_b16 v9, v20
	ds_store_b16 v17, v18
	ds_store_b16 v19, v40
	v_sub_nc_u32_e32 v9, v31, v3
	v_sub_nc_u32_e32 v19, v23, v3
	;; [unrolled: 1-line block ×3, first 2 shown]
	ds_store_b16 v8, v44
	v_sub_nc_u32_e32 v8, v29, v3
	v_lshlrev_b32_e32 v9, 1, v9
	v_sub_nc_u32_e32 v18, v27, v3
	v_lshlrev_b32_e32 v17, 1, v17
	s_delay_alu instid0(VALU_DEP_4)
	v_lshlrev_b32_e32 v8, 1, v8
	ds_store_b16 v9, v32
	v_lshlrev_b32_e32 v9, 1, v19
	v_lshlrev_b32_e32 v18, 1, v18
	ds_store_b16 v8, v30
	ds_store_b16 v17, v26
	;; [unrolled: 1-line block ×4, first 2 shown]
	s_or_b32 exec_lo, exec_lo, s0
	s_delay_alu instid0(SALU_CYCLE_1)
	s_and_b32 exec_lo, exec_lo, s17
	s_cbranch_execnz .LBB639_177
	s_branch .LBB639_178
.LBB639_265:
	v_sub_nc_u32_e32 v66, v41, v7
	v_mov_b32_e32 v67, 0
	s_delay_alu instid0(VALU_DEP_1) | instskip(NEXT) | instid1(VALU_DEP_1)
	v_lshlrev_b64 v[66:67], 1, v[66:67]
	v_add_co_u32 v66, vcc_lo, v6, v66
	s_delay_alu instid0(VALU_DEP_2)
	v_add_co_ci_u32_e32 v67, vcc_lo, v64, v67, vcc_lo
	global_store_b16 v[66:67], v52, off
	s_or_b32 exec_lo, exec_lo, s18
	s_and_saveexec_b32 s18, s14
	s_cbranch_execz .LBB639_199
.LBB639_266:
	v_sub_nc_u32_e32 v66, v37, v7
	v_mov_b32_e32 v67, 0
	s_delay_alu instid0(VALU_DEP_1) | instskip(NEXT) | instid1(VALU_DEP_1)
	v_lshlrev_b64 v[66:67], 1, v[66:67]
	v_add_co_u32 v66, vcc_lo, v6, v66
	s_delay_alu instid0(VALU_DEP_2)
	v_add_co_ci_u32_e32 v67, vcc_lo, v64, v67, vcc_lo
	global_store_b16 v[66:67], v1, off
	s_or_b32 exec_lo, exec_lo, s18
	s_and_saveexec_b32 s18, s13
	s_cbranch_execz .LBB639_200
.LBB639_267:
	v_sub_nc_u32_e32 v66, v35, v7
	v_mov_b32_e32 v67, 0
	s_delay_alu instid0(VALU_DEP_1) | instskip(NEXT) | instid1(VALU_DEP_1)
	v_lshlrev_b64 v[66:67], 1, v[66:67]
	v_add_co_u32 v66, vcc_lo, v6, v66
	s_delay_alu instid0(VALU_DEP_2)
	v_add_co_ci_u32_e32 v67, vcc_lo, v64, v67, vcc_lo
	global_store_d16_hi_b16 v[66:67], v1, off
	s_or_b32 exec_lo, exec_lo, s18
	s_and_saveexec_b32 s18, s12
	s_cbranch_execz .LBB639_201
.LBB639_268:
	v_sub_nc_u32_e32 v66, v33, v7
	v_mov_b32_e32 v67, 0
	s_delay_alu instid0(VALU_DEP_1) | instskip(NEXT) | instid1(VALU_DEP_1)
	v_lshlrev_b64 v[66:67], 1, v[66:67]
	v_add_co_u32 v66, vcc_lo, v6, v66
	s_delay_alu instid0(VALU_DEP_2)
	v_add_co_ci_u32_e32 v67, vcc_lo, v64, v67, vcc_lo
	global_store_b16 v[66:67], v2, off
	s_or_b32 exec_lo, exec_lo, s18
	s_and_saveexec_b32 s18, s11
	s_cbranch_execz .LBB639_202
.LBB639_269:
	v_sub_nc_u32_e32 v66, v21, v7
	v_mov_b32_e32 v67, 0
	s_delay_alu instid0(VALU_DEP_1) | instskip(NEXT) | instid1(VALU_DEP_1)
	v_lshlrev_b64 v[66:67], 1, v[66:67]
	v_add_co_u32 v66, vcc_lo, v6, v66
	s_delay_alu instid0(VALU_DEP_2)
	v_add_co_ci_u32_e32 v67, vcc_lo, v64, v67, vcc_lo
	global_store_d16_hi_b16 v[66:67], v2, off
	s_or_b32 exec_lo, exec_lo, s18
	s_and_saveexec_b32 s18, s10
	s_cbranch_execz .LBB639_203
.LBB639_270:
	v_sub_nc_u32_e32 v66, v19, v7
	v_mov_b32_e32 v67, 0
	s_delay_alu instid0(VALU_DEP_1) | instskip(NEXT) | instid1(VALU_DEP_1)
	v_lshlrev_b64 v[66:67], 1, v[66:67]
	v_add_co_u32 v66, vcc_lo, v6, v66
	s_delay_alu instid0(VALU_DEP_2)
	v_add_co_ci_u32_e32 v67, vcc_lo, v64, v67, vcc_lo
	global_store_b16 v[66:67], v3, off
	s_or_b32 exec_lo, exec_lo, s18
	s_and_saveexec_b32 s18, s8
	s_cbranch_execz .LBB639_204
.LBB639_271:
	v_sub_nc_u32_e32 v66, v17, v7
	v_mov_b32_e32 v67, 0
	s_delay_alu instid0(VALU_DEP_1) | instskip(NEXT) | instid1(VALU_DEP_1)
	v_lshlrev_b64 v[66:67], 1, v[66:67]
	v_add_co_u32 v66, vcc_lo, v6, v66
	s_delay_alu instid0(VALU_DEP_2)
	v_add_co_ci_u32_e32 v67, vcc_lo, v64, v67, vcc_lo
	global_store_d16_hi_b16 v[66:67], v3, off
	s_or_b32 exec_lo, exec_lo, s18
	s_and_saveexec_b32 s18, s6
	s_cbranch_execz .LBB639_205
.LBB639_272:
	v_sub_nc_u32_e32 v66, v39, v7
	v_mov_b32_e32 v67, 0
	s_delay_alu instid0(VALU_DEP_1) | instskip(NEXT) | instid1(VALU_DEP_1)
	v_lshlrev_b64 v[66:67], 1, v[66:67]
	v_add_co_u32 v66, vcc_lo, v6, v66
	s_delay_alu instid0(VALU_DEP_2)
	v_add_co_ci_u32_e32 v67, vcc_lo, v64, v67, vcc_lo
	global_store_b16 v[66:67], v4, off
	s_or_b32 exec_lo, exec_lo, s18
	s_and_saveexec_b32 s18, s9
	s_cbranch_execz .LBB639_206
.LBB639_273:
	v_sub_nc_u32_e32 v66, v43, v7
	v_mov_b32_e32 v67, 0
	s_delay_alu instid0(VALU_DEP_1) | instskip(NEXT) | instid1(VALU_DEP_1)
	v_lshlrev_b64 v[66:67], 1, v[66:67]
	v_add_co_u32 v66, vcc_lo, v6, v66
	s_delay_alu instid0(VALU_DEP_2)
	v_add_co_ci_u32_e32 v67, vcc_lo, v64, v67, vcc_lo
	global_store_d16_hi_b16 v[66:67], v4, off
	s_or_b32 exec_lo, exec_lo, s18
	s_and_saveexec_b32 s18, s7
	s_cbranch_execz .LBB639_207
.LBB639_274:
	v_sub_nc_u32_e32 v66, v31, v7
	v_mov_b32_e32 v67, 0
	s_delay_alu instid0(VALU_DEP_1) | instskip(NEXT) | instid1(VALU_DEP_1)
	v_lshlrev_b64 v[66:67], 1, v[66:67]
	v_add_co_u32 v66, vcc_lo, v6, v66
	s_delay_alu instid0(VALU_DEP_2)
	v_add_co_ci_u32_e32 v67, vcc_lo, v64, v67, vcc_lo
	global_store_b16 v[66:67], v10, off
	s_or_b32 exec_lo, exec_lo, s18
	s_and_saveexec_b32 s18, s5
	s_cbranch_execz .LBB639_208
.LBB639_275:
	v_sub_nc_u32_e32 v66, v29, v7
	v_mov_b32_e32 v67, 0
	s_delay_alu instid0(VALU_DEP_1) | instskip(NEXT) | instid1(VALU_DEP_1)
	v_lshlrev_b64 v[66:67], 1, v[66:67]
	v_add_co_u32 v66, vcc_lo, v6, v66
	s_delay_alu instid0(VALU_DEP_2)
	v_add_co_ci_u32_e32 v67, vcc_lo, v64, v67, vcc_lo
	global_store_d16_hi_b16 v[66:67], v10, off
	s_or_b32 exec_lo, exec_lo, s18
	s_and_saveexec_b32 s18, s4
	s_cbranch_execz .LBB639_209
.LBB639_276:
	v_sub_nc_u32_e32 v66, v25, v7
	v_mov_b32_e32 v67, 0
	s_delay_alu instid0(VALU_DEP_1) | instskip(NEXT) | instid1(VALU_DEP_1)
	v_lshlrev_b64 v[66:67], 1, v[66:67]
	v_add_co_u32 v66, vcc_lo, v6, v66
	s_delay_alu instid0(VALU_DEP_2)
	v_add_co_ci_u32_e32 v67, vcc_lo, v64, v67, vcc_lo
	global_store_b16 v[66:67], v11, off
	s_or_b32 exec_lo, exec_lo, s18
	s_and_saveexec_b32 s18, s3
	s_cbranch_execz .LBB639_210
.LBB639_277:
	v_sub_nc_u32_e32 v66, v27, v7
	v_mov_b32_e32 v67, 0
	s_delay_alu instid0(VALU_DEP_1) | instskip(NEXT) | instid1(VALU_DEP_1)
	v_lshlrev_b64 v[66:67], 1, v[66:67]
	v_add_co_u32 v66, vcc_lo, v6, v66
	s_delay_alu instid0(VALU_DEP_2)
	v_add_co_ci_u32_e32 v67, vcc_lo, v64, v67, vcc_lo
	global_store_d16_hi_b16 v[66:67], v11, off
	s_or_b32 exec_lo, exec_lo, s18
	s_and_saveexec_b32 s18, s1
	s_cbranch_execnz .LBB639_211
	s_branch .LBB639_212
.LBB639_278:
	v_sub_nc_u32_e32 v65, v41, v7
	s_delay_alu instid0(VALU_DEP_1)
	v_lshlrev_b32_e32 v65, 1, v65
	ds_store_b16 v65, v52
	s_or_b32 exec_lo, exec_lo, s18
	s_and_saveexec_b32 s15, s14
	s_cbranch_execz .LBB639_216
.LBB639_279:
	v_sub_nc_u32_e32 v52, v37, v7
	s_delay_alu instid0(VALU_DEP_1)
	v_lshlrev_b32_e32 v52, 1, v52
	ds_store_b16 v52, v1
	s_or_b32 exec_lo, exec_lo, s15
	s_and_saveexec_b32 s14, s13
	s_cbranch_execz .LBB639_217
.LBB639_280:
	v_sub_nc_u32_e32 v52, v35, v7
	s_delay_alu instid0(VALU_DEP_1)
	v_lshlrev_b32_e32 v52, 1, v52
	ds_store_b16_d16_hi v52, v1
	s_or_b32 exec_lo, exec_lo, s14
	s_and_saveexec_b32 s13, s12
	s_cbranch_execz .LBB639_218
.LBB639_281:
	v_sub_nc_u32_e32 v1, v33, v7
	s_delay_alu instid0(VALU_DEP_1)
	v_lshlrev_b32_e32 v1, 1, v1
	ds_store_b16 v1, v2
	s_or_b32 exec_lo, exec_lo, s13
	s_and_saveexec_b32 s12, s11
	s_cbranch_execz .LBB639_219
.LBB639_282:
	v_sub_nc_u32_e32 v1, v21, v7
	s_delay_alu instid0(VALU_DEP_1)
	v_lshlrev_b32_e32 v1, 1, v1
	ds_store_b16_d16_hi v1, v2
	s_or_b32 exec_lo, exec_lo, s12
	s_and_saveexec_b32 s11, s10
	s_cbranch_execz .LBB639_220
.LBB639_283:
	v_sub_nc_u32_e32 v1, v19, v7
	s_delay_alu instid0(VALU_DEP_1)
	v_lshlrev_b32_e32 v1, 1, v1
	ds_store_b16 v1, v3
	s_or_b32 exec_lo, exec_lo, s11
	s_and_saveexec_b32 s10, s8
	s_cbranch_execz .LBB639_221
.LBB639_284:
	v_sub_nc_u32_e32 v1, v17, v7
	s_delay_alu instid0(VALU_DEP_1)
	v_lshlrev_b32_e32 v1, 1, v1
	ds_store_b16_d16_hi v1, v3
	s_or_b32 exec_lo, exec_lo, s10
	s_and_saveexec_b32 s8, s6
	s_cbranch_execz .LBB639_222
.LBB639_285:
	v_sub_nc_u32_e32 v1, v39, v7
	s_delay_alu instid0(VALU_DEP_1)
	v_lshlrev_b32_e32 v1, 1, v1
	ds_store_b16 v1, v4
	s_or_b32 exec_lo, exec_lo, s8
	s_and_saveexec_b32 s6, s9
	s_cbranch_execz .LBB639_223
.LBB639_286:
	v_sub_nc_u32_e32 v1, v43, v7
	s_delay_alu instid0(VALU_DEP_1)
	v_lshlrev_b32_e32 v1, 1, v1
	ds_store_b16_d16_hi v1, v4
	s_or_b32 exec_lo, exec_lo, s6
	s_and_saveexec_b32 s6, s7
	s_cbranch_execz .LBB639_224
.LBB639_287:
	v_sub_nc_u32_e32 v1, v31, v7
	s_delay_alu instid0(VALU_DEP_1)
	v_lshlrev_b32_e32 v1, 1, v1
	ds_store_b16 v1, v10
	s_or_b32 exec_lo, exec_lo, s6
	s_and_saveexec_b32 s6, s5
	s_cbranch_execz .LBB639_225
.LBB639_288:
	v_sub_nc_u32_e32 v1, v29, v7
	s_delay_alu instid0(VALU_DEP_1)
	v_lshlrev_b32_e32 v1, 1, v1
	ds_store_b16_d16_hi v1, v10
	s_or_b32 exec_lo, exec_lo, s6
	s_and_saveexec_b32 s5, s4
	s_cbranch_execz .LBB639_226
.LBB639_289:
	v_sub_nc_u32_e32 v1, v25, v7
	s_delay_alu instid0(VALU_DEP_1)
	v_lshlrev_b32_e32 v1, 1, v1
	ds_store_b16 v1, v11
	s_or_b32 exec_lo, exec_lo, s5
	s_and_saveexec_b32 s4, s3
	s_cbranch_execz .LBB639_227
.LBB639_290:
	v_sub_nc_u32_e32 v1, v27, v7
	s_delay_alu instid0(VALU_DEP_1)
	v_lshlrev_b32_e32 v1, 1, v1
	ds_store_b16_d16_hi v1, v11
	s_or_b32 exec_lo, exec_lo, s4
	s_and_saveexec_b32 s3, s1
	s_cbranch_execnz .LBB639_228
	s_branch .LBB639_229
.LBB639_291:
	v_sub_nc_u32_e32 v45, v41, v3
	v_mov_b32_e32 v46, 0
	s_delay_alu instid0(VALU_DEP_1) | instskip(NEXT) | instid1(VALU_DEP_1)
	v_lshlrev_b64 v[45:46], 1, v[45:46]
	v_add_co_u32 v45, vcc_lo, v6, v45
	s_delay_alu instid0(VALU_DEP_2)
	v_add_co_ci_u32_e32 v46, vcc_lo, v12, v46, vcc_lo
	global_store_b16 v[45:46], v42, off
	s_or_b32 exec_lo, exec_lo, s17
	s_and_saveexec_b32 s17, s13
	s_cbranch_execz .LBB639_233
.LBB639_292:
	v_sub_nc_u32_e32 v45, v37, v3
	v_mov_b32_e32 v46, 0
	s_delay_alu instid0(VALU_DEP_1) | instskip(NEXT) | instid1(VALU_DEP_1)
	v_lshlrev_b64 v[45:46], 1, v[45:46]
	v_add_co_u32 v45, vcc_lo, v6, v45
	s_delay_alu instid0(VALU_DEP_2)
	v_add_co_ci_u32_e32 v46, vcc_lo, v12, v46, vcc_lo
	global_store_b16 v[45:46], v38, off
	s_or_b32 exec_lo, exec_lo, s17
	s_and_saveexec_b32 s17, s12
	s_cbranch_execz .LBB639_234
.LBB639_293:
	v_sub_nc_u32_e32 v45, v35, v3
	v_mov_b32_e32 v46, 0
	s_delay_alu instid0(VALU_DEP_1) | instskip(NEXT) | instid1(VALU_DEP_1)
	v_lshlrev_b64 v[45:46], 1, v[45:46]
	v_add_co_u32 v45, vcc_lo, v6, v45
	s_delay_alu instid0(VALU_DEP_2)
	v_add_co_ci_u32_e32 v46, vcc_lo, v12, v46, vcc_lo
	global_store_b16 v[45:46], v36, off
	s_or_b32 exec_lo, exec_lo, s17
	s_and_saveexec_b32 s17, s11
	s_cbranch_execz .LBB639_235
.LBB639_294:
	v_sub_nc_u32_e32 v45, v33, v3
	v_mov_b32_e32 v46, 0
	s_delay_alu instid0(VALU_DEP_1) | instskip(NEXT) | instid1(VALU_DEP_1)
	v_lshlrev_b64 v[45:46], 1, v[45:46]
	v_add_co_u32 v45, vcc_lo, v6, v45
	s_delay_alu instid0(VALU_DEP_2)
	v_add_co_ci_u32_e32 v46, vcc_lo, v12, v46, vcc_lo
	global_store_b16 v[45:46], v34, off
	s_or_b32 exec_lo, exec_lo, s17
	s_and_saveexec_b32 s17, s10
	s_cbranch_execz .LBB639_236
.LBB639_295:
	v_sub_nc_u32_e32 v45, v21, v3
	v_mov_b32_e32 v46, 0
	s_delay_alu instid0(VALU_DEP_1) | instskip(NEXT) | instid1(VALU_DEP_1)
	v_lshlrev_b64 v[45:46], 1, v[45:46]
	v_add_co_u32 v45, vcc_lo, v6, v45
	s_delay_alu instid0(VALU_DEP_2)
	v_add_co_ci_u32_e32 v46, vcc_lo, v12, v46, vcc_lo
	global_store_b16 v[45:46], v22, off
	s_or_b32 exec_lo, exec_lo, s17
	s_and_saveexec_b32 s17, s9
	s_cbranch_execz .LBB639_237
.LBB639_296:
	v_sub_nc_u32_e32 v45, v19, v3
	v_mov_b32_e32 v46, 0
	s_delay_alu instid0(VALU_DEP_1) | instskip(NEXT) | instid1(VALU_DEP_1)
	v_lshlrev_b64 v[45:46], 1, v[45:46]
	v_add_co_u32 v45, vcc_lo, v6, v45
	s_delay_alu instid0(VALU_DEP_2)
	v_add_co_ci_u32_e32 v46, vcc_lo, v12, v46, vcc_lo
	global_store_b16 v[45:46], v20, off
	s_or_b32 exec_lo, exec_lo, s17
	s_and_saveexec_b32 s17, s8
	s_cbranch_execz .LBB639_238
.LBB639_297:
	v_sub_nc_u32_e32 v45, v17, v3
	v_mov_b32_e32 v46, 0
	s_delay_alu instid0(VALU_DEP_1) | instskip(NEXT) | instid1(VALU_DEP_1)
	v_lshlrev_b64 v[45:46], 1, v[45:46]
	v_add_co_u32 v45, vcc_lo, v6, v45
	s_delay_alu instid0(VALU_DEP_2)
	v_add_co_ci_u32_e32 v46, vcc_lo, v12, v46, vcc_lo
	global_store_b16 v[45:46], v18, off
	s_or_b32 exec_lo, exec_lo, s17
	s_and_saveexec_b32 s17, s7
	s_cbranch_execz .LBB639_239
.LBB639_298:
	v_sub_nc_u32_e32 v45, v39, v3
	v_mov_b32_e32 v46, 0
	s_delay_alu instid0(VALU_DEP_1) | instskip(NEXT) | instid1(VALU_DEP_1)
	v_lshlrev_b64 v[45:46], 1, v[45:46]
	v_add_co_u32 v45, vcc_lo, v6, v45
	s_delay_alu instid0(VALU_DEP_2)
	v_add_co_ci_u32_e32 v46, vcc_lo, v12, v46, vcc_lo
	global_store_b16 v[45:46], v40, off
	s_or_b32 exec_lo, exec_lo, s17
	s_and_saveexec_b32 s17, s6
	s_cbranch_execz .LBB639_240
.LBB639_299:
	v_sub_nc_u32_e32 v45, v43, v3
	v_mov_b32_e32 v46, 0
	s_delay_alu instid0(VALU_DEP_1) | instskip(NEXT) | instid1(VALU_DEP_1)
	v_lshlrev_b64 v[45:46], 1, v[45:46]
	v_add_co_u32 v45, vcc_lo, v6, v45
	s_delay_alu instid0(VALU_DEP_2)
	v_add_co_ci_u32_e32 v46, vcc_lo, v12, v46, vcc_lo
	global_store_b16 v[45:46], v44, off
	s_or_b32 exec_lo, exec_lo, s17
	s_and_saveexec_b32 s17, s5
	s_cbranch_execz .LBB639_241
.LBB639_300:
	v_sub_nc_u32_e32 v45, v31, v3
	v_mov_b32_e32 v46, 0
	s_delay_alu instid0(VALU_DEP_1) | instskip(NEXT) | instid1(VALU_DEP_1)
	v_lshlrev_b64 v[45:46], 1, v[45:46]
	v_add_co_u32 v45, vcc_lo, v6, v45
	s_delay_alu instid0(VALU_DEP_2)
	v_add_co_ci_u32_e32 v46, vcc_lo, v12, v46, vcc_lo
	global_store_b16 v[45:46], v32, off
	s_or_b32 exec_lo, exec_lo, s17
	s_and_saveexec_b32 s17, s4
	s_cbranch_execz .LBB639_242
.LBB639_301:
	v_sub_nc_u32_e32 v45, v29, v3
	v_mov_b32_e32 v46, 0
	s_delay_alu instid0(VALU_DEP_1) | instskip(NEXT) | instid1(VALU_DEP_1)
	v_lshlrev_b64 v[45:46], 1, v[45:46]
	v_add_co_u32 v45, vcc_lo, v6, v45
	s_delay_alu instid0(VALU_DEP_2)
	v_add_co_ci_u32_e32 v46, vcc_lo, v12, v46, vcc_lo
	global_store_b16 v[45:46], v30, off
	s_or_b32 exec_lo, exec_lo, s17
	s_and_saveexec_b32 s17, s3
	s_cbranch_execz .LBB639_243
.LBB639_302:
	v_sub_nc_u32_e32 v45, v25, v3
	v_mov_b32_e32 v46, 0
	s_delay_alu instid0(VALU_DEP_1) | instskip(NEXT) | instid1(VALU_DEP_1)
	v_lshlrev_b64 v[45:46], 1, v[45:46]
	v_add_co_u32 v45, vcc_lo, v6, v45
	s_delay_alu instid0(VALU_DEP_2)
	v_add_co_ci_u32_e32 v46, vcc_lo, v12, v46, vcc_lo
	global_store_b16 v[45:46], v26, off
	s_or_b32 exec_lo, exec_lo, s17
	s_and_saveexec_b32 s17, s2
	s_cbranch_execz .LBB639_244
.LBB639_303:
	v_sub_nc_u32_e32 v45, v27, v3
	v_mov_b32_e32 v46, 0
	s_delay_alu instid0(VALU_DEP_1) | instskip(NEXT) | instid1(VALU_DEP_1)
	v_lshlrev_b64 v[45:46], 1, v[45:46]
	v_add_co_u32 v45, vcc_lo, v6, v45
	s_delay_alu instid0(VALU_DEP_2)
	v_add_co_ci_u32_e32 v46, vcc_lo, v12, v46, vcc_lo
	global_store_b16 v[45:46], v28, off
	s_or_b32 exec_lo, exec_lo, s17
	s_and_saveexec_b32 s17, s1
	s_cbranch_execnz .LBB639_245
	s_branch .LBB639_246
.LBB639_304:
	v_sub_nc_u32_e32 v8, v41, v3
	s_delay_alu instid0(VALU_DEP_1)
	v_lshlrev_b32_e32 v8, 1, v8
	ds_store_b16 v8, v42
	s_or_b32 exec_lo, exec_lo, s17
	s_and_saveexec_b32 s14, s13
	s_cbranch_execz .LBB639_250
.LBB639_305:
	v_sub_nc_u32_e32 v8, v37, v3
	s_delay_alu instid0(VALU_DEP_1)
	v_lshlrev_b32_e32 v8, 1, v8
	ds_store_b16 v8, v38
	s_or_b32 exec_lo, exec_lo, s14
	s_and_saveexec_b32 s13, s12
	s_cbranch_execz .LBB639_251
.LBB639_306:
	v_sub_nc_u32_e32 v8, v35, v3
	s_delay_alu instid0(VALU_DEP_1)
	v_lshlrev_b32_e32 v8, 1, v8
	ds_store_b16 v8, v36
	s_or_b32 exec_lo, exec_lo, s13
	s_and_saveexec_b32 s12, s11
	s_cbranch_execz .LBB639_252
.LBB639_307:
	v_sub_nc_u32_e32 v8, v33, v3
	s_delay_alu instid0(VALU_DEP_1)
	v_lshlrev_b32_e32 v8, 1, v8
	ds_store_b16 v8, v34
	s_or_b32 exec_lo, exec_lo, s12
	s_and_saveexec_b32 s11, s10
	s_cbranch_execz .LBB639_253
.LBB639_308:
	v_sub_nc_u32_e32 v8, v21, v3
	s_delay_alu instid0(VALU_DEP_1)
	v_lshlrev_b32_e32 v8, 1, v8
	ds_store_b16 v8, v22
	s_or_b32 exec_lo, exec_lo, s11
	s_and_saveexec_b32 s10, s9
	s_cbranch_execz .LBB639_254
.LBB639_309:
	v_sub_nc_u32_e32 v8, v19, v3
	s_delay_alu instid0(VALU_DEP_1)
	v_lshlrev_b32_e32 v8, 1, v8
	ds_store_b16 v8, v20
	s_or_b32 exec_lo, exec_lo, s10
	s_and_saveexec_b32 s9, s8
	s_cbranch_execz .LBB639_255
.LBB639_310:
	v_sub_nc_u32_e32 v8, v17, v3
	s_delay_alu instid0(VALU_DEP_1)
	v_lshlrev_b32_e32 v8, 1, v8
	ds_store_b16 v8, v18
	s_or_b32 exec_lo, exec_lo, s9
	s_and_saveexec_b32 s8, s7
	s_cbranch_execz .LBB639_256
.LBB639_311:
	v_sub_nc_u32_e32 v8, v39, v3
	s_delay_alu instid0(VALU_DEP_1)
	v_lshlrev_b32_e32 v8, 1, v8
	ds_store_b16 v8, v40
	s_or_b32 exec_lo, exec_lo, s8
	s_and_saveexec_b32 s7, s6
	s_cbranch_execz .LBB639_257
.LBB639_312:
	v_sub_nc_u32_e32 v8, v43, v3
	s_delay_alu instid0(VALU_DEP_1)
	v_lshlrev_b32_e32 v8, 1, v8
	ds_store_b16 v8, v44
	s_or_b32 exec_lo, exec_lo, s7
	s_and_saveexec_b32 s6, s5
	s_cbranch_execz .LBB639_258
.LBB639_313:
	v_sub_nc_u32_e32 v8, v31, v3
	s_delay_alu instid0(VALU_DEP_1)
	v_lshlrev_b32_e32 v8, 1, v8
	ds_store_b16 v8, v32
	s_or_b32 exec_lo, exec_lo, s6
	s_and_saveexec_b32 s5, s4
	s_cbranch_execz .LBB639_259
.LBB639_314:
	v_sub_nc_u32_e32 v8, v29, v3
	s_delay_alu instid0(VALU_DEP_1)
	v_lshlrev_b32_e32 v8, 1, v8
	ds_store_b16 v8, v30
	s_or_b32 exec_lo, exec_lo, s5
	s_and_saveexec_b32 s4, s3
	s_cbranch_execz .LBB639_260
.LBB639_315:
	v_sub_nc_u32_e32 v8, v25, v3
	s_delay_alu instid0(VALU_DEP_1)
	v_lshlrev_b32_e32 v8, 1, v8
	ds_store_b16 v8, v26
	s_or_b32 exec_lo, exec_lo, s4
	s_and_saveexec_b32 s3, s2
	s_cbranch_execz .LBB639_261
.LBB639_316:
	v_sub_nc_u32_e32 v8, v27, v3
	s_delay_alu instid0(VALU_DEP_1)
	v_lshlrev_b32_e32 v8, 1, v8
	ds_store_b16 v8, v28
	s_or_b32 exec_lo, exec_lo, s3
	s_and_saveexec_b32 s2, s1
	s_cbranch_execnz .LBB639_262
	s_branch .LBB639_263
	.section	.rodata,"a",@progbits
	.p2align	6, 0x0
	.amdhsa_kernel _ZN7rocprim17ROCPRIM_400000_NS6detail17trampoline_kernelINS0_14default_configENS1_29reduce_by_key_config_selectorIssN6thrust23THRUST_200600_302600_NS4plusIsEEEEZZNS1_33reduce_by_key_impl_wrapped_configILNS1_25lookback_scan_determinismE0ES3_S9_NS6_6detail15normal_iteratorINS6_10device_ptrIsEEEESG_SG_SG_PmS8_NS6_8equal_toIsEEEE10hipError_tPvRmT2_T3_mT4_T5_T6_T7_T8_P12ihipStream_tbENKUlT_T0_E_clISt17integral_constantIbLb1EES11_EEDaSW_SX_EUlSW_E_NS1_11comp_targetILNS1_3genE9ELNS1_11target_archE1100ELNS1_3gpuE3ELNS1_3repE0EEENS1_30default_config_static_selectorELNS0_4arch9wavefront6targetE0EEEvT1_
		.amdhsa_group_segment_fixed_size 7680
		.amdhsa_private_segment_fixed_size 0
		.amdhsa_kernarg_size 120
		.amdhsa_user_sgpr_count 15
		.amdhsa_user_sgpr_dispatch_ptr 0
		.amdhsa_user_sgpr_queue_ptr 0
		.amdhsa_user_sgpr_kernarg_segment_ptr 1
		.amdhsa_user_sgpr_dispatch_id 0
		.amdhsa_user_sgpr_private_segment_size 0
		.amdhsa_wavefront_size32 1
		.amdhsa_uses_dynamic_stack 0
		.amdhsa_enable_private_segment 0
		.amdhsa_system_sgpr_workgroup_id_x 1
		.amdhsa_system_sgpr_workgroup_id_y 0
		.amdhsa_system_sgpr_workgroup_id_z 0
		.amdhsa_system_sgpr_workgroup_info 0
		.amdhsa_system_vgpr_workitem_id 0
		.amdhsa_next_free_vgpr 102
		.amdhsa_next_free_sgpr 46
		.amdhsa_reserve_vcc 1
		.amdhsa_float_round_mode_32 0
		.amdhsa_float_round_mode_16_64 0
		.amdhsa_float_denorm_mode_32 3
		.amdhsa_float_denorm_mode_16_64 3
		.amdhsa_dx10_clamp 1
		.amdhsa_ieee_mode 1
		.amdhsa_fp16_overflow 0
		.amdhsa_workgroup_processor_mode 1
		.amdhsa_memory_ordered 1
		.amdhsa_forward_progress 0
		.amdhsa_shared_vgpr_count 0
		.amdhsa_exception_fp_ieee_invalid_op 0
		.amdhsa_exception_fp_denorm_src 0
		.amdhsa_exception_fp_ieee_div_zero 0
		.amdhsa_exception_fp_ieee_overflow 0
		.amdhsa_exception_fp_ieee_underflow 0
		.amdhsa_exception_fp_ieee_inexact 0
		.amdhsa_exception_int_div_zero 0
	.end_amdhsa_kernel
	.section	.text._ZN7rocprim17ROCPRIM_400000_NS6detail17trampoline_kernelINS0_14default_configENS1_29reduce_by_key_config_selectorIssN6thrust23THRUST_200600_302600_NS4plusIsEEEEZZNS1_33reduce_by_key_impl_wrapped_configILNS1_25lookback_scan_determinismE0ES3_S9_NS6_6detail15normal_iteratorINS6_10device_ptrIsEEEESG_SG_SG_PmS8_NS6_8equal_toIsEEEE10hipError_tPvRmT2_T3_mT4_T5_T6_T7_T8_P12ihipStream_tbENKUlT_T0_E_clISt17integral_constantIbLb1EES11_EEDaSW_SX_EUlSW_E_NS1_11comp_targetILNS1_3genE9ELNS1_11target_archE1100ELNS1_3gpuE3ELNS1_3repE0EEENS1_30default_config_static_selectorELNS0_4arch9wavefront6targetE0EEEvT1_,"axG",@progbits,_ZN7rocprim17ROCPRIM_400000_NS6detail17trampoline_kernelINS0_14default_configENS1_29reduce_by_key_config_selectorIssN6thrust23THRUST_200600_302600_NS4plusIsEEEEZZNS1_33reduce_by_key_impl_wrapped_configILNS1_25lookback_scan_determinismE0ES3_S9_NS6_6detail15normal_iteratorINS6_10device_ptrIsEEEESG_SG_SG_PmS8_NS6_8equal_toIsEEEE10hipError_tPvRmT2_T3_mT4_T5_T6_T7_T8_P12ihipStream_tbENKUlT_T0_E_clISt17integral_constantIbLb1EES11_EEDaSW_SX_EUlSW_E_NS1_11comp_targetILNS1_3genE9ELNS1_11target_archE1100ELNS1_3gpuE3ELNS1_3repE0EEENS1_30default_config_static_selectorELNS0_4arch9wavefront6targetE0EEEvT1_,comdat
.Lfunc_end639:
	.size	_ZN7rocprim17ROCPRIM_400000_NS6detail17trampoline_kernelINS0_14default_configENS1_29reduce_by_key_config_selectorIssN6thrust23THRUST_200600_302600_NS4plusIsEEEEZZNS1_33reduce_by_key_impl_wrapped_configILNS1_25lookback_scan_determinismE0ES3_S9_NS6_6detail15normal_iteratorINS6_10device_ptrIsEEEESG_SG_SG_PmS8_NS6_8equal_toIsEEEE10hipError_tPvRmT2_T3_mT4_T5_T6_T7_T8_P12ihipStream_tbENKUlT_T0_E_clISt17integral_constantIbLb1EES11_EEDaSW_SX_EUlSW_E_NS1_11comp_targetILNS1_3genE9ELNS1_11target_archE1100ELNS1_3gpuE3ELNS1_3repE0EEENS1_30default_config_static_selectorELNS0_4arch9wavefront6targetE0EEEvT1_, .Lfunc_end639-_ZN7rocprim17ROCPRIM_400000_NS6detail17trampoline_kernelINS0_14default_configENS1_29reduce_by_key_config_selectorIssN6thrust23THRUST_200600_302600_NS4plusIsEEEEZZNS1_33reduce_by_key_impl_wrapped_configILNS1_25lookback_scan_determinismE0ES3_S9_NS6_6detail15normal_iteratorINS6_10device_ptrIsEEEESG_SG_SG_PmS8_NS6_8equal_toIsEEEE10hipError_tPvRmT2_T3_mT4_T5_T6_T7_T8_P12ihipStream_tbENKUlT_T0_E_clISt17integral_constantIbLb1EES11_EEDaSW_SX_EUlSW_E_NS1_11comp_targetILNS1_3genE9ELNS1_11target_archE1100ELNS1_3gpuE3ELNS1_3repE0EEENS1_30default_config_static_selectorELNS0_4arch9wavefront6targetE0EEEvT1_
                                        ; -- End function
	.section	.AMDGPU.csdata,"",@progbits
; Kernel info:
; codeLenInByte = 21332
; NumSgprs: 48
; NumVgprs: 102
; ScratchSize: 0
; MemoryBound: 0
; FloatMode: 240
; IeeeMode: 1
; LDSByteSize: 7680 bytes/workgroup (compile time only)
; SGPRBlocks: 5
; VGPRBlocks: 12
; NumSGPRsForWavesPerEU: 48
; NumVGPRsForWavesPerEU: 102
; Occupancy: 12
; WaveLimiterHint : 1
; COMPUTE_PGM_RSRC2:SCRATCH_EN: 0
; COMPUTE_PGM_RSRC2:USER_SGPR: 15
; COMPUTE_PGM_RSRC2:TRAP_HANDLER: 0
; COMPUTE_PGM_RSRC2:TGID_X_EN: 1
; COMPUTE_PGM_RSRC2:TGID_Y_EN: 0
; COMPUTE_PGM_RSRC2:TGID_Z_EN: 0
; COMPUTE_PGM_RSRC2:TIDIG_COMP_CNT: 0
	.section	.text._ZN7rocprim17ROCPRIM_400000_NS6detail17trampoline_kernelINS0_14default_configENS1_29reduce_by_key_config_selectorIssN6thrust23THRUST_200600_302600_NS4plusIsEEEEZZNS1_33reduce_by_key_impl_wrapped_configILNS1_25lookback_scan_determinismE0ES3_S9_NS6_6detail15normal_iteratorINS6_10device_ptrIsEEEESG_SG_SG_PmS8_NS6_8equal_toIsEEEE10hipError_tPvRmT2_T3_mT4_T5_T6_T7_T8_P12ihipStream_tbENKUlT_T0_E_clISt17integral_constantIbLb1EES11_EEDaSW_SX_EUlSW_E_NS1_11comp_targetILNS1_3genE8ELNS1_11target_archE1030ELNS1_3gpuE2ELNS1_3repE0EEENS1_30default_config_static_selectorELNS0_4arch9wavefront6targetE0EEEvT1_,"axG",@progbits,_ZN7rocprim17ROCPRIM_400000_NS6detail17trampoline_kernelINS0_14default_configENS1_29reduce_by_key_config_selectorIssN6thrust23THRUST_200600_302600_NS4plusIsEEEEZZNS1_33reduce_by_key_impl_wrapped_configILNS1_25lookback_scan_determinismE0ES3_S9_NS6_6detail15normal_iteratorINS6_10device_ptrIsEEEESG_SG_SG_PmS8_NS6_8equal_toIsEEEE10hipError_tPvRmT2_T3_mT4_T5_T6_T7_T8_P12ihipStream_tbENKUlT_T0_E_clISt17integral_constantIbLb1EES11_EEDaSW_SX_EUlSW_E_NS1_11comp_targetILNS1_3genE8ELNS1_11target_archE1030ELNS1_3gpuE2ELNS1_3repE0EEENS1_30default_config_static_selectorELNS0_4arch9wavefront6targetE0EEEvT1_,comdat
	.protected	_ZN7rocprim17ROCPRIM_400000_NS6detail17trampoline_kernelINS0_14default_configENS1_29reduce_by_key_config_selectorIssN6thrust23THRUST_200600_302600_NS4plusIsEEEEZZNS1_33reduce_by_key_impl_wrapped_configILNS1_25lookback_scan_determinismE0ES3_S9_NS6_6detail15normal_iteratorINS6_10device_ptrIsEEEESG_SG_SG_PmS8_NS6_8equal_toIsEEEE10hipError_tPvRmT2_T3_mT4_T5_T6_T7_T8_P12ihipStream_tbENKUlT_T0_E_clISt17integral_constantIbLb1EES11_EEDaSW_SX_EUlSW_E_NS1_11comp_targetILNS1_3genE8ELNS1_11target_archE1030ELNS1_3gpuE2ELNS1_3repE0EEENS1_30default_config_static_selectorELNS0_4arch9wavefront6targetE0EEEvT1_ ; -- Begin function _ZN7rocprim17ROCPRIM_400000_NS6detail17trampoline_kernelINS0_14default_configENS1_29reduce_by_key_config_selectorIssN6thrust23THRUST_200600_302600_NS4plusIsEEEEZZNS1_33reduce_by_key_impl_wrapped_configILNS1_25lookback_scan_determinismE0ES3_S9_NS6_6detail15normal_iteratorINS6_10device_ptrIsEEEESG_SG_SG_PmS8_NS6_8equal_toIsEEEE10hipError_tPvRmT2_T3_mT4_T5_T6_T7_T8_P12ihipStream_tbENKUlT_T0_E_clISt17integral_constantIbLb1EES11_EEDaSW_SX_EUlSW_E_NS1_11comp_targetILNS1_3genE8ELNS1_11target_archE1030ELNS1_3gpuE2ELNS1_3repE0EEENS1_30default_config_static_selectorELNS0_4arch9wavefront6targetE0EEEvT1_
	.globl	_ZN7rocprim17ROCPRIM_400000_NS6detail17trampoline_kernelINS0_14default_configENS1_29reduce_by_key_config_selectorIssN6thrust23THRUST_200600_302600_NS4plusIsEEEEZZNS1_33reduce_by_key_impl_wrapped_configILNS1_25lookback_scan_determinismE0ES3_S9_NS6_6detail15normal_iteratorINS6_10device_ptrIsEEEESG_SG_SG_PmS8_NS6_8equal_toIsEEEE10hipError_tPvRmT2_T3_mT4_T5_T6_T7_T8_P12ihipStream_tbENKUlT_T0_E_clISt17integral_constantIbLb1EES11_EEDaSW_SX_EUlSW_E_NS1_11comp_targetILNS1_3genE8ELNS1_11target_archE1030ELNS1_3gpuE2ELNS1_3repE0EEENS1_30default_config_static_selectorELNS0_4arch9wavefront6targetE0EEEvT1_
	.p2align	8
	.type	_ZN7rocprim17ROCPRIM_400000_NS6detail17trampoline_kernelINS0_14default_configENS1_29reduce_by_key_config_selectorIssN6thrust23THRUST_200600_302600_NS4plusIsEEEEZZNS1_33reduce_by_key_impl_wrapped_configILNS1_25lookback_scan_determinismE0ES3_S9_NS6_6detail15normal_iteratorINS6_10device_ptrIsEEEESG_SG_SG_PmS8_NS6_8equal_toIsEEEE10hipError_tPvRmT2_T3_mT4_T5_T6_T7_T8_P12ihipStream_tbENKUlT_T0_E_clISt17integral_constantIbLb1EES11_EEDaSW_SX_EUlSW_E_NS1_11comp_targetILNS1_3genE8ELNS1_11target_archE1030ELNS1_3gpuE2ELNS1_3repE0EEENS1_30default_config_static_selectorELNS0_4arch9wavefront6targetE0EEEvT1_,@function
_ZN7rocprim17ROCPRIM_400000_NS6detail17trampoline_kernelINS0_14default_configENS1_29reduce_by_key_config_selectorIssN6thrust23THRUST_200600_302600_NS4plusIsEEEEZZNS1_33reduce_by_key_impl_wrapped_configILNS1_25lookback_scan_determinismE0ES3_S9_NS6_6detail15normal_iteratorINS6_10device_ptrIsEEEESG_SG_SG_PmS8_NS6_8equal_toIsEEEE10hipError_tPvRmT2_T3_mT4_T5_T6_T7_T8_P12ihipStream_tbENKUlT_T0_E_clISt17integral_constantIbLb1EES11_EEDaSW_SX_EUlSW_E_NS1_11comp_targetILNS1_3genE8ELNS1_11target_archE1030ELNS1_3gpuE2ELNS1_3repE0EEENS1_30default_config_static_selectorELNS0_4arch9wavefront6targetE0EEEvT1_: ; @_ZN7rocprim17ROCPRIM_400000_NS6detail17trampoline_kernelINS0_14default_configENS1_29reduce_by_key_config_selectorIssN6thrust23THRUST_200600_302600_NS4plusIsEEEEZZNS1_33reduce_by_key_impl_wrapped_configILNS1_25lookback_scan_determinismE0ES3_S9_NS6_6detail15normal_iteratorINS6_10device_ptrIsEEEESG_SG_SG_PmS8_NS6_8equal_toIsEEEE10hipError_tPvRmT2_T3_mT4_T5_T6_T7_T8_P12ihipStream_tbENKUlT_T0_E_clISt17integral_constantIbLb1EES11_EEDaSW_SX_EUlSW_E_NS1_11comp_targetILNS1_3genE8ELNS1_11target_archE1030ELNS1_3gpuE2ELNS1_3repE0EEENS1_30default_config_static_selectorELNS0_4arch9wavefront6targetE0EEEvT1_
; %bb.0:
	.section	.rodata,"a",@progbits
	.p2align	6, 0x0
	.amdhsa_kernel _ZN7rocprim17ROCPRIM_400000_NS6detail17trampoline_kernelINS0_14default_configENS1_29reduce_by_key_config_selectorIssN6thrust23THRUST_200600_302600_NS4plusIsEEEEZZNS1_33reduce_by_key_impl_wrapped_configILNS1_25lookback_scan_determinismE0ES3_S9_NS6_6detail15normal_iteratorINS6_10device_ptrIsEEEESG_SG_SG_PmS8_NS6_8equal_toIsEEEE10hipError_tPvRmT2_T3_mT4_T5_T6_T7_T8_P12ihipStream_tbENKUlT_T0_E_clISt17integral_constantIbLb1EES11_EEDaSW_SX_EUlSW_E_NS1_11comp_targetILNS1_3genE8ELNS1_11target_archE1030ELNS1_3gpuE2ELNS1_3repE0EEENS1_30default_config_static_selectorELNS0_4arch9wavefront6targetE0EEEvT1_
		.amdhsa_group_segment_fixed_size 0
		.amdhsa_private_segment_fixed_size 0
		.amdhsa_kernarg_size 120
		.amdhsa_user_sgpr_count 15
		.amdhsa_user_sgpr_dispatch_ptr 0
		.amdhsa_user_sgpr_queue_ptr 0
		.amdhsa_user_sgpr_kernarg_segment_ptr 1
		.amdhsa_user_sgpr_dispatch_id 0
		.amdhsa_user_sgpr_private_segment_size 0
		.amdhsa_wavefront_size32 1
		.amdhsa_uses_dynamic_stack 0
		.amdhsa_enable_private_segment 0
		.amdhsa_system_sgpr_workgroup_id_x 1
		.amdhsa_system_sgpr_workgroup_id_y 0
		.amdhsa_system_sgpr_workgroup_id_z 0
		.amdhsa_system_sgpr_workgroup_info 0
		.amdhsa_system_vgpr_workitem_id 0
		.amdhsa_next_free_vgpr 1
		.amdhsa_next_free_sgpr 1
		.amdhsa_reserve_vcc 0
		.amdhsa_float_round_mode_32 0
		.amdhsa_float_round_mode_16_64 0
		.amdhsa_float_denorm_mode_32 3
		.amdhsa_float_denorm_mode_16_64 3
		.amdhsa_dx10_clamp 1
		.amdhsa_ieee_mode 1
		.amdhsa_fp16_overflow 0
		.amdhsa_workgroup_processor_mode 1
		.amdhsa_memory_ordered 1
		.amdhsa_forward_progress 0
		.amdhsa_shared_vgpr_count 0
		.amdhsa_exception_fp_ieee_invalid_op 0
		.amdhsa_exception_fp_denorm_src 0
		.amdhsa_exception_fp_ieee_div_zero 0
		.amdhsa_exception_fp_ieee_overflow 0
		.amdhsa_exception_fp_ieee_underflow 0
		.amdhsa_exception_fp_ieee_inexact 0
		.amdhsa_exception_int_div_zero 0
	.end_amdhsa_kernel
	.section	.text._ZN7rocprim17ROCPRIM_400000_NS6detail17trampoline_kernelINS0_14default_configENS1_29reduce_by_key_config_selectorIssN6thrust23THRUST_200600_302600_NS4plusIsEEEEZZNS1_33reduce_by_key_impl_wrapped_configILNS1_25lookback_scan_determinismE0ES3_S9_NS6_6detail15normal_iteratorINS6_10device_ptrIsEEEESG_SG_SG_PmS8_NS6_8equal_toIsEEEE10hipError_tPvRmT2_T3_mT4_T5_T6_T7_T8_P12ihipStream_tbENKUlT_T0_E_clISt17integral_constantIbLb1EES11_EEDaSW_SX_EUlSW_E_NS1_11comp_targetILNS1_3genE8ELNS1_11target_archE1030ELNS1_3gpuE2ELNS1_3repE0EEENS1_30default_config_static_selectorELNS0_4arch9wavefront6targetE0EEEvT1_,"axG",@progbits,_ZN7rocprim17ROCPRIM_400000_NS6detail17trampoline_kernelINS0_14default_configENS1_29reduce_by_key_config_selectorIssN6thrust23THRUST_200600_302600_NS4plusIsEEEEZZNS1_33reduce_by_key_impl_wrapped_configILNS1_25lookback_scan_determinismE0ES3_S9_NS6_6detail15normal_iteratorINS6_10device_ptrIsEEEESG_SG_SG_PmS8_NS6_8equal_toIsEEEE10hipError_tPvRmT2_T3_mT4_T5_T6_T7_T8_P12ihipStream_tbENKUlT_T0_E_clISt17integral_constantIbLb1EES11_EEDaSW_SX_EUlSW_E_NS1_11comp_targetILNS1_3genE8ELNS1_11target_archE1030ELNS1_3gpuE2ELNS1_3repE0EEENS1_30default_config_static_selectorELNS0_4arch9wavefront6targetE0EEEvT1_,comdat
.Lfunc_end640:
	.size	_ZN7rocprim17ROCPRIM_400000_NS6detail17trampoline_kernelINS0_14default_configENS1_29reduce_by_key_config_selectorIssN6thrust23THRUST_200600_302600_NS4plusIsEEEEZZNS1_33reduce_by_key_impl_wrapped_configILNS1_25lookback_scan_determinismE0ES3_S9_NS6_6detail15normal_iteratorINS6_10device_ptrIsEEEESG_SG_SG_PmS8_NS6_8equal_toIsEEEE10hipError_tPvRmT2_T3_mT4_T5_T6_T7_T8_P12ihipStream_tbENKUlT_T0_E_clISt17integral_constantIbLb1EES11_EEDaSW_SX_EUlSW_E_NS1_11comp_targetILNS1_3genE8ELNS1_11target_archE1030ELNS1_3gpuE2ELNS1_3repE0EEENS1_30default_config_static_selectorELNS0_4arch9wavefront6targetE0EEEvT1_, .Lfunc_end640-_ZN7rocprim17ROCPRIM_400000_NS6detail17trampoline_kernelINS0_14default_configENS1_29reduce_by_key_config_selectorIssN6thrust23THRUST_200600_302600_NS4plusIsEEEEZZNS1_33reduce_by_key_impl_wrapped_configILNS1_25lookback_scan_determinismE0ES3_S9_NS6_6detail15normal_iteratorINS6_10device_ptrIsEEEESG_SG_SG_PmS8_NS6_8equal_toIsEEEE10hipError_tPvRmT2_T3_mT4_T5_T6_T7_T8_P12ihipStream_tbENKUlT_T0_E_clISt17integral_constantIbLb1EES11_EEDaSW_SX_EUlSW_E_NS1_11comp_targetILNS1_3genE8ELNS1_11target_archE1030ELNS1_3gpuE2ELNS1_3repE0EEENS1_30default_config_static_selectorELNS0_4arch9wavefront6targetE0EEEvT1_
                                        ; -- End function
	.section	.AMDGPU.csdata,"",@progbits
; Kernel info:
; codeLenInByte = 0
; NumSgprs: 0
; NumVgprs: 0
; ScratchSize: 0
; MemoryBound: 0
; FloatMode: 240
; IeeeMode: 1
; LDSByteSize: 0 bytes/workgroup (compile time only)
; SGPRBlocks: 0
; VGPRBlocks: 0
; NumSGPRsForWavesPerEU: 1
; NumVGPRsForWavesPerEU: 1
; Occupancy: 16
; WaveLimiterHint : 0
; COMPUTE_PGM_RSRC2:SCRATCH_EN: 0
; COMPUTE_PGM_RSRC2:USER_SGPR: 15
; COMPUTE_PGM_RSRC2:TRAP_HANDLER: 0
; COMPUTE_PGM_RSRC2:TGID_X_EN: 1
; COMPUTE_PGM_RSRC2:TGID_Y_EN: 0
; COMPUTE_PGM_RSRC2:TGID_Z_EN: 0
; COMPUTE_PGM_RSRC2:TIDIG_COMP_CNT: 0
	.section	.text._ZN7rocprim17ROCPRIM_400000_NS6detail25reduce_by_key_init_kernelINS1_19lookback_scan_stateINS0_5tupleIJjsEEELb1ELb1EEEsNS1_16block_id_wrapperIjLb0EEEEEvT_jbjPmPT0_T1_,"axG",@progbits,_ZN7rocprim17ROCPRIM_400000_NS6detail25reduce_by_key_init_kernelINS1_19lookback_scan_stateINS0_5tupleIJjsEEELb1ELb1EEEsNS1_16block_id_wrapperIjLb0EEEEEvT_jbjPmPT0_T1_,comdat
	.protected	_ZN7rocprim17ROCPRIM_400000_NS6detail25reduce_by_key_init_kernelINS1_19lookback_scan_stateINS0_5tupleIJjsEEELb1ELb1EEEsNS1_16block_id_wrapperIjLb0EEEEEvT_jbjPmPT0_T1_ ; -- Begin function _ZN7rocprim17ROCPRIM_400000_NS6detail25reduce_by_key_init_kernelINS1_19lookback_scan_stateINS0_5tupleIJjsEEELb1ELb1EEEsNS1_16block_id_wrapperIjLb0EEEEEvT_jbjPmPT0_T1_
	.globl	_ZN7rocprim17ROCPRIM_400000_NS6detail25reduce_by_key_init_kernelINS1_19lookback_scan_stateINS0_5tupleIJjsEEELb1ELb1EEEsNS1_16block_id_wrapperIjLb0EEEEEvT_jbjPmPT0_T1_
	.p2align	8
	.type	_ZN7rocprim17ROCPRIM_400000_NS6detail25reduce_by_key_init_kernelINS1_19lookback_scan_stateINS0_5tupleIJjsEEELb1ELb1EEEsNS1_16block_id_wrapperIjLb0EEEEEvT_jbjPmPT0_T1_,@function
_ZN7rocprim17ROCPRIM_400000_NS6detail25reduce_by_key_init_kernelINS1_19lookback_scan_stateINS0_5tupleIJjsEEELb1ELb1EEEsNS1_16block_id_wrapperIjLb0EEEEEvT_jbjPmPT0_T1_: ; @_ZN7rocprim17ROCPRIM_400000_NS6detail25reduce_by_key_init_kernelINS1_19lookback_scan_stateINS0_5tupleIJjsEEELb1ELb1EEEsNS1_16block_id_wrapperIjLb0EEEEEvT_jbjPmPT0_T1_
; %bb.0:
	s_clause 0x2
	s_load_b32 s2, s[0:1], 0x3c
	s_load_b256 s[4:11], s[0:1], 0x8
	s_load_b64 s[0:1], s[0:1], 0x0
	s_waitcnt lgkmcnt(0)
	s_and_b32 s2, s2, 0xffff
	s_delay_alu instid0(SALU_CYCLE_1) | instskip(SKIP_1) | instid1(SALU_CYCLE_1)
	v_mad_u64_u32 v[1:2], null, s15, s2, v[0:1]
	s_and_b32 s2, s5, 1
	s_cmp_eq_u32 s2, 0
	s_mov_b32 s2, -1
	s_cbranch_scc1 .LBB641_7
; %bb.1:
	s_and_not1_b32 vcc_lo, exec_lo, s2
	s_cbranch_vccz .LBB641_16
.LBB641_2:
	s_mov_b32 s2, exec_lo
	v_cmpx_gt_u32_e64 s4, v1
	s_cbranch_execz .LBB641_4
.LBB641_3:
	v_dual_mov_b32 v3, 0 :: v_dual_add_nc_u32 v2, 32, v1
	s_delay_alu instid0(VALU_DEP_1) | instskip(SKIP_2) | instid1(VALU_DEP_3)
	v_lshlrev_b64 v[5:6], 4, v[2:3]
	v_mov_b32_e32 v2, v3
	v_mov_b32_e32 v4, v3
	v_add_co_u32 v7, vcc_lo, s0, v5
	s_delay_alu instid0(VALU_DEP_4)
	v_add_co_ci_u32_e32 v8, vcc_lo, s1, v6, vcc_lo
	v_mov_b32_e32 v5, v3
	global_store_b128 v[7:8], v[2:5], off
.LBB641_4:
	s_or_b32 exec_lo, exec_lo, s2
	s_delay_alu instid0(SALU_CYCLE_1)
	s_mov_b32 s2, exec_lo
	v_cmpx_gt_u32_e32 32, v1
	s_cbranch_execz .LBB641_6
; %bb.5:
	v_dual_mov_b32 v2, 0 :: v_dual_mov_b32 v3, 0xff
	s_delay_alu instid0(VALU_DEP_1) | instskip(SKIP_1) | instid1(VALU_DEP_2)
	v_lshlrev_b64 v[4:5], 4, v[1:2]
	v_mov_b32_e32 v1, v2
	v_add_co_u32 v6, vcc_lo, s0, v4
	s_delay_alu instid0(VALU_DEP_3)
	v_add_co_ci_u32_e32 v7, vcc_lo, s1, v5, vcc_lo
	v_mov_b32_e32 v4, v2
	global_store_b128 v[6:7], v[1:4], off
.LBB641_6:
	s_nop 0
	s_sendmsg sendmsg(MSG_DEALLOC_VGPRS)
	s_endpgm
.LBB641_7:
	s_cmp_lt_u32 s6, s4
	s_mov_b32 s5, exec_lo
	s_cselect_b32 s2, s6, 0
	s_delay_alu instid0(SALU_CYCLE_1)
	v_cmpx_eq_u32_e64 s2, v1
	s_cbranch_execz .LBB641_15
; %bb.8:
	s_add_i32 s2, s6, 32
	s_mov_b32 s3, 0
	v_mov_b32_e32 v6, 0
	s_lshl_b64 s[6:7], s[2:3], 4
	s_mov_b32 s2, exec_lo
	s_add_u32 s6, s0, s6
	s_addc_u32 s7, s1, s7
	s_delay_alu instid0(SALU_CYCLE_1) | instskip(SKIP_2) | instid1(VALU_DEP_1)
	v_dual_mov_b32 v2, s6 :: v_dual_mov_b32 v3, s7
	;;#ASMSTART
	global_load_dwordx4 v[2:5], v[2:3] off glc	
s_waitcnt vmcnt(0)
	;;#ASMEND
	v_and_b32_e32 v5, 0xff, v4
	v_cmpx_eq_u64_e32 0, v[5:6]
	s_cbranch_execz .LBB641_14
; %bb.9:
	v_dual_mov_b32 v8, s7 :: v_dual_mov_b32 v7, s6
	s_mov_b32 s6, 1
	.p2align	6
.LBB641_10:                             ; =>This Loop Header: Depth=1
                                        ;     Child Loop BB641_11 Depth 2
	s_delay_alu instid0(SALU_CYCLE_1)
	s_max_u32 s7, s6, 1
.LBB641_11:                             ;   Parent Loop BB641_10 Depth=1
                                        ; =>  This Inner Loop Header: Depth=2
	s_delay_alu instid0(SALU_CYCLE_1)
	s_add_i32 s7, s7, -1
	s_sleep 1
	s_cmp_eq_u32 s7, 0
	s_cbranch_scc0 .LBB641_11
; %bb.12:                               ;   in Loop: Header=BB641_10 Depth=1
	;;#ASMSTART
	global_load_dwordx4 v[2:5], v[7:8] off glc	
s_waitcnt vmcnt(0)
	;;#ASMEND
	v_and_b32_e32 v5, 0xff, v4
	s_cmp_lt_u32 s6, 32
	s_cselect_b32 s7, -1, 0
	s_delay_alu instid0(SALU_CYCLE_1) | instskip(NEXT) | instid1(VALU_DEP_1)
	s_cmp_lg_u32 s7, 0
	v_cmp_ne_u64_e32 vcc_lo, 0, v[5:6]
	s_addc_u32 s6, s6, 0
	s_or_b32 s3, vcc_lo, s3
	s_delay_alu instid0(SALU_CYCLE_1)
	s_and_not1_b32 exec_lo, exec_lo, s3
	s_cbranch_execnz .LBB641_10
; %bb.13:
	s_or_b32 exec_lo, exec_lo, s3
.LBB641_14:
	s_delay_alu instid0(SALU_CYCLE_1)
	s_or_b32 exec_lo, exec_lo, s2
	v_mov_b32_e32 v0, 0
	global_load_b64 v[4:5], v0, s[8:9]
	s_waitcnt vmcnt(0)
	v_add_co_u32 v4, vcc_lo, v4, v2
	v_add_co_ci_u32_e32 v5, vcc_lo, 0, v5, vcc_lo
	s_clause 0x1
	global_store_b64 v0, v[4:5], s[8:9]
	global_store_b16 v0, v3, s[10:11]
.LBB641_15:
	s_or_b32 exec_lo, exec_lo, s5
	s_cbranch_execnz .LBB641_2
.LBB641_16:
	s_delay_alu instid0(VALU_DEP_1) | instskip(SKIP_2) | instid1(SALU_CYCLE_1)
	v_cmp_eq_u32_e32 vcc_lo, 0, v1
	s_cmp_lg_u64 s[8:9], 0
	s_cselect_b32 s2, -1, 0
	s_and_b32 s3, s2, vcc_lo
	s_delay_alu instid0(SALU_CYCLE_1)
	s_and_saveexec_b32 s2, s3
	s_cbranch_execz .LBB641_18
; %bb.17:
	v_mov_b32_e32 v2, 0
	s_delay_alu instid0(VALU_DEP_1)
	v_mov_b32_e32 v3, v2
	global_store_b64 v2, v[2:3], s[8:9]
.LBB641_18:
	s_or_b32 exec_lo, exec_lo, s2
	s_delay_alu instid0(SALU_CYCLE_1)
	s_mov_b32 s2, exec_lo
	v_cmpx_gt_u32_e64 s4, v1
	s_cbranch_execnz .LBB641_3
	s_branch .LBB641_4
	.section	.rodata,"a",@progbits
	.p2align	6, 0x0
	.amdhsa_kernel _ZN7rocprim17ROCPRIM_400000_NS6detail25reduce_by_key_init_kernelINS1_19lookback_scan_stateINS0_5tupleIJjsEEELb1ELb1EEEsNS1_16block_id_wrapperIjLb0EEEEEvT_jbjPmPT0_T1_
		.amdhsa_group_segment_fixed_size 0
		.amdhsa_private_segment_fixed_size 0
		.amdhsa_kernarg_size 304
		.amdhsa_user_sgpr_count 15
		.amdhsa_user_sgpr_dispatch_ptr 0
		.amdhsa_user_sgpr_queue_ptr 0
		.amdhsa_user_sgpr_kernarg_segment_ptr 1
		.amdhsa_user_sgpr_dispatch_id 0
		.amdhsa_user_sgpr_private_segment_size 0
		.amdhsa_wavefront_size32 1
		.amdhsa_uses_dynamic_stack 0
		.amdhsa_enable_private_segment 0
		.amdhsa_system_sgpr_workgroup_id_x 1
		.amdhsa_system_sgpr_workgroup_id_y 0
		.amdhsa_system_sgpr_workgroup_id_z 0
		.amdhsa_system_sgpr_workgroup_info 0
		.amdhsa_system_vgpr_workitem_id 0
		.amdhsa_next_free_vgpr 9
		.amdhsa_next_free_sgpr 16
		.amdhsa_reserve_vcc 1
		.amdhsa_float_round_mode_32 0
		.amdhsa_float_round_mode_16_64 0
		.amdhsa_float_denorm_mode_32 3
		.amdhsa_float_denorm_mode_16_64 3
		.amdhsa_dx10_clamp 1
		.amdhsa_ieee_mode 1
		.amdhsa_fp16_overflow 0
		.amdhsa_workgroup_processor_mode 1
		.amdhsa_memory_ordered 1
		.amdhsa_forward_progress 0
		.amdhsa_shared_vgpr_count 0
		.amdhsa_exception_fp_ieee_invalid_op 0
		.amdhsa_exception_fp_denorm_src 0
		.amdhsa_exception_fp_ieee_div_zero 0
		.amdhsa_exception_fp_ieee_overflow 0
		.amdhsa_exception_fp_ieee_underflow 0
		.amdhsa_exception_fp_ieee_inexact 0
		.amdhsa_exception_int_div_zero 0
	.end_amdhsa_kernel
	.section	.text._ZN7rocprim17ROCPRIM_400000_NS6detail25reduce_by_key_init_kernelINS1_19lookback_scan_stateINS0_5tupleIJjsEEELb1ELb1EEEsNS1_16block_id_wrapperIjLb0EEEEEvT_jbjPmPT0_T1_,"axG",@progbits,_ZN7rocprim17ROCPRIM_400000_NS6detail25reduce_by_key_init_kernelINS1_19lookback_scan_stateINS0_5tupleIJjsEEELb1ELb1EEEsNS1_16block_id_wrapperIjLb0EEEEEvT_jbjPmPT0_T1_,comdat
.Lfunc_end641:
	.size	_ZN7rocprim17ROCPRIM_400000_NS6detail25reduce_by_key_init_kernelINS1_19lookback_scan_stateINS0_5tupleIJjsEEELb1ELb1EEEsNS1_16block_id_wrapperIjLb0EEEEEvT_jbjPmPT0_T1_, .Lfunc_end641-_ZN7rocprim17ROCPRIM_400000_NS6detail25reduce_by_key_init_kernelINS1_19lookback_scan_stateINS0_5tupleIJjsEEELb1ELb1EEEsNS1_16block_id_wrapperIjLb0EEEEEvT_jbjPmPT0_T1_
                                        ; -- End function
	.section	.AMDGPU.csdata,"",@progbits
; Kernel info:
; codeLenInByte = 636
; NumSgprs: 18
; NumVgprs: 9
; ScratchSize: 0
; MemoryBound: 0
; FloatMode: 240
; IeeeMode: 1
; LDSByteSize: 0 bytes/workgroup (compile time only)
; SGPRBlocks: 2
; VGPRBlocks: 1
; NumSGPRsForWavesPerEU: 18
; NumVGPRsForWavesPerEU: 9
; Occupancy: 16
; WaveLimiterHint : 0
; COMPUTE_PGM_RSRC2:SCRATCH_EN: 0
; COMPUTE_PGM_RSRC2:USER_SGPR: 15
; COMPUTE_PGM_RSRC2:TRAP_HANDLER: 0
; COMPUTE_PGM_RSRC2:TGID_X_EN: 1
; COMPUTE_PGM_RSRC2:TGID_Y_EN: 0
; COMPUTE_PGM_RSRC2:TGID_Z_EN: 0
; COMPUTE_PGM_RSRC2:TIDIG_COMP_CNT: 0
	.section	.text._ZN7rocprim17ROCPRIM_400000_NS6detail17trampoline_kernelINS0_14default_configENS1_29reduce_by_key_config_selectorIssN6thrust23THRUST_200600_302600_NS4plusIsEEEEZZNS1_33reduce_by_key_impl_wrapped_configILNS1_25lookback_scan_determinismE0ES3_S9_NS6_6detail15normal_iteratorINS6_10device_ptrIsEEEESG_SG_SG_PmS8_NS6_8equal_toIsEEEE10hipError_tPvRmT2_T3_mT4_T5_T6_T7_T8_P12ihipStream_tbENKUlT_T0_E_clISt17integral_constantIbLb1EES10_IbLb0EEEEDaSW_SX_EUlSW_E_NS1_11comp_targetILNS1_3genE0ELNS1_11target_archE4294967295ELNS1_3gpuE0ELNS1_3repE0EEENS1_30default_config_static_selectorELNS0_4arch9wavefront6targetE0EEEvT1_,"axG",@progbits,_ZN7rocprim17ROCPRIM_400000_NS6detail17trampoline_kernelINS0_14default_configENS1_29reduce_by_key_config_selectorIssN6thrust23THRUST_200600_302600_NS4plusIsEEEEZZNS1_33reduce_by_key_impl_wrapped_configILNS1_25lookback_scan_determinismE0ES3_S9_NS6_6detail15normal_iteratorINS6_10device_ptrIsEEEESG_SG_SG_PmS8_NS6_8equal_toIsEEEE10hipError_tPvRmT2_T3_mT4_T5_T6_T7_T8_P12ihipStream_tbENKUlT_T0_E_clISt17integral_constantIbLb1EES10_IbLb0EEEEDaSW_SX_EUlSW_E_NS1_11comp_targetILNS1_3genE0ELNS1_11target_archE4294967295ELNS1_3gpuE0ELNS1_3repE0EEENS1_30default_config_static_selectorELNS0_4arch9wavefront6targetE0EEEvT1_,comdat
	.protected	_ZN7rocprim17ROCPRIM_400000_NS6detail17trampoline_kernelINS0_14default_configENS1_29reduce_by_key_config_selectorIssN6thrust23THRUST_200600_302600_NS4plusIsEEEEZZNS1_33reduce_by_key_impl_wrapped_configILNS1_25lookback_scan_determinismE0ES3_S9_NS6_6detail15normal_iteratorINS6_10device_ptrIsEEEESG_SG_SG_PmS8_NS6_8equal_toIsEEEE10hipError_tPvRmT2_T3_mT4_T5_T6_T7_T8_P12ihipStream_tbENKUlT_T0_E_clISt17integral_constantIbLb1EES10_IbLb0EEEEDaSW_SX_EUlSW_E_NS1_11comp_targetILNS1_3genE0ELNS1_11target_archE4294967295ELNS1_3gpuE0ELNS1_3repE0EEENS1_30default_config_static_selectorELNS0_4arch9wavefront6targetE0EEEvT1_ ; -- Begin function _ZN7rocprim17ROCPRIM_400000_NS6detail17trampoline_kernelINS0_14default_configENS1_29reduce_by_key_config_selectorIssN6thrust23THRUST_200600_302600_NS4plusIsEEEEZZNS1_33reduce_by_key_impl_wrapped_configILNS1_25lookback_scan_determinismE0ES3_S9_NS6_6detail15normal_iteratorINS6_10device_ptrIsEEEESG_SG_SG_PmS8_NS6_8equal_toIsEEEE10hipError_tPvRmT2_T3_mT4_T5_T6_T7_T8_P12ihipStream_tbENKUlT_T0_E_clISt17integral_constantIbLb1EES10_IbLb0EEEEDaSW_SX_EUlSW_E_NS1_11comp_targetILNS1_3genE0ELNS1_11target_archE4294967295ELNS1_3gpuE0ELNS1_3repE0EEENS1_30default_config_static_selectorELNS0_4arch9wavefront6targetE0EEEvT1_
	.globl	_ZN7rocprim17ROCPRIM_400000_NS6detail17trampoline_kernelINS0_14default_configENS1_29reduce_by_key_config_selectorIssN6thrust23THRUST_200600_302600_NS4plusIsEEEEZZNS1_33reduce_by_key_impl_wrapped_configILNS1_25lookback_scan_determinismE0ES3_S9_NS6_6detail15normal_iteratorINS6_10device_ptrIsEEEESG_SG_SG_PmS8_NS6_8equal_toIsEEEE10hipError_tPvRmT2_T3_mT4_T5_T6_T7_T8_P12ihipStream_tbENKUlT_T0_E_clISt17integral_constantIbLb1EES10_IbLb0EEEEDaSW_SX_EUlSW_E_NS1_11comp_targetILNS1_3genE0ELNS1_11target_archE4294967295ELNS1_3gpuE0ELNS1_3repE0EEENS1_30default_config_static_selectorELNS0_4arch9wavefront6targetE0EEEvT1_
	.p2align	8
	.type	_ZN7rocprim17ROCPRIM_400000_NS6detail17trampoline_kernelINS0_14default_configENS1_29reduce_by_key_config_selectorIssN6thrust23THRUST_200600_302600_NS4plusIsEEEEZZNS1_33reduce_by_key_impl_wrapped_configILNS1_25lookback_scan_determinismE0ES3_S9_NS6_6detail15normal_iteratorINS6_10device_ptrIsEEEESG_SG_SG_PmS8_NS6_8equal_toIsEEEE10hipError_tPvRmT2_T3_mT4_T5_T6_T7_T8_P12ihipStream_tbENKUlT_T0_E_clISt17integral_constantIbLb1EES10_IbLb0EEEEDaSW_SX_EUlSW_E_NS1_11comp_targetILNS1_3genE0ELNS1_11target_archE4294967295ELNS1_3gpuE0ELNS1_3repE0EEENS1_30default_config_static_selectorELNS0_4arch9wavefront6targetE0EEEvT1_,@function
_ZN7rocprim17ROCPRIM_400000_NS6detail17trampoline_kernelINS0_14default_configENS1_29reduce_by_key_config_selectorIssN6thrust23THRUST_200600_302600_NS4plusIsEEEEZZNS1_33reduce_by_key_impl_wrapped_configILNS1_25lookback_scan_determinismE0ES3_S9_NS6_6detail15normal_iteratorINS6_10device_ptrIsEEEESG_SG_SG_PmS8_NS6_8equal_toIsEEEE10hipError_tPvRmT2_T3_mT4_T5_T6_T7_T8_P12ihipStream_tbENKUlT_T0_E_clISt17integral_constantIbLb1EES10_IbLb0EEEEDaSW_SX_EUlSW_E_NS1_11comp_targetILNS1_3genE0ELNS1_11target_archE4294967295ELNS1_3gpuE0ELNS1_3repE0EEENS1_30default_config_static_selectorELNS0_4arch9wavefront6targetE0EEEvT1_: ; @_ZN7rocprim17ROCPRIM_400000_NS6detail17trampoline_kernelINS0_14default_configENS1_29reduce_by_key_config_selectorIssN6thrust23THRUST_200600_302600_NS4plusIsEEEEZZNS1_33reduce_by_key_impl_wrapped_configILNS1_25lookback_scan_determinismE0ES3_S9_NS6_6detail15normal_iteratorINS6_10device_ptrIsEEEESG_SG_SG_PmS8_NS6_8equal_toIsEEEE10hipError_tPvRmT2_T3_mT4_T5_T6_T7_T8_P12ihipStream_tbENKUlT_T0_E_clISt17integral_constantIbLb1EES10_IbLb0EEEEDaSW_SX_EUlSW_E_NS1_11comp_targetILNS1_3genE0ELNS1_11target_archE4294967295ELNS1_3gpuE0ELNS1_3repE0EEENS1_30default_config_static_selectorELNS0_4arch9wavefront6targetE0EEEvT1_
; %bb.0:
	.section	.rodata,"a",@progbits
	.p2align	6, 0x0
	.amdhsa_kernel _ZN7rocprim17ROCPRIM_400000_NS6detail17trampoline_kernelINS0_14default_configENS1_29reduce_by_key_config_selectorIssN6thrust23THRUST_200600_302600_NS4plusIsEEEEZZNS1_33reduce_by_key_impl_wrapped_configILNS1_25lookback_scan_determinismE0ES3_S9_NS6_6detail15normal_iteratorINS6_10device_ptrIsEEEESG_SG_SG_PmS8_NS6_8equal_toIsEEEE10hipError_tPvRmT2_T3_mT4_T5_T6_T7_T8_P12ihipStream_tbENKUlT_T0_E_clISt17integral_constantIbLb1EES10_IbLb0EEEEDaSW_SX_EUlSW_E_NS1_11comp_targetILNS1_3genE0ELNS1_11target_archE4294967295ELNS1_3gpuE0ELNS1_3repE0EEENS1_30default_config_static_selectorELNS0_4arch9wavefront6targetE0EEEvT1_
		.amdhsa_group_segment_fixed_size 0
		.amdhsa_private_segment_fixed_size 0
		.amdhsa_kernarg_size 120
		.amdhsa_user_sgpr_count 15
		.amdhsa_user_sgpr_dispatch_ptr 0
		.amdhsa_user_sgpr_queue_ptr 0
		.amdhsa_user_sgpr_kernarg_segment_ptr 1
		.amdhsa_user_sgpr_dispatch_id 0
		.amdhsa_user_sgpr_private_segment_size 0
		.amdhsa_wavefront_size32 1
		.amdhsa_uses_dynamic_stack 0
		.amdhsa_enable_private_segment 0
		.amdhsa_system_sgpr_workgroup_id_x 1
		.amdhsa_system_sgpr_workgroup_id_y 0
		.amdhsa_system_sgpr_workgroup_id_z 0
		.amdhsa_system_sgpr_workgroup_info 0
		.amdhsa_system_vgpr_workitem_id 0
		.amdhsa_next_free_vgpr 1
		.amdhsa_next_free_sgpr 1
		.amdhsa_reserve_vcc 0
		.amdhsa_float_round_mode_32 0
		.amdhsa_float_round_mode_16_64 0
		.amdhsa_float_denorm_mode_32 3
		.amdhsa_float_denorm_mode_16_64 3
		.amdhsa_dx10_clamp 1
		.amdhsa_ieee_mode 1
		.amdhsa_fp16_overflow 0
		.amdhsa_workgroup_processor_mode 1
		.amdhsa_memory_ordered 1
		.amdhsa_forward_progress 0
		.amdhsa_shared_vgpr_count 0
		.amdhsa_exception_fp_ieee_invalid_op 0
		.amdhsa_exception_fp_denorm_src 0
		.amdhsa_exception_fp_ieee_div_zero 0
		.amdhsa_exception_fp_ieee_overflow 0
		.amdhsa_exception_fp_ieee_underflow 0
		.amdhsa_exception_fp_ieee_inexact 0
		.amdhsa_exception_int_div_zero 0
	.end_amdhsa_kernel
	.section	.text._ZN7rocprim17ROCPRIM_400000_NS6detail17trampoline_kernelINS0_14default_configENS1_29reduce_by_key_config_selectorIssN6thrust23THRUST_200600_302600_NS4plusIsEEEEZZNS1_33reduce_by_key_impl_wrapped_configILNS1_25lookback_scan_determinismE0ES3_S9_NS6_6detail15normal_iteratorINS6_10device_ptrIsEEEESG_SG_SG_PmS8_NS6_8equal_toIsEEEE10hipError_tPvRmT2_T3_mT4_T5_T6_T7_T8_P12ihipStream_tbENKUlT_T0_E_clISt17integral_constantIbLb1EES10_IbLb0EEEEDaSW_SX_EUlSW_E_NS1_11comp_targetILNS1_3genE0ELNS1_11target_archE4294967295ELNS1_3gpuE0ELNS1_3repE0EEENS1_30default_config_static_selectorELNS0_4arch9wavefront6targetE0EEEvT1_,"axG",@progbits,_ZN7rocprim17ROCPRIM_400000_NS6detail17trampoline_kernelINS0_14default_configENS1_29reduce_by_key_config_selectorIssN6thrust23THRUST_200600_302600_NS4plusIsEEEEZZNS1_33reduce_by_key_impl_wrapped_configILNS1_25lookback_scan_determinismE0ES3_S9_NS6_6detail15normal_iteratorINS6_10device_ptrIsEEEESG_SG_SG_PmS8_NS6_8equal_toIsEEEE10hipError_tPvRmT2_T3_mT4_T5_T6_T7_T8_P12ihipStream_tbENKUlT_T0_E_clISt17integral_constantIbLb1EES10_IbLb0EEEEDaSW_SX_EUlSW_E_NS1_11comp_targetILNS1_3genE0ELNS1_11target_archE4294967295ELNS1_3gpuE0ELNS1_3repE0EEENS1_30default_config_static_selectorELNS0_4arch9wavefront6targetE0EEEvT1_,comdat
.Lfunc_end642:
	.size	_ZN7rocprim17ROCPRIM_400000_NS6detail17trampoline_kernelINS0_14default_configENS1_29reduce_by_key_config_selectorIssN6thrust23THRUST_200600_302600_NS4plusIsEEEEZZNS1_33reduce_by_key_impl_wrapped_configILNS1_25lookback_scan_determinismE0ES3_S9_NS6_6detail15normal_iteratorINS6_10device_ptrIsEEEESG_SG_SG_PmS8_NS6_8equal_toIsEEEE10hipError_tPvRmT2_T3_mT4_T5_T6_T7_T8_P12ihipStream_tbENKUlT_T0_E_clISt17integral_constantIbLb1EES10_IbLb0EEEEDaSW_SX_EUlSW_E_NS1_11comp_targetILNS1_3genE0ELNS1_11target_archE4294967295ELNS1_3gpuE0ELNS1_3repE0EEENS1_30default_config_static_selectorELNS0_4arch9wavefront6targetE0EEEvT1_, .Lfunc_end642-_ZN7rocprim17ROCPRIM_400000_NS6detail17trampoline_kernelINS0_14default_configENS1_29reduce_by_key_config_selectorIssN6thrust23THRUST_200600_302600_NS4plusIsEEEEZZNS1_33reduce_by_key_impl_wrapped_configILNS1_25lookback_scan_determinismE0ES3_S9_NS6_6detail15normal_iteratorINS6_10device_ptrIsEEEESG_SG_SG_PmS8_NS6_8equal_toIsEEEE10hipError_tPvRmT2_T3_mT4_T5_T6_T7_T8_P12ihipStream_tbENKUlT_T0_E_clISt17integral_constantIbLb1EES10_IbLb0EEEEDaSW_SX_EUlSW_E_NS1_11comp_targetILNS1_3genE0ELNS1_11target_archE4294967295ELNS1_3gpuE0ELNS1_3repE0EEENS1_30default_config_static_selectorELNS0_4arch9wavefront6targetE0EEEvT1_
                                        ; -- End function
	.section	.AMDGPU.csdata,"",@progbits
; Kernel info:
; codeLenInByte = 0
; NumSgprs: 0
; NumVgprs: 0
; ScratchSize: 0
; MemoryBound: 0
; FloatMode: 240
; IeeeMode: 1
; LDSByteSize: 0 bytes/workgroup (compile time only)
; SGPRBlocks: 0
; VGPRBlocks: 0
; NumSGPRsForWavesPerEU: 1
; NumVGPRsForWavesPerEU: 1
; Occupancy: 16
; WaveLimiterHint : 0
; COMPUTE_PGM_RSRC2:SCRATCH_EN: 0
; COMPUTE_PGM_RSRC2:USER_SGPR: 15
; COMPUTE_PGM_RSRC2:TRAP_HANDLER: 0
; COMPUTE_PGM_RSRC2:TGID_X_EN: 1
; COMPUTE_PGM_RSRC2:TGID_Y_EN: 0
; COMPUTE_PGM_RSRC2:TGID_Z_EN: 0
; COMPUTE_PGM_RSRC2:TIDIG_COMP_CNT: 0
	.section	.text._ZN7rocprim17ROCPRIM_400000_NS6detail17trampoline_kernelINS0_14default_configENS1_29reduce_by_key_config_selectorIssN6thrust23THRUST_200600_302600_NS4plusIsEEEEZZNS1_33reduce_by_key_impl_wrapped_configILNS1_25lookback_scan_determinismE0ES3_S9_NS6_6detail15normal_iteratorINS6_10device_ptrIsEEEESG_SG_SG_PmS8_NS6_8equal_toIsEEEE10hipError_tPvRmT2_T3_mT4_T5_T6_T7_T8_P12ihipStream_tbENKUlT_T0_E_clISt17integral_constantIbLb1EES10_IbLb0EEEEDaSW_SX_EUlSW_E_NS1_11comp_targetILNS1_3genE5ELNS1_11target_archE942ELNS1_3gpuE9ELNS1_3repE0EEENS1_30default_config_static_selectorELNS0_4arch9wavefront6targetE0EEEvT1_,"axG",@progbits,_ZN7rocprim17ROCPRIM_400000_NS6detail17trampoline_kernelINS0_14default_configENS1_29reduce_by_key_config_selectorIssN6thrust23THRUST_200600_302600_NS4plusIsEEEEZZNS1_33reduce_by_key_impl_wrapped_configILNS1_25lookback_scan_determinismE0ES3_S9_NS6_6detail15normal_iteratorINS6_10device_ptrIsEEEESG_SG_SG_PmS8_NS6_8equal_toIsEEEE10hipError_tPvRmT2_T3_mT4_T5_T6_T7_T8_P12ihipStream_tbENKUlT_T0_E_clISt17integral_constantIbLb1EES10_IbLb0EEEEDaSW_SX_EUlSW_E_NS1_11comp_targetILNS1_3genE5ELNS1_11target_archE942ELNS1_3gpuE9ELNS1_3repE0EEENS1_30default_config_static_selectorELNS0_4arch9wavefront6targetE0EEEvT1_,comdat
	.protected	_ZN7rocprim17ROCPRIM_400000_NS6detail17trampoline_kernelINS0_14default_configENS1_29reduce_by_key_config_selectorIssN6thrust23THRUST_200600_302600_NS4plusIsEEEEZZNS1_33reduce_by_key_impl_wrapped_configILNS1_25lookback_scan_determinismE0ES3_S9_NS6_6detail15normal_iteratorINS6_10device_ptrIsEEEESG_SG_SG_PmS8_NS6_8equal_toIsEEEE10hipError_tPvRmT2_T3_mT4_T5_T6_T7_T8_P12ihipStream_tbENKUlT_T0_E_clISt17integral_constantIbLb1EES10_IbLb0EEEEDaSW_SX_EUlSW_E_NS1_11comp_targetILNS1_3genE5ELNS1_11target_archE942ELNS1_3gpuE9ELNS1_3repE0EEENS1_30default_config_static_selectorELNS0_4arch9wavefront6targetE0EEEvT1_ ; -- Begin function _ZN7rocprim17ROCPRIM_400000_NS6detail17trampoline_kernelINS0_14default_configENS1_29reduce_by_key_config_selectorIssN6thrust23THRUST_200600_302600_NS4plusIsEEEEZZNS1_33reduce_by_key_impl_wrapped_configILNS1_25lookback_scan_determinismE0ES3_S9_NS6_6detail15normal_iteratorINS6_10device_ptrIsEEEESG_SG_SG_PmS8_NS6_8equal_toIsEEEE10hipError_tPvRmT2_T3_mT4_T5_T6_T7_T8_P12ihipStream_tbENKUlT_T0_E_clISt17integral_constantIbLb1EES10_IbLb0EEEEDaSW_SX_EUlSW_E_NS1_11comp_targetILNS1_3genE5ELNS1_11target_archE942ELNS1_3gpuE9ELNS1_3repE0EEENS1_30default_config_static_selectorELNS0_4arch9wavefront6targetE0EEEvT1_
	.globl	_ZN7rocprim17ROCPRIM_400000_NS6detail17trampoline_kernelINS0_14default_configENS1_29reduce_by_key_config_selectorIssN6thrust23THRUST_200600_302600_NS4plusIsEEEEZZNS1_33reduce_by_key_impl_wrapped_configILNS1_25lookback_scan_determinismE0ES3_S9_NS6_6detail15normal_iteratorINS6_10device_ptrIsEEEESG_SG_SG_PmS8_NS6_8equal_toIsEEEE10hipError_tPvRmT2_T3_mT4_T5_T6_T7_T8_P12ihipStream_tbENKUlT_T0_E_clISt17integral_constantIbLb1EES10_IbLb0EEEEDaSW_SX_EUlSW_E_NS1_11comp_targetILNS1_3genE5ELNS1_11target_archE942ELNS1_3gpuE9ELNS1_3repE0EEENS1_30default_config_static_selectorELNS0_4arch9wavefront6targetE0EEEvT1_
	.p2align	8
	.type	_ZN7rocprim17ROCPRIM_400000_NS6detail17trampoline_kernelINS0_14default_configENS1_29reduce_by_key_config_selectorIssN6thrust23THRUST_200600_302600_NS4plusIsEEEEZZNS1_33reduce_by_key_impl_wrapped_configILNS1_25lookback_scan_determinismE0ES3_S9_NS6_6detail15normal_iteratorINS6_10device_ptrIsEEEESG_SG_SG_PmS8_NS6_8equal_toIsEEEE10hipError_tPvRmT2_T3_mT4_T5_T6_T7_T8_P12ihipStream_tbENKUlT_T0_E_clISt17integral_constantIbLb1EES10_IbLb0EEEEDaSW_SX_EUlSW_E_NS1_11comp_targetILNS1_3genE5ELNS1_11target_archE942ELNS1_3gpuE9ELNS1_3repE0EEENS1_30default_config_static_selectorELNS0_4arch9wavefront6targetE0EEEvT1_,@function
_ZN7rocprim17ROCPRIM_400000_NS6detail17trampoline_kernelINS0_14default_configENS1_29reduce_by_key_config_selectorIssN6thrust23THRUST_200600_302600_NS4plusIsEEEEZZNS1_33reduce_by_key_impl_wrapped_configILNS1_25lookback_scan_determinismE0ES3_S9_NS6_6detail15normal_iteratorINS6_10device_ptrIsEEEESG_SG_SG_PmS8_NS6_8equal_toIsEEEE10hipError_tPvRmT2_T3_mT4_T5_T6_T7_T8_P12ihipStream_tbENKUlT_T0_E_clISt17integral_constantIbLb1EES10_IbLb0EEEEDaSW_SX_EUlSW_E_NS1_11comp_targetILNS1_3genE5ELNS1_11target_archE942ELNS1_3gpuE9ELNS1_3repE0EEENS1_30default_config_static_selectorELNS0_4arch9wavefront6targetE0EEEvT1_: ; @_ZN7rocprim17ROCPRIM_400000_NS6detail17trampoline_kernelINS0_14default_configENS1_29reduce_by_key_config_selectorIssN6thrust23THRUST_200600_302600_NS4plusIsEEEEZZNS1_33reduce_by_key_impl_wrapped_configILNS1_25lookback_scan_determinismE0ES3_S9_NS6_6detail15normal_iteratorINS6_10device_ptrIsEEEESG_SG_SG_PmS8_NS6_8equal_toIsEEEE10hipError_tPvRmT2_T3_mT4_T5_T6_T7_T8_P12ihipStream_tbENKUlT_T0_E_clISt17integral_constantIbLb1EES10_IbLb0EEEEDaSW_SX_EUlSW_E_NS1_11comp_targetILNS1_3genE5ELNS1_11target_archE942ELNS1_3gpuE9ELNS1_3repE0EEENS1_30default_config_static_selectorELNS0_4arch9wavefront6targetE0EEEvT1_
; %bb.0:
	.section	.rodata,"a",@progbits
	.p2align	6, 0x0
	.amdhsa_kernel _ZN7rocprim17ROCPRIM_400000_NS6detail17trampoline_kernelINS0_14default_configENS1_29reduce_by_key_config_selectorIssN6thrust23THRUST_200600_302600_NS4plusIsEEEEZZNS1_33reduce_by_key_impl_wrapped_configILNS1_25lookback_scan_determinismE0ES3_S9_NS6_6detail15normal_iteratorINS6_10device_ptrIsEEEESG_SG_SG_PmS8_NS6_8equal_toIsEEEE10hipError_tPvRmT2_T3_mT4_T5_T6_T7_T8_P12ihipStream_tbENKUlT_T0_E_clISt17integral_constantIbLb1EES10_IbLb0EEEEDaSW_SX_EUlSW_E_NS1_11comp_targetILNS1_3genE5ELNS1_11target_archE942ELNS1_3gpuE9ELNS1_3repE0EEENS1_30default_config_static_selectorELNS0_4arch9wavefront6targetE0EEEvT1_
		.amdhsa_group_segment_fixed_size 0
		.amdhsa_private_segment_fixed_size 0
		.amdhsa_kernarg_size 120
		.amdhsa_user_sgpr_count 15
		.amdhsa_user_sgpr_dispatch_ptr 0
		.amdhsa_user_sgpr_queue_ptr 0
		.amdhsa_user_sgpr_kernarg_segment_ptr 1
		.amdhsa_user_sgpr_dispatch_id 0
		.amdhsa_user_sgpr_private_segment_size 0
		.amdhsa_wavefront_size32 1
		.amdhsa_uses_dynamic_stack 0
		.amdhsa_enable_private_segment 0
		.amdhsa_system_sgpr_workgroup_id_x 1
		.amdhsa_system_sgpr_workgroup_id_y 0
		.amdhsa_system_sgpr_workgroup_id_z 0
		.amdhsa_system_sgpr_workgroup_info 0
		.amdhsa_system_vgpr_workitem_id 0
		.amdhsa_next_free_vgpr 1
		.amdhsa_next_free_sgpr 1
		.amdhsa_reserve_vcc 0
		.amdhsa_float_round_mode_32 0
		.amdhsa_float_round_mode_16_64 0
		.amdhsa_float_denorm_mode_32 3
		.amdhsa_float_denorm_mode_16_64 3
		.amdhsa_dx10_clamp 1
		.amdhsa_ieee_mode 1
		.amdhsa_fp16_overflow 0
		.amdhsa_workgroup_processor_mode 1
		.amdhsa_memory_ordered 1
		.amdhsa_forward_progress 0
		.amdhsa_shared_vgpr_count 0
		.amdhsa_exception_fp_ieee_invalid_op 0
		.amdhsa_exception_fp_denorm_src 0
		.amdhsa_exception_fp_ieee_div_zero 0
		.amdhsa_exception_fp_ieee_overflow 0
		.amdhsa_exception_fp_ieee_underflow 0
		.amdhsa_exception_fp_ieee_inexact 0
		.amdhsa_exception_int_div_zero 0
	.end_amdhsa_kernel
	.section	.text._ZN7rocprim17ROCPRIM_400000_NS6detail17trampoline_kernelINS0_14default_configENS1_29reduce_by_key_config_selectorIssN6thrust23THRUST_200600_302600_NS4plusIsEEEEZZNS1_33reduce_by_key_impl_wrapped_configILNS1_25lookback_scan_determinismE0ES3_S9_NS6_6detail15normal_iteratorINS6_10device_ptrIsEEEESG_SG_SG_PmS8_NS6_8equal_toIsEEEE10hipError_tPvRmT2_T3_mT4_T5_T6_T7_T8_P12ihipStream_tbENKUlT_T0_E_clISt17integral_constantIbLb1EES10_IbLb0EEEEDaSW_SX_EUlSW_E_NS1_11comp_targetILNS1_3genE5ELNS1_11target_archE942ELNS1_3gpuE9ELNS1_3repE0EEENS1_30default_config_static_selectorELNS0_4arch9wavefront6targetE0EEEvT1_,"axG",@progbits,_ZN7rocprim17ROCPRIM_400000_NS6detail17trampoline_kernelINS0_14default_configENS1_29reduce_by_key_config_selectorIssN6thrust23THRUST_200600_302600_NS4plusIsEEEEZZNS1_33reduce_by_key_impl_wrapped_configILNS1_25lookback_scan_determinismE0ES3_S9_NS6_6detail15normal_iteratorINS6_10device_ptrIsEEEESG_SG_SG_PmS8_NS6_8equal_toIsEEEE10hipError_tPvRmT2_T3_mT4_T5_T6_T7_T8_P12ihipStream_tbENKUlT_T0_E_clISt17integral_constantIbLb1EES10_IbLb0EEEEDaSW_SX_EUlSW_E_NS1_11comp_targetILNS1_3genE5ELNS1_11target_archE942ELNS1_3gpuE9ELNS1_3repE0EEENS1_30default_config_static_selectorELNS0_4arch9wavefront6targetE0EEEvT1_,comdat
.Lfunc_end643:
	.size	_ZN7rocprim17ROCPRIM_400000_NS6detail17trampoline_kernelINS0_14default_configENS1_29reduce_by_key_config_selectorIssN6thrust23THRUST_200600_302600_NS4plusIsEEEEZZNS1_33reduce_by_key_impl_wrapped_configILNS1_25lookback_scan_determinismE0ES3_S9_NS6_6detail15normal_iteratorINS6_10device_ptrIsEEEESG_SG_SG_PmS8_NS6_8equal_toIsEEEE10hipError_tPvRmT2_T3_mT4_T5_T6_T7_T8_P12ihipStream_tbENKUlT_T0_E_clISt17integral_constantIbLb1EES10_IbLb0EEEEDaSW_SX_EUlSW_E_NS1_11comp_targetILNS1_3genE5ELNS1_11target_archE942ELNS1_3gpuE9ELNS1_3repE0EEENS1_30default_config_static_selectorELNS0_4arch9wavefront6targetE0EEEvT1_, .Lfunc_end643-_ZN7rocprim17ROCPRIM_400000_NS6detail17trampoline_kernelINS0_14default_configENS1_29reduce_by_key_config_selectorIssN6thrust23THRUST_200600_302600_NS4plusIsEEEEZZNS1_33reduce_by_key_impl_wrapped_configILNS1_25lookback_scan_determinismE0ES3_S9_NS6_6detail15normal_iteratorINS6_10device_ptrIsEEEESG_SG_SG_PmS8_NS6_8equal_toIsEEEE10hipError_tPvRmT2_T3_mT4_T5_T6_T7_T8_P12ihipStream_tbENKUlT_T0_E_clISt17integral_constantIbLb1EES10_IbLb0EEEEDaSW_SX_EUlSW_E_NS1_11comp_targetILNS1_3genE5ELNS1_11target_archE942ELNS1_3gpuE9ELNS1_3repE0EEENS1_30default_config_static_selectorELNS0_4arch9wavefront6targetE0EEEvT1_
                                        ; -- End function
	.section	.AMDGPU.csdata,"",@progbits
; Kernel info:
; codeLenInByte = 0
; NumSgprs: 0
; NumVgprs: 0
; ScratchSize: 0
; MemoryBound: 0
; FloatMode: 240
; IeeeMode: 1
; LDSByteSize: 0 bytes/workgroup (compile time only)
; SGPRBlocks: 0
; VGPRBlocks: 0
; NumSGPRsForWavesPerEU: 1
; NumVGPRsForWavesPerEU: 1
; Occupancy: 16
; WaveLimiterHint : 0
; COMPUTE_PGM_RSRC2:SCRATCH_EN: 0
; COMPUTE_PGM_RSRC2:USER_SGPR: 15
; COMPUTE_PGM_RSRC2:TRAP_HANDLER: 0
; COMPUTE_PGM_RSRC2:TGID_X_EN: 1
; COMPUTE_PGM_RSRC2:TGID_Y_EN: 0
; COMPUTE_PGM_RSRC2:TGID_Z_EN: 0
; COMPUTE_PGM_RSRC2:TIDIG_COMP_CNT: 0
	.section	.text._ZN7rocprim17ROCPRIM_400000_NS6detail17trampoline_kernelINS0_14default_configENS1_29reduce_by_key_config_selectorIssN6thrust23THRUST_200600_302600_NS4plusIsEEEEZZNS1_33reduce_by_key_impl_wrapped_configILNS1_25lookback_scan_determinismE0ES3_S9_NS6_6detail15normal_iteratorINS6_10device_ptrIsEEEESG_SG_SG_PmS8_NS6_8equal_toIsEEEE10hipError_tPvRmT2_T3_mT4_T5_T6_T7_T8_P12ihipStream_tbENKUlT_T0_E_clISt17integral_constantIbLb1EES10_IbLb0EEEEDaSW_SX_EUlSW_E_NS1_11comp_targetILNS1_3genE4ELNS1_11target_archE910ELNS1_3gpuE8ELNS1_3repE0EEENS1_30default_config_static_selectorELNS0_4arch9wavefront6targetE0EEEvT1_,"axG",@progbits,_ZN7rocprim17ROCPRIM_400000_NS6detail17trampoline_kernelINS0_14default_configENS1_29reduce_by_key_config_selectorIssN6thrust23THRUST_200600_302600_NS4plusIsEEEEZZNS1_33reduce_by_key_impl_wrapped_configILNS1_25lookback_scan_determinismE0ES3_S9_NS6_6detail15normal_iteratorINS6_10device_ptrIsEEEESG_SG_SG_PmS8_NS6_8equal_toIsEEEE10hipError_tPvRmT2_T3_mT4_T5_T6_T7_T8_P12ihipStream_tbENKUlT_T0_E_clISt17integral_constantIbLb1EES10_IbLb0EEEEDaSW_SX_EUlSW_E_NS1_11comp_targetILNS1_3genE4ELNS1_11target_archE910ELNS1_3gpuE8ELNS1_3repE0EEENS1_30default_config_static_selectorELNS0_4arch9wavefront6targetE0EEEvT1_,comdat
	.protected	_ZN7rocprim17ROCPRIM_400000_NS6detail17trampoline_kernelINS0_14default_configENS1_29reduce_by_key_config_selectorIssN6thrust23THRUST_200600_302600_NS4plusIsEEEEZZNS1_33reduce_by_key_impl_wrapped_configILNS1_25lookback_scan_determinismE0ES3_S9_NS6_6detail15normal_iteratorINS6_10device_ptrIsEEEESG_SG_SG_PmS8_NS6_8equal_toIsEEEE10hipError_tPvRmT2_T3_mT4_T5_T6_T7_T8_P12ihipStream_tbENKUlT_T0_E_clISt17integral_constantIbLb1EES10_IbLb0EEEEDaSW_SX_EUlSW_E_NS1_11comp_targetILNS1_3genE4ELNS1_11target_archE910ELNS1_3gpuE8ELNS1_3repE0EEENS1_30default_config_static_selectorELNS0_4arch9wavefront6targetE0EEEvT1_ ; -- Begin function _ZN7rocprim17ROCPRIM_400000_NS6detail17trampoline_kernelINS0_14default_configENS1_29reduce_by_key_config_selectorIssN6thrust23THRUST_200600_302600_NS4plusIsEEEEZZNS1_33reduce_by_key_impl_wrapped_configILNS1_25lookback_scan_determinismE0ES3_S9_NS6_6detail15normal_iteratorINS6_10device_ptrIsEEEESG_SG_SG_PmS8_NS6_8equal_toIsEEEE10hipError_tPvRmT2_T3_mT4_T5_T6_T7_T8_P12ihipStream_tbENKUlT_T0_E_clISt17integral_constantIbLb1EES10_IbLb0EEEEDaSW_SX_EUlSW_E_NS1_11comp_targetILNS1_3genE4ELNS1_11target_archE910ELNS1_3gpuE8ELNS1_3repE0EEENS1_30default_config_static_selectorELNS0_4arch9wavefront6targetE0EEEvT1_
	.globl	_ZN7rocprim17ROCPRIM_400000_NS6detail17trampoline_kernelINS0_14default_configENS1_29reduce_by_key_config_selectorIssN6thrust23THRUST_200600_302600_NS4plusIsEEEEZZNS1_33reduce_by_key_impl_wrapped_configILNS1_25lookback_scan_determinismE0ES3_S9_NS6_6detail15normal_iteratorINS6_10device_ptrIsEEEESG_SG_SG_PmS8_NS6_8equal_toIsEEEE10hipError_tPvRmT2_T3_mT4_T5_T6_T7_T8_P12ihipStream_tbENKUlT_T0_E_clISt17integral_constantIbLb1EES10_IbLb0EEEEDaSW_SX_EUlSW_E_NS1_11comp_targetILNS1_3genE4ELNS1_11target_archE910ELNS1_3gpuE8ELNS1_3repE0EEENS1_30default_config_static_selectorELNS0_4arch9wavefront6targetE0EEEvT1_
	.p2align	8
	.type	_ZN7rocprim17ROCPRIM_400000_NS6detail17trampoline_kernelINS0_14default_configENS1_29reduce_by_key_config_selectorIssN6thrust23THRUST_200600_302600_NS4plusIsEEEEZZNS1_33reduce_by_key_impl_wrapped_configILNS1_25lookback_scan_determinismE0ES3_S9_NS6_6detail15normal_iteratorINS6_10device_ptrIsEEEESG_SG_SG_PmS8_NS6_8equal_toIsEEEE10hipError_tPvRmT2_T3_mT4_T5_T6_T7_T8_P12ihipStream_tbENKUlT_T0_E_clISt17integral_constantIbLb1EES10_IbLb0EEEEDaSW_SX_EUlSW_E_NS1_11comp_targetILNS1_3genE4ELNS1_11target_archE910ELNS1_3gpuE8ELNS1_3repE0EEENS1_30default_config_static_selectorELNS0_4arch9wavefront6targetE0EEEvT1_,@function
_ZN7rocprim17ROCPRIM_400000_NS6detail17trampoline_kernelINS0_14default_configENS1_29reduce_by_key_config_selectorIssN6thrust23THRUST_200600_302600_NS4plusIsEEEEZZNS1_33reduce_by_key_impl_wrapped_configILNS1_25lookback_scan_determinismE0ES3_S9_NS6_6detail15normal_iteratorINS6_10device_ptrIsEEEESG_SG_SG_PmS8_NS6_8equal_toIsEEEE10hipError_tPvRmT2_T3_mT4_T5_T6_T7_T8_P12ihipStream_tbENKUlT_T0_E_clISt17integral_constantIbLb1EES10_IbLb0EEEEDaSW_SX_EUlSW_E_NS1_11comp_targetILNS1_3genE4ELNS1_11target_archE910ELNS1_3gpuE8ELNS1_3repE0EEENS1_30default_config_static_selectorELNS0_4arch9wavefront6targetE0EEEvT1_: ; @_ZN7rocprim17ROCPRIM_400000_NS6detail17trampoline_kernelINS0_14default_configENS1_29reduce_by_key_config_selectorIssN6thrust23THRUST_200600_302600_NS4plusIsEEEEZZNS1_33reduce_by_key_impl_wrapped_configILNS1_25lookback_scan_determinismE0ES3_S9_NS6_6detail15normal_iteratorINS6_10device_ptrIsEEEESG_SG_SG_PmS8_NS6_8equal_toIsEEEE10hipError_tPvRmT2_T3_mT4_T5_T6_T7_T8_P12ihipStream_tbENKUlT_T0_E_clISt17integral_constantIbLb1EES10_IbLb0EEEEDaSW_SX_EUlSW_E_NS1_11comp_targetILNS1_3genE4ELNS1_11target_archE910ELNS1_3gpuE8ELNS1_3repE0EEENS1_30default_config_static_selectorELNS0_4arch9wavefront6targetE0EEEvT1_
; %bb.0:
	.section	.rodata,"a",@progbits
	.p2align	6, 0x0
	.amdhsa_kernel _ZN7rocprim17ROCPRIM_400000_NS6detail17trampoline_kernelINS0_14default_configENS1_29reduce_by_key_config_selectorIssN6thrust23THRUST_200600_302600_NS4plusIsEEEEZZNS1_33reduce_by_key_impl_wrapped_configILNS1_25lookback_scan_determinismE0ES3_S9_NS6_6detail15normal_iteratorINS6_10device_ptrIsEEEESG_SG_SG_PmS8_NS6_8equal_toIsEEEE10hipError_tPvRmT2_T3_mT4_T5_T6_T7_T8_P12ihipStream_tbENKUlT_T0_E_clISt17integral_constantIbLb1EES10_IbLb0EEEEDaSW_SX_EUlSW_E_NS1_11comp_targetILNS1_3genE4ELNS1_11target_archE910ELNS1_3gpuE8ELNS1_3repE0EEENS1_30default_config_static_selectorELNS0_4arch9wavefront6targetE0EEEvT1_
		.amdhsa_group_segment_fixed_size 0
		.amdhsa_private_segment_fixed_size 0
		.amdhsa_kernarg_size 120
		.amdhsa_user_sgpr_count 15
		.amdhsa_user_sgpr_dispatch_ptr 0
		.amdhsa_user_sgpr_queue_ptr 0
		.amdhsa_user_sgpr_kernarg_segment_ptr 1
		.amdhsa_user_sgpr_dispatch_id 0
		.amdhsa_user_sgpr_private_segment_size 0
		.amdhsa_wavefront_size32 1
		.amdhsa_uses_dynamic_stack 0
		.amdhsa_enable_private_segment 0
		.amdhsa_system_sgpr_workgroup_id_x 1
		.amdhsa_system_sgpr_workgroup_id_y 0
		.amdhsa_system_sgpr_workgroup_id_z 0
		.amdhsa_system_sgpr_workgroup_info 0
		.amdhsa_system_vgpr_workitem_id 0
		.amdhsa_next_free_vgpr 1
		.amdhsa_next_free_sgpr 1
		.amdhsa_reserve_vcc 0
		.amdhsa_float_round_mode_32 0
		.amdhsa_float_round_mode_16_64 0
		.amdhsa_float_denorm_mode_32 3
		.amdhsa_float_denorm_mode_16_64 3
		.amdhsa_dx10_clamp 1
		.amdhsa_ieee_mode 1
		.amdhsa_fp16_overflow 0
		.amdhsa_workgroup_processor_mode 1
		.amdhsa_memory_ordered 1
		.amdhsa_forward_progress 0
		.amdhsa_shared_vgpr_count 0
		.amdhsa_exception_fp_ieee_invalid_op 0
		.amdhsa_exception_fp_denorm_src 0
		.amdhsa_exception_fp_ieee_div_zero 0
		.amdhsa_exception_fp_ieee_overflow 0
		.amdhsa_exception_fp_ieee_underflow 0
		.amdhsa_exception_fp_ieee_inexact 0
		.amdhsa_exception_int_div_zero 0
	.end_amdhsa_kernel
	.section	.text._ZN7rocprim17ROCPRIM_400000_NS6detail17trampoline_kernelINS0_14default_configENS1_29reduce_by_key_config_selectorIssN6thrust23THRUST_200600_302600_NS4plusIsEEEEZZNS1_33reduce_by_key_impl_wrapped_configILNS1_25lookback_scan_determinismE0ES3_S9_NS6_6detail15normal_iteratorINS6_10device_ptrIsEEEESG_SG_SG_PmS8_NS6_8equal_toIsEEEE10hipError_tPvRmT2_T3_mT4_T5_T6_T7_T8_P12ihipStream_tbENKUlT_T0_E_clISt17integral_constantIbLb1EES10_IbLb0EEEEDaSW_SX_EUlSW_E_NS1_11comp_targetILNS1_3genE4ELNS1_11target_archE910ELNS1_3gpuE8ELNS1_3repE0EEENS1_30default_config_static_selectorELNS0_4arch9wavefront6targetE0EEEvT1_,"axG",@progbits,_ZN7rocprim17ROCPRIM_400000_NS6detail17trampoline_kernelINS0_14default_configENS1_29reduce_by_key_config_selectorIssN6thrust23THRUST_200600_302600_NS4plusIsEEEEZZNS1_33reduce_by_key_impl_wrapped_configILNS1_25lookback_scan_determinismE0ES3_S9_NS6_6detail15normal_iteratorINS6_10device_ptrIsEEEESG_SG_SG_PmS8_NS6_8equal_toIsEEEE10hipError_tPvRmT2_T3_mT4_T5_T6_T7_T8_P12ihipStream_tbENKUlT_T0_E_clISt17integral_constantIbLb1EES10_IbLb0EEEEDaSW_SX_EUlSW_E_NS1_11comp_targetILNS1_3genE4ELNS1_11target_archE910ELNS1_3gpuE8ELNS1_3repE0EEENS1_30default_config_static_selectorELNS0_4arch9wavefront6targetE0EEEvT1_,comdat
.Lfunc_end644:
	.size	_ZN7rocprim17ROCPRIM_400000_NS6detail17trampoline_kernelINS0_14default_configENS1_29reduce_by_key_config_selectorIssN6thrust23THRUST_200600_302600_NS4plusIsEEEEZZNS1_33reduce_by_key_impl_wrapped_configILNS1_25lookback_scan_determinismE0ES3_S9_NS6_6detail15normal_iteratorINS6_10device_ptrIsEEEESG_SG_SG_PmS8_NS6_8equal_toIsEEEE10hipError_tPvRmT2_T3_mT4_T5_T6_T7_T8_P12ihipStream_tbENKUlT_T0_E_clISt17integral_constantIbLb1EES10_IbLb0EEEEDaSW_SX_EUlSW_E_NS1_11comp_targetILNS1_3genE4ELNS1_11target_archE910ELNS1_3gpuE8ELNS1_3repE0EEENS1_30default_config_static_selectorELNS0_4arch9wavefront6targetE0EEEvT1_, .Lfunc_end644-_ZN7rocprim17ROCPRIM_400000_NS6detail17trampoline_kernelINS0_14default_configENS1_29reduce_by_key_config_selectorIssN6thrust23THRUST_200600_302600_NS4plusIsEEEEZZNS1_33reduce_by_key_impl_wrapped_configILNS1_25lookback_scan_determinismE0ES3_S9_NS6_6detail15normal_iteratorINS6_10device_ptrIsEEEESG_SG_SG_PmS8_NS6_8equal_toIsEEEE10hipError_tPvRmT2_T3_mT4_T5_T6_T7_T8_P12ihipStream_tbENKUlT_T0_E_clISt17integral_constantIbLb1EES10_IbLb0EEEEDaSW_SX_EUlSW_E_NS1_11comp_targetILNS1_3genE4ELNS1_11target_archE910ELNS1_3gpuE8ELNS1_3repE0EEENS1_30default_config_static_selectorELNS0_4arch9wavefront6targetE0EEEvT1_
                                        ; -- End function
	.section	.AMDGPU.csdata,"",@progbits
; Kernel info:
; codeLenInByte = 0
; NumSgprs: 0
; NumVgprs: 0
; ScratchSize: 0
; MemoryBound: 0
; FloatMode: 240
; IeeeMode: 1
; LDSByteSize: 0 bytes/workgroup (compile time only)
; SGPRBlocks: 0
; VGPRBlocks: 0
; NumSGPRsForWavesPerEU: 1
; NumVGPRsForWavesPerEU: 1
; Occupancy: 16
; WaveLimiterHint : 0
; COMPUTE_PGM_RSRC2:SCRATCH_EN: 0
; COMPUTE_PGM_RSRC2:USER_SGPR: 15
; COMPUTE_PGM_RSRC2:TRAP_HANDLER: 0
; COMPUTE_PGM_RSRC2:TGID_X_EN: 1
; COMPUTE_PGM_RSRC2:TGID_Y_EN: 0
; COMPUTE_PGM_RSRC2:TGID_Z_EN: 0
; COMPUTE_PGM_RSRC2:TIDIG_COMP_CNT: 0
	.section	.text._ZN7rocprim17ROCPRIM_400000_NS6detail17trampoline_kernelINS0_14default_configENS1_29reduce_by_key_config_selectorIssN6thrust23THRUST_200600_302600_NS4plusIsEEEEZZNS1_33reduce_by_key_impl_wrapped_configILNS1_25lookback_scan_determinismE0ES3_S9_NS6_6detail15normal_iteratorINS6_10device_ptrIsEEEESG_SG_SG_PmS8_NS6_8equal_toIsEEEE10hipError_tPvRmT2_T3_mT4_T5_T6_T7_T8_P12ihipStream_tbENKUlT_T0_E_clISt17integral_constantIbLb1EES10_IbLb0EEEEDaSW_SX_EUlSW_E_NS1_11comp_targetILNS1_3genE3ELNS1_11target_archE908ELNS1_3gpuE7ELNS1_3repE0EEENS1_30default_config_static_selectorELNS0_4arch9wavefront6targetE0EEEvT1_,"axG",@progbits,_ZN7rocprim17ROCPRIM_400000_NS6detail17trampoline_kernelINS0_14default_configENS1_29reduce_by_key_config_selectorIssN6thrust23THRUST_200600_302600_NS4plusIsEEEEZZNS1_33reduce_by_key_impl_wrapped_configILNS1_25lookback_scan_determinismE0ES3_S9_NS6_6detail15normal_iteratorINS6_10device_ptrIsEEEESG_SG_SG_PmS8_NS6_8equal_toIsEEEE10hipError_tPvRmT2_T3_mT4_T5_T6_T7_T8_P12ihipStream_tbENKUlT_T0_E_clISt17integral_constantIbLb1EES10_IbLb0EEEEDaSW_SX_EUlSW_E_NS1_11comp_targetILNS1_3genE3ELNS1_11target_archE908ELNS1_3gpuE7ELNS1_3repE0EEENS1_30default_config_static_selectorELNS0_4arch9wavefront6targetE0EEEvT1_,comdat
	.protected	_ZN7rocprim17ROCPRIM_400000_NS6detail17trampoline_kernelINS0_14default_configENS1_29reduce_by_key_config_selectorIssN6thrust23THRUST_200600_302600_NS4plusIsEEEEZZNS1_33reduce_by_key_impl_wrapped_configILNS1_25lookback_scan_determinismE0ES3_S9_NS6_6detail15normal_iteratorINS6_10device_ptrIsEEEESG_SG_SG_PmS8_NS6_8equal_toIsEEEE10hipError_tPvRmT2_T3_mT4_T5_T6_T7_T8_P12ihipStream_tbENKUlT_T0_E_clISt17integral_constantIbLb1EES10_IbLb0EEEEDaSW_SX_EUlSW_E_NS1_11comp_targetILNS1_3genE3ELNS1_11target_archE908ELNS1_3gpuE7ELNS1_3repE0EEENS1_30default_config_static_selectorELNS0_4arch9wavefront6targetE0EEEvT1_ ; -- Begin function _ZN7rocprim17ROCPRIM_400000_NS6detail17trampoline_kernelINS0_14default_configENS1_29reduce_by_key_config_selectorIssN6thrust23THRUST_200600_302600_NS4plusIsEEEEZZNS1_33reduce_by_key_impl_wrapped_configILNS1_25lookback_scan_determinismE0ES3_S9_NS6_6detail15normal_iteratorINS6_10device_ptrIsEEEESG_SG_SG_PmS8_NS6_8equal_toIsEEEE10hipError_tPvRmT2_T3_mT4_T5_T6_T7_T8_P12ihipStream_tbENKUlT_T0_E_clISt17integral_constantIbLb1EES10_IbLb0EEEEDaSW_SX_EUlSW_E_NS1_11comp_targetILNS1_3genE3ELNS1_11target_archE908ELNS1_3gpuE7ELNS1_3repE0EEENS1_30default_config_static_selectorELNS0_4arch9wavefront6targetE0EEEvT1_
	.globl	_ZN7rocprim17ROCPRIM_400000_NS6detail17trampoline_kernelINS0_14default_configENS1_29reduce_by_key_config_selectorIssN6thrust23THRUST_200600_302600_NS4plusIsEEEEZZNS1_33reduce_by_key_impl_wrapped_configILNS1_25lookback_scan_determinismE0ES3_S9_NS6_6detail15normal_iteratorINS6_10device_ptrIsEEEESG_SG_SG_PmS8_NS6_8equal_toIsEEEE10hipError_tPvRmT2_T3_mT4_T5_T6_T7_T8_P12ihipStream_tbENKUlT_T0_E_clISt17integral_constantIbLb1EES10_IbLb0EEEEDaSW_SX_EUlSW_E_NS1_11comp_targetILNS1_3genE3ELNS1_11target_archE908ELNS1_3gpuE7ELNS1_3repE0EEENS1_30default_config_static_selectorELNS0_4arch9wavefront6targetE0EEEvT1_
	.p2align	8
	.type	_ZN7rocprim17ROCPRIM_400000_NS6detail17trampoline_kernelINS0_14default_configENS1_29reduce_by_key_config_selectorIssN6thrust23THRUST_200600_302600_NS4plusIsEEEEZZNS1_33reduce_by_key_impl_wrapped_configILNS1_25lookback_scan_determinismE0ES3_S9_NS6_6detail15normal_iteratorINS6_10device_ptrIsEEEESG_SG_SG_PmS8_NS6_8equal_toIsEEEE10hipError_tPvRmT2_T3_mT4_T5_T6_T7_T8_P12ihipStream_tbENKUlT_T0_E_clISt17integral_constantIbLb1EES10_IbLb0EEEEDaSW_SX_EUlSW_E_NS1_11comp_targetILNS1_3genE3ELNS1_11target_archE908ELNS1_3gpuE7ELNS1_3repE0EEENS1_30default_config_static_selectorELNS0_4arch9wavefront6targetE0EEEvT1_,@function
_ZN7rocprim17ROCPRIM_400000_NS6detail17trampoline_kernelINS0_14default_configENS1_29reduce_by_key_config_selectorIssN6thrust23THRUST_200600_302600_NS4plusIsEEEEZZNS1_33reduce_by_key_impl_wrapped_configILNS1_25lookback_scan_determinismE0ES3_S9_NS6_6detail15normal_iteratorINS6_10device_ptrIsEEEESG_SG_SG_PmS8_NS6_8equal_toIsEEEE10hipError_tPvRmT2_T3_mT4_T5_T6_T7_T8_P12ihipStream_tbENKUlT_T0_E_clISt17integral_constantIbLb1EES10_IbLb0EEEEDaSW_SX_EUlSW_E_NS1_11comp_targetILNS1_3genE3ELNS1_11target_archE908ELNS1_3gpuE7ELNS1_3repE0EEENS1_30default_config_static_selectorELNS0_4arch9wavefront6targetE0EEEvT1_: ; @_ZN7rocprim17ROCPRIM_400000_NS6detail17trampoline_kernelINS0_14default_configENS1_29reduce_by_key_config_selectorIssN6thrust23THRUST_200600_302600_NS4plusIsEEEEZZNS1_33reduce_by_key_impl_wrapped_configILNS1_25lookback_scan_determinismE0ES3_S9_NS6_6detail15normal_iteratorINS6_10device_ptrIsEEEESG_SG_SG_PmS8_NS6_8equal_toIsEEEE10hipError_tPvRmT2_T3_mT4_T5_T6_T7_T8_P12ihipStream_tbENKUlT_T0_E_clISt17integral_constantIbLb1EES10_IbLb0EEEEDaSW_SX_EUlSW_E_NS1_11comp_targetILNS1_3genE3ELNS1_11target_archE908ELNS1_3gpuE7ELNS1_3repE0EEENS1_30default_config_static_selectorELNS0_4arch9wavefront6targetE0EEEvT1_
; %bb.0:
	.section	.rodata,"a",@progbits
	.p2align	6, 0x0
	.amdhsa_kernel _ZN7rocprim17ROCPRIM_400000_NS6detail17trampoline_kernelINS0_14default_configENS1_29reduce_by_key_config_selectorIssN6thrust23THRUST_200600_302600_NS4plusIsEEEEZZNS1_33reduce_by_key_impl_wrapped_configILNS1_25lookback_scan_determinismE0ES3_S9_NS6_6detail15normal_iteratorINS6_10device_ptrIsEEEESG_SG_SG_PmS8_NS6_8equal_toIsEEEE10hipError_tPvRmT2_T3_mT4_T5_T6_T7_T8_P12ihipStream_tbENKUlT_T0_E_clISt17integral_constantIbLb1EES10_IbLb0EEEEDaSW_SX_EUlSW_E_NS1_11comp_targetILNS1_3genE3ELNS1_11target_archE908ELNS1_3gpuE7ELNS1_3repE0EEENS1_30default_config_static_selectorELNS0_4arch9wavefront6targetE0EEEvT1_
		.amdhsa_group_segment_fixed_size 0
		.amdhsa_private_segment_fixed_size 0
		.amdhsa_kernarg_size 120
		.amdhsa_user_sgpr_count 15
		.amdhsa_user_sgpr_dispatch_ptr 0
		.amdhsa_user_sgpr_queue_ptr 0
		.amdhsa_user_sgpr_kernarg_segment_ptr 1
		.amdhsa_user_sgpr_dispatch_id 0
		.amdhsa_user_sgpr_private_segment_size 0
		.amdhsa_wavefront_size32 1
		.amdhsa_uses_dynamic_stack 0
		.amdhsa_enable_private_segment 0
		.amdhsa_system_sgpr_workgroup_id_x 1
		.amdhsa_system_sgpr_workgroup_id_y 0
		.amdhsa_system_sgpr_workgroup_id_z 0
		.amdhsa_system_sgpr_workgroup_info 0
		.amdhsa_system_vgpr_workitem_id 0
		.amdhsa_next_free_vgpr 1
		.amdhsa_next_free_sgpr 1
		.amdhsa_reserve_vcc 0
		.amdhsa_float_round_mode_32 0
		.amdhsa_float_round_mode_16_64 0
		.amdhsa_float_denorm_mode_32 3
		.amdhsa_float_denorm_mode_16_64 3
		.amdhsa_dx10_clamp 1
		.amdhsa_ieee_mode 1
		.amdhsa_fp16_overflow 0
		.amdhsa_workgroup_processor_mode 1
		.amdhsa_memory_ordered 1
		.amdhsa_forward_progress 0
		.amdhsa_shared_vgpr_count 0
		.amdhsa_exception_fp_ieee_invalid_op 0
		.amdhsa_exception_fp_denorm_src 0
		.amdhsa_exception_fp_ieee_div_zero 0
		.amdhsa_exception_fp_ieee_overflow 0
		.amdhsa_exception_fp_ieee_underflow 0
		.amdhsa_exception_fp_ieee_inexact 0
		.amdhsa_exception_int_div_zero 0
	.end_amdhsa_kernel
	.section	.text._ZN7rocprim17ROCPRIM_400000_NS6detail17trampoline_kernelINS0_14default_configENS1_29reduce_by_key_config_selectorIssN6thrust23THRUST_200600_302600_NS4plusIsEEEEZZNS1_33reduce_by_key_impl_wrapped_configILNS1_25lookback_scan_determinismE0ES3_S9_NS6_6detail15normal_iteratorINS6_10device_ptrIsEEEESG_SG_SG_PmS8_NS6_8equal_toIsEEEE10hipError_tPvRmT2_T3_mT4_T5_T6_T7_T8_P12ihipStream_tbENKUlT_T0_E_clISt17integral_constantIbLb1EES10_IbLb0EEEEDaSW_SX_EUlSW_E_NS1_11comp_targetILNS1_3genE3ELNS1_11target_archE908ELNS1_3gpuE7ELNS1_3repE0EEENS1_30default_config_static_selectorELNS0_4arch9wavefront6targetE0EEEvT1_,"axG",@progbits,_ZN7rocprim17ROCPRIM_400000_NS6detail17trampoline_kernelINS0_14default_configENS1_29reduce_by_key_config_selectorIssN6thrust23THRUST_200600_302600_NS4plusIsEEEEZZNS1_33reduce_by_key_impl_wrapped_configILNS1_25lookback_scan_determinismE0ES3_S9_NS6_6detail15normal_iteratorINS6_10device_ptrIsEEEESG_SG_SG_PmS8_NS6_8equal_toIsEEEE10hipError_tPvRmT2_T3_mT4_T5_T6_T7_T8_P12ihipStream_tbENKUlT_T0_E_clISt17integral_constantIbLb1EES10_IbLb0EEEEDaSW_SX_EUlSW_E_NS1_11comp_targetILNS1_3genE3ELNS1_11target_archE908ELNS1_3gpuE7ELNS1_3repE0EEENS1_30default_config_static_selectorELNS0_4arch9wavefront6targetE0EEEvT1_,comdat
.Lfunc_end645:
	.size	_ZN7rocprim17ROCPRIM_400000_NS6detail17trampoline_kernelINS0_14default_configENS1_29reduce_by_key_config_selectorIssN6thrust23THRUST_200600_302600_NS4plusIsEEEEZZNS1_33reduce_by_key_impl_wrapped_configILNS1_25lookback_scan_determinismE0ES3_S9_NS6_6detail15normal_iteratorINS6_10device_ptrIsEEEESG_SG_SG_PmS8_NS6_8equal_toIsEEEE10hipError_tPvRmT2_T3_mT4_T5_T6_T7_T8_P12ihipStream_tbENKUlT_T0_E_clISt17integral_constantIbLb1EES10_IbLb0EEEEDaSW_SX_EUlSW_E_NS1_11comp_targetILNS1_3genE3ELNS1_11target_archE908ELNS1_3gpuE7ELNS1_3repE0EEENS1_30default_config_static_selectorELNS0_4arch9wavefront6targetE0EEEvT1_, .Lfunc_end645-_ZN7rocprim17ROCPRIM_400000_NS6detail17trampoline_kernelINS0_14default_configENS1_29reduce_by_key_config_selectorIssN6thrust23THRUST_200600_302600_NS4plusIsEEEEZZNS1_33reduce_by_key_impl_wrapped_configILNS1_25lookback_scan_determinismE0ES3_S9_NS6_6detail15normal_iteratorINS6_10device_ptrIsEEEESG_SG_SG_PmS8_NS6_8equal_toIsEEEE10hipError_tPvRmT2_T3_mT4_T5_T6_T7_T8_P12ihipStream_tbENKUlT_T0_E_clISt17integral_constantIbLb1EES10_IbLb0EEEEDaSW_SX_EUlSW_E_NS1_11comp_targetILNS1_3genE3ELNS1_11target_archE908ELNS1_3gpuE7ELNS1_3repE0EEENS1_30default_config_static_selectorELNS0_4arch9wavefront6targetE0EEEvT1_
                                        ; -- End function
	.section	.AMDGPU.csdata,"",@progbits
; Kernel info:
; codeLenInByte = 0
; NumSgprs: 0
; NumVgprs: 0
; ScratchSize: 0
; MemoryBound: 0
; FloatMode: 240
; IeeeMode: 1
; LDSByteSize: 0 bytes/workgroup (compile time only)
; SGPRBlocks: 0
; VGPRBlocks: 0
; NumSGPRsForWavesPerEU: 1
; NumVGPRsForWavesPerEU: 1
; Occupancy: 16
; WaveLimiterHint : 0
; COMPUTE_PGM_RSRC2:SCRATCH_EN: 0
; COMPUTE_PGM_RSRC2:USER_SGPR: 15
; COMPUTE_PGM_RSRC2:TRAP_HANDLER: 0
; COMPUTE_PGM_RSRC2:TGID_X_EN: 1
; COMPUTE_PGM_RSRC2:TGID_Y_EN: 0
; COMPUTE_PGM_RSRC2:TGID_Z_EN: 0
; COMPUTE_PGM_RSRC2:TIDIG_COMP_CNT: 0
	.section	.text._ZN7rocprim17ROCPRIM_400000_NS6detail17trampoline_kernelINS0_14default_configENS1_29reduce_by_key_config_selectorIssN6thrust23THRUST_200600_302600_NS4plusIsEEEEZZNS1_33reduce_by_key_impl_wrapped_configILNS1_25lookback_scan_determinismE0ES3_S9_NS6_6detail15normal_iteratorINS6_10device_ptrIsEEEESG_SG_SG_PmS8_NS6_8equal_toIsEEEE10hipError_tPvRmT2_T3_mT4_T5_T6_T7_T8_P12ihipStream_tbENKUlT_T0_E_clISt17integral_constantIbLb1EES10_IbLb0EEEEDaSW_SX_EUlSW_E_NS1_11comp_targetILNS1_3genE2ELNS1_11target_archE906ELNS1_3gpuE6ELNS1_3repE0EEENS1_30default_config_static_selectorELNS0_4arch9wavefront6targetE0EEEvT1_,"axG",@progbits,_ZN7rocprim17ROCPRIM_400000_NS6detail17trampoline_kernelINS0_14default_configENS1_29reduce_by_key_config_selectorIssN6thrust23THRUST_200600_302600_NS4plusIsEEEEZZNS1_33reduce_by_key_impl_wrapped_configILNS1_25lookback_scan_determinismE0ES3_S9_NS6_6detail15normal_iteratorINS6_10device_ptrIsEEEESG_SG_SG_PmS8_NS6_8equal_toIsEEEE10hipError_tPvRmT2_T3_mT4_T5_T6_T7_T8_P12ihipStream_tbENKUlT_T0_E_clISt17integral_constantIbLb1EES10_IbLb0EEEEDaSW_SX_EUlSW_E_NS1_11comp_targetILNS1_3genE2ELNS1_11target_archE906ELNS1_3gpuE6ELNS1_3repE0EEENS1_30default_config_static_selectorELNS0_4arch9wavefront6targetE0EEEvT1_,comdat
	.protected	_ZN7rocprim17ROCPRIM_400000_NS6detail17trampoline_kernelINS0_14default_configENS1_29reduce_by_key_config_selectorIssN6thrust23THRUST_200600_302600_NS4plusIsEEEEZZNS1_33reduce_by_key_impl_wrapped_configILNS1_25lookback_scan_determinismE0ES3_S9_NS6_6detail15normal_iteratorINS6_10device_ptrIsEEEESG_SG_SG_PmS8_NS6_8equal_toIsEEEE10hipError_tPvRmT2_T3_mT4_T5_T6_T7_T8_P12ihipStream_tbENKUlT_T0_E_clISt17integral_constantIbLb1EES10_IbLb0EEEEDaSW_SX_EUlSW_E_NS1_11comp_targetILNS1_3genE2ELNS1_11target_archE906ELNS1_3gpuE6ELNS1_3repE0EEENS1_30default_config_static_selectorELNS0_4arch9wavefront6targetE0EEEvT1_ ; -- Begin function _ZN7rocprim17ROCPRIM_400000_NS6detail17trampoline_kernelINS0_14default_configENS1_29reduce_by_key_config_selectorIssN6thrust23THRUST_200600_302600_NS4plusIsEEEEZZNS1_33reduce_by_key_impl_wrapped_configILNS1_25lookback_scan_determinismE0ES3_S9_NS6_6detail15normal_iteratorINS6_10device_ptrIsEEEESG_SG_SG_PmS8_NS6_8equal_toIsEEEE10hipError_tPvRmT2_T3_mT4_T5_T6_T7_T8_P12ihipStream_tbENKUlT_T0_E_clISt17integral_constantIbLb1EES10_IbLb0EEEEDaSW_SX_EUlSW_E_NS1_11comp_targetILNS1_3genE2ELNS1_11target_archE906ELNS1_3gpuE6ELNS1_3repE0EEENS1_30default_config_static_selectorELNS0_4arch9wavefront6targetE0EEEvT1_
	.globl	_ZN7rocprim17ROCPRIM_400000_NS6detail17trampoline_kernelINS0_14default_configENS1_29reduce_by_key_config_selectorIssN6thrust23THRUST_200600_302600_NS4plusIsEEEEZZNS1_33reduce_by_key_impl_wrapped_configILNS1_25lookback_scan_determinismE0ES3_S9_NS6_6detail15normal_iteratorINS6_10device_ptrIsEEEESG_SG_SG_PmS8_NS6_8equal_toIsEEEE10hipError_tPvRmT2_T3_mT4_T5_T6_T7_T8_P12ihipStream_tbENKUlT_T0_E_clISt17integral_constantIbLb1EES10_IbLb0EEEEDaSW_SX_EUlSW_E_NS1_11comp_targetILNS1_3genE2ELNS1_11target_archE906ELNS1_3gpuE6ELNS1_3repE0EEENS1_30default_config_static_selectorELNS0_4arch9wavefront6targetE0EEEvT1_
	.p2align	8
	.type	_ZN7rocprim17ROCPRIM_400000_NS6detail17trampoline_kernelINS0_14default_configENS1_29reduce_by_key_config_selectorIssN6thrust23THRUST_200600_302600_NS4plusIsEEEEZZNS1_33reduce_by_key_impl_wrapped_configILNS1_25lookback_scan_determinismE0ES3_S9_NS6_6detail15normal_iteratorINS6_10device_ptrIsEEEESG_SG_SG_PmS8_NS6_8equal_toIsEEEE10hipError_tPvRmT2_T3_mT4_T5_T6_T7_T8_P12ihipStream_tbENKUlT_T0_E_clISt17integral_constantIbLb1EES10_IbLb0EEEEDaSW_SX_EUlSW_E_NS1_11comp_targetILNS1_3genE2ELNS1_11target_archE906ELNS1_3gpuE6ELNS1_3repE0EEENS1_30default_config_static_selectorELNS0_4arch9wavefront6targetE0EEEvT1_,@function
_ZN7rocprim17ROCPRIM_400000_NS6detail17trampoline_kernelINS0_14default_configENS1_29reduce_by_key_config_selectorIssN6thrust23THRUST_200600_302600_NS4plusIsEEEEZZNS1_33reduce_by_key_impl_wrapped_configILNS1_25lookback_scan_determinismE0ES3_S9_NS6_6detail15normal_iteratorINS6_10device_ptrIsEEEESG_SG_SG_PmS8_NS6_8equal_toIsEEEE10hipError_tPvRmT2_T3_mT4_T5_T6_T7_T8_P12ihipStream_tbENKUlT_T0_E_clISt17integral_constantIbLb1EES10_IbLb0EEEEDaSW_SX_EUlSW_E_NS1_11comp_targetILNS1_3genE2ELNS1_11target_archE906ELNS1_3gpuE6ELNS1_3repE0EEENS1_30default_config_static_selectorELNS0_4arch9wavefront6targetE0EEEvT1_: ; @_ZN7rocprim17ROCPRIM_400000_NS6detail17trampoline_kernelINS0_14default_configENS1_29reduce_by_key_config_selectorIssN6thrust23THRUST_200600_302600_NS4plusIsEEEEZZNS1_33reduce_by_key_impl_wrapped_configILNS1_25lookback_scan_determinismE0ES3_S9_NS6_6detail15normal_iteratorINS6_10device_ptrIsEEEESG_SG_SG_PmS8_NS6_8equal_toIsEEEE10hipError_tPvRmT2_T3_mT4_T5_T6_T7_T8_P12ihipStream_tbENKUlT_T0_E_clISt17integral_constantIbLb1EES10_IbLb0EEEEDaSW_SX_EUlSW_E_NS1_11comp_targetILNS1_3genE2ELNS1_11target_archE906ELNS1_3gpuE6ELNS1_3repE0EEENS1_30default_config_static_selectorELNS0_4arch9wavefront6targetE0EEEvT1_
; %bb.0:
	.section	.rodata,"a",@progbits
	.p2align	6, 0x0
	.amdhsa_kernel _ZN7rocprim17ROCPRIM_400000_NS6detail17trampoline_kernelINS0_14default_configENS1_29reduce_by_key_config_selectorIssN6thrust23THRUST_200600_302600_NS4plusIsEEEEZZNS1_33reduce_by_key_impl_wrapped_configILNS1_25lookback_scan_determinismE0ES3_S9_NS6_6detail15normal_iteratorINS6_10device_ptrIsEEEESG_SG_SG_PmS8_NS6_8equal_toIsEEEE10hipError_tPvRmT2_T3_mT4_T5_T6_T7_T8_P12ihipStream_tbENKUlT_T0_E_clISt17integral_constantIbLb1EES10_IbLb0EEEEDaSW_SX_EUlSW_E_NS1_11comp_targetILNS1_3genE2ELNS1_11target_archE906ELNS1_3gpuE6ELNS1_3repE0EEENS1_30default_config_static_selectorELNS0_4arch9wavefront6targetE0EEEvT1_
		.amdhsa_group_segment_fixed_size 0
		.amdhsa_private_segment_fixed_size 0
		.amdhsa_kernarg_size 120
		.amdhsa_user_sgpr_count 15
		.amdhsa_user_sgpr_dispatch_ptr 0
		.amdhsa_user_sgpr_queue_ptr 0
		.amdhsa_user_sgpr_kernarg_segment_ptr 1
		.amdhsa_user_sgpr_dispatch_id 0
		.amdhsa_user_sgpr_private_segment_size 0
		.amdhsa_wavefront_size32 1
		.amdhsa_uses_dynamic_stack 0
		.amdhsa_enable_private_segment 0
		.amdhsa_system_sgpr_workgroup_id_x 1
		.amdhsa_system_sgpr_workgroup_id_y 0
		.amdhsa_system_sgpr_workgroup_id_z 0
		.amdhsa_system_sgpr_workgroup_info 0
		.amdhsa_system_vgpr_workitem_id 0
		.amdhsa_next_free_vgpr 1
		.amdhsa_next_free_sgpr 1
		.amdhsa_reserve_vcc 0
		.amdhsa_float_round_mode_32 0
		.amdhsa_float_round_mode_16_64 0
		.amdhsa_float_denorm_mode_32 3
		.amdhsa_float_denorm_mode_16_64 3
		.amdhsa_dx10_clamp 1
		.amdhsa_ieee_mode 1
		.amdhsa_fp16_overflow 0
		.amdhsa_workgroup_processor_mode 1
		.amdhsa_memory_ordered 1
		.amdhsa_forward_progress 0
		.amdhsa_shared_vgpr_count 0
		.amdhsa_exception_fp_ieee_invalid_op 0
		.amdhsa_exception_fp_denorm_src 0
		.amdhsa_exception_fp_ieee_div_zero 0
		.amdhsa_exception_fp_ieee_overflow 0
		.amdhsa_exception_fp_ieee_underflow 0
		.amdhsa_exception_fp_ieee_inexact 0
		.amdhsa_exception_int_div_zero 0
	.end_amdhsa_kernel
	.section	.text._ZN7rocprim17ROCPRIM_400000_NS6detail17trampoline_kernelINS0_14default_configENS1_29reduce_by_key_config_selectorIssN6thrust23THRUST_200600_302600_NS4plusIsEEEEZZNS1_33reduce_by_key_impl_wrapped_configILNS1_25lookback_scan_determinismE0ES3_S9_NS6_6detail15normal_iteratorINS6_10device_ptrIsEEEESG_SG_SG_PmS8_NS6_8equal_toIsEEEE10hipError_tPvRmT2_T3_mT4_T5_T6_T7_T8_P12ihipStream_tbENKUlT_T0_E_clISt17integral_constantIbLb1EES10_IbLb0EEEEDaSW_SX_EUlSW_E_NS1_11comp_targetILNS1_3genE2ELNS1_11target_archE906ELNS1_3gpuE6ELNS1_3repE0EEENS1_30default_config_static_selectorELNS0_4arch9wavefront6targetE0EEEvT1_,"axG",@progbits,_ZN7rocprim17ROCPRIM_400000_NS6detail17trampoline_kernelINS0_14default_configENS1_29reduce_by_key_config_selectorIssN6thrust23THRUST_200600_302600_NS4plusIsEEEEZZNS1_33reduce_by_key_impl_wrapped_configILNS1_25lookback_scan_determinismE0ES3_S9_NS6_6detail15normal_iteratorINS6_10device_ptrIsEEEESG_SG_SG_PmS8_NS6_8equal_toIsEEEE10hipError_tPvRmT2_T3_mT4_T5_T6_T7_T8_P12ihipStream_tbENKUlT_T0_E_clISt17integral_constantIbLb1EES10_IbLb0EEEEDaSW_SX_EUlSW_E_NS1_11comp_targetILNS1_3genE2ELNS1_11target_archE906ELNS1_3gpuE6ELNS1_3repE0EEENS1_30default_config_static_selectorELNS0_4arch9wavefront6targetE0EEEvT1_,comdat
.Lfunc_end646:
	.size	_ZN7rocprim17ROCPRIM_400000_NS6detail17trampoline_kernelINS0_14default_configENS1_29reduce_by_key_config_selectorIssN6thrust23THRUST_200600_302600_NS4plusIsEEEEZZNS1_33reduce_by_key_impl_wrapped_configILNS1_25lookback_scan_determinismE0ES3_S9_NS6_6detail15normal_iteratorINS6_10device_ptrIsEEEESG_SG_SG_PmS8_NS6_8equal_toIsEEEE10hipError_tPvRmT2_T3_mT4_T5_T6_T7_T8_P12ihipStream_tbENKUlT_T0_E_clISt17integral_constantIbLb1EES10_IbLb0EEEEDaSW_SX_EUlSW_E_NS1_11comp_targetILNS1_3genE2ELNS1_11target_archE906ELNS1_3gpuE6ELNS1_3repE0EEENS1_30default_config_static_selectorELNS0_4arch9wavefront6targetE0EEEvT1_, .Lfunc_end646-_ZN7rocprim17ROCPRIM_400000_NS6detail17trampoline_kernelINS0_14default_configENS1_29reduce_by_key_config_selectorIssN6thrust23THRUST_200600_302600_NS4plusIsEEEEZZNS1_33reduce_by_key_impl_wrapped_configILNS1_25lookback_scan_determinismE0ES3_S9_NS6_6detail15normal_iteratorINS6_10device_ptrIsEEEESG_SG_SG_PmS8_NS6_8equal_toIsEEEE10hipError_tPvRmT2_T3_mT4_T5_T6_T7_T8_P12ihipStream_tbENKUlT_T0_E_clISt17integral_constantIbLb1EES10_IbLb0EEEEDaSW_SX_EUlSW_E_NS1_11comp_targetILNS1_3genE2ELNS1_11target_archE906ELNS1_3gpuE6ELNS1_3repE0EEENS1_30default_config_static_selectorELNS0_4arch9wavefront6targetE0EEEvT1_
                                        ; -- End function
	.section	.AMDGPU.csdata,"",@progbits
; Kernel info:
; codeLenInByte = 0
; NumSgprs: 0
; NumVgprs: 0
; ScratchSize: 0
; MemoryBound: 0
; FloatMode: 240
; IeeeMode: 1
; LDSByteSize: 0 bytes/workgroup (compile time only)
; SGPRBlocks: 0
; VGPRBlocks: 0
; NumSGPRsForWavesPerEU: 1
; NumVGPRsForWavesPerEU: 1
; Occupancy: 16
; WaveLimiterHint : 0
; COMPUTE_PGM_RSRC2:SCRATCH_EN: 0
; COMPUTE_PGM_RSRC2:USER_SGPR: 15
; COMPUTE_PGM_RSRC2:TRAP_HANDLER: 0
; COMPUTE_PGM_RSRC2:TGID_X_EN: 1
; COMPUTE_PGM_RSRC2:TGID_Y_EN: 0
; COMPUTE_PGM_RSRC2:TGID_Z_EN: 0
; COMPUTE_PGM_RSRC2:TIDIG_COMP_CNT: 0
	.section	.text._ZN7rocprim17ROCPRIM_400000_NS6detail17trampoline_kernelINS0_14default_configENS1_29reduce_by_key_config_selectorIssN6thrust23THRUST_200600_302600_NS4plusIsEEEEZZNS1_33reduce_by_key_impl_wrapped_configILNS1_25lookback_scan_determinismE0ES3_S9_NS6_6detail15normal_iteratorINS6_10device_ptrIsEEEESG_SG_SG_PmS8_NS6_8equal_toIsEEEE10hipError_tPvRmT2_T3_mT4_T5_T6_T7_T8_P12ihipStream_tbENKUlT_T0_E_clISt17integral_constantIbLb1EES10_IbLb0EEEEDaSW_SX_EUlSW_E_NS1_11comp_targetILNS1_3genE10ELNS1_11target_archE1201ELNS1_3gpuE5ELNS1_3repE0EEENS1_30default_config_static_selectorELNS0_4arch9wavefront6targetE0EEEvT1_,"axG",@progbits,_ZN7rocprim17ROCPRIM_400000_NS6detail17trampoline_kernelINS0_14default_configENS1_29reduce_by_key_config_selectorIssN6thrust23THRUST_200600_302600_NS4plusIsEEEEZZNS1_33reduce_by_key_impl_wrapped_configILNS1_25lookback_scan_determinismE0ES3_S9_NS6_6detail15normal_iteratorINS6_10device_ptrIsEEEESG_SG_SG_PmS8_NS6_8equal_toIsEEEE10hipError_tPvRmT2_T3_mT4_T5_T6_T7_T8_P12ihipStream_tbENKUlT_T0_E_clISt17integral_constantIbLb1EES10_IbLb0EEEEDaSW_SX_EUlSW_E_NS1_11comp_targetILNS1_3genE10ELNS1_11target_archE1201ELNS1_3gpuE5ELNS1_3repE0EEENS1_30default_config_static_selectorELNS0_4arch9wavefront6targetE0EEEvT1_,comdat
	.protected	_ZN7rocprim17ROCPRIM_400000_NS6detail17trampoline_kernelINS0_14default_configENS1_29reduce_by_key_config_selectorIssN6thrust23THRUST_200600_302600_NS4plusIsEEEEZZNS1_33reduce_by_key_impl_wrapped_configILNS1_25lookback_scan_determinismE0ES3_S9_NS6_6detail15normal_iteratorINS6_10device_ptrIsEEEESG_SG_SG_PmS8_NS6_8equal_toIsEEEE10hipError_tPvRmT2_T3_mT4_T5_T6_T7_T8_P12ihipStream_tbENKUlT_T0_E_clISt17integral_constantIbLb1EES10_IbLb0EEEEDaSW_SX_EUlSW_E_NS1_11comp_targetILNS1_3genE10ELNS1_11target_archE1201ELNS1_3gpuE5ELNS1_3repE0EEENS1_30default_config_static_selectorELNS0_4arch9wavefront6targetE0EEEvT1_ ; -- Begin function _ZN7rocprim17ROCPRIM_400000_NS6detail17trampoline_kernelINS0_14default_configENS1_29reduce_by_key_config_selectorIssN6thrust23THRUST_200600_302600_NS4plusIsEEEEZZNS1_33reduce_by_key_impl_wrapped_configILNS1_25lookback_scan_determinismE0ES3_S9_NS6_6detail15normal_iteratorINS6_10device_ptrIsEEEESG_SG_SG_PmS8_NS6_8equal_toIsEEEE10hipError_tPvRmT2_T3_mT4_T5_T6_T7_T8_P12ihipStream_tbENKUlT_T0_E_clISt17integral_constantIbLb1EES10_IbLb0EEEEDaSW_SX_EUlSW_E_NS1_11comp_targetILNS1_3genE10ELNS1_11target_archE1201ELNS1_3gpuE5ELNS1_3repE0EEENS1_30default_config_static_selectorELNS0_4arch9wavefront6targetE0EEEvT1_
	.globl	_ZN7rocprim17ROCPRIM_400000_NS6detail17trampoline_kernelINS0_14default_configENS1_29reduce_by_key_config_selectorIssN6thrust23THRUST_200600_302600_NS4plusIsEEEEZZNS1_33reduce_by_key_impl_wrapped_configILNS1_25lookback_scan_determinismE0ES3_S9_NS6_6detail15normal_iteratorINS6_10device_ptrIsEEEESG_SG_SG_PmS8_NS6_8equal_toIsEEEE10hipError_tPvRmT2_T3_mT4_T5_T6_T7_T8_P12ihipStream_tbENKUlT_T0_E_clISt17integral_constantIbLb1EES10_IbLb0EEEEDaSW_SX_EUlSW_E_NS1_11comp_targetILNS1_3genE10ELNS1_11target_archE1201ELNS1_3gpuE5ELNS1_3repE0EEENS1_30default_config_static_selectorELNS0_4arch9wavefront6targetE0EEEvT1_
	.p2align	8
	.type	_ZN7rocprim17ROCPRIM_400000_NS6detail17trampoline_kernelINS0_14default_configENS1_29reduce_by_key_config_selectorIssN6thrust23THRUST_200600_302600_NS4plusIsEEEEZZNS1_33reduce_by_key_impl_wrapped_configILNS1_25lookback_scan_determinismE0ES3_S9_NS6_6detail15normal_iteratorINS6_10device_ptrIsEEEESG_SG_SG_PmS8_NS6_8equal_toIsEEEE10hipError_tPvRmT2_T3_mT4_T5_T6_T7_T8_P12ihipStream_tbENKUlT_T0_E_clISt17integral_constantIbLb1EES10_IbLb0EEEEDaSW_SX_EUlSW_E_NS1_11comp_targetILNS1_3genE10ELNS1_11target_archE1201ELNS1_3gpuE5ELNS1_3repE0EEENS1_30default_config_static_selectorELNS0_4arch9wavefront6targetE0EEEvT1_,@function
_ZN7rocprim17ROCPRIM_400000_NS6detail17trampoline_kernelINS0_14default_configENS1_29reduce_by_key_config_selectorIssN6thrust23THRUST_200600_302600_NS4plusIsEEEEZZNS1_33reduce_by_key_impl_wrapped_configILNS1_25lookback_scan_determinismE0ES3_S9_NS6_6detail15normal_iteratorINS6_10device_ptrIsEEEESG_SG_SG_PmS8_NS6_8equal_toIsEEEE10hipError_tPvRmT2_T3_mT4_T5_T6_T7_T8_P12ihipStream_tbENKUlT_T0_E_clISt17integral_constantIbLb1EES10_IbLb0EEEEDaSW_SX_EUlSW_E_NS1_11comp_targetILNS1_3genE10ELNS1_11target_archE1201ELNS1_3gpuE5ELNS1_3repE0EEENS1_30default_config_static_selectorELNS0_4arch9wavefront6targetE0EEEvT1_: ; @_ZN7rocprim17ROCPRIM_400000_NS6detail17trampoline_kernelINS0_14default_configENS1_29reduce_by_key_config_selectorIssN6thrust23THRUST_200600_302600_NS4plusIsEEEEZZNS1_33reduce_by_key_impl_wrapped_configILNS1_25lookback_scan_determinismE0ES3_S9_NS6_6detail15normal_iteratorINS6_10device_ptrIsEEEESG_SG_SG_PmS8_NS6_8equal_toIsEEEE10hipError_tPvRmT2_T3_mT4_T5_T6_T7_T8_P12ihipStream_tbENKUlT_T0_E_clISt17integral_constantIbLb1EES10_IbLb0EEEEDaSW_SX_EUlSW_E_NS1_11comp_targetILNS1_3genE10ELNS1_11target_archE1201ELNS1_3gpuE5ELNS1_3repE0EEENS1_30default_config_static_selectorELNS0_4arch9wavefront6targetE0EEEvT1_
; %bb.0:
	.section	.rodata,"a",@progbits
	.p2align	6, 0x0
	.amdhsa_kernel _ZN7rocprim17ROCPRIM_400000_NS6detail17trampoline_kernelINS0_14default_configENS1_29reduce_by_key_config_selectorIssN6thrust23THRUST_200600_302600_NS4plusIsEEEEZZNS1_33reduce_by_key_impl_wrapped_configILNS1_25lookback_scan_determinismE0ES3_S9_NS6_6detail15normal_iteratorINS6_10device_ptrIsEEEESG_SG_SG_PmS8_NS6_8equal_toIsEEEE10hipError_tPvRmT2_T3_mT4_T5_T6_T7_T8_P12ihipStream_tbENKUlT_T0_E_clISt17integral_constantIbLb1EES10_IbLb0EEEEDaSW_SX_EUlSW_E_NS1_11comp_targetILNS1_3genE10ELNS1_11target_archE1201ELNS1_3gpuE5ELNS1_3repE0EEENS1_30default_config_static_selectorELNS0_4arch9wavefront6targetE0EEEvT1_
		.amdhsa_group_segment_fixed_size 0
		.amdhsa_private_segment_fixed_size 0
		.amdhsa_kernarg_size 120
		.amdhsa_user_sgpr_count 15
		.amdhsa_user_sgpr_dispatch_ptr 0
		.amdhsa_user_sgpr_queue_ptr 0
		.amdhsa_user_sgpr_kernarg_segment_ptr 1
		.amdhsa_user_sgpr_dispatch_id 0
		.amdhsa_user_sgpr_private_segment_size 0
		.amdhsa_wavefront_size32 1
		.amdhsa_uses_dynamic_stack 0
		.amdhsa_enable_private_segment 0
		.amdhsa_system_sgpr_workgroup_id_x 1
		.amdhsa_system_sgpr_workgroup_id_y 0
		.amdhsa_system_sgpr_workgroup_id_z 0
		.amdhsa_system_sgpr_workgroup_info 0
		.amdhsa_system_vgpr_workitem_id 0
		.amdhsa_next_free_vgpr 1
		.amdhsa_next_free_sgpr 1
		.amdhsa_reserve_vcc 0
		.amdhsa_float_round_mode_32 0
		.amdhsa_float_round_mode_16_64 0
		.amdhsa_float_denorm_mode_32 3
		.amdhsa_float_denorm_mode_16_64 3
		.amdhsa_dx10_clamp 1
		.amdhsa_ieee_mode 1
		.amdhsa_fp16_overflow 0
		.amdhsa_workgroup_processor_mode 1
		.amdhsa_memory_ordered 1
		.amdhsa_forward_progress 0
		.amdhsa_shared_vgpr_count 0
		.amdhsa_exception_fp_ieee_invalid_op 0
		.amdhsa_exception_fp_denorm_src 0
		.amdhsa_exception_fp_ieee_div_zero 0
		.amdhsa_exception_fp_ieee_overflow 0
		.amdhsa_exception_fp_ieee_underflow 0
		.amdhsa_exception_fp_ieee_inexact 0
		.amdhsa_exception_int_div_zero 0
	.end_amdhsa_kernel
	.section	.text._ZN7rocprim17ROCPRIM_400000_NS6detail17trampoline_kernelINS0_14default_configENS1_29reduce_by_key_config_selectorIssN6thrust23THRUST_200600_302600_NS4plusIsEEEEZZNS1_33reduce_by_key_impl_wrapped_configILNS1_25lookback_scan_determinismE0ES3_S9_NS6_6detail15normal_iteratorINS6_10device_ptrIsEEEESG_SG_SG_PmS8_NS6_8equal_toIsEEEE10hipError_tPvRmT2_T3_mT4_T5_T6_T7_T8_P12ihipStream_tbENKUlT_T0_E_clISt17integral_constantIbLb1EES10_IbLb0EEEEDaSW_SX_EUlSW_E_NS1_11comp_targetILNS1_3genE10ELNS1_11target_archE1201ELNS1_3gpuE5ELNS1_3repE0EEENS1_30default_config_static_selectorELNS0_4arch9wavefront6targetE0EEEvT1_,"axG",@progbits,_ZN7rocprim17ROCPRIM_400000_NS6detail17trampoline_kernelINS0_14default_configENS1_29reduce_by_key_config_selectorIssN6thrust23THRUST_200600_302600_NS4plusIsEEEEZZNS1_33reduce_by_key_impl_wrapped_configILNS1_25lookback_scan_determinismE0ES3_S9_NS6_6detail15normal_iteratorINS6_10device_ptrIsEEEESG_SG_SG_PmS8_NS6_8equal_toIsEEEE10hipError_tPvRmT2_T3_mT4_T5_T6_T7_T8_P12ihipStream_tbENKUlT_T0_E_clISt17integral_constantIbLb1EES10_IbLb0EEEEDaSW_SX_EUlSW_E_NS1_11comp_targetILNS1_3genE10ELNS1_11target_archE1201ELNS1_3gpuE5ELNS1_3repE0EEENS1_30default_config_static_selectorELNS0_4arch9wavefront6targetE0EEEvT1_,comdat
.Lfunc_end647:
	.size	_ZN7rocprim17ROCPRIM_400000_NS6detail17trampoline_kernelINS0_14default_configENS1_29reduce_by_key_config_selectorIssN6thrust23THRUST_200600_302600_NS4plusIsEEEEZZNS1_33reduce_by_key_impl_wrapped_configILNS1_25lookback_scan_determinismE0ES3_S9_NS6_6detail15normal_iteratorINS6_10device_ptrIsEEEESG_SG_SG_PmS8_NS6_8equal_toIsEEEE10hipError_tPvRmT2_T3_mT4_T5_T6_T7_T8_P12ihipStream_tbENKUlT_T0_E_clISt17integral_constantIbLb1EES10_IbLb0EEEEDaSW_SX_EUlSW_E_NS1_11comp_targetILNS1_3genE10ELNS1_11target_archE1201ELNS1_3gpuE5ELNS1_3repE0EEENS1_30default_config_static_selectorELNS0_4arch9wavefront6targetE0EEEvT1_, .Lfunc_end647-_ZN7rocprim17ROCPRIM_400000_NS6detail17trampoline_kernelINS0_14default_configENS1_29reduce_by_key_config_selectorIssN6thrust23THRUST_200600_302600_NS4plusIsEEEEZZNS1_33reduce_by_key_impl_wrapped_configILNS1_25lookback_scan_determinismE0ES3_S9_NS6_6detail15normal_iteratorINS6_10device_ptrIsEEEESG_SG_SG_PmS8_NS6_8equal_toIsEEEE10hipError_tPvRmT2_T3_mT4_T5_T6_T7_T8_P12ihipStream_tbENKUlT_T0_E_clISt17integral_constantIbLb1EES10_IbLb0EEEEDaSW_SX_EUlSW_E_NS1_11comp_targetILNS1_3genE10ELNS1_11target_archE1201ELNS1_3gpuE5ELNS1_3repE0EEENS1_30default_config_static_selectorELNS0_4arch9wavefront6targetE0EEEvT1_
                                        ; -- End function
	.section	.AMDGPU.csdata,"",@progbits
; Kernel info:
; codeLenInByte = 0
; NumSgprs: 0
; NumVgprs: 0
; ScratchSize: 0
; MemoryBound: 0
; FloatMode: 240
; IeeeMode: 1
; LDSByteSize: 0 bytes/workgroup (compile time only)
; SGPRBlocks: 0
; VGPRBlocks: 0
; NumSGPRsForWavesPerEU: 1
; NumVGPRsForWavesPerEU: 1
; Occupancy: 16
; WaveLimiterHint : 0
; COMPUTE_PGM_RSRC2:SCRATCH_EN: 0
; COMPUTE_PGM_RSRC2:USER_SGPR: 15
; COMPUTE_PGM_RSRC2:TRAP_HANDLER: 0
; COMPUTE_PGM_RSRC2:TGID_X_EN: 1
; COMPUTE_PGM_RSRC2:TGID_Y_EN: 0
; COMPUTE_PGM_RSRC2:TGID_Z_EN: 0
; COMPUTE_PGM_RSRC2:TIDIG_COMP_CNT: 0
	.section	.text._ZN7rocprim17ROCPRIM_400000_NS6detail17trampoline_kernelINS0_14default_configENS1_29reduce_by_key_config_selectorIssN6thrust23THRUST_200600_302600_NS4plusIsEEEEZZNS1_33reduce_by_key_impl_wrapped_configILNS1_25lookback_scan_determinismE0ES3_S9_NS6_6detail15normal_iteratorINS6_10device_ptrIsEEEESG_SG_SG_PmS8_NS6_8equal_toIsEEEE10hipError_tPvRmT2_T3_mT4_T5_T6_T7_T8_P12ihipStream_tbENKUlT_T0_E_clISt17integral_constantIbLb1EES10_IbLb0EEEEDaSW_SX_EUlSW_E_NS1_11comp_targetILNS1_3genE10ELNS1_11target_archE1200ELNS1_3gpuE4ELNS1_3repE0EEENS1_30default_config_static_selectorELNS0_4arch9wavefront6targetE0EEEvT1_,"axG",@progbits,_ZN7rocprim17ROCPRIM_400000_NS6detail17trampoline_kernelINS0_14default_configENS1_29reduce_by_key_config_selectorIssN6thrust23THRUST_200600_302600_NS4plusIsEEEEZZNS1_33reduce_by_key_impl_wrapped_configILNS1_25lookback_scan_determinismE0ES3_S9_NS6_6detail15normal_iteratorINS6_10device_ptrIsEEEESG_SG_SG_PmS8_NS6_8equal_toIsEEEE10hipError_tPvRmT2_T3_mT4_T5_T6_T7_T8_P12ihipStream_tbENKUlT_T0_E_clISt17integral_constantIbLb1EES10_IbLb0EEEEDaSW_SX_EUlSW_E_NS1_11comp_targetILNS1_3genE10ELNS1_11target_archE1200ELNS1_3gpuE4ELNS1_3repE0EEENS1_30default_config_static_selectorELNS0_4arch9wavefront6targetE0EEEvT1_,comdat
	.protected	_ZN7rocprim17ROCPRIM_400000_NS6detail17trampoline_kernelINS0_14default_configENS1_29reduce_by_key_config_selectorIssN6thrust23THRUST_200600_302600_NS4plusIsEEEEZZNS1_33reduce_by_key_impl_wrapped_configILNS1_25lookback_scan_determinismE0ES3_S9_NS6_6detail15normal_iteratorINS6_10device_ptrIsEEEESG_SG_SG_PmS8_NS6_8equal_toIsEEEE10hipError_tPvRmT2_T3_mT4_T5_T6_T7_T8_P12ihipStream_tbENKUlT_T0_E_clISt17integral_constantIbLb1EES10_IbLb0EEEEDaSW_SX_EUlSW_E_NS1_11comp_targetILNS1_3genE10ELNS1_11target_archE1200ELNS1_3gpuE4ELNS1_3repE0EEENS1_30default_config_static_selectorELNS0_4arch9wavefront6targetE0EEEvT1_ ; -- Begin function _ZN7rocprim17ROCPRIM_400000_NS6detail17trampoline_kernelINS0_14default_configENS1_29reduce_by_key_config_selectorIssN6thrust23THRUST_200600_302600_NS4plusIsEEEEZZNS1_33reduce_by_key_impl_wrapped_configILNS1_25lookback_scan_determinismE0ES3_S9_NS6_6detail15normal_iteratorINS6_10device_ptrIsEEEESG_SG_SG_PmS8_NS6_8equal_toIsEEEE10hipError_tPvRmT2_T3_mT4_T5_T6_T7_T8_P12ihipStream_tbENKUlT_T0_E_clISt17integral_constantIbLb1EES10_IbLb0EEEEDaSW_SX_EUlSW_E_NS1_11comp_targetILNS1_3genE10ELNS1_11target_archE1200ELNS1_3gpuE4ELNS1_3repE0EEENS1_30default_config_static_selectorELNS0_4arch9wavefront6targetE0EEEvT1_
	.globl	_ZN7rocprim17ROCPRIM_400000_NS6detail17trampoline_kernelINS0_14default_configENS1_29reduce_by_key_config_selectorIssN6thrust23THRUST_200600_302600_NS4plusIsEEEEZZNS1_33reduce_by_key_impl_wrapped_configILNS1_25lookback_scan_determinismE0ES3_S9_NS6_6detail15normal_iteratorINS6_10device_ptrIsEEEESG_SG_SG_PmS8_NS6_8equal_toIsEEEE10hipError_tPvRmT2_T3_mT4_T5_T6_T7_T8_P12ihipStream_tbENKUlT_T0_E_clISt17integral_constantIbLb1EES10_IbLb0EEEEDaSW_SX_EUlSW_E_NS1_11comp_targetILNS1_3genE10ELNS1_11target_archE1200ELNS1_3gpuE4ELNS1_3repE0EEENS1_30default_config_static_selectorELNS0_4arch9wavefront6targetE0EEEvT1_
	.p2align	8
	.type	_ZN7rocprim17ROCPRIM_400000_NS6detail17trampoline_kernelINS0_14default_configENS1_29reduce_by_key_config_selectorIssN6thrust23THRUST_200600_302600_NS4plusIsEEEEZZNS1_33reduce_by_key_impl_wrapped_configILNS1_25lookback_scan_determinismE0ES3_S9_NS6_6detail15normal_iteratorINS6_10device_ptrIsEEEESG_SG_SG_PmS8_NS6_8equal_toIsEEEE10hipError_tPvRmT2_T3_mT4_T5_T6_T7_T8_P12ihipStream_tbENKUlT_T0_E_clISt17integral_constantIbLb1EES10_IbLb0EEEEDaSW_SX_EUlSW_E_NS1_11comp_targetILNS1_3genE10ELNS1_11target_archE1200ELNS1_3gpuE4ELNS1_3repE0EEENS1_30default_config_static_selectorELNS0_4arch9wavefront6targetE0EEEvT1_,@function
_ZN7rocprim17ROCPRIM_400000_NS6detail17trampoline_kernelINS0_14default_configENS1_29reduce_by_key_config_selectorIssN6thrust23THRUST_200600_302600_NS4plusIsEEEEZZNS1_33reduce_by_key_impl_wrapped_configILNS1_25lookback_scan_determinismE0ES3_S9_NS6_6detail15normal_iteratorINS6_10device_ptrIsEEEESG_SG_SG_PmS8_NS6_8equal_toIsEEEE10hipError_tPvRmT2_T3_mT4_T5_T6_T7_T8_P12ihipStream_tbENKUlT_T0_E_clISt17integral_constantIbLb1EES10_IbLb0EEEEDaSW_SX_EUlSW_E_NS1_11comp_targetILNS1_3genE10ELNS1_11target_archE1200ELNS1_3gpuE4ELNS1_3repE0EEENS1_30default_config_static_selectorELNS0_4arch9wavefront6targetE0EEEvT1_: ; @_ZN7rocprim17ROCPRIM_400000_NS6detail17trampoline_kernelINS0_14default_configENS1_29reduce_by_key_config_selectorIssN6thrust23THRUST_200600_302600_NS4plusIsEEEEZZNS1_33reduce_by_key_impl_wrapped_configILNS1_25lookback_scan_determinismE0ES3_S9_NS6_6detail15normal_iteratorINS6_10device_ptrIsEEEESG_SG_SG_PmS8_NS6_8equal_toIsEEEE10hipError_tPvRmT2_T3_mT4_T5_T6_T7_T8_P12ihipStream_tbENKUlT_T0_E_clISt17integral_constantIbLb1EES10_IbLb0EEEEDaSW_SX_EUlSW_E_NS1_11comp_targetILNS1_3genE10ELNS1_11target_archE1200ELNS1_3gpuE4ELNS1_3repE0EEENS1_30default_config_static_selectorELNS0_4arch9wavefront6targetE0EEEvT1_
; %bb.0:
	.section	.rodata,"a",@progbits
	.p2align	6, 0x0
	.amdhsa_kernel _ZN7rocprim17ROCPRIM_400000_NS6detail17trampoline_kernelINS0_14default_configENS1_29reduce_by_key_config_selectorIssN6thrust23THRUST_200600_302600_NS4plusIsEEEEZZNS1_33reduce_by_key_impl_wrapped_configILNS1_25lookback_scan_determinismE0ES3_S9_NS6_6detail15normal_iteratorINS6_10device_ptrIsEEEESG_SG_SG_PmS8_NS6_8equal_toIsEEEE10hipError_tPvRmT2_T3_mT4_T5_T6_T7_T8_P12ihipStream_tbENKUlT_T0_E_clISt17integral_constantIbLb1EES10_IbLb0EEEEDaSW_SX_EUlSW_E_NS1_11comp_targetILNS1_3genE10ELNS1_11target_archE1200ELNS1_3gpuE4ELNS1_3repE0EEENS1_30default_config_static_selectorELNS0_4arch9wavefront6targetE0EEEvT1_
		.amdhsa_group_segment_fixed_size 0
		.amdhsa_private_segment_fixed_size 0
		.amdhsa_kernarg_size 120
		.amdhsa_user_sgpr_count 15
		.amdhsa_user_sgpr_dispatch_ptr 0
		.amdhsa_user_sgpr_queue_ptr 0
		.amdhsa_user_sgpr_kernarg_segment_ptr 1
		.amdhsa_user_sgpr_dispatch_id 0
		.amdhsa_user_sgpr_private_segment_size 0
		.amdhsa_wavefront_size32 1
		.amdhsa_uses_dynamic_stack 0
		.amdhsa_enable_private_segment 0
		.amdhsa_system_sgpr_workgroup_id_x 1
		.amdhsa_system_sgpr_workgroup_id_y 0
		.amdhsa_system_sgpr_workgroup_id_z 0
		.amdhsa_system_sgpr_workgroup_info 0
		.amdhsa_system_vgpr_workitem_id 0
		.amdhsa_next_free_vgpr 1
		.amdhsa_next_free_sgpr 1
		.amdhsa_reserve_vcc 0
		.amdhsa_float_round_mode_32 0
		.amdhsa_float_round_mode_16_64 0
		.amdhsa_float_denorm_mode_32 3
		.amdhsa_float_denorm_mode_16_64 3
		.amdhsa_dx10_clamp 1
		.amdhsa_ieee_mode 1
		.amdhsa_fp16_overflow 0
		.amdhsa_workgroup_processor_mode 1
		.amdhsa_memory_ordered 1
		.amdhsa_forward_progress 0
		.amdhsa_shared_vgpr_count 0
		.amdhsa_exception_fp_ieee_invalid_op 0
		.amdhsa_exception_fp_denorm_src 0
		.amdhsa_exception_fp_ieee_div_zero 0
		.amdhsa_exception_fp_ieee_overflow 0
		.amdhsa_exception_fp_ieee_underflow 0
		.amdhsa_exception_fp_ieee_inexact 0
		.amdhsa_exception_int_div_zero 0
	.end_amdhsa_kernel
	.section	.text._ZN7rocprim17ROCPRIM_400000_NS6detail17trampoline_kernelINS0_14default_configENS1_29reduce_by_key_config_selectorIssN6thrust23THRUST_200600_302600_NS4plusIsEEEEZZNS1_33reduce_by_key_impl_wrapped_configILNS1_25lookback_scan_determinismE0ES3_S9_NS6_6detail15normal_iteratorINS6_10device_ptrIsEEEESG_SG_SG_PmS8_NS6_8equal_toIsEEEE10hipError_tPvRmT2_T3_mT4_T5_T6_T7_T8_P12ihipStream_tbENKUlT_T0_E_clISt17integral_constantIbLb1EES10_IbLb0EEEEDaSW_SX_EUlSW_E_NS1_11comp_targetILNS1_3genE10ELNS1_11target_archE1200ELNS1_3gpuE4ELNS1_3repE0EEENS1_30default_config_static_selectorELNS0_4arch9wavefront6targetE0EEEvT1_,"axG",@progbits,_ZN7rocprim17ROCPRIM_400000_NS6detail17trampoline_kernelINS0_14default_configENS1_29reduce_by_key_config_selectorIssN6thrust23THRUST_200600_302600_NS4plusIsEEEEZZNS1_33reduce_by_key_impl_wrapped_configILNS1_25lookback_scan_determinismE0ES3_S9_NS6_6detail15normal_iteratorINS6_10device_ptrIsEEEESG_SG_SG_PmS8_NS6_8equal_toIsEEEE10hipError_tPvRmT2_T3_mT4_T5_T6_T7_T8_P12ihipStream_tbENKUlT_T0_E_clISt17integral_constantIbLb1EES10_IbLb0EEEEDaSW_SX_EUlSW_E_NS1_11comp_targetILNS1_3genE10ELNS1_11target_archE1200ELNS1_3gpuE4ELNS1_3repE0EEENS1_30default_config_static_selectorELNS0_4arch9wavefront6targetE0EEEvT1_,comdat
.Lfunc_end648:
	.size	_ZN7rocprim17ROCPRIM_400000_NS6detail17trampoline_kernelINS0_14default_configENS1_29reduce_by_key_config_selectorIssN6thrust23THRUST_200600_302600_NS4plusIsEEEEZZNS1_33reduce_by_key_impl_wrapped_configILNS1_25lookback_scan_determinismE0ES3_S9_NS6_6detail15normal_iteratorINS6_10device_ptrIsEEEESG_SG_SG_PmS8_NS6_8equal_toIsEEEE10hipError_tPvRmT2_T3_mT4_T5_T6_T7_T8_P12ihipStream_tbENKUlT_T0_E_clISt17integral_constantIbLb1EES10_IbLb0EEEEDaSW_SX_EUlSW_E_NS1_11comp_targetILNS1_3genE10ELNS1_11target_archE1200ELNS1_3gpuE4ELNS1_3repE0EEENS1_30default_config_static_selectorELNS0_4arch9wavefront6targetE0EEEvT1_, .Lfunc_end648-_ZN7rocprim17ROCPRIM_400000_NS6detail17trampoline_kernelINS0_14default_configENS1_29reduce_by_key_config_selectorIssN6thrust23THRUST_200600_302600_NS4plusIsEEEEZZNS1_33reduce_by_key_impl_wrapped_configILNS1_25lookback_scan_determinismE0ES3_S9_NS6_6detail15normal_iteratorINS6_10device_ptrIsEEEESG_SG_SG_PmS8_NS6_8equal_toIsEEEE10hipError_tPvRmT2_T3_mT4_T5_T6_T7_T8_P12ihipStream_tbENKUlT_T0_E_clISt17integral_constantIbLb1EES10_IbLb0EEEEDaSW_SX_EUlSW_E_NS1_11comp_targetILNS1_3genE10ELNS1_11target_archE1200ELNS1_3gpuE4ELNS1_3repE0EEENS1_30default_config_static_selectorELNS0_4arch9wavefront6targetE0EEEvT1_
                                        ; -- End function
	.section	.AMDGPU.csdata,"",@progbits
; Kernel info:
; codeLenInByte = 0
; NumSgprs: 0
; NumVgprs: 0
; ScratchSize: 0
; MemoryBound: 0
; FloatMode: 240
; IeeeMode: 1
; LDSByteSize: 0 bytes/workgroup (compile time only)
; SGPRBlocks: 0
; VGPRBlocks: 0
; NumSGPRsForWavesPerEU: 1
; NumVGPRsForWavesPerEU: 1
; Occupancy: 16
; WaveLimiterHint : 0
; COMPUTE_PGM_RSRC2:SCRATCH_EN: 0
; COMPUTE_PGM_RSRC2:USER_SGPR: 15
; COMPUTE_PGM_RSRC2:TRAP_HANDLER: 0
; COMPUTE_PGM_RSRC2:TGID_X_EN: 1
; COMPUTE_PGM_RSRC2:TGID_Y_EN: 0
; COMPUTE_PGM_RSRC2:TGID_Z_EN: 0
; COMPUTE_PGM_RSRC2:TIDIG_COMP_CNT: 0
	.section	.text._ZN7rocprim17ROCPRIM_400000_NS6detail17trampoline_kernelINS0_14default_configENS1_29reduce_by_key_config_selectorIssN6thrust23THRUST_200600_302600_NS4plusIsEEEEZZNS1_33reduce_by_key_impl_wrapped_configILNS1_25lookback_scan_determinismE0ES3_S9_NS6_6detail15normal_iteratorINS6_10device_ptrIsEEEESG_SG_SG_PmS8_NS6_8equal_toIsEEEE10hipError_tPvRmT2_T3_mT4_T5_T6_T7_T8_P12ihipStream_tbENKUlT_T0_E_clISt17integral_constantIbLb1EES10_IbLb0EEEEDaSW_SX_EUlSW_E_NS1_11comp_targetILNS1_3genE9ELNS1_11target_archE1100ELNS1_3gpuE3ELNS1_3repE0EEENS1_30default_config_static_selectorELNS0_4arch9wavefront6targetE0EEEvT1_,"axG",@progbits,_ZN7rocprim17ROCPRIM_400000_NS6detail17trampoline_kernelINS0_14default_configENS1_29reduce_by_key_config_selectorIssN6thrust23THRUST_200600_302600_NS4plusIsEEEEZZNS1_33reduce_by_key_impl_wrapped_configILNS1_25lookback_scan_determinismE0ES3_S9_NS6_6detail15normal_iteratorINS6_10device_ptrIsEEEESG_SG_SG_PmS8_NS6_8equal_toIsEEEE10hipError_tPvRmT2_T3_mT4_T5_T6_T7_T8_P12ihipStream_tbENKUlT_T0_E_clISt17integral_constantIbLb1EES10_IbLb0EEEEDaSW_SX_EUlSW_E_NS1_11comp_targetILNS1_3genE9ELNS1_11target_archE1100ELNS1_3gpuE3ELNS1_3repE0EEENS1_30default_config_static_selectorELNS0_4arch9wavefront6targetE0EEEvT1_,comdat
	.protected	_ZN7rocprim17ROCPRIM_400000_NS6detail17trampoline_kernelINS0_14default_configENS1_29reduce_by_key_config_selectorIssN6thrust23THRUST_200600_302600_NS4plusIsEEEEZZNS1_33reduce_by_key_impl_wrapped_configILNS1_25lookback_scan_determinismE0ES3_S9_NS6_6detail15normal_iteratorINS6_10device_ptrIsEEEESG_SG_SG_PmS8_NS6_8equal_toIsEEEE10hipError_tPvRmT2_T3_mT4_T5_T6_T7_T8_P12ihipStream_tbENKUlT_T0_E_clISt17integral_constantIbLb1EES10_IbLb0EEEEDaSW_SX_EUlSW_E_NS1_11comp_targetILNS1_3genE9ELNS1_11target_archE1100ELNS1_3gpuE3ELNS1_3repE0EEENS1_30default_config_static_selectorELNS0_4arch9wavefront6targetE0EEEvT1_ ; -- Begin function _ZN7rocprim17ROCPRIM_400000_NS6detail17trampoline_kernelINS0_14default_configENS1_29reduce_by_key_config_selectorIssN6thrust23THRUST_200600_302600_NS4plusIsEEEEZZNS1_33reduce_by_key_impl_wrapped_configILNS1_25lookback_scan_determinismE0ES3_S9_NS6_6detail15normal_iteratorINS6_10device_ptrIsEEEESG_SG_SG_PmS8_NS6_8equal_toIsEEEE10hipError_tPvRmT2_T3_mT4_T5_T6_T7_T8_P12ihipStream_tbENKUlT_T0_E_clISt17integral_constantIbLb1EES10_IbLb0EEEEDaSW_SX_EUlSW_E_NS1_11comp_targetILNS1_3genE9ELNS1_11target_archE1100ELNS1_3gpuE3ELNS1_3repE0EEENS1_30default_config_static_selectorELNS0_4arch9wavefront6targetE0EEEvT1_
	.globl	_ZN7rocprim17ROCPRIM_400000_NS6detail17trampoline_kernelINS0_14default_configENS1_29reduce_by_key_config_selectorIssN6thrust23THRUST_200600_302600_NS4plusIsEEEEZZNS1_33reduce_by_key_impl_wrapped_configILNS1_25lookback_scan_determinismE0ES3_S9_NS6_6detail15normal_iteratorINS6_10device_ptrIsEEEESG_SG_SG_PmS8_NS6_8equal_toIsEEEE10hipError_tPvRmT2_T3_mT4_T5_T6_T7_T8_P12ihipStream_tbENKUlT_T0_E_clISt17integral_constantIbLb1EES10_IbLb0EEEEDaSW_SX_EUlSW_E_NS1_11comp_targetILNS1_3genE9ELNS1_11target_archE1100ELNS1_3gpuE3ELNS1_3repE0EEENS1_30default_config_static_selectorELNS0_4arch9wavefront6targetE0EEEvT1_
	.p2align	8
	.type	_ZN7rocprim17ROCPRIM_400000_NS6detail17trampoline_kernelINS0_14default_configENS1_29reduce_by_key_config_selectorIssN6thrust23THRUST_200600_302600_NS4plusIsEEEEZZNS1_33reduce_by_key_impl_wrapped_configILNS1_25lookback_scan_determinismE0ES3_S9_NS6_6detail15normal_iteratorINS6_10device_ptrIsEEEESG_SG_SG_PmS8_NS6_8equal_toIsEEEE10hipError_tPvRmT2_T3_mT4_T5_T6_T7_T8_P12ihipStream_tbENKUlT_T0_E_clISt17integral_constantIbLb1EES10_IbLb0EEEEDaSW_SX_EUlSW_E_NS1_11comp_targetILNS1_3genE9ELNS1_11target_archE1100ELNS1_3gpuE3ELNS1_3repE0EEENS1_30default_config_static_selectorELNS0_4arch9wavefront6targetE0EEEvT1_,@function
_ZN7rocprim17ROCPRIM_400000_NS6detail17trampoline_kernelINS0_14default_configENS1_29reduce_by_key_config_selectorIssN6thrust23THRUST_200600_302600_NS4plusIsEEEEZZNS1_33reduce_by_key_impl_wrapped_configILNS1_25lookback_scan_determinismE0ES3_S9_NS6_6detail15normal_iteratorINS6_10device_ptrIsEEEESG_SG_SG_PmS8_NS6_8equal_toIsEEEE10hipError_tPvRmT2_T3_mT4_T5_T6_T7_T8_P12ihipStream_tbENKUlT_T0_E_clISt17integral_constantIbLb1EES10_IbLb0EEEEDaSW_SX_EUlSW_E_NS1_11comp_targetILNS1_3genE9ELNS1_11target_archE1100ELNS1_3gpuE3ELNS1_3repE0EEENS1_30default_config_static_selectorELNS0_4arch9wavefront6targetE0EEEvT1_: ; @_ZN7rocprim17ROCPRIM_400000_NS6detail17trampoline_kernelINS0_14default_configENS1_29reduce_by_key_config_selectorIssN6thrust23THRUST_200600_302600_NS4plusIsEEEEZZNS1_33reduce_by_key_impl_wrapped_configILNS1_25lookback_scan_determinismE0ES3_S9_NS6_6detail15normal_iteratorINS6_10device_ptrIsEEEESG_SG_SG_PmS8_NS6_8equal_toIsEEEE10hipError_tPvRmT2_T3_mT4_T5_T6_T7_T8_P12ihipStream_tbENKUlT_T0_E_clISt17integral_constantIbLb1EES10_IbLb0EEEEDaSW_SX_EUlSW_E_NS1_11comp_targetILNS1_3genE9ELNS1_11target_archE1100ELNS1_3gpuE3ELNS1_3repE0EEENS1_30default_config_static_selectorELNS0_4arch9wavefront6targetE0EEEvT1_
; %bb.0:
	s_clause 0x4
	s_load_b256 s[16:23], s[0:1], 0x0
	s_load_b256 s[24:31], s[0:1], 0x38
	s_load_b128 s[36:39], s[0:1], 0x20
	s_load_b64 s[34:35], s[0:1], 0x68
	s_load_b128 s[40:43], s[0:1], 0x58
	s_mov_b32 s3, 0
	s_mul_i32 s2, s15, 0xf00
	s_waitcnt lgkmcnt(0)
	s_lshl_b64 s[0:1], s[18:19], 1
	s_mul_i32 s4, s28, s27
	s_add_u32 s8, s16, s0
	s_mul_hi_u32 s5, s28, s26
	s_addc_u32 s9, s17, s1
	s_add_u32 s10, s20, s0
	s_mul_i32 s6, s29, s26
	s_addc_u32 s11, s21, s1
	s_add_i32 s4, s5, s4
	s_lshl_b64 s[0:1], s[2:3], 1
	s_add_i32 s4, s4, s6
	s_add_u32 s29, s8, s0
	s_addc_u32 s14, s9, s1
	s_mul_i32 s7, s28, s26
	s_add_u32 s19, s10, s0
	s_addc_u32 s28, s11, s1
	s_add_u32 s16, s7, s15
	s_addc_u32 s17, s4, 0
	s_add_u32 s0, s30, -1
	s_addc_u32 s1, s31, -1
	s_mul_i32 s21, s0, 0xfffff100
	s_cmp_eq_u64 s[16:17], s[0:1]
	s_cselect_b32 s20, -1, 0
	s_cmp_lg_u64 s[16:17], s[0:1]
	s_cselect_b32 s18, -1, 0
	s_and_b32 vcc_lo, exec_lo, s20
	s_cbranch_vccnz .LBB649_2
; %bb.1:
	v_lshlrev_b32_e32 v13, 1, v0
	s_delay_alu instid0(VALU_DEP_1) | instskip(NEXT) | instid1(VALU_DEP_1)
	v_add_co_u32 v1, s0, s29, v13
	v_add_co_ci_u32_e64 v2, null, s14, 0, s0
	v_add_co_u32 v6, s0, s19, v13
	s_delay_alu instid0(VALU_DEP_3) | instskip(NEXT) | instid1(VALU_DEP_3)
	v_add_co_u32 v3, vcc_lo, 0x1000, v1
	v_add_co_ci_u32_e32 v4, vcc_lo, 0, v2, vcc_lo
	s_clause 0xe
	flat_load_u16 v10, v[1:2]
	flat_load_u16 v11, v[1:2] offset:512
	flat_load_u16 v12, v[1:2] offset:1024
	;; [unrolled: 1-line block ×7, first 2 shown]
	flat_load_u16 v2, v[3:4]
	flat_load_u16 v18, v[3:4] offset:512
	flat_load_u16 v19, v[3:4] offset:1024
	;; [unrolled: 1-line block ×6, first 2 shown]
	v_add_co_ci_u32_e64 v7, null, s28, 0, s0
	v_mad_u32_u24 v5, v0, 28, v13
	v_add_co_u32 v8, vcc_lo, 0x1000, v6
	s_delay_alu instid0(VALU_DEP_3)
	v_add_co_ci_u32_e32 v9, vcc_lo, 0, v7, vcc_lo
	s_waitcnt vmcnt(14) lgkmcnt(14)
	ds_store_b16 v13, v10
	s_waitcnt vmcnt(13) lgkmcnt(14)
	ds_store_b16 v13, v11 offset:512
	s_waitcnt vmcnt(12) lgkmcnt(14)
	ds_store_b16 v13, v12 offset:1024
	;; [unrolled: 2-line block ×14, first 2 shown]
	s_waitcnt lgkmcnt(0)
	s_barrier
	buffer_gl0_inv
	ds_load_u16 v51, v5
	ds_load_b128 v[1:4], v5 offset:2
	ds_load_b96 v[10:12], v5 offset:18
	s_waitcnt lgkmcnt(0)
	s_barrier
	buffer_gl0_inv
	s_clause 0xe
	flat_load_u16 v14, v[6:7]
	flat_load_u16 v15, v[6:7] offset:512
	flat_load_u16 v16, v[6:7] offset:1024
	flat_load_u16 v17, v[6:7] offset:1536
	flat_load_u16 v18, v[6:7] offset:2048
	flat_load_u16 v19, v[6:7] offset:2560
	flat_load_u16 v20, v[6:7] offset:3072
	flat_load_u16 v6, v[6:7] offset:3584
	flat_load_u16 v21, v[8:9]
	flat_load_u16 v22, v[8:9] offset:512
	flat_load_u16 v23, v[8:9] offset:1024
	;; [unrolled: 1-line block ×6, first 2 shown]
	v_mul_u32_u24_e32 v7, 15, v0
	s_waitcnt vmcnt(14) lgkmcnt(14)
	ds_store_b16 v13, v14
	s_waitcnt vmcnt(13) lgkmcnt(14)
	ds_store_b16 v13, v15 offset:512
	s_waitcnt vmcnt(12) lgkmcnt(14)
	ds_store_b16 v13, v16 offset:1024
	;; [unrolled: 2-line block ×14, first 2 shown]
	s_waitcnt lgkmcnt(0)
	s_barrier
	s_and_not1_b32 vcc_lo, exec_lo, s3
	s_add_i32 s21, s21, s40
	s_cbranch_vccz .LBB649_3
	s_branch .LBB649_50
.LBB649_2:
                                        ; implicit-def: $vgpr1
                                        ; implicit-def: $vgpr10
                                        ; implicit-def: $vgpr7
                                        ; implicit-def: $vgpr5
                                        ; implicit-def: $vgpr51
	s_add_i32 s21, s21, s40
.LBB649_3:
	s_delay_alu instid0(SALU_CYCLE_1)
	v_cmp_gt_u32_e32 vcc_lo, s21, v0
                                        ; implicit-def: $vgpr1
	s_and_saveexec_b32 s0, vcc_lo
	s_cbranch_execz .LBB649_5
; %bb.4:
	v_lshlrev_b32_e32 v1, 1, v0
	s_delay_alu instid0(VALU_DEP_1) | instskip(NEXT) | instid1(VALU_DEP_1)
	v_add_co_u32 v1, s1, s29, v1
	v_add_co_ci_u32_e64 v2, null, s14, 0, s1
	flat_load_u16 v1, v[1:2]
.LBB649_5:
	s_or_b32 exec_lo, exec_lo, s0
	v_or_b32_e32 v2, 0x100, v0
	s_delay_alu instid0(VALU_DEP_1) | instskip(NEXT) | instid1(VALU_DEP_1)
	v_cmp_gt_u32_e64 s0, s21, v2
                                        ; implicit-def: $vgpr2
	s_and_saveexec_b32 s1, s0
	s_cbranch_execz .LBB649_7
; %bb.6:
	v_lshlrev_b32_e32 v2, 1, v0
	s_delay_alu instid0(VALU_DEP_1) | instskip(NEXT) | instid1(VALU_DEP_1)
	v_add_co_u32 v2, s2, s29, v2
	v_add_co_ci_u32_e64 v3, null, s14, 0, s2
	flat_load_u16 v2, v[2:3] offset:512
.LBB649_7:
	s_or_b32 exec_lo, exec_lo, s1
	v_or_b32_e32 v3, 0x200, v0
	s_delay_alu instid0(VALU_DEP_1) | instskip(NEXT) | instid1(VALU_DEP_1)
	v_cmp_gt_u32_e64 s1, s21, v3
                                        ; implicit-def: $vgpr3
	s_and_saveexec_b32 s2, s1
	s_cbranch_execz .LBB649_9
; %bb.8:
	v_lshlrev_b32_e32 v3, 1, v0
	s_delay_alu instid0(VALU_DEP_1) | instskip(NEXT) | instid1(VALU_DEP_1)
	v_add_co_u32 v3, s3, s29, v3
	v_add_co_ci_u32_e64 v4, null, s14, 0, s3
	flat_load_u16 v3, v[3:4] offset:1024
.LBB649_9:
	s_or_b32 exec_lo, exec_lo, s2
	v_or_b32_e32 v4, 0x300, v0
	s_delay_alu instid0(VALU_DEP_1) | instskip(NEXT) | instid1(VALU_DEP_1)
	v_cmp_gt_u32_e64 s2, s21, v4
                                        ; implicit-def: $vgpr4
	s_and_saveexec_b32 s3, s2
	s_cbranch_execz .LBB649_11
; %bb.10:
	v_lshlrev_b32_e32 v4, 1, v0
	s_delay_alu instid0(VALU_DEP_1) | instskip(NEXT) | instid1(VALU_DEP_1)
	v_add_co_u32 v4, s4, s29, v4
	v_add_co_ci_u32_e64 v5, null, s14, 0, s4
	flat_load_u16 v4, v[4:5] offset:1536
.LBB649_11:
	s_or_b32 exec_lo, exec_lo, s3
	v_or_b32_e32 v5, 0x400, v0
	s_delay_alu instid0(VALU_DEP_1) | instskip(NEXT) | instid1(VALU_DEP_1)
	v_cmp_gt_u32_e64 s3, s21, v5
                                        ; implicit-def: $vgpr5
	s_and_saveexec_b32 s4, s3
	s_cbranch_execz .LBB649_13
; %bb.12:
	v_lshlrev_b32_e32 v5, 1, v0
	s_delay_alu instid0(VALU_DEP_1) | instskip(NEXT) | instid1(VALU_DEP_1)
	v_add_co_u32 v5, s5, s29, v5
	v_add_co_ci_u32_e64 v6, null, s14, 0, s5
	flat_load_u16 v5, v[5:6] offset:2048
.LBB649_13:
	s_or_b32 exec_lo, exec_lo, s4
	v_or_b32_e32 v6, 0x500, v0
                                        ; implicit-def: $vgpr10
	s_delay_alu instid0(VALU_DEP_1) | instskip(NEXT) | instid1(VALU_DEP_1)
	v_cmp_gt_u32_e64 s4, s21, v6
	s_and_saveexec_b32 s5, s4
	s_cbranch_execz .LBB649_15
; %bb.14:
	v_lshlrev_b32_e32 v6, 1, v0
	s_delay_alu instid0(VALU_DEP_1) | instskip(NEXT) | instid1(VALU_DEP_1)
	v_add_co_u32 v6, s6, s29, v6
	v_add_co_ci_u32_e64 v7, null, s14, 0, s6
	flat_load_u16 v10, v[6:7] offset:2560
.LBB649_15:
	s_or_b32 exec_lo, exec_lo, s5
	v_or_b32_e32 v6, 0x600, v0
                                        ; implicit-def: $vgpr11
	s_delay_alu instid0(VALU_DEP_1) | instskip(NEXT) | instid1(VALU_DEP_1)
	v_cmp_gt_u32_e64 s5, s21, v6
	s_and_saveexec_b32 s6, s5
	s_cbranch_execz .LBB649_17
; %bb.16:
	v_lshlrev_b32_e32 v6, 1, v0
	s_delay_alu instid0(VALU_DEP_1) | instskip(NEXT) | instid1(VALU_DEP_1)
	v_add_co_u32 v6, s7, s29, v6
	v_add_co_ci_u32_e64 v7, null, s14, 0, s7
	flat_load_u16 v11, v[6:7] offset:3072
.LBB649_17:
	s_or_b32 exec_lo, exec_lo, s6
	v_or_b32_e32 v6, 0x700, v0
                                        ; implicit-def: $vgpr12
	s_delay_alu instid0(VALU_DEP_1) | instskip(NEXT) | instid1(VALU_DEP_1)
	v_cmp_gt_u32_e64 s6, s21, v6
	s_and_saveexec_b32 s7, s6
	s_cbranch_execz .LBB649_19
; %bb.18:
	v_lshlrev_b32_e32 v6, 1, v0
	s_delay_alu instid0(VALU_DEP_1) | instskip(NEXT) | instid1(VALU_DEP_1)
	v_add_co_u32 v6, s8, s29, v6
	v_add_co_ci_u32_e64 v7, null, s14, 0, s8
	flat_load_u16 v12, v[6:7] offset:3584
.LBB649_19:
	s_or_b32 exec_lo, exec_lo, s7
	v_or_b32_e32 v7, 0x800, v0
                                        ; implicit-def: $vgpr17
	s_delay_alu instid0(VALU_DEP_1) | instskip(NEXT) | instid1(VALU_DEP_1)
	v_cmp_gt_u32_e64 s7, s21, v7
	s_and_saveexec_b32 s8, s7
	s_cbranch_execz .LBB649_21
; %bb.20:
	v_lshlrev_b32_e32 v6, 1, v7
	s_delay_alu instid0(VALU_DEP_1) | instskip(NEXT) | instid1(VALU_DEP_1)
	v_add_co_u32 v8, s9, s29, v6
	v_add_co_ci_u32_e64 v9, null, s14, 0, s9
	flat_load_u16 v17, v[8:9]
.LBB649_21:
	s_or_b32 exec_lo, exec_lo, s8
	v_or_b32_e32 v8, 0x900, v0
                                        ; implicit-def: $vgpr18
	s_delay_alu instid0(VALU_DEP_1) | instskip(NEXT) | instid1(VALU_DEP_1)
	v_cmp_gt_u32_e64 s8, s21, v8
	s_and_saveexec_b32 s9, s8
	s_cbranch_execz .LBB649_23
; %bb.22:
	v_lshlrev_b32_e32 v6, 1, v8
	s_delay_alu instid0(VALU_DEP_1) | instskip(NEXT) | instid1(VALU_DEP_1)
	v_add_co_u32 v13, s10, s29, v6
	v_add_co_ci_u32_e64 v14, null, s14, 0, s10
	flat_load_u16 v18, v[13:14]
.LBB649_23:
	s_or_b32 exec_lo, exec_lo, s9
	v_or_b32_e32 v9, 0xa00, v0
                                        ; implicit-def: $vgpr19
	s_delay_alu instid0(VALU_DEP_1) | instskip(NEXT) | instid1(VALU_DEP_1)
	v_cmp_gt_u32_e64 s9, s21, v9
	s_and_saveexec_b32 s10, s9
	s_cbranch_execz .LBB649_25
; %bb.24:
	v_lshlrev_b32_e32 v6, 1, v9
	s_delay_alu instid0(VALU_DEP_1) | instskip(NEXT) | instid1(VALU_DEP_1)
	v_add_co_u32 v13, s11, s29, v6
	v_add_co_ci_u32_e64 v14, null, s14, 0, s11
	flat_load_u16 v19, v[13:14]
.LBB649_25:
	s_or_b32 exec_lo, exec_lo, s10
	v_or_b32_e32 v13, 0xb00, v0
                                        ; implicit-def: $vgpr20
	s_delay_alu instid0(VALU_DEP_1) | instskip(NEXT) | instid1(VALU_DEP_1)
	v_cmp_gt_u32_e64 s10, s21, v13
	s_and_saveexec_b32 s11, s10
	s_cbranch_execz .LBB649_27
; %bb.26:
	v_lshlrev_b32_e32 v6, 1, v13
	s_delay_alu instid0(VALU_DEP_1) | instskip(NEXT) | instid1(VALU_DEP_1)
	v_add_co_u32 v14, s12, s29, v6
	v_add_co_ci_u32_e64 v15, null, s14, 0, s12
	flat_load_u16 v20, v[14:15]
.LBB649_27:
	s_or_b32 exec_lo, exec_lo, s11
	v_or_b32_e32 v14, 0xc00, v0
                                        ; implicit-def: $vgpr21
	s_delay_alu instid0(VALU_DEP_1) | instskip(NEXT) | instid1(VALU_DEP_1)
	v_cmp_gt_u32_e64 s11, s21, v14
	s_and_saveexec_b32 s12, s11
	s_cbranch_execz .LBB649_29
; %bb.28:
	v_lshlrev_b32_e32 v6, 1, v14
	s_delay_alu instid0(VALU_DEP_1) | instskip(NEXT) | instid1(VALU_DEP_1)
	v_add_co_u32 v15, s13, s29, v6
	v_add_co_ci_u32_e64 v16, null, s14, 0, s13
	flat_load_u16 v21, v[15:16]
.LBB649_29:
	s_or_b32 exec_lo, exec_lo, s12
	v_or_b32_e32 v15, 0xd00, v0
                                        ; implicit-def: $vgpr22
	s_delay_alu instid0(VALU_DEP_1) | instskip(NEXT) | instid1(VALU_DEP_1)
	v_cmp_gt_u32_e64 s12, s21, v15
	s_and_saveexec_b32 s13, s12
	s_cbranch_execz .LBB649_31
; %bb.30:
	v_lshlrev_b32_e32 v6, 1, v15
	s_delay_alu instid0(VALU_DEP_1) | instskip(NEXT) | instid1(VALU_DEP_1)
	v_add_co_u32 v22, s30, s29, v6
	v_add_co_ci_u32_e64 v23, null, s14, 0, s30
	flat_load_u16 v22, v[22:23]
.LBB649_31:
	s_or_b32 exec_lo, exec_lo, s13
	v_or_b32_e32 v16, 0xe00, v0
                                        ; implicit-def: $vgpr23
	s_delay_alu instid0(VALU_DEP_1) | instskip(NEXT) | instid1(VALU_DEP_1)
	v_cmp_gt_u32_e64 s13, s21, v16
	s_and_saveexec_b32 s30, s13
	s_cbranch_execz .LBB649_33
; %bb.32:
	v_lshlrev_b32_e32 v6, 1, v16
	s_delay_alu instid0(VALU_DEP_1) | instskip(NEXT) | instid1(VALU_DEP_1)
	v_add_co_u32 v23, s31, s29, v6
	v_add_co_ci_u32_e64 v24, null, s14, 0, s31
	flat_load_u16 v23, v[23:24]
.LBB649_33:
	s_or_b32 exec_lo, exec_lo, s30
	v_lshlrev_b32_e32 v6, 1, v0
	s_waitcnt vmcnt(0) lgkmcnt(0)
	ds_store_b16 v6, v1
	ds_store_b16 v6, v2 offset:512
	ds_store_b16 v6, v3 offset:1024
	;; [unrolled: 1-line block ×7, first 2 shown]
	v_mad_u32_u24 v5, v0, 28, v6
	ds_store_b16 v6, v17 offset:4096
	ds_store_b16 v6, v18 offset:4608
	;; [unrolled: 1-line block ×7, first 2 shown]
	s_waitcnt lgkmcnt(0)
	s_barrier
	buffer_gl0_inv
	ds_load_u16 v51, v5
	ds_load_b128 v[1:4], v5 offset:2
	ds_load_b96 v[10:12], v5 offset:18
	s_waitcnt lgkmcnt(0)
	s_barrier
	buffer_gl0_inv
                                        ; implicit-def: $vgpr17
	s_and_saveexec_b32 s30, vcc_lo
	s_cbranch_execnz .LBB649_57
; %bb.34:
	s_or_b32 exec_lo, exec_lo, s30
                                        ; implicit-def: $vgpr18
	s_and_saveexec_b32 s30, s0
	s_cbranch_execnz .LBB649_58
.LBB649_35:
	s_or_b32 exec_lo, exec_lo, s30
                                        ; implicit-def: $vgpr19
	s_and_saveexec_b32 s0, s1
	s_cbranch_execnz .LBB649_59
.LBB649_36:
	s_or_b32 exec_lo, exec_lo, s0
                                        ; implicit-def: $vgpr20
	s_and_saveexec_b32 s0, s2
	s_cbranch_execnz .LBB649_60
.LBB649_37:
	s_or_b32 exec_lo, exec_lo, s0
                                        ; implicit-def: $vgpr21
	s_and_saveexec_b32 s0, s3
	s_cbranch_execnz .LBB649_61
.LBB649_38:
	s_or_b32 exec_lo, exec_lo, s0
                                        ; implicit-def: $vgpr22
	s_and_saveexec_b32 s0, s4
	s_cbranch_execnz .LBB649_62
.LBB649_39:
	s_or_b32 exec_lo, exec_lo, s0
                                        ; implicit-def: $vgpr23
	s_and_saveexec_b32 s0, s5
	s_cbranch_execnz .LBB649_63
.LBB649_40:
	s_or_b32 exec_lo, exec_lo, s0
                                        ; implicit-def: $vgpr24
	s_and_saveexec_b32 s0, s6
	s_cbranch_execnz .LBB649_64
.LBB649_41:
	s_or_b32 exec_lo, exec_lo, s0
                                        ; implicit-def: $vgpr25
	s_and_saveexec_b32 s0, s7
	s_cbranch_execnz .LBB649_65
.LBB649_42:
	s_or_b32 exec_lo, exec_lo, s0
                                        ; implicit-def: $vgpr26
	s_and_saveexec_b32 s0, s8
	s_cbranch_execnz .LBB649_66
.LBB649_43:
	s_or_b32 exec_lo, exec_lo, s0
                                        ; implicit-def: $vgpr8
	s_and_saveexec_b32 s0, s9
	s_cbranch_execnz .LBB649_67
.LBB649_44:
	s_or_b32 exec_lo, exec_lo, s0
                                        ; implicit-def: $vgpr9
	s_and_saveexec_b32 s0, s10
	s_cbranch_execnz .LBB649_68
.LBB649_45:
	s_or_b32 exec_lo, exec_lo, s0
                                        ; implicit-def: $vgpr13
	s_and_saveexec_b32 s0, s11
	s_cbranch_execnz .LBB649_69
.LBB649_46:
	s_or_b32 exec_lo, exec_lo, s0
                                        ; implicit-def: $vgpr14
	s_and_saveexec_b32 s0, s12
	s_cbranch_execnz .LBB649_70
.LBB649_47:
	s_or_b32 exec_lo, exec_lo, s0
                                        ; implicit-def: $vgpr15
	s_and_saveexec_b32 s0, s13
	s_cbranch_execz .LBB649_49
.LBB649_48:
	v_lshlrev_b32_e32 v7, 1, v16
	s_delay_alu instid0(VALU_DEP_1) | instskip(NEXT) | instid1(VALU_DEP_1)
	v_add_co_u32 v15, s1, s19, v7
	v_add_co_ci_u32_e64 v16, null, s28, 0, s1
	flat_load_u16 v15, v[15:16]
.LBB649_49:
	s_or_b32 exec_lo, exec_lo, s0
	v_mul_u32_u24_e32 v7, 15, v0
	s_waitcnt vmcnt(0) lgkmcnt(0)
	ds_store_b16 v6, v17
	ds_store_b16 v6, v18 offset:512
	ds_store_b16 v6, v19 offset:1024
	;; [unrolled: 1-line block ×14, first 2 shown]
	s_waitcnt lgkmcnt(0)
	s_barrier
.LBB649_50:
	v_lshlrev_b32_e32 v6, 1, v7
	buffer_gl0_inv
	ds_load_u16 v74, v5
	ds_load_u16 v73, v5 offset:2
	ds_load_u16 v71, v5 offset:6
	;; [unrolled: 1-line block ×14, first 2 shown]
	s_cmp_eq_u64 s[16:17], 0
	s_waitcnt lgkmcnt(0)
	s_cselect_b32 s28, -1, 0
	s_cmp_lg_u64 s[16:17], 0
	s_barrier
	s_cselect_b32 s33, -1, 0
	s_and_b32 vcc_lo, exec_lo, s18
	buffer_gl0_inv
	s_cbranch_vccz .LBB649_56
; %bb.51:
	s_and_b32 vcc_lo, exec_lo, s33
	s_cbranch_vccz .LBB649_71
; %bb.52:
	v_add_co_u32 v5, s0, -2, s29
	s_delay_alu instid0(VALU_DEP_1)
	v_add_co_ci_u32_e64 v6, null, -1, s14, s0
	v_lshrrev_b32_e32 v7, 16, v12
	v_lshrrev_b32_e32 v8, 16, v11
	;; [unrolled: 1-line block ×3, first 2 shown]
	flat_load_u16 v5, v[5:6]
	v_lshlrev_b32_e32 v6, 1, v0
	v_cmp_ne_u16_e32 vcc_lo, v12, v7
	v_cmp_ne_u16_e64 s0, v8, v12
	v_cmp_ne_u16_e64 s1, v11, v8
	;; [unrolled: 1-line block ×3, first 2 shown]
	ds_store_b16 v6, v7
	v_lshrrev_b32_e32 v7, 16, v4
	v_cmp_ne_u16_e64 s3, v10, v9
	v_lshrrev_b32_e32 v8, 16, v3
	v_lshrrev_b32_e32 v9, 16, v2
	v_cmp_ne_u16_e64 s12, v51, v1
	v_cmp_ne_u16_e64 s4, v7, v10
	;; [unrolled: 1-line block ×3, first 2 shown]
	v_lshrrev_b32_e32 v7, 16, v1
	v_cmp_ne_u16_e64 s6, v8, v4
	v_cmp_ne_u16_e64 s7, v3, v8
	;; [unrolled: 1-line block ×6, first 2 shown]
	s_mov_b32 s30, -1
	s_mov_b32 s18, 0
	s_mov_b32 s19, exec_lo
	s_waitcnt vmcnt(0) lgkmcnt(0)
	s_barrier
	buffer_gl0_inv
	v_cmpx_ne_u32_e32 0, v0
	s_cbranch_execz .LBB649_54
; %bb.53:
	v_add_nc_u32_e32 v5, -2, v6
	ds_load_u16 v5, v5
.LBB649_54:
	s_or_b32 exec_lo, exec_lo, s19
	v_cndmask_b32_e64 v54, 0, 1, vcc_lo
	v_cndmask_b32_e64 v47, 0, 1, s0
	v_cndmask_b32_e64 v48, 0, 1, s1
	;; [unrolled: 1-line block ×13, first 2 shown]
	s_waitcnt lgkmcnt(0)
	v_cmp_ne_u16_e64 s0, v5, v51
	s_and_b32 vcc_lo, exec_lo, s18
	s_cbranch_vccnz .LBB649_72
.LBB649_55:
                                        ; implicit-def: $sgpr31
	s_branch .LBB649_83
.LBB649_56:
	s_mov_b32 s30, 0
                                        ; implicit-def: $sgpr0
                                        ; implicit-def: $vgpr54
                                        ; implicit-def: $vgpr47
                                        ; implicit-def: $vgpr48
                                        ; implicit-def: $vgpr49
                                        ; implicit-def: $vgpr50
                                        ; implicit-def: $vgpr52
                                        ; implicit-def: $vgpr53
                                        ; implicit-def: $vgpr55
                                        ; implicit-def: $vgpr56
                                        ; implicit-def: $vgpr57
                                        ; implicit-def: $vgpr58
                                        ; implicit-def: $vgpr59
                                        ; implicit-def: $vgpr60
                                        ; implicit-def: $vgpr61
                                        ; implicit-def: $sgpr31
	s_cbranch_execnz .LBB649_75
	s_branch .LBB649_83
.LBB649_57:
	v_add_co_u32 v17, s31, s19, v6
	s_delay_alu instid0(VALU_DEP_1)
	v_add_co_ci_u32_e64 v18, null, s28, 0, s31
	flat_load_u16 v17, v[17:18]
	s_or_b32 exec_lo, exec_lo, s30
                                        ; implicit-def: $vgpr18
	s_and_saveexec_b32 s30, s0
	s_cbranch_execz .LBB649_35
.LBB649_58:
	v_add_co_u32 v18, s0, s19, v6
	s_delay_alu instid0(VALU_DEP_1)
	v_add_co_ci_u32_e64 v19, null, s28, 0, s0
	flat_load_u16 v18, v[18:19] offset:512
	s_or_b32 exec_lo, exec_lo, s30
                                        ; implicit-def: $vgpr19
	s_and_saveexec_b32 s0, s1
	s_cbranch_execz .LBB649_36
.LBB649_59:
	v_add_co_u32 v19, s1, s19, v6
	s_delay_alu instid0(VALU_DEP_1)
	v_add_co_ci_u32_e64 v20, null, s28, 0, s1
	flat_load_u16 v19, v[19:20] offset:1024
	s_or_b32 exec_lo, exec_lo, s0
                                        ; implicit-def: $vgpr20
	s_and_saveexec_b32 s0, s2
	s_cbranch_execz .LBB649_37
.LBB649_60:
	v_add_co_u32 v20, s1, s19, v6
	s_delay_alu instid0(VALU_DEP_1)
	v_add_co_ci_u32_e64 v21, null, s28, 0, s1
	flat_load_u16 v20, v[20:21] offset:1536
	s_or_b32 exec_lo, exec_lo, s0
                                        ; implicit-def: $vgpr21
	s_and_saveexec_b32 s0, s3
	s_cbranch_execz .LBB649_38
.LBB649_61:
	v_add_co_u32 v21, s1, s19, v6
	s_delay_alu instid0(VALU_DEP_1)
	v_add_co_ci_u32_e64 v22, null, s28, 0, s1
	flat_load_u16 v21, v[21:22] offset:2048
	s_or_b32 exec_lo, exec_lo, s0
                                        ; implicit-def: $vgpr22
	s_and_saveexec_b32 s0, s4
	s_cbranch_execz .LBB649_39
.LBB649_62:
	v_add_co_u32 v22, s1, s19, v6
	s_delay_alu instid0(VALU_DEP_1)
	v_add_co_ci_u32_e64 v23, null, s28, 0, s1
	flat_load_u16 v22, v[22:23] offset:2560
	s_or_b32 exec_lo, exec_lo, s0
                                        ; implicit-def: $vgpr23
	s_and_saveexec_b32 s0, s5
	s_cbranch_execz .LBB649_40
.LBB649_63:
	v_add_co_u32 v23, s1, s19, v6
	s_delay_alu instid0(VALU_DEP_1)
	v_add_co_ci_u32_e64 v24, null, s28, 0, s1
	flat_load_u16 v23, v[23:24] offset:3072
	s_or_b32 exec_lo, exec_lo, s0
                                        ; implicit-def: $vgpr24
	s_and_saveexec_b32 s0, s6
	s_cbranch_execz .LBB649_41
.LBB649_64:
	v_add_co_u32 v24, s1, s19, v6
	s_delay_alu instid0(VALU_DEP_1)
	v_add_co_ci_u32_e64 v25, null, s28, 0, s1
	flat_load_u16 v24, v[24:25] offset:3584
	s_or_b32 exec_lo, exec_lo, s0
                                        ; implicit-def: $vgpr25
	s_and_saveexec_b32 s0, s7
	s_cbranch_execz .LBB649_42
.LBB649_65:
	v_lshlrev_b32_e32 v7, 1, v7
	s_delay_alu instid0(VALU_DEP_1) | instskip(NEXT) | instid1(VALU_DEP_1)
	v_add_co_u32 v25, s1, s19, v7
	v_add_co_ci_u32_e64 v26, null, s28, 0, s1
	flat_load_u16 v25, v[25:26]
	s_or_b32 exec_lo, exec_lo, s0
                                        ; implicit-def: $vgpr26
	s_and_saveexec_b32 s0, s8
	s_cbranch_execz .LBB649_43
.LBB649_66:
	v_lshlrev_b32_e32 v7, 1, v8
	s_delay_alu instid0(VALU_DEP_1) | instskip(NEXT) | instid1(VALU_DEP_1)
	v_add_co_u32 v7, s1, s19, v7
	v_add_co_ci_u32_e64 v8, null, s28, 0, s1
	flat_load_u16 v26, v[7:8]
	s_or_b32 exec_lo, exec_lo, s0
                                        ; implicit-def: $vgpr8
	s_and_saveexec_b32 s0, s9
	s_cbranch_execz .LBB649_44
.LBB649_67:
	v_lshlrev_b32_e32 v7, 1, v9
	s_delay_alu instid0(VALU_DEP_1) | instskip(NEXT) | instid1(VALU_DEP_1)
	v_add_co_u32 v7, s1, s19, v7
	v_add_co_ci_u32_e64 v8, null, s28, 0, s1
	flat_load_u16 v8, v[7:8]
	s_or_b32 exec_lo, exec_lo, s0
                                        ; implicit-def: $vgpr9
	s_and_saveexec_b32 s0, s10
	s_cbranch_execz .LBB649_45
.LBB649_68:
	v_lshlrev_b32_e32 v7, 1, v13
	s_delay_alu instid0(VALU_DEP_1) | instskip(NEXT) | instid1(VALU_DEP_1)
	v_add_co_u32 v27, s1, s19, v7
	v_add_co_ci_u32_e64 v28, null, s28, 0, s1
	flat_load_u16 v9, v[27:28]
	s_or_b32 exec_lo, exec_lo, s0
                                        ; implicit-def: $vgpr13
	s_and_saveexec_b32 s0, s11
	s_cbranch_execz .LBB649_46
.LBB649_69:
	v_lshlrev_b32_e32 v7, 1, v14
	s_delay_alu instid0(VALU_DEP_1) | instskip(NEXT) | instid1(VALU_DEP_1)
	v_add_co_u32 v13, s1, s19, v7
	v_add_co_ci_u32_e64 v14, null, s28, 0, s1
	flat_load_u16 v13, v[13:14]
	s_or_b32 exec_lo, exec_lo, s0
                                        ; implicit-def: $vgpr14
	s_and_saveexec_b32 s0, s12
	s_cbranch_execz .LBB649_47
.LBB649_70:
	v_lshlrev_b32_e32 v7, 1, v15
	s_delay_alu instid0(VALU_DEP_1) | instskip(NEXT) | instid1(VALU_DEP_1)
	v_add_co_u32 v14, s1, s19, v7
	v_add_co_ci_u32_e64 v15, null, s28, 0, s1
	flat_load_u16 v14, v[14:15]
	s_or_b32 exec_lo, exec_lo, s0
                                        ; implicit-def: $vgpr15
	s_and_saveexec_b32 s0, s13
	s_cbranch_execnz .LBB649_48
	s_branch .LBB649_49
.LBB649_71:
	s_mov_b32 s30, 0
                                        ; implicit-def: $sgpr0
                                        ; implicit-def: $vgpr54
                                        ; implicit-def: $vgpr47
                                        ; implicit-def: $vgpr48
                                        ; implicit-def: $vgpr49
                                        ; implicit-def: $vgpr50
                                        ; implicit-def: $vgpr52
                                        ; implicit-def: $vgpr53
                                        ; implicit-def: $vgpr55
                                        ; implicit-def: $vgpr56
                                        ; implicit-def: $vgpr57
                                        ; implicit-def: $vgpr58
                                        ; implicit-def: $vgpr59
                                        ; implicit-def: $vgpr60
                                        ; implicit-def: $vgpr61
	s_cbranch_execz .LBB649_55
.LBB649_72:
	v_lshrrev_b32_e32 v6, 16, v12
	v_lshrrev_b32_e32 v7, 16, v11
	;; [unrolled: 1-line block ×3, first 2 shown]
	v_lshlrev_b32_e32 v5, 1, v0
	s_mov_b32 s31, 1
	v_cmp_ne_u16_e32 vcc_lo, v12, v6
	s_mov_b32 s1, exec_lo
                                        ; implicit-def: $sgpr0
	ds_store_b16 v5, v6
	s_waitcnt lgkmcnt(0)
	v_cndmask_b32_e64 v54, 0, 1, vcc_lo
	v_cmp_ne_u16_e32 vcc_lo, v7, v12
	s_barrier
	buffer_gl0_inv
	v_cndmask_b32_e64 v47, 0, 1, vcc_lo
	v_cmp_ne_u16_e32 vcc_lo, v11, v7
	v_lshrrev_b32_e32 v7, 16, v4
	v_cndmask_b32_e64 v48, 0, 1, vcc_lo
	v_cmp_ne_u16_e32 vcc_lo, v8, v11
	v_cndmask_b32_e64 v49, 0, 1, vcc_lo
	v_cmp_ne_u16_e32 vcc_lo, v10, v8
	v_lshrrev_b32_e32 v8, 16, v3
	v_cndmask_b32_e64 v50, 0, 1, vcc_lo
	v_cmp_ne_u16_e32 vcc_lo, v7, v10
	;; [unrolled: 5-line block ×4, first 2 shown]
	v_cndmask_b32_e64 v57, 0, 1, vcc_lo
	v_cmp_ne_u16_e32 vcc_lo, v2, v7
	v_cndmask_b32_e64 v58, 0, 1, vcc_lo
	v_cmp_ne_u16_e32 vcc_lo, v8, v2
	;; [unrolled: 2-line block ×4, first 2 shown]
	v_cndmask_b32_e64 v61, 0, 1, vcc_lo
	v_cmpx_ne_u32_e32 0, v0
	s_xor_b32 s1, exec_lo, s1
	s_cbranch_execz .LBB649_74
; %bb.73:
	v_add_nc_u32_e32 v5, -2, v5
	s_or_b32 s30, s30, exec_lo
	ds_load_u16 v5, v5
	s_waitcnt lgkmcnt(0)
	v_cmp_ne_u16_e32 vcc_lo, v5, v51
	s_and_b32 s0, vcc_lo, exec_lo
.LBB649_74:
	s_or_b32 exec_lo, exec_lo, s1
	s_branch .LBB649_83
.LBB649_75:
	s_mul_hi_u32 s0, s16, 0xfffff100
	s_mul_i32 s1, s17, 0xfffff100
	s_sub_i32 s0, s0, s16
	s_mul_i32 s2, s16, 0xfffff100
	s_add_i32 s0, s0, s1
	s_add_u32 s18, s2, s40
	s_addc_u32 s19, s0, s41
	s_and_b32 vcc_lo, exec_lo, s33
	s_cbranch_vccz .LBB649_80
; %bb.76:
	v_add_co_u32 v5, s0, -2, s29
	s_delay_alu instid0(VALU_DEP_1)
	v_add_co_ci_u32_e64 v6, null, -1, s14, s0
	v_lshrrev_b32_e32 v13, 16, v12
	v_lshlrev_b32_e32 v8, 1, v0
	v_lshrrev_b32_e32 v14, 16, v11
	flat_load_u16 v9, v[5:6]
	v_mad_u32_u24 v5, v0, 15, 14
	v_mov_b32_e32 v6, 0
	v_cmp_ne_u16_e64 s5, v12, v13
	ds_store_b16 v8, v13
	v_cmp_ne_u16_e64 s7, v14, v12
	v_lshrrev_b32_e32 v13, 16, v10
	v_cmp_gt_u64_e32 vcc_lo, s[18:19], v[5:6]
	v_mad_u32_u24 v5, v0, 15, 13
	v_mul_u32_u24_e32 v7, 15, v0
	s_mov_b32 s30, -1
	s_mov_b32 s8, 0
	s_waitcnt vmcnt(0) lgkmcnt(0)
	v_cmp_gt_u64_e64 s0, s[18:19], v[5:6]
	v_mad_u32_u24 v5, v0, 15, 12
	s_and_b32 s9, vcc_lo, s5
	v_cmp_ne_u16_e64 s5, v13, v11
	s_barrier
	buffer_gl0_inv
	v_cmp_gt_u64_e64 s1, s[18:19], v[5:6]
	v_mad_u32_u24 v5, v0, 15, 11
	s_and_b32 s10, s0, s7
	v_cmp_ne_u16_e64 s0, v11, v14
	v_lshrrev_b32_e32 v14, 16, v4
	s_delay_alu instid0(VALU_DEP_3) | instskip(SKIP_1) | instid1(VALU_DEP_4)
	v_cmp_gt_u64_e64 s2, s[18:19], v[5:6]
	v_mad_u32_u24 v5, v0, 15, 10
	s_and_b32 s11, s1, s0
	v_cmp_ne_u16_e64 s0, v10, v13
	v_cmp_ne_u16_e64 s1, v14, v10
	v_lshrrev_b32_e32 v13, 16, v3
	v_cmp_gt_u64_e64 s3, s[18:19], v[5:6]
	v_mad_u32_u24 v5, v0, 15, 9
	s_and_b32 s12, s2, s5
	s_delay_alu instid0(VALU_DEP_1) | instskip(SKIP_1) | instid1(VALU_DEP_4)
	v_cmp_gt_u64_e64 s4, s[18:19], v[5:6]
	v_mad_u32_u24 v5, v0, 15, 8
	s_and_b32 s13, s3, s0
	v_cmp_ne_u16_e64 s0, v4, v14
	v_lshrrev_b32_e32 v14, 16, v2
	v_cmp_ne_u16_e64 s3, v3, v13
	v_cmp_gt_u64_e64 s6, s[18:19], v[5:6]
	v_mad_u32_u24 v5, v0, 15, 7
	s_and_b32 s14, s4, s1
	s_delay_alu instid0(VALU_DEP_1) | instskip(SKIP_1) | instid1(VALU_DEP_4)
	v_cmp_gt_u64_e32 vcc_lo, s[18:19], v[5:6]
	v_mad_u32_u24 v5, v0, 15, 6
	s_and_b32 s16, s6, s0
	v_cmp_ne_u16_e64 s0, v13, v4
	v_lshrrev_b32_e32 v13, 16, v1
	v_cmp_ne_u16_e64 s6, v51, v1
	v_cmp_gt_u64_e64 s7, s[18:19], v[5:6]
	v_mad_u32_u24 v5, v0, 15, 5
	s_and_b32 s17, vcc_lo, s0
	v_cmp_ne_u16_e32 vcc_lo, v14, v3
	s_delay_alu instid0(VALU_DEP_2) | instskip(SKIP_3) | instid1(VALU_DEP_2)
	v_cmp_gt_u64_e64 s2, s[18:19], v[5:6]
	v_mad_u32_u24 v5, v0, 15, 4
	s_and_b32 s7, s7, s3
	v_cmp_ne_u16_e64 s3, v1, v13
	v_cmp_gt_u64_e64 s1, s[18:19], v[5:6]
	v_mad_u32_u24 v5, v0, 15, 3
	s_and_b32 s29, s2, vcc_lo
	v_cmp_ne_u16_e32 vcc_lo, v2, v14
	v_cmp_ne_u16_e64 s2, v13, v2
	s_delay_alu instid0(VALU_DEP_3) | instskip(SKIP_2) | instid1(VALU_DEP_1)
	v_cmp_gt_u64_e64 s4, s[18:19], v[5:6]
	v_mad_u32_u24 v5, v0, 15, 2
	s_and_b32 s31, s1, vcc_lo
	v_cmp_gt_u64_e64 s0, s[18:19], v[5:6]
	v_mad_u32_u24 v5, v0, 15, 1
	s_delay_alu instid0(VALU_DEP_4) | instskip(NEXT) | instid1(VALU_DEP_1)
	s_and_b32 s2, s4, s2
	v_cmp_gt_u64_e64 s5, s[18:19], v[5:6]
	s_delay_alu instid0(VALU_DEP_3) | instskip(SKIP_1) | instid1(VALU_DEP_1)
	s_and_b32 s1, s0, s3
	s_mov_b32 s0, exec_lo
	s_and_b32 s3, s5, s6
	v_cmpx_ne_u32_e32 0, v0
	s_cbranch_execz .LBB649_78
; %bb.77:
	v_add_nc_u32_e32 v5, -2, v8
	ds_load_u16 v9, v5
.LBB649_78:
	s_or_b32 exec_lo, exec_lo, s0
	v_mov_b32_e32 v8, v6
	s_waitcnt lgkmcnt(0)
	v_cmp_ne_u16_e64 s0, v9, v51
	v_cndmask_b32_e64 v54, 0, 1, s9
	v_cndmask_b32_e64 v47, 0, 1, s10
	;; [unrolled: 1-line block ×3, first 2 shown]
	v_cmp_gt_u64_e32 vcc_lo, s[18:19], v[7:8]
	v_cndmask_b32_e64 v49, 0, 1, s12
	v_cndmask_b32_e64 v50, 0, 1, s13
	;; [unrolled: 1-line block ×11, first 2 shown]
	s_and_b32 s0, vcc_lo, s0
	s_and_b32 vcc_lo, exec_lo, s8
	s_cbranch_vccnz .LBB649_81
.LBB649_79:
                                        ; implicit-def: $sgpr31
	v_mov_b32_e32 v63, s31
	s_and_saveexec_b32 s1, s30
	s_cbranch_execnz .LBB649_84
	s_branch .LBB649_85
.LBB649_80:
                                        ; implicit-def: $sgpr0
                                        ; implicit-def: $vgpr54
                                        ; implicit-def: $vgpr47
                                        ; implicit-def: $vgpr48
                                        ; implicit-def: $vgpr49
                                        ; implicit-def: $vgpr50
                                        ; implicit-def: $vgpr52
                                        ; implicit-def: $vgpr53
                                        ; implicit-def: $vgpr55
                                        ; implicit-def: $vgpr56
                                        ; implicit-def: $vgpr57
                                        ; implicit-def: $vgpr58
                                        ; implicit-def: $vgpr59
                                        ; implicit-def: $vgpr60
                                        ; implicit-def: $vgpr61
	s_cbranch_execz .LBB649_79
.LBB649_81:
	v_mad_u32_u24 v5, v0, 15, 14
	v_dual_mov_b32 v6, 0 :: v_dual_lshlrev_b32 v7, 1, v0
	v_lshrrev_b32_e32 v8, 16, v12
	v_lshrrev_b32_e32 v9, 16, v11
	;; [unrolled: 1-line block ×3, first 2 shown]
	s_delay_alu instid0(VALU_DEP_4)
	v_cmp_gt_u64_e32 vcc_lo, s[18:19], v[5:6]
	v_mad_u32_u24 v5, v0, 15, 13
	v_cmp_ne_u16_e64 s4, v12, v8
	v_cmp_ne_u16_e64 s5, v9, v12
	;; [unrolled: 1-line block ×3, first 2 shown]
	v_lshrrev_b32_e32 v14, 16, v4
	v_cmp_gt_u64_e64 s0, s[18:19], v[5:6]
	v_mad_u32_u24 v5, v0, 15, 12
	s_and_b32 s4, vcc_lo, s4
	v_cmp_ne_u16_e64 s7, v13, v11
	v_cmp_ne_u16_e64 s9, v10, v13
	;; [unrolled: 1-line block ×3, first 2 shown]
	v_cmp_gt_u64_e64 s1, s[18:19], v[5:6]
	v_mad_u32_u24 v5, v0, 15, 11
	s_and_b32 s0, s0, s5
	v_cmp_ne_u16_e64 s11, v4, v14
	v_cndmask_b32_e64 v47, 0, 1, s0
	v_lshrrev_b32_e32 v15, 16, v3
	v_cmp_gt_u64_e64 s2, s[18:19], v[5:6]
	v_mad_u32_u24 v5, v0, 15, 10
	s_and_b32 s0, s1, s6
	v_lshrrev_b32_e32 v16, 16, v2
	v_cndmask_b32_e64 v48, 0, 1, s0
	v_cmp_ne_u16_e64 s12, v15, v4
	v_cmp_gt_u64_e64 s3, s[18:19], v[5:6]
	v_mad_u32_u24 v5, v0, 15, 9
	s_and_b32 s1, s2, s7
	v_cmp_ne_u16_e64 s14, v3, v15
	v_cndmask_b32_e64 v49, 0, 1, s1
	v_cmp_ne_u16_e64 s16, v16, v3
	v_cmp_gt_u64_e64 s8, s[18:19], v[5:6]
	v_mad_u32_u24 v5, v0, 15, 8
	s_and_b32 s1, s3, s9
	v_lshrrev_b32_e32 v9, 16, v1
	v_cndmask_b32_e64 v50, 0, 1, s1
	v_cndmask_b32_e64 v54, 0, 1, s4
	v_cmp_gt_u64_e64 s13, s[18:19], v[5:6]
	v_mad_u32_u24 v5, v0, 15, 7
	s_and_b32 s2, s8, s10
	v_cmp_ne_u16_e64 s4, v51, v1
	v_cndmask_b32_e64 v52, 0, 1, s2
	s_mov_b32 s31, 1
	v_cmp_gt_u64_e32 vcc_lo, s[18:19], v[5:6]
	v_mad_u32_u24 v5, v0, 15, 6
	s_and_b32 s2, s13, s11
	ds_store_b16 v7, v8
	v_cndmask_b32_e64 v53, 0, 1, s2
	s_waitcnt lgkmcnt(0)
	v_cmp_gt_u64_e64 s0, s[18:19], v[5:6]
	v_mad_u32_u24 v5, v0, 15, 5
	s_and_b32 s3, vcc_lo, s12
	s_barrier
	v_cndmask_b32_e64 v55, 0, 1, s3
	v_cmp_ne_u16_e64 s3, v9, v2
	v_cmp_gt_u64_e64 s1, s[18:19], v[5:6]
	v_mad_u32_u24 v5, v0, 15, 4
	s_and_b32 s0, s0, s14
	buffer_gl0_inv
	v_cndmask_b32_e64 v56, 0, 1, s0
	v_cmp_ne_u16_e64 s0, v2, v16
	v_cmp_gt_u64_e64 s2, s[18:19], v[5:6]
	v_mad_u32_u24 v5, v0, 15, 3
	s_and_b32 s1, s1, s16
	s_delay_alu instid0(SALU_CYCLE_1) | instskip(NEXT) | instid1(VALU_DEP_2)
	v_cndmask_b32_e64 v57, 0, 1, s1
	v_cmp_gt_u64_e32 vcc_lo, s[18:19], v[5:6]
	v_mad_u32_u24 v5, v0, 15, 2
	s_and_b32 s0, s2, s0
	s_delay_alu instid0(SALU_CYCLE_1) | instskip(SKIP_1) | instid1(VALU_DEP_3)
	v_cndmask_b32_e64 v58, 0, 1, s0
	v_cmp_ne_u16_e64 s0, v1, v9
	v_cmp_gt_u64_e64 s1, s[18:19], v[5:6]
	v_mad_u32_u24 v5, v0, 15, 1
	s_and_b32 s3, vcc_lo, s3
	s_delay_alu instid0(SALU_CYCLE_1) | instskip(NEXT) | instid1(VALU_DEP_2)
	v_cndmask_b32_e64 v59, 0, 1, s3
	v_cmp_gt_u64_e64 s2, s[18:19], v[5:6]
	s_delay_alu instid0(VALU_DEP_4) | instskip(SKIP_2) | instid1(VALU_DEP_2)
	s_and_b32 s0, s1, s0
	s_mov_b32 s1, exec_lo
	v_cndmask_b32_e64 v60, 0, 1, s0
	s_and_b32 s0, s2, s4
	s_delay_alu instid0(SALU_CYCLE_1)
	v_cndmask_b32_e64 v61, 0, 1, s0
                                        ; implicit-def: $sgpr0
	v_cmpx_ne_u32_e32 0, v0
	s_cbranch_execz .LBB649_192
; %bb.82:
	v_add_nc_u32_e32 v5, -2, v7
	s_or_b32 s30, s30, exec_lo
	ds_load_u16 v7, v5
	v_mul_u32_u24_e32 v5, 15, v0
	s_delay_alu instid0(VALU_DEP_1) | instskip(SKIP_2) | instid1(VALU_DEP_1)
	v_cmp_gt_u64_e32 vcc_lo, s[18:19], v[5:6]
	s_waitcnt lgkmcnt(0)
	v_cmp_ne_u16_e64 s0, v7, v51
	s_and_b32 s0, vcc_lo, s0
	s_delay_alu instid0(SALU_CYCLE_1)
	s_and_b32 s0, s0, exec_lo
	s_or_b32 exec_lo, exec_lo, s1
.LBB649_83:
	v_mov_b32_e32 v63, s31
	s_and_saveexec_b32 s1, s30
.LBB649_84:
	v_cndmask_b32_e64 v63, 0, 1, s0
.LBB649_85:
	s_or_b32 exec_lo, exec_lo, s1
	s_delay_alu instid0(VALU_DEP_1)
	v_add3_u32 v5, v61, v63, v60
	v_cmp_eq_u32_e64 s12, 0, v61
	v_cmp_eq_u32_e64 s11, 0, v60
	;; [unrolled: 1-line block ×4, first 2 shown]
	v_add3_u32 v80, v5, v59, v58
	v_cmp_eq_u32_e64 s8, 0, v57
	v_cmp_eq_u32_e64 s7, 0, v56
	;; [unrolled: 1-line block ×9, first 2 shown]
	v_cmp_eq_u32_e32 vcc_lo, 0, v54
	v_mbcnt_lo_u32_b32 v77, -1, 0
	v_lshrrev_b32_e32 v78, 5, v0
	v_or_b32_e32 v79, 31, v0
	s_cmp_eq_u64 s[26:27], 0
	s_cselect_b32 s16, -1, 0
	s_cmp_lg_u32 s15, 0
	s_cbranch_scc0 .LBB649_116
; %bb.86:
	v_cndmask_b32_e64 v5, 0, v74, s12
	v_add3_u32 v6, v80, v57, v56
	v_and_b32_e32 v9, 15, v77
	s_delay_alu instid0(VALU_DEP_3) | instskip(NEXT) | instid1(VALU_DEP_3)
	v_add_nc_u16 v5, v5, v73
	v_add3_u32 v6, v6, v55, v53
	s_delay_alu instid0(VALU_DEP_2) | instskip(NEXT) | instid1(VALU_DEP_2)
	v_cndmask_b32_e64 v5, 0, v5, s11
	v_add3_u32 v6, v6, v52, v50
	s_delay_alu instid0(VALU_DEP_2) | instskip(NEXT) | instid1(VALU_DEP_2)
	v_add_nc_u16 v5, v5, v75
	v_add3_u32 v6, v6, v49, v48
	s_delay_alu instid0(VALU_DEP_2) | instskip(NEXT) | instid1(VALU_DEP_2)
	v_cndmask_b32_e64 v5, 0, v5, s10
	v_add3_u32 v6, v6, v47, v54
	s_delay_alu instid0(VALU_DEP_2) | instskip(NEXT) | instid1(VALU_DEP_2)
	v_add_nc_u16 v5, v5, v71
	v_mov_b32_dpp v13, v6 row_shr:1 row_mask:0xf bank_mask:0xf
	s_delay_alu instid0(VALU_DEP_2) | instskip(NEXT) | instid1(VALU_DEP_1)
	v_cndmask_b32_e64 v5, 0, v5, s9
	v_add_nc_u16 v5, v5, v72
	s_delay_alu instid0(VALU_DEP_1) | instskip(NEXT) | instid1(VALU_DEP_1)
	v_cndmask_b32_e64 v5, 0, v5, s8
	v_add_nc_u16 v5, v5, v69
	s_delay_alu instid0(VALU_DEP_1) | instskip(NEXT) | instid1(VALU_DEP_1)
	;; [unrolled: 3-line block ×9, first 2 shown]
	v_cndmask_b32_e64 v5, 0, v5, s0
	v_add_nc_u16 v5, v5, v45
	s_delay_alu instid0(VALU_DEP_1) | instskip(SKIP_1) | instid1(VALU_DEP_2)
	v_cndmask_b32_e32 v5, 0, v5, vcc_lo
	v_cmp_eq_u32_e32 vcc_lo, 0, v6
	v_add_nc_u16 v5, v5, v76
	s_delay_alu instid0(VALU_DEP_1) | instskip(NEXT) | instid1(VALU_DEP_1)
	v_and_b32_e32 v7, 0xffff, v5
	v_mov_b32_dpp v8, v7 row_shr:1 row_mask:0xf bank_mask:0xf
	s_delay_alu instid0(VALU_DEP_1) | instskip(SKIP_1) | instid1(VALU_DEP_2)
	v_cndmask_b32_e32 v8, 0, v8, vcc_lo
	v_cmp_eq_u32_e32 vcc_lo, 0, v9
	v_add_nc_u16 v8, v8, v5
	v_cndmask_b32_e64 v13, v13, 0, vcc_lo
	s_delay_alu instid0(VALU_DEP_2) | instskip(NEXT) | instid1(VALU_DEP_1)
	v_dual_cndmask_b32 v5, v8, v5 :: v_dual_and_b32 v14, 0xffff, v8
	v_dual_cndmask_b32 v7, v14, v7 :: v_dual_add_nc_u32 v6, v13, v6
	s_delay_alu instid0(VALU_DEP_1) | instskip(NEXT) | instid1(VALU_DEP_2)
	v_cmp_eq_u32_e32 vcc_lo, 0, v6
	v_mov_b32_dpp v13, v7 row_shr:2 row_mask:0xf bank_mask:0xf
	s_delay_alu instid0(VALU_DEP_1) | instskip(SKIP_2) | instid1(VALU_DEP_3)
	v_cndmask_b32_e32 v8, 0, v13, vcc_lo
	v_mov_b32_dpp v13, v6 row_shr:2 row_mask:0xf bank_mask:0xf
	v_cmp_lt_u32_e32 vcc_lo, 1, v9
	v_add_nc_u16 v8, v8, v5
	s_delay_alu instid0(VALU_DEP_1) | instskip(NEXT) | instid1(VALU_DEP_4)
	v_and_b32_e32 v14, 0xffff, v8
	v_dual_cndmask_b32 v5, v5, v8 :: v_dual_cndmask_b32 v8, 0, v13
	s_delay_alu instid0(VALU_DEP_1) | instskip(NEXT) | instid1(VALU_DEP_1)
	v_dual_cndmask_b32 v7, v7, v14 :: v_dual_add_nc_u32 v6, v6, v8
	v_mov_b32_dpp v8, v7 row_shr:4 row_mask:0xf bank_mask:0xf
	s_delay_alu instid0(VALU_DEP_2) | instskip(NEXT) | instid1(VALU_DEP_2)
	v_cmp_eq_u32_e32 vcc_lo, 0, v6
	v_cndmask_b32_e32 v8, 0, v8, vcc_lo
	v_cmp_lt_u32_e32 vcc_lo, 3, v9
	s_delay_alu instid0(VALU_DEP_2) | instskip(NEXT) | instid1(VALU_DEP_1)
	v_add_nc_u16 v8, v8, v5
	v_and_b32_e32 v14, 0xffff, v8
	s_delay_alu instid0(VALU_DEP_1) | instskip(SKIP_1) | instid1(VALU_DEP_1)
	v_cndmask_b32_e32 v7, v7, v14, vcc_lo
	v_mov_b32_dpp v13, v6 row_shr:4 row_mask:0xf bank_mask:0xf
	v_dual_cndmask_b32 v5, v5, v8 :: v_dual_cndmask_b32 v8, 0, v13
	s_delay_alu instid0(VALU_DEP_1) | instskip(NEXT) | instid1(VALU_DEP_4)
	v_add_nc_u32_e32 v6, v8, v6
	v_mov_b32_dpp v8, v7 row_shr:8 row_mask:0xf bank_mask:0xf
	s_delay_alu instid0(VALU_DEP_2) | instskip(NEXT) | instid1(VALU_DEP_2)
	v_cmp_eq_u32_e32 vcc_lo, 0, v6
	v_cndmask_b32_e32 v8, 0, v8, vcc_lo
	v_cmp_lt_u32_e32 vcc_lo, 7, v9
	s_delay_alu instid0(VALU_DEP_2) | instskip(NEXT) | instid1(VALU_DEP_1)
	v_add_nc_u16 v8, v8, v5
	v_cndmask_b32_e32 v5, v5, v8, vcc_lo
	v_mov_b32_dpp v13, v6 row_shr:8 row_mask:0xf bank_mask:0xf
	s_delay_alu instid0(VALU_DEP_1) | instskip(NEXT) | instid1(VALU_DEP_1)
	v_dual_cndmask_b32 v9, 0, v13 :: v_dual_and_b32 v8, 0xffff, v8
	v_cndmask_b32_e32 v7, v7, v8, vcc_lo
	v_bfe_i32 v13, v77, 4, 1
	s_delay_alu instid0(VALU_DEP_3)
	v_add_nc_u32_e32 v6, v9, v6
	ds_swizzle_b32 v7, v7 offset:swizzle(BROADCAST,32,15)
	v_and_b32_e32 v9, 16, v77
	ds_swizzle_b32 v8, v6 offset:swizzle(BROADCAST,32,15)
	v_cmp_eq_u32_e64 s13, 0, v6
	v_cmp_ne_u32_e32 vcc_lo, 0, v9
	s_delay_alu instid0(VALU_DEP_2) | instskip(SKIP_3) | instid1(VALU_DEP_1)
	s_and_b32 vcc_lo, vcc_lo, s13
	s_mov_b32 s13, exec_lo
	s_waitcnt lgkmcnt(0)
	v_dual_cndmask_b32 v7, 0, v7 :: v_dual_and_b32 v8, v13, v8
	v_add_nc_u16 v5, v7, v5
	v_lshlrev_b32_e32 v7, 3, v78
	s_delay_alu instid0(VALU_DEP_3)
	v_add_nc_u32_e32 v6, v8, v6
	v_cmpx_eq_u32_e64 v79, v0
	s_cbranch_execz .LBB649_88
; %bb.87:
	ds_store_b32 v7, v6 offset:1040
	ds_store_b16 v7, v5 offset:1044
.LBB649_88:
	s_or_b32 exec_lo, exec_lo, s13
	s_delay_alu instid0(SALU_CYCLE_1)
	s_mov_b32 s14, exec_lo
	s_waitcnt lgkmcnt(0)
	s_barrier
	buffer_gl0_inv
	v_cmpx_gt_u32_e32 8, v0
	s_cbranch_execz .LBB649_90
; %bb.89:
	v_lshlrev_b32_e32 v13, 3, v0
	v_and_b32_e32 v17, 7, v77
	ds_load_b64 v[8:9], v13 offset:1040
	s_waitcnt lgkmcnt(0)
	v_mov_b32_dpp v14, v9 row_shr:1 row_mask:0xf bank_mask:0xf
	v_cmp_eq_u32_e32 vcc_lo, 0, v8
	v_and_b32_e32 v15, 0xffff0000, v9
	v_mov_b32_dpp v18, v8 row_shr:1 row_mask:0xf bank_mask:0xf
	s_delay_alu instid0(VALU_DEP_4) | instskip(SKIP_1) | instid1(VALU_DEP_2)
	v_cndmask_b32_e32 v14, 0, v14, vcc_lo
	v_cmp_eq_u32_e32 vcc_lo, 0, v17
	v_add_nc_u16 v14, v14, v9
	s_delay_alu instid0(VALU_DEP_4) | instskip(NEXT) | instid1(VALU_DEP_2)
	v_cndmask_b32_e64 v18, v18, 0, vcc_lo
	v_and_b32_e32 v16, 0xffff, v14
	s_delay_alu instid0(VALU_DEP_1) | instskip(NEXT) | instid1(VALU_DEP_1)
	v_or_b32_e32 v16, v15, v16
	v_cndmask_b32_e32 v16, v16, v9, vcc_lo
	v_cndmask_b32_e32 v9, v14, v9, vcc_lo
	v_add_nc_u32_e32 v8, v18, v8
	s_delay_alu instid0(VALU_DEP_3) | instskip(NEXT) | instid1(VALU_DEP_2)
	v_mov_b32_dpp v18, v16 row_shr:2 row_mask:0xf bank_mask:0xf
	v_cmp_eq_u32_e32 vcc_lo, 0, v8
	s_delay_alu instid0(VALU_DEP_2) | instskip(SKIP_1) | instid1(VALU_DEP_2)
	v_cndmask_b32_e32 v14, 0, v18, vcc_lo
	v_cmp_lt_u32_e32 vcc_lo, 1, v17
	v_add_nc_u16 v14, v14, v9
	s_delay_alu instid0(VALU_DEP_1) | instskip(SKIP_2) | instid1(VALU_DEP_2)
	v_cndmask_b32_e32 v9, v9, v14, vcc_lo
	v_mov_b32_dpp v18, v8 row_shr:2 row_mask:0xf bank_mask:0xf
	v_and_b32_e32 v19, 0xffff, v14
	v_cndmask_b32_e32 v14, 0, v18, vcc_lo
	s_delay_alu instid0(VALU_DEP_2) | instskip(SKIP_1) | instid1(VALU_DEP_3)
	v_or_b32_e32 v15, v15, v19
	v_cmp_lt_u32_e64 s13, 3, v17
	v_add_nc_u32_e32 v8, v14, v8
	s_delay_alu instid0(VALU_DEP_3) | instskip(NEXT) | instid1(VALU_DEP_2)
	v_cndmask_b32_e32 v14, v16, v15, vcc_lo
	v_cmp_eq_u32_e32 vcc_lo, 0, v8
	v_mov_b32_dpp v15, v8 row_shr:4 row_mask:0xf bank_mask:0xf
	s_delay_alu instid0(VALU_DEP_3) | instskip(SKIP_1) | instid1(VALU_DEP_2)
	v_mov_b32_dpp v14, v14 row_shr:4 row_mask:0xf bank_mask:0xf
	s_and_b32 vcc_lo, s13, vcc_lo
	v_cndmask_b32_e64 v15, 0, v15, s13
	s_delay_alu instid0(VALU_DEP_2) | instskip(NEXT) | instid1(VALU_DEP_2)
	v_cndmask_b32_e32 v14, 0, v14, vcc_lo
	v_add_nc_u32_e32 v8, v15, v8
	s_delay_alu instid0(VALU_DEP_2)
	v_add_nc_u16 v9, v9, v14
	ds_store_b32 v13, v8 offset:1040
	ds_store_b16 v13, v9 offset:1044
.LBB649_90:
	s_or_b32 exec_lo, exec_lo, s14
	v_cmp_gt_u32_e32 vcc_lo, 32, v0
	v_dual_mov_b32 v18, 0 :: v_dual_mov_b32 v17, 0
	s_mov_b32 s14, exec_lo
	s_waitcnt lgkmcnt(0)
	s_barrier
	buffer_gl0_inv
	v_cmpx_lt_u32_e32 31, v0
	s_cbranch_execz .LBB649_92
; %bb.91:
	ds_load_u16 v17, v7 offset:1036
	ds_load_b32 v18, v7 offset:1032
	v_cmp_eq_u32_e64 s13, 0, v6
	s_waitcnt lgkmcnt(1)
	s_delay_alu instid0(VALU_DEP_1) | instskip(SKIP_2) | instid1(VALU_DEP_2)
	v_cndmask_b32_e64 v7, 0, v17, s13
	s_waitcnt lgkmcnt(0)
	v_add_nc_u32_e32 v6, v18, v6
	v_add_nc_u16 v5, v7, v5
.LBB649_92:
	s_or_b32 exec_lo, exec_lo, s14
	v_add_nc_u32_e32 v7, -1, v77
	s_delay_alu instid0(VALU_DEP_2) | instskip(NEXT) | instid1(VALU_DEP_2)
	v_and_b32_e32 v5, 0xffff, v5
	v_cmp_gt_i32_e64 s13, 0, v7
	s_delay_alu instid0(VALU_DEP_1) | instskip(SKIP_1) | instid1(VALU_DEP_2)
	v_cndmask_b32_e64 v7, v7, v77, s13
	v_cmp_eq_u32_e64 s13, 0, v77
	v_lshlrev_b32_e32 v7, 2, v7
	ds_bpermute_b32 v19, v7, v6
	ds_bpermute_b32 v20, v7, v5
	s_and_saveexec_b32 s17, vcc_lo
	s_cbranch_execz .LBB649_115
; %bb.93:
	v_mov_b32_e32 v8, 0
	ds_load_b64 v[5:6], v8 offset:1096
	s_waitcnt lgkmcnt(0)
	v_readfirstlane_b32 s18, v6
	s_and_saveexec_b32 s14, s13
	s_cbranch_execz .LBB649_95
; %bb.94:
	s_add_i32 s26, s15, 32
	s_mov_b32 s27, 0
	v_mov_b32_e32 v7, 1
	s_lshl_b64 s[30:31], s[26:27], 4
	s_mov_b32 s40, s27
	s_add_u32 s30, s24, s30
	s_addc_u32 s31, s25, s31
	s_and_b32 s41, s18, 0xff000000
	s_and_b32 s45, s18, 0xff0000
	s_mov_b32 s44, s27
	v_dual_mov_b32 v13, s30 :: v_dual_mov_b32 v14, s31
	s_or_b64 s[40:41], s[44:45], s[40:41]
	s_and_b32 s45, s18, 0xff00
	s_delay_alu instid0(SALU_CYCLE_1) | instskip(SKIP_1) | instid1(SALU_CYCLE_1)
	s_or_b64 s[40:41], s[40:41], s[44:45]
	s_and_b32 s45, s18, 0xff
	s_or_b64 s[26:27], s[40:41], s[44:45]
	s_delay_alu instid0(SALU_CYCLE_1)
	v_mov_b32_e32 v6, s27
	;;#ASMSTART
	global_store_dwordx4 v[13:14], v[5:8] off	
s_waitcnt vmcnt(0)
	;;#ASMEND
.LBB649_95:
	s_or_b32 exec_lo, exec_lo, s14
	v_xad_u32 v13, v77, -1, s15
	s_mov_b32 s19, 0
	s_mov_b32 s14, exec_lo
	s_delay_alu instid0(VALU_DEP_1) | instskip(NEXT) | instid1(VALU_DEP_1)
	v_add_nc_u32_e32 v7, 32, v13
	v_lshlrev_b64 v[6:7], 4, v[7:8]
	s_delay_alu instid0(VALU_DEP_1) | instskip(NEXT) | instid1(VALU_DEP_2)
	v_add_co_u32 v14, vcc_lo, s24, v6
	v_add_co_ci_u32_e32 v15, vcc_lo, s25, v7, vcc_lo
	;;#ASMSTART
	global_load_dwordx4 v[6:9], v[14:15] off glc	
s_waitcnt vmcnt(0)
	;;#ASMEND
	v_and_b32_e32 v9, 0xffffff, v6
	v_and_b32_e32 v6, 0xff000000, v6
	v_and_b32_e32 v16, 0xff, v7
	v_and_b32_e32 v7, 0xff00, v7
	s_delay_alu instid0(VALU_DEP_3) | instskip(SKIP_1) | instid1(VALU_DEP_3)
	v_or_b32_e32 v6, v9, v6
	v_and_b32_e32 v9, 0xff, v8
	v_or3_b32 v7, 0, v16, v7
	s_delay_alu instid0(VALU_DEP_3) | instskip(NEXT) | instid1(VALU_DEP_3)
	v_or3_b32 v6, v6, 0, 0
	v_cmpx_eq_u16_e32 0, v9
	s_cbranch_execz .LBB649_101
; %bb.96:
	s_mov_b32 s26, 1
	.p2align	6
.LBB649_97:                             ; =>This Loop Header: Depth=1
                                        ;     Child Loop BB649_98 Depth 2
	s_delay_alu instid0(SALU_CYCLE_1)
	s_max_u32 s27, s26, 1
.LBB649_98:                             ;   Parent Loop BB649_97 Depth=1
                                        ; =>  This Inner Loop Header: Depth=2
	s_delay_alu instid0(SALU_CYCLE_1)
	s_add_i32 s27, s27, -1
	s_sleep 1
	s_cmp_eq_u32 s27, 0
	s_cbranch_scc0 .LBB649_98
; %bb.99:                               ;   in Loop: Header=BB649_97 Depth=1
	;;#ASMSTART
	global_load_dwordx4 v[6:9], v[14:15] off glc	
s_waitcnt vmcnt(0)
	;;#ASMEND
	v_and_b32_e32 v9, 0xff, v8
	s_cmp_lt_u32 s26, 32
	s_cselect_b32 s27, -1, 0
	s_delay_alu instid0(SALU_CYCLE_1) | instskip(NEXT) | instid1(VALU_DEP_1)
	s_cmp_lg_u32 s27, 0
	v_cmp_ne_u16_e32 vcc_lo, 0, v9
	s_addc_u32 s26, s26, 0
	s_or_b32 s19, vcc_lo, s19
	s_delay_alu instid0(SALU_CYCLE_1)
	s_and_not1_b32 exec_lo, exec_lo, s19
	s_cbranch_execnz .LBB649_97
; %bb.100:
	s_or_b32 exec_lo, exec_lo, s19
	v_and_b32_e32 v7, 0xffff, v7
.LBB649_101:
	s_or_b32 exec_lo, exec_lo, s14
	v_cmp_ne_u32_e32 vcc_lo, 31, v77
	v_and_b32_e32 v14, 0xff, v8
	v_lshlrev_b32_e64 v22, v77, -1
	v_cmp_eq_u32_e64 s14, 0, v6
	v_add_co_ci_u32_e32 v9, vcc_lo, 0, v77, vcc_lo
	s_delay_alu instid0(VALU_DEP_4) | instskip(NEXT) | instid1(VALU_DEP_4)
	v_cmp_eq_u16_e32 vcc_lo, 2, v14
	v_and_or_b32 v14, vcc_lo, v22, 0x80000000
	v_cmp_gt_u32_e32 vcc_lo, 30, v77
	s_delay_alu instid0(VALU_DEP_2) | instskip(SKIP_1) | instid1(VALU_DEP_2)
	v_ctz_i32_b32_e32 v14, v14
	v_cndmask_b32_e64 v15, 0, 1, vcc_lo
	v_cmp_lt_u32_e32 vcc_lo, v77, v14
	v_lshlrev_b32_e32 v21, 2, v9
	s_delay_alu instid0(VALU_DEP_3)
	v_lshlrev_b32_e32 v15, 1, v15
	ds_bpermute_b32 v16, v21, v6
	v_add_lshl_u32 v23, v15, v77, 2
	s_waitcnt lgkmcnt(0)
	v_cndmask_b32_e32 v16, 0, v16, vcc_lo
	ds_bpermute_b32 v9, v21, v7
	v_add_nc_u32_e32 v6, v16, v6
	ds_bpermute_b32 v26, v23, v6
	s_waitcnt lgkmcnt(1)
	v_cndmask_b32_e64 v9, 0, v9, s14
	s_delay_alu instid0(VALU_DEP_1) | instskip(NEXT) | instid1(VALU_DEP_1)
	v_add_nc_u16 v9, v9, v7
	v_and_b32_e32 v24, 0xffff, v9
	v_cndmask_b32_e32 v9, v7, v9, vcc_lo
	s_delay_alu instid0(VALU_DEP_2)
	v_cndmask_b32_e32 v7, v7, v24, vcc_lo
	v_cmp_eq_u32_e32 vcc_lo, 0, v6
	ds_bpermute_b32 v15, v23, v7
	s_waitcnt lgkmcnt(0)
	v_cndmask_b32_e32 v15, 0, v15, vcc_lo
	v_cmp_gt_u32_e32 vcc_lo, 28, v77
	s_delay_alu instid0(VALU_DEP_2) | instskip(SKIP_1) | instid1(VALU_DEP_2)
	v_add_nc_u16 v15, v15, v9
	v_cndmask_b32_e64 v16, 0, 1, vcc_lo
	v_and_b32_e32 v27, 0xffff, v15
	v_add_nc_u32_e32 v24, 2, v77
	s_delay_alu instid0(VALU_DEP_1) | instskip(NEXT) | instid1(VALU_DEP_4)
	v_cmp_gt_u32_e32 vcc_lo, v24, v14
	v_dual_cndmask_b32 v9, v15, v9 :: v_dual_lshlrev_b32 v16, 2, v16
	s_delay_alu instid0(VALU_DEP_1) | instskip(SKIP_4) | instid1(VALU_DEP_1)
	v_add_lshl_u32 v25, v16, v77, 2
	v_cndmask_b32_e32 v7, v27, v7, vcc_lo
	v_cndmask_b32_e64 v16, v26, 0, vcc_lo
	ds_bpermute_b32 v15, v25, v7
	v_add_nc_u32_e32 v6, v6, v16
	v_cmp_eq_u32_e32 vcc_lo, 0, v6
	s_waitcnt lgkmcnt(0)
	v_cndmask_b32_e32 v15, 0, v15, vcc_lo
	v_cmp_gt_u32_e32 vcc_lo, 24, v77
	ds_bpermute_b32 v27, v25, v6
	v_add_nc_u16 v15, v9, v15
	v_cndmask_b32_e64 v16, 0, 1, vcc_lo
	s_delay_alu instid0(VALU_DEP_2) | instskip(SKIP_1) | instid1(VALU_DEP_1)
	v_and_b32_e32 v29, 0xffff, v15
	v_add_nc_u32_e32 v26, 4, v77
	v_cmp_gt_u32_e32 vcc_lo, v26, v14
	s_delay_alu instid0(VALU_DEP_4) | instskip(NEXT) | instid1(VALU_DEP_1)
	v_dual_cndmask_b32 v9, v15, v9 :: v_dual_lshlrev_b32 v16, 3, v16
	v_add_lshl_u32 v28, v16, v77, 2
	v_cndmask_b32_e32 v7, v29, v7, vcc_lo
	s_waitcnt lgkmcnt(0)
	v_cndmask_b32_e64 v16, v27, 0, vcc_lo
	ds_bpermute_b32 v15, v28, v7
	v_add_nc_u32_e32 v6, v6, v16
	s_delay_alu instid0(VALU_DEP_1)
	v_cmp_eq_u32_e32 vcc_lo, 0, v6
	s_waitcnt lgkmcnt(0)
	v_cndmask_b32_e32 v15, 0, v15, vcc_lo
	ds_bpermute_b32 v16, v28, v6
	v_cmp_gt_u32_e32 vcc_lo, 16, v77
	v_add_nc_u16 v15, v9, v15
	v_cndmask_b32_e64 v27, 0, 1, vcc_lo
	s_delay_alu instid0(VALU_DEP_2) | instskip(SKIP_1) | instid1(VALU_DEP_3)
	v_and_b32_e32 v29, 0xffff, v15
	v_add_nc_u32_e32 v30, 8, v77
	v_lshlrev_b32_e32 v27, 4, v27
	s_delay_alu instid0(VALU_DEP_2) | instskip(NEXT) | instid1(VALU_DEP_2)
	v_cmp_gt_u32_e32 vcc_lo, v30, v14
	v_add_lshl_u32 v31, v27, v77, 2
	v_cndmask_b32_e32 v7, v29, v7, vcc_lo
	v_cndmask_b32_e32 v9, v15, v9, vcc_lo
	s_waitcnt lgkmcnt(0)
	v_cndmask_b32_e64 v15, v16, 0, vcc_lo
	ds_bpermute_b32 v7, v31, v7
	v_add_nc_u32_e32 v6, v6, v15
	ds_bpermute_b32 v15, v31, v6
	v_cmp_eq_u32_e32 vcc_lo, 0, v6
	s_waitcnt lgkmcnt(1)
	v_dual_cndmask_b32 v7, 0, v7 :: v_dual_add_nc_u32 v32, 16, v77
	s_delay_alu instid0(VALU_DEP_1) | instskip(NEXT) | instid1(VALU_DEP_2)
	v_cmp_gt_u32_e32 vcc_lo, v32, v14
	v_cndmask_b32_e64 v7, v7, 0, vcc_lo
	s_waitcnt lgkmcnt(0)
	v_cndmask_b32_e64 v14, v15, 0, vcc_lo
	s_delay_alu instid0(VALU_DEP_2) | instskip(NEXT) | instid1(VALU_DEP_2)
	v_add_nc_u16 v7, v9, v7
	v_add_nc_u32_e32 v6, v14, v6
	v_mov_b32_e32 v14, 0
	s_branch .LBB649_103
.LBB649_102:                            ;   in Loop: Header=BB649_103 Depth=1
	s_or_b32 exec_lo, exec_lo, s14
	ds_bpermute_b32 v9, v21, v7
	v_and_b32_e32 v15, 0xff, v8
	v_cmp_eq_u32_e64 s14, 0, v6
	ds_bpermute_b32 v16, v21, v6
	v_subrev_nc_u32_e32 v13, 32, v13
	v_cmp_eq_u16_e32 vcc_lo, 2, v15
	v_and_or_b32 v15, vcc_lo, v22, 0x80000000
	s_delay_alu instid0(VALU_DEP_1) | instskip(SKIP_2) | instid1(VALU_DEP_2)
	v_ctz_i32_b32_e32 v15, v15
	s_waitcnt lgkmcnt(1)
	v_cndmask_b32_e64 v9, 0, v9, s14
	v_cmp_lt_u32_e32 vcc_lo, v77, v15
	s_delay_alu instid0(VALU_DEP_2) | instskip(SKIP_1) | instid1(VALU_DEP_1)
	v_add_nc_u16 v9, v9, v7
	s_waitcnt lgkmcnt(0)
	v_dual_cndmask_b32 v16, 0, v16 :: v_dual_and_b32 v33, 0xffff, v9
	s_delay_alu instid0(VALU_DEP_1) | instskip(NEXT) | instid1(VALU_DEP_2)
	v_dual_cndmask_b32 v9, v7, v9 :: v_dual_add_nc_u32 v6, v16, v6
	v_cndmask_b32_e32 v7, v7, v33, vcc_lo
	s_delay_alu instid0(VALU_DEP_2)
	v_cmp_eq_u32_e32 vcc_lo, 0, v6
	ds_bpermute_b32 v33, v23, v7
	s_waitcnt lgkmcnt(0)
	v_cndmask_b32_e32 v16, 0, v33, vcc_lo
	ds_bpermute_b32 v33, v23, v6
	v_cmp_gt_u32_e32 vcc_lo, v24, v15
	v_add_nc_u16 v16, v16, v9
	s_delay_alu instid0(VALU_DEP_1) | instskip(NEXT) | instid1(VALU_DEP_1)
	v_dual_cndmask_b32 v9, v16, v9 :: v_dual_and_b32 v34, 0xffff, v16
	v_cndmask_b32_e32 v7, v34, v7, vcc_lo
	ds_bpermute_b32 v16, v25, v7
	s_waitcnt lgkmcnt(1)
	v_cndmask_b32_e64 v33, v33, 0, vcc_lo
	s_delay_alu instid0(VALU_DEP_1) | instskip(NEXT) | instid1(VALU_DEP_1)
	v_add_nc_u32_e32 v6, v6, v33
	v_cmp_eq_u32_e32 vcc_lo, 0, v6
	ds_bpermute_b32 v33, v25, v6
	s_waitcnt lgkmcnt(1)
	v_cndmask_b32_e32 v16, 0, v16, vcc_lo
	v_cmp_gt_u32_e32 vcc_lo, v26, v15
	s_delay_alu instid0(VALU_DEP_2) | instskip(NEXT) | instid1(VALU_DEP_1)
	v_add_nc_u16 v16, v9, v16
	v_dual_cndmask_b32 v9, v16, v9 :: v_dual_and_b32 v34, 0xffff, v16
	s_waitcnt lgkmcnt(0)
	v_cndmask_b32_e64 v33, v33, 0, vcc_lo
	s_delay_alu instid0(VALU_DEP_2) | instskip(NEXT) | instid1(VALU_DEP_2)
	v_cndmask_b32_e32 v7, v34, v7, vcc_lo
	v_add_nc_u32_e32 v6, v6, v33
	ds_bpermute_b32 v16, v28, v7
	v_cmp_eq_u32_e32 vcc_lo, 0, v6
	ds_bpermute_b32 v33, v28, v6
	s_waitcnt lgkmcnt(1)
	v_cndmask_b32_e32 v16, 0, v16, vcc_lo
	v_cmp_gt_u32_e32 vcc_lo, v30, v15
	s_delay_alu instid0(VALU_DEP_2) | instskip(NEXT) | instid1(VALU_DEP_1)
	v_add_nc_u16 v16, v9, v16
	v_dual_cndmask_b32 v9, v16, v9 :: v_dual_and_b32 v34, 0xffff, v16
	s_waitcnt lgkmcnt(0)
	v_cndmask_b32_e64 v16, v33, 0, vcc_lo
	s_delay_alu instid0(VALU_DEP_2) | instskip(NEXT) | instid1(VALU_DEP_2)
	v_cndmask_b32_e32 v7, v34, v7, vcc_lo
	v_add_nc_u32_e32 v6, v6, v16
	ds_bpermute_b32 v7, v31, v7
	ds_bpermute_b32 v16, v31, v6
	v_cmp_eq_u32_e32 vcc_lo, 0, v6
	s_waitcnt lgkmcnt(1)
	v_cndmask_b32_e32 v7, 0, v7, vcc_lo
	v_cmp_gt_u32_e32 vcc_lo, v32, v15
	s_delay_alu instid0(VALU_DEP_2) | instskip(NEXT) | instid1(VALU_DEP_1)
	v_cndmask_b32_e64 v7, v7, 0, vcc_lo
	v_add_nc_u16 v7, v9, v7
	s_waitcnt lgkmcnt(0)
	v_cndmask_b32_e64 v9, v16, 0, vcc_lo
	v_cmp_eq_u32_e32 vcc_lo, 0, v29
	s_delay_alu instid0(VALU_DEP_2) | instskip(SKIP_1) | instid1(VALU_DEP_1)
	v_add3_u32 v6, v6, v29, v9
	v_cndmask_b32_e32 v7, 0, v7, vcc_lo
	v_add_nc_u16 v7, v7, v27
.LBB649_103:                            ; =>This Loop Header: Depth=1
                                        ;     Child Loop BB649_106 Depth 2
                                        ;       Child Loop BB649_107 Depth 3
	s_delay_alu instid0(VALU_DEP_1) | instskip(NEXT) | instid1(VALU_DEP_3)
	v_dual_mov_b32 v27, v7 :: v_dual_and_b32 v8, 0xff, v8
	v_mov_b32_e32 v29, v6
	s_delay_alu instid0(VALU_DEP_2) | instskip(SKIP_2) | instid1(VALU_DEP_1)
	v_cmp_ne_u16_e32 vcc_lo, 2, v8
	v_cndmask_b32_e64 v8, 0, 1, vcc_lo
	;;#ASMSTART
	;;#ASMEND
	v_cmp_ne_u32_e32 vcc_lo, 0, v8
	s_cmp_lg_u32 vcc_lo, exec_lo
	s_cbranch_scc1 .LBB649_110
; %bb.104:                              ;   in Loop: Header=BB649_103 Depth=1
	v_lshlrev_b64 v[6:7], 4, v[13:14]
	s_mov_b32 s14, exec_lo
	s_delay_alu instid0(VALU_DEP_1) | instskip(NEXT) | instid1(VALU_DEP_2)
	v_add_co_u32 v15, vcc_lo, s24, v6
	v_add_co_ci_u32_e32 v16, vcc_lo, s25, v7, vcc_lo
	;;#ASMSTART
	global_load_dwordx4 v[6:9], v[15:16] off glc	
s_waitcnt vmcnt(0)
	;;#ASMEND
	v_and_b32_e32 v9, 0xffffff, v6
	v_and_b32_e32 v6, 0xff000000, v6
	;; [unrolled: 1-line block ×4, first 2 shown]
	s_delay_alu instid0(VALU_DEP_3) | instskip(SKIP_1) | instid1(VALU_DEP_3)
	v_or_b32_e32 v6, v9, v6
	v_and_b32_e32 v9, 0xff, v8
	v_or3_b32 v7, 0, v33, v7
	s_delay_alu instid0(VALU_DEP_3) | instskip(NEXT) | instid1(VALU_DEP_3)
	v_or3_b32 v6, v6, 0, 0
	v_cmpx_eq_u16_e32 0, v9
	s_cbranch_execz .LBB649_102
; %bb.105:                              ;   in Loop: Header=BB649_103 Depth=1
	s_mov_b32 s26, 1
	s_mov_b32 s19, 0
	.p2align	6
.LBB649_106:                            ;   Parent Loop BB649_103 Depth=1
                                        ; =>  This Loop Header: Depth=2
                                        ;       Child Loop BB649_107 Depth 3
	s_max_u32 s27, s26, 1
.LBB649_107:                            ;   Parent Loop BB649_103 Depth=1
                                        ;     Parent Loop BB649_106 Depth=2
                                        ; =>    This Inner Loop Header: Depth=3
	s_delay_alu instid0(SALU_CYCLE_1)
	s_add_i32 s27, s27, -1
	s_sleep 1
	s_cmp_eq_u32 s27, 0
	s_cbranch_scc0 .LBB649_107
; %bb.108:                              ;   in Loop: Header=BB649_106 Depth=2
	;;#ASMSTART
	global_load_dwordx4 v[6:9], v[15:16] off glc	
s_waitcnt vmcnt(0)
	;;#ASMEND
	v_and_b32_e32 v9, 0xff, v8
	s_cmp_lt_u32 s26, 32
	s_cselect_b32 s27, -1, 0
	s_delay_alu instid0(SALU_CYCLE_1) | instskip(NEXT) | instid1(VALU_DEP_1)
	s_cmp_lg_u32 s27, 0
	v_cmp_ne_u16_e32 vcc_lo, 0, v9
	s_addc_u32 s26, s26, 0
	s_or_b32 s19, vcc_lo, s19
	s_delay_alu instid0(SALU_CYCLE_1)
	s_and_not1_b32 exec_lo, exec_lo, s19
	s_cbranch_execnz .LBB649_106
; %bb.109:                              ;   in Loop: Header=BB649_103 Depth=1
	s_or_b32 exec_lo, exec_lo, s19
	v_and_b32_e32 v7, 0xffff, v7
	s_branch .LBB649_102
.LBB649_110:                            ;   in Loop: Header=BB649_103 Depth=1
                                        ; implicit-def: $vgpr7
                                        ; implicit-def: $vgpr6
                                        ; implicit-def: $vgpr8
	s_cbranch_execz .LBB649_103
; %bb.111:
	s_and_saveexec_b32 s14, s13
	s_cbranch_execz .LBB649_113
; %bb.112:
	v_cmp_eq_u32_e32 vcc_lo, 0, v5
	s_mov_b32 s27, 0
	s_add_i32 s26, s15, 32
	v_add_nc_u32_e64 v15, 0x400, 0
	s_lshl_b64 s[26:27], s[26:27], 4
	v_dual_cndmask_b32 v6, 0, v27 :: v_dual_mov_b32 v9, 0
	s_add_u32 s26, s24, s26
	s_addc_u32 s27, s25, s27
	v_mov_b32_e32 v16, s18
	s_delay_alu instid0(VALU_DEP_2) | instskip(SKIP_1) | instid1(VALU_DEP_2)
	v_add_nc_u16 v7, v6, s18
	v_add_nc_u32_e32 v6, v29, v5
	v_dual_mov_b32 v8, 2 :: v_dual_and_b32 v13, 0xff00, v7
	v_and_b32_e32 v7, 0xff, v7
	s_delay_alu instid0(VALU_DEP_1)
	v_or_b32_e32 v7, v13, v7
	v_dual_mov_b32 v13, s26 :: v_dual_mov_b32 v14, s27
	;;#ASMSTART
	global_store_dwordx4 v[13:14], v[6:9] off	
s_waitcnt vmcnt(0)
	;;#ASMEND
	ds_store_2addr_b32 v15, v5, v29 offset1:2
	ds_store_b16 v9, v16 offset:1028
	ds_store_b16 v9, v27 offset:1036
.LBB649_113:
	s_or_b32 exec_lo, exec_lo, s14
	v_cmp_eq_u32_e32 vcc_lo, 0, v0
	s_and_b32 exec_lo, exec_lo, vcc_lo
	s_cbranch_execz .LBB649_115
; %bb.114:
	v_mov_b32_e32 v5, 0
	ds_store_b32 v5, v29 offset:1096
	ds_store_b16 v5, v27 offset:1100
.LBB649_115:
	s_or_b32 exec_lo, exec_lo, s17
	v_mov_b32_e32 v7, 0
	s_waitcnt lgkmcnt(0)
	s_barrier
	buffer_gl0_inv
	v_cndmask_b32_e64 v8, v19, v18, s13
	ds_load_b64 v[5:6], v7 offset:1096
	v_cndmask_b32_e64 v9, v20, v17, s13
	v_cmp_eq_u32_e64 s13, 0, v63
	s_waitcnt lgkmcnt(0)
	v_cmp_eq_u32_e32 vcc_lo, 0, v8
	s_barrier
	buffer_gl0_inv
	v_cndmask_b32_e32 v13, 0, v6, vcc_lo
	v_cmp_eq_u32_e32 vcc_lo, 0, v0
	s_delay_alu instid0(VALU_DEP_2) | instskip(NEXT) | instid1(VALU_DEP_1)
	v_add_nc_u16 v9, v13, v9
	v_cndmask_b32_e32 v9, v9, v6, vcc_lo
	s_delay_alu instid0(VALU_DEP_1) | instskip(NEXT) | instid1(VALU_DEP_1)
	v_cndmask_b32_e64 v6, 0, v9, s13
	v_add_nc_u16 v13, v6, v74
	s_delay_alu instid0(VALU_DEP_1) | instskip(SKIP_2) | instid1(VALU_DEP_2)
	v_and_b32_e32 v36, 0xffff, v13
	v_cndmask_b32_e64 v6, 0, v13, s12
	v_and_b32_e32 v42, 0xffff, v9
	v_add_nc_u16 v14, v6, v73
	s_delay_alu instid0(VALU_DEP_1) | instskip(SKIP_1) | instid1(VALU_DEP_2)
	v_cndmask_b32_e64 v6, 0, v14, s11
	v_and_b32_e32 v38, 0xffff, v14
	v_add_nc_u16 v15, v6, v75
	s_delay_alu instid0(VALU_DEP_1) | instskip(SKIP_1) | instid1(VALU_DEP_2)
	v_cndmask_b32_e64 v6, 0, v15, s10
	v_and_b32_e32 v34, 0xffff, v15
	v_add_nc_u16 v16, v6, v71
	s_delay_alu instid0(VALU_DEP_1) | instskip(NEXT) | instid1(VALU_DEP_1)
	v_cndmask_b32_e64 v6, 0, v16, s9
	v_add_nc_u16 v18, v6, v72
	s_delay_alu instid0(VALU_DEP_1) | instskip(SKIP_1) | instid1(VALU_DEP_2)
	v_cndmask_b32_e64 v6, 0, v18, s8
	v_and_b32_e32 v18, 0xffff, v18
	v_add_nc_u16 v20, v6, v69
	v_cndmask_b32_e64 v6, v8, 0, vcc_lo
	s_delay_alu instid0(VALU_DEP_2) | instskip(NEXT) | instid1(VALU_DEP_2)
	v_cndmask_b32_e64 v8, 0, v20, s7
	v_add_nc_u32_e32 v41, v5, v6
	v_and_b32_e32 v20, 0xffff, v20
	s_delay_alu instid0(VALU_DEP_3) | instskip(NEXT) | instid1(VALU_DEP_3)
	v_add_nc_u16 v24, v8, v70
	v_add_nc_u32_e32 v35, v41, v63
	s_delay_alu instid0(VALU_DEP_2) | instskip(NEXT) | instid1(VALU_DEP_2)
	v_cndmask_b32_e64 v5, 0, v24, s6
	v_add_nc_u32_e32 v37, v35, v61
	v_and_b32_e32 v40, 0xffff, v24
	s_delay_alu instid0(VALU_DEP_3) | instskip(NEXT) | instid1(VALU_DEP_3)
	v_add_nc_u16 v26, v5, v67
	v_add_nc_u32_e32 v33, v37, v60
	;; [unrolled: 7-line block ×4, first 2 shown]
	ds_load_b128 v[5:8], v7 offset:1024
	v_cndmask_b32_e64 v22, 0, v30, s3
	v_add_nc_u32_e32 v43, v39, v55
	v_and_b32_e32 v30, 0xffff, v30
	s_delay_alu instid0(VALU_DEP_3) | instskip(NEXT) | instid1(VALU_DEP_3)
	v_add_nc_u16 v62, v22, v65
	v_add_nc_u32_e32 v31, v43, v53
	s_delay_alu instid0(VALU_DEP_2) | instskip(NEXT) | instid1(VALU_DEP_2)
	v_cndmask_b32_e64 v22, 0, v62, s2
	v_add_nc_u32_e32 v29, v31, v52
	v_and_b32_e32 v24, 0xffff, v62
	s_delay_alu instid0(VALU_DEP_3) | instskip(NEXT) | instid1(VALU_DEP_3)
	v_add_nc_u16 v81, v22, v64
	v_add_nc_u32_e32 v23, v29, v50
	s_waitcnt lgkmcnt(0)
	v_cmp_eq_u32_e32 vcc_lo, 0, v5
	v_and_b32_e32 v22, 0xffff, v16
	v_cndmask_b32_e64 v9, 0, v81, s1
	v_dual_cndmask_b32 v8, 0, v8 :: v_dual_add_nc_u32 v27, v23, v49
	v_and_b32_e32 v28, 0xffff, v81
	s_delay_alu instid0(VALU_DEP_3) | instskip(NEXT) | instid1(VALU_DEP_3)
	v_add_nc_u16 v9, v9, v46
	v_add_nc_u32_e32 v25, v27, v48
	s_delay_alu instid0(VALU_DEP_4) | instskip(NEXT) | instid1(VALU_DEP_3)
	v_add_nc_u32_e32 v62, v8, v6
	v_cndmask_b32_e64 v13, 0, v9, s0
	s_delay_alu instid0(VALU_DEP_3) | instskip(SKIP_1) | instid1(VALU_DEP_3)
	v_add_nc_u32_e32 v15, v25, v47
	v_and_b32_e32 v26, 0xffff, v9
	v_add_nc_u16 v13, v13, v45
	s_delay_alu instid0(VALU_DEP_1)
	v_and_b32_e32 v16, 0xffff, v13
	s_branch .LBB649_128
.LBB649_116:
                                        ; implicit-def: $vgpr5
                                        ; implicit-def: $vgpr62
                                        ; implicit-def: $vgpr41_vgpr42
                                        ; implicit-def: $vgpr35_vgpr36
                                        ; implicit-def: $vgpr37_vgpr38
                                        ; implicit-def: $vgpr33_vgpr34
                                        ; implicit-def: $vgpr21_vgpr22
                                        ; implicit-def: $vgpr17_vgpr18
                                        ; implicit-def: $vgpr19_vgpr20
                                        ; implicit-def: $vgpr39_vgpr40
                                        ; implicit-def: $vgpr43_vgpr44
                                        ; implicit-def: $vgpr31_vgpr32
                                        ; implicit-def: $vgpr29_vgpr30
                                        ; implicit-def: $vgpr23_vgpr24
                                        ; implicit-def: $vgpr27_vgpr28
                                        ; implicit-def: $vgpr25_vgpr26
                                        ; implicit-def: $vgpr15_vgpr16
	s_cbranch_execz .LBB649_128
; %bb.117:
	s_and_b32 s0, s16, exec_lo
	v_mov_b32_e32 v6, v74
	s_cselect_b32 s1, 0, s35
	s_cselect_b32 s0, 0, s34
	s_delay_alu instid0(SALU_CYCLE_1)
	s_cmp_eq_u64 s[0:1], 0
	s_cbranch_scc1 .LBB649_119
; %bb.118:
	v_mov_b32_e32 v5, 0
	global_load_u16 v6, v5, s[0:1]
.LBB649_119:
	v_cmp_eq_u32_e64 s11, 0, v61
	v_cmp_eq_u32_e64 s10, 0, v60
	;; [unrolled: 1-line block ×5, first 2 shown]
	v_cndmask_b32_e64 v5, 0, v74, s11
	v_cmp_eq_u32_e64 s7, 0, v56
	v_cmp_eq_u32_e64 s5, 0, v55
	;; [unrolled: 1-line block ×4, first 2 shown]
	v_add_nc_u16 v5, v5, v73
	v_cmp_eq_u32_e64 s2, 0, v50
	v_cmp_eq_u32_e64 s1, 0, v49
	;; [unrolled: 1-line block ×3, first 2 shown]
	v_cmp_eq_u32_e32 vcc_lo, 0, v47
	v_cndmask_b32_e64 v5, 0, v5, s10
	v_add3_u32 v7, v80, v57, v56
	v_cmp_eq_u32_e64 s12, 0, v54
	v_and_b32_e32 v13, 15, v77
	s_delay_alu instid0(VALU_DEP_4) | instskip(NEXT) | instid1(VALU_DEP_4)
	v_add_nc_u16 v5, v5, v75
	v_add3_u32 v7, v7, v55, v53
	s_delay_alu instid0(VALU_DEP_2) | instskip(NEXT) | instid1(VALU_DEP_2)
	v_cndmask_b32_e64 v5, 0, v5, s9
	v_add3_u32 v7, v7, v52, v50
	s_delay_alu instid0(VALU_DEP_2) | instskip(NEXT) | instid1(VALU_DEP_2)
	v_add_nc_u16 v5, v5, v71
	v_add3_u32 v7, v7, v49, v48
	s_delay_alu instid0(VALU_DEP_2) | instskip(NEXT) | instid1(VALU_DEP_2)
	v_cndmask_b32_e64 v5, 0, v5, s8
	v_add3_u32 v7, v7, v47, v54
	s_delay_alu instid0(VALU_DEP_2) | instskip(NEXT) | instid1(VALU_DEP_2)
	v_add_nc_u16 v5, v5, v72
	v_mov_b32_dpp v14, v7 row_shr:1 row_mask:0xf bank_mask:0xf
	s_delay_alu instid0(VALU_DEP_2) | instskip(NEXT) | instid1(VALU_DEP_1)
	v_cndmask_b32_e64 v5, 0, v5, s6
	v_add_nc_u16 v5, v5, v69
	s_delay_alu instid0(VALU_DEP_1) | instskip(NEXT) | instid1(VALU_DEP_1)
	v_cndmask_b32_e64 v5, 0, v5, s7
	v_add_nc_u16 v5, v5, v70
	s_delay_alu instid0(VALU_DEP_1) | instskip(NEXT) | instid1(VALU_DEP_1)
	;; [unrolled: 3-line block ×8, first 2 shown]
	v_cndmask_b32_e32 v5, 0, v5, vcc_lo
	v_add_nc_u16 v5, v5, v45
	s_delay_alu instid0(VALU_DEP_1) | instskip(SKIP_1) | instid1(VALU_DEP_2)
	v_cndmask_b32_e64 v5, 0, v5, s12
	v_cmp_eq_u32_e64 s12, 0, v7
	v_add_nc_u16 v5, v5, v76
	s_delay_alu instid0(VALU_DEP_1) | instskip(NEXT) | instid1(VALU_DEP_1)
	v_and_b32_e32 v8, 0xffff, v5
	v_mov_b32_dpp v9, v8 row_shr:1 row_mask:0xf bank_mask:0xf
	s_delay_alu instid0(VALU_DEP_1) | instskip(SKIP_1) | instid1(VALU_DEP_2)
	v_cndmask_b32_e64 v9, 0, v9, s12
	v_cmp_eq_u32_e64 s12, 0, v13
	v_add_nc_u16 v9, v9, v5
	s_delay_alu instid0(VALU_DEP_2) | instskip(NEXT) | instid1(VALU_DEP_2)
	v_cndmask_b32_e64 v14, v14, 0, s12
	v_and_b32_e32 v15, 0xffff, v9
	s_delay_alu instid0(VALU_DEP_2) | instskip(SKIP_1) | instid1(VALU_DEP_3)
	v_add_nc_u32_e32 v7, v14, v7
	v_cndmask_b32_e64 v5, v9, v5, s12
	v_cndmask_b32_e64 v8, v15, v8, s12
	s_delay_alu instid0(VALU_DEP_3) | instskip(NEXT) | instid1(VALU_DEP_2)
	v_cmp_eq_u32_e64 s12, 0, v7
	v_mov_b32_dpp v14, v8 row_shr:2 row_mask:0xf bank_mask:0xf
	s_delay_alu instid0(VALU_DEP_1) | instskip(SKIP_2) | instid1(VALU_DEP_3)
	v_cndmask_b32_e64 v9, 0, v14, s12
	v_mov_b32_dpp v14, v7 row_shr:2 row_mask:0xf bank_mask:0xf
	v_cmp_lt_u32_e64 s12, 1, v13
	v_add_nc_u16 v9, v9, v5
	s_delay_alu instid0(VALU_DEP_1) | instskip(NEXT) | instid1(VALU_DEP_3)
	v_and_b32_e32 v15, 0xffff, v9
	v_cndmask_b32_e64 v5, v5, v9, s12
	v_cndmask_b32_e64 v9, 0, v14, s12
	s_delay_alu instid0(VALU_DEP_3) | instskip(NEXT) | instid1(VALU_DEP_2)
	v_cndmask_b32_e64 v8, v8, v15, s12
	v_add_nc_u32_e32 v7, v7, v9
	s_delay_alu instid0(VALU_DEP_2) | instskip(NEXT) | instid1(VALU_DEP_2)
	v_mov_b32_dpp v9, v8 row_shr:4 row_mask:0xf bank_mask:0xf
	v_cmp_eq_u32_e64 s12, 0, v7
	v_mov_b32_dpp v14, v7 row_shr:4 row_mask:0xf bank_mask:0xf
	s_delay_alu instid0(VALU_DEP_2) | instskip(SKIP_1) | instid1(VALU_DEP_2)
	v_cndmask_b32_e64 v9, 0, v9, s12
	v_cmp_lt_u32_e64 s12, 3, v13
	v_add_nc_u16 v9, v9, v5
	s_delay_alu instid0(VALU_DEP_1) | instskip(NEXT) | instid1(VALU_DEP_3)
	v_and_b32_e32 v15, 0xffff, v9
	v_cndmask_b32_e64 v5, v5, v9, s12
	v_cndmask_b32_e64 v9, 0, v14, s12
	s_delay_alu instid0(VALU_DEP_3) | instskip(NEXT) | instid1(VALU_DEP_2)
	v_cndmask_b32_e64 v8, v8, v15, s12
	v_add_nc_u32_e32 v7, v9, v7
	s_delay_alu instid0(VALU_DEP_2) | instskip(NEXT) | instid1(VALU_DEP_2)
	v_mov_b32_dpp v9, v8 row_shr:8 row_mask:0xf bank_mask:0xf
	v_cmp_eq_u32_e64 s12, 0, v7
	v_mov_b32_dpp v14, v7 row_shr:8 row_mask:0xf bank_mask:0xf
	s_delay_alu instid0(VALU_DEP_2) | instskip(SKIP_1) | instid1(VALU_DEP_2)
	v_cndmask_b32_e64 v9, 0, v9, s12
	v_cmp_lt_u32_e64 s12, 7, v13
	v_add_nc_u16 v9, v9, v5
	s_delay_alu instid0(VALU_DEP_1) | instskip(SKIP_3) | instid1(VALU_DEP_3)
	v_cndmask_b32_e64 v13, v5, v9, s12
	v_cndmask_b32_e64 v5, 0, v14, s12
	v_and_b32_e32 v9, 0xffff, v9
	v_bfe_i32 v14, v77, 4, 1
	v_add_nc_u32_e32 v5, v5, v7
	s_delay_alu instid0(VALU_DEP_3)
	v_cndmask_b32_e64 v7, v8, v9, s12
	v_and_b32_e32 v9, 16, v77
	ds_swizzle_b32 v8, v5 offset:swizzle(BROADCAST,32,15)
	ds_swizzle_b32 v7, v7 offset:swizzle(BROADCAST,32,15)
	v_cmp_ne_u32_e64 s12, 0, v9
	v_cmp_eq_u32_e64 s13, 0, v5
	s_delay_alu instid0(VALU_DEP_1)
	s_and_b32 s12, s12, s13
	s_mov_b32 s13, exec_lo
	s_waitcnt lgkmcnt(1)
	v_and_b32_e32 v8, v14, v8
	s_waitcnt lgkmcnt(0)
	v_cndmask_b32_e64 v7, 0, v7, s12
	s_delay_alu instid0(VALU_DEP_2) | instskip(NEXT) | instid1(VALU_DEP_2)
	v_add_nc_u32_e32 v5, v8, v5
	v_add_nc_u16 v8, v7, v13
	v_cmpx_eq_u32_e64 v79, v0
	s_cbranch_execz .LBB649_121
; %bb.120:
	v_lshlrev_b32_e32 v7, 3, v78
	ds_store_b32 v7, v5 offset:1040
	ds_store_b16 v7, v8 offset:1044
.LBB649_121:
	s_or_b32 exec_lo, exec_lo, s13
	s_delay_alu instid0(SALU_CYCLE_1)
	s_mov_b32 s14, exec_lo
	s_waitcnt vmcnt(0) lgkmcnt(0)
	s_barrier
	buffer_gl0_inv
	v_cmpx_gt_u32_e32 8, v0
	s_cbranch_execz .LBB649_123
; %bb.122:
	v_lshlrev_b32_e32 v7, 3, v0
	v_and_b32_e32 v17, 7, v77
	ds_load_b64 v[13:14], v7 offset:1040
	v_cmp_lt_u32_e64 s13, 3, v17
	s_waitcnt lgkmcnt(0)
	v_mov_b32_dpp v9, v14 row_shr:1 row_mask:0xf bank_mask:0xf
	v_cmp_eq_u32_e64 s12, 0, v13
	v_and_b32_e32 v15, 0xffff0000, v14
	v_mov_b32_dpp v18, v13 row_shr:1 row_mask:0xf bank_mask:0xf
	s_delay_alu instid0(VALU_DEP_3) | instskip(SKIP_1) | instid1(VALU_DEP_2)
	v_cndmask_b32_e64 v9, 0, v9, s12
	v_cmp_eq_u32_e64 s12, 0, v17
	v_add_nc_u16 v9, v9, v14
	s_delay_alu instid0(VALU_DEP_2) | instskip(NEXT) | instid1(VALU_DEP_2)
	v_cndmask_b32_e64 v18, v18, 0, s12
	v_and_b32_e32 v16, 0xffff, v9
	s_delay_alu instid0(VALU_DEP_2) | instskip(SKIP_1) | instid1(VALU_DEP_3)
	v_add_nc_u32_e32 v13, v18, v13
	v_cndmask_b32_e64 v9, v9, v14, s12
	v_or_b32_e32 v16, v15, v16
	s_delay_alu instid0(VALU_DEP_1) | instskip(NEXT) | instid1(VALU_DEP_4)
	v_cndmask_b32_e64 v16, v16, v14, s12
	v_cmp_eq_u32_e64 s12, 0, v13
	s_delay_alu instid0(VALU_DEP_2) | instskip(NEXT) | instid1(VALU_DEP_1)
	v_mov_b32_dpp v18, v16 row_shr:2 row_mask:0xf bank_mask:0xf
	v_cndmask_b32_e64 v14, 0, v18, s12
	v_mov_b32_dpp v18, v13 row_shr:2 row_mask:0xf bank_mask:0xf
	v_cmp_lt_u32_e64 s12, 1, v17
	s_delay_alu instid0(VALU_DEP_3) | instskip(NEXT) | instid1(VALU_DEP_1)
	v_add_nc_u16 v14, v14, v9
	v_and_b32_e32 v19, 0xffff, v14
	s_delay_alu instid0(VALU_DEP_3) | instskip(SKIP_1) | instid1(VALU_DEP_3)
	v_cndmask_b32_e64 v9, v9, v14, s12
	v_cndmask_b32_e64 v14, 0, v18, s12
	v_or_b32_e32 v15, v15, v19
	s_delay_alu instid0(VALU_DEP_2) | instskip(NEXT) | instid1(VALU_DEP_2)
	v_add_nc_u32_e32 v13, v14, v13
	v_cndmask_b32_e64 v14, v16, v15, s12
	s_delay_alu instid0(VALU_DEP_2) | instskip(SKIP_1) | instid1(VALU_DEP_3)
	v_cmp_eq_u32_e64 s12, 0, v13
	v_mov_b32_dpp v15, v13 row_shr:4 row_mask:0xf bank_mask:0xf
	v_mov_b32_dpp v14, v14 row_shr:4 row_mask:0xf bank_mask:0xf
	s_delay_alu instid0(VALU_DEP_3) | instskip(NEXT) | instid1(VALU_DEP_2)
	s_and_b32 s12, s13, s12
	v_cndmask_b32_e64 v15, 0, v15, s13
	s_delay_alu instid0(VALU_DEP_2) | instskip(NEXT) | instid1(VALU_DEP_2)
	v_cndmask_b32_e64 v14, 0, v14, s12
	v_add_nc_u32_e32 v13, v15, v13
	s_delay_alu instid0(VALU_DEP_2)
	v_add_nc_u16 v9, v9, v14
	ds_store_b32 v7, v13 offset:1040
	ds_store_b16 v7, v9 offset:1044
.LBB649_123:
	s_or_b32 exec_lo, exec_lo, s14
	v_mov_b32_e32 v7, 0
	v_mov_b32_e32 v9, 0
	;; [unrolled: 1-line block ×3, first 2 shown]
	s_mov_b32 s13, exec_lo
	s_waitcnt lgkmcnt(0)
	s_barrier
	buffer_gl0_inv
	v_cmpx_lt_u32_e32 31, v0
	s_cbranch_execz .LBB649_125
; %bb.124:
	v_lshlrev_b32_e32 v13, 3, v78
	ds_load_b32 v9, v13 offset:1032
	ds_load_u16 v13, v13 offset:1036
	s_waitcnt lgkmcnt(1)
	v_cmp_eq_u32_e64 s12, 0, v9
	s_delay_alu instid0(VALU_DEP_1) | instskip(SKIP_1) | instid1(VALU_DEP_1)
	v_cndmask_b32_e64 v14, 0, v6, s12
	s_waitcnt lgkmcnt(0)
	v_add_nc_u16 v13, v14, v13
.LBB649_125:
	s_or_b32 exec_lo, exec_lo, s13
	v_add_nc_u32_e32 v14, -1, v77
	v_cmp_eq_u32_e64 s12, 0, v5
	v_add_nc_u32_e32 v5, v9, v5
	v_cmp_eq_u32_e64 s13, 0, v63
	s_delay_alu instid0(VALU_DEP_3) | instskip(SKIP_1) | instid1(VALU_DEP_2)
	v_cndmask_b32_e64 v15, 0, v13, s12
	v_cmp_gt_i32_e64 s12, 0, v14
	v_add_nc_u16 v8, v15, v8
	s_delay_alu instid0(VALU_DEP_2) | instskip(SKIP_1) | instid1(VALU_DEP_3)
	v_cndmask_b32_e64 v14, v14, v77, s12
	v_cmp_eq_u32_e64 s12, 0, v77
	v_and_b32_e32 v8, 0xffff, v8
	s_delay_alu instid0(VALU_DEP_3)
	v_lshlrev_b32_e32 v14, 2, v14
	ds_bpermute_b32 v5, v14, v5
	ds_bpermute_b32 v8, v14, v8
	s_waitcnt lgkmcnt(1)
	v_cndmask_b32_e64 v5, v5, v9, s12
	s_waitcnt lgkmcnt(0)
	v_cndmask_b32_e64 v8, v8, v13, s12
	v_cmp_eq_u32_e64 s12, 0, v0
	s_delay_alu instid0(VALU_DEP_1) | instskip(SKIP_1) | instid1(VALU_DEP_2)
	v_cndmask_b32_e64 v8, v8, v6, s12
	v_cndmask_b32_e64 v41, v5, 0, s12
	;; [unrolled: 1-line block ×3, first 2 shown]
	s_delay_alu instid0(VALU_DEP_2) | instskip(SKIP_1) | instid1(VALU_DEP_3)
	v_add_nc_u32_e32 v35, v41, v63
	v_and_b32_e32 v42, 0xffff, v8
	v_add_nc_u16 v9, v9, v74
	s_delay_alu instid0(VALU_DEP_3) | instskip(NEXT) | instid1(VALU_DEP_2)
	v_add_nc_u32_e32 v37, v35, v61
	v_cndmask_b32_e64 v13, 0, v9, s11
	s_delay_alu instid0(VALU_DEP_2) | instskip(SKIP_1) | instid1(VALU_DEP_3)
	v_add_nc_u32_e32 v33, v37, v60
	v_and_b32_e32 v36, 0xffff, v9
	v_add_nc_u16 v13, v13, v73
	s_delay_alu instid0(VALU_DEP_3) | instskip(NEXT) | instid1(VALU_DEP_2)
	v_add_nc_u32_e32 v21, v33, v59
	v_cndmask_b32_e64 v14, 0, v13, s10
	v_and_b32_e32 v38, 0xffff, v13
	s_delay_alu instid0(VALU_DEP_2) | instskip(NEXT) | instid1(VALU_DEP_1)
	v_add_nc_u16 v14, v14, v75
	v_cndmask_b32_e64 v15, 0, v14, s9
	v_and_b32_e32 v34, 0xffff, v14
	s_delay_alu instid0(VALU_DEP_2) | instskip(NEXT) | instid1(VALU_DEP_1)
	v_add_nc_u16 v15, v15, v71
	;; [unrolled: 4-line block ×3, first 2 shown]
	v_cndmask_b32_e64 v17, 0, v16, s6
	s_delay_alu instid0(VALU_DEP_1) | instskip(NEXT) | instid1(VALU_DEP_1)
	v_add_nc_u16 v20, v17, v69
	v_cndmask_b32_e64 v17, 0, v20, s7
	v_and_b32_e32 v20, 0xffff, v20
	s_delay_alu instid0(VALU_DEP_2) | instskip(SKIP_1) | instid1(VALU_DEP_2)
	v_add_nc_u16 v24, v17, v70
	v_add_nc_u32_e32 v17, v21, v58
	v_cndmask_b32_e64 v5, 0, v24, s5
	s_delay_alu instid0(VALU_DEP_2) | instskip(SKIP_1) | instid1(VALU_DEP_3)
	v_add_nc_u32_e32 v19, v17, v57
	v_and_b32_e32 v40, 0xffff, v24
	v_add_nc_u16 v26, v5, v67
	s_delay_alu instid0(VALU_DEP_3) | instskip(NEXT) | instid1(VALU_DEP_2)
	v_add_nc_u32_e32 v39, v19, v56
	v_cndmask_b32_e64 v5, 0, v26, s4
	s_delay_alu instid0(VALU_DEP_2) | instskip(SKIP_1) | instid1(VALU_DEP_3)
	v_add_nc_u32_e32 v43, v39, v55
	v_and_b32_e32 v44, 0xffff, v26
	v_add_nc_u16 v28, v5, v68
	s_delay_alu instid0(VALU_DEP_3) | instskip(NEXT) | instid1(VALU_DEP_2)
	v_add_nc_u32_e32 v31, v43, v53
	v_cndmask_b32_e64 v5, 0, v28, s3
	s_delay_alu instid0(VALU_DEP_2) | instskip(SKIP_1) | instid1(VALU_DEP_3)
	v_add_nc_u32_e32 v29, v31, v52
	v_and_b32_e32 v32, 0xffff, v28
	v_add_nc_u16 v30, v5, v66
	ds_load_b32 v5, v7 offset:1096
	ds_load_u16 v7, v7 offset:1100
	v_add_nc_u32_e32 v23, v29, v50
	v_cndmask_b32_e64 v18, 0, v30, s2
	v_and_b32_e32 v30, 0xffff, v30
	s_delay_alu instid0(VALU_DEP_3) | instskip(NEXT) | instid1(VALU_DEP_3)
	v_add_nc_u32_e32 v27, v23, v49
	v_add_nc_u16 v62, v18, v65
	s_delay_alu instid0(VALU_DEP_2) | instskip(NEXT) | instid1(VALU_DEP_2)
	v_add_nc_u32_e32 v25, v27, v48
	v_cndmask_b32_e64 v18, 0, v62, s1
	v_and_b32_e32 v24, 0xffff, v62
	s_delay_alu instid0(VALU_DEP_3) | instskip(NEXT) | instid1(VALU_DEP_3)
	v_add_nc_u32_e32 v15, v25, v47
	v_add_nc_u16 v64, v18, v64
	s_waitcnt lgkmcnt(1)
	v_cmp_eq_u32_e64 s1, 0, v5
	v_and_b32_e32 v18, 0xffff, v16
	s_delay_alu instid0(VALU_DEP_3) | instskip(NEXT) | instid1(VALU_DEP_3)
	v_cndmask_b32_e64 v8, 0, v64, s0
	v_cndmask_b32_e64 v6, 0, v6, s1
	v_and_b32_e32 v28, 0xffff, v64
	s_delay_alu instid0(VALU_DEP_3) | instskip(SKIP_1) | instid1(VALU_DEP_3)
	v_add_nc_u16 v8, v8, v46
	s_waitcnt lgkmcnt(0)
	v_add_nc_u16 v62, v6, v7
	s_delay_alu instid0(VALU_DEP_2) | instskip(SKIP_1) | instid1(VALU_DEP_2)
	v_cndmask_b32_e32 v9, 0, v8, vcc_lo
	v_and_b32_e32 v26, 0xffff, v8
	v_add_nc_u16 v9, v9, v45
	s_delay_alu instid0(VALU_DEP_1)
	v_and_b32_e32 v16, 0xffff, v9
	s_and_saveexec_b32 s0, s12
	s_cbranch_execz .LBB649_127
; %bb.126:
	v_and_b32_e32 v6, 0xff00, v62
	v_dual_mov_b32 v8, 0 :: v_dual_and_b32 v7, 0xff, v62
	s_add_u32 s2, s24, 0x200
	s_addc_u32 s3, s25, 0
	s_delay_alu instid0(VALU_DEP_1)
	v_or_b32_e32 v6, v6, v7
	v_dual_mov_b32 v7, 2 :: v_dual_mov_b32 v14, s3
	v_mov_b32_e32 v13, s2
	;;#ASMSTART
	global_store_dwordx4 v[13:14], v[5:8] off	
s_waitcnt vmcnt(0)
	;;#ASMEND
.LBB649_127:
	s_or_b32 exec_lo, exec_lo, s0
	v_mov_b32_e32 v7, 0
.LBB649_128:
	v_mov_b32_e32 v13, 0
	s_and_b32 s0, s16, exec_lo
	v_mov_b32_e32 v14, 0
	s_cselect_b32 s1, 0, s43
	s_cselect_b32 s0, 0, s42
	s_delay_alu instid0(SALU_CYCLE_1)
	s_cmp_eq_u64 s[0:1], 0
	s_barrier
	buffer_gl0_inv
	s_cbranch_scc1 .LBB649_130
; %bb.129:
	v_mov_b32_e32 v6, 0
	global_load_b64 v[13:14], v6, s[0:1]
.LBB649_130:
	v_cmp_eq_u32_e32 vcc_lo, 0, v63
	s_waitcnt vmcnt(0)
	v_lshlrev_b64 v[45:46], 1, v[13:14]
	v_cmp_ne_u32_e64 s14, 0, v63
	v_cmp_ne_u32_e64 s13, 0, v61
	;; [unrolled: 1-line block ×3, first 2 shown]
	v_cndmask_b32_e64 v6, 1, 2, vcc_lo
	v_cmp_eq_u32_e32 vcc_lo, 0, v61
	v_cmp_ne_u32_e64 s11, 0, v59
	v_cmp_ne_u32_e64 s10, 0, v58
	;; [unrolled: 1-line block ×4, first 2 shown]
	v_cndmask_b32_e64 v8, 1, 2, vcc_lo
	v_cmp_eq_u32_e32 vcc_lo, 0, v60
	v_cmp_ne_u32_e64 s5, 0, v55
	v_cmp_ne_u32_e64 s8, 0, v53
	;; [unrolled: 1-line block ×3, first 2 shown]
	v_and_b32_e32 v6, v8, v6
	v_cndmask_b32_e64 v9, 1, 2, vcc_lo
	v_cmp_eq_u32_e32 vcc_lo, 0, v59
	v_cmp_ne_u32_e64 s4, 0, v50
	v_cmp_ne_u32_e64 s3, 0, v49
	;; [unrolled: 1-line block ×3, first 2 shown]
	v_and_b32_e32 v6, v6, v9
	v_cndmask_b32_e64 v8, 1, 2, vcc_lo
	v_cmp_eq_u32_e32 vcc_lo, 0, v58
	v_cmp_ne_u32_e64 s1, 0, v47
	v_cmp_ne_u32_e64 s0, 0, v54
	s_mov_b32 s16, -1
	v_and_b32_e32 v6, v6, v8
	v_cndmask_b32_e64 v9, 1, 2, vcc_lo
	v_cmp_eq_u32_e32 vcc_lo, 0, v57
	s_delay_alu instid0(VALU_DEP_2) | instskip(SKIP_2) | instid1(VALU_DEP_2)
	v_and_b32_e32 v6, v6, v9
	v_cndmask_b32_e64 v8, 1, 2, vcc_lo
	v_cmp_eq_u32_e32 vcc_lo, 0, v56
	v_and_b32_e32 v6, v6, v8
	v_cndmask_b32_e64 v9, 1, 2, vcc_lo
	v_cmp_eq_u32_e32 vcc_lo, 0, v55
	s_delay_alu instid0(VALU_DEP_2) | instskip(SKIP_2) | instid1(VALU_DEP_2)
	v_and_b32_e32 v6, v6, v9
	v_cndmask_b32_e64 v64, 1, 2, vcc_lo
	v_cmp_eq_u32_e32 vcc_lo, 0, v53
	;; [unrolled: 7-line block ×4, first 2 shown]
	v_and_b32_e32 v6, v6, v64
	v_cndmask_b32_e64 v65, 1, 2, vcc_lo
	v_mov_b32_e32 v8, 0
	v_cmp_eq_u32_e32 vcc_lo, 0, v47
	s_delay_alu instid0(VALU_DEP_3) | instskip(NEXT) | instid1(VALU_DEP_3)
	v_and_b32_e32 v65, v6, v65
	v_lshlrev_b64 v[8:9], 1, v[7:8]
	v_cndmask_b32_e64 v66, 1, 2, vcc_lo
	v_add_co_u32 v64, vcc_lo, s22, v45
	v_add_co_ci_u32_e32 v67, vcc_lo, s23, v46, vcc_lo
	s_delay_alu instid0(VALU_DEP_3) | instskip(NEXT) | instid1(VALU_DEP_3)
	v_and_b32_e32 v65, v65, v66
	v_add_co_u32 v6, vcc_lo, v64, v8
	s_delay_alu instid0(VALU_DEP_3) | instskip(SKIP_3) | instid1(VALU_DEP_2)
	v_add_co_ci_u32_e32 v64, vcc_lo, v67, v9, vcc_lo
	v_cmp_eq_u32_e32 vcc_lo, 0, v54
	v_cndmask_b32_e64 v66, 1, 2, vcc_lo
	v_cmp_gt_u32_e32 vcc_lo, 0x100, v5
	v_and_b32_e32 v65, v65, v66
	s_delay_alu instid0(VALU_DEP_1)
	v_cmp_gt_i16_e64 s15, 2, v65
	s_cbranch_vccz .LBB649_137
; %bb.131:
	s_delay_alu instid0(VALU_DEP_1)
	s_and_saveexec_b32 s16, s15
	s_cbranch_execz .LBB649_136
; %bb.132:
	s_mov_b32 s17, 0
	s_mov_b32 s15, exec_lo
	v_cmpx_ne_u16_e32 1, v65
	s_xor_b32 s15, exec_lo, s15
	s_cbranch_execnz .LBB649_193
; %bb.133:
	s_and_not1_saveexec_b32 s15, s15
	s_cbranch_execnz .LBB649_209
.LBB649_134:
	s_or_b32 exec_lo, exec_lo, s15
	s_delay_alu instid0(SALU_CYCLE_1)
	s_and_b32 exec_lo, exec_lo, s17
	s_cbranch_execz .LBB649_136
.LBB649_135:
	v_sub_nc_u32_e32 v66, v15, v7
	v_mov_b32_e32 v67, 0
	s_delay_alu instid0(VALU_DEP_1) | instskip(NEXT) | instid1(VALU_DEP_1)
	v_lshlrev_b64 v[66:67], 1, v[66:67]
	v_add_co_u32 v66, vcc_lo, v6, v66
	s_delay_alu instid0(VALU_DEP_2)
	v_add_co_ci_u32_e32 v67, vcc_lo, v64, v67, vcc_lo
	global_store_d16_hi_b16 v[66:67], v12, off
.LBB649_136:
	s_or_b32 exec_lo, exec_lo, s16
	s_mov_b32 s16, 0
.LBB649_137:
	s_delay_alu instid0(SALU_CYCLE_1)
	s_and_b32 vcc_lo, exec_lo, s16
	s_cbranch_vccz .LBB649_159
; %bb.138:
	s_mov_b32 s15, exec_lo
	v_cmpx_gt_i16_e32 2, v65
	s_cbranch_execz .LBB649_143
; %bb.139:
	s_mov_b32 s17, 0
	s_mov_b32 s16, exec_lo
	v_cmpx_ne_u16_e32 1, v65
	s_xor_b32 s16, exec_lo, s16
	s_cbranch_execnz .LBB649_210
; %bb.140:
	s_and_not1_saveexec_b32 s0, s16
	s_cbranch_execnz .LBB649_226
.LBB649_141:
	s_or_b32 exec_lo, exec_lo, s0
	s_delay_alu instid0(SALU_CYCLE_1)
	s_and_b32 exec_lo, exec_lo, s17
	s_cbranch_execz .LBB649_143
.LBB649_142:
	v_sub_nc_u32_e32 v1, v15, v7
	s_delay_alu instid0(VALU_DEP_1)
	v_lshlrev_b32_e32 v1, 1, v1
	ds_store_b16_d16_hi v1, v12
.LBB649_143:
	s_or_b32 exec_lo, exec_lo, s15
	s_delay_alu instid0(SALU_CYCLE_1)
	s_mov_b32 s1, exec_lo
	s_waitcnt lgkmcnt(0)
	s_waitcnt_vscnt null, 0x0
	s_barrier
	buffer_gl0_inv
	v_cmpx_lt_u32_e64 v0, v5
	s_cbranch_execz .LBB649_158
; %bb.144:
	v_xad_u32 v2, v0, -1, v5
	v_mov_b32_e32 v1, v0
	s_mov_b32 s0, -1
	s_mov_b32 s3, exec_lo
	s_delay_alu instid0(VALU_DEP_2)
	v_cmp_gt_u32_e64 s2, 0x1900, v2
	v_cmpx_lt_u32_e32 0x18ff, v2
	s_cbranch_execz .LBB649_155
; %bb.145:
	v_sub_nc_u32_e32 v1, v0, v5
	s_delay_alu instid0(VALU_DEP_1) | instskip(NEXT) | instid1(VALU_DEP_1)
	v_or_b32_e32 v1, 0xff, v1
	v_cmp_ge_u32_e32 vcc_lo, v1, v0
	v_mov_b32_e32 v1, v0
	s_and_saveexec_b32 s4, vcc_lo
	s_cbranch_execz .LBB649_154
; %bb.146:
	v_lshrrev_b32_e32 v4, 8, v2
	v_or_b32_e32 v1, 0x100, v0
	v_mov_b32_e32 v66, 0
	s_delay_alu instid0(VALU_DEP_3) | instskip(NEXT) | instid1(VALU_DEP_1)
	v_add_nc_u32_e32 v2, -1, v4
	v_lshrrev_b32_e32 v3, 1, v2
	v_cmp_lt_u32_e32 vcc_lo, 13, v2
	s_delay_alu instid0(VALU_DEP_2)
	v_dual_mov_b32 v3, v1 :: v_dual_add_nc_u32 v12, 1, v3
	v_mov_b32_e32 v2, v0
	s_and_saveexec_b32 s0, vcc_lo
	s_cbranch_execz .LBB649_150
; %bb.147:
	v_mov_b32_e32 v3, v1
	v_dual_mov_b32 v2, v0 :: v_dual_and_b32 v51, -8, v12
	v_lshlrev_b32_e32 v65, 1, v0
	v_mov_b32_e32 v11, 0
	s_mov_b32 s5, 0
	s_mov_b32 s6, 0
.LBB649_148:                            ; =>This Inner Loop Header: Depth=1
	v_dual_mov_b32 v10, v2 :: v_dual_add_nc_u32 v67, 0x200, v3
	s_add_i32 s6, s6, 16
	s_delay_alu instid0(SALU_CYCLE_1) | instskip(SKIP_1) | instid1(VALU_DEP_3)
	v_dual_mov_b32 v66, s6 :: v_dual_add_nc_u32 v51, -8, v51
	v_dual_mov_b32 v68, v11 :: v_dual_add_nc_u32 v69, 0x400, v3
	v_lshlrev_b64 v[81:82], 1, v[10:11]
	v_dual_mov_b32 v70, v11 :: v_dual_add_nc_u32 v71, 0x600, v3
	s_delay_alu instid0(VALU_DEP_4) | instskip(NEXT) | instid1(VALU_DEP_4)
	v_cmp_eq_u32_e32 vcc_lo, 0, v51
	v_lshlrev_b64 v[67:68], 1, v[67:68]
	v_dual_mov_b32 v72, v11 :: v_dual_add_nc_u32 v73, 0x800, v3
	s_delay_alu instid0(VALU_DEP_4)
	v_lshlrev_b64 v[69:70], 1, v[69:70]
	s_or_b32 s5, vcc_lo, s5
	v_add_co_u32 v81, vcc_lo, v6, v81
	v_dual_mov_b32 v74, v11 :: v_dual_add_nc_u32 v75, 0xa00, v3
	v_add_co_ci_u32_e32 v82, vcc_lo, v64, v82, vcc_lo
	v_lshlrev_b64 v[71:72], 1, v[71:72]
	v_add_co_u32 v67, vcc_lo, v6, v67
	v_dual_mov_b32 v76, v11 :: v_dual_add_nc_u32 v77, 0xc00, v3
	v_add_co_ci_u32_e32 v68, vcc_lo, v64, v68, vcc_lo
	v_lshlrev_b64 v[73:74], 1, v[73:74]
	;; [unrolled: 4-line block ×3, first 2 shown]
	v_add_co_u32 v71, vcc_lo, v6, v71
	v_mov_b32_e32 v80, v11
	v_dual_mov_b32 v10, v3 :: v_dual_add_nc_u32 v3, 0x1000, v3
	v_add_co_ci_u32_e32 v72, vcc_lo, v64, v72, vcc_lo
	v_lshlrev_b64 v[77:78], 1, v[77:78]
	v_add_co_u32 v73, vcc_lo, v6, v73
	ds_load_u16 v1, v65
	ds_load_u16 v87, v65 offset:512
	ds_load_u16 v88, v65 offset:1024
	;; [unrolled: 1-line block ×7, first 2 shown]
	v_add_co_ci_u32_e32 v74, vcc_lo, v64, v74, vcc_lo
	ds_load_u16 v94, v65 offset:4096
	ds_load_u16 v95, v65 offset:4608
	;; [unrolled: 1-line block ×8, first 2 shown]
	v_add_nc_u32_e32 v65, 0x2000, v65
	v_lshlrev_b64 v[79:80], 1, v[79:80]
	v_add_co_u32 v75, vcc_lo, v6, v75
	v_lshlrev_b64 v[83:84], 1, v[10:11]
	v_add_nc_u32_e32 v10, 0x200, v2
	v_add_co_ci_u32_e32 v76, vcc_lo, v64, v76, vcc_lo
	v_add_co_u32 v77, vcc_lo, v6, v77
	v_add_co_ci_u32_e32 v78, vcc_lo, v64, v78, vcc_lo
	v_add_co_u32 v79, vcc_lo, v6, v79
	v_lshlrev_b64 v[85:86], 1, v[10:11]
	v_add_nc_u32_e32 v10, 0x400, v2
	v_add_co_ci_u32_e32 v80, vcc_lo, v64, v80, vcc_lo
	v_add_co_u32 v83, vcc_lo, v6, v83
	v_add_co_ci_u32_e32 v84, vcc_lo, v64, v84, vcc_lo
	s_waitcnt lgkmcnt(15)
	global_store_b16 v[81:82], v1, off
	v_lshlrev_b64 v[81:82], 1, v[10:11]
	v_add_nc_u32_e32 v10, 0x600, v2
	v_add_co_u32 v85, vcc_lo, v6, v85
	v_add_co_ci_u32_e32 v86, vcc_lo, v64, v86, vcc_lo
	s_waitcnt lgkmcnt(14)
	global_store_b16 v[83:84], v87, off
	v_lshlrev_b64 v[83:84], 1, v[10:11]
	v_add_nc_u32_e32 v10, 0x800, v2
	s_waitcnt lgkmcnt(13)
	global_store_b16 v[85:86], v88, off
	s_waitcnt lgkmcnt(12)
	global_store_b16 v[67:68], v89, off
	v_add_co_u32 v67, vcc_lo, v6, v81
	v_add_co_ci_u32_e32 v68, vcc_lo, v64, v82, vcc_lo
	v_lshlrev_b64 v[81:82], 1, v[10:11]
	v_add_nc_u32_e32 v10, 0xa00, v2
	v_add_co_u32 v83, vcc_lo, v6, v83
	v_add_co_ci_u32_e32 v84, vcc_lo, v64, v84, vcc_lo
	s_waitcnt lgkmcnt(11)
	global_store_b16 v[67:68], v90, off
	s_waitcnt lgkmcnt(10)
	global_store_b16 v[69:70], v91, off
	v_lshlrev_b64 v[67:68], 1, v[10:11]
	v_add_nc_u32_e32 v10, 0xc00, v2
	v_add_co_u32 v69, vcc_lo, v6, v81
	s_waitcnt lgkmcnt(9)
	global_store_b16 v[83:84], v92, off
	s_waitcnt lgkmcnt(8)
	global_store_b16 v[71:72], v93, off
	v_add_co_ci_u32_e32 v70, vcc_lo, v64, v82, vcc_lo
	v_lshlrev_b64 v[71:72], 1, v[10:11]
	v_add_nc_u32_e32 v10, 0xe00, v2
	v_add_co_u32 v67, vcc_lo, v6, v67
	v_add_co_ci_u32_e32 v68, vcc_lo, v64, v68, vcc_lo
	s_waitcnt lgkmcnt(7)
	global_store_b16 v[69:70], v94, off
	s_waitcnt lgkmcnt(6)
	global_store_b16 v[73:74], v95, off
	v_lshlrev_b64 v[69:70], 1, v[10:11]
	v_add_nc_u32_e32 v2, 0x1000, v2
	s_waitcnt lgkmcnt(5)
	global_store_b16 v[67:68], v96, off
	v_add_co_u32 v67, vcc_lo, v6, v71
	v_add_co_ci_u32_e32 v68, vcc_lo, v64, v72, vcc_lo
	v_add_co_u32 v69, vcc_lo, v6, v69
	v_add_co_ci_u32_e32 v70, vcc_lo, v64, v70, vcc_lo
	s_waitcnt lgkmcnt(4)
	global_store_b16 v[75:76], v97, off
	s_waitcnt lgkmcnt(3)
	global_store_b16 v[67:68], v98, off
	;; [unrolled: 2-line block ×5, first 2 shown]
	s_and_not1_b32 exec_lo, exec_lo, s5
	s_cbranch_execnz .LBB649_148
; %bb.149:
	s_or_b32 exec_lo, exec_lo, s5
.LBB649_150:
	s_delay_alu instid0(SALU_CYCLE_1) | instskip(SKIP_3) | instid1(VALU_DEP_1)
	s_or_b32 exec_lo, exec_lo, s0
	v_and_b32_e32 v1, 7, v12
	s_mov_b32 s6, 0
	s_mov_b32 s5, exec_lo
	v_cmpx_ne_u32_e32 0, v1
	s_cbranch_execz .LBB649_153
; %bb.151:
	v_dual_mov_b32 v11, 0 :: v_dual_lshlrev_b32 v10, 1, v0
	s_delay_alu instid0(VALU_DEP_1)
	v_lshl_or_b32 v12, v66, 9, v10
	s_set_inst_prefetch_distance 0x1
	.p2align	6
.LBB649_152:                            ; =>This Inner Loop Header: Depth=1
	v_dual_mov_b32 v10, v2 :: v_dual_add_nc_u32 v1, -1, v1
	ds_load_u16 v51, v12
	ds_load_u16 v69, v12 offset:512
	v_add_nc_u32_e32 v2, 0x200, v2
	v_add_nc_u32_e32 v12, 0x400, v12
	v_lshlrev_b64 v[65:66], 1, v[10:11]
	v_dual_mov_b32 v10, v3 :: v_dual_add_nc_u32 v3, 0x200, v3
	v_cmp_eq_u32_e32 vcc_lo, 0, v1
	s_delay_alu instid0(VALU_DEP_2) | instskip(NEXT) | instid1(VALU_DEP_4)
	v_lshlrev_b64 v[67:68], 1, v[10:11]
	v_add_co_u32 v65, s0, v6, v65
	s_delay_alu instid0(VALU_DEP_1) | instskip(SKIP_1) | instid1(VALU_DEP_3)
	v_add_co_ci_u32_e64 v66, s0, v64, v66, s0
	s_or_b32 s6, vcc_lo, s6
	v_add_co_u32 v67, s0, v6, v67
	s_delay_alu instid0(VALU_DEP_1)
	v_add_co_ci_u32_e64 v68, s0, v64, v68, s0
	s_waitcnt lgkmcnt(1)
	global_store_b16 v[65:66], v51, off
	s_waitcnt lgkmcnt(0)
	global_store_b16 v[67:68], v69, off
	s_and_not1_b32 exec_lo, exec_lo, s6
	s_cbranch_execnz .LBB649_152
.LBB649_153:
	s_set_inst_prefetch_distance 0x2
	s_or_b32 exec_lo, exec_lo, s5
	v_add_nc_u32_e32 v1, 1, v4
	s_delay_alu instid0(VALU_DEP_1) | instskip(NEXT) | instid1(VALU_DEP_1)
	v_and_b32_e32 v2, 0x1fffffe, v1
	v_cmp_ne_u32_e32 vcc_lo, v1, v2
	v_lshl_or_b32 v1, v2, 8, v0
	s_or_not1_b32 s0, vcc_lo, exec_lo
.LBB649_154:
	s_or_b32 exec_lo, exec_lo, s4
	s_delay_alu instid0(SALU_CYCLE_1) | instskip(SKIP_1) | instid1(SALU_CYCLE_1)
	s_and_not1_b32 s2, s2, exec_lo
	s_and_b32 s0, s0, exec_lo
	s_or_b32 s2, s2, s0
.LBB649_155:
	s_or_b32 exec_lo, exec_lo, s3
	s_delay_alu instid0(VALU_DEP_2) | instid1(SALU_CYCLE_1)
	s_and_b32 exec_lo, exec_lo, s2
	s_cbranch_execz .LBB649_158
; %bb.156:
	v_dual_mov_b32 v2, 0 :: v_dual_lshlrev_b32 v3, 1, v1
	s_mov_b32 s2, 0
	.p2align	6
.LBB649_157:                            ; =>This Inner Loop Header: Depth=1
	ds_load_u16 v4, v3
	v_lshlrev_b64 v[10:11], 1, v[1:2]
	v_add_nc_u32_e32 v1, 0x100, v1
	v_add_nc_u32_e32 v3, 0x200, v3
	s_delay_alu instid0(VALU_DEP_2) | instskip(NEXT) | instid1(VALU_DEP_4)
	v_cmp_ge_u32_e32 vcc_lo, v1, v5
	v_add_co_u32 v10, s0, v6, v10
	s_delay_alu instid0(VALU_DEP_1)
	v_add_co_ci_u32_e64 v11, s0, v64, v11, s0
	s_or_b32 s2, vcc_lo, s2
	s_waitcnt lgkmcnt(0)
	global_store_b16 v[10:11], v4, off
	s_and_not1_b32 exec_lo, exec_lo, s2
	s_cbranch_execnz .LBB649_157
.LBB649_158:
	s_or_b32 exec_lo, exec_lo, s1
.LBB649_159:
	s_cmpk_lg_i32 s21, 0xf00
	v_cmp_eq_u32_e32 vcc_lo, 0, v0
	s_cselect_b32 s0, -1, 0
	v_cndmask_b32_e64 v2, 0, 1, s28
	s_and_b32 s0, s20, s0
	v_mad_i32_i24 v6, v0, -15, s21
	v_cndmask_b32_e64 v1, 0, 1, s0
	s_mul_hi_u32 s0, s21, 0x88888889
	s_and_b32 s1, vcc_lo, s28
	s_lshr_b32 s0, s0, 3
	v_sub_nc_u32_e32 v3, v5, v2
	v_cndmask_b32_e64 v10, v63, 0, s1
	v_cmp_eq_u32_e32 vcc_lo, s0, v0
	v_cmp_ne_u32_e64 s0, 0, v6
	s_mov_b32 s16, -1
	s_waitcnt_vscnt null, 0x0
	s_barrier
	s_and_b32 vcc_lo, s20, vcc_lo
	v_add_nc_u32_e32 v4, v3, v1
	v_cndmask_b32_e64 v3, 1, v10, s0
	v_cmp_ne_u32_e64 s0, 1, v6
	buffer_gl0_inv
	v_cndmask_b32_e32 v64, v10, v3, vcc_lo
	v_cndmask_b32_e64 v11, 1, v61, s0
	v_cmp_ne_u32_e64 s0, 14, v6
	s_delay_alu instid0(VALU_DEP_2) | instskip(NEXT) | instid1(VALU_DEP_2)
	v_cndmask_b32_e32 v61, v61, v11, vcc_lo
	v_cndmask_b32_e64 v12, 1, v54, s0
	v_cmp_ne_u32_e64 s0, 2, v6
	s_delay_alu instid0(VALU_DEP_3) | instskip(NEXT) | instid1(VALU_DEP_2)
	v_cmp_ne_u32_e64 s13, 0, v61
	v_cndmask_b32_e64 v51, 1, v60, s0
	v_cmp_ne_u32_e64 s0, 3, v6
	s_delay_alu instid0(VALU_DEP_2) | instskip(NEXT) | instid1(VALU_DEP_2)
	v_dual_cndmask_b32 v54, v54, v12 :: v_dual_cndmask_b32 v51, v60, v51
	v_cndmask_b32_e64 v63, 1, v59, s0
	v_cmp_ne_u32_e64 s0, 4, v6
	s_delay_alu instid0(VALU_DEP_3) | instskip(NEXT) | instid1(VALU_DEP_2)
	v_cmp_ne_u32_e64 s12, 0, v51
	v_cndmask_b32_e64 v3, 1, v58, s0
	v_cmp_ne_u32_e64 s0, 5, v6
	s_delay_alu instid0(VALU_DEP_1) | instskip(SKIP_1) | instid1(VALU_DEP_2)
	v_cndmask_b32_e64 v10, 1, v57, s0
	v_cmp_eq_u32_e64 s0, 0, v64
	v_dual_cndmask_b32 v58, v58, v3 :: v_dual_cndmask_b32 v57, v57, v10
	s_delay_alu instid0(VALU_DEP_2) | instskip(SKIP_1) | instid1(VALU_DEP_3)
	v_cndmask_b32_e64 v11, 1, 2, s0
	v_cmp_eq_u32_e64 s0, 0, v61
	v_cmp_ne_u32_e64 s10, 0, v58
	s_delay_alu instid0(VALU_DEP_4) | instskip(NEXT) | instid1(VALU_DEP_3)
	v_cmp_ne_u32_e64 s9, 0, v57
	v_cndmask_b32_e64 v12, 1, 2, s0
	v_cmp_ne_u32_e64 s0, 6, v6
	s_delay_alu instid0(VALU_DEP_2) | instskip(NEXT) | instid1(VALU_DEP_2)
	v_and_b32_e32 v11, v12, v11
	v_cndmask_b32_e64 v60, 1, v56, s0
	v_cmp_eq_u32_e64 s0, 0, v51
	s_delay_alu instid0(VALU_DEP_2) | instskip(NEXT) | instid1(VALU_DEP_2)
	v_dual_cndmask_b32 v59, v59, v63 :: v_dual_cndmask_b32 v56, v56, v60
	v_cndmask_b32_e64 v12, 1, 2, s0
	v_cmp_ne_u32_e64 s0, 7, v6
	s_delay_alu instid0(VALU_DEP_3) | instskip(NEXT) | instid1(VALU_DEP_4)
	v_cmp_ne_u32_e64 s11, 0, v59
	v_cmp_ne_u32_e64 s8, 0, v56
	s_delay_alu instid0(VALU_DEP_4) | instskip(NEXT) | instid1(VALU_DEP_4)
	v_and_b32_e32 v11, v11, v12
	v_cndmask_b32_e64 v63, 1, v55, s0
	v_cmp_ne_u32_e64 s0, 8, v6
	v_cmp_ne_u32_e64 s14, 0, v64
	s_delay_alu instid0(VALU_DEP_2) | instskip(SKIP_1) | instid1(VALU_DEP_2)
	v_cndmask_b32_e64 v65, 1, v53, s0
	v_cmp_eq_u32_e64 s0, 0, v59
	v_cndmask_b32_e32 v53, v53, v65, vcc_lo
	s_delay_alu instid0(VALU_DEP_2) | instskip(SKIP_1) | instid1(VALU_DEP_3)
	v_cndmask_b32_e64 v12, 1, 2, s0
	v_cmp_ne_u32_e64 s0, 9, v6
	v_cmp_ne_u32_e64 s6, 0, v53
	s_delay_alu instid0(VALU_DEP_3) | instskip(NEXT) | instid1(VALU_DEP_3)
	v_and_b32_e32 v10, v11, v12
	v_cndmask_b32_e64 v3, 1, v52, s0
	v_cmp_eq_u32_e64 s0, 0, v58
	s_delay_alu instid0(VALU_DEP_2) | instskip(NEXT) | instid1(VALU_DEP_2)
	v_cndmask_b32_e32 v52, v52, v3, vcc_lo
	v_cndmask_b32_e64 v11, 1, 2, s0
	v_cmp_ne_u32_e64 s0, 10, v6
	s_delay_alu instid0(VALU_DEP_2) | instskip(NEXT) | instid1(VALU_DEP_2)
	v_and_b32_e32 v10, v10, v11
	v_cndmask_b32_e64 v12, 1, v50, s0
	v_cmp_ne_u32_e64 s0, 12, v6
	s_delay_alu instid0(VALU_DEP_2) | instskip(NEXT) | instid1(VALU_DEP_2)
	v_cndmask_b32_e32 v50, v50, v12, vcc_lo
	v_cndmask_b32_e64 v66, 1, v48, s0
	v_cmp_eq_u32_e64 s0, 0, v57
	v_cndmask_b32_e32 v55, v55, v63, vcc_lo
	s_delay_alu instid0(VALU_DEP_4) | instskip(NEXT) | instid1(VALU_DEP_4)
	v_cmp_ne_u32_e64 s4, 0, v50
	v_cndmask_b32_e32 v48, v48, v66, vcc_lo
	s_delay_alu instid0(VALU_DEP_4) | instskip(SKIP_2) | instid1(VALU_DEP_4)
	v_cndmask_b32_e64 v11, 1, 2, s0
	v_cmp_ne_u32_e64 s0, 13, v6
	v_cmp_ne_u32_e64 s7, 0, v55
	v_cmp_ne_u32_e64 s2, 0, v48
	s_delay_alu instid0(VALU_DEP_3) | instskip(SKIP_1) | instid1(VALU_DEP_2)
	v_cndmask_b32_e64 v60, 1, v47, s0
	v_cmp_eq_u32_e64 s0, 0, v56
	v_dual_cndmask_b32 v47, v47, v60 :: v_dual_and_b32 v10, v10, v11
	s_delay_alu instid0(VALU_DEP_2) | instskip(SKIP_1) | instid1(VALU_DEP_3)
	v_cndmask_b32_e64 v11, 1, 2, s0
	v_cmp_ne_u32_e64 s0, 11, v6
	v_cmp_ne_u32_e64 s1, 0, v47
	s_delay_alu instid0(VALU_DEP_2) | instskip(SKIP_1) | instid1(VALU_DEP_2)
	v_cndmask_b32_e64 v6, 1, v49, s0
	v_cmp_eq_u32_e64 s0, 0, v55
	v_dual_cndmask_b32 v49, v49, v6 :: v_dual_and_b32 v10, v10, v11
	s_delay_alu instid0(VALU_DEP_2) | instskip(SKIP_2) | instid1(VALU_DEP_4)
	v_cndmask_b32_e64 v11, 1, 2, s0
	v_cmp_eq_u32_e32 vcc_lo, 0, v53
	v_cmp_ne_u32_e64 s0, 0, v54
	v_cmp_ne_u32_e64 s3, 0, v49
	s_delay_alu instid0(VALU_DEP_4) | instskip(SKIP_3) | instid1(VALU_DEP_3)
	v_and_b32_e32 v3, v10, v11
	v_cndmask_b32_e64 v6, 1, 2, vcc_lo
	v_add_co_u32 v10, vcc_lo, s36, v45
	v_add_co_ci_u32_e32 v11, vcc_lo, s37, v46, vcc_lo
	v_and_b32_e32 v3, v3, v6
	v_cmp_eq_u32_e32 vcc_lo, 0, v52
	v_cmp_ne_u32_e64 s5, 0, v52
	v_cndmask_b32_e64 v6, 1, 2, vcc_lo
	v_add_co_u32 v10, vcc_lo, v10, v8
	v_add_co_ci_u32_e32 v11, vcc_lo, v11, v9, vcc_lo
	v_lshlrev_b32_e32 v8, 1, v2
	v_cmp_eq_u32_e32 vcc_lo, 0, v50
	v_and_b32_e32 v3, v3, v6
	v_cndmask_b32_e64 v6, 1, 2, vcc_lo
	s_delay_alu instid0(VALU_DEP_4) | instskip(SKIP_2) | instid1(VALU_DEP_4)
	v_add_co_u32 v8, vcc_lo, v8, v10
	v_add_co_ci_u32_e32 v9, vcc_lo, 0, v11, vcc_lo
	v_cmp_eq_u32_e32 vcc_lo, 0, v49
	v_and_b32_e32 v45, v3, v6
	v_add_nc_u32_e32 v3, v7, v2
	v_cndmask_b32_e64 v46, 1, 2, vcc_lo
	v_add_co_u32 v6, vcc_lo, v8, -2
	v_add_co_ci_u32_e32 v12, vcc_lo, -1, v9, vcc_lo
	v_cmp_eq_u32_e32 vcc_lo, 0, v48
	s_delay_alu instid0(VALU_DEP_4) | instskip(SKIP_2) | instid1(VALU_DEP_2)
	v_and_b32_e32 v8, v45, v46
	v_cndmask_b32_e64 v9, 1, 2, vcc_lo
	v_cmp_eq_u32_e32 vcc_lo, 0, v47
	v_and_b32_e32 v8, v8, v9
	v_cndmask_b32_e64 v9, 1, 2, vcc_lo
	v_cmp_eq_u32_e32 vcc_lo, 0, v54
	s_delay_alu instid0(VALU_DEP_2) | instskip(SKIP_2) | instid1(VALU_DEP_2)
	v_and_b32_e32 v8, v8, v9
	v_cndmask_b32_e64 v9, 1, 2, vcc_lo
	v_cmp_gt_u32_e32 vcc_lo, 0x100, v4
	v_and_b32_e32 v8, v8, v9
	s_delay_alu instid0(VALU_DEP_1)
	v_cmp_gt_i16_e64 s15, 2, v8
	s_cbranch_vccnz .LBB649_163
; %bb.160:
	s_and_b32 vcc_lo, exec_lo, s16
	s_cbranch_vccnz .LBB649_169
.LBB649_161:
	v_cmp_eq_u32_e32 vcc_lo, 0xff, v0
	s_and_b32 s0, vcc_lo, s20
	s_delay_alu instid0(SALU_CYCLE_1)
	s_and_saveexec_b32 s1, s0
	s_cbranch_execnz .LBB649_190
.LBB649_162:
	s_nop 0
	s_sendmsg sendmsg(MSG_DEALLOC_VGPRS)
	s_endpgm
.LBB649_163:
	s_delay_alu instid0(VALU_DEP_1)
	s_and_saveexec_b32 s16, s15
	s_cbranch_execz .LBB649_168
; %bb.164:
	s_mov_b32 s17, 0
	s_mov_b32 s15, exec_lo
	v_cmpx_ne_u16_e32 1, v8
	s_xor_b32 s15, exec_lo, s15
	s_cbranch_execnz .LBB649_227
; %bb.165:
	s_and_not1_saveexec_b32 s15, s15
	s_cbranch_execnz .LBB649_243
.LBB649_166:
	s_or_b32 exec_lo, exec_lo, s15
	s_delay_alu instid0(SALU_CYCLE_1)
	s_and_b32 exec_lo, exec_lo, s17
	s_cbranch_execz .LBB649_168
.LBB649_167:
	v_sub_nc_u32_e32 v45, v15, v3
	v_mov_b32_e32 v46, 0
	s_delay_alu instid0(VALU_DEP_1) | instskip(NEXT) | instid1(VALU_DEP_1)
	v_lshlrev_b64 v[45:46], 1, v[45:46]
	v_add_co_u32 v45, vcc_lo, v6, v45
	s_delay_alu instid0(VALU_DEP_2)
	v_add_co_ci_u32_e32 v46, vcc_lo, v12, v46, vcc_lo
	global_store_b16 v[45:46], v16, off
.LBB649_168:
	s_or_b32 exec_lo, exec_lo, s16
	s_branch .LBB649_161
.LBB649_169:
	s_mov_b32 s15, exec_lo
	v_cmpx_gt_i16_e32 2, v8
	s_cbranch_execz .LBB649_174
; %bb.170:
	s_mov_b32 s17, 0
	s_mov_b32 s16, exec_lo
	v_cmpx_ne_u16_e32 1, v8
	s_xor_b32 s16, exec_lo, s16
	s_cbranch_execnz .LBB649_244
; %bb.171:
	s_and_not1_saveexec_b32 s0, s16
	s_cbranch_execnz .LBB649_260
.LBB649_172:
	s_or_b32 exec_lo, exec_lo, s0
	s_delay_alu instid0(SALU_CYCLE_1)
	s_and_b32 exec_lo, exec_lo, s17
	s_cbranch_execz .LBB649_174
.LBB649_173:
	v_sub_nc_u32_e32 v3, v15, v3
	s_delay_alu instid0(VALU_DEP_1)
	v_lshlrev_b32_e32 v3, 1, v3
	ds_store_b16 v3, v16
.LBB649_174:
	s_or_b32 exec_lo, exec_lo, s15
	s_delay_alu instid0(SALU_CYCLE_1)
	s_mov_b32 s1, exec_lo
	s_waitcnt lgkmcnt(0)
	s_waitcnt_vscnt null, 0x0
	s_barrier
	buffer_gl0_inv
	v_cmpx_lt_u32_e64 v0, v4
	s_cbranch_execz .LBB649_189
; %bb.175:
	v_add_nc_u32_e32 v8, v5, v1
	s_mov_b32 s0, -1
	s_mov_b32 s3, exec_lo
	s_delay_alu instid0(VALU_DEP_1) | instskip(NEXT) | instid1(VALU_DEP_1)
	v_xad_u32 v1, v0, -1, v8
	v_sub_nc_u32_e32 v3, v1, v2
	v_mov_b32_e32 v1, v0
	s_delay_alu instid0(VALU_DEP_2)
	v_cmp_gt_u32_e64 s2, 0x1b00, v3
	v_cmpx_lt_u32_e32 0x1aff, v3
	s_cbranch_execz .LBB649_186
; %bb.176:
	v_sub_nc_u32_e32 v1, v0, v8
	s_delay_alu instid0(VALU_DEP_1) | instskip(NEXT) | instid1(VALU_DEP_1)
	v_add_nc_u32_e32 v1, v1, v2
	v_or_b32_e32 v1, 0xff, v1
	s_delay_alu instid0(VALU_DEP_1)
	v_cmp_ge_u32_e32 vcc_lo, v1, v0
	v_mov_b32_e32 v1, v0
	s_and_saveexec_b32 s4, vcc_lo
	s_cbranch_execz .LBB649_185
; %bb.177:
	v_lshrrev_b32_e32 v15, 8, v3
	v_or_b32_e32 v1, 0x100, v0
	v_lshlrev_b32_e32 v16, 1, v0
	s_delay_alu instid0(VALU_DEP_3) | instskip(NEXT) | instid1(VALU_DEP_1)
	v_add_nc_u32_e32 v2, -1, v15
	v_lshrrev_b32_e32 v3, 1, v2
	v_mov_b32_e32 v20, 0
	v_cmp_lt_u32_e32 vcc_lo, 13, v2
	s_delay_alu instid0(VALU_DEP_3)
	v_add_nc_u32_e32 v17, 1, v3
	v_dual_mov_b32 v3, v1 :: v_dual_mov_b32 v2, v0
	s_and_saveexec_b32 s0, vcc_lo
	s_cbranch_execz .LBB649_181
; %bb.178:
	s_delay_alu instid0(VALU_DEP_2)
	v_dual_mov_b32 v9, 0 :: v_dual_and_b32 v18, -8, v17
	v_mov_b32_e32 v19, v16
	v_dual_mov_b32 v3, v1 :: v_dual_mov_b32 v2, v0
	s_mov_b32 s5, 0
	s_mov_b32 s6, 0
.LBB649_179:                            ; =>This Inner Loop Header: Depth=1
	s_delay_alu instid0(VALU_DEP_1) | instskip(SKIP_2) | instid1(VALU_DEP_3)
	v_dual_mov_b32 v8, v2 :: v_dual_add_nc_u32 v21, 0x200, v3
	v_add_nc_u32_e32 v18, -8, v18
	v_dual_mov_b32 v22, v9 :: v_dual_add_nc_u32 v23, 0x400, v3
	v_lshlrev_b64 v[35:36], 1, v[8:9]
	v_dual_mov_b32 v24, v9 :: v_dual_add_nc_u32 v25, 0x600, v3
	s_delay_alu instid0(VALU_DEP_4) | instskip(NEXT) | instid1(VALU_DEP_4)
	v_cmp_eq_u32_e32 vcc_lo, 0, v18
	v_lshlrev_b64 v[21:22], 1, v[21:22]
	v_dual_mov_b32 v26, v9 :: v_dual_add_nc_u32 v27, 0x800, v3
	s_add_i32 s6, s6, 16
	v_lshlrev_b64 v[23:24], 1, v[23:24]
	s_or_b32 s5, vcc_lo, s5
	v_add_co_u32 v35, vcc_lo, v6, v35
	v_dual_mov_b32 v28, v9 :: v_dual_add_nc_u32 v29, 0xa00, v3
	v_add_co_ci_u32_e32 v36, vcc_lo, v12, v36, vcc_lo
	v_lshlrev_b64 v[25:26], 1, v[25:26]
	v_add_co_u32 v21, vcc_lo, v6, v21
	v_dual_mov_b32 v30, v9 :: v_dual_add_nc_u32 v31, 0xc00, v3
	v_add_co_ci_u32_e32 v22, vcc_lo, v12, v22, vcc_lo
	v_lshlrev_b64 v[27:28], 1, v[27:28]
	v_add_co_u32 v23, vcc_lo, v6, v23
	v_dual_mov_b32 v32, v9 :: v_dual_add_nc_u32 v33, 0xe00, v3
	v_add_co_ci_u32_e32 v24, vcc_lo, v12, v24, vcc_lo
	v_lshlrev_b64 v[29:30], 1, v[29:30]
	v_add_co_u32 v25, vcc_lo, v6, v25
	v_mov_b32_e32 v34, v9
	v_mov_b32_e32 v8, v3
	v_add_co_ci_u32_e32 v26, vcc_lo, v12, v26, vcc_lo
	v_lshlrev_b64 v[31:32], 1, v[31:32]
	v_add_co_u32 v27, vcc_lo, v6, v27
	ds_load_u16 v1, v19
	ds_load_u16 v41, v19 offset:512
	ds_load_u16 v42, v19 offset:1024
	;; [unrolled: 1-line block ×7, first 2 shown]
	v_add_co_ci_u32_e32 v28, vcc_lo, v12, v28, vcc_lo
	ds_load_u16 v48, v19 offset:4096
	ds_load_u16 v49, v19 offset:4608
	;; [unrolled: 1-line block ×8, first 2 shown]
	v_add_nc_u32_e32 v19, 0x2000, v19
	v_lshlrev_b64 v[33:34], 1, v[33:34]
	v_add_co_u32 v29, vcc_lo, v6, v29
	v_lshlrev_b64 v[37:38], 1, v[8:9]
	v_add_nc_u32_e32 v8, 0x200, v2
	v_add_co_ci_u32_e32 v30, vcc_lo, v12, v30, vcc_lo
	v_add_co_u32 v31, vcc_lo, v6, v31
	v_add_co_ci_u32_e32 v32, vcc_lo, v12, v32, vcc_lo
	v_add_co_u32 v33, vcc_lo, v6, v33
	v_lshlrev_b64 v[39:40], 1, v[8:9]
	v_add_nc_u32_e32 v8, 0x400, v2
	v_add_co_ci_u32_e32 v34, vcc_lo, v12, v34, vcc_lo
	v_add_co_u32 v37, vcc_lo, v6, v37
	v_add_co_ci_u32_e32 v38, vcc_lo, v12, v38, vcc_lo
	s_waitcnt lgkmcnt(15)
	global_store_b16 v[35:36], v1, off
	v_lshlrev_b64 v[35:36], 1, v[8:9]
	v_add_nc_u32_e32 v8, 0x600, v2
	v_add_co_u32 v39, vcc_lo, v6, v39
	v_add_co_ci_u32_e32 v40, vcc_lo, v12, v40, vcc_lo
	s_waitcnt lgkmcnt(14)
	global_store_b16 v[37:38], v41, off
	v_lshlrev_b64 v[37:38], 1, v[8:9]
	v_add_nc_u32_e32 v8, 0x800, v2
	s_waitcnt lgkmcnt(13)
	global_store_b16 v[39:40], v42, off
	s_waitcnt lgkmcnt(12)
	global_store_b16 v[21:22], v43, off
	v_add_co_u32 v21, vcc_lo, v6, v35
	v_add_co_ci_u32_e32 v22, vcc_lo, v12, v36, vcc_lo
	v_lshlrev_b64 v[35:36], 1, v[8:9]
	v_add_nc_u32_e32 v8, 0xa00, v2
	v_add_co_u32 v37, vcc_lo, v6, v37
	v_add_co_ci_u32_e32 v38, vcc_lo, v12, v38, vcc_lo
	s_waitcnt lgkmcnt(11)
	global_store_b16 v[21:22], v44, off
	s_waitcnt lgkmcnt(10)
	global_store_b16 v[23:24], v45, off
	v_lshlrev_b64 v[21:22], 1, v[8:9]
	v_add_nc_u32_e32 v8, 0xc00, v2
	v_add_co_u32 v23, vcc_lo, v6, v35
	s_waitcnt lgkmcnt(9)
	global_store_b16 v[37:38], v46, off
	s_waitcnt lgkmcnt(8)
	global_store_b16 v[25:26], v47, off
	v_add_co_ci_u32_e32 v24, vcc_lo, v12, v36, vcc_lo
	v_lshlrev_b64 v[25:26], 1, v[8:9]
	v_add_nc_u32_e32 v8, 0xe00, v2
	v_add_co_u32 v21, vcc_lo, v6, v21
	v_add_co_ci_u32_e32 v22, vcc_lo, v12, v22, vcc_lo
	s_waitcnt lgkmcnt(7)
	global_store_b16 v[23:24], v48, off
	s_waitcnt lgkmcnt(6)
	global_store_b16 v[27:28], v49, off
	v_lshlrev_b64 v[23:24], 1, v[8:9]
	v_dual_mov_b32 v20, s6 :: v_dual_add_nc_u32 v3, 0x1000, v3
	s_waitcnt lgkmcnt(5)
	global_store_b16 v[21:22], v50, off
	v_add_co_u32 v21, vcc_lo, v6, v25
	v_add_nc_u32_e32 v2, 0x1000, v2
	v_add_co_ci_u32_e32 v22, vcc_lo, v12, v26, vcc_lo
	v_add_co_u32 v23, vcc_lo, v6, v23
	v_add_co_ci_u32_e32 v24, vcc_lo, v12, v24, vcc_lo
	s_waitcnt lgkmcnt(4)
	global_store_b16 v[29:30], v51, off
	s_waitcnt lgkmcnt(3)
	global_store_b16 v[21:22], v52, off
	;; [unrolled: 2-line block ×5, first 2 shown]
	s_and_not1_b32 exec_lo, exec_lo, s5
	s_cbranch_execnz .LBB649_179
; %bb.180:
	s_or_b32 exec_lo, exec_lo, s5
.LBB649_181:
	s_delay_alu instid0(SALU_CYCLE_1) | instskip(SKIP_3) | instid1(VALU_DEP_1)
	s_or_b32 exec_lo, exec_lo, s0
	v_and_b32_e32 v1, 7, v17
	s_mov_b32 s6, 0
	s_mov_b32 s5, exec_lo
	v_cmpx_ne_u32_e32 0, v1
	s_cbranch_execz .LBB649_184
; %bb.182:
	v_lshl_or_b32 v16, v20, 9, v16
	v_mov_b32_e32 v9, 0
	s_set_inst_prefetch_distance 0x1
	.p2align	6
.LBB649_183:                            ; =>This Inner Loop Header: Depth=1
	v_dual_mov_b32 v8, v2 :: v_dual_add_nc_u32 v1, -1, v1
	ds_load_u16 v21, v16
	ds_load_u16 v22, v16 offset:512
	v_add_nc_u32_e32 v2, 0x200, v2
	v_add_nc_u32_e32 v16, 0x400, v16
	v_lshlrev_b64 v[17:18], 1, v[8:9]
	v_dual_mov_b32 v8, v3 :: v_dual_add_nc_u32 v3, 0x200, v3
	v_cmp_eq_u32_e32 vcc_lo, 0, v1
	s_delay_alu instid0(VALU_DEP_2) | instskip(NEXT) | instid1(VALU_DEP_4)
	v_lshlrev_b64 v[19:20], 1, v[8:9]
	v_add_co_u32 v17, s0, v6, v17
	s_delay_alu instid0(VALU_DEP_1) | instskip(SKIP_1) | instid1(VALU_DEP_3)
	v_add_co_ci_u32_e64 v18, s0, v12, v18, s0
	s_or_b32 s6, vcc_lo, s6
	v_add_co_u32 v19, s0, v6, v19
	s_delay_alu instid0(VALU_DEP_1)
	v_add_co_ci_u32_e64 v20, s0, v12, v20, s0
	s_waitcnt lgkmcnt(1)
	global_store_b16 v[17:18], v21, off
	s_waitcnt lgkmcnt(0)
	global_store_b16 v[19:20], v22, off
	s_and_not1_b32 exec_lo, exec_lo, s6
	s_cbranch_execnz .LBB649_183
.LBB649_184:
	s_set_inst_prefetch_distance 0x2
	s_or_b32 exec_lo, exec_lo, s5
	v_add_nc_u32_e32 v1, 1, v15
	s_delay_alu instid0(VALU_DEP_1) | instskip(NEXT) | instid1(VALU_DEP_1)
	v_and_b32_e32 v2, 0x1fffffe, v1
	v_cmp_ne_u32_e32 vcc_lo, v1, v2
	v_lshl_or_b32 v1, v2, 8, v0
	s_or_not1_b32 s0, vcc_lo, exec_lo
.LBB649_185:
	s_or_b32 exec_lo, exec_lo, s4
	s_delay_alu instid0(SALU_CYCLE_1) | instskip(SKIP_1) | instid1(SALU_CYCLE_1)
	s_and_not1_b32 s2, s2, exec_lo
	s_and_b32 s0, s0, exec_lo
	s_or_b32 s2, s2, s0
.LBB649_186:
	s_or_b32 exec_lo, exec_lo, s3
	s_delay_alu instid0(VALU_DEP_2) | instid1(SALU_CYCLE_1)
	s_and_b32 exec_lo, exec_lo, s2
	s_cbranch_execz .LBB649_189
; %bb.187:
	v_dual_mov_b32 v2, 0 :: v_dual_lshlrev_b32 v3, 1, v1
	s_mov_b32 s2, 0
	.p2align	6
.LBB649_188:                            ; =>This Inner Loop Header: Depth=1
	ds_load_u16 v15, v3
	v_lshlrev_b64 v[8:9], 1, v[1:2]
	v_add_nc_u32_e32 v1, 0x100, v1
	v_add_nc_u32_e32 v3, 0x200, v3
	s_delay_alu instid0(VALU_DEP_2) | instskip(NEXT) | instid1(VALU_DEP_4)
	v_cmp_ge_u32_e32 vcc_lo, v1, v4
	v_add_co_u32 v8, s0, v6, v8
	s_delay_alu instid0(VALU_DEP_1)
	v_add_co_ci_u32_e64 v9, s0, v12, v9, s0
	s_or_b32 s2, vcc_lo, s2
	s_waitcnt lgkmcnt(0)
	global_store_b16 v[8:9], v15, off
	s_and_not1_b32 exec_lo, exec_lo, s2
	s_cbranch_execnz .LBB649_188
.LBB649_189:
	s_or_b32 exec_lo, exec_lo, s1
	v_cmp_eq_u32_e32 vcc_lo, 0xff, v0
	s_and_b32 s0, vcc_lo, s20
	s_delay_alu instid0(SALU_CYCLE_1)
	s_and_saveexec_b32 s1, s0
	s_cbranch_execz .LBB649_162
.LBB649_190:
	v_add_co_u32 v0, s0, v5, v7
	s_delay_alu instid0(VALU_DEP_1) | instskip(SKIP_1) | instid1(VALU_DEP_3)
	v_add_co_ci_u32_e64 v1, null, 0, 0, s0
	v_mov_b32_e32 v6, 0
	v_add_co_u32 v0, vcc_lo, v0, v13
	s_delay_alu instid0(VALU_DEP_3)
	v_add_co_ci_u32_e32 v1, vcc_lo, v1, v14, vcc_lo
	s_cmpk_lg_i32 s21, 0xf00
	global_store_b64 v6, v[0:1], s[38:39]
	s_cbranch_scc1 .LBB649_162
; %bb.191:
	v_lshlrev_b64 v[0:1], 1, v[5:6]
	s_delay_alu instid0(VALU_DEP_1) | instskip(NEXT) | instid1(VALU_DEP_2)
	v_add_co_u32 v0, vcc_lo, v10, v0
	v_add_co_ci_u32_e32 v1, vcc_lo, v11, v1, vcc_lo
	global_store_b16 v[0:1], v62, off offset:-2
	s_nop 0
	s_sendmsg sendmsg(MSG_DEALLOC_VGPRS)
	s_endpgm
.LBB649_192:
	s_or_b32 exec_lo, exec_lo, s1
	v_mov_b32_e32 v63, s31
	s_and_saveexec_b32 s1, s30
	s_cbranch_execnz .LBB649_84
	s_branch .LBB649_85
.LBB649_193:
	s_and_saveexec_b32 s17, s14
	s_cbranch_execnz .LBB649_261
; %bb.194:
	s_or_b32 exec_lo, exec_lo, s17
	s_and_saveexec_b32 s17, s13
	s_cbranch_execnz .LBB649_262
.LBB649_195:
	s_or_b32 exec_lo, exec_lo, s17
	s_and_saveexec_b32 s17, s12
	s_cbranch_execnz .LBB649_263
.LBB649_196:
	s_or_b32 exec_lo, exec_lo, s17
	s_and_saveexec_b32 s17, s11
	s_cbranch_execnz .LBB649_264
.LBB649_197:
	s_or_b32 exec_lo, exec_lo, s17
	s_and_saveexec_b32 s17, s10
	s_cbranch_execnz .LBB649_265
.LBB649_198:
	s_or_b32 exec_lo, exec_lo, s17
	s_and_saveexec_b32 s17, s9
	s_cbranch_execnz .LBB649_266
.LBB649_199:
	s_or_b32 exec_lo, exec_lo, s17
	s_and_saveexec_b32 s17, s7
	s_cbranch_execnz .LBB649_267
.LBB649_200:
	s_or_b32 exec_lo, exec_lo, s17
	s_and_saveexec_b32 s17, s5
	s_cbranch_execnz .LBB649_268
.LBB649_201:
	s_or_b32 exec_lo, exec_lo, s17
	s_and_saveexec_b32 s17, s8
	s_cbranch_execnz .LBB649_269
.LBB649_202:
	s_or_b32 exec_lo, exec_lo, s17
	s_and_saveexec_b32 s17, s6
	s_cbranch_execnz .LBB649_270
.LBB649_203:
	s_or_b32 exec_lo, exec_lo, s17
	s_and_saveexec_b32 s17, s4
	s_cbranch_execnz .LBB649_271
.LBB649_204:
	s_or_b32 exec_lo, exec_lo, s17
	s_and_saveexec_b32 s17, s3
	s_cbranch_execnz .LBB649_272
.LBB649_205:
	s_or_b32 exec_lo, exec_lo, s17
	s_and_saveexec_b32 s17, s2
	s_cbranch_execnz .LBB649_273
.LBB649_206:
	s_or_b32 exec_lo, exec_lo, s17
	s_and_saveexec_b32 s17, s1
	s_cbranch_execz .LBB649_208
.LBB649_207:
	v_sub_nc_u32_e32 v66, v25, v7
	v_mov_b32_e32 v67, 0
	s_delay_alu instid0(VALU_DEP_1) | instskip(NEXT) | instid1(VALU_DEP_1)
	v_lshlrev_b64 v[66:67], 1, v[66:67]
	v_add_co_u32 v66, vcc_lo, v6, v66
	s_delay_alu instid0(VALU_DEP_2)
	v_add_co_ci_u32_e32 v67, vcc_lo, v64, v67, vcc_lo
	global_store_b16 v[66:67], v12, off
.LBB649_208:
	s_or_b32 exec_lo, exec_lo, s17
	s_delay_alu instid0(SALU_CYCLE_1)
	s_and_b32 s17, s0, exec_lo
	s_and_not1_saveexec_b32 s15, s15
	s_cbranch_execz .LBB649_134
.LBB649_209:
	v_sub_nc_u32_e32 v66, v41, v7
	v_mov_b32_e32 v67, 0
	s_or_b32 s17, s17, exec_lo
	s_delay_alu instid0(VALU_DEP_1) | instskip(SKIP_1) | instid1(VALU_DEP_1)
	v_lshlrev_b64 v[68:69], 1, v[66:67]
	v_sub_nc_u32_e32 v66, v35, v7
	v_lshlrev_b64 v[70:71], 1, v[66:67]
	v_sub_nc_u32_e32 v66, v37, v7
	s_delay_alu instid0(VALU_DEP_4) | instskip(SKIP_1) | instid1(VALU_DEP_3)
	v_add_co_u32 v68, vcc_lo, v6, v68
	v_add_co_ci_u32_e32 v69, vcc_lo, v64, v69, vcc_lo
	v_lshlrev_b64 v[72:73], 1, v[66:67]
	v_sub_nc_u32_e32 v66, v33, v7
	v_add_co_u32 v70, vcc_lo, v6, v70
	v_add_co_ci_u32_e32 v71, vcc_lo, v64, v71, vcc_lo
	global_store_b16 v[68:69], v51, off
	v_lshlrev_b64 v[68:69], 1, v[66:67]
	v_sub_nc_u32_e32 v66, v21, v7
	global_store_b16 v[70:71], v1, off
	v_add_co_u32 v70, vcc_lo, v6, v72
	v_add_co_ci_u32_e32 v71, vcc_lo, v64, v73, vcc_lo
	v_lshlrev_b64 v[72:73], 1, v[66:67]
	v_sub_nc_u32_e32 v66, v17, v7
	v_add_co_u32 v68, vcc_lo, v6, v68
	v_add_co_ci_u32_e32 v69, vcc_lo, v64, v69, vcc_lo
	s_delay_alu instid0(VALU_DEP_3) | instskip(SKIP_3) | instid1(VALU_DEP_3)
	v_lshlrev_b64 v[74:75], 1, v[66:67]
	v_sub_nc_u32_e32 v66, v19, v7
	v_add_co_u32 v72, vcc_lo, v6, v72
	v_add_co_ci_u32_e32 v73, vcc_lo, v64, v73, vcc_lo
	v_lshlrev_b64 v[76:77], 1, v[66:67]
	v_sub_nc_u32_e32 v66, v39, v7
	v_add_co_u32 v74, vcc_lo, v6, v74
	v_add_co_ci_u32_e32 v75, vcc_lo, v64, v75, vcc_lo
	s_clause 0x3
	global_store_d16_hi_b16 v[70:71], v1, off
	global_store_b16 v[68:69], v2, off
	global_store_d16_hi_b16 v[72:73], v2, off
	global_store_b16 v[74:75], v3, off
	v_lshlrev_b64 v[68:69], 1, v[66:67]
	v_sub_nc_u32_e32 v66, v43, v7
	v_add_co_u32 v70, vcc_lo, v6, v76
	v_add_co_ci_u32_e32 v71, vcc_lo, v64, v77, vcc_lo
	s_delay_alu instid0(VALU_DEP_3) | instskip(SKIP_3) | instid1(VALU_DEP_3)
	v_lshlrev_b64 v[72:73], 1, v[66:67]
	v_sub_nc_u32_e32 v66, v31, v7
	v_add_co_u32 v68, vcc_lo, v6, v68
	v_add_co_ci_u32_e32 v69, vcc_lo, v64, v69, vcc_lo
	v_lshlrev_b64 v[74:75], 1, v[66:67]
	v_sub_nc_u32_e32 v66, v29, v7
	v_add_co_u32 v72, vcc_lo, v6, v72
	v_add_co_ci_u32_e32 v73, vcc_lo, v64, v73, vcc_lo
	s_delay_alu instid0(VALU_DEP_3)
	v_lshlrev_b64 v[76:77], 1, v[66:67]
	v_sub_nc_u32_e32 v66, v23, v7
	v_add_co_u32 v74, vcc_lo, v6, v74
	v_add_co_ci_u32_e32 v75, vcc_lo, v64, v75, vcc_lo
	s_clause 0x3
	global_store_d16_hi_b16 v[70:71], v3, off
	global_store_b16 v[68:69], v4, off
	global_store_d16_hi_b16 v[72:73], v4, off
	global_store_b16 v[74:75], v10, off
	v_lshlrev_b64 v[68:69], 1, v[66:67]
	v_sub_nc_u32_e32 v66, v27, v7
	v_add_co_u32 v70, vcc_lo, v6, v76
	v_add_co_ci_u32_e32 v71, vcc_lo, v64, v77, vcc_lo
	s_delay_alu instid0(VALU_DEP_3) | instskip(SKIP_3) | instid1(VALU_DEP_3)
	v_lshlrev_b64 v[72:73], 1, v[66:67]
	v_sub_nc_u32_e32 v66, v25, v7
	v_add_co_u32 v68, vcc_lo, v6, v68
	v_add_co_ci_u32_e32 v69, vcc_lo, v64, v69, vcc_lo
	v_lshlrev_b64 v[66:67], 1, v[66:67]
	v_add_co_u32 v72, vcc_lo, v6, v72
	v_add_co_ci_u32_e32 v73, vcc_lo, v64, v73, vcc_lo
	s_clause 0x2
	global_store_d16_hi_b16 v[70:71], v10, off
	global_store_b16 v[68:69], v11, off
	global_store_d16_hi_b16 v[72:73], v11, off
	v_add_co_u32 v66, vcc_lo, v6, v66
	v_add_co_ci_u32_e32 v67, vcc_lo, v64, v67, vcc_lo
	global_store_b16 v[66:67], v12, off
	s_or_b32 exec_lo, exec_lo, s15
	s_delay_alu instid0(SALU_CYCLE_1)
	s_and_b32 exec_lo, exec_lo, s17
	s_cbranch_execnz .LBB649_135
	s_branch .LBB649_136
.LBB649_210:
	s_and_saveexec_b32 s17, s14
	s_cbranch_execnz .LBB649_274
; %bb.211:
	s_or_b32 exec_lo, exec_lo, s17
	s_and_saveexec_b32 s14, s13
	s_cbranch_execnz .LBB649_275
.LBB649_212:
	s_or_b32 exec_lo, exec_lo, s14
	s_and_saveexec_b32 s13, s12
	s_cbranch_execnz .LBB649_276
.LBB649_213:
	s_or_b32 exec_lo, exec_lo, s13
	s_and_saveexec_b32 s12, s11
	s_cbranch_execnz .LBB649_277
.LBB649_214:
	s_or_b32 exec_lo, exec_lo, s12
	s_and_saveexec_b32 s11, s10
	s_cbranch_execnz .LBB649_278
.LBB649_215:
	s_or_b32 exec_lo, exec_lo, s11
	s_and_saveexec_b32 s10, s9
	s_cbranch_execnz .LBB649_279
.LBB649_216:
	s_or_b32 exec_lo, exec_lo, s10
	s_and_saveexec_b32 s9, s7
	s_cbranch_execnz .LBB649_280
.LBB649_217:
	s_or_b32 exec_lo, exec_lo, s9
	s_and_saveexec_b32 s7, s5
	s_cbranch_execnz .LBB649_281
.LBB649_218:
	s_or_b32 exec_lo, exec_lo, s7
	s_and_saveexec_b32 s5, s8
	s_cbranch_execnz .LBB649_282
.LBB649_219:
	s_or_b32 exec_lo, exec_lo, s5
	s_and_saveexec_b32 s5, s6
	s_cbranch_execnz .LBB649_283
.LBB649_220:
	s_or_b32 exec_lo, exec_lo, s5
	s_and_saveexec_b32 s5, s4
	s_cbranch_execnz .LBB649_284
.LBB649_221:
	s_or_b32 exec_lo, exec_lo, s5
	s_and_saveexec_b32 s4, s3
	s_cbranch_execnz .LBB649_285
.LBB649_222:
	s_or_b32 exec_lo, exec_lo, s4
	s_and_saveexec_b32 s3, s2
	s_cbranch_execnz .LBB649_286
.LBB649_223:
	s_or_b32 exec_lo, exec_lo, s3
	s_and_saveexec_b32 s2, s1
	s_cbranch_execz .LBB649_225
.LBB649_224:
	v_sub_nc_u32_e32 v1, v25, v7
	s_delay_alu instid0(VALU_DEP_1)
	v_lshlrev_b32_e32 v1, 1, v1
	ds_store_b16 v1, v12
.LBB649_225:
	s_or_b32 exec_lo, exec_lo, s2
	s_delay_alu instid0(SALU_CYCLE_1)
	s_and_b32 s17, s0, exec_lo
                                        ; implicit-def: $vgpr51
                                        ; implicit-def: $vgpr1
	s_and_not1_saveexec_b32 s0, s16
	s_cbranch_execz .LBB649_141
.LBB649_226:
	v_sub_nc_u32_e32 v65, v41, v7
	v_sub_nc_u32_e32 v66, v35, v7
	;; [unrolled: 1-line block ×4, first 2 shown]
	s_or_b32 s17, s17, exec_lo
	v_lshlrev_b32_e32 v65, 1, v65
	v_lshlrev_b32_e32 v66, 1, v66
	;; [unrolled: 1-line block ×4, first 2 shown]
	ds_store_b16 v65, v51
	ds_store_b16 v66, v1
	ds_store_b16_d16_hi v67, v1
	v_sub_nc_u32_e32 v1, v21, v7
	v_sub_nc_u32_e32 v51, v17, v7
	;; [unrolled: 1-line block ×5, first 2 shown]
	v_lshlrev_b32_e32 v1, 1, v1
	ds_store_b16 v68, v2
	v_lshlrev_b32_e32 v51, 1, v51
	v_lshlrev_b32_e32 v65, 1, v65
	;; [unrolled: 1-line block ×3, first 2 shown]
	ds_store_b16_d16_hi v1, v2
	v_lshlrev_b32_e32 v1, 1, v67
	v_sub_nc_u32_e32 v2, v31, v7
	ds_store_b16 v51, v3
	ds_store_b16_d16_hi v65, v3
	ds_store_b16 v66, v4
	v_sub_nc_u32_e32 v51, v25, v7
	v_sub_nc_u32_e32 v3, v23, v7
	ds_store_b16_d16_hi v1, v4
	v_sub_nc_u32_e32 v1, v29, v7
	v_lshlrev_b32_e32 v2, 1, v2
	v_sub_nc_u32_e32 v4, v27, v7
	v_lshlrev_b32_e32 v3, 1, v3
	s_delay_alu instid0(VALU_DEP_4)
	v_lshlrev_b32_e32 v1, 1, v1
	ds_store_b16 v2, v10
	v_lshlrev_b32_e32 v2, 1, v51
	v_lshlrev_b32_e32 v4, 1, v4
	ds_store_b16_d16_hi v1, v10
	ds_store_b16 v3, v11
	ds_store_b16_d16_hi v4, v11
	ds_store_b16 v2, v12
	s_or_b32 exec_lo, exec_lo, s0
	s_delay_alu instid0(SALU_CYCLE_1)
	s_and_b32 exec_lo, exec_lo, s17
	s_cbranch_execnz .LBB649_142
	s_branch .LBB649_143
.LBB649_227:
	s_and_saveexec_b32 s17, s14
	s_cbranch_execnz .LBB649_287
; %bb.228:
	s_or_b32 exec_lo, exec_lo, s17
	s_and_saveexec_b32 s17, s13
	s_cbranch_execnz .LBB649_288
.LBB649_229:
	s_or_b32 exec_lo, exec_lo, s17
	s_and_saveexec_b32 s17, s12
	s_cbranch_execnz .LBB649_289
.LBB649_230:
	s_or_b32 exec_lo, exec_lo, s17
	s_and_saveexec_b32 s17, s11
	s_cbranch_execnz .LBB649_290
.LBB649_231:
	s_or_b32 exec_lo, exec_lo, s17
	s_and_saveexec_b32 s17, s10
	s_cbranch_execnz .LBB649_291
.LBB649_232:
	s_or_b32 exec_lo, exec_lo, s17
	s_and_saveexec_b32 s17, s9
	s_cbranch_execnz .LBB649_292
.LBB649_233:
	s_or_b32 exec_lo, exec_lo, s17
	s_and_saveexec_b32 s17, s8
	s_cbranch_execnz .LBB649_293
.LBB649_234:
	s_or_b32 exec_lo, exec_lo, s17
	s_and_saveexec_b32 s17, s7
	s_cbranch_execnz .LBB649_294
.LBB649_235:
	s_or_b32 exec_lo, exec_lo, s17
	s_and_saveexec_b32 s17, s6
	s_cbranch_execnz .LBB649_295
.LBB649_236:
	s_or_b32 exec_lo, exec_lo, s17
	s_and_saveexec_b32 s17, s5
	s_cbranch_execnz .LBB649_296
.LBB649_237:
	s_or_b32 exec_lo, exec_lo, s17
	s_and_saveexec_b32 s17, s4
	s_cbranch_execnz .LBB649_297
.LBB649_238:
	s_or_b32 exec_lo, exec_lo, s17
	s_and_saveexec_b32 s17, s3
	s_cbranch_execnz .LBB649_298
.LBB649_239:
	s_or_b32 exec_lo, exec_lo, s17
	s_and_saveexec_b32 s17, s2
	s_cbranch_execnz .LBB649_299
.LBB649_240:
	s_or_b32 exec_lo, exec_lo, s17
	s_and_saveexec_b32 s17, s1
	s_cbranch_execz .LBB649_242
.LBB649_241:
	v_sub_nc_u32_e32 v45, v25, v3
	v_mov_b32_e32 v46, 0
	s_delay_alu instid0(VALU_DEP_1) | instskip(NEXT) | instid1(VALU_DEP_1)
	v_lshlrev_b64 v[45:46], 1, v[45:46]
	v_add_co_u32 v45, vcc_lo, v6, v45
	s_delay_alu instid0(VALU_DEP_2)
	v_add_co_ci_u32_e32 v46, vcc_lo, v12, v46, vcc_lo
	global_store_b16 v[45:46], v26, off
.LBB649_242:
	s_or_b32 exec_lo, exec_lo, s17
	s_delay_alu instid0(SALU_CYCLE_1)
	s_and_b32 s17, s0, exec_lo
	s_and_not1_saveexec_b32 s15, s15
	s_cbranch_execz .LBB649_166
.LBB649_243:
	v_sub_nc_u32_e32 v45, v41, v3
	v_mov_b32_e32 v46, 0
	s_or_b32 s17, s17, exec_lo
	s_delay_alu instid0(VALU_DEP_1) | instskip(SKIP_1) | instid1(VALU_DEP_1)
	v_lshlrev_b64 v[47:48], 1, v[45:46]
	v_sub_nc_u32_e32 v45, v35, v3
	v_lshlrev_b64 v[49:50], 1, v[45:46]
	v_sub_nc_u32_e32 v45, v37, v3
	s_delay_alu instid0(VALU_DEP_4) | instskip(SKIP_1) | instid1(VALU_DEP_3)
	v_add_co_u32 v47, vcc_lo, v6, v47
	v_add_co_ci_u32_e32 v48, vcc_lo, v12, v48, vcc_lo
	v_lshlrev_b64 v[51:52], 1, v[45:46]
	v_sub_nc_u32_e32 v45, v33, v3
	v_add_co_u32 v49, vcc_lo, v6, v49
	v_add_co_ci_u32_e32 v50, vcc_lo, v12, v50, vcc_lo
	global_store_b16 v[47:48], v42, off
	v_lshlrev_b64 v[47:48], 1, v[45:46]
	v_sub_nc_u32_e32 v45, v21, v3
	global_store_b16 v[49:50], v36, off
	v_add_co_u32 v49, vcc_lo, v6, v51
	v_add_co_ci_u32_e32 v50, vcc_lo, v12, v52, vcc_lo
	v_lshlrev_b64 v[51:52], 1, v[45:46]
	v_sub_nc_u32_e32 v45, v17, v3
	v_add_co_u32 v47, vcc_lo, v6, v47
	v_add_co_ci_u32_e32 v48, vcc_lo, v12, v48, vcc_lo
	s_delay_alu instid0(VALU_DEP_3) | instskip(SKIP_3) | instid1(VALU_DEP_3)
	v_lshlrev_b64 v[53:54], 1, v[45:46]
	v_sub_nc_u32_e32 v45, v19, v3
	v_add_co_u32 v51, vcc_lo, v6, v51
	v_add_co_ci_u32_e32 v52, vcc_lo, v12, v52, vcc_lo
	v_lshlrev_b64 v[55:56], 1, v[45:46]
	v_sub_nc_u32_e32 v45, v39, v3
	v_add_co_u32 v53, vcc_lo, v6, v53
	v_add_co_ci_u32_e32 v54, vcc_lo, v12, v54, vcc_lo
	s_clause 0x3
	global_store_b16 v[49:50], v38, off
	global_store_b16 v[47:48], v34, off
	global_store_b16 v[51:52], v22, off
	global_store_b16 v[53:54], v18, off
	v_lshlrev_b64 v[47:48], 1, v[45:46]
	v_sub_nc_u32_e32 v45, v43, v3
	v_add_co_u32 v49, vcc_lo, v6, v55
	v_add_co_ci_u32_e32 v50, vcc_lo, v12, v56, vcc_lo
	s_delay_alu instid0(VALU_DEP_3) | instskip(SKIP_3) | instid1(VALU_DEP_3)
	v_lshlrev_b64 v[51:52], 1, v[45:46]
	v_sub_nc_u32_e32 v45, v31, v3
	v_add_co_u32 v47, vcc_lo, v6, v47
	v_add_co_ci_u32_e32 v48, vcc_lo, v12, v48, vcc_lo
	v_lshlrev_b64 v[53:54], 1, v[45:46]
	v_sub_nc_u32_e32 v45, v29, v3
	v_add_co_u32 v51, vcc_lo, v6, v51
	v_add_co_ci_u32_e32 v52, vcc_lo, v12, v52, vcc_lo
	s_delay_alu instid0(VALU_DEP_3)
	v_lshlrev_b64 v[55:56], 1, v[45:46]
	v_sub_nc_u32_e32 v45, v23, v3
	v_add_co_u32 v53, vcc_lo, v6, v53
	v_add_co_ci_u32_e32 v54, vcc_lo, v12, v54, vcc_lo
	s_clause 0x3
	global_store_b16 v[49:50], v20, off
	global_store_b16 v[47:48], v40, off
	;; [unrolled: 1-line block ×4, first 2 shown]
	v_lshlrev_b64 v[47:48], 1, v[45:46]
	v_sub_nc_u32_e32 v45, v27, v3
	v_add_co_u32 v49, vcc_lo, v6, v55
	v_add_co_ci_u32_e32 v50, vcc_lo, v12, v56, vcc_lo
	s_delay_alu instid0(VALU_DEP_3) | instskip(SKIP_3) | instid1(VALU_DEP_3)
	v_lshlrev_b64 v[51:52], 1, v[45:46]
	v_sub_nc_u32_e32 v45, v25, v3
	v_add_co_u32 v47, vcc_lo, v6, v47
	v_add_co_ci_u32_e32 v48, vcc_lo, v12, v48, vcc_lo
	v_lshlrev_b64 v[45:46], 1, v[45:46]
	v_add_co_u32 v51, vcc_lo, v6, v51
	v_add_co_ci_u32_e32 v52, vcc_lo, v12, v52, vcc_lo
	s_clause 0x2
	global_store_b16 v[49:50], v30, off
	global_store_b16 v[47:48], v24, off
	;; [unrolled: 1-line block ×3, first 2 shown]
	v_add_co_u32 v45, vcc_lo, v6, v45
	v_add_co_ci_u32_e32 v46, vcc_lo, v12, v46, vcc_lo
	global_store_b16 v[45:46], v26, off
	s_or_b32 exec_lo, exec_lo, s15
	s_delay_alu instid0(SALU_CYCLE_1)
	s_and_b32 exec_lo, exec_lo, s17
	s_cbranch_execnz .LBB649_167
	s_branch .LBB649_168
.LBB649_244:
	s_and_saveexec_b32 s17, s14
	s_cbranch_execnz .LBB649_300
; %bb.245:
	s_or_b32 exec_lo, exec_lo, s17
	s_and_saveexec_b32 s14, s13
	s_cbranch_execnz .LBB649_301
.LBB649_246:
	s_or_b32 exec_lo, exec_lo, s14
	s_and_saveexec_b32 s13, s12
	s_cbranch_execnz .LBB649_302
.LBB649_247:
	s_or_b32 exec_lo, exec_lo, s13
	s_and_saveexec_b32 s12, s11
	s_cbranch_execnz .LBB649_303
.LBB649_248:
	s_or_b32 exec_lo, exec_lo, s12
	s_and_saveexec_b32 s11, s10
	s_cbranch_execnz .LBB649_304
.LBB649_249:
	s_or_b32 exec_lo, exec_lo, s11
	s_and_saveexec_b32 s10, s9
	s_cbranch_execnz .LBB649_305
.LBB649_250:
	s_or_b32 exec_lo, exec_lo, s10
	s_and_saveexec_b32 s9, s8
	s_cbranch_execnz .LBB649_306
.LBB649_251:
	s_or_b32 exec_lo, exec_lo, s9
	s_and_saveexec_b32 s8, s7
	s_cbranch_execnz .LBB649_307
.LBB649_252:
	s_or_b32 exec_lo, exec_lo, s8
	s_and_saveexec_b32 s7, s6
	s_cbranch_execnz .LBB649_308
.LBB649_253:
	s_or_b32 exec_lo, exec_lo, s7
	s_and_saveexec_b32 s6, s5
	s_cbranch_execnz .LBB649_309
.LBB649_254:
	s_or_b32 exec_lo, exec_lo, s6
	s_and_saveexec_b32 s5, s4
	s_cbranch_execnz .LBB649_310
.LBB649_255:
	s_or_b32 exec_lo, exec_lo, s5
	s_and_saveexec_b32 s4, s3
	s_cbranch_execnz .LBB649_311
.LBB649_256:
	s_or_b32 exec_lo, exec_lo, s4
	s_and_saveexec_b32 s3, s2
	s_cbranch_execnz .LBB649_312
.LBB649_257:
	s_or_b32 exec_lo, exec_lo, s3
	s_and_saveexec_b32 s2, s1
	s_cbranch_execz .LBB649_259
.LBB649_258:
	v_sub_nc_u32_e32 v8, v25, v3
	s_delay_alu instid0(VALU_DEP_1)
	v_lshlrev_b32_e32 v8, 1, v8
	ds_store_b16 v8, v26
.LBB649_259:
	s_or_b32 exec_lo, exec_lo, s2
	s_delay_alu instid0(SALU_CYCLE_1)
	s_and_b32 s17, s0, exec_lo
                                        ; implicit-def: $vgpr41_vgpr42
                                        ; implicit-def: $vgpr35_vgpr36
                                        ; implicit-def: $vgpr37_vgpr38
                                        ; implicit-def: $vgpr33_vgpr34
                                        ; implicit-def: $vgpr21_vgpr22
                                        ; implicit-def: $vgpr17_vgpr18
                                        ; implicit-def: $vgpr19_vgpr20
                                        ; implicit-def: $vgpr39_vgpr40
                                        ; implicit-def: $vgpr43_vgpr44
                                        ; implicit-def: $vgpr31_vgpr32
                                        ; implicit-def: $vgpr29_vgpr30
                                        ; implicit-def: $vgpr23_vgpr24
                                        ; implicit-def: $vgpr27_vgpr28
                                        ; implicit-def: $vgpr25_vgpr26
	s_and_not1_saveexec_b32 s0, s16
	s_cbranch_execz .LBB649_172
.LBB649_260:
	v_sub_nc_u32_e32 v8, v41, v3
	v_sub_nc_u32_e32 v9, v35, v3
	;; [unrolled: 1-line block ×4, first 2 shown]
	s_or_b32 s17, s17, exec_lo
	v_lshlrev_b32_e32 v8, 1, v8
	v_lshlrev_b32_e32 v9, 1, v9
	;; [unrolled: 1-line block ×4, first 2 shown]
	ds_store_b16 v8, v42
	ds_store_b16 v9, v36
	;; [unrolled: 1-line block ×3, first 2 shown]
	v_sub_nc_u32_e32 v8, v21, v3
	v_sub_nc_u32_e32 v9, v17, v3
	;; [unrolled: 1-line block ×5, first 2 shown]
	v_lshlrev_b32_e32 v8, 1, v8
	v_lshlrev_b32_e32 v9, 1, v9
	;; [unrolled: 1-line block ×4, first 2 shown]
	ds_store_b16 v33, v34
	ds_store_b16 v8, v22
	v_lshlrev_b32_e32 v8, 1, v21
	ds_store_b16 v9, v18
	ds_store_b16 v17, v20
	;; [unrolled: 1-line block ×3, first 2 shown]
	v_sub_nc_u32_e32 v9, v31, v3
	v_sub_nc_u32_e32 v19, v25, v3
	;; [unrolled: 1-line block ×3, first 2 shown]
	ds_store_b16 v8, v44
	v_sub_nc_u32_e32 v8, v29, v3
	v_lshlrev_b32_e32 v9, 1, v9
	v_sub_nc_u32_e32 v18, v27, v3
	v_lshlrev_b32_e32 v17, 1, v17
	s_delay_alu instid0(VALU_DEP_4)
	v_lshlrev_b32_e32 v8, 1, v8
	ds_store_b16 v9, v32
	v_lshlrev_b32_e32 v9, 1, v19
	v_lshlrev_b32_e32 v18, 1, v18
	ds_store_b16 v8, v30
	ds_store_b16 v17, v24
	;; [unrolled: 1-line block ×4, first 2 shown]
	s_or_b32 exec_lo, exec_lo, s0
	s_delay_alu instid0(SALU_CYCLE_1)
	s_and_b32 exec_lo, exec_lo, s17
	s_cbranch_execnz .LBB649_173
	s_branch .LBB649_174
.LBB649_261:
	v_sub_nc_u32_e32 v66, v41, v7
	v_mov_b32_e32 v67, 0
	s_delay_alu instid0(VALU_DEP_1) | instskip(NEXT) | instid1(VALU_DEP_1)
	v_lshlrev_b64 v[66:67], 1, v[66:67]
	v_add_co_u32 v66, vcc_lo, v6, v66
	s_delay_alu instid0(VALU_DEP_2)
	v_add_co_ci_u32_e32 v67, vcc_lo, v64, v67, vcc_lo
	global_store_b16 v[66:67], v51, off
	s_or_b32 exec_lo, exec_lo, s17
	s_and_saveexec_b32 s17, s13
	s_cbranch_execz .LBB649_195
.LBB649_262:
	v_sub_nc_u32_e32 v66, v35, v7
	v_mov_b32_e32 v67, 0
	s_delay_alu instid0(VALU_DEP_1) | instskip(NEXT) | instid1(VALU_DEP_1)
	v_lshlrev_b64 v[66:67], 1, v[66:67]
	v_add_co_u32 v66, vcc_lo, v6, v66
	s_delay_alu instid0(VALU_DEP_2)
	v_add_co_ci_u32_e32 v67, vcc_lo, v64, v67, vcc_lo
	global_store_b16 v[66:67], v1, off
	s_or_b32 exec_lo, exec_lo, s17
	s_and_saveexec_b32 s17, s12
	s_cbranch_execz .LBB649_196
.LBB649_263:
	v_sub_nc_u32_e32 v66, v37, v7
	v_mov_b32_e32 v67, 0
	s_delay_alu instid0(VALU_DEP_1) | instskip(NEXT) | instid1(VALU_DEP_1)
	v_lshlrev_b64 v[66:67], 1, v[66:67]
	v_add_co_u32 v66, vcc_lo, v6, v66
	s_delay_alu instid0(VALU_DEP_2)
	v_add_co_ci_u32_e32 v67, vcc_lo, v64, v67, vcc_lo
	global_store_d16_hi_b16 v[66:67], v1, off
	s_or_b32 exec_lo, exec_lo, s17
	s_and_saveexec_b32 s17, s11
	s_cbranch_execz .LBB649_197
.LBB649_264:
	v_sub_nc_u32_e32 v66, v33, v7
	v_mov_b32_e32 v67, 0
	s_delay_alu instid0(VALU_DEP_1) | instskip(NEXT) | instid1(VALU_DEP_1)
	v_lshlrev_b64 v[66:67], 1, v[66:67]
	v_add_co_u32 v66, vcc_lo, v6, v66
	s_delay_alu instid0(VALU_DEP_2)
	v_add_co_ci_u32_e32 v67, vcc_lo, v64, v67, vcc_lo
	global_store_b16 v[66:67], v2, off
	s_or_b32 exec_lo, exec_lo, s17
	s_and_saveexec_b32 s17, s10
	s_cbranch_execz .LBB649_198
.LBB649_265:
	v_sub_nc_u32_e32 v66, v21, v7
	v_mov_b32_e32 v67, 0
	s_delay_alu instid0(VALU_DEP_1) | instskip(NEXT) | instid1(VALU_DEP_1)
	v_lshlrev_b64 v[66:67], 1, v[66:67]
	v_add_co_u32 v66, vcc_lo, v6, v66
	s_delay_alu instid0(VALU_DEP_2)
	v_add_co_ci_u32_e32 v67, vcc_lo, v64, v67, vcc_lo
	global_store_d16_hi_b16 v[66:67], v2, off
	s_or_b32 exec_lo, exec_lo, s17
	s_and_saveexec_b32 s17, s9
	s_cbranch_execz .LBB649_199
.LBB649_266:
	v_sub_nc_u32_e32 v66, v17, v7
	v_mov_b32_e32 v67, 0
	s_delay_alu instid0(VALU_DEP_1) | instskip(NEXT) | instid1(VALU_DEP_1)
	v_lshlrev_b64 v[66:67], 1, v[66:67]
	v_add_co_u32 v66, vcc_lo, v6, v66
	s_delay_alu instid0(VALU_DEP_2)
	v_add_co_ci_u32_e32 v67, vcc_lo, v64, v67, vcc_lo
	global_store_b16 v[66:67], v3, off
	s_or_b32 exec_lo, exec_lo, s17
	s_and_saveexec_b32 s17, s7
	s_cbranch_execz .LBB649_200
.LBB649_267:
	v_sub_nc_u32_e32 v66, v19, v7
	v_mov_b32_e32 v67, 0
	s_delay_alu instid0(VALU_DEP_1) | instskip(NEXT) | instid1(VALU_DEP_1)
	v_lshlrev_b64 v[66:67], 1, v[66:67]
	v_add_co_u32 v66, vcc_lo, v6, v66
	s_delay_alu instid0(VALU_DEP_2)
	v_add_co_ci_u32_e32 v67, vcc_lo, v64, v67, vcc_lo
	global_store_d16_hi_b16 v[66:67], v3, off
	s_or_b32 exec_lo, exec_lo, s17
	s_and_saveexec_b32 s17, s5
	s_cbranch_execz .LBB649_201
.LBB649_268:
	v_sub_nc_u32_e32 v66, v39, v7
	v_mov_b32_e32 v67, 0
	s_delay_alu instid0(VALU_DEP_1) | instskip(NEXT) | instid1(VALU_DEP_1)
	v_lshlrev_b64 v[66:67], 1, v[66:67]
	v_add_co_u32 v66, vcc_lo, v6, v66
	s_delay_alu instid0(VALU_DEP_2)
	v_add_co_ci_u32_e32 v67, vcc_lo, v64, v67, vcc_lo
	global_store_b16 v[66:67], v4, off
	s_or_b32 exec_lo, exec_lo, s17
	s_and_saveexec_b32 s17, s8
	s_cbranch_execz .LBB649_202
.LBB649_269:
	v_sub_nc_u32_e32 v66, v43, v7
	v_mov_b32_e32 v67, 0
	s_delay_alu instid0(VALU_DEP_1) | instskip(NEXT) | instid1(VALU_DEP_1)
	v_lshlrev_b64 v[66:67], 1, v[66:67]
	v_add_co_u32 v66, vcc_lo, v6, v66
	s_delay_alu instid0(VALU_DEP_2)
	v_add_co_ci_u32_e32 v67, vcc_lo, v64, v67, vcc_lo
	global_store_d16_hi_b16 v[66:67], v4, off
	s_or_b32 exec_lo, exec_lo, s17
	s_and_saveexec_b32 s17, s6
	s_cbranch_execz .LBB649_203
.LBB649_270:
	v_sub_nc_u32_e32 v66, v31, v7
	v_mov_b32_e32 v67, 0
	s_delay_alu instid0(VALU_DEP_1) | instskip(NEXT) | instid1(VALU_DEP_1)
	v_lshlrev_b64 v[66:67], 1, v[66:67]
	v_add_co_u32 v66, vcc_lo, v6, v66
	s_delay_alu instid0(VALU_DEP_2)
	v_add_co_ci_u32_e32 v67, vcc_lo, v64, v67, vcc_lo
	global_store_b16 v[66:67], v10, off
	s_or_b32 exec_lo, exec_lo, s17
	s_and_saveexec_b32 s17, s4
	s_cbranch_execz .LBB649_204
.LBB649_271:
	v_sub_nc_u32_e32 v66, v29, v7
	v_mov_b32_e32 v67, 0
	s_delay_alu instid0(VALU_DEP_1) | instskip(NEXT) | instid1(VALU_DEP_1)
	v_lshlrev_b64 v[66:67], 1, v[66:67]
	v_add_co_u32 v66, vcc_lo, v6, v66
	s_delay_alu instid0(VALU_DEP_2)
	v_add_co_ci_u32_e32 v67, vcc_lo, v64, v67, vcc_lo
	global_store_d16_hi_b16 v[66:67], v10, off
	s_or_b32 exec_lo, exec_lo, s17
	s_and_saveexec_b32 s17, s3
	s_cbranch_execz .LBB649_205
.LBB649_272:
	v_sub_nc_u32_e32 v66, v23, v7
	v_mov_b32_e32 v67, 0
	s_delay_alu instid0(VALU_DEP_1) | instskip(NEXT) | instid1(VALU_DEP_1)
	v_lshlrev_b64 v[66:67], 1, v[66:67]
	v_add_co_u32 v66, vcc_lo, v6, v66
	s_delay_alu instid0(VALU_DEP_2)
	v_add_co_ci_u32_e32 v67, vcc_lo, v64, v67, vcc_lo
	global_store_b16 v[66:67], v11, off
	s_or_b32 exec_lo, exec_lo, s17
	s_and_saveexec_b32 s17, s2
	s_cbranch_execz .LBB649_206
.LBB649_273:
	v_sub_nc_u32_e32 v66, v27, v7
	v_mov_b32_e32 v67, 0
	s_delay_alu instid0(VALU_DEP_1) | instskip(NEXT) | instid1(VALU_DEP_1)
	v_lshlrev_b64 v[66:67], 1, v[66:67]
	v_add_co_u32 v66, vcc_lo, v6, v66
	s_delay_alu instid0(VALU_DEP_2)
	v_add_co_ci_u32_e32 v67, vcc_lo, v64, v67, vcc_lo
	global_store_d16_hi_b16 v[66:67], v11, off
	s_or_b32 exec_lo, exec_lo, s17
	s_and_saveexec_b32 s17, s1
	s_cbranch_execnz .LBB649_207
	s_branch .LBB649_208
.LBB649_274:
	v_sub_nc_u32_e32 v65, v41, v7
	s_delay_alu instid0(VALU_DEP_1)
	v_lshlrev_b32_e32 v65, 1, v65
	ds_store_b16 v65, v51
	s_or_b32 exec_lo, exec_lo, s17
	s_and_saveexec_b32 s14, s13
	s_cbranch_execz .LBB649_212
.LBB649_275:
	v_sub_nc_u32_e32 v51, v35, v7
	s_delay_alu instid0(VALU_DEP_1)
	v_lshlrev_b32_e32 v51, 1, v51
	ds_store_b16 v51, v1
	s_or_b32 exec_lo, exec_lo, s14
	s_and_saveexec_b32 s13, s12
	s_cbranch_execz .LBB649_213
.LBB649_276:
	v_sub_nc_u32_e32 v51, v37, v7
	s_delay_alu instid0(VALU_DEP_1)
	v_lshlrev_b32_e32 v51, 1, v51
	ds_store_b16_d16_hi v51, v1
	s_or_b32 exec_lo, exec_lo, s13
	s_and_saveexec_b32 s12, s11
	s_cbranch_execz .LBB649_214
.LBB649_277:
	v_sub_nc_u32_e32 v1, v33, v7
	s_delay_alu instid0(VALU_DEP_1)
	v_lshlrev_b32_e32 v1, 1, v1
	ds_store_b16 v1, v2
	s_or_b32 exec_lo, exec_lo, s12
	s_and_saveexec_b32 s11, s10
	s_cbranch_execz .LBB649_215
.LBB649_278:
	v_sub_nc_u32_e32 v1, v21, v7
	s_delay_alu instid0(VALU_DEP_1)
	v_lshlrev_b32_e32 v1, 1, v1
	ds_store_b16_d16_hi v1, v2
	s_or_b32 exec_lo, exec_lo, s11
	s_and_saveexec_b32 s10, s9
	s_cbranch_execz .LBB649_216
.LBB649_279:
	v_sub_nc_u32_e32 v1, v17, v7
	s_delay_alu instid0(VALU_DEP_1)
	v_lshlrev_b32_e32 v1, 1, v1
	ds_store_b16 v1, v3
	s_or_b32 exec_lo, exec_lo, s10
	s_and_saveexec_b32 s9, s7
	s_cbranch_execz .LBB649_217
.LBB649_280:
	v_sub_nc_u32_e32 v1, v19, v7
	s_delay_alu instid0(VALU_DEP_1)
	v_lshlrev_b32_e32 v1, 1, v1
	ds_store_b16_d16_hi v1, v3
	s_or_b32 exec_lo, exec_lo, s9
	s_and_saveexec_b32 s7, s5
	s_cbranch_execz .LBB649_218
.LBB649_281:
	v_sub_nc_u32_e32 v1, v39, v7
	s_delay_alu instid0(VALU_DEP_1)
	v_lshlrev_b32_e32 v1, 1, v1
	ds_store_b16 v1, v4
	s_or_b32 exec_lo, exec_lo, s7
	s_and_saveexec_b32 s5, s8
	s_cbranch_execz .LBB649_219
.LBB649_282:
	v_sub_nc_u32_e32 v1, v43, v7
	s_delay_alu instid0(VALU_DEP_1)
	v_lshlrev_b32_e32 v1, 1, v1
	ds_store_b16_d16_hi v1, v4
	s_or_b32 exec_lo, exec_lo, s5
	s_and_saveexec_b32 s5, s6
	s_cbranch_execz .LBB649_220
.LBB649_283:
	v_sub_nc_u32_e32 v1, v31, v7
	s_delay_alu instid0(VALU_DEP_1)
	v_lshlrev_b32_e32 v1, 1, v1
	ds_store_b16 v1, v10
	s_or_b32 exec_lo, exec_lo, s5
	s_and_saveexec_b32 s5, s4
	s_cbranch_execz .LBB649_221
.LBB649_284:
	v_sub_nc_u32_e32 v1, v29, v7
	s_delay_alu instid0(VALU_DEP_1)
	v_lshlrev_b32_e32 v1, 1, v1
	ds_store_b16_d16_hi v1, v10
	s_or_b32 exec_lo, exec_lo, s5
	s_and_saveexec_b32 s4, s3
	s_cbranch_execz .LBB649_222
.LBB649_285:
	v_sub_nc_u32_e32 v1, v23, v7
	s_delay_alu instid0(VALU_DEP_1)
	v_lshlrev_b32_e32 v1, 1, v1
	ds_store_b16 v1, v11
	s_or_b32 exec_lo, exec_lo, s4
	s_and_saveexec_b32 s3, s2
	s_cbranch_execz .LBB649_223
.LBB649_286:
	v_sub_nc_u32_e32 v1, v27, v7
	s_delay_alu instid0(VALU_DEP_1)
	v_lshlrev_b32_e32 v1, 1, v1
	ds_store_b16_d16_hi v1, v11
	s_or_b32 exec_lo, exec_lo, s3
	s_and_saveexec_b32 s2, s1
	s_cbranch_execnz .LBB649_224
	s_branch .LBB649_225
.LBB649_287:
	v_sub_nc_u32_e32 v45, v41, v3
	v_mov_b32_e32 v46, 0
	s_delay_alu instid0(VALU_DEP_1) | instskip(NEXT) | instid1(VALU_DEP_1)
	v_lshlrev_b64 v[45:46], 1, v[45:46]
	v_add_co_u32 v45, vcc_lo, v6, v45
	s_delay_alu instid0(VALU_DEP_2)
	v_add_co_ci_u32_e32 v46, vcc_lo, v12, v46, vcc_lo
	global_store_b16 v[45:46], v42, off
	s_or_b32 exec_lo, exec_lo, s17
	s_and_saveexec_b32 s17, s13
	s_cbranch_execz .LBB649_229
.LBB649_288:
	v_sub_nc_u32_e32 v45, v35, v3
	v_mov_b32_e32 v46, 0
	s_delay_alu instid0(VALU_DEP_1) | instskip(NEXT) | instid1(VALU_DEP_1)
	v_lshlrev_b64 v[45:46], 1, v[45:46]
	v_add_co_u32 v45, vcc_lo, v6, v45
	s_delay_alu instid0(VALU_DEP_2)
	v_add_co_ci_u32_e32 v46, vcc_lo, v12, v46, vcc_lo
	global_store_b16 v[45:46], v36, off
	s_or_b32 exec_lo, exec_lo, s17
	s_and_saveexec_b32 s17, s12
	s_cbranch_execz .LBB649_230
.LBB649_289:
	v_sub_nc_u32_e32 v45, v37, v3
	v_mov_b32_e32 v46, 0
	s_delay_alu instid0(VALU_DEP_1) | instskip(NEXT) | instid1(VALU_DEP_1)
	v_lshlrev_b64 v[45:46], 1, v[45:46]
	v_add_co_u32 v45, vcc_lo, v6, v45
	s_delay_alu instid0(VALU_DEP_2)
	v_add_co_ci_u32_e32 v46, vcc_lo, v12, v46, vcc_lo
	global_store_b16 v[45:46], v38, off
	s_or_b32 exec_lo, exec_lo, s17
	s_and_saveexec_b32 s17, s11
	s_cbranch_execz .LBB649_231
.LBB649_290:
	v_sub_nc_u32_e32 v45, v33, v3
	v_mov_b32_e32 v46, 0
	s_delay_alu instid0(VALU_DEP_1) | instskip(NEXT) | instid1(VALU_DEP_1)
	v_lshlrev_b64 v[45:46], 1, v[45:46]
	v_add_co_u32 v45, vcc_lo, v6, v45
	s_delay_alu instid0(VALU_DEP_2)
	v_add_co_ci_u32_e32 v46, vcc_lo, v12, v46, vcc_lo
	global_store_b16 v[45:46], v34, off
	s_or_b32 exec_lo, exec_lo, s17
	s_and_saveexec_b32 s17, s10
	s_cbranch_execz .LBB649_232
.LBB649_291:
	v_sub_nc_u32_e32 v45, v21, v3
	v_mov_b32_e32 v46, 0
	s_delay_alu instid0(VALU_DEP_1) | instskip(NEXT) | instid1(VALU_DEP_1)
	v_lshlrev_b64 v[45:46], 1, v[45:46]
	v_add_co_u32 v45, vcc_lo, v6, v45
	s_delay_alu instid0(VALU_DEP_2)
	v_add_co_ci_u32_e32 v46, vcc_lo, v12, v46, vcc_lo
	global_store_b16 v[45:46], v22, off
	s_or_b32 exec_lo, exec_lo, s17
	s_and_saveexec_b32 s17, s9
	s_cbranch_execz .LBB649_233
.LBB649_292:
	v_sub_nc_u32_e32 v45, v17, v3
	v_mov_b32_e32 v46, 0
	s_delay_alu instid0(VALU_DEP_1) | instskip(NEXT) | instid1(VALU_DEP_1)
	v_lshlrev_b64 v[45:46], 1, v[45:46]
	v_add_co_u32 v45, vcc_lo, v6, v45
	s_delay_alu instid0(VALU_DEP_2)
	v_add_co_ci_u32_e32 v46, vcc_lo, v12, v46, vcc_lo
	global_store_b16 v[45:46], v18, off
	s_or_b32 exec_lo, exec_lo, s17
	s_and_saveexec_b32 s17, s8
	s_cbranch_execz .LBB649_234
.LBB649_293:
	v_sub_nc_u32_e32 v45, v19, v3
	v_mov_b32_e32 v46, 0
	s_delay_alu instid0(VALU_DEP_1) | instskip(NEXT) | instid1(VALU_DEP_1)
	v_lshlrev_b64 v[45:46], 1, v[45:46]
	v_add_co_u32 v45, vcc_lo, v6, v45
	s_delay_alu instid0(VALU_DEP_2)
	v_add_co_ci_u32_e32 v46, vcc_lo, v12, v46, vcc_lo
	global_store_b16 v[45:46], v20, off
	s_or_b32 exec_lo, exec_lo, s17
	s_and_saveexec_b32 s17, s7
	s_cbranch_execz .LBB649_235
.LBB649_294:
	v_sub_nc_u32_e32 v45, v39, v3
	v_mov_b32_e32 v46, 0
	s_delay_alu instid0(VALU_DEP_1) | instskip(NEXT) | instid1(VALU_DEP_1)
	v_lshlrev_b64 v[45:46], 1, v[45:46]
	v_add_co_u32 v45, vcc_lo, v6, v45
	s_delay_alu instid0(VALU_DEP_2)
	v_add_co_ci_u32_e32 v46, vcc_lo, v12, v46, vcc_lo
	global_store_b16 v[45:46], v40, off
	s_or_b32 exec_lo, exec_lo, s17
	s_and_saveexec_b32 s17, s6
	s_cbranch_execz .LBB649_236
.LBB649_295:
	v_sub_nc_u32_e32 v45, v43, v3
	v_mov_b32_e32 v46, 0
	s_delay_alu instid0(VALU_DEP_1) | instskip(NEXT) | instid1(VALU_DEP_1)
	v_lshlrev_b64 v[45:46], 1, v[45:46]
	v_add_co_u32 v45, vcc_lo, v6, v45
	s_delay_alu instid0(VALU_DEP_2)
	v_add_co_ci_u32_e32 v46, vcc_lo, v12, v46, vcc_lo
	global_store_b16 v[45:46], v44, off
	s_or_b32 exec_lo, exec_lo, s17
	s_and_saveexec_b32 s17, s5
	s_cbranch_execz .LBB649_237
.LBB649_296:
	v_sub_nc_u32_e32 v45, v31, v3
	v_mov_b32_e32 v46, 0
	s_delay_alu instid0(VALU_DEP_1) | instskip(NEXT) | instid1(VALU_DEP_1)
	v_lshlrev_b64 v[45:46], 1, v[45:46]
	v_add_co_u32 v45, vcc_lo, v6, v45
	s_delay_alu instid0(VALU_DEP_2)
	v_add_co_ci_u32_e32 v46, vcc_lo, v12, v46, vcc_lo
	global_store_b16 v[45:46], v32, off
	s_or_b32 exec_lo, exec_lo, s17
	s_and_saveexec_b32 s17, s4
	s_cbranch_execz .LBB649_238
.LBB649_297:
	v_sub_nc_u32_e32 v45, v29, v3
	v_mov_b32_e32 v46, 0
	s_delay_alu instid0(VALU_DEP_1) | instskip(NEXT) | instid1(VALU_DEP_1)
	v_lshlrev_b64 v[45:46], 1, v[45:46]
	v_add_co_u32 v45, vcc_lo, v6, v45
	s_delay_alu instid0(VALU_DEP_2)
	v_add_co_ci_u32_e32 v46, vcc_lo, v12, v46, vcc_lo
	global_store_b16 v[45:46], v30, off
	s_or_b32 exec_lo, exec_lo, s17
	s_and_saveexec_b32 s17, s3
	s_cbranch_execz .LBB649_239
.LBB649_298:
	v_sub_nc_u32_e32 v45, v23, v3
	v_mov_b32_e32 v46, 0
	s_delay_alu instid0(VALU_DEP_1) | instskip(NEXT) | instid1(VALU_DEP_1)
	v_lshlrev_b64 v[45:46], 1, v[45:46]
	v_add_co_u32 v45, vcc_lo, v6, v45
	s_delay_alu instid0(VALU_DEP_2)
	v_add_co_ci_u32_e32 v46, vcc_lo, v12, v46, vcc_lo
	global_store_b16 v[45:46], v24, off
	s_or_b32 exec_lo, exec_lo, s17
	s_and_saveexec_b32 s17, s2
	s_cbranch_execz .LBB649_240
.LBB649_299:
	v_sub_nc_u32_e32 v45, v27, v3
	v_mov_b32_e32 v46, 0
	s_delay_alu instid0(VALU_DEP_1) | instskip(NEXT) | instid1(VALU_DEP_1)
	v_lshlrev_b64 v[45:46], 1, v[45:46]
	v_add_co_u32 v45, vcc_lo, v6, v45
	s_delay_alu instid0(VALU_DEP_2)
	v_add_co_ci_u32_e32 v46, vcc_lo, v12, v46, vcc_lo
	global_store_b16 v[45:46], v28, off
	s_or_b32 exec_lo, exec_lo, s17
	s_and_saveexec_b32 s17, s1
	s_cbranch_execnz .LBB649_241
	s_branch .LBB649_242
.LBB649_300:
	v_sub_nc_u32_e32 v8, v41, v3
	s_delay_alu instid0(VALU_DEP_1)
	v_lshlrev_b32_e32 v8, 1, v8
	ds_store_b16 v8, v42
	s_or_b32 exec_lo, exec_lo, s17
	s_and_saveexec_b32 s14, s13
	s_cbranch_execz .LBB649_246
.LBB649_301:
	v_sub_nc_u32_e32 v8, v35, v3
	s_delay_alu instid0(VALU_DEP_1)
	v_lshlrev_b32_e32 v8, 1, v8
	ds_store_b16 v8, v36
	s_or_b32 exec_lo, exec_lo, s14
	s_and_saveexec_b32 s13, s12
	s_cbranch_execz .LBB649_247
.LBB649_302:
	v_sub_nc_u32_e32 v8, v37, v3
	s_delay_alu instid0(VALU_DEP_1)
	v_lshlrev_b32_e32 v8, 1, v8
	ds_store_b16 v8, v38
	s_or_b32 exec_lo, exec_lo, s13
	s_and_saveexec_b32 s12, s11
	s_cbranch_execz .LBB649_248
.LBB649_303:
	v_sub_nc_u32_e32 v8, v33, v3
	s_delay_alu instid0(VALU_DEP_1)
	v_lshlrev_b32_e32 v8, 1, v8
	ds_store_b16 v8, v34
	s_or_b32 exec_lo, exec_lo, s12
	s_and_saveexec_b32 s11, s10
	s_cbranch_execz .LBB649_249
.LBB649_304:
	v_sub_nc_u32_e32 v8, v21, v3
	s_delay_alu instid0(VALU_DEP_1)
	v_lshlrev_b32_e32 v8, 1, v8
	ds_store_b16 v8, v22
	s_or_b32 exec_lo, exec_lo, s11
	s_and_saveexec_b32 s10, s9
	s_cbranch_execz .LBB649_250
.LBB649_305:
	v_sub_nc_u32_e32 v8, v17, v3
	s_delay_alu instid0(VALU_DEP_1)
	v_lshlrev_b32_e32 v8, 1, v8
	ds_store_b16 v8, v18
	s_or_b32 exec_lo, exec_lo, s10
	s_and_saveexec_b32 s9, s8
	s_cbranch_execz .LBB649_251
.LBB649_306:
	v_sub_nc_u32_e32 v8, v19, v3
	s_delay_alu instid0(VALU_DEP_1)
	v_lshlrev_b32_e32 v8, 1, v8
	ds_store_b16 v8, v20
	s_or_b32 exec_lo, exec_lo, s9
	s_and_saveexec_b32 s8, s7
	s_cbranch_execz .LBB649_252
.LBB649_307:
	v_sub_nc_u32_e32 v8, v39, v3
	s_delay_alu instid0(VALU_DEP_1)
	v_lshlrev_b32_e32 v8, 1, v8
	ds_store_b16 v8, v40
	s_or_b32 exec_lo, exec_lo, s8
	s_and_saveexec_b32 s7, s6
	s_cbranch_execz .LBB649_253
.LBB649_308:
	v_sub_nc_u32_e32 v8, v43, v3
	s_delay_alu instid0(VALU_DEP_1)
	v_lshlrev_b32_e32 v8, 1, v8
	ds_store_b16 v8, v44
	s_or_b32 exec_lo, exec_lo, s7
	s_and_saveexec_b32 s6, s5
	s_cbranch_execz .LBB649_254
.LBB649_309:
	v_sub_nc_u32_e32 v8, v31, v3
	s_delay_alu instid0(VALU_DEP_1)
	v_lshlrev_b32_e32 v8, 1, v8
	ds_store_b16 v8, v32
	s_or_b32 exec_lo, exec_lo, s6
	s_and_saveexec_b32 s5, s4
	s_cbranch_execz .LBB649_255
.LBB649_310:
	v_sub_nc_u32_e32 v8, v29, v3
	s_delay_alu instid0(VALU_DEP_1)
	v_lshlrev_b32_e32 v8, 1, v8
	ds_store_b16 v8, v30
	s_or_b32 exec_lo, exec_lo, s5
	s_and_saveexec_b32 s4, s3
	s_cbranch_execz .LBB649_256
.LBB649_311:
	v_sub_nc_u32_e32 v8, v23, v3
	s_delay_alu instid0(VALU_DEP_1)
	v_lshlrev_b32_e32 v8, 1, v8
	ds_store_b16 v8, v24
	s_or_b32 exec_lo, exec_lo, s4
	s_and_saveexec_b32 s3, s2
	s_cbranch_execz .LBB649_257
.LBB649_312:
	v_sub_nc_u32_e32 v8, v27, v3
	s_delay_alu instid0(VALU_DEP_1)
	v_lshlrev_b32_e32 v8, 1, v8
	ds_store_b16 v8, v28
	s_or_b32 exec_lo, exec_lo, s3
	s_and_saveexec_b32 s2, s1
	s_cbranch_execnz .LBB649_258
	s_branch .LBB649_259
	.section	.rodata,"a",@progbits
	.p2align	6, 0x0
	.amdhsa_kernel _ZN7rocprim17ROCPRIM_400000_NS6detail17trampoline_kernelINS0_14default_configENS1_29reduce_by_key_config_selectorIssN6thrust23THRUST_200600_302600_NS4plusIsEEEEZZNS1_33reduce_by_key_impl_wrapped_configILNS1_25lookback_scan_determinismE0ES3_S9_NS6_6detail15normal_iteratorINS6_10device_ptrIsEEEESG_SG_SG_PmS8_NS6_8equal_toIsEEEE10hipError_tPvRmT2_T3_mT4_T5_T6_T7_T8_P12ihipStream_tbENKUlT_T0_E_clISt17integral_constantIbLb1EES10_IbLb0EEEEDaSW_SX_EUlSW_E_NS1_11comp_targetILNS1_3genE9ELNS1_11target_archE1100ELNS1_3gpuE3ELNS1_3repE0EEENS1_30default_config_static_selectorELNS0_4arch9wavefront6targetE0EEEvT1_
		.amdhsa_group_segment_fixed_size 7680
		.amdhsa_private_segment_fixed_size 0
		.amdhsa_kernarg_size 120
		.amdhsa_user_sgpr_count 15
		.amdhsa_user_sgpr_dispatch_ptr 0
		.amdhsa_user_sgpr_queue_ptr 0
		.amdhsa_user_sgpr_kernarg_segment_ptr 1
		.amdhsa_user_sgpr_dispatch_id 0
		.amdhsa_user_sgpr_private_segment_size 0
		.amdhsa_wavefront_size32 1
		.amdhsa_uses_dynamic_stack 0
		.amdhsa_enable_private_segment 0
		.amdhsa_system_sgpr_workgroup_id_x 1
		.amdhsa_system_sgpr_workgroup_id_y 0
		.amdhsa_system_sgpr_workgroup_id_z 0
		.amdhsa_system_sgpr_workgroup_info 0
		.amdhsa_system_vgpr_workitem_id 0
		.amdhsa_next_free_vgpr 102
		.amdhsa_next_free_sgpr 46
		.amdhsa_reserve_vcc 1
		.amdhsa_float_round_mode_32 0
		.amdhsa_float_round_mode_16_64 0
		.amdhsa_float_denorm_mode_32 3
		.amdhsa_float_denorm_mode_16_64 3
		.amdhsa_dx10_clamp 1
		.amdhsa_ieee_mode 1
		.amdhsa_fp16_overflow 0
		.amdhsa_workgroup_processor_mode 1
		.amdhsa_memory_ordered 1
		.amdhsa_forward_progress 0
		.amdhsa_shared_vgpr_count 0
		.amdhsa_exception_fp_ieee_invalid_op 0
		.amdhsa_exception_fp_denorm_src 0
		.amdhsa_exception_fp_ieee_div_zero 0
		.amdhsa_exception_fp_ieee_overflow 0
		.amdhsa_exception_fp_ieee_underflow 0
		.amdhsa_exception_fp_ieee_inexact 0
		.amdhsa_exception_int_div_zero 0
	.end_amdhsa_kernel
	.section	.text._ZN7rocprim17ROCPRIM_400000_NS6detail17trampoline_kernelINS0_14default_configENS1_29reduce_by_key_config_selectorIssN6thrust23THRUST_200600_302600_NS4plusIsEEEEZZNS1_33reduce_by_key_impl_wrapped_configILNS1_25lookback_scan_determinismE0ES3_S9_NS6_6detail15normal_iteratorINS6_10device_ptrIsEEEESG_SG_SG_PmS8_NS6_8equal_toIsEEEE10hipError_tPvRmT2_T3_mT4_T5_T6_T7_T8_P12ihipStream_tbENKUlT_T0_E_clISt17integral_constantIbLb1EES10_IbLb0EEEEDaSW_SX_EUlSW_E_NS1_11comp_targetILNS1_3genE9ELNS1_11target_archE1100ELNS1_3gpuE3ELNS1_3repE0EEENS1_30default_config_static_selectorELNS0_4arch9wavefront6targetE0EEEvT1_,"axG",@progbits,_ZN7rocprim17ROCPRIM_400000_NS6detail17trampoline_kernelINS0_14default_configENS1_29reduce_by_key_config_selectorIssN6thrust23THRUST_200600_302600_NS4plusIsEEEEZZNS1_33reduce_by_key_impl_wrapped_configILNS1_25lookback_scan_determinismE0ES3_S9_NS6_6detail15normal_iteratorINS6_10device_ptrIsEEEESG_SG_SG_PmS8_NS6_8equal_toIsEEEE10hipError_tPvRmT2_T3_mT4_T5_T6_T7_T8_P12ihipStream_tbENKUlT_T0_E_clISt17integral_constantIbLb1EES10_IbLb0EEEEDaSW_SX_EUlSW_E_NS1_11comp_targetILNS1_3genE9ELNS1_11target_archE1100ELNS1_3gpuE3ELNS1_3repE0EEENS1_30default_config_static_selectorELNS0_4arch9wavefront6targetE0EEEvT1_,comdat
.Lfunc_end649:
	.size	_ZN7rocprim17ROCPRIM_400000_NS6detail17trampoline_kernelINS0_14default_configENS1_29reduce_by_key_config_selectorIssN6thrust23THRUST_200600_302600_NS4plusIsEEEEZZNS1_33reduce_by_key_impl_wrapped_configILNS1_25lookback_scan_determinismE0ES3_S9_NS6_6detail15normal_iteratorINS6_10device_ptrIsEEEESG_SG_SG_PmS8_NS6_8equal_toIsEEEE10hipError_tPvRmT2_T3_mT4_T5_T6_T7_T8_P12ihipStream_tbENKUlT_T0_E_clISt17integral_constantIbLb1EES10_IbLb0EEEEDaSW_SX_EUlSW_E_NS1_11comp_targetILNS1_3genE9ELNS1_11target_archE1100ELNS1_3gpuE3ELNS1_3repE0EEENS1_30default_config_static_selectorELNS0_4arch9wavefront6targetE0EEEvT1_, .Lfunc_end649-_ZN7rocprim17ROCPRIM_400000_NS6detail17trampoline_kernelINS0_14default_configENS1_29reduce_by_key_config_selectorIssN6thrust23THRUST_200600_302600_NS4plusIsEEEEZZNS1_33reduce_by_key_impl_wrapped_configILNS1_25lookback_scan_determinismE0ES3_S9_NS6_6detail15normal_iteratorINS6_10device_ptrIsEEEESG_SG_SG_PmS8_NS6_8equal_toIsEEEE10hipError_tPvRmT2_T3_mT4_T5_T6_T7_T8_P12ihipStream_tbENKUlT_T0_E_clISt17integral_constantIbLb1EES10_IbLb0EEEEDaSW_SX_EUlSW_E_NS1_11comp_targetILNS1_3genE9ELNS1_11target_archE1100ELNS1_3gpuE3ELNS1_3repE0EEENS1_30default_config_static_selectorELNS0_4arch9wavefront6targetE0EEEvT1_
                                        ; -- End function
	.section	.AMDGPU.csdata,"",@progbits
; Kernel info:
; codeLenInByte = 21292
; NumSgprs: 48
; NumVgprs: 102
; ScratchSize: 0
; MemoryBound: 0
; FloatMode: 240
; IeeeMode: 1
; LDSByteSize: 7680 bytes/workgroup (compile time only)
; SGPRBlocks: 5
; VGPRBlocks: 12
; NumSGPRsForWavesPerEU: 48
; NumVGPRsForWavesPerEU: 102
; Occupancy: 12
; WaveLimiterHint : 1
; COMPUTE_PGM_RSRC2:SCRATCH_EN: 0
; COMPUTE_PGM_RSRC2:USER_SGPR: 15
; COMPUTE_PGM_RSRC2:TRAP_HANDLER: 0
; COMPUTE_PGM_RSRC2:TGID_X_EN: 1
; COMPUTE_PGM_RSRC2:TGID_Y_EN: 0
; COMPUTE_PGM_RSRC2:TGID_Z_EN: 0
; COMPUTE_PGM_RSRC2:TIDIG_COMP_CNT: 0
	.section	.text._ZN7rocprim17ROCPRIM_400000_NS6detail17trampoline_kernelINS0_14default_configENS1_29reduce_by_key_config_selectorIssN6thrust23THRUST_200600_302600_NS4plusIsEEEEZZNS1_33reduce_by_key_impl_wrapped_configILNS1_25lookback_scan_determinismE0ES3_S9_NS6_6detail15normal_iteratorINS6_10device_ptrIsEEEESG_SG_SG_PmS8_NS6_8equal_toIsEEEE10hipError_tPvRmT2_T3_mT4_T5_T6_T7_T8_P12ihipStream_tbENKUlT_T0_E_clISt17integral_constantIbLb1EES10_IbLb0EEEEDaSW_SX_EUlSW_E_NS1_11comp_targetILNS1_3genE8ELNS1_11target_archE1030ELNS1_3gpuE2ELNS1_3repE0EEENS1_30default_config_static_selectorELNS0_4arch9wavefront6targetE0EEEvT1_,"axG",@progbits,_ZN7rocprim17ROCPRIM_400000_NS6detail17trampoline_kernelINS0_14default_configENS1_29reduce_by_key_config_selectorIssN6thrust23THRUST_200600_302600_NS4plusIsEEEEZZNS1_33reduce_by_key_impl_wrapped_configILNS1_25lookback_scan_determinismE0ES3_S9_NS6_6detail15normal_iteratorINS6_10device_ptrIsEEEESG_SG_SG_PmS8_NS6_8equal_toIsEEEE10hipError_tPvRmT2_T3_mT4_T5_T6_T7_T8_P12ihipStream_tbENKUlT_T0_E_clISt17integral_constantIbLb1EES10_IbLb0EEEEDaSW_SX_EUlSW_E_NS1_11comp_targetILNS1_3genE8ELNS1_11target_archE1030ELNS1_3gpuE2ELNS1_3repE0EEENS1_30default_config_static_selectorELNS0_4arch9wavefront6targetE0EEEvT1_,comdat
	.protected	_ZN7rocprim17ROCPRIM_400000_NS6detail17trampoline_kernelINS0_14default_configENS1_29reduce_by_key_config_selectorIssN6thrust23THRUST_200600_302600_NS4plusIsEEEEZZNS1_33reduce_by_key_impl_wrapped_configILNS1_25lookback_scan_determinismE0ES3_S9_NS6_6detail15normal_iteratorINS6_10device_ptrIsEEEESG_SG_SG_PmS8_NS6_8equal_toIsEEEE10hipError_tPvRmT2_T3_mT4_T5_T6_T7_T8_P12ihipStream_tbENKUlT_T0_E_clISt17integral_constantIbLb1EES10_IbLb0EEEEDaSW_SX_EUlSW_E_NS1_11comp_targetILNS1_3genE8ELNS1_11target_archE1030ELNS1_3gpuE2ELNS1_3repE0EEENS1_30default_config_static_selectorELNS0_4arch9wavefront6targetE0EEEvT1_ ; -- Begin function _ZN7rocprim17ROCPRIM_400000_NS6detail17trampoline_kernelINS0_14default_configENS1_29reduce_by_key_config_selectorIssN6thrust23THRUST_200600_302600_NS4plusIsEEEEZZNS1_33reduce_by_key_impl_wrapped_configILNS1_25lookback_scan_determinismE0ES3_S9_NS6_6detail15normal_iteratorINS6_10device_ptrIsEEEESG_SG_SG_PmS8_NS6_8equal_toIsEEEE10hipError_tPvRmT2_T3_mT4_T5_T6_T7_T8_P12ihipStream_tbENKUlT_T0_E_clISt17integral_constantIbLb1EES10_IbLb0EEEEDaSW_SX_EUlSW_E_NS1_11comp_targetILNS1_3genE8ELNS1_11target_archE1030ELNS1_3gpuE2ELNS1_3repE0EEENS1_30default_config_static_selectorELNS0_4arch9wavefront6targetE0EEEvT1_
	.globl	_ZN7rocprim17ROCPRIM_400000_NS6detail17trampoline_kernelINS0_14default_configENS1_29reduce_by_key_config_selectorIssN6thrust23THRUST_200600_302600_NS4plusIsEEEEZZNS1_33reduce_by_key_impl_wrapped_configILNS1_25lookback_scan_determinismE0ES3_S9_NS6_6detail15normal_iteratorINS6_10device_ptrIsEEEESG_SG_SG_PmS8_NS6_8equal_toIsEEEE10hipError_tPvRmT2_T3_mT4_T5_T6_T7_T8_P12ihipStream_tbENKUlT_T0_E_clISt17integral_constantIbLb1EES10_IbLb0EEEEDaSW_SX_EUlSW_E_NS1_11comp_targetILNS1_3genE8ELNS1_11target_archE1030ELNS1_3gpuE2ELNS1_3repE0EEENS1_30default_config_static_selectorELNS0_4arch9wavefront6targetE0EEEvT1_
	.p2align	8
	.type	_ZN7rocprim17ROCPRIM_400000_NS6detail17trampoline_kernelINS0_14default_configENS1_29reduce_by_key_config_selectorIssN6thrust23THRUST_200600_302600_NS4plusIsEEEEZZNS1_33reduce_by_key_impl_wrapped_configILNS1_25lookback_scan_determinismE0ES3_S9_NS6_6detail15normal_iteratorINS6_10device_ptrIsEEEESG_SG_SG_PmS8_NS6_8equal_toIsEEEE10hipError_tPvRmT2_T3_mT4_T5_T6_T7_T8_P12ihipStream_tbENKUlT_T0_E_clISt17integral_constantIbLb1EES10_IbLb0EEEEDaSW_SX_EUlSW_E_NS1_11comp_targetILNS1_3genE8ELNS1_11target_archE1030ELNS1_3gpuE2ELNS1_3repE0EEENS1_30default_config_static_selectorELNS0_4arch9wavefront6targetE0EEEvT1_,@function
_ZN7rocprim17ROCPRIM_400000_NS6detail17trampoline_kernelINS0_14default_configENS1_29reduce_by_key_config_selectorIssN6thrust23THRUST_200600_302600_NS4plusIsEEEEZZNS1_33reduce_by_key_impl_wrapped_configILNS1_25lookback_scan_determinismE0ES3_S9_NS6_6detail15normal_iteratorINS6_10device_ptrIsEEEESG_SG_SG_PmS8_NS6_8equal_toIsEEEE10hipError_tPvRmT2_T3_mT4_T5_T6_T7_T8_P12ihipStream_tbENKUlT_T0_E_clISt17integral_constantIbLb1EES10_IbLb0EEEEDaSW_SX_EUlSW_E_NS1_11comp_targetILNS1_3genE8ELNS1_11target_archE1030ELNS1_3gpuE2ELNS1_3repE0EEENS1_30default_config_static_selectorELNS0_4arch9wavefront6targetE0EEEvT1_: ; @_ZN7rocprim17ROCPRIM_400000_NS6detail17trampoline_kernelINS0_14default_configENS1_29reduce_by_key_config_selectorIssN6thrust23THRUST_200600_302600_NS4plusIsEEEEZZNS1_33reduce_by_key_impl_wrapped_configILNS1_25lookback_scan_determinismE0ES3_S9_NS6_6detail15normal_iteratorINS6_10device_ptrIsEEEESG_SG_SG_PmS8_NS6_8equal_toIsEEEE10hipError_tPvRmT2_T3_mT4_T5_T6_T7_T8_P12ihipStream_tbENKUlT_T0_E_clISt17integral_constantIbLb1EES10_IbLb0EEEEDaSW_SX_EUlSW_E_NS1_11comp_targetILNS1_3genE8ELNS1_11target_archE1030ELNS1_3gpuE2ELNS1_3repE0EEENS1_30default_config_static_selectorELNS0_4arch9wavefront6targetE0EEEvT1_
; %bb.0:
	.section	.rodata,"a",@progbits
	.p2align	6, 0x0
	.amdhsa_kernel _ZN7rocprim17ROCPRIM_400000_NS6detail17trampoline_kernelINS0_14default_configENS1_29reduce_by_key_config_selectorIssN6thrust23THRUST_200600_302600_NS4plusIsEEEEZZNS1_33reduce_by_key_impl_wrapped_configILNS1_25lookback_scan_determinismE0ES3_S9_NS6_6detail15normal_iteratorINS6_10device_ptrIsEEEESG_SG_SG_PmS8_NS6_8equal_toIsEEEE10hipError_tPvRmT2_T3_mT4_T5_T6_T7_T8_P12ihipStream_tbENKUlT_T0_E_clISt17integral_constantIbLb1EES10_IbLb0EEEEDaSW_SX_EUlSW_E_NS1_11comp_targetILNS1_3genE8ELNS1_11target_archE1030ELNS1_3gpuE2ELNS1_3repE0EEENS1_30default_config_static_selectorELNS0_4arch9wavefront6targetE0EEEvT1_
		.amdhsa_group_segment_fixed_size 0
		.amdhsa_private_segment_fixed_size 0
		.amdhsa_kernarg_size 120
		.amdhsa_user_sgpr_count 15
		.amdhsa_user_sgpr_dispatch_ptr 0
		.amdhsa_user_sgpr_queue_ptr 0
		.amdhsa_user_sgpr_kernarg_segment_ptr 1
		.amdhsa_user_sgpr_dispatch_id 0
		.amdhsa_user_sgpr_private_segment_size 0
		.amdhsa_wavefront_size32 1
		.amdhsa_uses_dynamic_stack 0
		.amdhsa_enable_private_segment 0
		.amdhsa_system_sgpr_workgroup_id_x 1
		.amdhsa_system_sgpr_workgroup_id_y 0
		.amdhsa_system_sgpr_workgroup_id_z 0
		.amdhsa_system_sgpr_workgroup_info 0
		.amdhsa_system_vgpr_workitem_id 0
		.amdhsa_next_free_vgpr 1
		.amdhsa_next_free_sgpr 1
		.amdhsa_reserve_vcc 0
		.amdhsa_float_round_mode_32 0
		.amdhsa_float_round_mode_16_64 0
		.amdhsa_float_denorm_mode_32 3
		.amdhsa_float_denorm_mode_16_64 3
		.amdhsa_dx10_clamp 1
		.amdhsa_ieee_mode 1
		.amdhsa_fp16_overflow 0
		.amdhsa_workgroup_processor_mode 1
		.amdhsa_memory_ordered 1
		.amdhsa_forward_progress 0
		.amdhsa_shared_vgpr_count 0
		.amdhsa_exception_fp_ieee_invalid_op 0
		.amdhsa_exception_fp_denorm_src 0
		.amdhsa_exception_fp_ieee_div_zero 0
		.amdhsa_exception_fp_ieee_overflow 0
		.amdhsa_exception_fp_ieee_underflow 0
		.amdhsa_exception_fp_ieee_inexact 0
		.amdhsa_exception_int_div_zero 0
	.end_amdhsa_kernel
	.section	.text._ZN7rocprim17ROCPRIM_400000_NS6detail17trampoline_kernelINS0_14default_configENS1_29reduce_by_key_config_selectorIssN6thrust23THRUST_200600_302600_NS4plusIsEEEEZZNS1_33reduce_by_key_impl_wrapped_configILNS1_25lookback_scan_determinismE0ES3_S9_NS6_6detail15normal_iteratorINS6_10device_ptrIsEEEESG_SG_SG_PmS8_NS6_8equal_toIsEEEE10hipError_tPvRmT2_T3_mT4_T5_T6_T7_T8_P12ihipStream_tbENKUlT_T0_E_clISt17integral_constantIbLb1EES10_IbLb0EEEEDaSW_SX_EUlSW_E_NS1_11comp_targetILNS1_3genE8ELNS1_11target_archE1030ELNS1_3gpuE2ELNS1_3repE0EEENS1_30default_config_static_selectorELNS0_4arch9wavefront6targetE0EEEvT1_,"axG",@progbits,_ZN7rocprim17ROCPRIM_400000_NS6detail17trampoline_kernelINS0_14default_configENS1_29reduce_by_key_config_selectorIssN6thrust23THRUST_200600_302600_NS4plusIsEEEEZZNS1_33reduce_by_key_impl_wrapped_configILNS1_25lookback_scan_determinismE0ES3_S9_NS6_6detail15normal_iteratorINS6_10device_ptrIsEEEESG_SG_SG_PmS8_NS6_8equal_toIsEEEE10hipError_tPvRmT2_T3_mT4_T5_T6_T7_T8_P12ihipStream_tbENKUlT_T0_E_clISt17integral_constantIbLb1EES10_IbLb0EEEEDaSW_SX_EUlSW_E_NS1_11comp_targetILNS1_3genE8ELNS1_11target_archE1030ELNS1_3gpuE2ELNS1_3repE0EEENS1_30default_config_static_selectorELNS0_4arch9wavefront6targetE0EEEvT1_,comdat
.Lfunc_end650:
	.size	_ZN7rocprim17ROCPRIM_400000_NS6detail17trampoline_kernelINS0_14default_configENS1_29reduce_by_key_config_selectorIssN6thrust23THRUST_200600_302600_NS4plusIsEEEEZZNS1_33reduce_by_key_impl_wrapped_configILNS1_25lookback_scan_determinismE0ES3_S9_NS6_6detail15normal_iteratorINS6_10device_ptrIsEEEESG_SG_SG_PmS8_NS6_8equal_toIsEEEE10hipError_tPvRmT2_T3_mT4_T5_T6_T7_T8_P12ihipStream_tbENKUlT_T0_E_clISt17integral_constantIbLb1EES10_IbLb0EEEEDaSW_SX_EUlSW_E_NS1_11comp_targetILNS1_3genE8ELNS1_11target_archE1030ELNS1_3gpuE2ELNS1_3repE0EEENS1_30default_config_static_selectorELNS0_4arch9wavefront6targetE0EEEvT1_, .Lfunc_end650-_ZN7rocprim17ROCPRIM_400000_NS6detail17trampoline_kernelINS0_14default_configENS1_29reduce_by_key_config_selectorIssN6thrust23THRUST_200600_302600_NS4plusIsEEEEZZNS1_33reduce_by_key_impl_wrapped_configILNS1_25lookback_scan_determinismE0ES3_S9_NS6_6detail15normal_iteratorINS6_10device_ptrIsEEEESG_SG_SG_PmS8_NS6_8equal_toIsEEEE10hipError_tPvRmT2_T3_mT4_T5_T6_T7_T8_P12ihipStream_tbENKUlT_T0_E_clISt17integral_constantIbLb1EES10_IbLb0EEEEDaSW_SX_EUlSW_E_NS1_11comp_targetILNS1_3genE8ELNS1_11target_archE1030ELNS1_3gpuE2ELNS1_3repE0EEENS1_30default_config_static_selectorELNS0_4arch9wavefront6targetE0EEEvT1_
                                        ; -- End function
	.section	.AMDGPU.csdata,"",@progbits
; Kernel info:
; codeLenInByte = 0
; NumSgprs: 0
; NumVgprs: 0
; ScratchSize: 0
; MemoryBound: 0
; FloatMode: 240
; IeeeMode: 1
; LDSByteSize: 0 bytes/workgroup (compile time only)
; SGPRBlocks: 0
; VGPRBlocks: 0
; NumSGPRsForWavesPerEU: 1
; NumVGPRsForWavesPerEU: 1
; Occupancy: 16
; WaveLimiterHint : 0
; COMPUTE_PGM_RSRC2:SCRATCH_EN: 0
; COMPUTE_PGM_RSRC2:USER_SGPR: 15
; COMPUTE_PGM_RSRC2:TRAP_HANDLER: 0
; COMPUTE_PGM_RSRC2:TGID_X_EN: 1
; COMPUTE_PGM_RSRC2:TGID_Y_EN: 0
; COMPUTE_PGM_RSRC2:TGID_Z_EN: 0
; COMPUTE_PGM_RSRC2:TIDIG_COMP_CNT: 0
	.section	.text._ZN7rocprim17ROCPRIM_400000_NS6detail25reduce_by_key_init_kernelINS1_19lookback_scan_stateINS0_5tupleIJjsEEELb0ELb1EEEsNS1_16block_id_wrapperIjLb1EEEEEvT_jbjPmPT0_T1_,"axG",@progbits,_ZN7rocprim17ROCPRIM_400000_NS6detail25reduce_by_key_init_kernelINS1_19lookback_scan_stateINS0_5tupleIJjsEEELb0ELb1EEEsNS1_16block_id_wrapperIjLb1EEEEEvT_jbjPmPT0_T1_,comdat
	.protected	_ZN7rocprim17ROCPRIM_400000_NS6detail25reduce_by_key_init_kernelINS1_19lookback_scan_stateINS0_5tupleIJjsEEELb0ELb1EEEsNS1_16block_id_wrapperIjLb1EEEEEvT_jbjPmPT0_T1_ ; -- Begin function _ZN7rocprim17ROCPRIM_400000_NS6detail25reduce_by_key_init_kernelINS1_19lookback_scan_stateINS0_5tupleIJjsEEELb0ELb1EEEsNS1_16block_id_wrapperIjLb1EEEEEvT_jbjPmPT0_T1_
	.globl	_ZN7rocprim17ROCPRIM_400000_NS6detail25reduce_by_key_init_kernelINS1_19lookback_scan_stateINS0_5tupleIJjsEEELb0ELb1EEEsNS1_16block_id_wrapperIjLb1EEEEEvT_jbjPmPT0_T1_
	.p2align	8
	.type	_ZN7rocprim17ROCPRIM_400000_NS6detail25reduce_by_key_init_kernelINS1_19lookback_scan_stateINS0_5tupleIJjsEEELb0ELb1EEEsNS1_16block_id_wrapperIjLb1EEEEEvT_jbjPmPT0_T1_,@function
_ZN7rocprim17ROCPRIM_400000_NS6detail25reduce_by_key_init_kernelINS1_19lookback_scan_stateINS0_5tupleIJjsEEELb0ELb1EEEsNS1_16block_id_wrapperIjLb1EEEEEvT_jbjPmPT0_T1_: ; @_ZN7rocprim17ROCPRIM_400000_NS6detail25reduce_by_key_init_kernelINS1_19lookback_scan_stateINS0_5tupleIJjsEEELb0ELb1EEEsNS1_16block_id_wrapperIjLb1EEEEEvT_jbjPmPT0_T1_
; %bb.0:
	s_clause 0x3
	s_load_b32 s14, s[0:1], 0x3c
	s_load_b256 s[4:11], s[0:1], 0x8
	s_load_b64 s[12:13], s[0:1], 0x28
	s_load_b64 s[2:3], s[0:1], 0x0
	s_mov_b32 s1, -1
	s_waitcnt lgkmcnt(0)
	s_and_b32 s0, s14, 0xffff
	s_delay_alu instid0(SALU_CYCLE_1) | instskip(SKIP_1) | instid1(SALU_CYCLE_1)
	v_mad_u64_u32 v[1:2], null, s15, s0, v[0:1]
	s_and_b32 s0, s5, 1
	s_cmp_eq_u32 s0, 0
	s_cbranch_scc0 .LBB651_8
; %bb.1:
	s_cmp_lt_u32 s6, s4
	s_mov_b32 s5, exec_lo
	s_cselect_b32 s0, s6, 0
	s_delay_alu instid0(VALU_DEP_1) | instid1(SALU_CYCLE_1)
	v_cmpx_eq_u32_e64 s0, v1
	s_cbranch_execz .LBB651_7
; %bb.2:
	s_add_i32 s0, s6, 32
	s_mov_b32 s1, 0
	v_mov_b32_e32 v6, 0
	s_lshl_b64 s[6:7], s[0:1], 4
	s_mov_b32 s0, exec_lo
	s_add_u32 s6, s2, s6
	s_addc_u32 s7, s3, s7
	s_delay_alu instid0(SALU_CYCLE_1) | instskip(SKIP_2) | instid1(VALU_DEP_1)
	v_dual_mov_b32 v2, s6 :: v_dual_mov_b32 v3, s7
	;;#ASMSTART
	global_load_dwordx4 v[2:5], v[2:3] off glc	
s_waitcnt vmcnt(0)
	;;#ASMEND
	v_and_b32_e32 v5, 0xff, v4
	v_cmpx_eq_u64_e32 0, v[5:6]
	s_cbranch_execz .LBB651_6
; %bb.3:
	v_dual_mov_b32 v8, s7 :: v_dual_mov_b32 v7, s6
.LBB651_4:                              ; =>This Inner Loop Header: Depth=1
	;;#ASMSTART
	global_load_dwordx4 v[2:5], v[7:8] off glc	
s_waitcnt vmcnt(0)
	;;#ASMEND
	v_and_b32_e32 v5, 0xff, v4
	s_delay_alu instid0(VALU_DEP_1) | instskip(SKIP_1) | instid1(SALU_CYCLE_1)
	v_cmp_ne_u64_e32 vcc_lo, 0, v[5:6]
	s_or_b32 s1, vcc_lo, s1
	s_and_not1_b32 exec_lo, exec_lo, s1
	s_cbranch_execnz .LBB651_4
; %bb.5:
	s_or_b32 exec_lo, exec_lo, s1
.LBB651_6:
	s_delay_alu instid0(SALU_CYCLE_1)
	s_or_b32 exec_lo, exec_lo, s0
	v_mov_b32_e32 v0, 0
	global_load_b64 v[4:5], v0, s[8:9]
	s_waitcnt vmcnt(0)
	v_add_co_u32 v4, vcc_lo, v4, v2
	v_add_co_ci_u32_e32 v5, vcc_lo, 0, v5, vcc_lo
	s_clause 0x1
	global_store_b64 v0, v[4:5], s[8:9]
	global_store_b16 v0, v3, s[10:11]
.LBB651_7:
	s_or_b32 exec_lo, exec_lo, s5
	s_mov_b32 s1, 0
.LBB651_8:
	s_delay_alu instid0(VALU_DEP_1)
	v_cmp_eq_u32_e64 s0, 0, v1
	s_and_not1_b32 vcc_lo, exec_lo, s1
	s_cbranch_vccnz .LBB651_12
; %bb.9:
	s_cmp_lg_u64 s[8:9], 0
	s_cselect_b32 s1, -1, 0
	s_delay_alu instid0(SALU_CYCLE_1) | instskip(NEXT) | instid1(SALU_CYCLE_1)
	s_and_b32 s1, s1, s0
	s_and_saveexec_b32 s0, s1
	s_cbranch_execz .LBB651_11
; %bb.10:
	v_mov_b32_e32 v2, 0
	s_delay_alu instid0(VALU_DEP_1)
	v_mov_b32_e32 v3, v2
	global_store_b64 v2, v[2:3], s[8:9]
.LBB651_11:
	s_or_b32 exec_lo, exec_lo, s0
.LBB651_12:
	s_delay_alu instid0(SALU_CYCLE_1)
	s_mov_b32 s0, exec_lo
	v_cmpx_eq_u32_e32 0, v1
	s_cbranch_execz .LBB651_14
; %bb.13:
	v_mov_b32_e32 v0, 0
	global_store_b32 v0, v0, s[12:13]
.LBB651_14:
	s_or_b32 exec_lo, exec_lo, s0
	s_delay_alu instid0(SALU_CYCLE_1)
	s_mov_b32 s0, exec_lo
	v_cmpx_gt_u32_e64 s4, v1
	s_cbranch_execz .LBB651_16
; %bb.15:
	v_dual_mov_b32 v3, 0 :: v_dual_add_nc_u32 v2, 32, v1
	s_delay_alu instid0(VALU_DEP_1) | instskip(SKIP_2) | instid1(VALU_DEP_3)
	v_lshlrev_b64 v[5:6], 4, v[2:3]
	v_mov_b32_e32 v2, v3
	v_mov_b32_e32 v4, v3
	v_add_co_u32 v7, vcc_lo, s2, v5
	s_delay_alu instid0(VALU_DEP_4)
	v_add_co_ci_u32_e32 v8, vcc_lo, s3, v6, vcc_lo
	v_mov_b32_e32 v5, v3
	global_store_b128 v[7:8], v[2:5], off
.LBB651_16:
	s_or_b32 exec_lo, exec_lo, s0
	s_delay_alu instid0(SALU_CYCLE_1)
	s_mov_b32 s0, exec_lo
	v_cmpx_gt_u32_e32 32, v1
	s_cbranch_execz .LBB651_18
; %bb.17:
	v_dual_mov_b32 v2, 0 :: v_dual_mov_b32 v3, 0xff
	s_delay_alu instid0(VALU_DEP_1) | instskip(SKIP_1) | instid1(VALU_DEP_2)
	v_lshlrev_b64 v[4:5], 4, v[1:2]
	v_mov_b32_e32 v1, v2
	v_add_co_u32 v6, vcc_lo, s2, v4
	s_delay_alu instid0(VALU_DEP_3)
	v_add_co_ci_u32_e32 v7, vcc_lo, s3, v5, vcc_lo
	v_mov_b32_e32 v4, v2
	global_store_b128 v[6:7], v[1:4], off
.LBB651_18:
	s_nop 0
	s_sendmsg sendmsg(MSG_DEALLOC_VGPRS)
	s_endpgm
	.section	.rodata,"a",@progbits
	.p2align	6, 0x0
	.amdhsa_kernel _ZN7rocprim17ROCPRIM_400000_NS6detail25reduce_by_key_init_kernelINS1_19lookback_scan_stateINS0_5tupleIJjsEEELb0ELb1EEEsNS1_16block_id_wrapperIjLb1EEEEEvT_jbjPmPT0_T1_
		.amdhsa_group_segment_fixed_size 0
		.amdhsa_private_segment_fixed_size 0
		.amdhsa_kernarg_size 304
		.amdhsa_user_sgpr_count 15
		.amdhsa_user_sgpr_dispatch_ptr 0
		.amdhsa_user_sgpr_queue_ptr 0
		.amdhsa_user_sgpr_kernarg_segment_ptr 1
		.amdhsa_user_sgpr_dispatch_id 0
		.amdhsa_user_sgpr_private_segment_size 0
		.amdhsa_wavefront_size32 1
		.amdhsa_uses_dynamic_stack 0
		.amdhsa_enable_private_segment 0
		.amdhsa_system_sgpr_workgroup_id_x 1
		.amdhsa_system_sgpr_workgroup_id_y 0
		.amdhsa_system_sgpr_workgroup_id_z 0
		.amdhsa_system_sgpr_workgroup_info 0
		.amdhsa_system_vgpr_workitem_id 0
		.amdhsa_next_free_vgpr 9
		.amdhsa_next_free_sgpr 16
		.amdhsa_reserve_vcc 1
		.amdhsa_float_round_mode_32 0
		.amdhsa_float_round_mode_16_64 0
		.amdhsa_float_denorm_mode_32 3
		.amdhsa_float_denorm_mode_16_64 3
		.amdhsa_dx10_clamp 1
		.amdhsa_ieee_mode 1
		.amdhsa_fp16_overflow 0
		.amdhsa_workgroup_processor_mode 1
		.amdhsa_memory_ordered 1
		.amdhsa_forward_progress 0
		.amdhsa_shared_vgpr_count 0
		.amdhsa_exception_fp_ieee_invalid_op 0
		.amdhsa_exception_fp_denorm_src 0
		.amdhsa_exception_fp_ieee_div_zero 0
		.amdhsa_exception_fp_ieee_overflow 0
		.amdhsa_exception_fp_ieee_underflow 0
		.amdhsa_exception_fp_ieee_inexact 0
		.amdhsa_exception_int_div_zero 0
	.end_amdhsa_kernel
	.section	.text._ZN7rocprim17ROCPRIM_400000_NS6detail25reduce_by_key_init_kernelINS1_19lookback_scan_stateINS0_5tupleIJjsEEELb0ELb1EEEsNS1_16block_id_wrapperIjLb1EEEEEvT_jbjPmPT0_T1_,"axG",@progbits,_ZN7rocprim17ROCPRIM_400000_NS6detail25reduce_by_key_init_kernelINS1_19lookback_scan_stateINS0_5tupleIJjsEEELb0ELb1EEEsNS1_16block_id_wrapperIjLb1EEEEEvT_jbjPmPT0_T1_,comdat
.Lfunc_end651:
	.size	_ZN7rocprim17ROCPRIM_400000_NS6detail25reduce_by_key_init_kernelINS1_19lookback_scan_stateINS0_5tupleIJjsEEELb0ELb1EEEsNS1_16block_id_wrapperIjLb1EEEEEvT_jbjPmPT0_T1_, .Lfunc_end651-_ZN7rocprim17ROCPRIM_400000_NS6detail25reduce_by_key_init_kernelINS1_19lookback_scan_stateINS0_5tupleIJjsEEELb0ELb1EEEsNS1_16block_id_wrapperIjLb1EEEEEvT_jbjPmPT0_T1_
                                        ; -- End function
	.section	.AMDGPU.csdata,"",@progbits
; Kernel info:
; codeLenInByte = 608
; NumSgprs: 18
; NumVgprs: 9
; ScratchSize: 0
; MemoryBound: 0
; FloatMode: 240
; IeeeMode: 1
; LDSByteSize: 0 bytes/workgroup (compile time only)
; SGPRBlocks: 2
; VGPRBlocks: 1
; NumSGPRsForWavesPerEU: 18
; NumVGPRsForWavesPerEU: 9
; Occupancy: 16
; WaveLimiterHint : 0
; COMPUTE_PGM_RSRC2:SCRATCH_EN: 0
; COMPUTE_PGM_RSRC2:USER_SGPR: 15
; COMPUTE_PGM_RSRC2:TRAP_HANDLER: 0
; COMPUTE_PGM_RSRC2:TGID_X_EN: 1
; COMPUTE_PGM_RSRC2:TGID_Y_EN: 0
; COMPUTE_PGM_RSRC2:TGID_Z_EN: 0
; COMPUTE_PGM_RSRC2:TIDIG_COMP_CNT: 0
	.section	.text._ZN7rocprim17ROCPRIM_400000_NS6detail17trampoline_kernelINS0_14default_configENS1_29reduce_by_key_config_selectorIssN6thrust23THRUST_200600_302600_NS4plusIsEEEEZZNS1_33reduce_by_key_impl_wrapped_configILNS1_25lookback_scan_determinismE0ES3_S9_NS6_6detail15normal_iteratorINS6_10device_ptrIsEEEESG_SG_SG_PmS8_NS6_8equal_toIsEEEE10hipError_tPvRmT2_T3_mT4_T5_T6_T7_T8_P12ihipStream_tbENKUlT_T0_E_clISt17integral_constantIbLb0EES10_IbLb1EEEEDaSW_SX_EUlSW_E_NS1_11comp_targetILNS1_3genE0ELNS1_11target_archE4294967295ELNS1_3gpuE0ELNS1_3repE0EEENS1_30default_config_static_selectorELNS0_4arch9wavefront6targetE0EEEvT1_,"axG",@progbits,_ZN7rocprim17ROCPRIM_400000_NS6detail17trampoline_kernelINS0_14default_configENS1_29reduce_by_key_config_selectorIssN6thrust23THRUST_200600_302600_NS4plusIsEEEEZZNS1_33reduce_by_key_impl_wrapped_configILNS1_25lookback_scan_determinismE0ES3_S9_NS6_6detail15normal_iteratorINS6_10device_ptrIsEEEESG_SG_SG_PmS8_NS6_8equal_toIsEEEE10hipError_tPvRmT2_T3_mT4_T5_T6_T7_T8_P12ihipStream_tbENKUlT_T0_E_clISt17integral_constantIbLb0EES10_IbLb1EEEEDaSW_SX_EUlSW_E_NS1_11comp_targetILNS1_3genE0ELNS1_11target_archE4294967295ELNS1_3gpuE0ELNS1_3repE0EEENS1_30default_config_static_selectorELNS0_4arch9wavefront6targetE0EEEvT1_,comdat
	.protected	_ZN7rocprim17ROCPRIM_400000_NS6detail17trampoline_kernelINS0_14default_configENS1_29reduce_by_key_config_selectorIssN6thrust23THRUST_200600_302600_NS4plusIsEEEEZZNS1_33reduce_by_key_impl_wrapped_configILNS1_25lookback_scan_determinismE0ES3_S9_NS6_6detail15normal_iteratorINS6_10device_ptrIsEEEESG_SG_SG_PmS8_NS6_8equal_toIsEEEE10hipError_tPvRmT2_T3_mT4_T5_T6_T7_T8_P12ihipStream_tbENKUlT_T0_E_clISt17integral_constantIbLb0EES10_IbLb1EEEEDaSW_SX_EUlSW_E_NS1_11comp_targetILNS1_3genE0ELNS1_11target_archE4294967295ELNS1_3gpuE0ELNS1_3repE0EEENS1_30default_config_static_selectorELNS0_4arch9wavefront6targetE0EEEvT1_ ; -- Begin function _ZN7rocprim17ROCPRIM_400000_NS6detail17trampoline_kernelINS0_14default_configENS1_29reduce_by_key_config_selectorIssN6thrust23THRUST_200600_302600_NS4plusIsEEEEZZNS1_33reduce_by_key_impl_wrapped_configILNS1_25lookback_scan_determinismE0ES3_S9_NS6_6detail15normal_iteratorINS6_10device_ptrIsEEEESG_SG_SG_PmS8_NS6_8equal_toIsEEEE10hipError_tPvRmT2_T3_mT4_T5_T6_T7_T8_P12ihipStream_tbENKUlT_T0_E_clISt17integral_constantIbLb0EES10_IbLb1EEEEDaSW_SX_EUlSW_E_NS1_11comp_targetILNS1_3genE0ELNS1_11target_archE4294967295ELNS1_3gpuE0ELNS1_3repE0EEENS1_30default_config_static_selectorELNS0_4arch9wavefront6targetE0EEEvT1_
	.globl	_ZN7rocprim17ROCPRIM_400000_NS6detail17trampoline_kernelINS0_14default_configENS1_29reduce_by_key_config_selectorIssN6thrust23THRUST_200600_302600_NS4plusIsEEEEZZNS1_33reduce_by_key_impl_wrapped_configILNS1_25lookback_scan_determinismE0ES3_S9_NS6_6detail15normal_iteratorINS6_10device_ptrIsEEEESG_SG_SG_PmS8_NS6_8equal_toIsEEEE10hipError_tPvRmT2_T3_mT4_T5_T6_T7_T8_P12ihipStream_tbENKUlT_T0_E_clISt17integral_constantIbLb0EES10_IbLb1EEEEDaSW_SX_EUlSW_E_NS1_11comp_targetILNS1_3genE0ELNS1_11target_archE4294967295ELNS1_3gpuE0ELNS1_3repE0EEENS1_30default_config_static_selectorELNS0_4arch9wavefront6targetE0EEEvT1_
	.p2align	8
	.type	_ZN7rocprim17ROCPRIM_400000_NS6detail17trampoline_kernelINS0_14default_configENS1_29reduce_by_key_config_selectorIssN6thrust23THRUST_200600_302600_NS4plusIsEEEEZZNS1_33reduce_by_key_impl_wrapped_configILNS1_25lookback_scan_determinismE0ES3_S9_NS6_6detail15normal_iteratorINS6_10device_ptrIsEEEESG_SG_SG_PmS8_NS6_8equal_toIsEEEE10hipError_tPvRmT2_T3_mT4_T5_T6_T7_T8_P12ihipStream_tbENKUlT_T0_E_clISt17integral_constantIbLb0EES10_IbLb1EEEEDaSW_SX_EUlSW_E_NS1_11comp_targetILNS1_3genE0ELNS1_11target_archE4294967295ELNS1_3gpuE0ELNS1_3repE0EEENS1_30default_config_static_selectorELNS0_4arch9wavefront6targetE0EEEvT1_,@function
_ZN7rocprim17ROCPRIM_400000_NS6detail17trampoline_kernelINS0_14default_configENS1_29reduce_by_key_config_selectorIssN6thrust23THRUST_200600_302600_NS4plusIsEEEEZZNS1_33reduce_by_key_impl_wrapped_configILNS1_25lookback_scan_determinismE0ES3_S9_NS6_6detail15normal_iteratorINS6_10device_ptrIsEEEESG_SG_SG_PmS8_NS6_8equal_toIsEEEE10hipError_tPvRmT2_T3_mT4_T5_T6_T7_T8_P12ihipStream_tbENKUlT_T0_E_clISt17integral_constantIbLb0EES10_IbLb1EEEEDaSW_SX_EUlSW_E_NS1_11comp_targetILNS1_3genE0ELNS1_11target_archE4294967295ELNS1_3gpuE0ELNS1_3repE0EEENS1_30default_config_static_selectorELNS0_4arch9wavefront6targetE0EEEvT1_: ; @_ZN7rocprim17ROCPRIM_400000_NS6detail17trampoline_kernelINS0_14default_configENS1_29reduce_by_key_config_selectorIssN6thrust23THRUST_200600_302600_NS4plusIsEEEEZZNS1_33reduce_by_key_impl_wrapped_configILNS1_25lookback_scan_determinismE0ES3_S9_NS6_6detail15normal_iteratorINS6_10device_ptrIsEEEESG_SG_SG_PmS8_NS6_8equal_toIsEEEE10hipError_tPvRmT2_T3_mT4_T5_T6_T7_T8_P12ihipStream_tbENKUlT_T0_E_clISt17integral_constantIbLb0EES10_IbLb1EEEEDaSW_SX_EUlSW_E_NS1_11comp_targetILNS1_3genE0ELNS1_11target_archE4294967295ELNS1_3gpuE0ELNS1_3repE0EEENS1_30default_config_static_selectorELNS0_4arch9wavefront6targetE0EEEvT1_
; %bb.0:
	.section	.rodata,"a",@progbits
	.p2align	6, 0x0
	.amdhsa_kernel _ZN7rocprim17ROCPRIM_400000_NS6detail17trampoline_kernelINS0_14default_configENS1_29reduce_by_key_config_selectorIssN6thrust23THRUST_200600_302600_NS4plusIsEEEEZZNS1_33reduce_by_key_impl_wrapped_configILNS1_25lookback_scan_determinismE0ES3_S9_NS6_6detail15normal_iteratorINS6_10device_ptrIsEEEESG_SG_SG_PmS8_NS6_8equal_toIsEEEE10hipError_tPvRmT2_T3_mT4_T5_T6_T7_T8_P12ihipStream_tbENKUlT_T0_E_clISt17integral_constantIbLb0EES10_IbLb1EEEEDaSW_SX_EUlSW_E_NS1_11comp_targetILNS1_3genE0ELNS1_11target_archE4294967295ELNS1_3gpuE0ELNS1_3repE0EEENS1_30default_config_static_selectorELNS0_4arch9wavefront6targetE0EEEvT1_
		.amdhsa_group_segment_fixed_size 0
		.amdhsa_private_segment_fixed_size 0
		.amdhsa_kernarg_size 120
		.amdhsa_user_sgpr_count 15
		.amdhsa_user_sgpr_dispatch_ptr 0
		.amdhsa_user_sgpr_queue_ptr 0
		.amdhsa_user_sgpr_kernarg_segment_ptr 1
		.amdhsa_user_sgpr_dispatch_id 0
		.amdhsa_user_sgpr_private_segment_size 0
		.amdhsa_wavefront_size32 1
		.amdhsa_uses_dynamic_stack 0
		.amdhsa_enable_private_segment 0
		.amdhsa_system_sgpr_workgroup_id_x 1
		.amdhsa_system_sgpr_workgroup_id_y 0
		.amdhsa_system_sgpr_workgroup_id_z 0
		.amdhsa_system_sgpr_workgroup_info 0
		.amdhsa_system_vgpr_workitem_id 0
		.amdhsa_next_free_vgpr 1
		.amdhsa_next_free_sgpr 1
		.amdhsa_reserve_vcc 0
		.amdhsa_float_round_mode_32 0
		.amdhsa_float_round_mode_16_64 0
		.amdhsa_float_denorm_mode_32 3
		.amdhsa_float_denorm_mode_16_64 3
		.amdhsa_dx10_clamp 1
		.amdhsa_ieee_mode 1
		.amdhsa_fp16_overflow 0
		.amdhsa_workgroup_processor_mode 1
		.amdhsa_memory_ordered 1
		.amdhsa_forward_progress 0
		.amdhsa_shared_vgpr_count 0
		.amdhsa_exception_fp_ieee_invalid_op 0
		.amdhsa_exception_fp_denorm_src 0
		.amdhsa_exception_fp_ieee_div_zero 0
		.amdhsa_exception_fp_ieee_overflow 0
		.amdhsa_exception_fp_ieee_underflow 0
		.amdhsa_exception_fp_ieee_inexact 0
		.amdhsa_exception_int_div_zero 0
	.end_amdhsa_kernel
	.section	.text._ZN7rocprim17ROCPRIM_400000_NS6detail17trampoline_kernelINS0_14default_configENS1_29reduce_by_key_config_selectorIssN6thrust23THRUST_200600_302600_NS4plusIsEEEEZZNS1_33reduce_by_key_impl_wrapped_configILNS1_25lookback_scan_determinismE0ES3_S9_NS6_6detail15normal_iteratorINS6_10device_ptrIsEEEESG_SG_SG_PmS8_NS6_8equal_toIsEEEE10hipError_tPvRmT2_T3_mT4_T5_T6_T7_T8_P12ihipStream_tbENKUlT_T0_E_clISt17integral_constantIbLb0EES10_IbLb1EEEEDaSW_SX_EUlSW_E_NS1_11comp_targetILNS1_3genE0ELNS1_11target_archE4294967295ELNS1_3gpuE0ELNS1_3repE0EEENS1_30default_config_static_selectorELNS0_4arch9wavefront6targetE0EEEvT1_,"axG",@progbits,_ZN7rocprim17ROCPRIM_400000_NS6detail17trampoline_kernelINS0_14default_configENS1_29reduce_by_key_config_selectorIssN6thrust23THRUST_200600_302600_NS4plusIsEEEEZZNS1_33reduce_by_key_impl_wrapped_configILNS1_25lookback_scan_determinismE0ES3_S9_NS6_6detail15normal_iteratorINS6_10device_ptrIsEEEESG_SG_SG_PmS8_NS6_8equal_toIsEEEE10hipError_tPvRmT2_T3_mT4_T5_T6_T7_T8_P12ihipStream_tbENKUlT_T0_E_clISt17integral_constantIbLb0EES10_IbLb1EEEEDaSW_SX_EUlSW_E_NS1_11comp_targetILNS1_3genE0ELNS1_11target_archE4294967295ELNS1_3gpuE0ELNS1_3repE0EEENS1_30default_config_static_selectorELNS0_4arch9wavefront6targetE0EEEvT1_,comdat
.Lfunc_end652:
	.size	_ZN7rocprim17ROCPRIM_400000_NS6detail17trampoline_kernelINS0_14default_configENS1_29reduce_by_key_config_selectorIssN6thrust23THRUST_200600_302600_NS4plusIsEEEEZZNS1_33reduce_by_key_impl_wrapped_configILNS1_25lookback_scan_determinismE0ES3_S9_NS6_6detail15normal_iteratorINS6_10device_ptrIsEEEESG_SG_SG_PmS8_NS6_8equal_toIsEEEE10hipError_tPvRmT2_T3_mT4_T5_T6_T7_T8_P12ihipStream_tbENKUlT_T0_E_clISt17integral_constantIbLb0EES10_IbLb1EEEEDaSW_SX_EUlSW_E_NS1_11comp_targetILNS1_3genE0ELNS1_11target_archE4294967295ELNS1_3gpuE0ELNS1_3repE0EEENS1_30default_config_static_selectorELNS0_4arch9wavefront6targetE0EEEvT1_, .Lfunc_end652-_ZN7rocprim17ROCPRIM_400000_NS6detail17trampoline_kernelINS0_14default_configENS1_29reduce_by_key_config_selectorIssN6thrust23THRUST_200600_302600_NS4plusIsEEEEZZNS1_33reduce_by_key_impl_wrapped_configILNS1_25lookback_scan_determinismE0ES3_S9_NS6_6detail15normal_iteratorINS6_10device_ptrIsEEEESG_SG_SG_PmS8_NS6_8equal_toIsEEEE10hipError_tPvRmT2_T3_mT4_T5_T6_T7_T8_P12ihipStream_tbENKUlT_T0_E_clISt17integral_constantIbLb0EES10_IbLb1EEEEDaSW_SX_EUlSW_E_NS1_11comp_targetILNS1_3genE0ELNS1_11target_archE4294967295ELNS1_3gpuE0ELNS1_3repE0EEENS1_30default_config_static_selectorELNS0_4arch9wavefront6targetE0EEEvT1_
                                        ; -- End function
	.section	.AMDGPU.csdata,"",@progbits
; Kernel info:
; codeLenInByte = 0
; NumSgprs: 0
; NumVgprs: 0
; ScratchSize: 0
; MemoryBound: 0
; FloatMode: 240
; IeeeMode: 1
; LDSByteSize: 0 bytes/workgroup (compile time only)
; SGPRBlocks: 0
; VGPRBlocks: 0
; NumSGPRsForWavesPerEU: 1
; NumVGPRsForWavesPerEU: 1
; Occupancy: 16
; WaveLimiterHint : 0
; COMPUTE_PGM_RSRC2:SCRATCH_EN: 0
; COMPUTE_PGM_RSRC2:USER_SGPR: 15
; COMPUTE_PGM_RSRC2:TRAP_HANDLER: 0
; COMPUTE_PGM_RSRC2:TGID_X_EN: 1
; COMPUTE_PGM_RSRC2:TGID_Y_EN: 0
; COMPUTE_PGM_RSRC2:TGID_Z_EN: 0
; COMPUTE_PGM_RSRC2:TIDIG_COMP_CNT: 0
	.section	.text._ZN7rocprim17ROCPRIM_400000_NS6detail17trampoline_kernelINS0_14default_configENS1_29reduce_by_key_config_selectorIssN6thrust23THRUST_200600_302600_NS4plusIsEEEEZZNS1_33reduce_by_key_impl_wrapped_configILNS1_25lookback_scan_determinismE0ES3_S9_NS6_6detail15normal_iteratorINS6_10device_ptrIsEEEESG_SG_SG_PmS8_NS6_8equal_toIsEEEE10hipError_tPvRmT2_T3_mT4_T5_T6_T7_T8_P12ihipStream_tbENKUlT_T0_E_clISt17integral_constantIbLb0EES10_IbLb1EEEEDaSW_SX_EUlSW_E_NS1_11comp_targetILNS1_3genE5ELNS1_11target_archE942ELNS1_3gpuE9ELNS1_3repE0EEENS1_30default_config_static_selectorELNS0_4arch9wavefront6targetE0EEEvT1_,"axG",@progbits,_ZN7rocprim17ROCPRIM_400000_NS6detail17trampoline_kernelINS0_14default_configENS1_29reduce_by_key_config_selectorIssN6thrust23THRUST_200600_302600_NS4plusIsEEEEZZNS1_33reduce_by_key_impl_wrapped_configILNS1_25lookback_scan_determinismE0ES3_S9_NS6_6detail15normal_iteratorINS6_10device_ptrIsEEEESG_SG_SG_PmS8_NS6_8equal_toIsEEEE10hipError_tPvRmT2_T3_mT4_T5_T6_T7_T8_P12ihipStream_tbENKUlT_T0_E_clISt17integral_constantIbLb0EES10_IbLb1EEEEDaSW_SX_EUlSW_E_NS1_11comp_targetILNS1_3genE5ELNS1_11target_archE942ELNS1_3gpuE9ELNS1_3repE0EEENS1_30default_config_static_selectorELNS0_4arch9wavefront6targetE0EEEvT1_,comdat
	.protected	_ZN7rocprim17ROCPRIM_400000_NS6detail17trampoline_kernelINS0_14default_configENS1_29reduce_by_key_config_selectorIssN6thrust23THRUST_200600_302600_NS4plusIsEEEEZZNS1_33reduce_by_key_impl_wrapped_configILNS1_25lookback_scan_determinismE0ES3_S9_NS6_6detail15normal_iteratorINS6_10device_ptrIsEEEESG_SG_SG_PmS8_NS6_8equal_toIsEEEE10hipError_tPvRmT2_T3_mT4_T5_T6_T7_T8_P12ihipStream_tbENKUlT_T0_E_clISt17integral_constantIbLb0EES10_IbLb1EEEEDaSW_SX_EUlSW_E_NS1_11comp_targetILNS1_3genE5ELNS1_11target_archE942ELNS1_3gpuE9ELNS1_3repE0EEENS1_30default_config_static_selectorELNS0_4arch9wavefront6targetE0EEEvT1_ ; -- Begin function _ZN7rocprim17ROCPRIM_400000_NS6detail17trampoline_kernelINS0_14default_configENS1_29reduce_by_key_config_selectorIssN6thrust23THRUST_200600_302600_NS4plusIsEEEEZZNS1_33reduce_by_key_impl_wrapped_configILNS1_25lookback_scan_determinismE0ES3_S9_NS6_6detail15normal_iteratorINS6_10device_ptrIsEEEESG_SG_SG_PmS8_NS6_8equal_toIsEEEE10hipError_tPvRmT2_T3_mT4_T5_T6_T7_T8_P12ihipStream_tbENKUlT_T0_E_clISt17integral_constantIbLb0EES10_IbLb1EEEEDaSW_SX_EUlSW_E_NS1_11comp_targetILNS1_3genE5ELNS1_11target_archE942ELNS1_3gpuE9ELNS1_3repE0EEENS1_30default_config_static_selectorELNS0_4arch9wavefront6targetE0EEEvT1_
	.globl	_ZN7rocprim17ROCPRIM_400000_NS6detail17trampoline_kernelINS0_14default_configENS1_29reduce_by_key_config_selectorIssN6thrust23THRUST_200600_302600_NS4plusIsEEEEZZNS1_33reduce_by_key_impl_wrapped_configILNS1_25lookback_scan_determinismE0ES3_S9_NS6_6detail15normal_iteratorINS6_10device_ptrIsEEEESG_SG_SG_PmS8_NS6_8equal_toIsEEEE10hipError_tPvRmT2_T3_mT4_T5_T6_T7_T8_P12ihipStream_tbENKUlT_T0_E_clISt17integral_constantIbLb0EES10_IbLb1EEEEDaSW_SX_EUlSW_E_NS1_11comp_targetILNS1_3genE5ELNS1_11target_archE942ELNS1_3gpuE9ELNS1_3repE0EEENS1_30default_config_static_selectorELNS0_4arch9wavefront6targetE0EEEvT1_
	.p2align	8
	.type	_ZN7rocprim17ROCPRIM_400000_NS6detail17trampoline_kernelINS0_14default_configENS1_29reduce_by_key_config_selectorIssN6thrust23THRUST_200600_302600_NS4plusIsEEEEZZNS1_33reduce_by_key_impl_wrapped_configILNS1_25lookback_scan_determinismE0ES3_S9_NS6_6detail15normal_iteratorINS6_10device_ptrIsEEEESG_SG_SG_PmS8_NS6_8equal_toIsEEEE10hipError_tPvRmT2_T3_mT4_T5_T6_T7_T8_P12ihipStream_tbENKUlT_T0_E_clISt17integral_constantIbLb0EES10_IbLb1EEEEDaSW_SX_EUlSW_E_NS1_11comp_targetILNS1_3genE5ELNS1_11target_archE942ELNS1_3gpuE9ELNS1_3repE0EEENS1_30default_config_static_selectorELNS0_4arch9wavefront6targetE0EEEvT1_,@function
_ZN7rocprim17ROCPRIM_400000_NS6detail17trampoline_kernelINS0_14default_configENS1_29reduce_by_key_config_selectorIssN6thrust23THRUST_200600_302600_NS4plusIsEEEEZZNS1_33reduce_by_key_impl_wrapped_configILNS1_25lookback_scan_determinismE0ES3_S9_NS6_6detail15normal_iteratorINS6_10device_ptrIsEEEESG_SG_SG_PmS8_NS6_8equal_toIsEEEE10hipError_tPvRmT2_T3_mT4_T5_T6_T7_T8_P12ihipStream_tbENKUlT_T0_E_clISt17integral_constantIbLb0EES10_IbLb1EEEEDaSW_SX_EUlSW_E_NS1_11comp_targetILNS1_3genE5ELNS1_11target_archE942ELNS1_3gpuE9ELNS1_3repE0EEENS1_30default_config_static_selectorELNS0_4arch9wavefront6targetE0EEEvT1_: ; @_ZN7rocprim17ROCPRIM_400000_NS6detail17trampoline_kernelINS0_14default_configENS1_29reduce_by_key_config_selectorIssN6thrust23THRUST_200600_302600_NS4plusIsEEEEZZNS1_33reduce_by_key_impl_wrapped_configILNS1_25lookback_scan_determinismE0ES3_S9_NS6_6detail15normal_iteratorINS6_10device_ptrIsEEEESG_SG_SG_PmS8_NS6_8equal_toIsEEEE10hipError_tPvRmT2_T3_mT4_T5_T6_T7_T8_P12ihipStream_tbENKUlT_T0_E_clISt17integral_constantIbLb0EES10_IbLb1EEEEDaSW_SX_EUlSW_E_NS1_11comp_targetILNS1_3genE5ELNS1_11target_archE942ELNS1_3gpuE9ELNS1_3repE0EEENS1_30default_config_static_selectorELNS0_4arch9wavefront6targetE0EEEvT1_
; %bb.0:
	.section	.rodata,"a",@progbits
	.p2align	6, 0x0
	.amdhsa_kernel _ZN7rocprim17ROCPRIM_400000_NS6detail17trampoline_kernelINS0_14default_configENS1_29reduce_by_key_config_selectorIssN6thrust23THRUST_200600_302600_NS4plusIsEEEEZZNS1_33reduce_by_key_impl_wrapped_configILNS1_25lookback_scan_determinismE0ES3_S9_NS6_6detail15normal_iteratorINS6_10device_ptrIsEEEESG_SG_SG_PmS8_NS6_8equal_toIsEEEE10hipError_tPvRmT2_T3_mT4_T5_T6_T7_T8_P12ihipStream_tbENKUlT_T0_E_clISt17integral_constantIbLb0EES10_IbLb1EEEEDaSW_SX_EUlSW_E_NS1_11comp_targetILNS1_3genE5ELNS1_11target_archE942ELNS1_3gpuE9ELNS1_3repE0EEENS1_30default_config_static_selectorELNS0_4arch9wavefront6targetE0EEEvT1_
		.amdhsa_group_segment_fixed_size 0
		.amdhsa_private_segment_fixed_size 0
		.amdhsa_kernarg_size 120
		.amdhsa_user_sgpr_count 15
		.amdhsa_user_sgpr_dispatch_ptr 0
		.amdhsa_user_sgpr_queue_ptr 0
		.amdhsa_user_sgpr_kernarg_segment_ptr 1
		.amdhsa_user_sgpr_dispatch_id 0
		.amdhsa_user_sgpr_private_segment_size 0
		.amdhsa_wavefront_size32 1
		.amdhsa_uses_dynamic_stack 0
		.amdhsa_enable_private_segment 0
		.amdhsa_system_sgpr_workgroup_id_x 1
		.amdhsa_system_sgpr_workgroup_id_y 0
		.amdhsa_system_sgpr_workgroup_id_z 0
		.amdhsa_system_sgpr_workgroup_info 0
		.amdhsa_system_vgpr_workitem_id 0
		.amdhsa_next_free_vgpr 1
		.amdhsa_next_free_sgpr 1
		.amdhsa_reserve_vcc 0
		.amdhsa_float_round_mode_32 0
		.amdhsa_float_round_mode_16_64 0
		.amdhsa_float_denorm_mode_32 3
		.amdhsa_float_denorm_mode_16_64 3
		.amdhsa_dx10_clamp 1
		.amdhsa_ieee_mode 1
		.amdhsa_fp16_overflow 0
		.amdhsa_workgroup_processor_mode 1
		.amdhsa_memory_ordered 1
		.amdhsa_forward_progress 0
		.amdhsa_shared_vgpr_count 0
		.amdhsa_exception_fp_ieee_invalid_op 0
		.amdhsa_exception_fp_denorm_src 0
		.amdhsa_exception_fp_ieee_div_zero 0
		.amdhsa_exception_fp_ieee_overflow 0
		.amdhsa_exception_fp_ieee_underflow 0
		.amdhsa_exception_fp_ieee_inexact 0
		.amdhsa_exception_int_div_zero 0
	.end_amdhsa_kernel
	.section	.text._ZN7rocprim17ROCPRIM_400000_NS6detail17trampoline_kernelINS0_14default_configENS1_29reduce_by_key_config_selectorIssN6thrust23THRUST_200600_302600_NS4plusIsEEEEZZNS1_33reduce_by_key_impl_wrapped_configILNS1_25lookback_scan_determinismE0ES3_S9_NS6_6detail15normal_iteratorINS6_10device_ptrIsEEEESG_SG_SG_PmS8_NS6_8equal_toIsEEEE10hipError_tPvRmT2_T3_mT4_T5_T6_T7_T8_P12ihipStream_tbENKUlT_T0_E_clISt17integral_constantIbLb0EES10_IbLb1EEEEDaSW_SX_EUlSW_E_NS1_11comp_targetILNS1_3genE5ELNS1_11target_archE942ELNS1_3gpuE9ELNS1_3repE0EEENS1_30default_config_static_selectorELNS0_4arch9wavefront6targetE0EEEvT1_,"axG",@progbits,_ZN7rocprim17ROCPRIM_400000_NS6detail17trampoline_kernelINS0_14default_configENS1_29reduce_by_key_config_selectorIssN6thrust23THRUST_200600_302600_NS4plusIsEEEEZZNS1_33reduce_by_key_impl_wrapped_configILNS1_25lookback_scan_determinismE0ES3_S9_NS6_6detail15normal_iteratorINS6_10device_ptrIsEEEESG_SG_SG_PmS8_NS6_8equal_toIsEEEE10hipError_tPvRmT2_T3_mT4_T5_T6_T7_T8_P12ihipStream_tbENKUlT_T0_E_clISt17integral_constantIbLb0EES10_IbLb1EEEEDaSW_SX_EUlSW_E_NS1_11comp_targetILNS1_3genE5ELNS1_11target_archE942ELNS1_3gpuE9ELNS1_3repE0EEENS1_30default_config_static_selectorELNS0_4arch9wavefront6targetE0EEEvT1_,comdat
.Lfunc_end653:
	.size	_ZN7rocprim17ROCPRIM_400000_NS6detail17trampoline_kernelINS0_14default_configENS1_29reduce_by_key_config_selectorIssN6thrust23THRUST_200600_302600_NS4plusIsEEEEZZNS1_33reduce_by_key_impl_wrapped_configILNS1_25lookback_scan_determinismE0ES3_S9_NS6_6detail15normal_iteratorINS6_10device_ptrIsEEEESG_SG_SG_PmS8_NS6_8equal_toIsEEEE10hipError_tPvRmT2_T3_mT4_T5_T6_T7_T8_P12ihipStream_tbENKUlT_T0_E_clISt17integral_constantIbLb0EES10_IbLb1EEEEDaSW_SX_EUlSW_E_NS1_11comp_targetILNS1_3genE5ELNS1_11target_archE942ELNS1_3gpuE9ELNS1_3repE0EEENS1_30default_config_static_selectorELNS0_4arch9wavefront6targetE0EEEvT1_, .Lfunc_end653-_ZN7rocprim17ROCPRIM_400000_NS6detail17trampoline_kernelINS0_14default_configENS1_29reduce_by_key_config_selectorIssN6thrust23THRUST_200600_302600_NS4plusIsEEEEZZNS1_33reduce_by_key_impl_wrapped_configILNS1_25lookback_scan_determinismE0ES3_S9_NS6_6detail15normal_iteratorINS6_10device_ptrIsEEEESG_SG_SG_PmS8_NS6_8equal_toIsEEEE10hipError_tPvRmT2_T3_mT4_T5_T6_T7_T8_P12ihipStream_tbENKUlT_T0_E_clISt17integral_constantIbLb0EES10_IbLb1EEEEDaSW_SX_EUlSW_E_NS1_11comp_targetILNS1_3genE5ELNS1_11target_archE942ELNS1_3gpuE9ELNS1_3repE0EEENS1_30default_config_static_selectorELNS0_4arch9wavefront6targetE0EEEvT1_
                                        ; -- End function
	.section	.AMDGPU.csdata,"",@progbits
; Kernel info:
; codeLenInByte = 0
; NumSgprs: 0
; NumVgprs: 0
; ScratchSize: 0
; MemoryBound: 0
; FloatMode: 240
; IeeeMode: 1
; LDSByteSize: 0 bytes/workgroup (compile time only)
; SGPRBlocks: 0
; VGPRBlocks: 0
; NumSGPRsForWavesPerEU: 1
; NumVGPRsForWavesPerEU: 1
; Occupancy: 16
; WaveLimiterHint : 0
; COMPUTE_PGM_RSRC2:SCRATCH_EN: 0
; COMPUTE_PGM_RSRC2:USER_SGPR: 15
; COMPUTE_PGM_RSRC2:TRAP_HANDLER: 0
; COMPUTE_PGM_RSRC2:TGID_X_EN: 1
; COMPUTE_PGM_RSRC2:TGID_Y_EN: 0
; COMPUTE_PGM_RSRC2:TGID_Z_EN: 0
; COMPUTE_PGM_RSRC2:TIDIG_COMP_CNT: 0
	.section	.text._ZN7rocprim17ROCPRIM_400000_NS6detail17trampoline_kernelINS0_14default_configENS1_29reduce_by_key_config_selectorIssN6thrust23THRUST_200600_302600_NS4plusIsEEEEZZNS1_33reduce_by_key_impl_wrapped_configILNS1_25lookback_scan_determinismE0ES3_S9_NS6_6detail15normal_iteratorINS6_10device_ptrIsEEEESG_SG_SG_PmS8_NS6_8equal_toIsEEEE10hipError_tPvRmT2_T3_mT4_T5_T6_T7_T8_P12ihipStream_tbENKUlT_T0_E_clISt17integral_constantIbLb0EES10_IbLb1EEEEDaSW_SX_EUlSW_E_NS1_11comp_targetILNS1_3genE4ELNS1_11target_archE910ELNS1_3gpuE8ELNS1_3repE0EEENS1_30default_config_static_selectorELNS0_4arch9wavefront6targetE0EEEvT1_,"axG",@progbits,_ZN7rocprim17ROCPRIM_400000_NS6detail17trampoline_kernelINS0_14default_configENS1_29reduce_by_key_config_selectorIssN6thrust23THRUST_200600_302600_NS4plusIsEEEEZZNS1_33reduce_by_key_impl_wrapped_configILNS1_25lookback_scan_determinismE0ES3_S9_NS6_6detail15normal_iteratorINS6_10device_ptrIsEEEESG_SG_SG_PmS8_NS6_8equal_toIsEEEE10hipError_tPvRmT2_T3_mT4_T5_T6_T7_T8_P12ihipStream_tbENKUlT_T0_E_clISt17integral_constantIbLb0EES10_IbLb1EEEEDaSW_SX_EUlSW_E_NS1_11comp_targetILNS1_3genE4ELNS1_11target_archE910ELNS1_3gpuE8ELNS1_3repE0EEENS1_30default_config_static_selectorELNS0_4arch9wavefront6targetE0EEEvT1_,comdat
	.protected	_ZN7rocprim17ROCPRIM_400000_NS6detail17trampoline_kernelINS0_14default_configENS1_29reduce_by_key_config_selectorIssN6thrust23THRUST_200600_302600_NS4plusIsEEEEZZNS1_33reduce_by_key_impl_wrapped_configILNS1_25lookback_scan_determinismE0ES3_S9_NS6_6detail15normal_iteratorINS6_10device_ptrIsEEEESG_SG_SG_PmS8_NS6_8equal_toIsEEEE10hipError_tPvRmT2_T3_mT4_T5_T6_T7_T8_P12ihipStream_tbENKUlT_T0_E_clISt17integral_constantIbLb0EES10_IbLb1EEEEDaSW_SX_EUlSW_E_NS1_11comp_targetILNS1_3genE4ELNS1_11target_archE910ELNS1_3gpuE8ELNS1_3repE0EEENS1_30default_config_static_selectorELNS0_4arch9wavefront6targetE0EEEvT1_ ; -- Begin function _ZN7rocprim17ROCPRIM_400000_NS6detail17trampoline_kernelINS0_14default_configENS1_29reduce_by_key_config_selectorIssN6thrust23THRUST_200600_302600_NS4plusIsEEEEZZNS1_33reduce_by_key_impl_wrapped_configILNS1_25lookback_scan_determinismE0ES3_S9_NS6_6detail15normal_iteratorINS6_10device_ptrIsEEEESG_SG_SG_PmS8_NS6_8equal_toIsEEEE10hipError_tPvRmT2_T3_mT4_T5_T6_T7_T8_P12ihipStream_tbENKUlT_T0_E_clISt17integral_constantIbLb0EES10_IbLb1EEEEDaSW_SX_EUlSW_E_NS1_11comp_targetILNS1_3genE4ELNS1_11target_archE910ELNS1_3gpuE8ELNS1_3repE0EEENS1_30default_config_static_selectorELNS0_4arch9wavefront6targetE0EEEvT1_
	.globl	_ZN7rocprim17ROCPRIM_400000_NS6detail17trampoline_kernelINS0_14default_configENS1_29reduce_by_key_config_selectorIssN6thrust23THRUST_200600_302600_NS4plusIsEEEEZZNS1_33reduce_by_key_impl_wrapped_configILNS1_25lookback_scan_determinismE0ES3_S9_NS6_6detail15normal_iteratorINS6_10device_ptrIsEEEESG_SG_SG_PmS8_NS6_8equal_toIsEEEE10hipError_tPvRmT2_T3_mT4_T5_T6_T7_T8_P12ihipStream_tbENKUlT_T0_E_clISt17integral_constantIbLb0EES10_IbLb1EEEEDaSW_SX_EUlSW_E_NS1_11comp_targetILNS1_3genE4ELNS1_11target_archE910ELNS1_3gpuE8ELNS1_3repE0EEENS1_30default_config_static_selectorELNS0_4arch9wavefront6targetE0EEEvT1_
	.p2align	8
	.type	_ZN7rocprim17ROCPRIM_400000_NS6detail17trampoline_kernelINS0_14default_configENS1_29reduce_by_key_config_selectorIssN6thrust23THRUST_200600_302600_NS4plusIsEEEEZZNS1_33reduce_by_key_impl_wrapped_configILNS1_25lookback_scan_determinismE0ES3_S9_NS6_6detail15normal_iteratorINS6_10device_ptrIsEEEESG_SG_SG_PmS8_NS6_8equal_toIsEEEE10hipError_tPvRmT2_T3_mT4_T5_T6_T7_T8_P12ihipStream_tbENKUlT_T0_E_clISt17integral_constantIbLb0EES10_IbLb1EEEEDaSW_SX_EUlSW_E_NS1_11comp_targetILNS1_3genE4ELNS1_11target_archE910ELNS1_3gpuE8ELNS1_3repE0EEENS1_30default_config_static_selectorELNS0_4arch9wavefront6targetE0EEEvT1_,@function
_ZN7rocprim17ROCPRIM_400000_NS6detail17trampoline_kernelINS0_14default_configENS1_29reduce_by_key_config_selectorIssN6thrust23THRUST_200600_302600_NS4plusIsEEEEZZNS1_33reduce_by_key_impl_wrapped_configILNS1_25lookback_scan_determinismE0ES3_S9_NS6_6detail15normal_iteratorINS6_10device_ptrIsEEEESG_SG_SG_PmS8_NS6_8equal_toIsEEEE10hipError_tPvRmT2_T3_mT4_T5_T6_T7_T8_P12ihipStream_tbENKUlT_T0_E_clISt17integral_constantIbLb0EES10_IbLb1EEEEDaSW_SX_EUlSW_E_NS1_11comp_targetILNS1_3genE4ELNS1_11target_archE910ELNS1_3gpuE8ELNS1_3repE0EEENS1_30default_config_static_selectorELNS0_4arch9wavefront6targetE0EEEvT1_: ; @_ZN7rocprim17ROCPRIM_400000_NS6detail17trampoline_kernelINS0_14default_configENS1_29reduce_by_key_config_selectorIssN6thrust23THRUST_200600_302600_NS4plusIsEEEEZZNS1_33reduce_by_key_impl_wrapped_configILNS1_25lookback_scan_determinismE0ES3_S9_NS6_6detail15normal_iteratorINS6_10device_ptrIsEEEESG_SG_SG_PmS8_NS6_8equal_toIsEEEE10hipError_tPvRmT2_T3_mT4_T5_T6_T7_T8_P12ihipStream_tbENKUlT_T0_E_clISt17integral_constantIbLb0EES10_IbLb1EEEEDaSW_SX_EUlSW_E_NS1_11comp_targetILNS1_3genE4ELNS1_11target_archE910ELNS1_3gpuE8ELNS1_3repE0EEENS1_30default_config_static_selectorELNS0_4arch9wavefront6targetE0EEEvT1_
; %bb.0:
	.section	.rodata,"a",@progbits
	.p2align	6, 0x0
	.amdhsa_kernel _ZN7rocprim17ROCPRIM_400000_NS6detail17trampoline_kernelINS0_14default_configENS1_29reduce_by_key_config_selectorIssN6thrust23THRUST_200600_302600_NS4plusIsEEEEZZNS1_33reduce_by_key_impl_wrapped_configILNS1_25lookback_scan_determinismE0ES3_S9_NS6_6detail15normal_iteratorINS6_10device_ptrIsEEEESG_SG_SG_PmS8_NS6_8equal_toIsEEEE10hipError_tPvRmT2_T3_mT4_T5_T6_T7_T8_P12ihipStream_tbENKUlT_T0_E_clISt17integral_constantIbLb0EES10_IbLb1EEEEDaSW_SX_EUlSW_E_NS1_11comp_targetILNS1_3genE4ELNS1_11target_archE910ELNS1_3gpuE8ELNS1_3repE0EEENS1_30default_config_static_selectorELNS0_4arch9wavefront6targetE0EEEvT1_
		.amdhsa_group_segment_fixed_size 0
		.amdhsa_private_segment_fixed_size 0
		.amdhsa_kernarg_size 120
		.amdhsa_user_sgpr_count 15
		.amdhsa_user_sgpr_dispatch_ptr 0
		.amdhsa_user_sgpr_queue_ptr 0
		.amdhsa_user_sgpr_kernarg_segment_ptr 1
		.amdhsa_user_sgpr_dispatch_id 0
		.amdhsa_user_sgpr_private_segment_size 0
		.amdhsa_wavefront_size32 1
		.amdhsa_uses_dynamic_stack 0
		.amdhsa_enable_private_segment 0
		.amdhsa_system_sgpr_workgroup_id_x 1
		.amdhsa_system_sgpr_workgroup_id_y 0
		.amdhsa_system_sgpr_workgroup_id_z 0
		.amdhsa_system_sgpr_workgroup_info 0
		.amdhsa_system_vgpr_workitem_id 0
		.amdhsa_next_free_vgpr 1
		.amdhsa_next_free_sgpr 1
		.amdhsa_reserve_vcc 0
		.amdhsa_float_round_mode_32 0
		.amdhsa_float_round_mode_16_64 0
		.amdhsa_float_denorm_mode_32 3
		.amdhsa_float_denorm_mode_16_64 3
		.amdhsa_dx10_clamp 1
		.amdhsa_ieee_mode 1
		.amdhsa_fp16_overflow 0
		.amdhsa_workgroup_processor_mode 1
		.amdhsa_memory_ordered 1
		.amdhsa_forward_progress 0
		.amdhsa_shared_vgpr_count 0
		.amdhsa_exception_fp_ieee_invalid_op 0
		.amdhsa_exception_fp_denorm_src 0
		.amdhsa_exception_fp_ieee_div_zero 0
		.amdhsa_exception_fp_ieee_overflow 0
		.amdhsa_exception_fp_ieee_underflow 0
		.amdhsa_exception_fp_ieee_inexact 0
		.amdhsa_exception_int_div_zero 0
	.end_amdhsa_kernel
	.section	.text._ZN7rocprim17ROCPRIM_400000_NS6detail17trampoline_kernelINS0_14default_configENS1_29reduce_by_key_config_selectorIssN6thrust23THRUST_200600_302600_NS4plusIsEEEEZZNS1_33reduce_by_key_impl_wrapped_configILNS1_25lookback_scan_determinismE0ES3_S9_NS6_6detail15normal_iteratorINS6_10device_ptrIsEEEESG_SG_SG_PmS8_NS6_8equal_toIsEEEE10hipError_tPvRmT2_T3_mT4_T5_T6_T7_T8_P12ihipStream_tbENKUlT_T0_E_clISt17integral_constantIbLb0EES10_IbLb1EEEEDaSW_SX_EUlSW_E_NS1_11comp_targetILNS1_3genE4ELNS1_11target_archE910ELNS1_3gpuE8ELNS1_3repE0EEENS1_30default_config_static_selectorELNS0_4arch9wavefront6targetE0EEEvT1_,"axG",@progbits,_ZN7rocprim17ROCPRIM_400000_NS6detail17trampoline_kernelINS0_14default_configENS1_29reduce_by_key_config_selectorIssN6thrust23THRUST_200600_302600_NS4plusIsEEEEZZNS1_33reduce_by_key_impl_wrapped_configILNS1_25lookback_scan_determinismE0ES3_S9_NS6_6detail15normal_iteratorINS6_10device_ptrIsEEEESG_SG_SG_PmS8_NS6_8equal_toIsEEEE10hipError_tPvRmT2_T3_mT4_T5_T6_T7_T8_P12ihipStream_tbENKUlT_T0_E_clISt17integral_constantIbLb0EES10_IbLb1EEEEDaSW_SX_EUlSW_E_NS1_11comp_targetILNS1_3genE4ELNS1_11target_archE910ELNS1_3gpuE8ELNS1_3repE0EEENS1_30default_config_static_selectorELNS0_4arch9wavefront6targetE0EEEvT1_,comdat
.Lfunc_end654:
	.size	_ZN7rocprim17ROCPRIM_400000_NS6detail17trampoline_kernelINS0_14default_configENS1_29reduce_by_key_config_selectorIssN6thrust23THRUST_200600_302600_NS4plusIsEEEEZZNS1_33reduce_by_key_impl_wrapped_configILNS1_25lookback_scan_determinismE0ES3_S9_NS6_6detail15normal_iteratorINS6_10device_ptrIsEEEESG_SG_SG_PmS8_NS6_8equal_toIsEEEE10hipError_tPvRmT2_T3_mT4_T5_T6_T7_T8_P12ihipStream_tbENKUlT_T0_E_clISt17integral_constantIbLb0EES10_IbLb1EEEEDaSW_SX_EUlSW_E_NS1_11comp_targetILNS1_3genE4ELNS1_11target_archE910ELNS1_3gpuE8ELNS1_3repE0EEENS1_30default_config_static_selectorELNS0_4arch9wavefront6targetE0EEEvT1_, .Lfunc_end654-_ZN7rocprim17ROCPRIM_400000_NS6detail17trampoline_kernelINS0_14default_configENS1_29reduce_by_key_config_selectorIssN6thrust23THRUST_200600_302600_NS4plusIsEEEEZZNS1_33reduce_by_key_impl_wrapped_configILNS1_25lookback_scan_determinismE0ES3_S9_NS6_6detail15normal_iteratorINS6_10device_ptrIsEEEESG_SG_SG_PmS8_NS6_8equal_toIsEEEE10hipError_tPvRmT2_T3_mT4_T5_T6_T7_T8_P12ihipStream_tbENKUlT_T0_E_clISt17integral_constantIbLb0EES10_IbLb1EEEEDaSW_SX_EUlSW_E_NS1_11comp_targetILNS1_3genE4ELNS1_11target_archE910ELNS1_3gpuE8ELNS1_3repE0EEENS1_30default_config_static_selectorELNS0_4arch9wavefront6targetE0EEEvT1_
                                        ; -- End function
	.section	.AMDGPU.csdata,"",@progbits
; Kernel info:
; codeLenInByte = 0
; NumSgprs: 0
; NumVgprs: 0
; ScratchSize: 0
; MemoryBound: 0
; FloatMode: 240
; IeeeMode: 1
; LDSByteSize: 0 bytes/workgroup (compile time only)
; SGPRBlocks: 0
; VGPRBlocks: 0
; NumSGPRsForWavesPerEU: 1
; NumVGPRsForWavesPerEU: 1
; Occupancy: 16
; WaveLimiterHint : 0
; COMPUTE_PGM_RSRC2:SCRATCH_EN: 0
; COMPUTE_PGM_RSRC2:USER_SGPR: 15
; COMPUTE_PGM_RSRC2:TRAP_HANDLER: 0
; COMPUTE_PGM_RSRC2:TGID_X_EN: 1
; COMPUTE_PGM_RSRC2:TGID_Y_EN: 0
; COMPUTE_PGM_RSRC2:TGID_Z_EN: 0
; COMPUTE_PGM_RSRC2:TIDIG_COMP_CNT: 0
	.section	.text._ZN7rocprim17ROCPRIM_400000_NS6detail17trampoline_kernelINS0_14default_configENS1_29reduce_by_key_config_selectorIssN6thrust23THRUST_200600_302600_NS4plusIsEEEEZZNS1_33reduce_by_key_impl_wrapped_configILNS1_25lookback_scan_determinismE0ES3_S9_NS6_6detail15normal_iteratorINS6_10device_ptrIsEEEESG_SG_SG_PmS8_NS6_8equal_toIsEEEE10hipError_tPvRmT2_T3_mT4_T5_T6_T7_T8_P12ihipStream_tbENKUlT_T0_E_clISt17integral_constantIbLb0EES10_IbLb1EEEEDaSW_SX_EUlSW_E_NS1_11comp_targetILNS1_3genE3ELNS1_11target_archE908ELNS1_3gpuE7ELNS1_3repE0EEENS1_30default_config_static_selectorELNS0_4arch9wavefront6targetE0EEEvT1_,"axG",@progbits,_ZN7rocprim17ROCPRIM_400000_NS6detail17trampoline_kernelINS0_14default_configENS1_29reduce_by_key_config_selectorIssN6thrust23THRUST_200600_302600_NS4plusIsEEEEZZNS1_33reduce_by_key_impl_wrapped_configILNS1_25lookback_scan_determinismE0ES3_S9_NS6_6detail15normal_iteratorINS6_10device_ptrIsEEEESG_SG_SG_PmS8_NS6_8equal_toIsEEEE10hipError_tPvRmT2_T3_mT4_T5_T6_T7_T8_P12ihipStream_tbENKUlT_T0_E_clISt17integral_constantIbLb0EES10_IbLb1EEEEDaSW_SX_EUlSW_E_NS1_11comp_targetILNS1_3genE3ELNS1_11target_archE908ELNS1_3gpuE7ELNS1_3repE0EEENS1_30default_config_static_selectorELNS0_4arch9wavefront6targetE0EEEvT1_,comdat
	.protected	_ZN7rocprim17ROCPRIM_400000_NS6detail17trampoline_kernelINS0_14default_configENS1_29reduce_by_key_config_selectorIssN6thrust23THRUST_200600_302600_NS4plusIsEEEEZZNS1_33reduce_by_key_impl_wrapped_configILNS1_25lookback_scan_determinismE0ES3_S9_NS6_6detail15normal_iteratorINS6_10device_ptrIsEEEESG_SG_SG_PmS8_NS6_8equal_toIsEEEE10hipError_tPvRmT2_T3_mT4_T5_T6_T7_T8_P12ihipStream_tbENKUlT_T0_E_clISt17integral_constantIbLb0EES10_IbLb1EEEEDaSW_SX_EUlSW_E_NS1_11comp_targetILNS1_3genE3ELNS1_11target_archE908ELNS1_3gpuE7ELNS1_3repE0EEENS1_30default_config_static_selectorELNS0_4arch9wavefront6targetE0EEEvT1_ ; -- Begin function _ZN7rocprim17ROCPRIM_400000_NS6detail17trampoline_kernelINS0_14default_configENS1_29reduce_by_key_config_selectorIssN6thrust23THRUST_200600_302600_NS4plusIsEEEEZZNS1_33reduce_by_key_impl_wrapped_configILNS1_25lookback_scan_determinismE0ES3_S9_NS6_6detail15normal_iteratorINS6_10device_ptrIsEEEESG_SG_SG_PmS8_NS6_8equal_toIsEEEE10hipError_tPvRmT2_T3_mT4_T5_T6_T7_T8_P12ihipStream_tbENKUlT_T0_E_clISt17integral_constantIbLb0EES10_IbLb1EEEEDaSW_SX_EUlSW_E_NS1_11comp_targetILNS1_3genE3ELNS1_11target_archE908ELNS1_3gpuE7ELNS1_3repE0EEENS1_30default_config_static_selectorELNS0_4arch9wavefront6targetE0EEEvT1_
	.globl	_ZN7rocprim17ROCPRIM_400000_NS6detail17trampoline_kernelINS0_14default_configENS1_29reduce_by_key_config_selectorIssN6thrust23THRUST_200600_302600_NS4plusIsEEEEZZNS1_33reduce_by_key_impl_wrapped_configILNS1_25lookback_scan_determinismE0ES3_S9_NS6_6detail15normal_iteratorINS6_10device_ptrIsEEEESG_SG_SG_PmS8_NS6_8equal_toIsEEEE10hipError_tPvRmT2_T3_mT4_T5_T6_T7_T8_P12ihipStream_tbENKUlT_T0_E_clISt17integral_constantIbLb0EES10_IbLb1EEEEDaSW_SX_EUlSW_E_NS1_11comp_targetILNS1_3genE3ELNS1_11target_archE908ELNS1_3gpuE7ELNS1_3repE0EEENS1_30default_config_static_selectorELNS0_4arch9wavefront6targetE0EEEvT1_
	.p2align	8
	.type	_ZN7rocprim17ROCPRIM_400000_NS6detail17trampoline_kernelINS0_14default_configENS1_29reduce_by_key_config_selectorIssN6thrust23THRUST_200600_302600_NS4plusIsEEEEZZNS1_33reduce_by_key_impl_wrapped_configILNS1_25lookback_scan_determinismE0ES3_S9_NS6_6detail15normal_iteratorINS6_10device_ptrIsEEEESG_SG_SG_PmS8_NS6_8equal_toIsEEEE10hipError_tPvRmT2_T3_mT4_T5_T6_T7_T8_P12ihipStream_tbENKUlT_T0_E_clISt17integral_constantIbLb0EES10_IbLb1EEEEDaSW_SX_EUlSW_E_NS1_11comp_targetILNS1_3genE3ELNS1_11target_archE908ELNS1_3gpuE7ELNS1_3repE0EEENS1_30default_config_static_selectorELNS0_4arch9wavefront6targetE0EEEvT1_,@function
_ZN7rocprim17ROCPRIM_400000_NS6detail17trampoline_kernelINS0_14default_configENS1_29reduce_by_key_config_selectorIssN6thrust23THRUST_200600_302600_NS4plusIsEEEEZZNS1_33reduce_by_key_impl_wrapped_configILNS1_25lookback_scan_determinismE0ES3_S9_NS6_6detail15normal_iteratorINS6_10device_ptrIsEEEESG_SG_SG_PmS8_NS6_8equal_toIsEEEE10hipError_tPvRmT2_T3_mT4_T5_T6_T7_T8_P12ihipStream_tbENKUlT_T0_E_clISt17integral_constantIbLb0EES10_IbLb1EEEEDaSW_SX_EUlSW_E_NS1_11comp_targetILNS1_3genE3ELNS1_11target_archE908ELNS1_3gpuE7ELNS1_3repE0EEENS1_30default_config_static_selectorELNS0_4arch9wavefront6targetE0EEEvT1_: ; @_ZN7rocprim17ROCPRIM_400000_NS6detail17trampoline_kernelINS0_14default_configENS1_29reduce_by_key_config_selectorIssN6thrust23THRUST_200600_302600_NS4plusIsEEEEZZNS1_33reduce_by_key_impl_wrapped_configILNS1_25lookback_scan_determinismE0ES3_S9_NS6_6detail15normal_iteratorINS6_10device_ptrIsEEEESG_SG_SG_PmS8_NS6_8equal_toIsEEEE10hipError_tPvRmT2_T3_mT4_T5_T6_T7_T8_P12ihipStream_tbENKUlT_T0_E_clISt17integral_constantIbLb0EES10_IbLb1EEEEDaSW_SX_EUlSW_E_NS1_11comp_targetILNS1_3genE3ELNS1_11target_archE908ELNS1_3gpuE7ELNS1_3repE0EEENS1_30default_config_static_selectorELNS0_4arch9wavefront6targetE0EEEvT1_
; %bb.0:
	.section	.rodata,"a",@progbits
	.p2align	6, 0x0
	.amdhsa_kernel _ZN7rocprim17ROCPRIM_400000_NS6detail17trampoline_kernelINS0_14default_configENS1_29reduce_by_key_config_selectorIssN6thrust23THRUST_200600_302600_NS4plusIsEEEEZZNS1_33reduce_by_key_impl_wrapped_configILNS1_25lookback_scan_determinismE0ES3_S9_NS6_6detail15normal_iteratorINS6_10device_ptrIsEEEESG_SG_SG_PmS8_NS6_8equal_toIsEEEE10hipError_tPvRmT2_T3_mT4_T5_T6_T7_T8_P12ihipStream_tbENKUlT_T0_E_clISt17integral_constantIbLb0EES10_IbLb1EEEEDaSW_SX_EUlSW_E_NS1_11comp_targetILNS1_3genE3ELNS1_11target_archE908ELNS1_3gpuE7ELNS1_3repE0EEENS1_30default_config_static_selectorELNS0_4arch9wavefront6targetE0EEEvT1_
		.amdhsa_group_segment_fixed_size 0
		.amdhsa_private_segment_fixed_size 0
		.amdhsa_kernarg_size 120
		.amdhsa_user_sgpr_count 15
		.amdhsa_user_sgpr_dispatch_ptr 0
		.amdhsa_user_sgpr_queue_ptr 0
		.amdhsa_user_sgpr_kernarg_segment_ptr 1
		.amdhsa_user_sgpr_dispatch_id 0
		.amdhsa_user_sgpr_private_segment_size 0
		.amdhsa_wavefront_size32 1
		.amdhsa_uses_dynamic_stack 0
		.amdhsa_enable_private_segment 0
		.amdhsa_system_sgpr_workgroup_id_x 1
		.amdhsa_system_sgpr_workgroup_id_y 0
		.amdhsa_system_sgpr_workgroup_id_z 0
		.amdhsa_system_sgpr_workgroup_info 0
		.amdhsa_system_vgpr_workitem_id 0
		.amdhsa_next_free_vgpr 1
		.amdhsa_next_free_sgpr 1
		.amdhsa_reserve_vcc 0
		.amdhsa_float_round_mode_32 0
		.amdhsa_float_round_mode_16_64 0
		.amdhsa_float_denorm_mode_32 3
		.amdhsa_float_denorm_mode_16_64 3
		.amdhsa_dx10_clamp 1
		.amdhsa_ieee_mode 1
		.amdhsa_fp16_overflow 0
		.amdhsa_workgroup_processor_mode 1
		.amdhsa_memory_ordered 1
		.amdhsa_forward_progress 0
		.amdhsa_shared_vgpr_count 0
		.amdhsa_exception_fp_ieee_invalid_op 0
		.amdhsa_exception_fp_denorm_src 0
		.amdhsa_exception_fp_ieee_div_zero 0
		.amdhsa_exception_fp_ieee_overflow 0
		.amdhsa_exception_fp_ieee_underflow 0
		.amdhsa_exception_fp_ieee_inexact 0
		.amdhsa_exception_int_div_zero 0
	.end_amdhsa_kernel
	.section	.text._ZN7rocprim17ROCPRIM_400000_NS6detail17trampoline_kernelINS0_14default_configENS1_29reduce_by_key_config_selectorIssN6thrust23THRUST_200600_302600_NS4plusIsEEEEZZNS1_33reduce_by_key_impl_wrapped_configILNS1_25lookback_scan_determinismE0ES3_S9_NS6_6detail15normal_iteratorINS6_10device_ptrIsEEEESG_SG_SG_PmS8_NS6_8equal_toIsEEEE10hipError_tPvRmT2_T3_mT4_T5_T6_T7_T8_P12ihipStream_tbENKUlT_T0_E_clISt17integral_constantIbLb0EES10_IbLb1EEEEDaSW_SX_EUlSW_E_NS1_11comp_targetILNS1_3genE3ELNS1_11target_archE908ELNS1_3gpuE7ELNS1_3repE0EEENS1_30default_config_static_selectorELNS0_4arch9wavefront6targetE0EEEvT1_,"axG",@progbits,_ZN7rocprim17ROCPRIM_400000_NS6detail17trampoline_kernelINS0_14default_configENS1_29reduce_by_key_config_selectorIssN6thrust23THRUST_200600_302600_NS4plusIsEEEEZZNS1_33reduce_by_key_impl_wrapped_configILNS1_25lookback_scan_determinismE0ES3_S9_NS6_6detail15normal_iteratorINS6_10device_ptrIsEEEESG_SG_SG_PmS8_NS6_8equal_toIsEEEE10hipError_tPvRmT2_T3_mT4_T5_T6_T7_T8_P12ihipStream_tbENKUlT_T0_E_clISt17integral_constantIbLb0EES10_IbLb1EEEEDaSW_SX_EUlSW_E_NS1_11comp_targetILNS1_3genE3ELNS1_11target_archE908ELNS1_3gpuE7ELNS1_3repE0EEENS1_30default_config_static_selectorELNS0_4arch9wavefront6targetE0EEEvT1_,comdat
.Lfunc_end655:
	.size	_ZN7rocprim17ROCPRIM_400000_NS6detail17trampoline_kernelINS0_14default_configENS1_29reduce_by_key_config_selectorIssN6thrust23THRUST_200600_302600_NS4plusIsEEEEZZNS1_33reduce_by_key_impl_wrapped_configILNS1_25lookback_scan_determinismE0ES3_S9_NS6_6detail15normal_iteratorINS6_10device_ptrIsEEEESG_SG_SG_PmS8_NS6_8equal_toIsEEEE10hipError_tPvRmT2_T3_mT4_T5_T6_T7_T8_P12ihipStream_tbENKUlT_T0_E_clISt17integral_constantIbLb0EES10_IbLb1EEEEDaSW_SX_EUlSW_E_NS1_11comp_targetILNS1_3genE3ELNS1_11target_archE908ELNS1_3gpuE7ELNS1_3repE0EEENS1_30default_config_static_selectorELNS0_4arch9wavefront6targetE0EEEvT1_, .Lfunc_end655-_ZN7rocprim17ROCPRIM_400000_NS6detail17trampoline_kernelINS0_14default_configENS1_29reduce_by_key_config_selectorIssN6thrust23THRUST_200600_302600_NS4plusIsEEEEZZNS1_33reduce_by_key_impl_wrapped_configILNS1_25lookback_scan_determinismE0ES3_S9_NS6_6detail15normal_iteratorINS6_10device_ptrIsEEEESG_SG_SG_PmS8_NS6_8equal_toIsEEEE10hipError_tPvRmT2_T3_mT4_T5_T6_T7_T8_P12ihipStream_tbENKUlT_T0_E_clISt17integral_constantIbLb0EES10_IbLb1EEEEDaSW_SX_EUlSW_E_NS1_11comp_targetILNS1_3genE3ELNS1_11target_archE908ELNS1_3gpuE7ELNS1_3repE0EEENS1_30default_config_static_selectorELNS0_4arch9wavefront6targetE0EEEvT1_
                                        ; -- End function
	.section	.AMDGPU.csdata,"",@progbits
; Kernel info:
; codeLenInByte = 0
; NumSgprs: 0
; NumVgprs: 0
; ScratchSize: 0
; MemoryBound: 0
; FloatMode: 240
; IeeeMode: 1
; LDSByteSize: 0 bytes/workgroup (compile time only)
; SGPRBlocks: 0
; VGPRBlocks: 0
; NumSGPRsForWavesPerEU: 1
; NumVGPRsForWavesPerEU: 1
; Occupancy: 16
; WaveLimiterHint : 0
; COMPUTE_PGM_RSRC2:SCRATCH_EN: 0
; COMPUTE_PGM_RSRC2:USER_SGPR: 15
; COMPUTE_PGM_RSRC2:TRAP_HANDLER: 0
; COMPUTE_PGM_RSRC2:TGID_X_EN: 1
; COMPUTE_PGM_RSRC2:TGID_Y_EN: 0
; COMPUTE_PGM_RSRC2:TGID_Z_EN: 0
; COMPUTE_PGM_RSRC2:TIDIG_COMP_CNT: 0
	.section	.text._ZN7rocprim17ROCPRIM_400000_NS6detail17trampoline_kernelINS0_14default_configENS1_29reduce_by_key_config_selectorIssN6thrust23THRUST_200600_302600_NS4plusIsEEEEZZNS1_33reduce_by_key_impl_wrapped_configILNS1_25lookback_scan_determinismE0ES3_S9_NS6_6detail15normal_iteratorINS6_10device_ptrIsEEEESG_SG_SG_PmS8_NS6_8equal_toIsEEEE10hipError_tPvRmT2_T3_mT4_T5_T6_T7_T8_P12ihipStream_tbENKUlT_T0_E_clISt17integral_constantIbLb0EES10_IbLb1EEEEDaSW_SX_EUlSW_E_NS1_11comp_targetILNS1_3genE2ELNS1_11target_archE906ELNS1_3gpuE6ELNS1_3repE0EEENS1_30default_config_static_selectorELNS0_4arch9wavefront6targetE0EEEvT1_,"axG",@progbits,_ZN7rocprim17ROCPRIM_400000_NS6detail17trampoline_kernelINS0_14default_configENS1_29reduce_by_key_config_selectorIssN6thrust23THRUST_200600_302600_NS4plusIsEEEEZZNS1_33reduce_by_key_impl_wrapped_configILNS1_25lookback_scan_determinismE0ES3_S9_NS6_6detail15normal_iteratorINS6_10device_ptrIsEEEESG_SG_SG_PmS8_NS6_8equal_toIsEEEE10hipError_tPvRmT2_T3_mT4_T5_T6_T7_T8_P12ihipStream_tbENKUlT_T0_E_clISt17integral_constantIbLb0EES10_IbLb1EEEEDaSW_SX_EUlSW_E_NS1_11comp_targetILNS1_3genE2ELNS1_11target_archE906ELNS1_3gpuE6ELNS1_3repE0EEENS1_30default_config_static_selectorELNS0_4arch9wavefront6targetE0EEEvT1_,comdat
	.protected	_ZN7rocprim17ROCPRIM_400000_NS6detail17trampoline_kernelINS0_14default_configENS1_29reduce_by_key_config_selectorIssN6thrust23THRUST_200600_302600_NS4plusIsEEEEZZNS1_33reduce_by_key_impl_wrapped_configILNS1_25lookback_scan_determinismE0ES3_S9_NS6_6detail15normal_iteratorINS6_10device_ptrIsEEEESG_SG_SG_PmS8_NS6_8equal_toIsEEEE10hipError_tPvRmT2_T3_mT4_T5_T6_T7_T8_P12ihipStream_tbENKUlT_T0_E_clISt17integral_constantIbLb0EES10_IbLb1EEEEDaSW_SX_EUlSW_E_NS1_11comp_targetILNS1_3genE2ELNS1_11target_archE906ELNS1_3gpuE6ELNS1_3repE0EEENS1_30default_config_static_selectorELNS0_4arch9wavefront6targetE0EEEvT1_ ; -- Begin function _ZN7rocprim17ROCPRIM_400000_NS6detail17trampoline_kernelINS0_14default_configENS1_29reduce_by_key_config_selectorIssN6thrust23THRUST_200600_302600_NS4plusIsEEEEZZNS1_33reduce_by_key_impl_wrapped_configILNS1_25lookback_scan_determinismE0ES3_S9_NS6_6detail15normal_iteratorINS6_10device_ptrIsEEEESG_SG_SG_PmS8_NS6_8equal_toIsEEEE10hipError_tPvRmT2_T3_mT4_T5_T6_T7_T8_P12ihipStream_tbENKUlT_T0_E_clISt17integral_constantIbLb0EES10_IbLb1EEEEDaSW_SX_EUlSW_E_NS1_11comp_targetILNS1_3genE2ELNS1_11target_archE906ELNS1_3gpuE6ELNS1_3repE0EEENS1_30default_config_static_selectorELNS0_4arch9wavefront6targetE0EEEvT1_
	.globl	_ZN7rocprim17ROCPRIM_400000_NS6detail17trampoline_kernelINS0_14default_configENS1_29reduce_by_key_config_selectorIssN6thrust23THRUST_200600_302600_NS4plusIsEEEEZZNS1_33reduce_by_key_impl_wrapped_configILNS1_25lookback_scan_determinismE0ES3_S9_NS6_6detail15normal_iteratorINS6_10device_ptrIsEEEESG_SG_SG_PmS8_NS6_8equal_toIsEEEE10hipError_tPvRmT2_T3_mT4_T5_T6_T7_T8_P12ihipStream_tbENKUlT_T0_E_clISt17integral_constantIbLb0EES10_IbLb1EEEEDaSW_SX_EUlSW_E_NS1_11comp_targetILNS1_3genE2ELNS1_11target_archE906ELNS1_3gpuE6ELNS1_3repE0EEENS1_30default_config_static_selectorELNS0_4arch9wavefront6targetE0EEEvT1_
	.p2align	8
	.type	_ZN7rocprim17ROCPRIM_400000_NS6detail17trampoline_kernelINS0_14default_configENS1_29reduce_by_key_config_selectorIssN6thrust23THRUST_200600_302600_NS4plusIsEEEEZZNS1_33reduce_by_key_impl_wrapped_configILNS1_25lookback_scan_determinismE0ES3_S9_NS6_6detail15normal_iteratorINS6_10device_ptrIsEEEESG_SG_SG_PmS8_NS6_8equal_toIsEEEE10hipError_tPvRmT2_T3_mT4_T5_T6_T7_T8_P12ihipStream_tbENKUlT_T0_E_clISt17integral_constantIbLb0EES10_IbLb1EEEEDaSW_SX_EUlSW_E_NS1_11comp_targetILNS1_3genE2ELNS1_11target_archE906ELNS1_3gpuE6ELNS1_3repE0EEENS1_30default_config_static_selectorELNS0_4arch9wavefront6targetE0EEEvT1_,@function
_ZN7rocprim17ROCPRIM_400000_NS6detail17trampoline_kernelINS0_14default_configENS1_29reduce_by_key_config_selectorIssN6thrust23THRUST_200600_302600_NS4plusIsEEEEZZNS1_33reduce_by_key_impl_wrapped_configILNS1_25lookback_scan_determinismE0ES3_S9_NS6_6detail15normal_iteratorINS6_10device_ptrIsEEEESG_SG_SG_PmS8_NS6_8equal_toIsEEEE10hipError_tPvRmT2_T3_mT4_T5_T6_T7_T8_P12ihipStream_tbENKUlT_T0_E_clISt17integral_constantIbLb0EES10_IbLb1EEEEDaSW_SX_EUlSW_E_NS1_11comp_targetILNS1_3genE2ELNS1_11target_archE906ELNS1_3gpuE6ELNS1_3repE0EEENS1_30default_config_static_selectorELNS0_4arch9wavefront6targetE0EEEvT1_: ; @_ZN7rocprim17ROCPRIM_400000_NS6detail17trampoline_kernelINS0_14default_configENS1_29reduce_by_key_config_selectorIssN6thrust23THRUST_200600_302600_NS4plusIsEEEEZZNS1_33reduce_by_key_impl_wrapped_configILNS1_25lookback_scan_determinismE0ES3_S9_NS6_6detail15normal_iteratorINS6_10device_ptrIsEEEESG_SG_SG_PmS8_NS6_8equal_toIsEEEE10hipError_tPvRmT2_T3_mT4_T5_T6_T7_T8_P12ihipStream_tbENKUlT_T0_E_clISt17integral_constantIbLb0EES10_IbLb1EEEEDaSW_SX_EUlSW_E_NS1_11comp_targetILNS1_3genE2ELNS1_11target_archE906ELNS1_3gpuE6ELNS1_3repE0EEENS1_30default_config_static_selectorELNS0_4arch9wavefront6targetE0EEEvT1_
; %bb.0:
	.section	.rodata,"a",@progbits
	.p2align	6, 0x0
	.amdhsa_kernel _ZN7rocprim17ROCPRIM_400000_NS6detail17trampoline_kernelINS0_14default_configENS1_29reduce_by_key_config_selectorIssN6thrust23THRUST_200600_302600_NS4plusIsEEEEZZNS1_33reduce_by_key_impl_wrapped_configILNS1_25lookback_scan_determinismE0ES3_S9_NS6_6detail15normal_iteratorINS6_10device_ptrIsEEEESG_SG_SG_PmS8_NS6_8equal_toIsEEEE10hipError_tPvRmT2_T3_mT4_T5_T6_T7_T8_P12ihipStream_tbENKUlT_T0_E_clISt17integral_constantIbLb0EES10_IbLb1EEEEDaSW_SX_EUlSW_E_NS1_11comp_targetILNS1_3genE2ELNS1_11target_archE906ELNS1_3gpuE6ELNS1_3repE0EEENS1_30default_config_static_selectorELNS0_4arch9wavefront6targetE0EEEvT1_
		.amdhsa_group_segment_fixed_size 0
		.amdhsa_private_segment_fixed_size 0
		.amdhsa_kernarg_size 120
		.amdhsa_user_sgpr_count 15
		.amdhsa_user_sgpr_dispatch_ptr 0
		.amdhsa_user_sgpr_queue_ptr 0
		.amdhsa_user_sgpr_kernarg_segment_ptr 1
		.amdhsa_user_sgpr_dispatch_id 0
		.amdhsa_user_sgpr_private_segment_size 0
		.amdhsa_wavefront_size32 1
		.amdhsa_uses_dynamic_stack 0
		.amdhsa_enable_private_segment 0
		.amdhsa_system_sgpr_workgroup_id_x 1
		.amdhsa_system_sgpr_workgroup_id_y 0
		.amdhsa_system_sgpr_workgroup_id_z 0
		.amdhsa_system_sgpr_workgroup_info 0
		.amdhsa_system_vgpr_workitem_id 0
		.amdhsa_next_free_vgpr 1
		.amdhsa_next_free_sgpr 1
		.amdhsa_reserve_vcc 0
		.amdhsa_float_round_mode_32 0
		.amdhsa_float_round_mode_16_64 0
		.amdhsa_float_denorm_mode_32 3
		.amdhsa_float_denorm_mode_16_64 3
		.amdhsa_dx10_clamp 1
		.amdhsa_ieee_mode 1
		.amdhsa_fp16_overflow 0
		.amdhsa_workgroup_processor_mode 1
		.amdhsa_memory_ordered 1
		.amdhsa_forward_progress 0
		.amdhsa_shared_vgpr_count 0
		.amdhsa_exception_fp_ieee_invalid_op 0
		.amdhsa_exception_fp_denorm_src 0
		.amdhsa_exception_fp_ieee_div_zero 0
		.amdhsa_exception_fp_ieee_overflow 0
		.amdhsa_exception_fp_ieee_underflow 0
		.amdhsa_exception_fp_ieee_inexact 0
		.amdhsa_exception_int_div_zero 0
	.end_amdhsa_kernel
	.section	.text._ZN7rocprim17ROCPRIM_400000_NS6detail17trampoline_kernelINS0_14default_configENS1_29reduce_by_key_config_selectorIssN6thrust23THRUST_200600_302600_NS4plusIsEEEEZZNS1_33reduce_by_key_impl_wrapped_configILNS1_25lookback_scan_determinismE0ES3_S9_NS6_6detail15normal_iteratorINS6_10device_ptrIsEEEESG_SG_SG_PmS8_NS6_8equal_toIsEEEE10hipError_tPvRmT2_T3_mT4_T5_T6_T7_T8_P12ihipStream_tbENKUlT_T0_E_clISt17integral_constantIbLb0EES10_IbLb1EEEEDaSW_SX_EUlSW_E_NS1_11comp_targetILNS1_3genE2ELNS1_11target_archE906ELNS1_3gpuE6ELNS1_3repE0EEENS1_30default_config_static_selectorELNS0_4arch9wavefront6targetE0EEEvT1_,"axG",@progbits,_ZN7rocprim17ROCPRIM_400000_NS6detail17trampoline_kernelINS0_14default_configENS1_29reduce_by_key_config_selectorIssN6thrust23THRUST_200600_302600_NS4plusIsEEEEZZNS1_33reduce_by_key_impl_wrapped_configILNS1_25lookback_scan_determinismE0ES3_S9_NS6_6detail15normal_iteratorINS6_10device_ptrIsEEEESG_SG_SG_PmS8_NS6_8equal_toIsEEEE10hipError_tPvRmT2_T3_mT4_T5_T6_T7_T8_P12ihipStream_tbENKUlT_T0_E_clISt17integral_constantIbLb0EES10_IbLb1EEEEDaSW_SX_EUlSW_E_NS1_11comp_targetILNS1_3genE2ELNS1_11target_archE906ELNS1_3gpuE6ELNS1_3repE0EEENS1_30default_config_static_selectorELNS0_4arch9wavefront6targetE0EEEvT1_,comdat
.Lfunc_end656:
	.size	_ZN7rocprim17ROCPRIM_400000_NS6detail17trampoline_kernelINS0_14default_configENS1_29reduce_by_key_config_selectorIssN6thrust23THRUST_200600_302600_NS4plusIsEEEEZZNS1_33reduce_by_key_impl_wrapped_configILNS1_25lookback_scan_determinismE0ES3_S9_NS6_6detail15normal_iteratorINS6_10device_ptrIsEEEESG_SG_SG_PmS8_NS6_8equal_toIsEEEE10hipError_tPvRmT2_T3_mT4_T5_T6_T7_T8_P12ihipStream_tbENKUlT_T0_E_clISt17integral_constantIbLb0EES10_IbLb1EEEEDaSW_SX_EUlSW_E_NS1_11comp_targetILNS1_3genE2ELNS1_11target_archE906ELNS1_3gpuE6ELNS1_3repE0EEENS1_30default_config_static_selectorELNS0_4arch9wavefront6targetE0EEEvT1_, .Lfunc_end656-_ZN7rocprim17ROCPRIM_400000_NS6detail17trampoline_kernelINS0_14default_configENS1_29reduce_by_key_config_selectorIssN6thrust23THRUST_200600_302600_NS4plusIsEEEEZZNS1_33reduce_by_key_impl_wrapped_configILNS1_25lookback_scan_determinismE0ES3_S9_NS6_6detail15normal_iteratorINS6_10device_ptrIsEEEESG_SG_SG_PmS8_NS6_8equal_toIsEEEE10hipError_tPvRmT2_T3_mT4_T5_T6_T7_T8_P12ihipStream_tbENKUlT_T0_E_clISt17integral_constantIbLb0EES10_IbLb1EEEEDaSW_SX_EUlSW_E_NS1_11comp_targetILNS1_3genE2ELNS1_11target_archE906ELNS1_3gpuE6ELNS1_3repE0EEENS1_30default_config_static_selectorELNS0_4arch9wavefront6targetE0EEEvT1_
                                        ; -- End function
	.section	.AMDGPU.csdata,"",@progbits
; Kernel info:
; codeLenInByte = 0
; NumSgprs: 0
; NumVgprs: 0
; ScratchSize: 0
; MemoryBound: 0
; FloatMode: 240
; IeeeMode: 1
; LDSByteSize: 0 bytes/workgroup (compile time only)
; SGPRBlocks: 0
; VGPRBlocks: 0
; NumSGPRsForWavesPerEU: 1
; NumVGPRsForWavesPerEU: 1
; Occupancy: 16
; WaveLimiterHint : 0
; COMPUTE_PGM_RSRC2:SCRATCH_EN: 0
; COMPUTE_PGM_RSRC2:USER_SGPR: 15
; COMPUTE_PGM_RSRC2:TRAP_HANDLER: 0
; COMPUTE_PGM_RSRC2:TGID_X_EN: 1
; COMPUTE_PGM_RSRC2:TGID_Y_EN: 0
; COMPUTE_PGM_RSRC2:TGID_Z_EN: 0
; COMPUTE_PGM_RSRC2:TIDIG_COMP_CNT: 0
	.section	.text._ZN7rocprim17ROCPRIM_400000_NS6detail17trampoline_kernelINS0_14default_configENS1_29reduce_by_key_config_selectorIssN6thrust23THRUST_200600_302600_NS4plusIsEEEEZZNS1_33reduce_by_key_impl_wrapped_configILNS1_25lookback_scan_determinismE0ES3_S9_NS6_6detail15normal_iteratorINS6_10device_ptrIsEEEESG_SG_SG_PmS8_NS6_8equal_toIsEEEE10hipError_tPvRmT2_T3_mT4_T5_T6_T7_T8_P12ihipStream_tbENKUlT_T0_E_clISt17integral_constantIbLb0EES10_IbLb1EEEEDaSW_SX_EUlSW_E_NS1_11comp_targetILNS1_3genE10ELNS1_11target_archE1201ELNS1_3gpuE5ELNS1_3repE0EEENS1_30default_config_static_selectorELNS0_4arch9wavefront6targetE0EEEvT1_,"axG",@progbits,_ZN7rocprim17ROCPRIM_400000_NS6detail17trampoline_kernelINS0_14default_configENS1_29reduce_by_key_config_selectorIssN6thrust23THRUST_200600_302600_NS4plusIsEEEEZZNS1_33reduce_by_key_impl_wrapped_configILNS1_25lookback_scan_determinismE0ES3_S9_NS6_6detail15normal_iteratorINS6_10device_ptrIsEEEESG_SG_SG_PmS8_NS6_8equal_toIsEEEE10hipError_tPvRmT2_T3_mT4_T5_T6_T7_T8_P12ihipStream_tbENKUlT_T0_E_clISt17integral_constantIbLb0EES10_IbLb1EEEEDaSW_SX_EUlSW_E_NS1_11comp_targetILNS1_3genE10ELNS1_11target_archE1201ELNS1_3gpuE5ELNS1_3repE0EEENS1_30default_config_static_selectorELNS0_4arch9wavefront6targetE0EEEvT1_,comdat
	.protected	_ZN7rocprim17ROCPRIM_400000_NS6detail17trampoline_kernelINS0_14default_configENS1_29reduce_by_key_config_selectorIssN6thrust23THRUST_200600_302600_NS4plusIsEEEEZZNS1_33reduce_by_key_impl_wrapped_configILNS1_25lookback_scan_determinismE0ES3_S9_NS6_6detail15normal_iteratorINS6_10device_ptrIsEEEESG_SG_SG_PmS8_NS6_8equal_toIsEEEE10hipError_tPvRmT2_T3_mT4_T5_T6_T7_T8_P12ihipStream_tbENKUlT_T0_E_clISt17integral_constantIbLb0EES10_IbLb1EEEEDaSW_SX_EUlSW_E_NS1_11comp_targetILNS1_3genE10ELNS1_11target_archE1201ELNS1_3gpuE5ELNS1_3repE0EEENS1_30default_config_static_selectorELNS0_4arch9wavefront6targetE0EEEvT1_ ; -- Begin function _ZN7rocprim17ROCPRIM_400000_NS6detail17trampoline_kernelINS0_14default_configENS1_29reduce_by_key_config_selectorIssN6thrust23THRUST_200600_302600_NS4plusIsEEEEZZNS1_33reduce_by_key_impl_wrapped_configILNS1_25lookback_scan_determinismE0ES3_S9_NS6_6detail15normal_iteratorINS6_10device_ptrIsEEEESG_SG_SG_PmS8_NS6_8equal_toIsEEEE10hipError_tPvRmT2_T3_mT4_T5_T6_T7_T8_P12ihipStream_tbENKUlT_T0_E_clISt17integral_constantIbLb0EES10_IbLb1EEEEDaSW_SX_EUlSW_E_NS1_11comp_targetILNS1_3genE10ELNS1_11target_archE1201ELNS1_3gpuE5ELNS1_3repE0EEENS1_30default_config_static_selectorELNS0_4arch9wavefront6targetE0EEEvT1_
	.globl	_ZN7rocprim17ROCPRIM_400000_NS6detail17trampoline_kernelINS0_14default_configENS1_29reduce_by_key_config_selectorIssN6thrust23THRUST_200600_302600_NS4plusIsEEEEZZNS1_33reduce_by_key_impl_wrapped_configILNS1_25lookback_scan_determinismE0ES3_S9_NS6_6detail15normal_iteratorINS6_10device_ptrIsEEEESG_SG_SG_PmS8_NS6_8equal_toIsEEEE10hipError_tPvRmT2_T3_mT4_T5_T6_T7_T8_P12ihipStream_tbENKUlT_T0_E_clISt17integral_constantIbLb0EES10_IbLb1EEEEDaSW_SX_EUlSW_E_NS1_11comp_targetILNS1_3genE10ELNS1_11target_archE1201ELNS1_3gpuE5ELNS1_3repE0EEENS1_30default_config_static_selectorELNS0_4arch9wavefront6targetE0EEEvT1_
	.p2align	8
	.type	_ZN7rocprim17ROCPRIM_400000_NS6detail17trampoline_kernelINS0_14default_configENS1_29reduce_by_key_config_selectorIssN6thrust23THRUST_200600_302600_NS4plusIsEEEEZZNS1_33reduce_by_key_impl_wrapped_configILNS1_25lookback_scan_determinismE0ES3_S9_NS6_6detail15normal_iteratorINS6_10device_ptrIsEEEESG_SG_SG_PmS8_NS6_8equal_toIsEEEE10hipError_tPvRmT2_T3_mT4_T5_T6_T7_T8_P12ihipStream_tbENKUlT_T0_E_clISt17integral_constantIbLb0EES10_IbLb1EEEEDaSW_SX_EUlSW_E_NS1_11comp_targetILNS1_3genE10ELNS1_11target_archE1201ELNS1_3gpuE5ELNS1_3repE0EEENS1_30default_config_static_selectorELNS0_4arch9wavefront6targetE0EEEvT1_,@function
_ZN7rocprim17ROCPRIM_400000_NS6detail17trampoline_kernelINS0_14default_configENS1_29reduce_by_key_config_selectorIssN6thrust23THRUST_200600_302600_NS4plusIsEEEEZZNS1_33reduce_by_key_impl_wrapped_configILNS1_25lookback_scan_determinismE0ES3_S9_NS6_6detail15normal_iteratorINS6_10device_ptrIsEEEESG_SG_SG_PmS8_NS6_8equal_toIsEEEE10hipError_tPvRmT2_T3_mT4_T5_T6_T7_T8_P12ihipStream_tbENKUlT_T0_E_clISt17integral_constantIbLb0EES10_IbLb1EEEEDaSW_SX_EUlSW_E_NS1_11comp_targetILNS1_3genE10ELNS1_11target_archE1201ELNS1_3gpuE5ELNS1_3repE0EEENS1_30default_config_static_selectorELNS0_4arch9wavefront6targetE0EEEvT1_: ; @_ZN7rocprim17ROCPRIM_400000_NS6detail17trampoline_kernelINS0_14default_configENS1_29reduce_by_key_config_selectorIssN6thrust23THRUST_200600_302600_NS4plusIsEEEEZZNS1_33reduce_by_key_impl_wrapped_configILNS1_25lookback_scan_determinismE0ES3_S9_NS6_6detail15normal_iteratorINS6_10device_ptrIsEEEESG_SG_SG_PmS8_NS6_8equal_toIsEEEE10hipError_tPvRmT2_T3_mT4_T5_T6_T7_T8_P12ihipStream_tbENKUlT_T0_E_clISt17integral_constantIbLb0EES10_IbLb1EEEEDaSW_SX_EUlSW_E_NS1_11comp_targetILNS1_3genE10ELNS1_11target_archE1201ELNS1_3gpuE5ELNS1_3repE0EEENS1_30default_config_static_selectorELNS0_4arch9wavefront6targetE0EEEvT1_
; %bb.0:
	.section	.rodata,"a",@progbits
	.p2align	6, 0x0
	.amdhsa_kernel _ZN7rocprim17ROCPRIM_400000_NS6detail17trampoline_kernelINS0_14default_configENS1_29reduce_by_key_config_selectorIssN6thrust23THRUST_200600_302600_NS4plusIsEEEEZZNS1_33reduce_by_key_impl_wrapped_configILNS1_25lookback_scan_determinismE0ES3_S9_NS6_6detail15normal_iteratorINS6_10device_ptrIsEEEESG_SG_SG_PmS8_NS6_8equal_toIsEEEE10hipError_tPvRmT2_T3_mT4_T5_T6_T7_T8_P12ihipStream_tbENKUlT_T0_E_clISt17integral_constantIbLb0EES10_IbLb1EEEEDaSW_SX_EUlSW_E_NS1_11comp_targetILNS1_3genE10ELNS1_11target_archE1201ELNS1_3gpuE5ELNS1_3repE0EEENS1_30default_config_static_selectorELNS0_4arch9wavefront6targetE0EEEvT1_
		.amdhsa_group_segment_fixed_size 0
		.amdhsa_private_segment_fixed_size 0
		.amdhsa_kernarg_size 120
		.amdhsa_user_sgpr_count 15
		.amdhsa_user_sgpr_dispatch_ptr 0
		.amdhsa_user_sgpr_queue_ptr 0
		.amdhsa_user_sgpr_kernarg_segment_ptr 1
		.amdhsa_user_sgpr_dispatch_id 0
		.amdhsa_user_sgpr_private_segment_size 0
		.amdhsa_wavefront_size32 1
		.amdhsa_uses_dynamic_stack 0
		.amdhsa_enable_private_segment 0
		.amdhsa_system_sgpr_workgroup_id_x 1
		.amdhsa_system_sgpr_workgroup_id_y 0
		.amdhsa_system_sgpr_workgroup_id_z 0
		.amdhsa_system_sgpr_workgroup_info 0
		.amdhsa_system_vgpr_workitem_id 0
		.amdhsa_next_free_vgpr 1
		.amdhsa_next_free_sgpr 1
		.amdhsa_reserve_vcc 0
		.amdhsa_float_round_mode_32 0
		.amdhsa_float_round_mode_16_64 0
		.amdhsa_float_denorm_mode_32 3
		.amdhsa_float_denorm_mode_16_64 3
		.amdhsa_dx10_clamp 1
		.amdhsa_ieee_mode 1
		.amdhsa_fp16_overflow 0
		.amdhsa_workgroup_processor_mode 1
		.amdhsa_memory_ordered 1
		.amdhsa_forward_progress 0
		.amdhsa_shared_vgpr_count 0
		.amdhsa_exception_fp_ieee_invalid_op 0
		.amdhsa_exception_fp_denorm_src 0
		.amdhsa_exception_fp_ieee_div_zero 0
		.amdhsa_exception_fp_ieee_overflow 0
		.amdhsa_exception_fp_ieee_underflow 0
		.amdhsa_exception_fp_ieee_inexact 0
		.amdhsa_exception_int_div_zero 0
	.end_amdhsa_kernel
	.section	.text._ZN7rocprim17ROCPRIM_400000_NS6detail17trampoline_kernelINS0_14default_configENS1_29reduce_by_key_config_selectorIssN6thrust23THRUST_200600_302600_NS4plusIsEEEEZZNS1_33reduce_by_key_impl_wrapped_configILNS1_25lookback_scan_determinismE0ES3_S9_NS6_6detail15normal_iteratorINS6_10device_ptrIsEEEESG_SG_SG_PmS8_NS6_8equal_toIsEEEE10hipError_tPvRmT2_T3_mT4_T5_T6_T7_T8_P12ihipStream_tbENKUlT_T0_E_clISt17integral_constantIbLb0EES10_IbLb1EEEEDaSW_SX_EUlSW_E_NS1_11comp_targetILNS1_3genE10ELNS1_11target_archE1201ELNS1_3gpuE5ELNS1_3repE0EEENS1_30default_config_static_selectorELNS0_4arch9wavefront6targetE0EEEvT1_,"axG",@progbits,_ZN7rocprim17ROCPRIM_400000_NS6detail17trampoline_kernelINS0_14default_configENS1_29reduce_by_key_config_selectorIssN6thrust23THRUST_200600_302600_NS4plusIsEEEEZZNS1_33reduce_by_key_impl_wrapped_configILNS1_25lookback_scan_determinismE0ES3_S9_NS6_6detail15normal_iteratorINS6_10device_ptrIsEEEESG_SG_SG_PmS8_NS6_8equal_toIsEEEE10hipError_tPvRmT2_T3_mT4_T5_T6_T7_T8_P12ihipStream_tbENKUlT_T0_E_clISt17integral_constantIbLb0EES10_IbLb1EEEEDaSW_SX_EUlSW_E_NS1_11comp_targetILNS1_3genE10ELNS1_11target_archE1201ELNS1_3gpuE5ELNS1_3repE0EEENS1_30default_config_static_selectorELNS0_4arch9wavefront6targetE0EEEvT1_,comdat
.Lfunc_end657:
	.size	_ZN7rocprim17ROCPRIM_400000_NS6detail17trampoline_kernelINS0_14default_configENS1_29reduce_by_key_config_selectorIssN6thrust23THRUST_200600_302600_NS4plusIsEEEEZZNS1_33reduce_by_key_impl_wrapped_configILNS1_25lookback_scan_determinismE0ES3_S9_NS6_6detail15normal_iteratorINS6_10device_ptrIsEEEESG_SG_SG_PmS8_NS6_8equal_toIsEEEE10hipError_tPvRmT2_T3_mT4_T5_T6_T7_T8_P12ihipStream_tbENKUlT_T0_E_clISt17integral_constantIbLb0EES10_IbLb1EEEEDaSW_SX_EUlSW_E_NS1_11comp_targetILNS1_3genE10ELNS1_11target_archE1201ELNS1_3gpuE5ELNS1_3repE0EEENS1_30default_config_static_selectorELNS0_4arch9wavefront6targetE0EEEvT1_, .Lfunc_end657-_ZN7rocprim17ROCPRIM_400000_NS6detail17trampoline_kernelINS0_14default_configENS1_29reduce_by_key_config_selectorIssN6thrust23THRUST_200600_302600_NS4plusIsEEEEZZNS1_33reduce_by_key_impl_wrapped_configILNS1_25lookback_scan_determinismE0ES3_S9_NS6_6detail15normal_iteratorINS6_10device_ptrIsEEEESG_SG_SG_PmS8_NS6_8equal_toIsEEEE10hipError_tPvRmT2_T3_mT4_T5_T6_T7_T8_P12ihipStream_tbENKUlT_T0_E_clISt17integral_constantIbLb0EES10_IbLb1EEEEDaSW_SX_EUlSW_E_NS1_11comp_targetILNS1_3genE10ELNS1_11target_archE1201ELNS1_3gpuE5ELNS1_3repE0EEENS1_30default_config_static_selectorELNS0_4arch9wavefront6targetE0EEEvT1_
                                        ; -- End function
	.section	.AMDGPU.csdata,"",@progbits
; Kernel info:
; codeLenInByte = 0
; NumSgprs: 0
; NumVgprs: 0
; ScratchSize: 0
; MemoryBound: 0
; FloatMode: 240
; IeeeMode: 1
; LDSByteSize: 0 bytes/workgroup (compile time only)
; SGPRBlocks: 0
; VGPRBlocks: 0
; NumSGPRsForWavesPerEU: 1
; NumVGPRsForWavesPerEU: 1
; Occupancy: 16
; WaveLimiterHint : 0
; COMPUTE_PGM_RSRC2:SCRATCH_EN: 0
; COMPUTE_PGM_RSRC2:USER_SGPR: 15
; COMPUTE_PGM_RSRC2:TRAP_HANDLER: 0
; COMPUTE_PGM_RSRC2:TGID_X_EN: 1
; COMPUTE_PGM_RSRC2:TGID_Y_EN: 0
; COMPUTE_PGM_RSRC2:TGID_Z_EN: 0
; COMPUTE_PGM_RSRC2:TIDIG_COMP_CNT: 0
	.section	.text._ZN7rocprim17ROCPRIM_400000_NS6detail17trampoline_kernelINS0_14default_configENS1_29reduce_by_key_config_selectorIssN6thrust23THRUST_200600_302600_NS4plusIsEEEEZZNS1_33reduce_by_key_impl_wrapped_configILNS1_25lookback_scan_determinismE0ES3_S9_NS6_6detail15normal_iteratorINS6_10device_ptrIsEEEESG_SG_SG_PmS8_NS6_8equal_toIsEEEE10hipError_tPvRmT2_T3_mT4_T5_T6_T7_T8_P12ihipStream_tbENKUlT_T0_E_clISt17integral_constantIbLb0EES10_IbLb1EEEEDaSW_SX_EUlSW_E_NS1_11comp_targetILNS1_3genE10ELNS1_11target_archE1200ELNS1_3gpuE4ELNS1_3repE0EEENS1_30default_config_static_selectorELNS0_4arch9wavefront6targetE0EEEvT1_,"axG",@progbits,_ZN7rocprim17ROCPRIM_400000_NS6detail17trampoline_kernelINS0_14default_configENS1_29reduce_by_key_config_selectorIssN6thrust23THRUST_200600_302600_NS4plusIsEEEEZZNS1_33reduce_by_key_impl_wrapped_configILNS1_25lookback_scan_determinismE0ES3_S9_NS6_6detail15normal_iteratorINS6_10device_ptrIsEEEESG_SG_SG_PmS8_NS6_8equal_toIsEEEE10hipError_tPvRmT2_T3_mT4_T5_T6_T7_T8_P12ihipStream_tbENKUlT_T0_E_clISt17integral_constantIbLb0EES10_IbLb1EEEEDaSW_SX_EUlSW_E_NS1_11comp_targetILNS1_3genE10ELNS1_11target_archE1200ELNS1_3gpuE4ELNS1_3repE0EEENS1_30default_config_static_selectorELNS0_4arch9wavefront6targetE0EEEvT1_,comdat
	.protected	_ZN7rocprim17ROCPRIM_400000_NS6detail17trampoline_kernelINS0_14default_configENS1_29reduce_by_key_config_selectorIssN6thrust23THRUST_200600_302600_NS4plusIsEEEEZZNS1_33reduce_by_key_impl_wrapped_configILNS1_25lookback_scan_determinismE0ES3_S9_NS6_6detail15normal_iteratorINS6_10device_ptrIsEEEESG_SG_SG_PmS8_NS6_8equal_toIsEEEE10hipError_tPvRmT2_T3_mT4_T5_T6_T7_T8_P12ihipStream_tbENKUlT_T0_E_clISt17integral_constantIbLb0EES10_IbLb1EEEEDaSW_SX_EUlSW_E_NS1_11comp_targetILNS1_3genE10ELNS1_11target_archE1200ELNS1_3gpuE4ELNS1_3repE0EEENS1_30default_config_static_selectorELNS0_4arch9wavefront6targetE0EEEvT1_ ; -- Begin function _ZN7rocprim17ROCPRIM_400000_NS6detail17trampoline_kernelINS0_14default_configENS1_29reduce_by_key_config_selectorIssN6thrust23THRUST_200600_302600_NS4plusIsEEEEZZNS1_33reduce_by_key_impl_wrapped_configILNS1_25lookback_scan_determinismE0ES3_S9_NS6_6detail15normal_iteratorINS6_10device_ptrIsEEEESG_SG_SG_PmS8_NS6_8equal_toIsEEEE10hipError_tPvRmT2_T3_mT4_T5_T6_T7_T8_P12ihipStream_tbENKUlT_T0_E_clISt17integral_constantIbLb0EES10_IbLb1EEEEDaSW_SX_EUlSW_E_NS1_11comp_targetILNS1_3genE10ELNS1_11target_archE1200ELNS1_3gpuE4ELNS1_3repE0EEENS1_30default_config_static_selectorELNS0_4arch9wavefront6targetE0EEEvT1_
	.globl	_ZN7rocprim17ROCPRIM_400000_NS6detail17trampoline_kernelINS0_14default_configENS1_29reduce_by_key_config_selectorIssN6thrust23THRUST_200600_302600_NS4plusIsEEEEZZNS1_33reduce_by_key_impl_wrapped_configILNS1_25lookback_scan_determinismE0ES3_S9_NS6_6detail15normal_iteratorINS6_10device_ptrIsEEEESG_SG_SG_PmS8_NS6_8equal_toIsEEEE10hipError_tPvRmT2_T3_mT4_T5_T6_T7_T8_P12ihipStream_tbENKUlT_T0_E_clISt17integral_constantIbLb0EES10_IbLb1EEEEDaSW_SX_EUlSW_E_NS1_11comp_targetILNS1_3genE10ELNS1_11target_archE1200ELNS1_3gpuE4ELNS1_3repE0EEENS1_30default_config_static_selectorELNS0_4arch9wavefront6targetE0EEEvT1_
	.p2align	8
	.type	_ZN7rocprim17ROCPRIM_400000_NS6detail17trampoline_kernelINS0_14default_configENS1_29reduce_by_key_config_selectorIssN6thrust23THRUST_200600_302600_NS4plusIsEEEEZZNS1_33reduce_by_key_impl_wrapped_configILNS1_25lookback_scan_determinismE0ES3_S9_NS6_6detail15normal_iteratorINS6_10device_ptrIsEEEESG_SG_SG_PmS8_NS6_8equal_toIsEEEE10hipError_tPvRmT2_T3_mT4_T5_T6_T7_T8_P12ihipStream_tbENKUlT_T0_E_clISt17integral_constantIbLb0EES10_IbLb1EEEEDaSW_SX_EUlSW_E_NS1_11comp_targetILNS1_3genE10ELNS1_11target_archE1200ELNS1_3gpuE4ELNS1_3repE0EEENS1_30default_config_static_selectorELNS0_4arch9wavefront6targetE0EEEvT1_,@function
_ZN7rocprim17ROCPRIM_400000_NS6detail17trampoline_kernelINS0_14default_configENS1_29reduce_by_key_config_selectorIssN6thrust23THRUST_200600_302600_NS4plusIsEEEEZZNS1_33reduce_by_key_impl_wrapped_configILNS1_25lookback_scan_determinismE0ES3_S9_NS6_6detail15normal_iteratorINS6_10device_ptrIsEEEESG_SG_SG_PmS8_NS6_8equal_toIsEEEE10hipError_tPvRmT2_T3_mT4_T5_T6_T7_T8_P12ihipStream_tbENKUlT_T0_E_clISt17integral_constantIbLb0EES10_IbLb1EEEEDaSW_SX_EUlSW_E_NS1_11comp_targetILNS1_3genE10ELNS1_11target_archE1200ELNS1_3gpuE4ELNS1_3repE0EEENS1_30default_config_static_selectorELNS0_4arch9wavefront6targetE0EEEvT1_: ; @_ZN7rocprim17ROCPRIM_400000_NS6detail17trampoline_kernelINS0_14default_configENS1_29reduce_by_key_config_selectorIssN6thrust23THRUST_200600_302600_NS4plusIsEEEEZZNS1_33reduce_by_key_impl_wrapped_configILNS1_25lookback_scan_determinismE0ES3_S9_NS6_6detail15normal_iteratorINS6_10device_ptrIsEEEESG_SG_SG_PmS8_NS6_8equal_toIsEEEE10hipError_tPvRmT2_T3_mT4_T5_T6_T7_T8_P12ihipStream_tbENKUlT_T0_E_clISt17integral_constantIbLb0EES10_IbLb1EEEEDaSW_SX_EUlSW_E_NS1_11comp_targetILNS1_3genE10ELNS1_11target_archE1200ELNS1_3gpuE4ELNS1_3repE0EEENS1_30default_config_static_selectorELNS0_4arch9wavefront6targetE0EEEvT1_
; %bb.0:
	.section	.rodata,"a",@progbits
	.p2align	6, 0x0
	.amdhsa_kernel _ZN7rocprim17ROCPRIM_400000_NS6detail17trampoline_kernelINS0_14default_configENS1_29reduce_by_key_config_selectorIssN6thrust23THRUST_200600_302600_NS4plusIsEEEEZZNS1_33reduce_by_key_impl_wrapped_configILNS1_25lookback_scan_determinismE0ES3_S9_NS6_6detail15normal_iteratorINS6_10device_ptrIsEEEESG_SG_SG_PmS8_NS6_8equal_toIsEEEE10hipError_tPvRmT2_T3_mT4_T5_T6_T7_T8_P12ihipStream_tbENKUlT_T0_E_clISt17integral_constantIbLb0EES10_IbLb1EEEEDaSW_SX_EUlSW_E_NS1_11comp_targetILNS1_3genE10ELNS1_11target_archE1200ELNS1_3gpuE4ELNS1_3repE0EEENS1_30default_config_static_selectorELNS0_4arch9wavefront6targetE0EEEvT1_
		.amdhsa_group_segment_fixed_size 0
		.amdhsa_private_segment_fixed_size 0
		.amdhsa_kernarg_size 120
		.amdhsa_user_sgpr_count 15
		.amdhsa_user_sgpr_dispatch_ptr 0
		.amdhsa_user_sgpr_queue_ptr 0
		.amdhsa_user_sgpr_kernarg_segment_ptr 1
		.amdhsa_user_sgpr_dispatch_id 0
		.amdhsa_user_sgpr_private_segment_size 0
		.amdhsa_wavefront_size32 1
		.amdhsa_uses_dynamic_stack 0
		.amdhsa_enable_private_segment 0
		.amdhsa_system_sgpr_workgroup_id_x 1
		.amdhsa_system_sgpr_workgroup_id_y 0
		.amdhsa_system_sgpr_workgroup_id_z 0
		.amdhsa_system_sgpr_workgroup_info 0
		.amdhsa_system_vgpr_workitem_id 0
		.amdhsa_next_free_vgpr 1
		.amdhsa_next_free_sgpr 1
		.amdhsa_reserve_vcc 0
		.amdhsa_float_round_mode_32 0
		.amdhsa_float_round_mode_16_64 0
		.amdhsa_float_denorm_mode_32 3
		.amdhsa_float_denorm_mode_16_64 3
		.amdhsa_dx10_clamp 1
		.amdhsa_ieee_mode 1
		.amdhsa_fp16_overflow 0
		.amdhsa_workgroup_processor_mode 1
		.amdhsa_memory_ordered 1
		.amdhsa_forward_progress 0
		.amdhsa_shared_vgpr_count 0
		.amdhsa_exception_fp_ieee_invalid_op 0
		.amdhsa_exception_fp_denorm_src 0
		.amdhsa_exception_fp_ieee_div_zero 0
		.amdhsa_exception_fp_ieee_overflow 0
		.amdhsa_exception_fp_ieee_underflow 0
		.amdhsa_exception_fp_ieee_inexact 0
		.amdhsa_exception_int_div_zero 0
	.end_amdhsa_kernel
	.section	.text._ZN7rocprim17ROCPRIM_400000_NS6detail17trampoline_kernelINS0_14default_configENS1_29reduce_by_key_config_selectorIssN6thrust23THRUST_200600_302600_NS4plusIsEEEEZZNS1_33reduce_by_key_impl_wrapped_configILNS1_25lookback_scan_determinismE0ES3_S9_NS6_6detail15normal_iteratorINS6_10device_ptrIsEEEESG_SG_SG_PmS8_NS6_8equal_toIsEEEE10hipError_tPvRmT2_T3_mT4_T5_T6_T7_T8_P12ihipStream_tbENKUlT_T0_E_clISt17integral_constantIbLb0EES10_IbLb1EEEEDaSW_SX_EUlSW_E_NS1_11comp_targetILNS1_3genE10ELNS1_11target_archE1200ELNS1_3gpuE4ELNS1_3repE0EEENS1_30default_config_static_selectorELNS0_4arch9wavefront6targetE0EEEvT1_,"axG",@progbits,_ZN7rocprim17ROCPRIM_400000_NS6detail17trampoline_kernelINS0_14default_configENS1_29reduce_by_key_config_selectorIssN6thrust23THRUST_200600_302600_NS4plusIsEEEEZZNS1_33reduce_by_key_impl_wrapped_configILNS1_25lookback_scan_determinismE0ES3_S9_NS6_6detail15normal_iteratorINS6_10device_ptrIsEEEESG_SG_SG_PmS8_NS6_8equal_toIsEEEE10hipError_tPvRmT2_T3_mT4_T5_T6_T7_T8_P12ihipStream_tbENKUlT_T0_E_clISt17integral_constantIbLb0EES10_IbLb1EEEEDaSW_SX_EUlSW_E_NS1_11comp_targetILNS1_3genE10ELNS1_11target_archE1200ELNS1_3gpuE4ELNS1_3repE0EEENS1_30default_config_static_selectorELNS0_4arch9wavefront6targetE0EEEvT1_,comdat
.Lfunc_end658:
	.size	_ZN7rocprim17ROCPRIM_400000_NS6detail17trampoline_kernelINS0_14default_configENS1_29reduce_by_key_config_selectorIssN6thrust23THRUST_200600_302600_NS4plusIsEEEEZZNS1_33reduce_by_key_impl_wrapped_configILNS1_25lookback_scan_determinismE0ES3_S9_NS6_6detail15normal_iteratorINS6_10device_ptrIsEEEESG_SG_SG_PmS8_NS6_8equal_toIsEEEE10hipError_tPvRmT2_T3_mT4_T5_T6_T7_T8_P12ihipStream_tbENKUlT_T0_E_clISt17integral_constantIbLb0EES10_IbLb1EEEEDaSW_SX_EUlSW_E_NS1_11comp_targetILNS1_3genE10ELNS1_11target_archE1200ELNS1_3gpuE4ELNS1_3repE0EEENS1_30default_config_static_selectorELNS0_4arch9wavefront6targetE0EEEvT1_, .Lfunc_end658-_ZN7rocprim17ROCPRIM_400000_NS6detail17trampoline_kernelINS0_14default_configENS1_29reduce_by_key_config_selectorIssN6thrust23THRUST_200600_302600_NS4plusIsEEEEZZNS1_33reduce_by_key_impl_wrapped_configILNS1_25lookback_scan_determinismE0ES3_S9_NS6_6detail15normal_iteratorINS6_10device_ptrIsEEEESG_SG_SG_PmS8_NS6_8equal_toIsEEEE10hipError_tPvRmT2_T3_mT4_T5_T6_T7_T8_P12ihipStream_tbENKUlT_T0_E_clISt17integral_constantIbLb0EES10_IbLb1EEEEDaSW_SX_EUlSW_E_NS1_11comp_targetILNS1_3genE10ELNS1_11target_archE1200ELNS1_3gpuE4ELNS1_3repE0EEENS1_30default_config_static_selectorELNS0_4arch9wavefront6targetE0EEEvT1_
                                        ; -- End function
	.section	.AMDGPU.csdata,"",@progbits
; Kernel info:
; codeLenInByte = 0
; NumSgprs: 0
; NumVgprs: 0
; ScratchSize: 0
; MemoryBound: 0
; FloatMode: 240
; IeeeMode: 1
; LDSByteSize: 0 bytes/workgroup (compile time only)
; SGPRBlocks: 0
; VGPRBlocks: 0
; NumSGPRsForWavesPerEU: 1
; NumVGPRsForWavesPerEU: 1
; Occupancy: 16
; WaveLimiterHint : 0
; COMPUTE_PGM_RSRC2:SCRATCH_EN: 0
; COMPUTE_PGM_RSRC2:USER_SGPR: 15
; COMPUTE_PGM_RSRC2:TRAP_HANDLER: 0
; COMPUTE_PGM_RSRC2:TGID_X_EN: 1
; COMPUTE_PGM_RSRC2:TGID_Y_EN: 0
; COMPUTE_PGM_RSRC2:TGID_Z_EN: 0
; COMPUTE_PGM_RSRC2:TIDIG_COMP_CNT: 0
	.section	.text._ZN7rocprim17ROCPRIM_400000_NS6detail17trampoline_kernelINS0_14default_configENS1_29reduce_by_key_config_selectorIssN6thrust23THRUST_200600_302600_NS4plusIsEEEEZZNS1_33reduce_by_key_impl_wrapped_configILNS1_25lookback_scan_determinismE0ES3_S9_NS6_6detail15normal_iteratorINS6_10device_ptrIsEEEESG_SG_SG_PmS8_NS6_8equal_toIsEEEE10hipError_tPvRmT2_T3_mT4_T5_T6_T7_T8_P12ihipStream_tbENKUlT_T0_E_clISt17integral_constantIbLb0EES10_IbLb1EEEEDaSW_SX_EUlSW_E_NS1_11comp_targetILNS1_3genE9ELNS1_11target_archE1100ELNS1_3gpuE3ELNS1_3repE0EEENS1_30default_config_static_selectorELNS0_4arch9wavefront6targetE0EEEvT1_,"axG",@progbits,_ZN7rocprim17ROCPRIM_400000_NS6detail17trampoline_kernelINS0_14default_configENS1_29reduce_by_key_config_selectorIssN6thrust23THRUST_200600_302600_NS4plusIsEEEEZZNS1_33reduce_by_key_impl_wrapped_configILNS1_25lookback_scan_determinismE0ES3_S9_NS6_6detail15normal_iteratorINS6_10device_ptrIsEEEESG_SG_SG_PmS8_NS6_8equal_toIsEEEE10hipError_tPvRmT2_T3_mT4_T5_T6_T7_T8_P12ihipStream_tbENKUlT_T0_E_clISt17integral_constantIbLb0EES10_IbLb1EEEEDaSW_SX_EUlSW_E_NS1_11comp_targetILNS1_3genE9ELNS1_11target_archE1100ELNS1_3gpuE3ELNS1_3repE0EEENS1_30default_config_static_selectorELNS0_4arch9wavefront6targetE0EEEvT1_,comdat
	.protected	_ZN7rocprim17ROCPRIM_400000_NS6detail17trampoline_kernelINS0_14default_configENS1_29reduce_by_key_config_selectorIssN6thrust23THRUST_200600_302600_NS4plusIsEEEEZZNS1_33reduce_by_key_impl_wrapped_configILNS1_25lookback_scan_determinismE0ES3_S9_NS6_6detail15normal_iteratorINS6_10device_ptrIsEEEESG_SG_SG_PmS8_NS6_8equal_toIsEEEE10hipError_tPvRmT2_T3_mT4_T5_T6_T7_T8_P12ihipStream_tbENKUlT_T0_E_clISt17integral_constantIbLb0EES10_IbLb1EEEEDaSW_SX_EUlSW_E_NS1_11comp_targetILNS1_3genE9ELNS1_11target_archE1100ELNS1_3gpuE3ELNS1_3repE0EEENS1_30default_config_static_selectorELNS0_4arch9wavefront6targetE0EEEvT1_ ; -- Begin function _ZN7rocprim17ROCPRIM_400000_NS6detail17trampoline_kernelINS0_14default_configENS1_29reduce_by_key_config_selectorIssN6thrust23THRUST_200600_302600_NS4plusIsEEEEZZNS1_33reduce_by_key_impl_wrapped_configILNS1_25lookback_scan_determinismE0ES3_S9_NS6_6detail15normal_iteratorINS6_10device_ptrIsEEEESG_SG_SG_PmS8_NS6_8equal_toIsEEEE10hipError_tPvRmT2_T3_mT4_T5_T6_T7_T8_P12ihipStream_tbENKUlT_T0_E_clISt17integral_constantIbLb0EES10_IbLb1EEEEDaSW_SX_EUlSW_E_NS1_11comp_targetILNS1_3genE9ELNS1_11target_archE1100ELNS1_3gpuE3ELNS1_3repE0EEENS1_30default_config_static_selectorELNS0_4arch9wavefront6targetE0EEEvT1_
	.globl	_ZN7rocprim17ROCPRIM_400000_NS6detail17trampoline_kernelINS0_14default_configENS1_29reduce_by_key_config_selectorIssN6thrust23THRUST_200600_302600_NS4plusIsEEEEZZNS1_33reduce_by_key_impl_wrapped_configILNS1_25lookback_scan_determinismE0ES3_S9_NS6_6detail15normal_iteratorINS6_10device_ptrIsEEEESG_SG_SG_PmS8_NS6_8equal_toIsEEEE10hipError_tPvRmT2_T3_mT4_T5_T6_T7_T8_P12ihipStream_tbENKUlT_T0_E_clISt17integral_constantIbLb0EES10_IbLb1EEEEDaSW_SX_EUlSW_E_NS1_11comp_targetILNS1_3genE9ELNS1_11target_archE1100ELNS1_3gpuE3ELNS1_3repE0EEENS1_30default_config_static_selectorELNS0_4arch9wavefront6targetE0EEEvT1_
	.p2align	8
	.type	_ZN7rocprim17ROCPRIM_400000_NS6detail17trampoline_kernelINS0_14default_configENS1_29reduce_by_key_config_selectorIssN6thrust23THRUST_200600_302600_NS4plusIsEEEEZZNS1_33reduce_by_key_impl_wrapped_configILNS1_25lookback_scan_determinismE0ES3_S9_NS6_6detail15normal_iteratorINS6_10device_ptrIsEEEESG_SG_SG_PmS8_NS6_8equal_toIsEEEE10hipError_tPvRmT2_T3_mT4_T5_T6_T7_T8_P12ihipStream_tbENKUlT_T0_E_clISt17integral_constantIbLb0EES10_IbLb1EEEEDaSW_SX_EUlSW_E_NS1_11comp_targetILNS1_3genE9ELNS1_11target_archE1100ELNS1_3gpuE3ELNS1_3repE0EEENS1_30default_config_static_selectorELNS0_4arch9wavefront6targetE0EEEvT1_,@function
_ZN7rocprim17ROCPRIM_400000_NS6detail17trampoline_kernelINS0_14default_configENS1_29reduce_by_key_config_selectorIssN6thrust23THRUST_200600_302600_NS4plusIsEEEEZZNS1_33reduce_by_key_impl_wrapped_configILNS1_25lookback_scan_determinismE0ES3_S9_NS6_6detail15normal_iteratorINS6_10device_ptrIsEEEESG_SG_SG_PmS8_NS6_8equal_toIsEEEE10hipError_tPvRmT2_T3_mT4_T5_T6_T7_T8_P12ihipStream_tbENKUlT_T0_E_clISt17integral_constantIbLb0EES10_IbLb1EEEEDaSW_SX_EUlSW_E_NS1_11comp_targetILNS1_3genE9ELNS1_11target_archE1100ELNS1_3gpuE3ELNS1_3repE0EEENS1_30default_config_static_selectorELNS0_4arch9wavefront6targetE0EEEvT1_: ; @_ZN7rocprim17ROCPRIM_400000_NS6detail17trampoline_kernelINS0_14default_configENS1_29reduce_by_key_config_selectorIssN6thrust23THRUST_200600_302600_NS4plusIsEEEEZZNS1_33reduce_by_key_impl_wrapped_configILNS1_25lookback_scan_determinismE0ES3_S9_NS6_6detail15normal_iteratorINS6_10device_ptrIsEEEESG_SG_SG_PmS8_NS6_8equal_toIsEEEE10hipError_tPvRmT2_T3_mT4_T5_T6_T7_T8_P12ihipStream_tbENKUlT_T0_E_clISt17integral_constantIbLb0EES10_IbLb1EEEEDaSW_SX_EUlSW_E_NS1_11comp_targetILNS1_3genE9ELNS1_11target_archE1100ELNS1_3gpuE3ELNS1_3repE0EEENS1_30default_config_static_selectorELNS0_4arch9wavefront6targetE0EEEvT1_
; %bb.0:
	s_clause 0x4
	s_load_b256 s[12:19], s[0:1], 0x0
	s_load_b128 s[28:31], s[0:1], 0x20
	s_load_b256 s[20:27], s[0:1], 0x38
	s_load_b64 s[34:35], s[0:1], 0x68
	s_load_b128 s[36:39], s[0:1], 0x58
	v_cmp_ne_u32_e64 s3, 0, v0
	v_cmp_eq_u32_e64 s2, 0, v0
	s_delay_alu instid0(VALU_DEP_1)
	s_and_saveexec_b32 s4, s2
	s_cbranch_execz .LBB659_4
; %bb.1:
	s_mov_b32 s6, exec_lo
	s_mov_b32 s5, exec_lo
	v_mbcnt_lo_u32_b32 v1, s6, 0
                                        ; implicit-def: $vgpr2
	s_delay_alu instid0(VALU_DEP_1)
	v_cmpx_eq_u32_e32 0, v1
	s_cbranch_execz .LBB659_3
; %bb.2:
	s_load_b64 s[0:1], s[0:1], 0x70
	s_bcnt1_i32_b32 s6, s6
	s_delay_alu instid0(SALU_CYCLE_1)
	v_dual_mov_b32 v2, 0 :: v_dual_mov_b32 v3, s6
	s_waitcnt lgkmcnt(0)
	global_atomic_add_u32 v2, v2, v3, s[0:1] glc
.LBB659_3:
	s_or_b32 exec_lo, exec_lo, s5
	s_waitcnt vmcnt(0)
	v_readfirstlane_b32 s0, v2
	s_delay_alu instid0(VALU_DEP_1)
	v_dual_mov_b32 v2, 0 :: v_dual_add_nc_u32 v1, s0, v1
	ds_store_b32 v2, v1
.LBB659_4:
	s_or_b32 exec_lo, exec_lo, s4
	v_mov_b32_e32 v2, 0
	s_waitcnt lgkmcnt(0)
	s_barrier
	buffer_gl0_inv
	s_lshl_b64 s[4:5], s[14:15], 1
	ds_load_b32 v1, v2
	s_add_u32 s9, s12, s4
	s_mul_i32 s1, s24, s23
	s_mul_hi_u32 s6, s24, s22
	s_addc_u32 s10, s13, s5
	s_add_u32 s11, s16, s4
	s_mul_i32 s7, s25, s22
	s_addc_u32 s12, s17, s5
	s_add_i32 s1, s6, s1
	s_mul_i32 s8, s24, s22
	s_add_i32 s1, s1, s7
	s_mov_b32 s0, 0
	s_waitcnt lgkmcnt(0)
	s_barrier
	buffer_gl0_inv
	v_readfirstlane_b32 s33, v1
	v_mul_lo_u32 v1, 0xf00, v1
	s_delay_alu instid0(VALU_DEP_2) | instskip(SKIP_3) | instid1(VALU_DEP_1)
	s_add_u32 s24, s8, s33
	s_addc_u32 s25, s1, 0
	s_add_u32 s4, s26, -1
	s_addc_u32 s5, s27, -1
	v_lshlrev_b64 v[1:2], 1, v[1:2]
	s_cmp_eq_u64 s[24:25], s[4:5]
	s_mul_i32 s26, s4, 0xfffff100
	s_cselect_b32 s17, -1, 0
	s_cmp_lg_u64 s[24:25], s[4:5]
	s_delay_alu instid0(VALU_DEP_1)
	v_add_co_u32 v8, vcc_lo, s9, v1
	v_add_co_ci_u32_e32 v6, vcc_lo, s10, v2, vcc_lo
	v_add_co_u32 v5, vcc_lo, s11, v1
	v_add_co_ci_u32_e32 v7, vcc_lo, s12, v2, vcc_lo
	s_cselect_b32 s40, -1, 0
	s_and_b32 vcc_lo, exec_lo, s17
	s_cbranch_vccnz .LBB659_6
; %bb.5:
	v_lshlrev_b32_e32 v17, 1, v0
	s_delay_alu instid0(VALU_DEP_1) | instskip(SKIP_2) | instid1(VALU_DEP_3)
	v_add_co_u32 v1, vcc_lo, v8, v17
	v_add_co_ci_u32_e32 v2, vcc_lo, 0, v6, vcc_lo
	v_mad_u32_u24 v9, v0, 28, v17
	v_add_co_u32 v3, vcc_lo, 0x1000, v1
	s_delay_alu instid0(VALU_DEP_3)
	v_add_co_ci_u32_e32 v4, vcc_lo, 0, v2, vcc_lo
	s_clause 0xe
	flat_load_u16 v10, v[1:2]
	flat_load_u16 v11, v[1:2] offset:512
	flat_load_u16 v12, v[1:2] offset:1024
	;; [unrolled: 1-line block ×7, first 2 shown]
	flat_load_u16 v2, v[3:4]
	flat_load_u16 v22, v[3:4] offset:512
	flat_load_u16 v23, v[3:4] offset:1024
	;; [unrolled: 1-line block ×6, first 2 shown]
	v_add_co_u32 v13, vcc_lo, v5, v17
	v_add_co_ci_u32_e32 v14, vcc_lo, 0, v7, vcc_lo
	s_waitcnt vmcnt(14) lgkmcnt(14)
	ds_store_b16 v17, v10
	s_waitcnt vmcnt(13) lgkmcnt(14)
	ds_store_b16 v17, v11 offset:512
	s_waitcnt vmcnt(12) lgkmcnt(14)
	ds_store_b16 v17, v12 offset:1024
	;; [unrolled: 2-line block ×14, first 2 shown]
	v_add_co_u32 v15, vcc_lo, 0x1000, v13
	v_add_co_ci_u32_e32 v16, vcc_lo, 0, v14, vcc_lo
	s_waitcnt lgkmcnt(0)
	s_barrier
	buffer_gl0_inv
	ds_load_u16 v55, v9
	ds_load_b128 v[1:4], v9 offset:2
	ds_load_b96 v[10:12], v9 offset:18
	s_waitcnt lgkmcnt(0)
	s_barrier
	buffer_gl0_inv
	s_clause 0xe
	flat_load_u16 v18, v[13:14]
	flat_load_u16 v19, v[13:14] offset:512
	flat_load_u16 v20, v[13:14] offset:1024
	;; [unrolled: 1-line block ×7, first 2 shown]
	flat_load_u16 v25, v[15:16]
	flat_load_u16 v26, v[15:16] offset:512
	flat_load_u16 v27, v[15:16] offset:1024
	;; [unrolled: 1-line block ×6, first 2 shown]
	v_mul_u32_u24_e32 v13, 15, v0
	s_waitcnt vmcnt(14) lgkmcnt(14)
	ds_store_b16 v17, v18
	s_waitcnt vmcnt(13) lgkmcnt(14)
	ds_store_b16 v17, v19 offset:512
	s_waitcnt vmcnt(12) lgkmcnt(14)
	ds_store_b16 v17, v20 offset:1024
	;; [unrolled: 2-line block ×14, first 2 shown]
	s_waitcnt lgkmcnt(0)
	s_barrier
	s_and_not1_b32 vcc_lo, exec_lo, s0
	s_add_i32 s26, s26, s36
	s_cbranch_vccz .LBB659_7
	s_branch .LBB659_54
.LBB659_6:
                                        ; implicit-def: $vgpr1
                                        ; implicit-def: $vgpr10
                                        ; implicit-def: $vgpr13
                                        ; implicit-def: $vgpr9
                                        ; implicit-def: $vgpr55
	s_add_i32 s26, s26, s36
.LBB659_7:
	s_delay_alu instid0(SALU_CYCLE_1)
	v_cmp_gt_u32_e32 vcc_lo, s26, v0
                                        ; implicit-def: $vgpr1
	s_and_saveexec_b32 s1, vcc_lo
	s_cbranch_execz .LBB659_9
; %bb.8:
	v_lshlrev_b32_e32 v1, 1, v0
	s_delay_alu instid0(VALU_DEP_1) | instskip(NEXT) | instid1(VALU_DEP_1)
	v_add_co_u32 v1, s0, v8, v1
	v_add_co_ci_u32_e64 v2, s0, 0, v6, s0
	flat_load_u16 v1, v[1:2]
.LBB659_9:
	s_or_b32 exec_lo, exec_lo, s1
	v_or_b32_e32 v2, 0x100, v0
	s_delay_alu instid0(VALU_DEP_1) | instskip(NEXT) | instid1(VALU_DEP_1)
	v_cmp_gt_u32_e64 s0, s26, v2
                                        ; implicit-def: $vgpr2
	s_and_saveexec_b32 s4, s0
	s_cbranch_execz .LBB659_11
; %bb.10:
	v_lshlrev_b32_e32 v2, 1, v0
	s_delay_alu instid0(VALU_DEP_1) | instskip(NEXT) | instid1(VALU_DEP_1)
	v_add_co_u32 v2, s1, v8, v2
	v_add_co_ci_u32_e64 v3, s1, 0, v6, s1
	flat_load_u16 v2, v[2:3] offset:512
.LBB659_11:
	s_or_b32 exec_lo, exec_lo, s4
	v_or_b32_e32 v3, 0x200, v0
	s_delay_alu instid0(VALU_DEP_1) | instskip(NEXT) | instid1(VALU_DEP_1)
	v_cmp_gt_u32_e64 s1, s26, v3
                                        ; implicit-def: $vgpr3
	s_and_saveexec_b32 s5, s1
	s_cbranch_execz .LBB659_13
; %bb.12:
	v_lshlrev_b32_e32 v3, 1, v0
	s_delay_alu instid0(VALU_DEP_1) | instskip(NEXT) | instid1(VALU_DEP_1)
	v_add_co_u32 v3, s4, v8, v3
	v_add_co_ci_u32_e64 v4, s4, 0, v6, s4
	flat_load_u16 v3, v[3:4] offset:1024
.LBB659_13:
	s_or_b32 exec_lo, exec_lo, s5
	v_or_b32_e32 v4, 0x300, v0
	s_delay_alu instid0(VALU_DEP_1) | instskip(NEXT) | instid1(VALU_DEP_1)
	v_cmp_gt_u32_e64 s4, s26, v4
                                        ; implicit-def: $vgpr4
	s_and_saveexec_b32 s6, s4
	s_cbranch_execz .LBB659_15
; %bb.14:
	v_lshlrev_b32_e32 v4, 1, v0
	s_delay_alu instid0(VALU_DEP_1) | instskip(NEXT) | instid1(VALU_DEP_1)
	v_add_co_u32 v9, s5, v8, v4
	v_add_co_ci_u32_e64 v10, s5, 0, v6, s5
	flat_load_u16 v4, v[9:10] offset:1536
.LBB659_15:
	s_or_b32 exec_lo, exec_lo, s6
	v_or_b32_e32 v9, 0x400, v0
	s_delay_alu instid0(VALU_DEP_1) | instskip(NEXT) | instid1(VALU_DEP_1)
	v_cmp_gt_u32_e64 s5, s26, v9
                                        ; implicit-def: $vgpr9
	s_and_saveexec_b32 s7, s5
	s_cbranch_execz .LBB659_17
; %bb.16:
	v_lshlrev_b32_e32 v9, 1, v0
	s_delay_alu instid0(VALU_DEP_1) | instskip(NEXT) | instid1(VALU_DEP_1)
	v_add_co_u32 v9, s6, v8, v9
	v_add_co_ci_u32_e64 v10, s6, 0, v6, s6
	flat_load_u16 v9, v[9:10] offset:2048
.LBB659_17:
	s_or_b32 exec_lo, exec_lo, s7
	v_or_b32_e32 v10, 0x500, v0
	s_delay_alu instid0(VALU_DEP_1) | instskip(NEXT) | instid1(VALU_DEP_1)
	v_cmp_gt_u32_e64 s6, s26, v10
                                        ; implicit-def: $vgpr10
	s_and_saveexec_b32 s8, s6
	s_cbranch_execz .LBB659_19
; %bb.18:
	v_lshlrev_b32_e32 v10, 1, v0
	s_delay_alu instid0(VALU_DEP_1) | instskip(NEXT) | instid1(VALU_DEP_1)
	v_add_co_u32 v10, s7, v8, v10
	v_add_co_ci_u32_e64 v11, s7, 0, v6, s7
	flat_load_u16 v10, v[10:11] offset:2560
.LBB659_19:
	s_or_b32 exec_lo, exec_lo, s8
	v_or_b32_e32 v11, 0x600, v0
	s_delay_alu instid0(VALU_DEP_1) | instskip(NEXT) | instid1(VALU_DEP_1)
	v_cmp_gt_u32_e64 s7, s26, v11
                                        ; implicit-def: $vgpr11
	s_and_saveexec_b32 s9, s7
	s_cbranch_execz .LBB659_21
; %bb.20:
	v_lshlrev_b32_e32 v11, 1, v0
	s_delay_alu instid0(VALU_DEP_1) | instskip(NEXT) | instid1(VALU_DEP_1)
	v_add_co_u32 v11, s8, v8, v11
	v_add_co_ci_u32_e64 v12, s8, 0, v6, s8
	flat_load_u16 v11, v[11:12] offset:3072
.LBB659_21:
	s_or_b32 exec_lo, exec_lo, s9
	v_or_b32_e32 v12, 0x700, v0
	s_delay_alu instid0(VALU_DEP_1) | instskip(NEXT) | instid1(VALU_DEP_1)
	v_cmp_gt_u32_e64 s8, s26, v12
                                        ; implicit-def: $vgpr12
	s_and_saveexec_b32 s10, s8
	s_cbranch_execz .LBB659_23
; %bb.22:
	v_lshlrev_b32_e32 v12, 1, v0
	s_delay_alu instid0(VALU_DEP_1) | instskip(NEXT) | instid1(VALU_DEP_1)
	v_add_co_u32 v12, s9, v8, v12
	v_add_co_ci_u32_e64 v13, s9, 0, v6, s9
	flat_load_u16 v12, v[12:13] offset:3584
.LBB659_23:
	s_or_b32 exec_lo, exec_lo, s10
	v_or_b32_e32 v13, 0x800, v0
                                        ; implicit-def: $vgpr21
	s_delay_alu instid0(VALU_DEP_1) | instskip(SKIP_1) | instid1(VALU_DEP_2)
	v_cmp_gt_u32_e64 s9, s26, v13
	v_lshlrev_b32_e32 v13, 1, v13
	s_and_saveexec_b32 s11, s9
	s_cbranch_execz .LBB659_25
; %bb.24:
	s_delay_alu instid0(VALU_DEP_1) | instskip(NEXT) | instid1(VALU_DEP_1)
	v_add_co_u32 v14, s10, v8, v13
	v_add_co_ci_u32_e64 v15, s10, 0, v6, s10
	flat_load_u16 v21, v[14:15]
.LBB659_25:
	s_or_b32 exec_lo, exec_lo, s11
	v_or_b32_e32 v14, 0x900, v0
                                        ; implicit-def: $vgpr22
	s_delay_alu instid0(VALU_DEP_1) | instskip(SKIP_1) | instid1(VALU_DEP_2)
	v_cmp_gt_u32_e64 s10, s26, v14
	v_lshlrev_b32_e32 v14, 1, v14
	s_and_saveexec_b32 s12, s10
	s_cbranch_execz .LBB659_27
; %bb.26:
	s_delay_alu instid0(VALU_DEP_1) | instskip(NEXT) | instid1(VALU_DEP_1)
	v_add_co_u32 v15, s11, v8, v14
	v_add_co_ci_u32_e64 v16, s11, 0, v6, s11
	flat_load_u16 v22, v[15:16]
.LBB659_27:
	s_or_b32 exec_lo, exec_lo, s12
	v_or_b32_e32 v15, 0xa00, v0
                                        ; implicit-def: $vgpr23
	s_delay_alu instid0(VALU_DEP_1) | instskip(SKIP_1) | instid1(VALU_DEP_2)
	v_cmp_gt_u32_e64 s11, s26, v15
	v_lshlrev_b32_e32 v16, 1, v15
	s_and_saveexec_b32 s13, s11
	s_cbranch_execz .LBB659_29
; %bb.28:
	s_delay_alu instid0(VALU_DEP_1) | instskip(NEXT) | instid1(VALU_DEP_1)
	v_add_co_u32 v17, s12, v8, v16
	v_add_co_ci_u32_e64 v18, s12, 0, v6, s12
	flat_load_u16 v23, v[17:18]
.LBB659_29:
	s_or_b32 exec_lo, exec_lo, s13
	v_or_b32_e32 v15, 0xb00, v0
                                        ; implicit-def: $vgpr24
	s_delay_alu instid0(VALU_DEP_1) | instskip(SKIP_1) | instid1(VALU_DEP_2)
	v_cmp_gt_u32_e64 s12, s26, v15
	v_lshlrev_b32_e32 v17, 1, v15
	s_and_saveexec_b32 s14, s12
	s_cbranch_execz .LBB659_31
; %bb.30:
	s_delay_alu instid0(VALU_DEP_1) | instskip(NEXT) | instid1(VALU_DEP_1)
	v_add_co_u32 v18, s13, v8, v17
	v_add_co_ci_u32_e64 v19, s13, 0, v6, s13
	flat_load_u16 v24, v[18:19]
.LBB659_31:
	s_or_b32 exec_lo, exec_lo, s14
	v_or_b32_e32 v15, 0xc00, v0
                                        ; implicit-def: $vgpr25
	s_delay_alu instid0(VALU_DEP_1) | instskip(SKIP_1) | instid1(VALU_DEP_2)
	v_cmp_gt_u32_e64 s13, s26, v15
	v_lshlrev_b32_e32 v18, 1, v15
	s_and_saveexec_b32 s15, s13
	s_cbranch_execz .LBB659_33
; %bb.32:
	s_delay_alu instid0(VALU_DEP_1) | instskip(NEXT) | instid1(VALU_DEP_1)
	v_add_co_u32 v19, s14, v8, v18
	v_add_co_ci_u32_e64 v20, s14, 0, v6, s14
	flat_load_u16 v25, v[19:20]
.LBB659_33:
	s_or_b32 exec_lo, exec_lo, s15
	v_or_b32_e32 v15, 0xd00, v0
                                        ; implicit-def: $vgpr26
	s_delay_alu instid0(VALU_DEP_1) | instskip(SKIP_1) | instid1(VALU_DEP_2)
	v_cmp_gt_u32_e64 s14, s26, v15
	v_lshlrev_b32_e32 v19, 1, v15
	s_and_saveexec_b32 s16, s14
	s_cbranch_execz .LBB659_35
; %bb.34:
	s_delay_alu instid0(VALU_DEP_1) | instskip(NEXT) | instid1(VALU_DEP_1)
	v_add_co_u32 v26, s15, v8, v19
	v_add_co_ci_u32_e64 v27, s15, 0, v6, s15
	flat_load_u16 v26, v[26:27]
.LBB659_35:
	s_or_b32 exec_lo, exec_lo, s16
	v_or_b32_e32 v15, 0xe00, v0
                                        ; implicit-def: $vgpr27
	s_delay_alu instid0(VALU_DEP_1) | instskip(SKIP_1) | instid1(VALU_DEP_2)
	v_cmp_gt_u32_e64 s15, s26, v15
	v_lshlrev_b32_e32 v20, 1, v15
	s_and_saveexec_b32 s27, s15
	s_cbranch_execz .LBB659_37
; %bb.36:
	s_delay_alu instid0(VALU_DEP_1) | instskip(NEXT) | instid1(VALU_DEP_1)
	v_add_co_u32 v27, s16, v8, v20
	v_add_co_ci_u32_e64 v28, s16, 0, v6, s16
	flat_load_u16 v27, v[27:28]
.LBB659_37:
	s_or_b32 exec_lo, exec_lo, s27
	v_lshlrev_b32_e32 v15, 1, v0
	s_waitcnt vmcnt(0) lgkmcnt(0)
	ds_store_b16 v15, v1
	ds_store_b16 v15, v2 offset:512
	ds_store_b16 v15, v3 offset:1024
	ds_store_b16 v15, v4 offset:1536
	ds_store_b16 v15, v9 offset:2048
	ds_store_b16 v15, v10 offset:2560
	ds_store_b16 v15, v11 offset:3072
	ds_store_b16 v15, v12 offset:3584
	v_mad_u32_u24 v9, v0, 28, v15
	ds_store_b16 v15, v21 offset:4096
	ds_store_b16 v15, v22 offset:4608
	;; [unrolled: 1-line block ×7, first 2 shown]
	s_waitcnt lgkmcnt(0)
	s_barrier
	buffer_gl0_inv
	ds_load_u16 v55, v9
	ds_load_b128 v[1:4], v9 offset:2
	ds_load_b96 v[10:12], v9 offset:18
	s_waitcnt lgkmcnt(0)
	s_barrier
	buffer_gl0_inv
                                        ; implicit-def: $vgpr21
	s_and_saveexec_b32 s16, vcc_lo
	s_cbranch_execnz .LBB659_61
; %bb.38:
	s_or_b32 exec_lo, exec_lo, s16
                                        ; implicit-def: $vgpr22
	s_and_saveexec_b32 s16, s0
	s_cbranch_execnz .LBB659_62
.LBB659_39:
	s_or_b32 exec_lo, exec_lo, s16
                                        ; implicit-def: $vgpr23
	s_and_saveexec_b32 s0, s1
	s_cbranch_execnz .LBB659_63
.LBB659_40:
	s_or_b32 exec_lo, exec_lo, s0
                                        ; implicit-def: $vgpr24
	s_and_saveexec_b32 s0, s4
	s_cbranch_execnz .LBB659_64
.LBB659_41:
	s_or_b32 exec_lo, exec_lo, s0
                                        ; implicit-def: $vgpr25
	s_and_saveexec_b32 s0, s5
	s_cbranch_execnz .LBB659_65
.LBB659_42:
	s_or_b32 exec_lo, exec_lo, s0
                                        ; implicit-def: $vgpr26
	s_and_saveexec_b32 s0, s6
	s_cbranch_execnz .LBB659_66
.LBB659_43:
	s_or_b32 exec_lo, exec_lo, s0
                                        ; implicit-def: $vgpr27
	s_and_saveexec_b32 s0, s7
	s_cbranch_execnz .LBB659_67
.LBB659_44:
	s_or_b32 exec_lo, exec_lo, s0
                                        ; implicit-def: $vgpr28
	s_and_saveexec_b32 s0, s8
	s_cbranch_execnz .LBB659_68
.LBB659_45:
	s_or_b32 exec_lo, exec_lo, s0
                                        ; implicit-def: $vgpr29
	s_and_saveexec_b32 s0, s9
	s_cbranch_execnz .LBB659_69
.LBB659_46:
	s_or_b32 exec_lo, exec_lo, s0
                                        ; implicit-def: $vgpr30
	s_and_saveexec_b32 s0, s10
	s_cbranch_execnz .LBB659_70
.LBB659_47:
	s_or_b32 exec_lo, exec_lo, s0
                                        ; implicit-def: $vgpr14
	s_and_saveexec_b32 s0, s11
	s_cbranch_execnz .LBB659_71
.LBB659_48:
	s_or_b32 exec_lo, exec_lo, s0
                                        ; implicit-def: $vgpr16
	s_and_saveexec_b32 s0, s12
	s_cbranch_execnz .LBB659_72
.LBB659_49:
	s_or_b32 exec_lo, exec_lo, s0
                                        ; implicit-def: $vgpr17
	s_and_saveexec_b32 s0, s13
	s_cbranch_execnz .LBB659_73
.LBB659_50:
	s_or_b32 exec_lo, exec_lo, s0
                                        ; implicit-def: $vgpr18
	s_and_saveexec_b32 s0, s14
	s_cbranch_execnz .LBB659_74
.LBB659_51:
	s_or_b32 exec_lo, exec_lo, s0
                                        ; implicit-def: $vgpr19
	s_and_saveexec_b32 s0, s15
	s_cbranch_execz .LBB659_53
.LBB659_52:
	v_add_co_u32 v19, vcc_lo, v5, v20
	v_add_co_ci_u32_e32 v20, vcc_lo, 0, v7, vcc_lo
	flat_load_u16 v19, v[19:20]
.LBB659_53:
	s_or_b32 exec_lo, exec_lo, s0
	v_mul_u32_u24_e32 v13, 15, v0
	s_waitcnt vmcnt(0) lgkmcnt(0)
	ds_store_b16 v15, v21
	ds_store_b16 v15, v22 offset:512
	ds_store_b16 v15, v23 offset:1024
	;; [unrolled: 1-line block ×14, first 2 shown]
	s_waitcnt lgkmcnt(0)
	s_barrier
.LBB659_54:
	v_lshlrev_b32_e32 v5, 1, v13
	buffer_gl0_inv
	ds_load_u16 v74, v9
	ds_load_u16 v73, v9 offset:2
	ds_load_u16 v71, v9 offset:6
	;; [unrolled: 1-line block ×14, first 2 shown]
	s_cmp_eq_u64 s[24:25], 0
	s_waitcnt lgkmcnt(0)
	s_cselect_b32 s27, -1, 0
	s_cmp_lg_u64 s[24:25], 0
	s_barrier
	s_cselect_b32 s41, -1, 0
	s_and_b32 vcc_lo, exec_lo, s40
	buffer_gl0_inv
	s_cbranch_vccz .LBB659_60
; %bb.55:
	s_and_b32 vcc_lo, exec_lo, s41
	s_cbranch_vccz .LBB659_75
; %bb.56:
	v_add_co_u32 v13, vcc_lo, -2, v8
	v_add_co_ci_u32_e32 v14, vcc_lo, -1, v6, vcc_lo
	v_lshrrev_b32_e32 v15, 16, v4
	v_lshrrev_b32_e32 v9, 16, v12
	v_lshlrev_b32_e32 v7, 1, v0
	flat_load_u16 v5, v[13:14]
	v_lshrrev_b32_e32 v13, 16, v11
	v_lshrrev_b32_e32 v14, 16, v10
	v_cmp_ne_u16_e64 s6, v15, v10
	v_cmp_ne_u16_e64 s7, v4, v15
	v_lshrrev_b32_e32 v15, 16, v1
	v_cmp_ne_u16_e64 s0, v13, v12
	v_cmp_ne_u16_e64 s1, v11, v13
	;; [unrolled: 1-line block ×4, first 2 shown]
	v_lshrrev_b32_e32 v13, 16, v3
	v_lshrrev_b32_e32 v14, 16, v2
	v_cmp_ne_u16_e32 vcc_lo, v12, v9
	v_cmp_ne_u16_e64 s12, v15, v2
	v_cmp_ne_u16_e64 s13, v1, v15
	;; [unrolled: 1-line block ×7, first 2 shown]
	s_mov_b32 s16, -1
	ds_store_b16 v7, v9
	s_waitcnt vmcnt(0) lgkmcnt(0)
	s_barrier
	buffer_gl0_inv
	s_and_saveexec_b32 s15, s3
	s_cbranch_execz .LBB659_58
; %bb.57:
	v_add_nc_u32_e32 v5, -2, v7
	ds_load_u16 v5, v5
.LBB659_58:
	s_or_b32 exec_lo, exec_lo, s15
	v_cndmask_b32_e64 v52, 0, 1, vcc_lo
	v_cndmask_b32_e64 v47, 0, 1, s0
	v_cndmask_b32_e64 v48, 0, 1, s1
	;; [unrolled: 1-line block ×13, first 2 shown]
	s_waitcnt lgkmcnt(0)
	v_cmp_ne_u16_e64 s0, v5, v55
.LBB659_59:
                                        ; implicit-def: $sgpr7
	s_branch .LBB659_87
.LBB659_60:
	s_mov_b32 s16, 0
                                        ; implicit-def: $sgpr0
                                        ; implicit-def: $vgpr52
                                        ; implicit-def: $vgpr47
                                        ; implicit-def: $vgpr48
                                        ; implicit-def: $vgpr49
                                        ; implicit-def: $vgpr50
                                        ; implicit-def: $vgpr51
                                        ; implicit-def: $vgpr53
                                        ; implicit-def: $vgpr54
                                        ; implicit-def: $vgpr56
                                        ; implicit-def: $vgpr57
                                        ; implicit-def: $vgpr58
                                        ; implicit-def: $vgpr59
                                        ; implicit-def: $vgpr60
                                        ; implicit-def: $vgpr61
                                        ; implicit-def: $sgpr7
	s_cbranch_execnz .LBB659_79
	s_branch .LBB659_87
.LBB659_61:
	v_add_co_u32 v21, vcc_lo, v5, v15
	v_add_co_ci_u32_e32 v22, vcc_lo, 0, v7, vcc_lo
	flat_load_u16 v21, v[21:22]
	s_or_b32 exec_lo, exec_lo, s16
                                        ; implicit-def: $vgpr22
	s_and_saveexec_b32 s16, s0
	s_cbranch_execz .LBB659_39
.LBB659_62:
	v_add_co_u32 v22, vcc_lo, v5, v15
	v_add_co_ci_u32_e32 v23, vcc_lo, 0, v7, vcc_lo
	flat_load_u16 v22, v[22:23] offset:512
	s_or_b32 exec_lo, exec_lo, s16
                                        ; implicit-def: $vgpr23
	s_and_saveexec_b32 s0, s1
	s_cbranch_execz .LBB659_40
.LBB659_63:
	v_add_co_u32 v23, vcc_lo, v5, v15
	v_add_co_ci_u32_e32 v24, vcc_lo, 0, v7, vcc_lo
	flat_load_u16 v23, v[23:24] offset:1024
	s_or_b32 exec_lo, exec_lo, s0
                                        ; implicit-def: $vgpr24
	s_and_saveexec_b32 s0, s4
	s_cbranch_execz .LBB659_41
.LBB659_64:
	v_add_co_u32 v24, vcc_lo, v5, v15
	v_add_co_ci_u32_e32 v25, vcc_lo, 0, v7, vcc_lo
	flat_load_u16 v24, v[24:25] offset:1536
	s_or_b32 exec_lo, exec_lo, s0
                                        ; implicit-def: $vgpr25
	s_and_saveexec_b32 s0, s5
	s_cbranch_execz .LBB659_42
.LBB659_65:
	v_add_co_u32 v25, vcc_lo, v5, v15
	v_add_co_ci_u32_e32 v26, vcc_lo, 0, v7, vcc_lo
	flat_load_u16 v25, v[25:26] offset:2048
	s_or_b32 exec_lo, exec_lo, s0
                                        ; implicit-def: $vgpr26
	s_and_saveexec_b32 s0, s6
	s_cbranch_execz .LBB659_43
.LBB659_66:
	v_add_co_u32 v26, vcc_lo, v5, v15
	v_add_co_ci_u32_e32 v27, vcc_lo, 0, v7, vcc_lo
	flat_load_u16 v26, v[26:27] offset:2560
	s_or_b32 exec_lo, exec_lo, s0
                                        ; implicit-def: $vgpr27
	s_and_saveexec_b32 s0, s7
	s_cbranch_execz .LBB659_44
.LBB659_67:
	v_add_co_u32 v27, vcc_lo, v5, v15
	v_add_co_ci_u32_e32 v28, vcc_lo, 0, v7, vcc_lo
	flat_load_u16 v27, v[27:28] offset:3072
	s_or_b32 exec_lo, exec_lo, s0
                                        ; implicit-def: $vgpr28
	s_and_saveexec_b32 s0, s8
	s_cbranch_execz .LBB659_45
.LBB659_68:
	v_add_co_u32 v28, vcc_lo, v5, v15
	v_add_co_ci_u32_e32 v29, vcc_lo, 0, v7, vcc_lo
	flat_load_u16 v28, v[28:29] offset:3584
	s_or_b32 exec_lo, exec_lo, s0
                                        ; implicit-def: $vgpr29
	s_and_saveexec_b32 s0, s9
	s_cbranch_execz .LBB659_46
.LBB659_69:
	v_add_co_u32 v29, vcc_lo, v5, v13
	v_add_co_ci_u32_e32 v30, vcc_lo, 0, v7, vcc_lo
	flat_load_u16 v29, v[29:30]
	s_or_b32 exec_lo, exec_lo, s0
                                        ; implicit-def: $vgpr30
	s_and_saveexec_b32 s0, s10
	s_cbranch_execz .LBB659_47
.LBB659_70:
	v_add_co_u32 v13, vcc_lo, v5, v14
	v_add_co_ci_u32_e32 v14, vcc_lo, 0, v7, vcc_lo
	flat_load_u16 v30, v[13:14]
	s_or_b32 exec_lo, exec_lo, s0
                                        ; implicit-def: $vgpr14
	s_and_saveexec_b32 s0, s11
	s_cbranch_execz .LBB659_48
.LBB659_71:
	v_add_co_u32 v13, vcc_lo, v5, v16
	v_add_co_ci_u32_e32 v14, vcc_lo, 0, v7, vcc_lo
	flat_load_u16 v14, v[13:14]
	s_or_b32 exec_lo, exec_lo, s0
                                        ; implicit-def: $vgpr16
	s_and_saveexec_b32 s0, s12
	s_cbranch_execz .LBB659_49
.LBB659_72:
	v_add_co_u32 v16, vcc_lo, v5, v17
	v_add_co_ci_u32_e32 v17, vcc_lo, 0, v7, vcc_lo
	flat_load_u16 v16, v[16:17]
	s_or_b32 exec_lo, exec_lo, s0
                                        ; implicit-def: $vgpr17
	s_and_saveexec_b32 s0, s13
	s_cbranch_execz .LBB659_50
.LBB659_73:
	v_add_co_u32 v17, vcc_lo, v5, v18
	v_add_co_ci_u32_e32 v18, vcc_lo, 0, v7, vcc_lo
	flat_load_u16 v17, v[17:18]
	s_or_b32 exec_lo, exec_lo, s0
                                        ; implicit-def: $vgpr18
	s_and_saveexec_b32 s0, s14
	s_cbranch_execz .LBB659_51
.LBB659_74:
	v_add_co_u32 v18, vcc_lo, v5, v19
	v_add_co_ci_u32_e32 v19, vcc_lo, 0, v7, vcc_lo
	flat_load_u16 v18, v[18:19]
	s_or_b32 exec_lo, exec_lo, s0
                                        ; implicit-def: $vgpr19
	s_and_saveexec_b32 s0, s15
	s_cbranch_execnz .LBB659_52
	s_branch .LBB659_53
.LBB659_75:
	s_mov_b32 s16, 0
                                        ; implicit-def: $sgpr0
                                        ; implicit-def: $vgpr52
                                        ; implicit-def: $vgpr47
                                        ; implicit-def: $vgpr48
                                        ; implicit-def: $vgpr49
                                        ; implicit-def: $vgpr50
                                        ; implicit-def: $vgpr51
                                        ; implicit-def: $vgpr53
                                        ; implicit-def: $vgpr54
                                        ; implicit-def: $vgpr56
                                        ; implicit-def: $vgpr57
                                        ; implicit-def: $vgpr58
                                        ; implicit-def: $vgpr59
                                        ; implicit-def: $vgpr60
                                        ; implicit-def: $vgpr61
	s_cbranch_execz .LBB659_59
; %bb.76:
	v_lshrrev_b32_e32 v7, 16, v12
	v_lshrrev_b32_e32 v9, 16, v11
	;; [unrolled: 1-line block ×3, first 2 shown]
	v_lshlrev_b32_e32 v5, 1, v0
	s_mov_b32 s7, 1
	v_cmp_ne_u16_e32 vcc_lo, v12, v7
                                        ; implicit-def: $sgpr0
	ds_store_b16 v5, v7
	s_waitcnt lgkmcnt(0)
	v_cndmask_b32_e64 v52, 0, 1, vcc_lo
	v_cmp_ne_u16_e32 vcc_lo, v9, v12
	s_barrier
	buffer_gl0_inv
	v_cndmask_b32_e64 v47, 0, 1, vcc_lo
	v_cmp_ne_u16_e32 vcc_lo, v11, v9
	v_lshrrev_b32_e32 v9, 16, v4
	v_cndmask_b32_e64 v48, 0, 1, vcc_lo
	v_cmp_ne_u16_e32 vcc_lo, v13, v11
	v_cndmask_b32_e64 v49, 0, 1, vcc_lo
	v_cmp_ne_u16_e32 vcc_lo, v10, v13
	v_lshrrev_b32_e32 v13, 16, v3
	v_cndmask_b32_e64 v50, 0, 1, vcc_lo
	v_cmp_ne_u16_e32 vcc_lo, v9, v10
	;; [unrolled: 5-line block ×4, first 2 shown]
	v_cndmask_b32_e64 v57, 0, 1, vcc_lo
	v_cmp_ne_u16_e32 vcc_lo, v2, v9
	v_cndmask_b32_e64 v58, 0, 1, vcc_lo
	v_cmp_ne_u16_e32 vcc_lo, v13, v2
	;; [unrolled: 2-line block ×4, first 2 shown]
	v_cndmask_b32_e64 v61, 0, 1, vcc_lo
	s_and_saveexec_b32 s1, s3
	s_delay_alu instid0(SALU_CYCLE_1)
	s_xor_b32 s1, exec_lo, s1
	s_cbranch_execz .LBB659_78
; %bb.77:
	v_add_nc_u32_e32 v5, -2, v5
	s_or_b32 s16, s16, exec_lo
	ds_load_u16 v5, v5
	s_waitcnt lgkmcnt(0)
	v_cmp_ne_u16_e32 vcc_lo, v5, v55
	s_and_b32 s0, vcc_lo, exec_lo
.LBB659_78:
	s_or_b32 exec_lo, exec_lo, s1
	s_branch .LBB659_87
.LBB659_79:
	s_mul_hi_u32 s0, s24, 0xfffff100
	s_mul_i32 s1, s25, 0xfffff100
	s_sub_i32 s0, s0, s24
	s_mul_i32 s4, s24, 0xfffff100
	s_add_i32 s0, s0, s1
	s_add_u32 s14, s4, s36
	s_addc_u32 s15, s0, s37
	v_lshrrev_b32_e32 v9, 16, v12
	v_mad_u32_u24 v5, v0, 15, 14
	v_mad_u32_u24 v35, v0, 15, 13
	v_lshrrev_b32_e32 v44, 16, v11
	v_mad_u32_u24 v33, v0, 15, 12
	v_mad_u32_u24 v31, v0, 15, 11
	v_lshrrev_b32_e32 v43, 16, v10
	v_mad_u32_u24 v29, v0, 15, 10
	v_mad_u32_u24 v27, v0, 15, 9
	v_lshrrev_b32_e32 v42, 16, v4
	v_mad_u32_u24 v25, v0, 15, 8
	v_mad_u32_u24 v23, v0, 15, 7
	v_lshrrev_b32_e32 v41, 16, v3
	v_mad_u32_u24 v21, v0, 15, 6
	v_mad_u32_u24 v19, v0, 15, 5
	v_lshrrev_b32_e32 v40, 16, v2
	v_mad_u32_u24 v17, v0, 15, 4
	v_mad_u32_u24 v15, v0, 15, 3
	v_lshrrev_b32_e32 v39, 16, v1
	v_mad_u32_u24 v13, v0, 15, 2
	v_mad_u32_u24 v7, v0, 15, 1
	v_cmp_ne_u16_e64 s0, v55, v1
	s_and_b32 vcc_lo, exec_lo, s41
	s_cbranch_vccz .LBB659_84
; %bb.80:
	v_add_co_u32 v36, vcc_lo, -2, v8
	v_add_co_ci_u32_e32 v37, vcc_lo, -1, v6, vcc_lo
	v_mov_b32_e32 v6, 0
	v_cmp_ne_u16_e64 s1, v12, v9
	v_cmp_ne_u16_e64 s5, v44, v12
	flat_load_u16 v60, v[36:37]
	v_cmp_ne_u16_e64 s7, v10, v43
	v_mov_b32_e32 v36, v6
	v_cmp_gt_u64_e32 vcc_lo, s[14:15], v[5:6]
	v_mov_b32_e32 v34, v6
	v_mov_b32_e32 v32, v6
	v_mov_b32_e32 v30, v6
	v_cmp_gt_u64_e64 s4, s[14:15], v[35:36]
	v_mov_b32_e32 v28, v6
	s_and_b32 s24, vcc_lo, s1
	v_cmp_gt_u64_e32 vcc_lo, s[14:15], v[33:34]
	v_cmp_gt_u64_e64 s6, s[14:15], v[29:30]
	v_cmp_ne_u16_e64 s1, v11, v44
	s_and_b32 s25, s4, s5
	v_cmp_gt_u64_e64 s4, s[14:15], v[31:32]
	v_cmp_ne_u16_e64 s5, v43, v11
	v_mov_b32_e32 v26, v6
	v_mov_b32_e32 v24, v6
	s_and_b32 s36, vcc_lo, s1
	s_and_b32 s40, s6, s7
	s_and_b32 s37, s4, s5
	v_cmp_gt_u64_e32 vcc_lo, s[14:15], v[27:28]
	v_cmp_gt_u64_e64 s4, s[14:15], v[25:26]
	v_cmp_gt_u64_e64 s6, s[14:15], v[23:24]
	v_cmp_ne_u16_e64 s1, v42, v10
	v_cmp_ne_u16_e64 s5, v4, v42
	;; [unrolled: 1-line block ×3, first 2 shown]
	v_mov_b32_e32 v22, v6
	v_mov_b32_e32 v20, v6
	;; [unrolled: 1-line block ×6, first 2 shown]
	s_and_b32 s41, vcc_lo, s1
	s_and_b32 s42, s4, s5
	s_and_b32 s43, s6, s7
	v_cmp_gt_u64_e32 vcc_lo, s[14:15], v[21:22]
	v_cmp_gt_u64_e64 s4, s[14:15], v[19:20]
	v_cmp_gt_u64_e64 s6, s[14:15], v[17:18]
	;; [unrolled: 1-line block ×5, first 2 shown]
	v_cmp_ne_u16_e64 s1, v3, v41
	v_cmp_ne_u16_e64 s5, v40, v3
	;; [unrolled: 1-line block ×5, first 2 shown]
	v_lshlrev_b32_e32 v38, 1, v0
	v_mul_u32_u24_e32 v37, 15, v0
	s_mov_b32 s16, -1
	s_mov_b32 s13, 0
	s_and_b32 s44, vcc_lo, s1
	s_and_b32 s5, s4, s5
	s_and_b32 s6, s6, s7
	;; [unrolled: 1-line block ×5, first 2 shown]
	ds_store_b16 v38, v9
	s_waitcnt vmcnt(0) lgkmcnt(0)
	s_barrier
	buffer_gl0_inv
	s_and_saveexec_b32 s0, s3
	s_cbranch_execz .LBB659_82
; %bb.81:
	v_add_nc_u32_e32 v8, -2, v38
	ds_load_u16 v60, v8
.LBB659_82:
	s_or_b32 exec_lo, exec_lo, s0
	v_mov_b32_e32 v38, v6
	s_waitcnt lgkmcnt(0)
	v_cmp_ne_u16_e64 s0, v60, v55
	v_cndmask_b32_e64 v52, 0, 1, s24
	v_cndmask_b32_e64 v47, 0, 1, s25
	;; [unrolled: 1-line block ×3, first 2 shown]
	v_cmp_gt_u64_e32 vcc_lo, s[14:15], v[37:38]
	v_cndmask_b32_e64 v49, 0, 1, s37
	v_cndmask_b32_e64 v50, 0, 1, s40
	;; [unrolled: 1-line block ×11, first 2 shown]
	s_and_b32 s0, vcc_lo, s0
	s_and_b32 vcc_lo, exec_lo, s13
	s_cbranch_vccnz .LBB659_85
.LBB659_83:
                                        ; implicit-def: $sgpr7
	v_mov_b32_e32 v63, s7
	s_and_saveexec_b32 s1, s16
	s_cbranch_execnz .LBB659_88
	s_branch .LBB659_89
.LBB659_84:
                                        ; implicit-def: $sgpr0
                                        ; implicit-def: $vgpr52
                                        ; implicit-def: $vgpr47
                                        ; implicit-def: $vgpr48
                                        ; implicit-def: $vgpr49
                                        ; implicit-def: $vgpr50
                                        ; implicit-def: $vgpr51
                                        ; implicit-def: $vgpr53
                                        ; implicit-def: $vgpr54
                                        ; implicit-def: $vgpr56
                                        ; implicit-def: $vgpr57
                                        ; implicit-def: $vgpr58
                                        ; implicit-def: $vgpr59
                                        ; implicit-def: $vgpr60
                                        ; implicit-def: $vgpr61
	s_cbranch_execz .LBB659_83
.LBB659_85:
	v_dual_mov_b32 v6, 0 :: v_dual_lshlrev_b32 v37, 1, v0
	v_cmp_ne_u16_e32 vcc_lo, v12, v9
	v_cmp_ne_u16_e64 s4, v11, v44
	v_cmp_ne_u16_e64 s0, v44, v12
	s_delay_alu instid0(VALU_DEP_4)
	v_mov_b32_e32 v34, v6
	v_mov_b32_e32 v36, v6
	v_cmp_gt_u64_e64 s1, s[14:15], v[5:6]
	v_mov_b32_e32 v30, v6
	v_mov_b32_e32 v32, v6
	v_cmp_gt_u64_e64 s6, s[14:15], v[33:34]
	v_cmp_gt_u64_e64 s5, s[14:15], v[35:36]
	v_mov_b32_e32 v28, v6
	s_and_b32 s1, s1, vcc_lo
	v_cmp_gt_u64_e32 vcc_lo, s[14:15], v[31:32]
	v_cndmask_b32_e64 v52, 0, 1, s1
	s_and_b32 s1, s6, s4
	s_and_b32 s0, s5, s0
	v_cndmask_b32_e64 v48, 0, 1, s1
	v_cmp_gt_u64_e64 s1, s[14:15], v[29:30]
	v_cmp_ne_u16_e64 s4, v10, v43
	v_cndmask_b32_e64 v47, 0, 1, s0
	v_cmp_ne_u16_e64 s0, v43, v11
	v_mov_b32_e32 v26, v6
	v_mov_b32_e32 v24, v6
	s_and_b32 s1, s1, s4
	v_cmp_ne_u16_e64 s4, v4, v42
	s_and_b32 s0, vcc_lo, s0
	v_cmp_gt_u64_e32 vcc_lo, s[14:15], v[27:28]
	v_cndmask_b32_e64 v50, 0, 1, s1
	v_cmp_gt_u64_e64 s1, s[14:15], v[25:26]
	v_cndmask_b32_e64 v49, 0, 1, s0
	v_cmp_ne_u16_e64 s0, v42, v10
	v_mov_b32_e32 v22, v6
	v_mov_b32_e32 v20, v6
	;; [unrolled: 1-line block ×3, first 2 shown]
	s_and_b32 s1, s1, s4
	s_and_b32 s0, vcc_lo, s0
	v_cmp_gt_u64_e32 vcc_lo, s[14:15], v[23:24]
	v_cndmask_b32_e64 v51, 0, 1, s0
	v_cmp_ne_u16_e64 s0, v41, v4
	v_cndmask_b32_e64 v53, 0, 1, s1
	v_cmp_gt_u64_e64 s1, s[14:15], v[21:22]
	v_cmp_ne_u16_e64 s4, v3, v41
	v_mov_b32_e32 v16, v6
	s_and_b32 s0, vcc_lo, s0
	v_cmp_gt_u64_e32 vcc_lo, s[14:15], v[19:20]
	v_cndmask_b32_e64 v54, 0, 1, s0
	s_and_b32 s1, s1, s4
	v_cmp_ne_u16_e64 s0, v40, v3
	v_cndmask_b32_e64 v56, 0, 1, s1
	v_cmp_gt_u64_e64 s1, s[14:15], v[17:18]
	v_cmp_ne_u16_e64 s4, v2, v40
	v_mov_b32_e32 v14, v6
	s_and_b32 s0, vcc_lo, s0
	v_mov_b32_e32 v8, v6
	v_cndmask_b32_e64 v57, 0, 1, s0
	s_and_b32 s0, s1, s4
	v_cmp_gt_u64_e32 vcc_lo, s[14:15], v[15:16]
	v_cndmask_b32_e64 v58, 0, 1, s0
	v_cmp_ne_u16_e64 s0, v39, v2
	v_cmp_gt_u64_e64 s1, s[14:15], v[13:14]
	v_cmp_ne_u16_e64 s4, v1, v39
	v_cmp_gt_u64_e64 s5, s[14:15], v[7:8]
	v_cmp_ne_u16_e64 s6, v55, v1
	s_and_b32 s0, vcc_lo, s0
	s_mov_b32 s7, 1
	v_cndmask_b32_e64 v59, 0, 1, s0
	s_and_b32 s0, s1, s4
	ds_store_b16 v37, v9
	v_cndmask_b32_e64 v60, 0, 1, s0
	s_and_b32 s0, s5, s6
	s_waitcnt lgkmcnt(0)
	v_cndmask_b32_e64 v61, 0, 1, s0
	s_barrier
	buffer_gl0_inv
                                        ; implicit-def: $sgpr0
	s_and_saveexec_b32 s1, s3
	s_cbranch_execz .LBB659_191
; %bb.86:
	v_add_nc_u32_e32 v5, -2, v37
	s_or_b32 s16, s16, exec_lo
	ds_load_u16 v7, v5
	v_mul_u32_u24_e32 v5, 15, v0
	s_delay_alu instid0(VALU_DEP_1) | instskip(SKIP_2) | instid1(VALU_DEP_1)
	v_cmp_gt_u64_e32 vcc_lo, s[14:15], v[5:6]
	s_waitcnt lgkmcnt(0)
	v_cmp_ne_u16_e64 s0, v7, v55
	s_and_b32 s0, vcc_lo, s0
	s_delay_alu instid0(SALU_CYCLE_1)
	s_and_b32 s0, s0, exec_lo
	s_or_b32 exec_lo, exec_lo, s1
.LBB659_87:
	v_mov_b32_e32 v63, s7
	s_and_saveexec_b32 s1, s16
.LBB659_88:
	s_delay_alu instid0(VALU_DEP_2)
	v_cndmask_b32_e64 v63, 0, 1, s0
.LBB659_89:
	s_or_b32 exec_lo, exec_lo, s1
	s_delay_alu instid0(VALU_DEP_1)
	v_add3_u32 v5, v61, v63, v60
	v_cmp_eq_u32_e64 s13, 0, v61
	v_cmp_eq_u32_e64 s12, 0, v60
	;; [unrolled: 1-line block ×4, first 2 shown]
	v_add3_u32 v80, v5, v59, v58
	v_cmp_eq_u32_e64 s9, 0, v57
	v_cmp_eq_u32_e64 s8, 0, v56
	;; [unrolled: 1-line block ×9, first 2 shown]
	v_cmp_eq_u32_e32 vcc_lo, 0, v52
	v_mbcnt_lo_u32_b32 v77, -1, 0
	v_lshrrev_b32_e32 v78, 5, v0
	v_or_b32_e32 v79, 31, v0
	s_cmp_eq_u64 s[22:23], 0
	s_cselect_b32 s16, -1, 0
	s_cmp_lg_u32 s33, 0
	s_cbranch_scc0 .LBB659_115
; %bb.90:
	v_cndmask_b32_e64 v5, 0, v74, s13
	v_add3_u32 v6, v80, v57, v56
	v_and_b32_e32 v9, 15, v77
	s_delay_alu instid0(VALU_DEP_3) | instskip(NEXT) | instid1(VALU_DEP_3)
	v_add_nc_u16 v5, v5, v73
	v_add3_u32 v6, v6, v54, v53
	s_delay_alu instid0(VALU_DEP_2) | instskip(NEXT) | instid1(VALU_DEP_2)
	v_cndmask_b32_e64 v5, 0, v5, s12
	v_add3_u32 v6, v6, v51, v50
	s_delay_alu instid0(VALU_DEP_2) | instskip(NEXT) | instid1(VALU_DEP_2)
	v_add_nc_u16 v5, v5, v75
	v_add3_u32 v6, v6, v49, v48
	s_delay_alu instid0(VALU_DEP_2) | instskip(NEXT) | instid1(VALU_DEP_2)
	v_cndmask_b32_e64 v5, 0, v5, s11
	v_add3_u32 v6, v6, v47, v52
	s_delay_alu instid0(VALU_DEP_2) | instskip(NEXT) | instid1(VALU_DEP_2)
	v_add_nc_u16 v5, v5, v71
	v_mov_b32_dpp v13, v6 row_shr:1 row_mask:0xf bank_mask:0xf
	s_delay_alu instid0(VALU_DEP_2) | instskip(NEXT) | instid1(VALU_DEP_1)
	v_cndmask_b32_e64 v5, 0, v5, s10
	v_add_nc_u16 v5, v5, v72
	s_delay_alu instid0(VALU_DEP_1) | instskip(NEXT) | instid1(VALU_DEP_1)
	v_cndmask_b32_e64 v5, 0, v5, s9
	v_add_nc_u16 v5, v5, v69
	s_delay_alu instid0(VALU_DEP_1) | instskip(NEXT) | instid1(VALU_DEP_1)
	;; [unrolled: 3-line block ×9, first 2 shown]
	v_cndmask_b32_e64 v5, 0, v5, s0
	v_add_nc_u16 v5, v5, v45
	s_delay_alu instid0(VALU_DEP_1) | instskip(SKIP_1) | instid1(VALU_DEP_2)
	v_cndmask_b32_e32 v5, 0, v5, vcc_lo
	v_cmp_eq_u32_e32 vcc_lo, 0, v6
	v_add_nc_u16 v5, v5, v76
	s_delay_alu instid0(VALU_DEP_1) | instskip(NEXT) | instid1(VALU_DEP_1)
	v_and_b32_e32 v7, 0xffff, v5
	v_mov_b32_dpp v8, v7 row_shr:1 row_mask:0xf bank_mask:0xf
	s_delay_alu instid0(VALU_DEP_1) | instskip(SKIP_1) | instid1(VALU_DEP_2)
	v_cndmask_b32_e32 v8, 0, v8, vcc_lo
	v_cmp_eq_u32_e32 vcc_lo, 0, v9
	v_add_nc_u16 v8, v8, v5
	v_cndmask_b32_e64 v13, v13, 0, vcc_lo
	s_delay_alu instid0(VALU_DEP_2) | instskip(NEXT) | instid1(VALU_DEP_1)
	v_dual_cndmask_b32 v5, v8, v5 :: v_dual_and_b32 v14, 0xffff, v8
	v_dual_cndmask_b32 v7, v14, v7 :: v_dual_add_nc_u32 v6, v13, v6
	s_delay_alu instid0(VALU_DEP_1) | instskip(NEXT) | instid1(VALU_DEP_2)
	v_cmp_eq_u32_e32 vcc_lo, 0, v6
	v_mov_b32_dpp v13, v7 row_shr:2 row_mask:0xf bank_mask:0xf
	s_delay_alu instid0(VALU_DEP_1) | instskip(SKIP_2) | instid1(VALU_DEP_3)
	v_cndmask_b32_e32 v8, 0, v13, vcc_lo
	v_mov_b32_dpp v13, v6 row_shr:2 row_mask:0xf bank_mask:0xf
	v_cmp_lt_u32_e32 vcc_lo, 1, v9
	v_add_nc_u16 v8, v8, v5
	s_delay_alu instid0(VALU_DEP_1) | instskip(NEXT) | instid1(VALU_DEP_4)
	v_and_b32_e32 v14, 0xffff, v8
	v_dual_cndmask_b32 v5, v5, v8 :: v_dual_cndmask_b32 v8, 0, v13
	s_delay_alu instid0(VALU_DEP_1) | instskip(NEXT) | instid1(VALU_DEP_1)
	v_dual_cndmask_b32 v7, v7, v14 :: v_dual_add_nc_u32 v6, v6, v8
	v_mov_b32_dpp v8, v7 row_shr:4 row_mask:0xf bank_mask:0xf
	s_delay_alu instid0(VALU_DEP_2) | instskip(NEXT) | instid1(VALU_DEP_2)
	v_cmp_eq_u32_e32 vcc_lo, 0, v6
	v_cndmask_b32_e32 v8, 0, v8, vcc_lo
	v_cmp_lt_u32_e32 vcc_lo, 3, v9
	s_delay_alu instid0(VALU_DEP_2) | instskip(NEXT) | instid1(VALU_DEP_1)
	v_add_nc_u16 v8, v8, v5
	v_and_b32_e32 v14, 0xffff, v8
	s_delay_alu instid0(VALU_DEP_1) | instskip(SKIP_1) | instid1(VALU_DEP_1)
	v_cndmask_b32_e32 v7, v7, v14, vcc_lo
	v_mov_b32_dpp v13, v6 row_shr:4 row_mask:0xf bank_mask:0xf
	v_dual_cndmask_b32 v5, v5, v8 :: v_dual_cndmask_b32 v8, 0, v13
	s_delay_alu instid0(VALU_DEP_1) | instskip(NEXT) | instid1(VALU_DEP_4)
	v_add_nc_u32_e32 v6, v8, v6
	v_mov_b32_dpp v8, v7 row_shr:8 row_mask:0xf bank_mask:0xf
	s_delay_alu instid0(VALU_DEP_2) | instskip(NEXT) | instid1(VALU_DEP_2)
	v_cmp_eq_u32_e32 vcc_lo, 0, v6
	v_cndmask_b32_e32 v8, 0, v8, vcc_lo
	v_cmp_lt_u32_e32 vcc_lo, 7, v9
	s_delay_alu instid0(VALU_DEP_2) | instskip(NEXT) | instid1(VALU_DEP_1)
	v_add_nc_u16 v8, v8, v5
	v_cndmask_b32_e32 v5, v5, v8, vcc_lo
	v_mov_b32_dpp v13, v6 row_shr:8 row_mask:0xf bank_mask:0xf
	s_delay_alu instid0(VALU_DEP_1) | instskip(NEXT) | instid1(VALU_DEP_1)
	v_dual_cndmask_b32 v9, 0, v13 :: v_dual_and_b32 v8, 0xffff, v8
	v_cndmask_b32_e32 v7, v7, v8, vcc_lo
	v_bfe_i32 v13, v77, 4, 1
	s_delay_alu instid0(VALU_DEP_3)
	v_add_nc_u32_e32 v6, v9, v6
	ds_swizzle_b32 v7, v7 offset:swizzle(BROADCAST,32,15)
	v_and_b32_e32 v9, 16, v77
	ds_swizzle_b32 v8, v6 offset:swizzle(BROADCAST,32,15)
	v_cmp_eq_u32_e64 s14, 0, v6
	v_cmp_ne_u32_e32 vcc_lo, 0, v9
	s_delay_alu instid0(VALU_DEP_2) | instskip(SKIP_3) | instid1(VALU_DEP_1)
	s_and_b32 vcc_lo, vcc_lo, s14
	s_mov_b32 s14, exec_lo
	s_waitcnt lgkmcnt(0)
	v_dual_cndmask_b32 v7, 0, v7 :: v_dual_and_b32 v8, v13, v8
	v_add_nc_u16 v5, v7, v5
	v_lshlrev_b32_e32 v7, 3, v78
	s_delay_alu instid0(VALU_DEP_3)
	v_add_nc_u32_e32 v6, v8, v6
	v_cmpx_eq_u32_e64 v79, v0
	s_cbranch_execz .LBB659_92
; %bb.91:
	ds_store_b32 v7, v6 offset:1040
	ds_store_b16 v7, v5 offset:1044
.LBB659_92:
	s_or_b32 exec_lo, exec_lo, s14
	s_delay_alu instid0(SALU_CYCLE_1)
	s_mov_b32 s15, exec_lo
	s_waitcnt lgkmcnt(0)
	s_barrier
	buffer_gl0_inv
	v_cmpx_gt_u32_e32 8, v0
	s_cbranch_execz .LBB659_94
; %bb.93:
	v_lshlrev_b32_e32 v13, 3, v0
	v_and_b32_e32 v17, 7, v77
	ds_load_b64 v[8:9], v13 offset:1040
	s_waitcnt lgkmcnt(0)
	v_mov_b32_dpp v14, v9 row_shr:1 row_mask:0xf bank_mask:0xf
	v_cmp_eq_u32_e32 vcc_lo, 0, v8
	v_and_b32_e32 v15, 0xffff0000, v9
	v_mov_b32_dpp v18, v8 row_shr:1 row_mask:0xf bank_mask:0xf
	s_delay_alu instid0(VALU_DEP_4) | instskip(SKIP_1) | instid1(VALU_DEP_2)
	v_cndmask_b32_e32 v14, 0, v14, vcc_lo
	v_cmp_eq_u32_e32 vcc_lo, 0, v17
	v_add_nc_u16 v14, v14, v9
	s_delay_alu instid0(VALU_DEP_4) | instskip(NEXT) | instid1(VALU_DEP_2)
	v_cndmask_b32_e64 v18, v18, 0, vcc_lo
	v_and_b32_e32 v16, 0xffff, v14
	s_delay_alu instid0(VALU_DEP_1) | instskip(NEXT) | instid1(VALU_DEP_1)
	v_or_b32_e32 v16, v15, v16
	v_cndmask_b32_e32 v16, v16, v9, vcc_lo
	v_cndmask_b32_e32 v9, v14, v9, vcc_lo
	v_add_nc_u32_e32 v8, v18, v8
	s_delay_alu instid0(VALU_DEP_3) | instskip(NEXT) | instid1(VALU_DEP_2)
	v_mov_b32_dpp v18, v16 row_shr:2 row_mask:0xf bank_mask:0xf
	v_cmp_eq_u32_e32 vcc_lo, 0, v8
	s_delay_alu instid0(VALU_DEP_2) | instskip(SKIP_1) | instid1(VALU_DEP_2)
	v_cndmask_b32_e32 v14, 0, v18, vcc_lo
	v_cmp_lt_u32_e32 vcc_lo, 1, v17
	v_add_nc_u16 v14, v14, v9
	s_delay_alu instid0(VALU_DEP_1) | instskip(SKIP_2) | instid1(VALU_DEP_2)
	v_cndmask_b32_e32 v9, v9, v14, vcc_lo
	v_mov_b32_dpp v18, v8 row_shr:2 row_mask:0xf bank_mask:0xf
	v_and_b32_e32 v19, 0xffff, v14
	v_cndmask_b32_e32 v14, 0, v18, vcc_lo
	s_delay_alu instid0(VALU_DEP_2) | instskip(SKIP_1) | instid1(VALU_DEP_3)
	v_or_b32_e32 v15, v15, v19
	v_cmp_lt_u32_e64 s14, 3, v17
	v_add_nc_u32_e32 v8, v14, v8
	s_delay_alu instid0(VALU_DEP_3) | instskip(NEXT) | instid1(VALU_DEP_2)
	v_cndmask_b32_e32 v14, v16, v15, vcc_lo
	v_cmp_eq_u32_e32 vcc_lo, 0, v8
	v_mov_b32_dpp v15, v8 row_shr:4 row_mask:0xf bank_mask:0xf
	s_delay_alu instid0(VALU_DEP_3) | instskip(SKIP_1) | instid1(VALU_DEP_2)
	v_mov_b32_dpp v14, v14 row_shr:4 row_mask:0xf bank_mask:0xf
	s_and_b32 vcc_lo, s14, vcc_lo
	v_cndmask_b32_e64 v15, 0, v15, s14
	s_delay_alu instid0(VALU_DEP_2) | instskip(NEXT) | instid1(VALU_DEP_2)
	v_cndmask_b32_e32 v14, 0, v14, vcc_lo
	v_add_nc_u32_e32 v8, v15, v8
	s_delay_alu instid0(VALU_DEP_2)
	v_add_nc_u16 v9, v9, v14
	ds_store_b32 v13, v8 offset:1040
	ds_store_b16 v13, v9 offset:1044
.LBB659_94:
	s_or_b32 exec_lo, exec_lo, s15
	v_cmp_gt_u32_e32 vcc_lo, 32, v0
	v_dual_mov_b32 v18, 0 :: v_dual_mov_b32 v17, 0
	s_mov_b32 s15, exec_lo
	s_waitcnt lgkmcnt(0)
	s_barrier
	buffer_gl0_inv
	v_cmpx_lt_u32_e32 31, v0
	s_cbranch_execz .LBB659_96
; %bb.95:
	ds_load_u16 v17, v7 offset:1036
	ds_load_b32 v18, v7 offset:1032
	v_cmp_eq_u32_e64 s14, 0, v6
	s_waitcnt lgkmcnt(1)
	s_delay_alu instid0(VALU_DEP_1) | instskip(SKIP_2) | instid1(VALU_DEP_2)
	v_cndmask_b32_e64 v7, 0, v17, s14
	s_waitcnt lgkmcnt(0)
	v_add_nc_u32_e32 v6, v18, v6
	v_add_nc_u16 v5, v7, v5
.LBB659_96:
	s_or_b32 exec_lo, exec_lo, s15
	v_add_nc_u32_e32 v7, -1, v77
	s_delay_alu instid0(VALU_DEP_2) | instskip(NEXT) | instid1(VALU_DEP_2)
	v_and_b32_e32 v5, 0xffff, v5
	v_cmp_gt_i32_e64 s14, 0, v7
	s_delay_alu instid0(VALU_DEP_1) | instskip(SKIP_1) | instid1(VALU_DEP_2)
	v_cndmask_b32_e64 v7, v7, v77, s14
	v_cmp_eq_u32_e64 s14, 0, v77
	v_lshlrev_b32_e32 v7, 2, v7
	ds_bpermute_b32 v19, v7, v6
	ds_bpermute_b32 v20, v7, v5
	s_and_saveexec_b32 s22, vcc_lo
	s_cbranch_execz .LBB659_114
; %bb.97:
	v_mov_b32_e32 v8, 0
	ds_load_b64 v[5:6], v8 offset:1096
	s_waitcnt lgkmcnt(0)
	v_readfirstlane_b32 s23, v6
	s_and_saveexec_b32 s15, s14
	s_cbranch_execz .LBB659_99
; %bb.98:
	s_add_i32 s24, s33, 32
	s_mov_b32 s25, 0
	v_mov_b32_e32 v7, 1
	s_lshl_b64 s[36:37], s[24:25], 4
	s_mov_b32 s40, s25
	s_add_u32 s36, s20, s36
	s_addc_u32 s37, s21, s37
	s_and_b32 s41, s23, 0xff000000
	s_and_b32 s43, s23, 0xff0000
	s_mov_b32 s42, s25
	v_dual_mov_b32 v13, s36 :: v_dual_mov_b32 v14, s37
	s_or_b64 s[40:41], s[42:43], s[40:41]
	s_and_b32 s43, s23, 0xff00
	s_delay_alu instid0(SALU_CYCLE_1) | instskip(SKIP_1) | instid1(SALU_CYCLE_1)
	s_or_b64 s[40:41], s[40:41], s[42:43]
	s_and_b32 s43, s23, 0xff
	s_or_b64 s[24:25], s[40:41], s[42:43]
	s_delay_alu instid0(SALU_CYCLE_1)
	v_mov_b32_e32 v6, s25
	;;#ASMSTART
	global_store_dwordx4 v[13:14], v[5:8] off	
s_waitcnt vmcnt(0)
	;;#ASMEND
.LBB659_99:
	s_or_b32 exec_lo, exec_lo, s15
	v_xad_u32 v13, v77, -1, s33
	s_mov_b32 s24, 0
	s_mov_b32 s15, exec_lo
	s_delay_alu instid0(VALU_DEP_1) | instskip(NEXT) | instid1(VALU_DEP_1)
	v_add_nc_u32_e32 v7, 32, v13
	v_lshlrev_b64 v[6:7], 4, v[7:8]
	s_delay_alu instid0(VALU_DEP_1) | instskip(NEXT) | instid1(VALU_DEP_2)
	v_add_co_u32 v14, vcc_lo, s20, v6
	v_add_co_ci_u32_e32 v15, vcc_lo, s21, v7, vcc_lo
	;;#ASMSTART
	global_load_dwordx4 v[6:9], v[14:15] off glc	
s_waitcnt vmcnt(0)
	;;#ASMEND
	v_and_b32_e32 v9, 0xffffff, v6
	v_and_b32_e32 v6, 0xff000000, v6
	;; [unrolled: 1-line block ×4, first 2 shown]
	s_delay_alu instid0(VALU_DEP_3) | instskip(SKIP_1) | instid1(VALU_DEP_3)
	v_or_b32_e32 v6, v9, v6
	v_and_b32_e32 v9, 0xff, v8
	v_or3_b32 v7, 0, v16, v7
	s_delay_alu instid0(VALU_DEP_3) | instskip(NEXT) | instid1(VALU_DEP_3)
	v_or3_b32 v6, v6, 0, 0
	v_cmpx_eq_u16_e32 0, v9
	s_cbranch_execz .LBB659_102
.LBB659_100:                            ; =>This Inner Loop Header: Depth=1
	;;#ASMSTART
	global_load_dwordx4 v[6:9], v[14:15] off glc	
s_waitcnt vmcnt(0)
	;;#ASMEND
	v_and_b32_e32 v9, 0xff, v8
	s_delay_alu instid0(VALU_DEP_1) | instskip(SKIP_1) | instid1(SALU_CYCLE_1)
	v_cmp_ne_u16_e32 vcc_lo, 0, v9
	s_or_b32 s24, vcc_lo, s24
	s_and_not1_b32 exec_lo, exec_lo, s24
	s_cbranch_execnz .LBB659_100
; %bb.101:
	s_or_b32 exec_lo, exec_lo, s24
	v_and_b32_e32 v7, 0xffff, v7
.LBB659_102:
	s_or_b32 exec_lo, exec_lo, s15
	v_cmp_ne_u32_e32 vcc_lo, 31, v77
	v_and_b32_e32 v14, 0xff, v8
	v_lshlrev_b32_e64 v22, v77, -1
	v_cmp_eq_u32_e64 s15, 0, v6
	v_add_co_ci_u32_e32 v9, vcc_lo, 0, v77, vcc_lo
	s_delay_alu instid0(VALU_DEP_4) | instskip(NEXT) | instid1(VALU_DEP_4)
	v_cmp_eq_u16_e32 vcc_lo, 2, v14
	v_and_or_b32 v14, vcc_lo, v22, 0x80000000
	v_cmp_gt_u32_e32 vcc_lo, 30, v77
	s_delay_alu instid0(VALU_DEP_2) | instskip(SKIP_1) | instid1(VALU_DEP_2)
	v_ctz_i32_b32_e32 v14, v14
	v_cndmask_b32_e64 v15, 0, 1, vcc_lo
	v_cmp_lt_u32_e32 vcc_lo, v77, v14
	v_lshlrev_b32_e32 v21, 2, v9
	s_delay_alu instid0(VALU_DEP_3)
	v_lshlrev_b32_e32 v15, 1, v15
	ds_bpermute_b32 v16, v21, v6
	v_add_lshl_u32 v23, v15, v77, 2
	s_waitcnt lgkmcnt(0)
	v_cndmask_b32_e32 v16, 0, v16, vcc_lo
	ds_bpermute_b32 v9, v21, v7
	v_add_nc_u32_e32 v6, v16, v6
	ds_bpermute_b32 v26, v23, v6
	s_waitcnt lgkmcnt(1)
	v_cndmask_b32_e64 v9, 0, v9, s15
	s_delay_alu instid0(VALU_DEP_1) | instskip(NEXT) | instid1(VALU_DEP_1)
	v_add_nc_u16 v9, v9, v7
	v_and_b32_e32 v24, 0xffff, v9
	v_cndmask_b32_e32 v9, v7, v9, vcc_lo
	s_delay_alu instid0(VALU_DEP_2)
	v_cndmask_b32_e32 v7, v7, v24, vcc_lo
	v_cmp_eq_u32_e32 vcc_lo, 0, v6
	ds_bpermute_b32 v15, v23, v7
	s_waitcnt lgkmcnt(0)
	v_cndmask_b32_e32 v15, 0, v15, vcc_lo
	v_cmp_gt_u32_e32 vcc_lo, 28, v77
	s_delay_alu instid0(VALU_DEP_2) | instskip(SKIP_1) | instid1(VALU_DEP_2)
	v_add_nc_u16 v15, v15, v9
	v_cndmask_b32_e64 v16, 0, 1, vcc_lo
	v_and_b32_e32 v27, 0xffff, v15
	v_add_nc_u32_e32 v24, 2, v77
	s_delay_alu instid0(VALU_DEP_1) | instskip(NEXT) | instid1(VALU_DEP_4)
	v_cmp_gt_u32_e32 vcc_lo, v24, v14
	v_dual_cndmask_b32 v9, v15, v9 :: v_dual_lshlrev_b32 v16, 2, v16
	s_delay_alu instid0(VALU_DEP_1) | instskip(SKIP_4) | instid1(VALU_DEP_1)
	v_add_lshl_u32 v25, v16, v77, 2
	v_cndmask_b32_e32 v7, v27, v7, vcc_lo
	v_cndmask_b32_e64 v16, v26, 0, vcc_lo
	ds_bpermute_b32 v15, v25, v7
	v_add_nc_u32_e32 v6, v6, v16
	v_cmp_eq_u32_e32 vcc_lo, 0, v6
	s_waitcnt lgkmcnt(0)
	v_cndmask_b32_e32 v15, 0, v15, vcc_lo
	v_cmp_gt_u32_e32 vcc_lo, 24, v77
	ds_bpermute_b32 v28, v25, v6
	v_add_nc_u16 v15, v9, v15
	v_cndmask_b32_e64 v16, 0, 1, vcc_lo
	s_delay_alu instid0(VALU_DEP_2) | instskip(SKIP_1) | instid1(VALU_DEP_1)
	v_and_b32_e32 v29, 0xffff, v15
	v_add_nc_u32_e32 v26, 4, v77
	v_cmp_gt_u32_e32 vcc_lo, v26, v14
	s_delay_alu instid0(VALU_DEP_4) | instskip(NEXT) | instid1(VALU_DEP_1)
	v_dual_cndmask_b32 v9, v15, v9 :: v_dual_lshlrev_b32 v16, 3, v16
	v_add_lshl_u32 v27, v16, v77, 2
	v_cndmask_b32_e32 v7, v29, v7, vcc_lo
	s_waitcnt lgkmcnt(0)
	v_cndmask_b32_e64 v16, v28, 0, vcc_lo
	ds_bpermute_b32 v15, v27, v7
	v_add_nc_u32_e32 v6, v6, v16
	s_delay_alu instid0(VALU_DEP_1)
	v_cmp_eq_u32_e32 vcc_lo, 0, v6
	s_waitcnt lgkmcnt(0)
	v_cndmask_b32_e32 v15, 0, v15, vcc_lo
	ds_bpermute_b32 v16, v27, v6
	v_cmp_gt_u32_e32 vcc_lo, 16, v77
	v_add_nc_u16 v15, v9, v15
	v_cndmask_b32_e64 v28, 0, 1, vcc_lo
	s_delay_alu instid0(VALU_DEP_2) | instskip(SKIP_1) | instid1(VALU_DEP_1)
	v_and_b32_e32 v29, 0xffff, v15
	v_add_nc_u32_e32 v30, 8, v77
	v_cmp_gt_u32_e32 vcc_lo, v30, v14
	s_delay_alu instid0(VALU_DEP_4) | instskip(NEXT) | instid1(VALU_DEP_1)
	v_dual_cndmask_b32 v9, v15, v9 :: v_dual_lshlrev_b32 v28, 4, v28
	v_add_lshl_u32 v31, v28, v77, 2
	v_cndmask_b32_e32 v7, v29, v7, vcc_lo
	s_waitcnt lgkmcnt(0)
	v_cndmask_b32_e64 v15, v16, 0, vcc_lo
	ds_bpermute_b32 v7, v31, v7
	v_add_nc_u32_e32 v6, v6, v15
	ds_bpermute_b32 v15, v31, v6
	v_cmp_eq_u32_e32 vcc_lo, 0, v6
	s_waitcnt lgkmcnt(1)
	v_dual_cndmask_b32 v7, 0, v7 :: v_dual_add_nc_u32 v32, 16, v77
	s_delay_alu instid0(VALU_DEP_1) | instskip(NEXT) | instid1(VALU_DEP_2)
	v_cmp_gt_u32_e32 vcc_lo, v32, v14
	v_cndmask_b32_e64 v7, v7, 0, vcc_lo
	s_waitcnt lgkmcnt(0)
	v_cndmask_b32_e64 v14, v15, 0, vcc_lo
	s_delay_alu instid0(VALU_DEP_2) | instskip(NEXT) | instid1(VALU_DEP_2)
	v_add_nc_u16 v7, v9, v7
	v_add_nc_u32_e32 v6, v14, v6
	v_mov_b32_e32 v14, 0
	s_branch .LBB659_104
.LBB659_103:                            ;   in Loop: Header=BB659_104 Depth=1
	s_or_b32 exec_lo, exec_lo, s15
	ds_bpermute_b32 v9, v21, v7
	v_and_b32_e32 v15, 0xff, v8
	v_cmp_eq_u32_e64 s15, 0, v6
	ds_bpermute_b32 v16, v21, v6
	v_subrev_nc_u32_e32 v13, 32, v13
	v_cmp_eq_u16_e32 vcc_lo, 2, v15
	v_and_or_b32 v15, vcc_lo, v22, 0x80000000
	s_delay_alu instid0(VALU_DEP_1) | instskip(SKIP_2) | instid1(VALU_DEP_2)
	v_ctz_i32_b32_e32 v15, v15
	s_waitcnt lgkmcnt(1)
	v_cndmask_b32_e64 v9, 0, v9, s15
	v_cmp_lt_u32_e32 vcc_lo, v77, v15
	s_delay_alu instid0(VALU_DEP_2) | instskip(SKIP_1) | instid1(VALU_DEP_1)
	v_add_nc_u16 v9, v9, v7
	s_waitcnt lgkmcnt(0)
	v_dual_cndmask_b32 v16, 0, v16 :: v_dual_and_b32 v33, 0xffff, v9
	s_delay_alu instid0(VALU_DEP_1) | instskip(NEXT) | instid1(VALU_DEP_2)
	v_dual_cndmask_b32 v9, v7, v9 :: v_dual_add_nc_u32 v6, v16, v6
	v_cndmask_b32_e32 v7, v7, v33, vcc_lo
	s_delay_alu instid0(VALU_DEP_2)
	v_cmp_eq_u32_e32 vcc_lo, 0, v6
	ds_bpermute_b32 v33, v23, v7
	s_waitcnt lgkmcnt(0)
	v_cndmask_b32_e32 v16, 0, v33, vcc_lo
	ds_bpermute_b32 v33, v23, v6
	v_cmp_gt_u32_e32 vcc_lo, v24, v15
	v_add_nc_u16 v16, v16, v9
	s_delay_alu instid0(VALU_DEP_1) | instskip(NEXT) | instid1(VALU_DEP_1)
	v_dual_cndmask_b32 v9, v16, v9 :: v_dual_and_b32 v34, 0xffff, v16
	v_cndmask_b32_e32 v7, v34, v7, vcc_lo
	ds_bpermute_b32 v16, v25, v7
	s_waitcnt lgkmcnt(1)
	v_cndmask_b32_e64 v33, v33, 0, vcc_lo
	s_delay_alu instid0(VALU_DEP_1) | instskip(NEXT) | instid1(VALU_DEP_1)
	v_add_nc_u32_e32 v6, v6, v33
	v_cmp_eq_u32_e32 vcc_lo, 0, v6
	ds_bpermute_b32 v33, v25, v6
	s_waitcnt lgkmcnt(1)
	v_cndmask_b32_e32 v16, 0, v16, vcc_lo
	v_cmp_gt_u32_e32 vcc_lo, v26, v15
	s_delay_alu instid0(VALU_DEP_2) | instskip(NEXT) | instid1(VALU_DEP_1)
	v_add_nc_u16 v16, v9, v16
	v_dual_cndmask_b32 v9, v16, v9 :: v_dual_and_b32 v34, 0xffff, v16
	s_waitcnt lgkmcnt(0)
	v_cndmask_b32_e64 v33, v33, 0, vcc_lo
	s_delay_alu instid0(VALU_DEP_2) | instskip(NEXT) | instid1(VALU_DEP_2)
	v_cndmask_b32_e32 v7, v34, v7, vcc_lo
	v_add_nc_u32_e32 v6, v6, v33
	ds_bpermute_b32 v16, v27, v7
	v_cmp_eq_u32_e32 vcc_lo, 0, v6
	ds_bpermute_b32 v33, v27, v6
	s_waitcnt lgkmcnt(1)
	v_cndmask_b32_e32 v16, 0, v16, vcc_lo
	v_cmp_gt_u32_e32 vcc_lo, v30, v15
	s_delay_alu instid0(VALU_DEP_2) | instskip(NEXT) | instid1(VALU_DEP_1)
	v_add_nc_u16 v16, v9, v16
	v_dual_cndmask_b32 v9, v16, v9 :: v_dual_and_b32 v34, 0xffff, v16
	s_waitcnt lgkmcnt(0)
	v_cndmask_b32_e64 v16, v33, 0, vcc_lo
	s_delay_alu instid0(VALU_DEP_2) | instskip(NEXT) | instid1(VALU_DEP_2)
	v_cndmask_b32_e32 v7, v34, v7, vcc_lo
	v_add_nc_u32_e32 v6, v6, v16
	ds_bpermute_b32 v7, v31, v7
	ds_bpermute_b32 v16, v31, v6
	v_cmp_eq_u32_e32 vcc_lo, 0, v6
	s_waitcnt lgkmcnt(1)
	v_cndmask_b32_e32 v7, 0, v7, vcc_lo
	v_cmp_gt_u32_e32 vcc_lo, v32, v15
	s_delay_alu instid0(VALU_DEP_2) | instskip(NEXT) | instid1(VALU_DEP_1)
	v_cndmask_b32_e64 v7, v7, 0, vcc_lo
	v_add_nc_u16 v7, v9, v7
	s_waitcnt lgkmcnt(0)
	v_cndmask_b32_e64 v9, v16, 0, vcc_lo
	v_cmp_eq_u32_e32 vcc_lo, 0, v29
	s_delay_alu instid0(VALU_DEP_2) | instskip(SKIP_1) | instid1(VALU_DEP_1)
	v_add3_u32 v6, v6, v29, v9
	v_cndmask_b32_e32 v7, 0, v7, vcc_lo
	v_add_nc_u16 v7, v7, v28
.LBB659_104:                            ; =>This Loop Header: Depth=1
                                        ;     Child Loop BB659_107 Depth 2
	s_delay_alu instid0(VALU_DEP_2) | instskip(NEXT) | instid1(VALU_DEP_2)
	v_dual_mov_b32 v29, v6 :: v_dual_and_b32 v8, 0xff, v8
	v_mov_b32_e32 v28, v7
	s_delay_alu instid0(VALU_DEP_2) | instskip(SKIP_2) | instid1(VALU_DEP_1)
	v_cmp_ne_u16_e32 vcc_lo, 2, v8
	v_cndmask_b32_e64 v8, 0, 1, vcc_lo
	;;#ASMSTART
	;;#ASMEND
	v_cmp_ne_u32_e32 vcc_lo, 0, v8
	s_cmp_lg_u32 vcc_lo, exec_lo
	s_cbranch_scc1 .LBB659_109
; %bb.105:                              ;   in Loop: Header=BB659_104 Depth=1
	v_lshlrev_b64 v[6:7], 4, v[13:14]
	s_mov_b32 s15, exec_lo
	s_delay_alu instid0(VALU_DEP_1) | instskip(NEXT) | instid1(VALU_DEP_2)
	v_add_co_u32 v15, vcc_lo, s20, v6
	v_add_co_ci_u32_e32 v16, vcc_lo, s21, v7, vcc_lo
	;;#ASMSTART
	global_load_dwordx4 v[6:9], v[15:16] off glc	
s_waitcnt vmcnt(0)
	;;#ASMEND
	v_and_b32_e32 v9, 0xffffff, v6
	v_and_b32_e32 v6, 0xff000000, v6
	;; [unrolled: 1-line block ×4, first 2 shown]
	s_delay_alu instid0(VALU_DEP_3) | instskip(SKIP_1) | instid1(VALU_DEP_3)
	v_or_b32_e32 v6, v9, v6
	v_and_b32_e32 v9, 0xff, v8
	v_or3_b32 v7, 0, v33, v7
	s_delay_alu instid0(VALU_DEP_3) | instskip(NEXT) | instid1(VALU_DEP_3)
	v_or3_b32 v6, v6, 0, 0
	v_cmpx_eq_u16_e32 0, v9
	s_cbranch_execz .LBB659_103
; %bb.106:                              ;   in Loop: Header=BB659_104 Depth=1
	s_mov_b32 s24, 0
.LBB659_107:                            ;   Parent Loop BB659_104 Depth=1
                                        ; =>  This Inner Loop Header: Depth=2
	;;#ASMSTART
	global_load_dwordx4 v[6:9], v[15:16] off glc	
s_waitcnt vmcnt(0)
	;;#ASMEND
	v_and_b32_e32 v9, 0xff, v8
	s_delay_alu instid0(VALU_DEP_1) | instskip(SKIP_1) | instid1(SALU_CYCLE_1)
	v_cmp_ne_u16_e32 vcc_lo, 0, v9
	s_or_b32 s24, vcc_lo, s24
	s_and_not1_b32 exec_lo, exec_lo, s24
	s_cbranch_execnz .LBB659_107
; %bb.108:                              ;   in Loop: Header=BB659_104 Depth=1
	s_or_b32 exec_lo, exec_lo, s24
	v_and_b32_e32 v7, 0xffff, v7
	s_branch .LBB659_103
.LBB659_109:                            ;   in Loop: Header=BB659_104 Depth=1
                                        ; implicit-def: $vgpr7
                                        ; implicit-def: $vgpr6
                                        ; implicit-def: $vgpr8
	s_cbranch_execz .LBB659_104
; %bb.110:
	s_and_saveexec_b32 s15, s14
	s_cbranch_execz .LBB659_112
; %bb.111:
	v_cmp_eq_u32_e32 vcc_lo, 0, v5
	s_mov_b32 s25, 0
	s_add_i32 s24, s33, 32
	v_add_nc_u32_e64 v15, 0x400, 0
	s_lshl_b64 s[24:25], s[24:25], 4
	v_dual_cndmask_b32 v6, 0, v28 :: v_dual_mov_b32 v9, 0
	s_add_u32 s24, s20, s24
	s_addc_u32 s25, s21, s25
	v_mov_b32_e32 v16, s23
	s_delay_alu instid0(VALU_DEP_2) | instskip(SKIP_1) | instid1(VALU_DEP_2)
	v_add_nc_u16 v7, v6, s23
	v_add_nc_u32_e32 v6, v29, v5
	v_dual_mov_b32 v8, 2 :: v_dual_and_b32 v13, 0xff00, v7
	v_and_b32_e32 v7, 0xff, v7
	s_delay_alu instid0(VALU_DEP_1)
	v_or_b32_e32 v7, v13, v7
	v_dual_mov_b32 v13, s24 :: v_dual_mov_b32 v14, s25
	;;#ASMSTART
	global_store_dwordx4 v[13:14], v[6:9] off	
s_waitcnt vmcnt(0)
	;;#ASMEND
	ds_store_2addr_b32 v15, v5, v29 offset1:2
	ds_store_b16 v9, v16 offset:1028
	ds_store_b16 v9, v28 offset:1036
.LBB659_112:
	s_or_b32 exec_lo, exec_lo, s15
	s_delay_alu instid0(SALU_CYCLE_1)
	s_and_b32 exec_lo, exec_lo, s2
	s_cbranch_execz .LBB659_114
; %bb.113:
	v_mov_b32_e32 v5, 0
	ds_store_b32 v5, v29 offset:1096
	ds_store_b16 v5, v28 offset:1100
.LBB659_114:
	s_or_b32 exec_lo, exec_lo, s22
	v_mov_b32_e32 v7, 0
	s_waitcnt lgkmcnt(0)
	s_barrier
	buffer_gl0_inv
	v_cndmask_b32_e64 v8, v19, v18, s14
	ds_load_b64 v[5:6], v7 offset:1096
	v_cndmask_b32_e64 v9, v20, v17, s14
	s_waitcnt lgkmcnt(0)
	s_barrier
	v_cmp_eq_u32_e32 vcc_lo, 0, v8
	v_cndmask_b32_e64 v8, v8, 0, s2
	buffer_gl0_inv
	v_cndmask_b32_e32 v13, 0, v6, vcc_lo
	v_cmp_eq_u32_e32 vcc_lo, 0, v63
	v_add_nc_u32_e32 v41, v5, v8
	s_delay_alu instid0(VALU_DEP_3) | instskip(NEXT) | instid1(VALU_DEP_2)
	v_add_nc_u16 v9, v13, v9
	v_add_nc_u32_e32 v37, v41, v63
	s_delay_alu instid0(VALU_DEP_2) | instskip(NEXT) | instid1(VALU_DEP_2)
	v_cndmask_b32_e64 v9, v9, v6, s2
	v_add_nc_u32_e32 v35, v37, v61
	s_delay_alu instid0(VALU_DEP_2) | instskip(SKIP_1) | instid1(VALU_DEP_3)
	v_cndmask_b32_e32 v6, 0, v9, vcc_lo
	v_and_b32_e32 v42, 0xffff, v9
	v_add_nc_u32_e32 v33, v35, v60
	s_delay_alu instid0(VALU_DEP_3) | instskip(NEXT) | instid1(VALU_DEP_2)
	v_add_nc_u16 v13, v6, v74
	v_add_nc_u32_e32 v21, v33, v59
	s_delay_alu instid0(VALU_DEP_2) | instskip(SKIP_1) | instid1(VALU_DEP_3)
	v_cndmask_b32_e64 v6, 0, v13, s13
	v_and_b32_e32 v38, 0xffff, v13
	v_add_nc_u32_e32 v19, v21, v58
	s_delay_alu instid0(VALU_DEP_3) | instskip(NEXT) | instid1(VALU_DEP_2)
	v_add_nc_u16 v14, v6, v73
	v_add_nc_u32_e32 v17, v19, v57
	s_delay_alu instid0(VALU_DEP_2) | instskip(SKIP_1) | instid1(VALU_DEP_3)
	v_cndmask_b32_e64 v6, 0, v14, s12
	;; [unrolled: 7-line block ×4, first 2 shown]
	v_and_b32_e32 v22, 0xffff, v16
	v_add_nc_u32_e32 v25, v29, v50
	s_delay_alu instid0(VALU_DEP_3) | instskip(NEXT) | instid1(VALU_DEP_2)
	v_add_nc_u16 v18, v6, v72
	v_add_nc_u32_e32 v27, v25, v49
	s_delay_alu instid0(VALU_DEP_2) | instskip(NEXT) | instid1(VALU_DEP_2)
	v_cndmask_b32_e64 v6, 0, v18, s9
	v_add_nc_u32_e32 v23, v27, v48
	s_delay_alu instid0(VALU_DEP_2) | instskip(NEXT) | instid1(VALU_DEP_2)
	v_add_nc_u16 v24, v6, v69
	v_add_nc_u32_e32 v15, v23, v47
	s_delay_alu instid0(VALU_DEP_2) | instskip(NEXT) | instid1(VALU_DEP_1)
	v_cndmask_b32_e64 v5, 0, v24, s8
	v_add_nc_u16 v26, v5, v70
	s_delay_alu instid0(VALU_DEP_1) | instskip(SKIP_1) | instid1(VALU_DEP_2)
	v_cndmask_b32_e64 v5, 0, v26, s7
	v_and_b32_e32 v40, 0xffff, v26
	v_add_nc_u16 v28, v5, v67
	s_delay_alu instid0(VALU_DEP_1) | instskip(SKIP_1) | instid1(VALU_DEP_2)
	v_cndmask_b32_e64 v5, 0, v28, s6
	v_and_b32_e32 v44, 0xffff, v28
	;; [unrolled: 4-line block ×3, first 2 shown]
	v_add_nc_u16 v62, v5, v66
	ds_load_b128 v[5:8], v7 offset:1024
	v_cndmask_b32_e64 v20, 0, v62, s4
	v_and_b32_e32 v30, 0xffff, v62
	s_delay_alu instid0(VALU_DEP_2) | instskip(NEXT) | instid1(VALU_DEP_1)
	v_add_nc_u16 v81, v20, v65
	v_cndmask_b32_e64 v20, 0, v81, s3
	v_and_b32_e32 v26, 0xffff, v81
	s_delay_alu instid0(VALU_DEP_2) | instskip(SKIP_2) | instid1(VALU_DEP_2)
	v_add_nc_u16 v82, v20, v64
	s_waitcnt lgkmcnt(0)
	v_cmp_eq_u32_e32 vcc_lo, 0, v5
	v_cndmask_b32_e64 v20, 0, v82, s1
	v_cndmask_b32_e32 v8, 0, v8, vcc_lo
	v_and_b32_e32 v28, 0xffff, v82
	s_delay_alu instid0(VALU_DEP_3) | instskip(SKIP_3) | instid1(VALU_DEP_4)
	v_add_nc_u16 v9, v20, v46
	v_and_b32_e32 v20, 0xffff, v18
	v_and_b32_e32 v18, 0xffff, v24
	v_add_nc_u32_e32 v62, v8, v6
	v_cndmask_b32_e64 v13, 0, v9, s0
	v_and_b32_e32 v24, 0xffff, v9
	s_delay_alu instid0(VALU_DEP_2) | instskip(NEXT) | instid1(VALU_DEP_1)
	v_add_nc_u16 v13, v13, v45
	v_and_b32_e32 v16, 0xffff, v13
	s_branch .LBB659_127
.LBB659_115:
                                        ; implicit-def: $vgpr5
                                        ; implicit-def: $vgpr62
                                        ; implicit-def: $vgpr41_vgpr42
                                        ; implicit-def: $vgpr37_vgpr38
                                        ; implicit-def: $vgpr35_vgpr36
                                        ; implicit-def: $vgpr33_vgpr34
                                        ; implicit-def: $vgpr21_vgpr22
                                        ; implicit-def: $vgpr19_vgpr20
                                        ; implicit-def: $vgpr17_vgpr18
                                        ; implicit-def: $vgpr39_vgpr40
                                        ; implicit-def: $vgpr43_vgpr44
                                        ; implicit-def: $vgpr31_vgpr32
                                        ; implicit-def: $vgpr29_vgpr30
                                        ; implicit-def: $vgpr25_vgpr26
                                        ; implicit-def: $vgpr27_vgpr28
                                        ; implicit-def: $vgpr23_vgpr24
                                        ; implicit-def: $vgpr15_vgpr16
	s_cbranch_execz .LBB659_127
; %bb.116:
	s_and_b32 s0, s16, exec_lo
	v_mov_b32_e32 v6, v74
	s_cselect_b32 s1, 0, s35
	s_cselect_b32 s0, 0, s34
	s_delay_alu instid0(SALU_CYCLE_1)
	s_cmp_eq_u64 s[0:1], 0
	s_cbranch_scc1 .LBB659_118
; %bb.117:
	v_mov_b32_e32 v5, 0
	global_load_u16 v6, v5, s[0:1]
.LBB659_118:
	v_cmp_eq_u32_e64 s12, 0, v61
	v_cmp_eq_u32_e64 s11, 0, v60
	;; [unrolled: 1-line block ×5, first 2 shown]
	v_cndmask_b32_e64 v5, 0, v74, s12
	v_cmp_eq_u32_e64 s8, 0, v56
	v_cmp_eq_u32_e64 s6, 0, v54
	;; [unrolled: 1-line block ×4, first 2 shown]
	v_add_nc_u16 v5, v5, v73
	v_cmp_eq_u32_e64 s3, 0, v50
	v_cmp_eq_u32_e64 s1, 0, v49
	;; [unrolled: 1-line block ×3, first 2 shown]
	v_cmp_eq_u32_e32 vcc_lo, 0, v47
	v_cndmask_b32_e64 v5, 0, v5, s11
	v_add3_u32 v7, v80, v57, v56
	v_cmp_eq_u32_e64 s13, 0, v52
	v_and_b32_e32 v13, 15, v77
	s_delay_alu instid0(VALU_DEP_4) | instskip(NEXT) | instid1(VALU_DEP_4)
	v_add_nc_u16 v5, v5, v75
	v_add3_u32 v7, v7, v54, v53
	s_delay_alu instid0(VALU_DEP_2) | instskip(NEXT) | instid1(VALU_DEP_2)
	v_cndmask_b32_e64 v5, 0, v5, s10
	v_add3_u32 v7, v7, v51, v50
	s_delay_alu instid0(VALU_DEP_2) | instskip(NEXT) | instid1(VALU_DEP_2)
	v_add_nc_u16 v5, v5, v71
	v_add3_u32 v7, v7, v49, v48
	s_delay_alu instid0(VALU_DEP_2) | instskip(NEXT) | instid1(VALU_DEP_2)
	v_cndmask_b32_e64 v5, 0, v5, s9
	v_add3_u32 v7, v7, v47, v52
	s_delay_alu instid0(VALU_DEP_2) | instskip(NEXT) | instid1(VALU_DEP_2)
	v_add_nc_u16 v5, v5, v72
	v_mov_b32_dpp v14, v7 row_shr:1 row_mask:0xf bank_mask:0xf
	s_delay_alu instid0(VALU_DEP_2) | instskip(NEXT) | instid1(VALU_DEP_1)
	v_cndmask_b32_e64 v5, 0, v5, s7
	v_add_nc_u16 v5, v5, v69
	s_delay_alu instid0(VALU_DEP_1) | instskip(NEXT) | instid1(VALU_DEP_1)
	v_cndmask_b32_e64 v5, 0, v5, s8
	v_add_nc_u16 v5, v5, v70
	s_delay_alu instid0(VALU_DEP_1) | instskip(NEXT) | instid1(VALU_DEP_1)
	;; [unrolled: 3-line block ×8, first 2 shown]
	v_cndmask_b32_e32 v5, 0, v5, vcc_lo
	v_add_nc_u16 v5, v5, v45
	s_delay_alu instid0(VALU_DEP_1) | instskip(SKIP_1) | instid1(VALU_DEP_2)
	v_cndmask_b32_e64 v5, 0, v5, s13
	v_cmp_eq_u32_e64 s13, 0, v7
	v_add_nc_u16 v5, v5, v76
	s_delay_alu instid0(VALU_DEP_1) | instskip(NEXT) | instid1(VALU_DEP_1)
	v_and_b32_e32 v8, 0xffff, v5
	v_mov_b32_dpp v9, v8 row_shr:1 row_mask:0xf bank_mask:0xf
	s_delay_alu instid0(VALU_DEP_1) | instskip(SKIP_1) | instid1(VALU_DEP_2)
	v_cndmask_b32_e64 v9, 0, v9, s13
	v_cmp_eq_u32_e64 s13, 0, v13
	v_add_nc_u16 v9, v9, v5
	s_delay_alu instid0(VALU_DEP_2) | instskip(NEXT) | instid1(VALU_DEP_2)
	v_cndmask_b32_e64 v14, v14, 0, s13
	v_and_b32_e32 v15, 0xffff, v9
	s_delay_alu instid0(VALU_DEP_2) | instskip(SKIP_1) | instid1(VALU_DEP_3)
	v_add_nc_u32_e32 v7, v14, v7
	v_cndmask_b32_e64 v5, v9, v5, s13
	v_cndmask_b32_e64 v8, v15, v8, s13
	s_delay_alu instid0(VALU_DEP_3) | instskip(NEXT) | instid1(VALU_DEP_2)
	v_cmp_eq_u32_e64 s13, 0, v7
	v_mov_b32_dpp v14, v8 row_shr:2 row_mask:0xf bank_mask:0xf
	s_delay_alu instid0(VALU_DEP_1) | instskip(SKIP_2) | instid1(VALU_DEP_3)
	v_cndmask_b32_e64 v9, 0, v14, s13
	v_mov_b32_dpp v14, v7 row_shr:2 row_mask:0xf bank_mask:0xf
	v_cmp_lt_u32_e64 s13, 1, v13
	v_add_nc_u16 v9, v9, v5
	s_delay_alu instid0(VALU_DEP_1) | instskip(NEXT) | instid1(VALU_DEP_3)
	v_and_b32_e32 v15, 0xffff, v9
	v_cndmask_b32_e64 v5, v5, v9, s13
	v_cndmask_b32_e64 v9, 0, v14, s13
	s_delay_alu instid0(VALU_DEP_3) | instskip(NEXT) | instid1(VALU_DEP_2)
	v_cndmask_b32_e64 v8, v8, v15, s13
	v_add_nc_u32_e32 v7, v7, v9
	s_delay_alu instid0(VALU_DEP_2) | instskip(NEXT) | instid1(VALU_DEP_2)
	v_mov_b32_dpp v9, v8 row_shr:4 row_mask:0xf bank_mask:0xf
	v_cmp_eq_u32_e64 s13, 0, v7
	v_mov_b32_dpp v14, v7 row_shr:4 row_mask:0xf bank_mask:0xf
	s_delay_alu instid0(VALU_DEP_2) | instskip(SKIP_1) | instid1(VALU_DEP_2)
	v_cndmask_b32_e64 v9, 0, v9, s13
	v_cmp_lt_u32_e64 s13, 3, v13
	v_add_nc_u16 v9, v9, v5
	s_delay_alu instid0(VALU_DEP_1) | instskip(NEXT) | instid1(VALU_DEP_3)
	v_and_b32_e32 v15, 0xffff, v9
	v_cndmask_b32_e64 v5, v5, v9, s13
	v_cndmask_b32_e64 v9, 0, v14, s13
	s_delay_alu instid0(VALU_DEP_3) | instskip(NEXT) | instid1(VALU_DEP_2)
	v_cndmask_b32_e64 v8, v8, v15, s13
	v_add_nc_u32_e32 v7, v9, v7
	s_delay_alu instid0(VALU_DEP_2) | instskip(NEXT) | instid1(VALU_DEP_2)
	v_mov_b32_dpp v9, v8 row_shr:8 row_mask:0xf bank_mask:0xf
	v_cmp_eq_u32_e64 s13, 0, v7
	v_mov_b32_dpp v14, v7 row_shr:8 row_mask:0xf bank_mask:0xf
	s_delay_alu instid0(VALU_DEP_2) | instskip(SKIP_1) | instid1(VALU_DEP_2)
	v_cndmask_b32_e64 v9, 0, v9, s13
	v_cmp_lt_u32_e64 s13, 7, v13
	v_add_nc_u16 v9, v9, v5
	s_delay_alu instid0(VALU_DEP_1) | instskip(SKIP_3) | instid1(VALU_DEP_3)
	v_cndmask_b32_e64 v13, v5, v9, s13
	v_cndmask_b32_e64 v5, 0, v14, s13
	v_and_b32_e32 v9, 0xffff, v9
	v_bfe_i32 v14, v77, 4, 1
	v_add_nc_u32_e32 v5, v5, v7
	s_delay_alu instid0(VALU_DEP_3)
	v_cndmask_b32_e64 v7, v8, v9, s13
	v_and_b32_e32 v9, 16, v77
	ds_swizzle_b32 v8, v5 offset:swizzle(BROADCAST,32,15)
	ds_swizzle_b32 v7, v7 offset:swizzle(BROADCAST,32,15)
	v_cmp_ne_u32_e64 s13, 0, v9
	v_cmp_eq_u32_e64 s14, 0, v5
	v_lshlrev_b32_e32 v9, 3, v78
	s_delay_alu instid0(VALU_DEP_2)
	s_and_b32 s13, s13, s14
	s_mov_b32 s14, exec_lo
	s_waitcnt lgkmcnt(1)
	v_and_b32_e32 v8, v14, v8
	s_waitcnt lgkmcnt(0)
	v_cndmask_b32_e64 v7, 0, v7, s13
	s_delay_alu instid0(VALU_DEP_2) | instskip(NEXT) | instid1(VALU_DEP_2)
	v_add_nc_u32_e32 v5, v8, v5
	v_add_nc_u16 v8, v7, v13
	v_cmpx_eq_u32_e64 v79, v0
	s_cbranch_execz .LBB659_120
; %bb.119:
	ds_store_b32 v9, v5 offset:1040
	ds_store_b16 v9, v8 offset:1044
.LBB659_120:
	s_or_b32 exec_lo, exec_lo, s14
	s_delay_alu instid0(SALU_CYCLE_1)
	s_mov_b32 s15, exec_lo
	s_waitcnt vmcnt(0) lgkmcnt(0)
	s_barrier
	buffer_gl0_inv
	v_cmpx_gt_u32_e32 8, v0
	s_cbranch_execz .LBB659_122
; %bb.121:
	v_lshlrev_b32_e32 v7, 3, v0
	v_and_b32_e32 v18, 7, v77
	ds_load_b64 v[13:14], v7 offset:1040
	v_cmp_lt_u32_e64 s14, 3, v18
	s_waitcnt lgkmcnt(0)
	v_mov_b32_dpp v15, v14 row_shr:1 row_mask:0xf bank_mask:0xf
	v_cmp_eq_u32_e64 s13, 0, v13
	v_and_b32_e32 v16, 0xffff0000, v14
	v_mov_b32_dpp v19, v13 row_shr:1 row_mask:0xf bank_mask:0xf
	s_delay_alu instid0(VALU_DEP_3) | instskip(SKIP_1) | instid1(VALU_DEP_2)
	v_cndmask_b32_e64 v15, 0, v15, s13
	v_cmp_eq_u32_e64 s13, 0, v18
	v_add_nc_u16 v15, v15, v14
	s_delay_alu instid0(VALU_DEP_2) | instskip(NEXT) | instid1(VALU_DEP_2)
	v_cndmask_b32_e64 v19, v19, 0, s13
	v_and_b32_e32 v17, 0xffff, v15
	s_delay_alu instid0(VALU_DEP_2) | instskip(NEXT) | instid1(VALU_DEP_2)
	v_add_nc_u32_e32 v13, v19, v13
	v_or_b32_e32 v17, v16, v17
	s_delay_alu instid0(VALU_DEP_1) | instskip(SKIP_1) | instid1(VALU_DEP_4)
	v_cndmask_b32_e64 v17, v17, v14, s13
	v_cndmask_b32_e64 v14, v15, v14, s13
	v_cmp_eq_u32_e64 s13, 0, v13
	s_delay_alu instid0(VALU_DEP_3) | instskip(NEXT) | instid1(VALU_DEP_1)
	v_mov_b32_dpp v19, v17 row_shr:2 row_mask:0xf bank_mask:0xf
	v_cndmask_b32_e64 v15, 0, v19, s13
	v_mov_b32_dpp v19, v13 row_shr:2 row_mask:0xf bank_mask:0xf
	v_cmp_lt_u32_e64 s13, 1, v18
	s_delay_alu instid0(VALU_DEP_3) | instskip(NEXT) | instid1(VALU_DEP_1)
	v_add_nc_u16 v15, v15, v14
	v_and_b32_e32 v20, 0xffff, v15
	s_delay_alu instid0(VALU_DEP_3) | instskip(SKIP_1) | instid1(VALU_DEP_3)
	v_cndmask_b32_e64 v14, v14, v15, s13
	v_cndmask_b32_e64 v15, 0, v19, s13
	v_or_b32_e32 v16, v16, v20
	s_delay_alu instid0(VALU_DEP_2) | instskip(NEXT) | instid1(VALU_DEP_2)
	v_add_nc_u32_e32 v13, v15, v13
	v_cndmask_b32_e64 v15, v17, v16, s13
	s_delay_alu instid0(VALU_DEP_2) | instskip(SKIP_1) | instid1(VALU_DEP_3)
	v_cmp_eq_u32_e64 s13, 0, v13
	v_mov_b32_dpp v16, v13 row_shr:4 row_mask:0xf bank_mask:0xf
	v_mov_b32_dpp v15, v15 row_shr:4 row_mask:0xf bank_mask:0xf
	s_delay_alu instid0(VALU_DEP_3) | instskip(NEXT) | instid1(VALU_DEP_2)
	s_and_b32 s13, s14, s13
	v_cndmask_b32_e64 v16, 0, v16, s14
	s_delay_alu instid0(VALU_DEP_2) | instskip(NEXT) | instid1(VALU_DEP_2)
	v_cndmask_b32_e64 v15, 0, v15, s13
	v_add_nc_u32_e32 v13, v16, v13
	s_delay_alu instid0(VALU_DEP_2)
	v_add_nc_u16 v14, v14, v15
	ds_store_b32 v7, v13 offset:1040
	ds_store_b16 v7, v14 offset:1044
.LBB659_122:
	s_or_b32 exec_lo, exec_lo, s15
	v_dual_mov_b32 v7, 0 :: v_dual_mov_b32 v14, v6
	v_mov_b32_e32 v13, 0
	s_mov_b32 s14, exec_lo
	s_waitcnt lgkmcnt(0)
	s_barrier
	buffer_gl0_inv
	v_cmpx_lt_u32_e32 31, v0
	s_cbranch_execz .LBB659_124
; %bb.123:
	ds_load_b32 v13, v9 offset:1032
	ds_load_u16 v9, v9 offset:1036
	s_waitcnt lgkmcnt(1)
	v_cmp_eq_u32_e64 s13, 0, v13
	s_delay_alu instid0(VALU_DEP_1) | instskip(SKIP_1) | instid1(VALU_DEP_1)
	v_cndmask_b32_e64 v14, 0, v6, s13
	s_waitcnt lgkmcnt(0)
	v_add_nc_u16 v14, v14, v9
.LBB659_124:
	s_or_b32 exec_lo, exec_lo, s14
	v_add_nc_u32_e32 v9, -1, v77
	v_cmp_eq_u32_e64 s13, 0, v5
	v_add_nc_u32_e32 v5, v13, v5
	s_delay_alu instid0(VALU_DEP_2) | instskip(NEXT) | instid1(VALU_DEP_4)
	v_cndmask_b32_e64 v15, 0, v14, s13
	v_cmp_gt_i32_e64 s13, 0, v9
	s_delay_alu instid0(VALU_DEP_2) | instskip(NEXT) | instid1(VALU_DEP_2)
	v_add_nc_u16 v8, v15, v8
	v_cndmask_b32_e64 v9, v9, v77, s13
	v_cmp_eq_u32_e64 s13, 0, v77
	s_delay_alu instid0(VALU_DEP_3) | instskip(NEXT) | instid1(VALU_DEP_3)
	v_and_b32_e32 v8, 0xffff, v8
	v_lshlrev_b32_e32 v9, 2, v9
	ds_bpermute_b32 v8, v9, v8
	ds_bpermute_b32 v5, v9, v5
	s_waitcnt lgkmcnt(1)
	v_cndmask_b32_e64 v8, v8, v14, s13
	s_waitcnt lgkmcnt(0)
	v_cndmask_b32_e64 v5, v5, v13, s13
	v_cmp_eq_u32_e64 s13, 0, v63
	s_delay_alu instid0(VALU_DEP_3) | instskip(NEXT) | instid1(VALU_DEP_3)
	v_cndmask_b32_e64 v8, v8, v6, s2
	v_cndmask_b32_e64 v41, v5, 0, s2
	s_delay_alu instid0(VALU_DEP_2) | instskip(NEXT) | instid1(VALU_DEP_2)
	v_cndmask_b32_e64 v9, 0, v8, s13
	v_add_nc_u32_e32 v37, v41, v63
	v_and_b32_e32 v42, 0xffff, v8
	s_delay_alu instid0(VALU_DEP_3) | instskip(NEXT) | instid1(VALU_DEP_3)
	v_add_nc_u16 v9, v9, v74
	v_add_nc_u32_e32 v35, v37, v61
	s_delay_alu instid0(VALU_DEP_2) | instskip(NEXT) | instid1(VALU_DEP_2)
	v_cndmask_b32_e64 v13, 0, v9, s12
	v_add_nc_u32_e32 v33, v35, v60
	s_delay_alu instid0(VALU_DEP_2) | instskip(NEXT) | instid1(VALU_DEP_2)
	v_add_nc_u16 v13, v13, v73
	v_add_nc_u32_e32 v21, v33, v59
	s_delay_alu instid0(VALU_DEP_2) | instskip(NEXT) | instid1(VALU_DEP_2)
	v_cndmask_b32_e64 v14, 0, v13, s11
	v_add_nc_u32_e32 v19, v21, v58
	v_and_b32_e32 v36, 0xffff, v13
	s_delay_alu instid0(VALU_DEP_3) | instskip(NEXT) | instid1(VALU_DEP_1)
	v_add_nc_u16 v14, v14, v75
	v_cndmask_b32_e64 v15, 0, v14, s10
	v_and_b32_e32 v34, 0xffff, v14
	s_delay_alu instid0(VALU_DEP_2) | instskip(NEXT) | instid1(VALU_DEP_1)
	v_add_nc_u16 v15, v15, v71
	v_cndmask_b32_e64 v16, 0, v15, s9
	v_and_b32_e32 v22, 0xffff, v15
	s_delay_alu instid0(VALU_DEP_2) | instskip(NEXT) | instid1(VALU_DEP_1)
	v_add_nc_u16 v16, v16, v72
	v_cndmask_b32_e64 v17, 0, v16, s7
	s_delay_alu instid0(VALU_DEP_1) | instskip(NEXT) | instid1(VALU_DEP_1)
	v_add_nc_u16 v18, v17, v69
	v_cndmask_b32_e64 v17, 0, v18, s8
	v_and_b32_e32 v18, 0xffff, v18
	s_delay_alu instid0(VALU_DEP_2) | instskip(SKIP_1) | instid1(VALU_DEP_2)
	v_add_nc_u16 v24, v17, v70
	v_add_nc_u32_e32 v17, v19, v57
	v_cndmask_b32_e64 v5, 0, v24, s6
	s_delay_alu instid0(VALU_DEP_2) | instskip(SKIP_1) | instid1(VALU_DEP_3)
	v_add_nc_u32_e32 v39, v17, v56
	v_and_b32_e32 v40, 0xffff, v24
	v_add_nc_u16 v26, v5, v67
	s_delay_alu instid0(VALU_DEP_3) | instskip(NEXT) | instid1(VALU_DEP_2)
	v_add_nc_u32_e32 v43, v39, v54
	v_cndmask_b32_e64 v5, 0, v26, s5
	s_delay_alu instid0(VALU_DEP_2) | instskip(SKIP_1) | instid1(VALU_DEP_3)
	v_add_nc_u32_e32 v31, v43, v53
	v_and_b32_e32 v44, 0xffff, v26
	v_add_nc_u16 v28, v5, v68
	s_delay_alu instid0(VALU_DEP_3) | instskip(NEXT) | instid1(VALU_DEP_2)
	v_add_nc_u32_e32 v29, v31, v51
	v_cndmask_b32_e64 v5, 0, v28, s4
	s_delay_alu instid0(VALU_DEP_2) | instskip(SKIP_1) | instid1(VALU_DEP_3)
	v_add_nc_u32_e32 v25, v29, v50
	v_and_b32_e32 v32, 0xffff, v28
	v_add_nc_u16 v30, v5, v66
	ds_load_b32 v5, v7 offset:1096
	ds_load_u16 v7, v7 offset:1100
	v_add_nc_u32_e32 v27, v25, v49
	v_cndmask_b32_e64 v20, 0, v30, s3
	v_and_b32_e32 v30, 0xffff, v30
	s_delay_alu instid0(VALU_DEP_3) | instskip(NEXT) | instid1(VALU_DEP_3)
	v_add_nc_u32_e32 v23, v27, v48
	v_add_nc_u16 v62, v20, v65
	s_delay_alu instid0(VALU_DEP_2) | instskip(NEXT) | instid1(VALU_DEP_2)
	v_add_nc_u32_e32 v15, v23, v47
	v_cndmask_b32_e64 v20, 0, v62, s1
	v_and_b32_e32 v26, 0xffff, v62
	s_delay_alu instid0(VALU_DEP_2) | instskip(SKIP_3) | instid1(VALU_DEP_3)
	v_add_nc_u16 v64, v20, v64
	s_waitcnt lgkmcnt(1)
	v_cmp_eq_u32_e64 s1, 0, v5
	v_and_b32_e32 v20, 0xffff, v16
	v_cndmask_b32_e64 v8, 0, v64, s0
	s_delay_alu instid0(VALU_DEP_3) | instskip(SKIP_1) | instid1(VALU_DEP_3)
	v_cndmask_b32_e64 v6, 0, v6, s1
	v_and_b32_e32 v28, 0xffff, v64
	v_add_nc_u16 v8, v8, v46
	v_and_b32_e32 v38, 0xffff, v9
	s_waitcnt lgkmcnt(0)
	v_add_nc_u16 v62, v6, v7
	s_delay_alu instid0(VALU_DEP_3) | instskip(SKIP_1) | instid1(VALU_DEP_2)
	v_cndmask_b32_e32 v9, 0, v8, vcc_lo
	v_and_b32_e32 v24, 0xffff, v8
	v_add_nc_u16 v9, v9, v45
	s_delay_alu instid0(VALU_DEP_1)
	v_and_b32_e32 v16, 0xffff, v9
	s_and_saveexec_b32 s0, s2
	s_cbranch_execz .LBB659_126
; %bb.125:
	v_and_b32_e32 v6, 0xff00, v62
	v_dual_mov_b32 v8, 0 :: v_dual_and_b32 v7, 0xff, v62
	s_add_u32 s4, s20, 0x200
	s_addc_u32 s5, s21, 0
	s_delay_alu instid0(VALU_DEP_1)
	v_or_b32_e32 v6, v6, v7
	v_dual_mov_b32 v7, 2 :: v_dual_mov_b32 v14, s5
	v_mov_b32_e32 v13, s4
	;;#ASMSTART
	global_store_dwordx4 v[13:14], v[5:8] off	
s_waitcnt vmcnt(0)
	;;#ASMEND
.LBB659_126:
	s_or_b32 exec_lo, exec_lo, s0
	v_mov_b32_e32 v7, 0
.LBB659_127:
	v_mov_b32_e32 v13, 0
	s_and_b32 s0, s16, exec_lo
	v_mov_b32_e32 v14, 0
	s_cselect_b32 s1, 0, s39
	s_cselect_b32 s0, 0, s38
	s_delay_alu instid0(SALU_CYCLE_1)
	s_cmp_eq_u64 s[0:1], 0
	s_barrier
	buffer_gl0_inv
	s_cbranch_scc1 .LBB659_129
; %bb.128:
	v_mov_b32_e32 v6, 0
	global_load_b64 v[13:14], v6, s[0:1]
.LBB659_129:
	v_cmp_eq_u32_e32 vcc_lo, 0, v63
	s_waitcnt vmcnt(0)
	v_lshlrev_b64 v[45:46], 1, v[13:14]
	v_cmp_ne_u32_e64 s15, 0, v63
	v_cmp_ne_u32_e64 s14, 0, v61
	;; [unrolled: 1-line block ×3, first 2 shown]
	v_cndmask_b32_e64 v6, 1, 2, vcc_lo
	v_cmp_eq_u32_e32 vcc_lo, 0, v61
	v_cmp_ne_u32_e64 s12, 0, v59
	v_cmp_ne_u32_e64 s11, 0, v58
	;; [unrolled: 1-line block ×4, first 2 shown]
	v_cndmask_b32_e64 v8, 1, 2, vcc_lo
	v_cmp_eq_u32_e32 vcc_lo, 0, v60
	v_cmp_ne_u32_e64 s6, 0, v54
	v_cmp_ne_u32_e64 s9, 0, v53
	;; [unrolled: 1-line block ×3, first 2 shown]
	v_and_b32_e32 v6, v8, v6
	v_cndmask_b32_e64 v9, 1, 2, vcc_lo
	v_cmp_eq_u32_e32 vcc_lo, 0, v59
	v_cmp_ne_u32_e64 s5, 0, v50
	v_cmp_ne_u32_e64 s4, 0, v49
	;; [unrolled: 1-line block ×3, first 2 shown]
	v_and_b32_e32 v6, v6, v9
	v_cndmask_b32_e64 v8, 1, 2, vcc_lo
	v_cmp_eq_u32_e32 vcc_lo, 0, v58
	v_cmp_ne_u32_e64 s1, 0, v47
	v_cmp_ne_u32_e64 s0, 0, v52
	s_delay_alu instid0(VALU_DEP_4) | instskip(SKIP_2) | instid1(VALU_DEP_2)
	v_and_b32_e32 v6, v6, v8
	v_cndmask_b32_e64 v9, 1, 2, vcc_lo
	v_cmp_eq_u32_e32 vcc_lo, 0, v57
	v_and_b32_e32 v6, v6, v9
	v_cndmask_b32_e64 v8, 1, 2, vcc_lo
	v_cmp_eq_u32_e32 vcc_lo, 0, v56
	s_delay_alu instid0(VALU_DEP_2) | instskip(SKIP_2) | instid1(VALU_DEP_2)
	v_and_b32_e32 v6, v6, v8
	v_cndmask_b32_e64 v9, 1, 2, vcc_lo
	v_cmp_eq_u32_e32 vcc_lo, 0, v54
	v_and_b32_e32 v6, v6, v9
	v_cndmask_b32_e64 v64, 1, 2, vcc_lo
	v_cmp_eq_u32_e32 vcc_lo, 0, v53
	s_delay_alu instid0(VALU_DEP_2) | instskip(SKIP_2) | instid1(VALU_DEP_2)
	;; [unrolled: 7-line block ×3, first 2 shown]
	v_and_b32_e32 v6, v6, v64
	v_cndmask_b32_e64 v9, 1, 2, vcc_lo
	v_cmp_eq_u32_e32 vcc_lo, 0, v49
	v_and_b32_e32 v6, v6, v9
	v_cndmask_b32_e64 v64, 1, 2, vcc_lo
	v_cmp_eq_u32_e32 vcc_lo, 0, v48
	s_delay_alu instid0(VALU_DEP_2) | instskip(SKIP_3) | instid1(VALU_DEP_3)
	v_and_b32_e32 v6, v6, v64
	v_cndmask_b32_e64 v65, 1, 2, vcc_lo
	v_mov_b32_e32 v8, 0
	v_cmp_eq_u32_e32 vcc_lo, 0, v47
	v_and_b32_e32 v65, v6, v65
	s_delay_alu instid0(VALU_DEP_3) | instskip(SKIP_3) | instid1(VALU_DEP_3)
	v_lshlrev_b64 v[8:9], 1, v[7:8]
	v_cndmask_b32_e64 v66, 1, 2, vcc_lo
	v_add_co_u32 v64, vcc_lo, s18, v45
	v_add_co_ci_u32_e32 v67, vcc_lo, s19, v46, vcc_lo
	v_and_b32_e32 v65, v65, v66
	s_delay_alu instid0(VALU_DEP_3) | instskip(NEXT) | instid1(VALU_DEP_3)
	v_add_co_u32 v6, vcc_lo, v64, v8
	v_add_co_ci_u32_e32 v64, vcc_lo, v67, v9, vcc_lo
	v_cmp_eq_u32_e32 vcc_lo, 0, v52
	s_mov_b32 s18, -1
	v_cndmask_b32_e64 v66, 1, 2, vcc_lo
	v_cmp_gt_u32_e32 vcc_lo, 0x100, v5
	s_delay_alu instid0(VALU_DEP_2) | instskip(NEXT) | instid1(VALU_DEP_1)
	v_and_b32_e32 v65, v65, v66
	v_cmp_gt_i16_e64 s16, 2, v65
	s_cbranch_vccz .LBB659_136
; %bb.130:
	s_delay_alu instid0(VALU_DEP_1)
	s_and_saveexec_b32 s18, s16
	s_cbranch_execz .LBB659_135
; %bb.131:
	s_mov_b32 s19, 0
	s_mov_b32 s16, exec_lo
	v_cmpx_ne_u16_e32 1, v65
	s_xor_b32 s16, exec_lo, s16
	s_cbranch_execnz .LBB659_192
; %bb.132:
	s_and_not1_saveexec_b32 s16, s16
	s_cbranch_execnz .LBB659_208
.LBB659_133:
	s_or_b32 exec_lo, exec_lo, s16
	s_delay_alu instid0(SALU_CYCLE_1)
	s_and_b32 exec_lo, exec_lo, s19
	s_cbranch_execz .LBB659_135
.LBB659_134:
	v_sub_nc_u32_e32 v66, v15, v7
	v_mov_b32_e32 v67, 0
	s_delay_alu instid0(VALU_DEP_1) | instskip(NEXT) | instid1(VALU_DEP_1)
	v_lshlrev_b64 v[66:67], 1, v[66:67]
	v_add_co_u32 v66, vcc_lo, v6, v66
	s_delay_alu instid0(VALU_DEP_2)
	v_add_co_ci_u32_e32 v67, vcc_lo, v64, v67, vcc_lo
	global_store_d16_hi_b16 v[66:67], v12, off
.LBB659_135:
	s_or_b32 exec_lo, exec_lo, s18
	s_mov_b32 s18, 0
.LBB659_136:
	s_delay_alu instid0(SALU_CYCLE_1)
	s_and_b32 vcc_lo, exec_lo, s18
	s_cbranch_vccz .LBB659_158
; %bb.137:
	s_mov_b32 s16, exec_lo
	v_cmpx_gt_i16_e32 2, v65
	s_cbranch_execz .LBB659_142
; %bb.138:
	s_mov_b32 s19, 0
	s_mov_b32 s18, exec_lo
	v_cmpx_ne_u16_e32 1, v65
	s_xor_b32 s18, exec_lo, s18
	s_cbranch_execnz .LBB659_209
; %bb.139:
	s_and_not1_saveexec_b32 s0, s18
	s_cbranch_execnz .LBB659_225
.LBB659_140:
	s_or_b32 exec_lo, exec_lo, s0
	s_delay_alu instid0(SALU_CYCLE_1)
	s_and_b32 exec_lo, exec_lo, s19
	s_cbranch_execz .LBB659_142
.LBB659_141:
	v_sub_nc_u32_e32 v1, v15, v7
	s_delay_alu instid0(VALU_DEP_1)
	v_lshlrev_b32_e32 v1, 1, v1
	ds_store_b16_d16_hi v1, v12
.LBB659_142:
	s_or_b32 exec_lo, exec_lo, s16
	s_delay_alu instid0(SALU_CYCLE_1)
	s_mov_b32 s1, exec_lo
	s_waitcnt lgkmcnt(0)
	s_waitcnt_vscnt null, 0x0
	s_barrier
	buffer_gl0_inv
	v_cmpx_lt_u32_e64 v0, v5
	s_cbranch_execz .LBB659_157
; %bb.143:
	v_xad_u32 v2, v0, -1, v5
	v_mov_b32_e32 v1, v0
	s_mov_b32 s0, -1
	s_mov_b32 s4, exec_lo
	s_delay_alu instid0(VALU_DEP_2)
	v_cmp_gt_u32_e64 s3, 0x1900, v2
	v_cmpx_lt_u32_e32 0x18ff, v2
	s_cbranch_execz .LBB659_154
; %bb.144:
	v_sub_nc_u32_e32 v1, v0, v5
	s_delay_alu instid0(VALU_DEP_1) | instskip(NEXT) | instid1(VALU_DEP_1)
	v_or_b32_e32 v1, 0xff, v1
	v_cmp_ge_u32_e32 vcc_lo, v1, v0
	v_mov_b32_e32 v1, v0
	s_and_saveexec_b32 s5, vcc_lo
	s_cbranch_execz .LBB659_153
; %bb.145:
	v_lshrrev_b32_e32 v4, 8, v2
	v_or_b32_e32 v1, 0x100, v0
	v_mov_b32_e32 v66, 0
	s_delay_alu instid0(VALU_DEP_3) | instskip(NEXT) | instid1(VALU_DEP_1)
	v_add_nc_u32_e32 v2, -1, v4
	v_lshrrev_b32_e32 v3, 1, v2
	v_cmp_lt_u32_e32 vcc_lo, 13, v2
	s_delay_alu instid0(VALU_DEP_2)
	v_dual_mov_b32 v3, v1 :: v_dual_add_nc_u32 v12, 1, v3
	v_mov_b32_e32 v2, v0
	s_and_saveexec_b32 s0, vcc_lo
	s_cbranch_execz .LBB659_149
; %bb.146:
	v_mov_b32_e32 v3, v1
	v_dual_mov_b32 v2, v0 :: v_dual_and_b32 v55, -8, v12
	v_lshlrev_b32_e32 v65, 1, v0
	v_mov_b32_e32 v11, 0
	s_mov_b32 s6, 0
	s_mov_b32 s7, 0
.LBB659_147:                            ; =>This Inner Loop Header: Depth=1
	v_dual_mov_b32 v10, v2 :: v_dual_add_nc_u32 v67, 0x200, v3
	s_add_i32 s7, s7, 16
	s_delay_alu instid0(SALU_CYCLE_1) | instskip(SKIP_1) | instid1(VALU_DEP_3)
	v_dual_mov_b32 v66, s7 :: v_dual_add_nc_u32 v55, -8, v55
	v_dual_mov_b32 v68, v11 :: v_dual_add_nc_u32 v69, 0x400, v3
	v_lshlrev_b64 v[81:82], 1, v[10:11]
	v_dual_mov_b32 v70, v11 :: v_dual_add_nc_u32 v71, 0x600, v3
	s_delay_alu instid0(VALU_DEP_4) | instskip(NEXT) | instid1(VALU_DEP_4)
	v_cmp_eq_u32_e32 vcc_lo, 0, v55
	v_lshlrev_b64 v[67:68], 1, v[67:68]
	v_dual_mov_b32 v72, v11 :: v_dual_add_nc_u32 v73, 0x800, v3
	s_delay_alu instid0(VALU_DEP_4)
	v_lshlrev_b64 v[69:70], 1, v[69:70]
	s_or_b32 s6, vcc_lo, s6
	v_add_co_u32 v81, vcc_lo, v6, v81
	v_dual_mov_b32 v74, v11 :: v_dual_add_nc_u32 v75, 0xa00, v3
	v_add_co_ci_u32_e32 v82, vcc_lo, v64, v82, vcc_lo
	v_lshlrev_b64 v[71:72], 1, v[71:72]
	v_add_co_u32 v67, vcc_lo, v6, v67
	v_dual_mov_b32 v76, v11 :: v_dual_add_nc_u32 v77, 0xc00, v3
	v_add_co_ci_u32_e32 v68, vcc_lo, v64, v68, vcc_lo
	v_lshlrev_b64 v[73:74], 1, v[73:74]
	;; [unrolled: 4-line block ×3, first 2 shown]
	v_add_co_u32 v71, vcc_lo, v6, v71
	v_mov_b32_e32 v80, v11
	v_dual_mov_b32 v10, v3 :: v_dual_add_nc_u32 v3, 0x1000, v3
	v_add_co_ci_u32_e32 v72, vcc_lo, v64, v72, vcc_lo
	v_lshlrev_b64 v[77:78], 1, v[77:78]
	v_add_co_u32 v73, vcc_lo, v6, v73
	ds_load_u16 v1, v65
	ds_load_u16 v87, v65 offset:512
	ds_load_u16 v88, v65 offset:1024
	;; [unrolled: 1-line block ×7, first 2 shown]
	v_add_co_ci_u32_e32 v74, vcc_lo, v64, v74, vcc_lo
	ds_load_u16 v94, v65 offset:4096
	ds_load_u16 v95, v65 offset:4608
	;; [unrolled: 1-line block ×8, first 2 shown]
	v_add_nc_u32_e32 v65, 0x2000, v65
	v_lshlrev_b64 v[79:80], 1, v[79:80]
	v_add_co_u32 v75, vcc_lo, v6, v75
	v_lshlrev_b64 v[83:84], 1, v[10:11]
	v_add_nc_u32_e32 v10, 0x200, v2
	v_add_co_ci_u32_e32 v76, vcc_lo, v64, v76, vcc_lo
	v_add_co_u32 v77, vcc_lo, v6, v77
	v_add_co_ci_u32_e32 v78, vcc_lo, v64, v78, vcc_lo
	v_add_co_u32 v79, vcc_lo, v6, v79
	v_lshlrev_b64 v[85:86], 1, v[10:11]
	v_add_nc_u32_e32 v10, 0x400, v2
	v_add_co_ci_u32_e32 v80, vcc_lo, v64, v80, vcc_lo
	v_add_co_u32 v83, vcc_lo, v6, v83
	v_add_co_ci_u32_e32 v84, vcc_lo, v64, v84, vcc_lo
	s_waitcnt lgkmcnt(15)
	global_store_b16 v[81:82], v1, off
	v_lshlrev_b64 v[81:82], 1, v[10:11]
	v_add_nc_u32_e32 v10, 0x600, v2
	v_add_co_u32 v85, vcc_lo, v6, v85
	v_add_co_ci_u32_e32 v86, vcc_lo, v64, v86, vcc_lo
	s_waitcnt lgkmcnt(14)
	global_store_b16 v[83:84], v87, off
	v_lshlrev_b64 v[83:84], 1, v[10:11]
	v_add_nc_u32_e32 v10, 0x800, v2
	s_waitcnt lgkmcnt(13)
	global_store_b16 v[85:86], v88, off
	s_waitcnt lgkmcnt(12)
	global_store_b16 v[67:68], v89, off
	v_add_co_u32 v67, vcc_lo, v6, v81
	v_add_co_ci_u32_e32 v68, vcc_lo, v64, v82, vcc_lo
	v_lshlrev_b64 v[81:82], 1, v[10:11]
	v_add_nc_u32_e32 v10, 0xa00, v2
	v_add_co_u32 v83, vcc_lo, v6, v83
	v_add_co_ci_u32_e32 v84, vcc_lo, v64, v84, vcc_lo
	s_waitcnt lgkmcnt(11)
	global_store_b16 v[67:68], v90, off
	s_waitcnt lgkmcnt(10)
	global_store_b16 v[69:70], v91, off
	v_lshlrev_b64 v[67:68], 1, v[10:11]
	v_add_nc_u32_e32 v10, 0xc00, v2
	v_add_co_u32 v69, vcc_lo, v6, v81
	s_waitcnt lgkmcnt(9)
	global_store_b16 v[83:84], v92, off
	s_waitcnt lgkmcnt(8)
	global_store_b16 v[71:72], v93, off
	v_add_co_ci_u32_e32 v70, vcc_lo, v64, v82, vcc_lo
	v_lshlrev_b64 v[71:72], 1, v[10:11]
	v_add_nc_u32_e32 v10, 0xe00, v2
	v_add_co_u32 v67, vcc_lo, v6, v67
	v_add_co_ci_u32_e32 v68, vcc_lo, v64, v68, vcc_lo
	s_waitcnt lgkmcnt(7)
	global_store_b16 v[69:70], v94, off
	s_waitcnt lgkmcnt(6)
	global_store_b16 v[73:74], v95, off
	v_lshlrev_b64 v[69:70], 1, v[10:11]
	v_add_nc_u32_e32 v2, 0x1000, v2
	s_waitcnt lgkmcnt(5)
	global_store_b16 v[67:68], v96, off
	v_add_co_u32 v67, vcc_lo, v6, v71
	v_add_co_ci_u32_e32 v68, vcc_lo, v64, v72, vcc_lo
	v_add_co_u32 v69, vcc_lo, v6, v69
	v_add_co_ci_u32_e32 v70, vcc_lo, v64, v70, vcc_lo
	s_waitcnt lgkmcnt(4)
	global_store_b16 v[75:76], v97, off
	s_waitcnt lgkmcnt(3)
	global_store_b16 v[67:68], v98, off
	;; [unrolled: 2-line block ×5, first 2 shown]
	s_and_not1_b32 exec_lo, exec_lo, s6
	s_cbranch_execnz .LBB659_147
; %bb.148:
	s_or_b32 exec_lo, exec_lo, s6
.LBB659_149:
	s_delay_alu instid0(SALU_CYCLE_1) | instskip(SKIP_3) | instid1(VALU_DEP_1)
	s_or_b32 exec_lo, exec_lo, s0
	v_and_b32_e32 v1, 7, v12
	s_mov_b32 s7, 0
	s_mov_b32 s6, exec_lo
	v_cmpx_ne_u32_e32 0, v1
	s_cbranch_execz .LBB659_152
; %bb.150:
	v_dual_mov_b32 v11, 0 :: v_dual_lshlrev_b32 v10, 1, v0
	s_delay_alu instid0(VALU_DEP_1)
	v_lshl_or_b32 v12, v66, 9, v10
	s_set_inst_prefetch_distance 0x1
	.p2align	6
.LBB659_151:                            ; =>This Inner Loop Header: Depth=1
	v_dual_mov_b32 v10, v2 :: v_dual_add_nc_u32 v1, -1, v1
	ds_load_u16 v55, v12
	ds_load_u16 v69, v12 offset:512
	v_add_nc_u32_e32 v2, 0x200, v2
	v_add_nc_u32_e32 v12, 0x400, v12
	v_lshlrev_b64 v[65:66], 1, v[10:11]
	v_dual_mov_b32 v10, v3 :: v_dual_add_nc_u32 v3, 0x200, v3
	v_cmp_eq_u32_e32 vcc_lo, 0, v1
	s_delay_alu instid0(VALU_DEP_2) | instskip(NEXT) | instid1(VALU_DEP_4)
	v_lshlrev_b64 v[67:68], 1, v[10:11]
	v_add_co_u32 v65, s0, v6, v65
	s_delay_alu instid0(VALU_DEP_1) | instskip(SKIP_1) | instid1(VALU_DEP_3)
	v_add_co_ci_u32_e64 v66, s0, v64, v66, s0
	s_or_b32 s7, vcc_lo, s7
	v_add_co_u32 v67, s0, v6, v67
	s_delay_alu instid0(VALU_DEP_1)
	v_add_co_ci_u32_e64 v68, s0, v64, v68, s0
	s_waitcnt lgkmcnt(1)
	global_store_b16 v[65:66], v55, off
	s_waitcnt lgkmcnt(0)
	global_store_b16 v[67:68], v69, off
	s_and_not1_b32 exec_lo, exec_lo, s7
	s_cbranch_execnz .LBB659_151
.LBB659_152:
	s_set_inst_prefetch_distance 0x2
	s_or_b32 exec_lo, exec_lo, s6
	v_add_nc_u32_e32 v1, 1, v4
	s_delay_alu instid0(VALU_DEP_1) | instskip(NEXT) | instid1(VALU_DEP_1)
	v_and_b32_e32 v2, 0x1fffffe, v1
	v_cmp_ne_u32_e32 vcc_lo, v1, v2
	v_lshl_or_b32 v1, v2, 8, v0
	s_or_not1_b32 s0, vcc_lo, exec_lo
.LBB659_153:
	s_or_b32 exec_lo, exec_lo, s5
	s_delay_alu instid0(SALU_CYCLE_1) | instskip(SKIP_1) | instid1(SALU_CYCLE_1)
	s_and_not1_b32 s3, s3, exec_lo
	s_and_b32 s0, s0, exec_lo
	s_or_b32 s3, s3, s0
.LBB659_154:
	s_or_b32 exec_lo, exec_lo, s4
	s_delay_alu instid0(VALU_DEP_2) | instid1(SALU_CYCLE_1)
	s_and_b32 exec_lo, exec_lo, s3
	s_cbranch_execz .LBB659_157
; %bb.155:
	v_dual_mov_b32 v2, 0 :: v_dual_lshlrev_b32 v3, 1, v1
	s_mov_b32 s3, 0
	.p2align	6
.LBB659_156:                            ; =>This Inner Loop Header: Depth=1
	ds_load_u16 v4, v3
	v_lshlrev_b64 v[10:11], 1, v[1:2]
	v_add_nc_u32_e32 v1, 0x100, v1
	v_add_nc_u32_e32 v3, 0x200, v3
	s_delay_alu instid0(VALU_DEP_2) | instskip(NEXT) | instid1(VALU_DEP_4)
	v_cmp_ge_u32_e32 vcc_lo, v1, v5
	v_add_co_u32 v10, s0, v6, v10
	s_delay_alu instid0(VALU_DEP_1)
	v_add_co_ci_u32_e64 v11, s0, v64, v11, s0
	s_or_b32 s3, vcc_lo, s3
	s_waitcnt lgkmcnt(0)
	global_store_b16 v[10:11], v4, off
	s_and_not1_b32 exec_lo, exec_lo, s3
	s_cbranch_execnz .LBB659_156
.LBB659_157:
	s_or_b32 exec_lo, exec_lo, s1
.LBB659_158:
	s_cmpk_lg_i32 s26, 0xf00
	v_cndmask_b32_e64 v2, 0, 1, s27
	s_cselect_b32 s0, -1, 0
	v_mad_i32_i24 v6, v0, -15, s26
	s_and_b32 s0, s0, s17
	s_and_b32 s1, s2, s27
	v_cndmask_b32_e64 v1, 0, 1, s0
	s_mul_hi_u32 s0, s26, 0x88888889
	v_sub_nc_u32_e32 v3, v5, v2
	s_lshr_b32 s0, s0, 3
	v_cndmask_b32_e64 v10, v63, 0, s1
	v_cmp_eq_u32_e32 vcc_lo, s0, v0
	v_cmp_ne_u32_e64 s0, 0, v6
	s_mov_b32 s16, -1
	s_waitcnt_vscnt null, 0x0
	s_barrier
	s_and_b32 vcc_lo, vcc_lo, s17
	v_add_nc_u32_e32 v4, v3, v1
	v_cndmask_b32_e64 v3, 1, v10, s0
	v_cmp_ne_u32_e64 s0, 1, v6
	buffer_gl0_inv
	v_cndmask_b32_e32 v64, v10, v3, vcc_lo
	v_cndmask_b32_e64 v11, 1, v61, s0
	v_cmp_ne_u32_e64 s0, 14, v6
	s_delay_alu instid0(VALU_DEP_2) | instskip(NEXT) | instid1(VALU_DEP_2)
	v_cndmask_b32_e32 v61, v61, v11, vcc_lo
	v_cndmask_b32_e64 v12, 1, v52, s0
	v_cmp_ne_u32_e64 s0, 2, v6
	s_delay_alu instid0(VALU_DEP_3) | instskip(NEXT) | instid1(VALU_DEP_2)
	v_cmp_ne_u32_e64 s13, 0, v61
	v_cndmask_b32_e64 v55, 1, v60, s0
	v_cmp_ne_u32_e64 s0, 3, v6
	s_delay_alu instid0(VALU_DEP_2) | instskip(NEXT) | instid1(VALU_DEP_2)
	v_cndmask_b32_e32 v55, v60, v55, vcc_lo
	v_cndmask_b32_e64 v63, 1, v59, s0
	v_cmp_ne_u32_e64 s0, 4, v6
	s_delay_alu instid0(VALU_DEP_2) | instskip(NEXT) | instid1(VALU_DEP_2)
	v_dual_cndmask_b32 v52, v52, v12 :: v_dual_cndmask_b32 v59, v59, v63
	v_cndmask_b32_e64 v3, 1, v58, s0
	v_cmp_ne_u32_e64 s0, 5, v6
	s_delay_alu instid0(VALU_DEP_3) | instskip(NEXT) | instid1(VALU_DEP_2)
	v_cmp_ne_u32_e64 s11, 0, v59
	v_cndmask_b32_e64 v10, 1, v57, s0
	v_cmp_eq_u32_e64 s0, 0, v64
	s_delay_alu instid0(VALU_DEP_2) | instskip(NEXT) | instid1(VALU_DEP_2)
	v_dual_cndmask_b32 v58, v58, v3 :: v_dual_cndmask_b32 v57, v57, v10
	v_cndmask_b32_e64 v11, 1, 2, s0
	v_cmp_eq_u32_e64 s0, 0, v61
	s_delay_alu instid0(VALU_DEP_3) | instskip(NEXT) | instid1(VALU_DEP_4)
	v_cmp_ne_u32_e64 s10, 0, v58
	v_cmp_ne_u32_e64 s9, 0, v57
	s_delay_alu instid0(VALU_DEP_3) | instskip(SKIP_1) | instid1(VALU_DEP_2)
	v_cndmask_b32_e64 v12, 1, 2, s0
	v_cmp_ne_u32_e64 s0, 6, v6
	v_and_b32_e32 v11, v12, v11
	s_delay_alu instid0(VALU_DEP_2) | instskip(SKIP_1) | instid1(VALU_DEP_1)
	v_cndmask_b32_e64 v60, 1, v56, s0
	v_cmp_eq_u32_e64 s0, 0, v55
	v_cndmask_b32_e64 v12, 1, 2, s0
	v_cmp_ne_u32_e64 s0, 7, v6
	s_delay_alu instid0(VALU_DEP_2) | instskip(NEXT) | instid1(VALU_DEP_2)
	v_and_b32_e32 v11, v11, v12
	v_cndmask_b32_e64 v63, 1, v54, s0
	v_cmp_ne_u32_e64 s0, 8, v6
	v_cmp_ne_u32_e64 s14, 0, v64
	s_delay_alu instid0(VALU_DEP_2) | instskip(SKIP_1) | instid1(VALU_DEP_2)
	v_cndmask_b32_e64 v65, 1, v53, s0
	v_cmp_eq_u32_e64 s0, 0, v59
	v_dual_cndmask_b32 v56, v56, v60 :: v_dual_cndmask_b32 v53, v53, v65
	s_delay_alu instid0(VALU_DEP_2) | instskip(SKIP_1) | instid1(VALU_DEP_3)
	v_cndmask_b32_e64 v12, 1, 2, s0
	v_cmp_ne_u32_e64 s0, 9, v6
	v_cmp_ne_u32_e64 s8, 0, v56
	s_delay_alu instid0(VALU_DEP_4) | instskip(NEXT) | instid1(VALU_DEP_4)
	v_cmp_ne_u32_e64 s6, 0, v53
	v_and_b32_e32 v10, v11, v12
	s_delay_alu instid0(VALU_DEP_4) | instskip(SKIP_2) | instid1(VALU_DEP_3)
	v_cndmask_b32_e64 v3, 1, v51, s0
	v_cmp_eq_u32_e64 s0, 0, v58
	v_cmp_ne_u32_e64 s12, 0, v55
	v_cndmask_b32_e32 v51, v51, v3, vcc_lo
	s_delay_alu instid0(VALU_DEP_3) | instskip(SKIP_1) | instid1(VALU_DEP_3)
	v_cndmask_b32_e64 v11, 1, 2, s0
	v_cmp_ne_u32_e64 s0, 10, v6
	v_cmp_ne_u32_e64 s5, 0, v51
	s_delay_alu instid0(VALU_DEP_3) | instskip(NEXT) | instid1(VALU_DEP_3)
	v_and_b32_e32 v10, v10, v11
	v_cndmask_b32_e64 v12, 1, v50, s0
	v_cmp_ne_u32_e64 s0, 12, v6
	s_delay_alu instid0(VALU_DEP_2) | instskip(NEXT) | instid1(VALU_DEP_2)
	v_cndmask_b32_e32 v50, v50, v12, vcc_lo
	v_cndmask_b32_e64 v66, 1, v48, s0
	v_cmp_eq_u32_e64 s0, 0, v57
	s_delay_alu instid0(VALU_DEP_3) | instskip(NEXT) | instid1(VALU_DEP_3)
	v_cmp_ne_u32_e64 s4, 0, v50
	v_cndmask_b32_e32 v48, v48, v66, vcc_lo
	s_delay_alu instid0(VALU_DEP_3) | instskip(SKIP_1) | instid1(VALU_DEP_3)
	v_cndmask_b32_e64 v11, 1, 2, s0
	v_cmp_ne_u32_e64 s0, 13, v6
	v_cmp_ne_u32_e64 s2, 0, v48
	s_delay_alu instid0(VALU_DEP_2) | instskip(SKIP_1) | instid1(VALU_DEP_2)
	v_cndmask_b32_e64 v60, 1, v47, s0
	v_cmp_eq_u32_e64 s0, 0, v56
	v_dual_cndmask_b32 v47, v47, v60 :: v_dual_and_b32 v10, v10, v11
	s_delay_alu instid0(VALU_DEP_2) | instskip(SKIP_1) | instid1(VALU_DEP_3)
	v_cndmask_b32_e64 v11, 1, 2, s0
	v_cmp_ne_u32_e64 s0, 11, v6
	v_cmp_ne_u32_e64 s1, 0, v47
	s_delay_alu instid0(VALU_DEP_3) | instskip(NEXT) | instid1(VALU_DEP_3)
	v_and_b32_e32 v10, v10, v11
	v_cndmask_b32_e64 v6, 1, v49, s0
	s_delay_alu instid0(VALU_DEP_1) | instskip(NEXT) | instid1(VALU_DEP_1)
	v_dual_cndmask_b32 v54, v54, v63 :: v_dual_cndmask_b32 v49, v49, v6
	v_cmp_eq_u32_e64 s0, 0, v54
	v_cmp_eq_u32_e32 vcc_lo, 0, v53
	v_cmp_ne_u32_e64 s7, 0, v54
	s_delay_alu instid0(VALU_DEP_4) | instskip(NEXT) | instid1(VALU_DEP_4)
	v_cmp_ne_u32_e64 s3, 0, v49
	v_cndmask_b32_e64 v11, 1, 2, s0
	v_cndmask_b32_e64 v6, 1, 2, vcc_lo
	v_cmp_ne_u32_e64 s0, 0, v52
	s_delay_alu instid0(VALU_DEP_3) | instskip(SKIP_3) | instid1(VALU_DEP_4)
	v_and_b32_e32 v3, v10, v11
	v_add_co_u32 v10, vcc_lo, s28, v45
	v_add_co_ci_u32_e32 v11, vcc_lo, s29, v46, vcc_lo
	v_cmp_eq_u32_e32 vcc_lo, 0, v51
	v_and_b32_e32 v3, v3, v6
	v_cndmask_b32_e64 v6, 1, 2, vcc_lo
	v_add_co_u32 v10, vcc_lo, v10, v8
	v_add_co_ci_u32_e32 v11, vcc_lo, v11, v9, vcc_lo
	v_lshlrev_b32_e32 v8, 1, v2
	v_cmp_eq_u32_e32 vcc_lo, 0, v50
	v_and_b32_e32 v3, v3, v6
	v_cndmask_b32_e64 v6, 1, 2, vcc_lo
	s_delay_alu instid0(VALU_DEP_4) | instskip(SKIP_2) | instid1(VALU_DEP_4)
	v_add_co_u32 v8, vcc_lo, v8, v10
	v_add_co_ci_u32_e32 v9, vcc_lo, 0, v11, vcc_lo
	v_cmp_eq_u32_e32 vcc_lo, 0, v49
	v_and_b32_e32 v45, v3, v6
	v_add_nc_u32_e32 v3, v7, v2
	v_cndmask_b32_e64 v46, 1, 2, vcc_lo
	v_add_co_u32 v6, vcc_lo, v8, -2
	v_add_co_ci_u32_e32 v12, vcc_lo, -1, v9, vcc_lo
	v_cmp_eq_u32_e32 vcc_lo, 0, v48
	s_delay_alu instid0(VALU_DEP_4) | instskip(SKIP_2) | instid1(VALU_DEP_2)
	v_and_b32_e32 v8, v45, v46
	v_cndmask_b32_e64 v9, 1, 2, vcc_lo
	v_cmp_eq_u32_e32 vcc_lo, 0, v47
	v_and_b32_e32 v8, v8, v9
	v_cndmask_b32_e64 v9, 1, 2, vcc_lo
	v_cmp_eq_u32_e32 vcc_lo, 0, v52
	s_delay_alu instid0(VALU_DEP_2) | instskip(SKIP_2) | instid1(VALU_DEP_2)
	v_and_b32_e32 v8, v8, v9
	v_cndmask_b32_e64 v9, 1, 2, vcc_lo
	v_cmp_gt_u32_e32 vcc_lo, 0x100, v4
	v_and_b32_e32 v8, v8, v9
	s_delay_alu instid0(VALU_DEP_1)
	v_cmp_gt_i16_e64 s15, 2, v8
	s_cbranch_vccnz .LBB659_162
; %bb.159:
	s_and_b32 vcc_lo, exec_lo, s16
	s_cbranch_vccnz .LBB659_168
.LBB659_160:
	v_cmp_eq_u32_e32 vcc_lo, 0xff, v0
	s_and_b32 s0, vcc_lo, s17
	s_delay_alu instid0(SALU_CYCLE_1)
	s_and_saveexec_b32 s1, s0
	s_cbranch_execnz .LBB659_189
.LBB659_161:
	s_nop 0
	s_sendmsg sendmsg(MSG_DEALLOC_VGPRS)
	s_endpgm
.LBB659_162:
	s_delay_alu instid0(VALU_DEP_1)
	s_and_saveexec_b32 s16, s15
	s_cbranch_execz .LBB659_167
; %bb.163:
	s_mov_b32 s18, 0
	s_mov_b32 s15, exec_lo
	v_cmpx_ne_u16_e32 1, v8
	s_xor_b32 s15, exec_lo, s15
	s_cbranch_execnz .LBB659_226
; %bb.164:
	s_and_not1_saveexec_b32 s15, s15
	s_cbranch_execnz .LBB659_242
.LBB659_165:
	s_or_b32 exec_lo, exec_lo, s15
	s_delay_alu instid0(SALU_CYCLE_1)
	s_and_b32 exec_lo, exec_lo, s18
	s_cbranch_execz .LBB659_167
.LBB659_166:
	v_sub_nc_u32_e32 v45, v15, v3
	v_mov_b32_e32 v46, 0
	s_delay_alu instid0(VALU_DEP_1) | instskip(NEXT) | instid1(VALU_DEP_1)
	v_lshlrev_b64 v[45:46], 1, v[45:46]
	v_add_co_u32 v45, vcc_lo, v6, v45
	s_delay_alu instid0(VALU_DEP_2)
	v_add_co_ci_u32_e32 v46, vcc_lo, v12, v46, vcc_lo
	global_store_b16 v[45:46], v16, off
.LBB659_167:
	s_or_b32 exec_lo, exec_lo, s16
	s_branch .LBB659_160
.LBB659_168:
	s_mov_b32 s15, exec_lo
	v_cmpx_gt_i16_e32 2, v8
	s_cbranch_execz .LBB659_173
; %bb.169:
	s_mov_b32 s18, 0
	s_mov_b32 s16, exec_lo
	v_cmpx_ne_u16_e32 1, v8
	s_xor_b32 s16, exec_lo, s16
	s_cbranch_execnz .LBB659_243
; %bb.170:
	s_and_not1_saveexec_b32 s0, s16
	s_cbranch_execnz .LBB659_259
.LBB659_171:
	s_or_b32 exec_lo, exec_lo, s0
	s_delay_alu instid0(SALU_CYCLE_1)
	s_and_b32 exec_lo, exec_lo, s18
	s_cbranch_execz .LBB659_173
.LBB659_172:
	v_sub_nc_u32_e32 v3, v15, v3
	s_delay_alu instid0(VALU_DEP_1)
	v_lshlrev_b32_e32 v3, 1, v3
	ds_store_b16 v3, v16
.LBB659_173:
	s_or_b32 exec_lo, exec_lo, s15
	s_delay_alu instid0(SALU_CYCLE_1)
	s_mov_b32 s1, exec_lo
	s_waitcnt lgkmcnt(0)
	s_waitcnt_vscnt null, 0x0
	s_barrier
	buffer_gl0_inv
	v_cmpx_lt_u32_e64 v0, v4
	s_cbranch_execz .LBB659_188
; %bb.174:
	v_add_nc_u32_e32 v8, v5, v1
	s_mov_b32 s0, -1
	s_mov_b32 s3, exec_lo
	s_delay_alu instid0(VALU_DEP_1) | instskip(NEXT) | instid1(VALU_DEP_1)
	v_xad_u32 v1, v0, -1, v8
	v_sub_nc_u32_e32 v3, v1, v2
	v_mov_b32_e32 v1, v0
	s_delay_alu instid0(VALU_DEP_2)
	v_cmp_gt_u32_e64 s2, 0x1b00, v3
	v_cmpx_lt_u32_e32 0x1aff, v3
	s_cbranch_execz .LBB659_185
; %bb.175:
	v_sub_nc_u32_e32 v1, v0, v8
	s_delay_alu instid0(VALU_DEP_1) | instskip(NEXT) | instid1(VALU_DEP_1)
	v_add_nc_u32_e32 v1, v1, v2
	v_or_b32_e32 v1, 0xff, v1
	s_delay_alu instid0(VALU_DEP_1)
	v_cmp_ge_u32_e32 vcc_lo, v1, v0
	v_mov_b32_e32 v1, v0
	s_and_saveexec_b32 s4, vcc_lo
	s_cbranch_execz .LBB659_184
; %bb.176:
	v_lshrrev_b32_e32 v15, 8, v3
	v_or_b32_e32 v1, 0x100, v0
	v_lshlrev_b32_e32 v16, 1, v0
	s_delay_alu instid0(VALU_DEP_3) | instskip(NEXT) | instid1(VALU_DEP_1)
	v_add_nc_u32_e32 v2, -1, v15
	v_lshrrev_b32_e32 v3, 1, v2
	v_mov_b32_e32 v20, 0
	v_cmp_lt_u32_e32 vcc_lo, 13, v2
	s_delay_alu instid0(VALU_DEP_3)
	v_add_nc_u32_e32 v17, 1, v3
	v_dual_mov_b32 v3, v1 :: v_dual_mov_b32 v2, v0
	s_and_saveexec_b32 s0, vcc_lo
	s_cbranch_execz .LBB659_180
; %bb.177:
	s_delay_alu instid0(VALU_DEP_2)
	v_dual_mov_b32 v9, 0 :: v_dual_and_b32 v18, -8, v17
	v_mov_b32_e32 v19, v16
	v_dual_mov_b32 v3, v1 :: v_dual_mov_b32 v2, v0
	s_mov_b32 s5, 0
	s_mov_b32 s6, 0
.LBB659_178:                            ; =>This Inner Loop Header: Depth=1
	s_delay_alu instid0(VALU_DEP_1) | instskip(SKIP_2) | instid1(VALU_DEP_3)
	v_dual_mov_b32 v8, v2 :: v_dual_add_nc_u32 v21, 0x200, v3
	v_add_nc_u32_e32 v18, -8, v18
	v_dual_mov_b32 v22, v9 :: v_dual_add_nc_u32 v23, 0x400, v3
	v_lshlrev_b64 v[35:36], 1, v[8:9]
	v_dual_mov_b32 v24, v9 :: v_dual_add_nc_u32 v25, 0x600, v3
	s_delay_alu instid0(VALU_DEP_4) | instskip(NEXT) | instid1(VALU_DEP_4)
	v_cmp_eq_u32_e32 vcc_lo, 0, v18
	v_lshlrev_b64 v[21:22], 1, v[21:22]
	v_dual_mov_b32 v26, v9 :: v_dual_add_nc_u32 v27, 0x800, v3
	s_add_i32 s6, s6, 16
	v_lshlrev_b64 v[23:24], 1, v[23:24]
	s_or_b32 s5, vcc_lo, s5
	v_add_co_u32 v35, vcc_lo, v6, v35
	v_dual_mov_b32 v28, v9 :: v_dual_add_nc_u32 v29, 0xa00, v3
	v_add_co_ci_u32_e32 v36, vcc_lo, v12, v36, vcc_lo
	v_lshlrev_b64 v[25:26], 1, v[25:26]
	v_add_co_u32 v21, vcc_lo, v6, v21
	v_dual_mov_b32 v30, v9 :: v_dual_add_nc_u32 v31, 0xc00, v3
	v_add_co_ci_u32_e32 v22, vcc_lo, v12, v22, vcc_lo
	v_lshlrev_b64 v[27:28], 1, v[27:28]
	;; [unrolled: 4-line block ×3, first 2 shown]
	v_add_co_u32 v25, vcc_lo, v6, v25
	v_mov_b32_e32 v34, v9
	v_mov_b32_e32 v8, v3
	v_add_co_ci_u32_e32 v26, vcc_lo, v12, v26, vcc_lo
	v_lshlrev_b64 v[31:32], 1, v[31:32]
	v_add_co_u32 v27, vcc_lo, v6, v27
	ds_load_u16 v1, v19
	ds_load_u16 v41, v19 offset:512
	ds_load_u16 v42, v19 offset:1024
	;; [unrolled: 1-line block ×7, first 2 shown]
	v_add_co_ci_u32_e32 v28, vcc_lo, v12, v28, vcc_lo
	ds_load_u16 v48, v19 offset:4096
	ds_load_u16 v49, v19 offset:4608
	;; [unrolled: 1-line block ×8, first 2 shown]
	v_add_nc_u32_e32 v19, 0x2000, v19
	v_lshlrev_b64 v[33:34], 1, v[33:34]
	v_add_co_u32 v29, vcc_lo, v6, v29
	v_lshlrev_b64 v[37:38], 1, v[8:9]
	v_add_nc_u32_e32 v8, 0x200, v2
	v_add_co_ci_u32_e32 v30, vcc_lo, v12, v30, vcc_lo
	v_add_co_u32 v31, vcc_lo, v6, v31
	v_add_co_ci_u32_e32 v32, vcc_lo, v12, v32, vcc_lo
	v_add_co_u32 v33, vcc_lo, v6, v33
	v_lshlrev_b64 v[39:40], 1, v[8:9]
	v_add_nc_u32_e32 v8, 0x400, v2
	v_add_co_ci_u32_e32 v34, vcc_lo, v12, v34, vcc_lo
	v_add_co_u32 v37, vcc_lo, v6, v37
	v_add_co_ci_u32_e32 v38, vcc_lo, v12, v38, vcc_lo
	s_waitcnt lgkmcnt(15)
	global_store_b16 v[35:36], v1, off
	v_lshlrev_b64 v[35:36], 1, v[8:9]
	v_add_nc_u32_e32 v8, 0x600, v2
	v_add_co_u32 v39, vcc_lo, v6, v39
	v_add_co_ci_u32_e32 v40, vcc_lo, v12, v40, vcc_lo
	s_waitcnt lgkmcnt(14)
	global_store_b16 v[37:38], v41, off
	v_lshlrev_b64 v[37:38], 1, v[8:9]
	v_add_nc_u32_e32 v8, 0x800, v2
	s_waitcnt lgkmcnt(13)
	global_store_b16 v[39:40], v42, off
	s_waitcnt lgkmcnt(12)
	global_store_b16 v[21:22], v43, off
	v_add_co_u32 v21, vcc_lo, v6, v35
	v_add_co_ci_u32_e32 v22, vcc_lo, v12, v36, vcc_lo
	v_lshlrev_b64 v[35:36], 1, v[8:9]
	v_add_nc_u32_e32 v8, 0xa00, v2
	v_add_co_u32 v37, vcc_lo, v6, v37
	v_add_co_ci_u32_e32 v38, vcc_lo, v12, v38, vcc_lo
	s_waitcnt lgkmcnt(11)
	global_store_b16 v[21:22], v44, off
	s_waitcnt lgkmcnt(10)
	global_store_b16 v[23:24], v45, off
	v_lshlrev_b64 v[21:22], 1, v[8:9]
	v_add_nc_u32_e32 v8, 0xc00, v2
	v_add_co_u32 v23, vcc_lo, v6, v35
	s_waitcnt lgkmcnt(9)
	global_store_b16 v[37:38], v46, off
	s_waitcnt lgkmcnt(8)
	global_store_b16 v[25:26], v47, off
	v_add_co_ci_u32_e32 v24, vcc_lo, v12, v36, vcc_lo
	v_lshlrev_b64 v[25:26], 1, v[8:9]
	v_add_nc_u32_e32 v8, 0xe00, v2
	v_add_co_u32 v21, vcc_lo, v6, v21
	v_add_co_ci_u32_e32 v22, vcc_lo, v12, v22, vcc_lo
	s_waitcnt lgkmcnt(7)
	global_store_b16 v[23:24], v48, off
	s_waitcnt lgkmcnt(6)
	global_store_b16 v[27:28], v49, off
	v_lshlrev_b64 v[23:24], 1, v[8:9]
	v_dual_mov_b32 v20, s6 :: v_dual_add_nc_u32 v3, 0x1000, v3
	s_waitcnt lgkmcnt(5)
	global_store_b16 v[21:22], v50, off
	v_add_co_u32 v21, vcc_lo, v6, v25
	v_add_nc_u32_e32 v2, 0x1000, v2
	v_add_co_ci_u32_e32 v22, vcc_lo, v12, v26, vcc_lo
	v_add_co_u32 v23, vcc_lo, v6, v23
	v_add_co_ci_u32_e32 v24, vcc_lo, v12, v24, vcc_lo
	s_waitcnt lgkmcnt(4)
	global_store_b16 v[29:30], v51, off
	s_waitcnt lgkmcnt(3)
	global_store_b16 v[21:22], v52, off
	;; [unrolled: 2-line block ×5, first 2 shown]
	s_and_not1_b32 exec_lo, exec_lo, s5
	s_cbranch_execnz .LBB659_178
; %bb.179:
	s_or_b32 exec_lo, exec_lo, s5
.LBB659_180:
	s_delay_alu instid0(SALU_CYCLE_1) | instskip(SKIP_3) | instid1(VALU_DEP_1)
	s_or_b32 exec_lo, exec_lo, s0
	v_and_b32_e32 v1, 7, v17
	s_mov_b32 s6, 0
	s_mov_b32 s5, exec_lo
	v_cmpx_ne_u32_e32 0, v1
	s_cbranch_execz .LBB659_183
; %bb.181:
	v_lshl_or_b32 v16, v20, 9, v16
	v_mov_b32_e32 v9, 0
	s_set_inst_prefetch_distance 0x1
	.p2align	6
.LBB659_182:                            ; =>This Inner Loop Header: Depth=1
	v_dual_mov_b32 v8, v2 :: v_dual_add_nc_u32 v1, -1, v1
	ds_load_u16 v21, v16
	ds_load_u16 v22, v16 offset:512
	v_add_nc_u32_e32 v2, 0x200, v2
	v_add_nc_u32_e32 v16, 0x400, v16
	v_lshlrev_b64 v[17:18], 1, v[8:9]
	v_dual_mov_b32 v8, v3 :: v_dual_add_nc_u32 v3, 0x200, v3
	v_cmp_eq_u32_e32 vcc_lo, 0, v1
	s_delay_alu instid0(VALU_DEP_2) | instskip(NEXT) | instid1(VALU_DEP_4)
	v_lshlrev_b64 v[19:20], 1, v[8:9]
	v_add_co_u32 v17, s0, v6, v17
	s_delay_alu instid0(VALU_DEP_1) | instskip(SKIP_1) | instid1(VALU_DEP_3)
	v_add_co_ci_u32_e64 v18, s0, v12, v18, s0
	s_or_b32 s6, vcc_lo, s6
	v_add_co_u32 v19, s0, v6, v19
	s_delay_alu instid0(VALU_DEP_1)
	v_add_co_ci_u32_e64 v20, s0, v12, v20, s0
	s_waitcnt lgkmcnt(1)
	global_store_b16 v[17:18], v21, off
	s_waitcnt lgkmcnt(0)
	global_store_b16 v[19:20], v22, off
	s_and_not1_b32 exec_lo, exec_lo, s6
	s_cbranch_execnz .LBB659_182
.LBB659_183:
	s_set_inst_prefetch_distance 0x2
	s_or_b32 exec_lo, exec_lo, s5
	v_add_nc_u32_e32 v1, 1, v15
	s_delay_alu instid0(VALU_DEP_1) | instskip(NEXT) | instid1(VALU_DEP_1)
	v_and_b32_e32 v2, 0x1fffffe, v1
	v_cmp_ne_u32_e32 vcc_lo, v1, v2
	v_lshl_or_b32 v1, v2, 8, v0
	s_or_not1_b32 s0, vcc_lo, exec_lo
.LBB659_184:
	s_or_b32 exec_lo, exec_lo, s4
	s_delay_alu instid0(SALU_CYCLE_1) | instskip(SKIP_1) | instid1(SALU_CYCLE_1)
	s_and_not1_b32 s2, s2, exec_lo
	s_and_b32 s0, s0, exec_lo
	s_or_b32 s2, s2, s0
.LBB659_185:
	s_or_b32 exec_lo, exec_lo, s3
	s_delay_alu instid0(VALU_DEP_2) | instid1(SALU_CYCLE_1)
	s_and_b32 exec_lo, exec_lo, s2
	s_cbranch_execz .LBB659_188
; %bb.186:
	v_dual_mov_b32 v2, 0 :: v_dual_lshlrev_b32 v3, 1, v1
	s_mov_b32 s2, 0
	.p2align	6
.LBB659_187:                            ; =>This Inner Loop Header: Depth=1
	ds_load_u16 v15, v3
	v_lshlrev_b64 v[8:9], 1, v[1:2]
	v_add_nc_u32_e32 v1, 0x100, v1
	v_add_nc_u32_e32 v3, 0x200, v3
	s_delay_alu instid0(VALU_DEP_2) | instskip(NEXT) | instid1(VALU_DEP_4)
	v_cmp_ge_u32_e32 vcc_lo, v1, v4
	v_add_co_u32 v8, s0, v6, v8
	s_delay_alu instid0(VALU_DEP_1)
	v_add_co_ci_u32_e64 v9, s0, v12, v9, s0
	s_or_b32 s2, vcc_lo, s2
	s_waitcnt lgkmcnt(0)
	global_store_b16 v[8:9], v15, off
	s_and_not1_b32 exec_lo, exec_lo, s2
	s_cbranch_execnz .LBB659_187
.LBB659_188:
	s_or_b32 exec_lo, exec_lo, s1
	v_cmp_eq_u32_e32 vcc_lo, 0xff, v0
	s_and_b32 s0, vcc_lo, s17
	s_delay_alu instid0(SALU_CYCLE_1)
	s_and_saveexec_b32 s1, s0
	s_cbranch_execz .LBB659_161
.LBB659_189:
	v_add_co_u32 v0, s0, v5, v7
	s_delay_alu instid0(VALU_DEP_1) | instskip(SKIP_1) | instid1(VALU_DEP_3)
	v_add_co_ci_u32_e64 v1, null, 0, 0, s0
	v_mov_b32_e32 v6, 0
	v_add_co_u32 v0, vcc_lo, v0, v13
	s_delay_alu instid0(VALU_DEP_3)
	v_add_co_ci_u32_e32 v1, vcc_lo, v1, v14, vcc_lo
	s_cmpk_lg_i32 s26, 0xf00
	global_store_b64 v6, v[0:1], s[30:31]
	s_cbranch_scc1 .LBB659_161
; %bb.190:
	v_lshlrev_b64 v[0:1], 1, v[5:6]
	s_delay_alu instid0(VALU_DEP_1) | instskip(NEXT) | instid1(VALU_DEP_2)
	v_add_co_u32 v0, vcc_lo, v10, v0
	v_add_co_ci_u32_e32 v1, vcc_lo, v11, v1, vcc_lo
	global_store_b16 v[0:1], v62, off offset:-2
	s_nop 0
	s_sendmsg sendmsg(MSG_DEALLOC_VGPRS)
	s_endpgm
.LBB659_191:
	s_or_b32 exec_lo, exec_lo, s1
	v_mov_b32_e32 v63, s7
	s_and_saveexec_b32 s1, s16
	s_cbranch_execnz .LBB659_88
	s_branch .LBB659_89
.LBB659_192:
	s_and_saveexec_b32 s19, s15
	s_cbranch_execnz .LBB659_260
; %bb.193:
	s_or_b32 exec_lo, exec_lo, s19
	s_and_saveexec_b32 s19, s14
	s_cbranch_execnz .LBB659_261
.LBB659_194:
	s_or_b32 exec_lo, exec_lo, s19
	s_and_saveexec_b32 s19, s13
	s_cbranch_execnz .LBB659_262
.LBB659_195:
	s_or_b32 exec_lo, exec_lo, s19
	s_and_saveexec_b32 s19, s12
	s_cbranch_execnz .LBB659_263
.LBB659_196:
	s_or_b32 exec_lo, exec_lo, s19
	s_and_saveexec_b32 s19, s11
	s_cbranch_execnz .LBB659_264
.LBB659_197:
	s_or_b32 exec_lo, exec_lo, s19
	s_and_saveexec_b32 s19, s10
	s_cbranch_execnz .LBB659_265
.LBB659_198:
	s_or_b32 exec_lo, exec_lo, s19
	s_and_saveexec_b32 s19, s8
	s_cbranch_execnz .LBB659_266
.LBB659_199:
	s_or_b32 exec_lo, exec_lo, s19
	s_and_saveexec_b32 s19, s6
	s_cbranch_execnz .LBB659_267
.LBB659_200:
	s_or_b32 exec_lo, exec_lo, s19
	s_and_saveexec_b32 s19, s9
	s_cbranch_execnz .LBB659_268
.LBB659_201:
	s_or_b32 exec_lo, exec_lo, s19
	s_and_saveexec_b32 s19, s7
	s_cbranch_execnz .LBB659_269
.LBB659_202:
	s_or_b32 exec_lo, exec_lo, s19
	s_and_saveexec_b32 s19, s5
	s_cbranch_execnz .LBB659_270
.LBB659_203:
	s_or_b32 exec_lo, exec_lo, s19
	s_and_saveexec_b32 s19, s4
	s_cbranch_execnz .LBB659_271
.LBB659_204:
	s_or_b32 exec_lo, exec_lo, s19
	s_and_saveexec_b32 s19, s3
	s_cbranch_execnz .LBB659_272
.LBB659_205:
	s_or_b32 exec_lo, exec_lo, s19
	s_and_saveexec_b32 s19, s1
	s_cbranch_execz .LBB659_207
.LBB659_206:
	v_sub_nc_u32_e32 v66, v23, v7
	v_mov_b32_e32 v67, 0
	s_delay_alu instid0(VALU_DEP_1) | instskip(NEXT) | instid1(VALU_DEP_1)
	v_lshlrev_b64 v[66:67], 1, v[66:67]
	v_add_co_u32 v66, vcc_lo, v6, v66
	s_delay_alu instid0(VALU_DEP_2)
	v_add_co_ci_u32_e32 v67, vcc_lo, v64, v67, vcc_lo
	global_store_b16 v[66:67], v12, off
.LBB659_207:
	s_or_b32 exec_lo, exec_lo, s19
	s_delay_alu instid0(SALU_CYCLE_1)
	s_and_b32 s19, s0, exec_lo
	s_and_not1_saveexec_b32 s16, s16
	s_cbranch_execz .LBB659_133
.LBB659_208:
	v_sub_nc_u32_e32 v66, v41, v7
	v_mov_b32_e32 v67, 0
	s_or_b32 s19, s19, exec_lo
	s_delay_alu instid0(VALU_DEP_1) | instskip(SKIP_1) | instid1(VALU_DEP_1)
	v_lshlrev_b64 v[68:69], 1, v[66:67]
	v_sub_nc_u32_e32 v66, v37, v7
	v_lshlrev_b64 v[70:71], 1, v[66:67]
	v_sub_nc_u32_e32 v66, v35, v7
	s_delay_alu instid0(VALU_DEP_4) | instskip(SKIP_1) | instid1(VALU_DEP_3)
	v_add_co_u32 v68, vcc_lo, v6, v68
	v_add_co_ci_u32_e32 v69, vcc_lo, v64, v69, vcc_lo
	v_lshlrev_b64 v[72:73], 1, v[66:67]
	v_sub_nc_u32_e32 v66, v33, v7
	v_add_co_u32 v70, vcc_lo, v6, v70
	v_add_co_ci_u32_e32 v71, vcc_lo, v64, v71, vcc_lo
	global_store_b16 v[68:69], v55, off
	v_lshlrev_b64 v[68:69], 1, v[66:67]
	v_sub_nc_u32_e32 v66, v21, v7
	global_store_b16 v[70:71], v1, off
	v_add_co_u32 v70, vcc_lo, v6, v72
	v_add_co_ci_u32_e32 v71, vcc_lo, v64, v73, vcc_lo
	v_lshlrev_b64 v[72:73], 1, v[66:67]
	v_sub_nc_u32_e32 v66, v19, v7
	v_add_co_u32 v68, vcc_lo, v6, v68
	v_add_co_ci_u32_e32 v69, vcc_lo, v64, v69, vcc_lo
	s_delay_alu instid0(VALU_DEP_3) | instskip(SKIP_3) | instid1(VALU_DEP_3)
	v_lshlrev_b64 v[74:75], 1, v[66:67]
	v_sub_nc_u32_e32 v66, v17, v7
	v_add_co_u32 v72, vcc_lo, v6, v72
	v_add_co_ci_u32_e32 v73, vcc_lo, v64, v73, vcc_lo
	v_lshlrev_b64 v[76:77], 1, v[66:67]
	v_sub_nc_u32_e32 v66, v39, v7
	v_add_co_u32 v74, vcc_lo, v6, v74
	v_add_co_ci_u32_e32 v75, vcc_lo, v64, v75, vcc_lo
	s_clause 0x3
	global_store_d16_hi_b16 v[70:71], v1, off
	global_store_b16 v[68:69], v2, off
	global_store_d16_hi_b16 v[72:73], v2, off
	global_store_b16 v[74:75], v3, off
	v_lshlrev_b64 v[68:69], 1, v[66:67]
	v_sub_nc_u32_e32 v66, v43, v7
	v_add_co_u32 v70, vcc_lo, v6, v76
	v_add_co_ci_u32_e32 v71, vcc_lo, v64, v77, vcc_lo
	s_delay_alu instid0(VALU_DEP_3) | instskip(SKIP_3) | instid1(VALU_DEP_3)
	v_lshlrev_b64 v[72:73], 1, v[66:67]
	v_sub_nc_u32_e32 v66, v31, v7
	v_add_co_u32 v68, vcc_lo, v6, v68
	v_add_co_ci_u32_e32 v69, vcc_lo, v64, v69, vcc_lo
	v_lshlrev_b64 v[74:75], 1, v[66:67]
	v_sub_nc_u32_e32 v66, v29, v7
	v_add_co_u32 v72, vcc_lo, v6, v72
	v_add_co_ci_u32_e32 v73, vcc_lo, v64, v73, vcc_lo
	s_delay_alu instid0(VALU_DEP_3)
	v_lshlrev_b64 v[76:77], 1, v[66:67]
	v_sub_nc_u32_e32 v66, v25, v7
	v_add_co_u32 v74, vcc_lo, v6, v74
	v_add_co_ci_u32_e32 v75, vcc_lo, v64, v75, vcc_lo
	s_clause 0x3
	global_store_d16_hi_b16 v[70:71], v3, off
	global_store_b16 v[68:69], v4, off
	global_store_d16_hi_b16 v[72:73], v4, off
	global_store_b16 v[74:75], v10, off
	v_lshlrev_b64 v[68:69], 1, v[66:67]
	v_sub_nc_u32_e32 v66, v27, v7
	v_add_co_u32 v70, vcc_lo, v6, v76
	v_add_co_ci_u32_e32 v71, vcc_lo, v64, v77, vcc_lo
	s_delay_alu instid0(VALU_DEP_3) | instskip(SKIP_3) | instid1(VALU_DEP_3)
	v_lshlrev_b64 v[72:73], 1, v[66:67]
	v_sub_nc_u32_e32 v66, v23, v7
	v_add_co_u32 v68, vcc_lo, v6, v68
	v_add_co_ci_u32_e32 v69, vcc_lo, v64, v69, vcc_lo
	v_lshlrev_b64 v[66:67], 1, v[66:67]
	v_add_co_u32 v72, vcc_lo, v6, v72
	v_add_co_ci_u32_e32 v73, vcc_lo, v64, v73, vcc_lo
	s_clause 0x2
	global_store_d16_hi_b16 v[70:71], v10, off
	global_store_b16 v[68:69], v11, off
	global_store_d16_hi_b16 v[72:73], v11, off
	v_add_co_u32 v66, vcc_lo, v6, v66
	v_add_co_ci_u32_e32 v67, vcc_lo, v64, v67, vcc_lo
	global_store_b16 v[66:67], v12, off
	s_or_b32 exec_lo, exec_lo, s16
	s_delay_alu instid0(SALU_CYCLE_1)
	s_and_b32 exec_lo, exec_lo, s19
	s_cbranch_execnz .LBB659_134
	s_branch .LBB659_135
.LBB659_209:
	s_and_saveexec_b32 s19, s15
	s_cbranch_execnz .LBB659_273
; %bb.210:
	s_or_b32 exec_lo, exec_lo, s19
	s_and_saveexec_b32 s15, s14
	s_cbranch_execnz .LBB659_274
.LBB659_211:
	s_or_b32 exec_lo, exec_lo, s15
	s_and_saveexec_b32 s14, s13
	s_cbranch_execnz .LBB659_275
.LBB659_212:
	s_or_b32 exec_lo, exec_lo, s14
	s_and_saveexec_b32 s13, s12
	s_cbranch_execnz .LBB659_276
.LBB659_213:
	s_or_b32 exec_lo, exec_lo, s13
	s_and_saveexec_b32 s12, s11
	s_cbranch_execnz .LBB659_277
.LBB659_214:
	s_or_b32 exec_lo, exec_lo, s12
	s_and_saveexec_b32 s11, s10
	s_cbranch_execnz .LBB659_278
.LBB659_215:
	s_or_b32 exec_lo, exec_lo, s11
	s_and_saveexec_b32 s10, s8
	s_cbranch_execnz .LBB659_279
.LBB659_216:
	s_or_b32 exec_lo, exec_lo, s10
	s_and_saveexec_b32 s8, s6
	s_cbranch_execnz .LBB659_280
.LBB659_217:
	s_or_b32 exec_lo, exec_lo, s8
	s_and_saveexec_b32 s6, s9
	s_cbranch_execnz .LBB659_281
.LBB659_218:
	s_or_b32 exec_lo, exec_lo, s6
	s_and_saveexec_b32 s6, s7
	s_cbranch_execnz .LBB659_282
.LBB659_219:
	s_or_b32 exec_lo, exec_lo, s6
	s_and_saveexec_b32 s6, s5
	s_cbranch_execnz .LBB659_283
.LBB659_220:
	s_or_b32 exec_lo, exec_lo, s6
	s_and_saveexec_b32 s5, s4
	s_cbranch_execnz .LBB659_284
.LBB659_221:
	s_or_b32 exec_lo, exec_lo, s5
	s_and_saveexec_b32 s4, s3
	s_cbranch_execnz .LBB659_285
.LBB659_222:
	s_or_b32 exec_lo, exec_lo, s4
	s_and_saveexec_b32 s3, s1
	s_cbranch_execz .LBB659_224
.LBB659_223:
	v_sub_nc_u32_e32 v1, v23, v7
	s_delay_alu instid0(VALU_DEP_1)
	v_lshlrev_b32_e32 v1, 1, v1
	ds_store_b16 v1, v12
.LBB659_224:
	s_or_b32 exec_lo, exec_lo, s3
	s_delay_alu instid0(SALU_CYCLE_1)
	s_and_b32 s19, s0, exec_lo
                                        ; implicit-def: $vgpr55
                                        ; implicit-def: $vgpr1
	s_and_not1_saveexec_b32 s0, s18
	s_cbranch_execz .LBB659_140
.LBB659_225:
	v_sub_nc_u32_e32 v65, v41, v7
	v_sub_nc_u32_e32 v66, v37, v7
	;; [unrolled: 1-line block ×4, first 2 shown]
	s_or_b32 s19, s19, exec_lo
	v_lshlrev_b32_e32 v65, 1, v65
	v_lshlrev_b32_e32 v66, 1, v66
	;; [unrolled: 1-line block ×4, first 2 shown]
	ds_store_b16 v65, v55
	ds_store_b16 v66, v1
	ds_store_b16_d16_hi v67, v1
	v_sub_nc_u32_e32 v1, v21, v7
	v_sub_nc_u32_e32 v55, v19, v7
	;; [unrolled: 1-line block ×5, first 2 shown]
	v_lshlrev_b32_e32 v1, 1, v1
	ds_store_b16 v68, v2
	v_lshlrev_b32_e32 v55, 1, v55
	v_lshlrev_b32_e32 v65, 1, v65
	;; [unrolled: 1-line block ×3, first 2 shown]
	ds_store_b16_d16_hi v1, v2
	v_lshlrev_b32_e32 v1, 1, v67
	v_sub_nc_u32_e32 v2, v31, v7
	ds_store_b16 v55, v3
	ds_store_b16_d16_hi v65, v3
	ds_store_b16 v66, v4
	v_sub_nc_u32_e32 v55, v23, v7
	v_sub_nc_u32_e32 v3, v25, v7
	ds_store_b16_d16_hi v1, v4
	v_sub_nc_u32_e32 v1, v29, v7
	v_lshlrev_b32_e32 v2, 1, v2
	v_sub_nc_u32_e32 v4, v27, v7
	v_lshlrev_b32_e32 v3, 1, v3
	s_delay_alu instid0(VALU_DEP_4)
	v_lshlrev_b32_e32 v1, 1, v1
	ds_store_b16 v2, v10
	v_lshlrev_b32_e32 v2, 1, v55
	v_lshlrev_b32_e32 v4, 1, v4
	ds_store_b16_d16_hi v1, v10
	ds_store_b16 v3, v11
	ds_store_b16_d16_hi v4, v11
	ds_store_b16 v2, v12
	s_or_b32 exec_lo, exec_lo, s0
	s_delay_alu instid0(SALU_CYCLE_1)
	s_and_b32 exec_lo, exec_lo, s19
	s_cbranch_execnz .LBB659_141
	s_branch .LBB659_142
.LBB659_226:
	s_and_saveexec_b32 s18, s14
	s_cbranch_execnz .LBB659_286
; %bb.227:
	s_or_b32 exec_lo, exec_lo, s18
	s_and_saveexec_b32 s18, s13
	s_cbranch_execnz .LBB659_287
.LBB659_228:
	s_or_b32 exec_lo, exec_lo, s18
	s_and_saveexec_b32 s18, s12
	s_cbranch_execnz .LBB659_288
.LBB659_229:
	s_or_b32 exec_lo, exec_lo, s18
	s_and_saveexec_b32 s18, s11
	s_cbranch_execnz .LBB659_289
.LBB659_230:
	s_or_b32 exec_lo, exec_lo, s18
	s_and_saveexec_b32 s18, s10
	s_cbranch_execnz .LBB659_290
.LBB659_231:
	s_or_b32 exec_lo, exec_lo, s18
	s_and_saveexec_b32 s18, s9
	s_cbranch_execnz .LBB659_291
.LBB659_232:
	s_or_b32 exec_lo, exec_lo, s18
	s_and_saveexec_b32 s18, s8
	s_cbranch_execnz .LBB659_292
.LBB659_233:
	s_or_b32 exec_lo, exec_lo, s18
	s_and_saveexec_b32 s18, s7
	s_cbranch_execnz .LBB659_293
.LBB659_234:
	s_or_b32 exec_lo, exec_lo, s18
	s_and_saveexec_b32 s18, s6
	s_cbranch_execnz .LBB659_294
.LBB659_235:
	s_or_b32 exec_lo, exec_lo, s18
	s_and_saveexec_b32 s18, s5
	s_cbranch_execnz .LBB659_295
.LBB659_236:
	s_or_b32 exec_lo, exec_lo, s18
	s_and_saveexec_b32 s18, s4
	s_cbranch_execnz .LBB659_296
.LBB659_237:
	s_or_b32 exec_lo, exec_lo, s18
	s_and_saveexec_b32 s18, s3
	s_cbranch_execnz .LBB659_297
.LBB659_238:
	s_or_b32 exec_lo, exec_lo, s18
	s_and_saveexec_b32 s18, s2
	s_cbranch_execnz .LBB659_298
.LBB659_239:
	s_or_b32 exec_lo, exec_lo, s18
	s_and_saveexec_b32 s18, s1
	s_cbranch_execz .LBB659_241
.LBB659_240:
	v_sub_nc_u32_e32 v45, v23, v3
	v_mov_b32_e32 v46, 0
	s_delay_alu instid0(VALU_DEP_1) | instskip(NEXT) | instid1(VALU_DEP_1)
	v_lshlrev_b64 v[45:46], 1, v[45:46]
	v_add_co_u32 v45, vcc_lo, v6, v45
	s_delay_alu instid0(VALU_DEP_2)
	v_add_co_ci_u32_e32 v46, vcc_lo, v12, v46, vcc_lo
	global_store_b16 v[45:46], v24, off
.LBB659_241:
	s_or_b32 exec_lo, exec_lo, s18
	s_delay_alu instid0(SALU_CYCLE_1)
	s_and_b32 s18, s0, exec_lo
	s_and_not1_saveexec_b32 s15, s15
	s_cbranch_execz .LBB659_165
.LBB659_242:
	v_sub_nc_u32_e32 v45, v41, v3
	v_mov_b32_e32 v46, 0
	s_or_b32 s18, s18, exec_lo
	s_delay_alu instid0(VALU_DEP_1) | instskip(SKIP_1) | instid1(VALU_DEP_1)
	v_lshlrev_b64 v[47:48], 1, v[45:46]
	v_sub_nc_u32_e32 v45, v37, v3
	v_lshlrev_b64 v[49:50], 1, v[45:46]
	v_sub_nc_u32_e32 v45, v35, v3
	s_delay_alu instid0(VALU_DEP_4) | instskip(SKIP_1) | instid1(VALU_DEP_3)
	v_add_co_u32 v47, vcc_lo, v6, v47
	v_add_co_ci_u32_e32 v48, vcc_lo, v12, v48, vcc_lo
	v_lshlrev_b64 v[51:52], 1, v[45:46]
	v_sub_nc_u32_e32 v45, v33, v3
	v_add_co_u32 v49, vcc_lo, v6, v49
	v_add_co_ci_u32_e32 v50, vcc_lo, v12, v50, vcc_lo
	global_store_b16 v[47:48], v42, off
	v_lshlrev_b64 v[47:48], 1, v[45:46]
	v_sub_nc_u32_e32 v45, v21, v3
	global_store_b16 v[49:50], v38, off
	v_add_co_u32 v49, vcc_lo, v6, v51
	v_add_co_ci_u32_e32 v50, vcc_lo, v12, v52, vcc_lo
	v_lshlrev_b64 v[51:52], 1, v[45:46]
	v_sub_nc_u32_e32 v45, v19, v3
	v_add_co_u32 v47, vcc_lo, v6, v47
	v_add_co_ci_u32_e32 v48, vcc_lo, v12, v48, vcc_lo
	s_delay_alu instid0(VALU_DEP_3) | instskip(SKIP_3) | instid1(VALU_DEP_3)
	v_lshlrev_b64 v[53:54], 1, v[45:46]
	v_sub_nc_u32_e32 v45, v17, v3
	v_add_co_u32 v51, vcc_lo, v6, v51
	v_add_co_ci_u32_e32 v52, vcc_lo, v12, v52, vcc_lo
	v_lshlrev_b64 v[55:56], 1, v[45:46]
	v_sub_nc_u32_e32 v45, v39, v3
	v_add_co_u32 v53, vcc_lo, v6, v53
	v_add_co_ci_u32_e32 v54, vcc_lo, v12, v54, vcc_lo
	s_clause 0x3
	global_store_b16 v[49:50], v36, off
	global_store_b16 v[47:48], v34, off
	;; [unrolled: 1-line block ×4, first 2 shown]
	v_lshlrev_b64 v[47:48], 1, v[45:46]
	v_sub_nc_u32_e32 v45, v43, v3
	v_add_co_u32 v49, vcc_lo, v6, v55
	v_add_co_ci_u32_e32 v50, vcc_lo, v12, v56, vcc_lo
	s_delay_alu instid0(VALU_DEP_3) | instskip(SKIP_3) | instid1(VALU_DEP_3)
	v_lshlrev_b64 v[51:52], 1, v[45:46]
	v_sub_nc_u32_e32 v45, v31, v3
	v_add_co_u32 v47, vcc_lo, v6, v47
	v_add_co_ci_u32_e32 v48, vcc_lo, v12, v48, vcc_lo
	v_lshlrev_b64 v[53:54], 1, v[45:46]
	v_sub_nc_u32_e32 v45, v29, v3
	v_add_co_u32 v51, vcc_lo, v6, v51
	v_add_co_ci_u32_e32 v52, vcc_lo, v12, v52, vcc_lo
	s_delay_alu instid0(VALU_DEP_3)
	v_lshlrev_b64 v[55:56], 1, v[45:46]
	v_sub_nc_u32_e32 v45, v25, v3
	v_add_co_u32 v53, vcc_lo, v6, v53
	v_add_co_ci_u32_e32 v54, vcc_lo, v12, v54, vcc_lo
	s_clause 0x3
	global_store_b16 v[49:50], v18, off
	global_store_b16 v[47:48], v40, off
	;; [unrolled: 1-line block ×4, first 2 shown]
	v_lshlrev_b64 v[47:48], 1, v[45:46]
	v_sub_nc_u32_e32 v45, v27, v3
	v_add_co_u32 v49, vcc_lo, v6, v55
	v_add_co_ci_u32_e32 v50, vcc_lo, v12, v56, vcc_lo
	s_delay_alu instid0(VALU_DEP_3) | instskip(SKIP_3) | instid1(VALU_DEP_3)
	v_lshlrev_b64 v[51:52], 1, v[45:46]
	v_sub_nc_u32_e32 v45, v23, v3
	v_add_co_u32 v47, vcc_lo, v6, v47
	v_add_co_ci_u32_e32 v48, vcc_lo, v12, v48, vcc_lo
	v_lshlrev_b64 v[45:46], 1, v[45:46]
	v_add_co_u32 v51, vcc_lo, v6, v51
	v_add_co_ci_u32_e32 v52, vcc_lo, v12, v52, vcc_lo
	s_clause 0x2
	global_store_b16 v[49:50], v30, off
	global_store_b16 v[47:48], v26, off
	;; [unrolled: 1-line block ×3, first 2 shown]
	v_add_co_u32 v45, vcc_lo, v6, v45
	v_add_co_ci_u32_e32 v46, vcc_lo, v12, v46, vcc_lo
	global_store_b16 v[45:46], v24, off
	s_or_b32 exec_lo, exec_lo, s15
	s_delay_alu instid0(SALU_CYCLE_1)
	s_and_b32 exec_lo, exec_lo, s18
	s_cbranch_execnz .LBB659_166
	s_branch .LBB659_167
.LBB659_243:
	s_and_saveexec_b32 s18, s14
	s_cbranch_execnz .LBB659_299
; %bb.244:
	s_or_b32 exec_lo, exec_lo, s18
	s_and_saveexec_b32 s14, s13
	s_cbranch_execnz .LBB659_300
.LBB659_245:
	s_or_b32 exec_lo, exec_lo, s14
	s_and_saveexec_b32 s13, s12
	s_cbranch_execnz .LBB659_301
.LBB659_246:
	s_or_b32 exec_lo, exec_lo, s13
	s_and_saveexec_b32 s12, s11
	s_cbranch_execnz .LBB659_302
.LBB659_247:
	s_or_b32 exec_lo, exec_lo, s12
	s_and_saveexec_b32 s11, s10
	s_cbranch_execnz .LBB659_303
.LBB659_248:
	s_or_b32 exec_lo, exec_lo, s11
	s_and_saveexec_b32 s10, s9
	s_cbranch_execnz .LBB659_304
.LBB659_249:
	s_or_b32 exec_lo, exec_lo, s10
	s_and_saveexec_b32 s9, s8
	s_cbranch_execnz .LBB659_305
.LBB659_250:
	s_or_b32 exec_lo, exec_lo, s9
	s_and_saveexec_b32 s8, s7
	s_cbranch_execnz .LBB659_306
.LBB659_251:
	s_or_b32 exec_lo, exec_lo, s8
	s_and_saveexec_b32 s7, s6
	s_cbranch_execnz .LBB659_307
.LBB659_252:
	s_or_b32 exec_lo, exec_lo, s7
	s_and_saveexec_b32 s6, s5
	s_cbranch_execnz .LBB659_308
.LBB659_253:
	s_or_b32 exec_lo, exec_lo, s6
	s_and_saveexec_b32 s5, s4
	s_cbranch_execnz .LBB659_309
.LBB659_254:
	s_or_b32 exec_lo, exec_lo, s5
	s_and_saveexec_b32 s4, s3
	s_cbranch_execnz .LBB659_310
.LBB659_255:
	s_or_b32 exec_lo, exec_lo, s4
	s_and_saveexec_b32 s3, s2
	s_cbranch_execnz .LBB659_311
.LBB659_256:
	s_or_b32 exec_lo, exec_lo, s3
	s_and_saveexec_b32 s2, s1
	s_cbranch_execz .LBB659_258
.LBB659_257:
	v_sub_nc_u32_e32 v8, v23, v3
	s_delay_alu instid0(VALU_DEP_1)
	v_lshlrev_b32_e32 v8, 1, v8
	ds_store_b16 v8, v24
.LBB659_258:
	s_or_b32 exec_lo, exec_lo, s2
	s_delay_alu instid0(SALU_CYCLE_1)
	s_and_b32 s18, s0, exec_lo
                                        ; implicit-def: $vgpr41_vgpr42
                                        ; implicit-def: $vgpr37_vgpr38
                                        ; implicit-def: $vgpr35_vgpr36
                                        ; implicit-def: $vgpr33_vgpr34
                                        ; implicit-def: $vgpr21_vgpr22
                                        ; implicit-def: $vgpr19_vgpr20
                                        ; implicit-def: $vgpr17_vgpr18
                                        ; implicit-def: $vgpr39_vgpr40
                                        ; implicit-def: $vgpr43_vgpr44
                                        ; implicit-def: $vgpr31_vgpr32
                                        ; implicit-def: $vgpr29_vgpr30
                                        ; implicit-def: $vgpr25_vgpr26
                                        ; implicit-def: $vgpr27_vgpr28
                                        ; implicit-def: $vgpr23_vgpr24
	s_and_not1_saveexec_b32 s0, s16
	s_cbranch_execz .LBB659_171
.LBB659_259:
	v_sub_nc_u32_e32 v8, v41, v3
	v_sub_nc_u32_e32 v9, v37, v3
	;; [unrolled: 1-line block ×5, first 2 shown]
	v_lshlrev_b32_e32 v8, 1, v8
	v_lshlrev_b32_e32 v9, 1, v9
	;; [unrolled: 1-line block ×5, first 2 shown]
	ds_store_b16 v8, v42
	ds_store_b16 v9, v38
	;; [unrolled: 1-line block ×3, first 2 shown]
	v_sub_nc_u32_e32 v8, v21, v3
	v_sub_nc_u32_e32 v9, v19, v3
	;; [unrolled: 1-line block ×4, first 2 shown]
	ds_store_b16 v33, v34
	v_lshlrev_b32_e32 v8, 1, v8
	v_lshlrev_b32_e32 v9, 1, v9
	;; [unrolled: 1-line block ×3, first 2 shown]
	s_or_b32 s18, s18, exec_lo
	ds_store_b16 v8, v22
	v_lshlrev_b32_e32 v8, 1, v21
	ds_store_b16 v9, v20
	ds_store_b16 v17, v18
	;; [unrolled: 1-line block ×3, first 2 shown]
	v_sub_nc_u32_e32 v9, v31, v3
	v_sub_nc_u32_e32 v19, v23, v3
	;; [unrolled: 1-line block ×3, first 2 shown]
	ds_store_b16 v8, v44
	v_sub_nc_u32_e32 v8, v29, v3
	v_lshlrev_b32_e32 v9, 1, v9
	v_sub_nc_u32_e32 v18, v27, v3
	v_lshlrev_b32_e32 v17, 1, v17
	s_delay_alu instid0(VALU_DEP_4)
	v_lshlrev_b32_e32 v8, 1, v8
	ds_store_b16 v9, v32
	v_lshlrev_b32_e32 v9, 1, v19
	v_lshlrev_b32_e32 v18, 1, v18
	ds_store_b16 v8, v30
	ds_store_b16 v17, v26
	ds_store_b16 v18, v28
	ds_store_b16 v9, v24
	s_or_b32 exec_lo, exec_lo, s0
	s_delay_alu instid0(SALU_CYCLE_1)
	s_and_b32 exec_lo, exec_lo, s18
	s_cbranch_execnz .LBB659_172
	s_branch .LBB659_173
.LBB659_260:
	v_sub_nc_u32_e32 v66, v41, v7
	v_mov_b32_e32 v67, 0
	s_delay_alu instid0(VALU_DEP_1) | instskip(NEXT) | instid1(VALU_DEP_1)
	v_lshlrev_b64 v[66:67], 1, v[66:67]
	v_add_co_u32 v66, vcc_lo, v6, v66
	s_delay_alu instid0(VALU_DEP_2)
	v_add_co_ci_u32_e32 v67, vcc_lo, v64, v67, vcc_lo
	global_store_b16 v[66:67], v55, off
	s_or_b32 exec_lo, exec_lo, s19
	s_and_saveexec_b32 s19, s14
	s_cbranch_execz .LBB659_194
.LBB659_261:
	v_sub_nc_u32_e32 v66, v37, v7
	v_mov_b32_e32 v67, 0
	s_delay_alu instid0(VALU_DEP_1) | instskip(NEXT) | instid1(VALU_DEP_1)
	v_lshlrev_b64 v[66:67], 1, v[66:67]
	v_add_co_u32 v66, vcc_lo, v6, v66
	s_delay_alu instid0(VALU_DEP_2)
	v_add_co_ci_u32_e32 v67, vcc_lo, v64, v67, vcc_lo
	global_store_b16 v[66:67], v1, off
	s_or_b32 exec_lo, exec_lo, s19
	s_and_saveexec_b32 s19, s13
	s_cbranch_execz .LBB659_195
.LBB659_262:
	v_sub_nc_u32_e32 v66, v35, v7
	v_mov_b32_e32 v67, 0
	s_delay_alu instid0(VALU_DEP_1) | instskip(NEXT) | instid1(VALU_DEP_1)
	v_lshlrev_b64 v[66:67], 1, v[66:67]
	v_add_co_u32 v66, vcc_lo, v6, v66
	s_delay_alu instid0(VALU_DEP_2)
	v_add_co_ci_u32_e32 v67, vcc_lo, v64, v67, vcc_lo
	global_store_d16_hi_b16 v[66:67], v1, off
	s_or_b32 exec_lo, exec_lo, s19
	s_and_saveexec_b32 s19, s12
	s_cbranch_execz .LBB659_196
.LBB659_263:
	v_sub_nc_u32_e32 v66, v33, v7
	v_mov_b32_e32 v67, 0
	s_delay_alu instid0(VALU_DEP_1) | instskip(NEXT) | instid1(VALU_DEP_1)
	v_lshlrev_b64 v[66:67], 1, v[66:67]
	v_add_co_u32 v66, vcc_lo, v6, v66
	s_delay_alu instid0(VALU_DEP_2)
	v_add_co_ci_u32_e32 v67, vcc_lo, v64, v67, vcc_lo
	global_store_b16 v[66:67], v2, off
	s_or_b32 exec_lo, exec_lo, s19
	s_and_saveexec_b32 s19, s11
	s_cbranch_execz .LBB659_197
.LBB659_264:
	v_sub_nc_u32_e32 v66, v21, v7
	v_mov_b32_e32 v67, 0
	s_delay_alu instid0(VALU_DEP_1) | instskip(NEXT) | instid1(VALU_DEP_1)
	v_lshlrev_b64 v[66:67], 1, v[66:67]
	v_add_co_u32 v66, vcc_lo, v6, v66
	s_delay_alu instid0(VALU_DEP_2)
	v_add_co_ci_u32_e32 v67, vcc_lo, v64, v67, vcc_lo
	global_store_d16_hi_b16 v[66:67], v2, off
	s_or_b32 exec_lo, exec_lo, s19
	s_and_saveexec_b32 s19, s10
	s_cbranch_execz .LBB659_198
.LBB659_265:
	v_sub_nc_u32_e32 v66, v19, v7
	v_mov_b32_e32 v67, 0
	s_delay_alu instid0(VALU_DEP_1) | instskip(NEXT) | instid1(VALU_DEP_1)
	v_lshlrev_b64 v[66:67], 1, v[66:67]
	v_add_co_u32 v66, vcc_lo, v6, v66
	s_delay_alu instid0(VALU_DEP_2)
	v_add_co_ci_u32_e32 v67, vcc_lo, v64, v67, vcc_lo
	global_store_b16 v[66:67], v3, off
	s_or_b32 exec_lo, exec_lo, s19
	s_and_saveexec_b32 s19, s8
	s_cbranch_execz .LBB659_199
.LBB659_266:
	v_sub_nc_u32_e32 v66, v17, v7
	v_mov_b32_e32 v67, 0
	s_delay_alu instid0(VALU_DEP_1) | instskip(NEXT) | instid1(VALU_DEP_1)
	v_lshlrev_b64 v[66:67], 1, v[66:67]
	v_add_co_u32 v66, vcc_lo, v6, v66
	s_delay_alu instid0(VALU_DEP_2)
	v_add_co_ci_u32_e32 v67, vcc_lo, v64, v67, vcc_lo
	global_store_d16_hi_b16 v[66:67], v3, off
	s_or_b32 exec_lo, exec_lo, s19
	s_and_saveexec_b32 s19, s6
	s_cbranch_execz .LBB659_200
.LBB659_267:
	v_sub_nc_u32_e32 v66, v39, v7
	v_mov_b32_e32 v67, 0
	s_delay_alu instid0(VALU_DEP_1) | instskip(NEXT) | instid1(VALU_DEP_1)
	v_lshlrev_b64 v[66:67], 1, v[66:67]
	v_add_co_u32 v66, vcc_lo, v6, v66
	s_delay_alu instid0(VALU_DEP_2)
	v_add_co_ci_u32_e32 v67, vcc_lo, v64, v67, vcc_lo
	global_store_b16 v[66:67], v4, off
	s_or_b32 exec_lo, exec_lo, s19
	s_and_saveexec_b32 s19, s9
	s_cbranch_execz .LBB659_201
.LBB659_268:
	v_sub_nc_u32_e32 v66, v43, v7
	v_mov_b32_e32 v67, 0
	s_delay_alu instid0(VALU_DEP_1) | instskip(NEXT) | instid1(VALU_DEP_1)
	v_lshlrev_b64 v[66:67], 1, v[66:67]
	v_add_co_u32 v66, vcc_lo, v6, v66
	s_delay_alu instid0(VALU_DEP_2)
	v_add_co_ci_u32_e32 v67, vcc_lo, v64, v67, vcc_lo
	global_store_d16_hi_b16 v[66:67], v4, off
	s_or_b32 exec_lo, exec_lo, s19
	s_and_saveexec_b32 s19, s7
	s_cbranch_execz .LBB659_202
.LBB659_269:
	v_sub_nc_u32_e32 v66, v31, v7
	v_mov_b32_e32 v67, 0
	s_delay_alu instid0(VALU_DEP_1) | instskip(NEXT) | instid1(VALU_DEP_1)
	v_lshlrev_b64 v[66:67], 1, v[66:67]
	v_add_co_u32 v66, vcc_lo, v6, v66
	s_delay_alu instid0(VALU_DEP_2)
	v_add_co_ci_u32_e32 v67, vcc_lo, v64, v67, vcc_lo
	global_store_b16 v[66:67], v10, off
	s_or_b32 exec_lo, exec_lo, s19
	s_and_saveexec_b32 s19, s5
	s_cbranch_execz .LBB659_203
.LBB659_270:
	v_sub_nc_u32_e32 v66, v29, v7
	v_mov_b32_e32 v67, 0
	s_delay_alu instid0(VALU_DEP_1) | instskip(NEXT) | instid1(VALU_DEP_1)
	v_lshlrev_b64 v[66:67], 1, v[66:67]
	v_add_co_u32 v66, vcc_lo, v6, v66
	s_delay_alu instid0(VALU_DEP_2)
	v_add_co_ci_u32_e32 v67, vcc_lo, v64, v67, vcc_lo
	global_store_d16_hi_b16 v[66:67], v10, off
	s_or_b32 exec_lo, exec_lo, s19
	s_and_saveexec_b32 s19, s4
	s_cbranch_execz .LBB659_204
.LBB659_271:
	v_sub_nc_u32_e32 v66, v25, v7
	v_mov_b32_e32 v67, 0
	s_delay_alu instid0(VALU_DEP_1) | instskip(NEXT) | instid1(VALU_DEP_1)
	v_lshlrev_b64 v[66:67], 1, v[66:67]
	v_add_co_u32 v66, vcc_lo, v6, v66
	s_delay_alu instid0(VALU_DEP_2)
	v_add_co_ci_u32_e32 v67, vcc_lo, v64, v67, vcc_lo
	global_store_b16 v[66:67], v11, off
	s_or_b32 exec_lo, exec_lo, s19
	s_and_saveexec_b32 s19, s3
	s_cbranch_execz .LBB659_205
.LBB659_272:
	v_sub_nc_u32_e32 v66, v27, v7
	v_mov_b32_e32 v67, 0
	s_delay_alu instid0(VALU_DEP_1) | instskip(NEXT) | instid1(VALU_DEP_1)
	v_lshlrev_b64 v[66:67], 1, v[66:67]
	v_add_co_u32 v66, vcc_lo, v6, v66
	s_delay_alu instid0(VALU_DEP_2)
	v_add_co_ci_u32_e32 v67, vcc_lo, v64, v67, vcc_lo
	global_store_d16_hi_b16 v[66:67], v11, off
	s_or_b32 exec_lo, exec_lo, s19
	s_and_saveexec_b32 s19, s1
	s_cbranch_execnz .LBB659_206
	s_branch .LBB659_207
.LBB659_273:
	v_sub_nc_u32_e32 v65, v41, v7
	s_delay_alu instid0(VALU_DEP_1)
	v_lshlrev_b32_e32 v65, 1, v65
	ds_store_b16 v65, v55
	s_or_b32 exec_lo, exec_lo, s19
	s_and_saveexec_b32 s15, s14
	s_cbranch_execz .LBB659_211
.LBB659_274:
	v_sub_nc_u32_e32 v55, v37, v7
	s_delay_alu instid0(VALU_DEP_1)
	v_lshlrev_b32_e32 v55, 1, v55
	ds_store_b16 v55, v1
	s_or_b32 exec_lo, exec_lo, s15
	s_and_saveexec_b32 s14, s13
	s_cbranch_execz .LBB659_212
.LBB659_275:
	v_sub_nc_u32_e32 v55, v35, v7
	s_delay_alu instid0(VALU_DEP_1)
	v_lshlrev_b32_e32 v55, 1, v55
	ds_store_b16_d16_hi v55, v1
	s_or_b32 exec_lo, exec_lo, s14
	s_and_saveexec_b32 s13, s12
	s_cbranch_execz .LBB659_213
.LBB659_276:
	v_sub_nc_u32_e32 v1, v33, v7
	s_delay_alu instid0(VALU_DEP_1)
	v_lshlrev_b32_e32 v1, 1, v1
	ds_store_b16 v1, v2
	s_or_b32 exec_lo, exec_lo, s13
	s_and_saveexec_b32 s12, s11
	s_cbranch_execz .LBB659_214
.LBB659_277:
	v_sub_nc_u32_e32 v1, v21, v7
	s_delay_alu instid0(VALU_DEP_1)
	v_lshlrev_b32_e32 v1, 1, v1
	ds_store_b16_d16_hi v1, v2
	s_or_b32 exec_lo, exec_lo, s12
	s_and_saveexec_b32 s11, s10
	s_cbranch_execz .LBB659_215
.LBB659_278:
	v_sub_nc_u32_e32 v1, v19, v7
	s_delay_alu instid0(VALU_DEP_1)
	v_lshlrev_b32_e32 v1, 1, v1
	ds_store_b16 v1, v3
	s_or_b32 exec_lo, exec_lo, s11
	s_and_saveexec_b32 s10, s8
	s_cbranch_execz .LBB659_216
.LBB659_279:
	v_sub_nc_u32_e32 v1, v17, v7
	s_delay_alu instid0(VALU_DEP_1)
	v_lshlrev_b32_e32 v1, 1, v1
	ds_store_b16_d16_hi v1, v3
	s_or_b32 exec_lo, exec_lo, s10
	s_and_saveexec_b32 s8, s6
	s_cbranch_execz .LBB659_217
.LBB659_280:
	v_sub_nc_u32_e32 v1, v39, v7
	s_delay_alu instid0(VALU_DEP_1)
	v_lshlrev_b32_e32 v1, 1, v1
	ds_store_b16 v1, v4
	s_or_b32 exec_lo, exec_lo, s8
	s_and_saveexec_b32 s6, s9
	s_cbranch_execz .LBB659_218
.LBB659_281:
	v_sub_nc_u32_e32 v1, v43, v7
	s_delay_alu instid0(VALU_DEP_1)
	v_lshlrev_b32_e32 v1, 1, v1
	ds_store_b16_d16_hi v1, v4
	s_or_b32 exec_lo, exec_lo, s6
	s_and_saveexec_b32 s6, s7
	s_cbranch_execz .LBB659_219
.LBB659_282:
	v_sub_nc_u32_e32 v1, v31, v7
	s_delay_alu instid0(VALU_DEP_1)
	v_lshlrev_b32_e32 v1, 1, v1
	ds_store_b16 v1, v10
	s_or_b32 exec_lo, exec_lo, s6
	s_and_saveexec_b32 s6, s5
	s_cbranch_execz .LBB659_220
.LBB659_283:
	v_sub_nc_u32_e32 v1, v29, v7
	s_delay_alu instid0(VALU_DEP_1)
	v_lshlrev_b32_e32 v1, 1, v1
	ds_store_b16_d16_hi v1, v10
	s_or_b32 exec_lo, exec_lo, s6
	s_and_saveexec_b32 s5, s4
	s_cbranch_execz .LBB659_221
.LBB659_284:
	v_sub_nc_u32_e32 v1, v25, v7
	s_delay_alu instid0(VALU_DEP_1)
	v_lshlrev_b32_e32 v1, 1, v1
	ds_store_b16 v1, v11
	s_or_b32 exec_lo, exec_lo, s5
	s_and_saveexec_b32 s4, s3
	s_cbranch_execz .LBB659_222
.LBB659_285:
	v_sub_nc_u32_e32 v1, v27, v7
	s_delay_alu instid0(VALU_DEP_1)
	v_lshlrev_b32_e32 v1, 1, v1
	ds_store_b16_d16_hi v1, v11
	s_or_b32 exec_lo, exec_lo, s4
	s_and_saveexec_b32 s3, s1
	s_cbranch_execnz .LBB659_223
	s_branch .LBB659_224
.LBB659_286:
	v_sub_nc_u32_e32 v45, v41, v3
	v_mov_b32_e32 v46, 0
	s_delay_alu instid0(VALU_DEP_1) | instskip(NEXT) | instid1(VALU_DEP_1)
	v_lshlrev_b64 v[45:46], 1, v[45:46]
	v_add_co_u32 v45, vcc_lo, v6, v45
	s_delay_alu instid0(VALU_DEP_2)
	v_add_co_ci_u32_e32 v46, vcc_lo, v12, v46, vcc_lo
	global_store_b16 v[45:46], v42, off
	s_or_b32 exec_lo, exec_lo, s18
	s_and_saveexec_b32 s18, s13
	s_cbranch_execz .LBB659_228
.LBB659_287:
	v_sub_nc_u32_e32 v45, v37, v3
	v_mov_b32_e32 v46, 0
	s_delay_alu instid0(VALU_DEP_1) | instskip(NEXT) | instid1(VALU_DEP_1)
	v_lshlrev_b64 v[45:46], 1, v[45:46]
	v_add_co_u32 v45, vcc_lo, v6, v45
	s_delay_alu instid0(VALU_DEP_2)
	v_add_co_ci_u32_e32 v46, vcc_lo, v12, v46, vcc_lo
	global_store_b16 v[45:46], v38, off
	s_or_b32 exec_lo, exec_lo, s18
	s_and_saveexec_b32 s18, s12
	s_cbranch_execz .LBB659_229
.LBB659_288:
	v_sub_nc_u32_e32 v45, v35, v3
	v_mov_b32_e32 v46, 0
	s_delay_alu instid0(VALU_DEP_1) | instskip(NEXT) | instid1(VALU_DEP_1)
	v_lshlrev_b64 v[45:46], 1, v[45:46]
	v_add_co_u32 v45, vcc_lo, v6, v45
	s_delay_alu instid0(VALU_DEP_2)
	v_add_co_ci_u32_e32 v46, vcc_lo, v12, v46, vcc_lo
	global_store_b16 v[45:46], v36, off
	s_or_b32 exec_lo, exec_lo, s18
	s_and_saveexec_b32 s18, s11
	s_cbranch_execz .LBB659_230
.LBB659_289:
	v_sub_nc_u32_e32 v45, v33, v3
	v_mov_b32_e32 v46, 0
	s_delay_alu instid0(VALU_DEP_1) | instskip(NEXT) | instid1(VALU_DEP_1)
	v_lshlrev_b64 v[45:46], 1, v[45:46]
	v_add_co_u32 v45, vcc_lo, v6, v45
	s_delay_alu instid0(VALU_DEP_2)
	v_add_co_ci_u32_e32 v46, vcc_lo, v12, v46, vcc_lo
	global_store_b16 v[45:46], v34, off
	s_or_b32 exec_lo, exec_lo, s18
	s_and_saveexec_b32 s18, s10
	s_cbranch_execz .LBB659_231
.LBB659_290:
	v_sub_nc_u32_e32 v45, v21, v3
	v_mov_b32_e32 v46, 0
	s_delay_alu instid0(VALU_DEP_1) | instskip(NEXT) | instid1(VALU_DEP_1)
	v_lshlrev_b64 v[45:46], 1, v[45:46]
	v_add_co_u32 v45, vcc_lo, v6, v45
	s_delay_alu instid0(VALU_DEP_2)
	v_add_co_ci_u32_e32 v46, vcc_lo, v12, v46, vcc_lo
	global_store_b16 v[45:46], v22, off
	s_or_b32 exec_lo, exec_lo, s18
	s_and_saveexec_b32 s18, s9
	s_cbranch_execz .LBB659_232
.LBB659_291:
	v_sub_nc_u32_e32 v45, v19, v3
	v_mov_b32_e32 v46, 0
	s_delay_alu instid0(VALU_DEP_1) | instskip(NEXT) | instid1(VALU_DEP_1)
	v_lshlrev_b64 v[45:46], 1, v[45:46]
	v_add_co_u32 v45, vcc_lo, v6, v45
	s_delay_alu instid0(VALU_DEP_2)
	v_add_co_ci_u32_e32 v46, vcc_lo, v12, v46, vcc_lo
	global_store_b16 v[45:46], v20, off
	s_or_b32 exec_lo, exec_lo, s18
	s_and_saveexec_b32 s18, s8
	s_cbranch_execz .LBB659_233
.LBB659_292:
	v_sub_nc_u32_e32 v45, v17, v3
	v_mov_b32_e32 v46, 0
	s_delay_alu instid0(VALU_DEP_1) | instskip(NEXT) | instid1(VALU_DEP_1)
	v_lshlrev_b64 v[45:46], 1, v[45:46]
	v_add_co_u32 v45, vcc_lo, v6, v45
	s_delay_alu instid0(VALU_DEP_2)
	v_add_co_ci_u32_e32 v46, vcc_lo, v12, v46, vcc_lo
	global_store_b16 v[45:46], v18, off
	s_or_b32 exec_lo, exec_lo, s18
	s_and_saveexec_b32 s18, s7
	s_cbranch_execz .LBB659_234
.LBB659_293:
	v_sub_nc_u32_e32 v45, v39, v3
	v_mov_b32_e32 v46, 0
	s_delay_alu instid0(VALU_DEP_1) | instskip(NEXT) | instid1(VALU_DEP_1)
	v_lshlrev_b64 v[45:46], 1, v[45:46]
	v_add_co_u32 v45, vcc_lo, v6, v45
	s_delay_alu instid0(VALU_DEP_2)
	v_add_co_ci_u32_e32 v46, vcc_lo, v12, v46, vcc_lo
	global_store_b16 v[45:46], v40, off
	s_or_b32 exec_lo, exec_lo, s18
	s_and_saveexec_b32 s18, s6
	s_cbranch_execz .LBB659_235
.LBB659_294:
	v_sub_nc_u32_e32 v45, v43, v3
	v_mov_b32_e32 v46, 0
	s_delay_alu instid0(VALU_DEP_1) | instskip(NEXT) | instid1(VALU_DEP_1)
	v_lshlrev_b64 v[45:46], 1, v[45:46]
	v_add_co_u32 v45, vcc_lo, v6, v45
	s_delay_alu instid0(VALU_DEP_2)
	v_add_co_ci_u32_e32 v46, vcc_lo, v12, v46, vcc_lo
	global_store_b16 v[45:46], v44, off
	s_or_b32 exec_lo, exec_lo, s18
	s_and_saveexec_b32 s18, s5
	s_cbranch_execz .LBB659_236
.LBB659_295:
	v_sub_nc_u32_e32 v45, v31, v3
	v_mov_b32_e32 v46, 0
	s_delay_alu instid0(VALU_DEP_1) | instskip(NEXT) | instid1(VALU_DEP_1)
	v_lshlrev_b64 v[45:46], 1, v[45:46]
	v_add_co_u32 v45, vcc_lo, v6, v45
	s_delay_alu instid0(VALU_DEP_2)
	v_add_co_ci_u32_e32 v46, vcc_lo, v12, v46, vcc_lo
	global_store_b16 v[45:46], v32, off
	s_or_b32 exec_lo, exec_lo, s18
	s_and_saveexec_b32 s18, s4
	s_cbranch_execz .LBB659_237
.LBB659_296:
	v_sub_nc_u32_e32 v45, v29, v3
	v_mov_b32_e32 v46, 0
	s_delay_alu instid0(VALU_DEP_1) | instskip(NEXT) | instid1(VALU_DEP_1)
	v_lshlrev_b64 v[45:46], 1, v[45:46]
	v_add_co_u32 v45, vcc_lo, v6, v45
	s_delay_alu instid0(VALU_DEP_2)
	v_add_co_ci_u32_e32 v46, vcc_lo, v12, v46, vcc_lo
	global_store_b16 v[45:46], v30, off
	s_or_b32 exec_lo, exec_lo, s18
	s_and_saveexec_b32 s18, s3
	s_cbranch_execz .LBB659_238
.LBB659_297:
	v_sub_nc_u32_e32 v45, v25, v3
	v_mov_b32_e32 v46, 0
	s_delay_alu instid0(VALU_DEP_1) | instskip(NEXT) | instid1(VALU_DEP_1)
	v_lshlrev_b64 v[45:46], 1, v[45:46]
	v_add_co_u32 v45, vcc_lo, v6, v45
	s_delay_alu instid0(VALU_DEP_2)
	v_add_co_ci_u32_e32 v46, vcc_lo, v12, v46, vcc_lo
	global_store_b16 v[45:46], v26, off
	s_or_b32 exec_lo, exec_lo, s18
	s_and_saveexec_b32 s18, s2
	s_cbranch_execz .LBB659_239
.LBB659_298:
	v_sub_nc_u32_e32 v45, v27, v3
	v_mov_b32_e32 v46, 0
	s_delay_alu instid0(VALU_DEP_1) | instskip(NEXT) | instid1(VALU_DEP_1)
	v_lshlrev_b64 v[45:46], 1, v[45:46]
	v_add_co_u32 v45, vcc_lo, v6, v45
	s_delay_alu instid0(VALU_DEP_2)
	v_add_co_ci_u32_e32 v46, vcc_lo, v12, v46, vcc_lo
	global_store_b16 v[45:46], v28, off
	s_or_b32 exec_lo, exec_lo, s18
	s_and_saveexec_b32 s18, s1
	s_cbranch_execnz .LBB659_240
	s_branch .LBB659_241
.LBB659_299:
	v_sub_nc_u32_e32 v8, v41, v3
	s_delay_alu instid0(VALU_DEP_1)
	v_lshlrev_b32_e32 v8, 1, v8
	ds_store_b16 v8, v42
	s_or_b32 exec_lo, exec_lo, s18
	s_and_saveexec_b32 s14, s13
	s_cbranch_execz .LBB659_245
.LBB659_300:
	v_sub_nc_u32_e32 v8, v37, v3
	s_delay_alu instid0(VALU_DEP_1)
	v_lshlrev_b32_e32 v8, 1, v8
	ds_store_b16 v8, v38
	s_or_b32 exec_lo, exec_lo, s14
	s_and_saveexec_b32 s13, s12
	s_cbranch_execz .LBB659_246
.LBB659_301:
	v_sub_nc_u32_e32 v8, v35, v3
	s_delay_alu instid0(VALU_DEP_1)
	v_lshlrev_b32_e32 v8, 1, v8
	ds_store_b16 v8, v36
	s_or_b32 exec_lo, exec_lo, s13
	s_and_saveexec_b32 s12, s11
	s_cbranch_execz .LBB659_247
.LBB659_302:
	v_sub_nc_u32_e32 v8, v33, v3
	s_delay_alu instid0(VALU_DEP_1)
	v_lshlrev_b32_e32 v8, 1, v8
	ds_store_b16 v8, v34
	s_or_b32 exec_lo, exec_lo, s12
	s_and_saveexec_b32 s11, s10
	s_cbranch_execz .LBB659_248
.LBB659_303:
	v_sub_nc_u32_e32 v8, v21, v3
	s_delay_alu instid0(VALU_DEP_1)
	v_lshlrev_b32_e32 v8, 1, v8
	ds_store_b16 v8, v22
	s_or_b32 exec_lo, exec_lo, s11
	s_and_saveexec_b32 s10, s9
	s_cbranch_execz .LBB659_249
.LBB659_304:
	v_sub_nc_u32_e32 v8, v19, v3
	s_delay_alu instid0(VALU_DEP_1)
	v_lshlrev_b32_e32 v8, 1, v8
	ds_store_b16 v8, v20
	s_or_b32 exec_lo, exec_lo, s10
	s_and_saveexec_b32 s9, s8
	s_cbranch_execz .LBB659_250
.LBB659_305:
	v_sub_nc_u32_e32 v8, v17, v3
	s_delay_alu instid0(VALU_DEP_1)
	v_lshlrev_b32_e32 v8, 1, v8
	ds_store_b16 v8, v18
	s_or_b32 exec_lo, exec_lo, s9
	s_and_saveexec_b32 s8, s7
	s_cbranch_execz .LBB659_251
.LBB659_306:
	v_sub_nc_u32_e32 v8, v39, v3
	s_delay_alu instid0(VALU_DEP_1)
	v_lshlrev_b32_e32 v8, 1, v8
	ds_store_b16 v8, v40
	s_or_b32 exec_lo, exec_lo, s8
	s_and_saveexec_b32 s7, s6
	s_cbranch_execz .LBB659_252
.LBB659_307:
	v_sub_nc_u32_e32 v8, v43, v3
	s_delay_alu instid0(VALU_DEP_1)
	v_lshlrev_b32_e32 v8, 1, v8
	ds_store_b16 v8, v44
	s_or_b32 exec_lo, exec_lo, s7
	s_and_saveexec_b32 s6, s5
	s_cbranch_execz .LBB659_253
.LBB659_308:
	v_sub_nc_u32_e32 v8, v31, v3
	s_delay_alu instid0(VALU_DEP_1)
	v_lshlrev_b32_e32 v8, 1, v8
	ds_store_b16 v8, v32
	s_or_b32 exec_lo, exec_lo, s6
	s_and_saveexec_b32 s5, s4
	s_cbranch_execz .LBB659_254
.LBB659_309:
	v_sub_nc_u32_e32 v8, v29, v3
	s_delay_alu instid0(VALU_DEP_1)
	v_lshlrev_b32_e32 v8, 1, v8
	ds_store_b16 v8, v30
	s_or_b32 exec_lo, exec_lo, s5
	s_and_saveexec_b32 s4, s3
	s_cbranch_execz .LBB659_255
.LBB659_310:
	v_sub_nc_u32_e32 v8, v25, v3
	s_delay_alu instid0(VALU_DEP_1)
	v_lshlrev_b32_e32 v8, 1, v8
	ds_store_b16 v8, v26
	s_or_b32 exec_lo, exec_lo, s4
	s_and_saveexec_b32 s3, s2
	s_cbranch_execz .LBB659_256
.LBB659_311:
	v_sub_nc_u32_e32 v8, v27, v3
	s_delay_alu instid0(VALU_DEP_1)
	v_lshlrev_b32_e32 v8, 1, v8
	ds_store_b16 v8, v28
	s_or_b32 exec_lo, exec_lo, s3
	s_and_saveexec_b32 s2, s1
	s_cbranch_execnz .LBB659_257
	s_branch .LBB659_258
	.section	.rodata,"a",@progbits
	.p2align	6, 0x0
	.amdhsa_kernel _ZN7rocprim17ROCPRIM_400000_NS6detail17trampoline_kernelINS0_14default_configENS1_29reduce_by_key_config_selectorIssN6thrust23THRUST_200600_302600_NS4plusIsEEEEZZNS1_33reduce_by_key_impl_wrapped_configILNS1_25lookback_scan_determinismE0ES3_S9_NS6_6detail15normal_iteratorINS6_10device_ptrIsEEEESG_SG_SG_PmS8_NS6_8equal_toIsEEEE10hipError_tPvRmT2_T3_mT4_T5_T6_T7_T8_P12ihipStream_tbENKUlT_T0_E_clISt17integral_constantIbLb0EES10_IbLb1EEEEDaSW_SX_EUlSW_E_NS1_11comp_targetILNS1_3genE9ELNS1_11target_archE1100ELNS1_3gpuE3ELNS1_3repE0EEENS1_30default_config_static_selectorELNS0_4arch9wavefront6targetE0EEEvT1_
		.amdhsa_group_segment_fixed_size 7680
		.amdhsa_private_segment_fixed_size 0
		.amdhsa_kernarg_size 120
		.amdhsa_user_sgpr_count 15
		.amdhsa_user_sgpr_dispatch_ptr 0
		.amdhsa_user_sgpr_queue_ptr 0
		.amdhsa_user_sgpr_kernarg_segment_ptr 1
		.amdhsa_user_sgpr_dispatch_id 0
		.amdhsa_user_sgpr_private_segment_size 0
		.amdhsa_wavefront_size32 1
		.amdhsa_uses_dynamic_stack 0
		.amdhsa_enable_private_segment 0
		.amdhsa_system_sgpr_workgroup_id_x 1
		.amdhsa_system_sgpr_workgroup_id_y 0
		.amdhsa_system_sgpr_workgroup_id_z 0
		.amdhsa_system_sgpr_workgroup_info 0
		.amdhsa_system_vgpr_workitem_id 0
		.amdhsa_next_free_vgpr 102
		.amdhsa_next_free_sgpr 45
		.amdhsa_reserve_vcc 1
		.amdhsa_float_round_mode_32 0
		.amdhsa_float_round_mode_16_64 0
		.amdhsa_float_denorm_mode_32 3
		.amdhsa_float_denorm_mode_16_64 3
		.amdhsa_dx10_clamp 1
		.amdhsa_ieee_mode 1
		.amdhsa_fp16_overflow 0
		.amdhsa_workgroup_processor_mode 1
		.amdhsa_memory_ordered 1
		.amdhsa_forward_progress 0
		.amdhsa_shared_vgpr_count 0
		.amdhsa_exception_fp_ieee_invalid_op 0
		.amdhsa_exception_fp_denorm_src 0
		.amdhsa_exception_fp_ieee_div_zero 0
		.amdhsa_exception_fp_ieee_overflow 0
		.amdhsa_exception_fp_ieee_underflow 0
		.amdhsa_exception_fp_ieee_inexact 0
		.amdhsa_exception_int_div_zero 0
	.end_amdhsa_kernel
	.section	.text._ZN7rocprim17ROCPRIM_400000_NS6detail17trampoline_kernelINS0_14default_configENS1_29reduce_by_key_config_selectorIssN6thrust23THRUST_200600_302600_NS4plusIsEEEEZZNS1_33reduce_by_key_impl_wrapped_configILNS1_25lookback_scan_determinismE0ES3_S9_NS6_6detail15normal_iteratorINS6_10device_ptrIsEEEESG_SG_SG_PmS8_NS6_8equal_toIsEEEE10hipError_tPvRmT2_T3_mT4_T5_T6_T7_T8_P12ihipStream_tbENKUlT_T0_E_clISt17integral_constantIbLb0EES10_IbLb1EEEEDaSW_SX_EUlSW_E_NS1_11comp_targetILNS1_3genE9ELNS1_11target_archE1100ELNS1_3gpuE3ELNS1_3repE0EEENS1_30default_config_static_selectorELNS0_4arch9wavefront6targetE0EEEvT1_,"axG",@progbits,_ZN7rocprim17ROCPRIM_400000_NS6detail17trampoline_kernelINS0_14default_configENS1_29reduce_by_key_config_selectorIssN6thrust23THRUST_200600_302600_NS4plusIsEEEEZZNS1_33reduce_by_key_impl_wrapped_configILNS1_25lookback_scan_determinismE0ES3_S9_NS6_6detail15normal_iteratorINS6_10device_ptrIsEEEESG_SG_SG_PmS8_NS6_8equal_toIsEEEE10hipError_tPvRmT2_T3_mT4_T5_T6_T7_T8_P12ihipStream_tbENKUlT_T0_E_clISt17integral_constantIbLb0EES10_IbLb1EEEEDaSW_SX_EUlSW_E_NS1_11comp_targetILNS1_3genE9ELNS1_11target_archE1100ELNS1_3gpuE3ELNS1_3repE0EEENS1_30default_config_static_selectorELNS0_4arch9wavefront6targetE0EEEvT1_,comdat
.Lfunc_end659:
	.size	_ZN7rocprim17ROCPRIM_400000_NS6detail17trampoline_kernelINS0_14default_configENS1_29reduce_by_key_config_selectorIssN6thrust23THRUST_200600_302600_NS4plusIsEEEEZZNS1_33reduce_by_key_impl_wrapped_configILNS1_25lookback_scan_determinismE0ES3_S9_NS6_6detail15normal_iteratorINS6_10device_ptrIsEEEESG_SG_SG_PmS8_NS6_8equal_toIsEEEE10hipError_tPvRmT2_T3_mT4_T5_T6_T7_T8_P12ihipStream_tbENKUlT_T0_E_clISt17integral_constantIbLb0EES10_IbLb1EEEEDaSW_SX_EUlSW_E_NS1_11comp_targetILNS1_3genE9ELNS1_11target_archE1100ELNS1_3gpuE3ELNS1_3repE0EEENS1_30default_config_static_selectorELNS0_4arch9wavefront6targetE0EEEvT1_, .Lfunc_end659-_ZN7rocprim17ROCPRIM_400000_NS6detail17trampoline_kernelINS0_14default_configENS1_29reduce_by_key_config_selectorIssN6thrust23THRUST_200600_302600_NS4plusIsEEEEZZNS1_33reduce_by_key_impl_wrapped_configILNS1_25lookback_scan_determinismE0ES3_S9_NS6_6detail15normal_iteratorINS6_10device_ptrIsEEEESG_SG_SG_PmS8_NS6_8equal_toIsEEEE10hipError_tPvRmT2_T3_mT4_T5_T6_T7_T8_P12ihipStream_tbENKUlT_T0_E_clISt17integral_constantIbLb0EES10_IbLb1EEEEDaSW_SX_EUlSW_E_NS1_11comp_targetILNS1_3genE9ELNS1_11target_archE1100ELNS1_3gpuE3ELNS1_3repE0EEENS1_30default_config_static_selectorELNS0_4arch9wavefront6targetE0EEEvT1_
                                        ; -- End function
	.section	.AMDGPU.csdata,"",@progbits
; Kernel info:
; codeLenInByte = 21076
; NumSgprs: 47
; NumVgprs: 102
; ScratchSize: 0
; MemoryBound: 0
; FloatMode: 240
; IeeeMode: 1
; LDSByteSize: 7680 bytes/workgroup (compile time only)
; SGPRBlocks: 5
; VGPRBlocks: 12
; NumSGPRsForWavesPerEU: 47
; NumVGPRsForWavesPerEU: 102
; Occupancy: 12
; WaveLimiterHint : 1
; COMPUTE_PGM_RSRC2:SCRATCH_EN: 0
; COMPUTE_PGM_RSRC2:USER_SGPR: 15
; COMPUTE_PGM_RSRC2:TRAP_HANDLER: 0
; COMPUTE_PGM_RSRC2:TGID_X_EN: 1
; COMPUTE_PGM_RSRC2:TGID_Y_EN: 0
; COMPUTE_PGM_RSRC2:TGID_Z_EN: 0
; COMPUTE_PGM_RSRC2:TIDIG_COMP_CNT: 0
	.section	.text._ZN7rocprim17ROCPRIM_400000_NS6detail17trampoline_kernelINS0_14default_configENS1_29reduce_by_key_config_selectorIssN6thrust23THRUST_200600_302600_NS4plusIsEEEEZZNS1_33reduce_by_key_impl_wrapped_configILNS1_25lookback_scan_determinismE0ES3_S9_NS6_6detail15normal_iteratorINS6_10device_ptrIsEEEESG_SG_SG_PmS8_NS6_8equal_toIsEEEE10hipError_tPvRmT2_T3_mT4_T5_T6_T7_T8_P12ihipStream_tbENKUlT_T0_E_clISt17integral_constantIbLb0EES10_IbLb1EEEEDaSW_SX_EUlSW_E_NS1_11comp_targetILNS1_3genE8ELNS1_11target_archE1030ELNS1_3gpuE2ELNS1_3repE0EEENS1_30default_config_static_selectorELNS0_4arch9wavefront6targetE0EEEvT1_,"axG",@progbits,_ZN7rocprim17ROCPRIM_400000_NS6detail17trampoline_kernelINS0_14default_configENS1_29reduce_by_key_config_selectorIssN6thrust23THRUST_200600_302600_NS4plusIsEEEEZZNS1_33reduce_by_key_impl_wrapped_configILNS1_25lookback_scan_determinismE0ES3_S9_NS6_6detail15normal_iteratorINS6_10device_ptrIsEEEESG_SG_SG_PmS8_NS6_8equal_toIsEEEE10hipError_tPvRmT2_T3_mT4_T5_T6_T7_T8_P12ihipStream_tbENKUlT_T0_E_clISt17integral_constantIbLb0EES10_IbLb1EEEEDaSW_SX_EUlSW_E_NS1_11comp_targetILNS1_3genE8ELNS1_11target_archE1030ELNS1_3gpuE2ELNS1_3repE0EEENS1_30default_config_static_selectorELNS0_4arch9wavefront6targetE0EEEvT1_,comdat
	.protected	_ZN7rocprim17ROCPRIM_400000_NS6detail17trampoline_kernelINS0_14default_configENS1_29reduce_by_key_config_selectorIssN6thrust23THRUST_200600_302600_NS4plusIsEEEEZZNS1_33reduce_by_key_impl_wrapped_configILNS1_25lookback_scan_determinismE0ES3_S9_NS6_6detail15normal_iteratorINS6_10device_ptrIsEEEESG_SG_SG_PmS8_NS6_8equal_toIsEEEE10hipError_tPvRmT2_T3_mT4_T5_T6_T7_T8_P12ihipStream_tbENKUlT_T0_E_clISt17integral_constantIbLb0EES10_IbLb1EEEEDaSW_SX_EUlSW_E_NS1_11comp_targetILNS1_3genE8ELNS1_11target_archE1030ELNS1_3gpuE2ELNS1_3repE0EEENS1_30default_config_static_selectorELNS0_4arch9wavefront6targetE0EEEvT1_ ; -- Begin function _ZN7rocprim17ROCPRIM_400000_NS6detail17trampoline_kernelINS0_14default_configENS1_29reduce_by_key_config_selectorIssN6thrust23THRUST_200600_302600_NS4plusIsEEEEZZNS1_33reduce_by_key_impl_wrapped_configILNS1_25lookback_scan_determinismE0ES3_S9_NS6_6detail15normal_iteratorINS6_10device_ptrIsEEEESG_SG_SG_PmS8_NS6_8equal_toIsEEEE10hipError_tPvRmT2_T3_mT4_T5_T6_T7_T8_P12ihipStream_tbENKUlT_T0_E_clISt17integral_constantIbLb0EES10_IbLb1EEEEDaSW_SX_EUlSW_E_NS1_11comp_targetILNS1_3genE8ELNS1_11target_archE1030ELNS1_3gpuE2ELNS1_3repE0EEENS1_30default_config_static_selectorELNS0_4arch9wavefront6targetE0EEEvT1_
	.globl	_ZN7rocprim17ROCPRIM_400000_NS6detail17trampoline_kernelINS0_14default_configENS1_29reduce_by_key_config_selectorIssN6thrust23THRUST_200600_302600_NS4plusIsEEEEZZNS1_33reduce_by_key_impl_wrapped_configILNS1_25lookback_scan_determinismE0ES3_S9_NS6_6detail15normal_iteratorINS6_10device_ptrIsEEEESG_SG_SG_PmS8_NS6_8equal_toIsEEEE10hipError_tPvRmT2_T3_mT4_T5_T6_T7_T8_P12ihipStream_tbENKUlT_T0_E_clISt17integral_constantIbLb0EES10_IbLb1EEEEDaSW_SX_EUlSW_E_NS1_11comp_targetILNS1_3genE8ELNS1_11target_archE1030ELNS1_3gpuE2ELNS1_3repE0EEENS1_30default_config_static_selectorELNS0_4arch9wavefront6targetE0EEEvT1_
	.p2align	8
	.type	_ZN7rocprim17ROCPRIM_400000_NS6detail17trampoline_kernelINS0_14default_configENS1_29reduce_by_key_config_selectorIssN6thrust23THRUST_200600_302600_NS4plusIsEEEEZZNS1_33reduce_by_key_impl_wrapped_configILNS1_25lookback_scan_determinismE0ES3_S9_NS6_6detail15normal_iteratorINS6_10device_ptrIsEEEESG_SG_SG_PmS8_NS6_8equal_toIsEEEE10hipError_tPvRmT2_T3_mT4_T5_T6_T7_T8_P12ihipStream_tbENKUlT_T0_E_clISt17integral_constantIbLb0EES10_IbLb1EEEEDaSW_SX_EUlSW_E_NS1_11comp_targetILNS1_3genE8ELNS1_11target_archE1030ELNS1_3gpuE2ELNS1_3repE0EEENS1_30default_config_static_selectorELNS0_4arch9wavefront6targetE0EEEvT1_,@function
_ZN7rocprim17ROCPRIM_400000_NS6detail17trampoline_kernelINS0_14default_configENS1_29reduce_by_key_config_selectorIssN6thrust23THRUST_200600_302600_NS4plusIsEEEEZZNS1_33reduce_by_key_impl_wrapped_configILNS1_25lookback_scan_determinismE0ES3_S9_NS6_6detail15normal_iteratorINS6_10device_ptrIsEEEESG_SG_SG_PmS8_NS6_8equal_toIsEEEE10hipError_tPvRmT2_T3_mT4_T5_T6_T7_T8_P12ihipStream_tbENKUlT_T0_E_clISt17integral_constantIbLb0EES10_IbLb1EEEEDaSW_SX_EUlSW_E_NS1_11comp_targetILNS1_3genE8ELNS1_11target_archE1030ELNS1_3gpuE2ELNS1_3repE0EEENS1_30default_config_static_selectorELNS0_4arch9wavefront6targetE0EEEvT1_: ; @_ZN7rocprim17ROCPRIM_400000_NS6detail17trampoline_kernelINS0_14default_configENS1_29reduce_by_key_config_selectorIssN6thrust23THRUST_200600_302600_NS4plusIsEEEEZZNS1_33reduce_by_key_impl_wrapped_configILNS1_25lookback_scan_determinismE0ES3_S9_NS6_6detail15normal_iteratorINS6_10device_ptrIsEEEESG_SG_SG_PmS8_NS6_8equal_toIsEEEE10hipError_tPvRmT2_T3_mT4_T5_T6_T7_T8_P12ihipStream_tbENKUlT_T0_E_clISt17integral_constantIbLb0EES10_IbLb1EEEEDaSW_SX_EUlSW_E_NS1_11comp_targetILNS1_3genE8ELNS1_11target_archE1030ELNS1_3gpuE2ELNS1_3repE0EEENS1_30default_config_static_selectorELNS0_4arch9wavefront6targetE0EEEvT1_
; %bb.0:
	.section	.rodata,"a",@progbits
	.p2align	6, 0x0
	.amdhsa_kernel _ZN7rocprim17ROCPRIM_400000_NS6detail17trampoline_kernelINS0_14default_configENS1_29reduce_by_key_config_selectorIssN6thrust23THRUST_200600_302600_NS4plusIsEEEEZZNS1_33reduce_by_key_impl_wrapped_configILNS1_25lookback_scan_determinismE0ES3_S9_NS6_6detail15normal_iteratorINS6_10device_ptrIsEEEESG_SG_SG_PmS8_NS6_8equal_toIsEEEE10hipError_tPvRmT2_T3_mT4_T5_T6_T7_T8_P12ihipStream_tbENKUlT_T0_E_clISt17integral_constantIbLb0EES10_IbLb1EEEEDaSW_SX_EUlSW_E_NS1_11comp_targetILNS1_3genE8ELNS1_11target_archE1030ELNS1_3gpuE2ELNS1_3repE0EEENS1_30default_config_static_selectorELNS0_4arch9wavefront6targetE0EEEvT1_
		.amdhsa_group_segment_fixed_size 0
		.amdhsa_private_segment_fixed_size 0
		.amdhsa_kernarg_size 120
		.amdhsa_user_sgpr_count 15
		.amdhsa_user_sgpr_dispatch_ptr 0
		.amdhsa_user_sgpr_queue_ptr 0
		.amdhsa_user_sgpr_kernarg_segment_ptr 1
		.amdhsa_user_sgpr_dispatch_id 0
		.amdhsa_user_sgpr_private_segment_size 0
		.amdhsa_wavefront_size32 1
		.amdhsa_uses_dynamic_stack 0
		.amdhsa_enable_private_segment 0
		.amdhsa_system_sgpr_workgroup_id_x 1
		.amdhsa_system_sgpr_workgroup_id_y 0
		.amdhsa_system_sgpr_workgroup_id_z 0
		.amdhsa_system_sgpr_workgroup_info 0
		.amdhsa_system_vgpr_workitem_id 0
		.amdhsa_next_free_vgpr 1
		.amdhsa_next_free_sgpr 1
		.amdhsa_reserve_vcc 0
		.amdhsa_float_round_mode_32 0
		.amdhsa_float_round_mode_16_64 0
		.amdhsa_float_denorm_mode_32 3
		.amdhsa_float_denorm_mode_16_64 3
		.amdhsa_dx10_clamp 1
		.amdhsa_ieee_mode 1
		.amdhsa_fp16_overflow 0
		.amdhsa_workgroup_processor_mode 1
		.amdhsa_memory_ordered 1
		.amdhsa_forward_progress 0
		.amdhsa_shared_vgpr_count 0
		.amdhsa_exception_fp_ieee_invalid_op 0
		.amdhsa_exception_fp_denorm_src 0
		.amdhsa_exception_fp_ieee_div_zero 0
		.amdhsa_exception_fp_ieee_overflow 0
		.amdhsa_exception_fp_ieee_underflow 0
		.amdhsa_exception_fp_ieee_inexact 0
		.amdhsa_exception_int_div_zero 0
	.end_amdhsa_kernel
	.section	.text._ZN7rocprim17ROCPRIM_400000_NS6detail17trampoline_kernelINS0_14default_configENS1_29reduce_by_key_config_selectorIssN6thrust23THRUST_200600_302600_NS4plusIsEEEEZZNS1_33reduce_by_key_impl_wrapped_configILNS1_25lookback_scan_determinismE0ES3_S9_NS6_6detail15normal_iteratorINS6_10device_ptrIsEEEESG_SG_SG_PmS8_NS6_8equal_toIsEEEE10hipError_tPvRmT2_T3_mT4_T5_T6_T7_T8_P12ihipStream_tbENKUlT_T0_E_clISt17integral_constantIbLb0EES10_IbLb1EEEEDaSW_SX_EUlSW_E_NS1_11comp_targetILNS1_3genE8ELNS1_11target_archE1030ELNS1_3gpuE2ELNS1_3repE0EEENS1_30default_config_static_selectorELNS0_4arch9wavefront6targetE0EEEvT1_,"axG",@progbits,_ZN7rocprim17ROCPRIM_400000_NS6detail17trampoline_kernelINS0_14default_configENS1_29reduce_by_key_config_selectorIssN6thrust23THRUST_200600_302600_NS4plusIsEEEEZZNS1_33reduce_by_key_impl_wrapped_configILNS1_25lookback_scan_determinismE0ES3_S9_NS6_6detail15normal_iteratorINS6_10device_ptrIsEEEESG_SG_SG_PmS8_NS6_8equal_toIsEEEE10hipError_tPvRmT2_T3_mT4_T5_T6_T7_T8_P12ihipStream_tbENKUlT_T0_E_clISt17integral_constantIbLb0EES10_IbLb1EEEEDaSW_SX_EUlSW_E_NS1_11comp_targetILNS1_3genE8ELNS1_11target_archE1030ELNS1_3gpuE2ELNS1_3repE0EEENS1_30default_config_static_selectorELNS0_4arch9wavefront6targetE0EEEvT1_,comdat
.Lfunc_end660:
	.size	_ZN7rocprim17ROCPRIM_400000_NS6detail17trampoline_kernelINS0_14default_configENS1_29reduce_by_key_config_selectorIssN6thrust23THRUST_200600_302600_NS4plusIsEEEEZZNS1_33reduce_by_key_impl_wrapped_configILNS1_25lookback_scan_determinismE0ES3_S9_NS6_6detail15normal_iteratorINS6_10device_ptrIsEEEESG_SG_SG_PmS8_NS6_8equal_toIsEEEE10hipError_tPvRmT2_T3_mT4_T5_T6_T7_T8_P12ihipStream_tbENKUlT_T0_E_clISt17integral_constantIbLb0EES10_IbLb1EEEEDaSW_SX_EUlSW_E_NS1_11comp_targetILNS1_3genE8ELNS1_11target_archE1030ELNS1_3gpuE2ELNS1_3repE0EEENS1_30default_config_static_selectorELNS0_4arch9wavefront6targetE0EEEvT1_, .Lfunc_end660-_ZN7rocprim17ROCPRIM_400000_NS6detail17trampoline_kernelINS0_14default_configENS1_29reduce_by_key_config_selectorIssN6thrust23THRUST_200600_302600_NS4plusIsEEEEZZNS1_33reduce_by_key_impl_wrapped_configILNS1_25lookback_scan_determinismE0ES3_S9_NS6_6detail15normal_iteratorINS6_10device_ptrIsEEEESG_SG_SG_PmS8_NS6_8equal_toIsEEEE10hipError_tPvRmT2_T3_mT4_T5_T6_T7_T8_P12ihipStream_tbENKUlT_T0_E_clISt17integral_constantIbLb0EES10_IbLb1EEEEDaSW_SX_EUlSW_E_NS1_11comp_targetILNS1_3genE8ELNS1_11target_archE1030ELNS1_3gpuE2ELNS1_3repE0EEENS1_30default_config_static_selectorELNS0_4arch9wavefront6targetE0EEEvT1_
                                        ; -- End function
	.section	.AMDGPU.csdata,"",@progbits
; Kernel info:
; codeLenInByte = 0
; NumSgprs: 0
; NumVgprs: 0
; ScratchSize: 0
; MemoryBound: 0
; FloatMode: 240
; IeeeMode: 1
; LDSByteSize: 0 bytes/workgroup (compile time only)
; SGPRBlocks: 0
; VGPRBlocks: 0
; NumSGPRsForWavesPerEU: 1
; NumVGPRsForWavesPerEU: 1
; Occupancy: 16
; WaveLimiterHint : 0
; COMPUTE_PGM_RSRC2:SCRATCH_EN: 0
; COMPUTE_PGM_RSRC2:USER_SGPR: 15
; COMPUTE_PGM_RSRC2:TRAP_HANDLER: 0
; COMPUTE_PGM_RSRC2:TGID_X_EN: 1
; COMPUTE_PGM_RSRC2:TGID_Y_EN: 0
; COMPUTE_PGM_RSRC2:TGID_Z_EN: 0
; COMPUTE_PGM_RSRC2:TIDIG_COMP_CNT: 0
	.section	.text._ZN7rocprim17ROCPRIM_400000_NS6detail17trampoline_kernelINS0_14default_configENS1_29reduce_by_key_config_selectorIssN6thrust23THRUST_200600_302600_NS4plusIsEEEEZZNS1_33reduce_by_key_impl_wrapped_configILNS1_25lookback_scan_determinismE0ES3_S9_NS6_6detail15normal_iteratorINS6_10device_ptrIsEEEESG_SG_SG_PmS8_22is_equal_div_10_reduceIsEEE10hipError_tPvRmT2_T3_mT4_T5_T6_T7_T8_P12ihipStream_tbENKUlT_T0_E_clISt17integral_constantIbLb0EES11_EEDaSW_SX_EUlSW_E_NS1_11comp_targetILNS1_3genE0ELNS1_11target_archE4294967295ELNS1_3gpuE0ELNS1_3repE0EEENS1_30default_config_static_selectorELNS0_4arch9wavefront6targetE0EEEvT1_,"axG",@progbits,_ZN7rocprim17ROCPRIM_400000_NS6detail17trampoline_kernelINS0_14default_configENS1_29reduce_by_key_config_selectorIssN6thrust23THRUST_200600_302600_NS4plusIsEEEEZZNS1_33reduce_by_key_impl_wrapped_configILNS1_25lookback_scan_determinismE0ES3_S9_NS6_6detail15normal_iteratorINS6_10device_ptrIsEEEESG_SG_SG_PmS8_22is_equal_div_10_reduceIsEEE10hipError_tPvRmT2_T3_mT4_T5_T6_T7_T8_P12ihipStream_tbENKUlT_T0_E_clISt17integral_constantIbLb0EES11_EEDaSW_SX_EUlSW_E_NS1_11comp_targetILNS1_3genE0ELNS1_11target_archE4294967295ELNS1_3gpuE0ELNS1_3repE0EEENS1_30default_config_static_selectorELNS0_4arch9wavefront6targetE0EEEvT1_,comdat
	.protected	_ZN7rocprim17ROCPRIM_400000_NS6detail17trampoline_kernelINS0_14default_configENS1_29reduce_by_key_config_selectorIssN6thrust23THRUST_200600_302600_NS4plusIsEEEEZZNS1_33reduce_by_key_impl_wrapped_configILNS1_25lookback_scan_determinismE0ES3_S9_NS6_6detail15normal_iteratorINS6_10device_ptrIsEEEESG_SG_SG_PmS8_22is_equal_div_10_reduceIsEEE10hipError_tPvRmT2_T3_mT4_T5_T6_T7_T8_P12ihipStream_tbENKUlT_T0_E_clISt17integral_constantIbLb0EES11_EEDaSW_SX_EUlSW_E_NS1_11comp_targetILNS1_3genE0ELNS1_11target_archE4294967295ELNS1_3gpuE0ELNS1_3repE0EEENS1_30default_config_static_selectorELNS0_4arch9wavefront6targetE0EEEvT1_ ; -- Begin function _ZN7rocprim17ROCPRIM_400000_NS6detail17trampoline_kernelINS0_14default_configENS1_29reduce_by_key_config_selectorIssN6thrust23THRUST_200600_302600_NS4plusIsEEEEZZNS1_33reduce_by_key_impl_wrapped_configILNS1_25lookback_scan_determinismE0ES3_S9_NS6_6detail15normal_iteratorINS6_10device_ptrIsEEEESG_SG_SG_PmS8_22is_equal_div_10_reduceIsEEE10hipError_tPvRmT2_T3_mT4_T5_T6_T7_T8_P12ihipStream_tbENKUlT_T0_E_clISt17integral_constantIbLb0EES11_EEDaSW_SX_EUlSW_E_NS1_11comp_targetILNS1_3genE0ELNS1_11target_archE4294967295ELNS1_3gpuE0ELNS1_3repE0EEENS1_30default_config_static_selectorELNS0_4arch9wavefront6targetE0EEEvT1_
	.globl	_ZN7rocprim17ROCPRIM_400000_NS6detail17trampoline_kernelINS0_14default_configENS1_29reduce_by_key_config_selectorIssN6thrust23THRUST_200600_302600_NS4plusIsEEEEZZNS1_33reduce_by_key_impl_wrapped_configILNS1_25lookback_scan_determinismE0ES3_S9_NS6_6detail15normal_iteratorINS6_10device_ptrIsEEEESG_SG_SG_PmS8_22is_equal_div_10_reduceIsEEE10hipError_tPvRmT2_T3_mT4_T5_T6_T7_T8_P12ihipStream_tbENKUlT_T0_E_clISt17integral_constantIbLb0EES11_EEDaSW_SX_EUlSW_E_NS1_11comp_targetILNS1_3genE0ELNS1_11target_archE4294967295ELNS1_3gpuE0ELNS1_3repE0EEENS1_30default_config_static_selectorELNS0_4arch9wavefront6targetE0EEEvT1_
	.p2align	8
	.type	_ZN7rocprim17ROCPRIM_400000_NS6detail17trampoline_kernelINS0_14default_configENS1_29reduce_by_key_config_selectorIssN6thrust23THRUST_200600_302600_NS4plusIsEEEEZZNS1_33reduce_by_key_impl_wrapped_configILNS1_25lookback_scan_determinismE0ES3_S9_NS6_6detail15normal_iteratorINS6_10device_ptrIsEEEESG_SG_SG_PmS8_22is_equal_div_10_reduceIsEEE10hipError_tPvRmT2_T3_mT4_T5_T6_T7_T8_P12ihipStream_tbENKUlT_T0_E_clISt17integral_constantIbLb0EES11_EEDaSW_SX_EUlSW_E_NS1_11comp_targetILNS1_3genE0ELNS1_11target_archE4294967295ELNS1_3gpuE0ELNS1_3repE0EEENS1_30default_config_static_selectorELNS0_4arch9wavefront6targetE0EEEvT1_,@function
_ZN7rocprim17ROCPRIM_400000_NS6detail17trampoline_kernelINS0_14default_configENS1_29reduce_by_key_config_selectorIssN6thrust23THRUST_200600_302600_NS4plusIsEEEEZZNS1_33reduce_by_key_impl_wrapped_configILNS1_25lookback_scan_determinismE0ES3_S9_NS6_6detail15normal_iteratorINS6_10device_ptrIsEEEESG_SG_SG_PmS8_22is_equal_div_10_reduceIsEEE10hipError_tPvRmT2_T3_mT4_T5_T6_T7_T8_P12ihipStream_tbENKUlT_T0_E_clISt17integral_constantIbLb0EES11_EEDaSW_SX_EUlSW_E_NS1_11comp_targetILNS1_3genE0ELNS1_11target_archE4294967295ELNS1_3gpuE0ELNS1_3repE0EEENS1_30default_config_static_selectorELNS0_4arch9wavefront6targetE0EEEvT1_: ; @_ZN7rocprim17ROCPRIM_400000_NS6detail17trampoline_kernelINS0_14default_configENS1_29reduce_by_key_config_selectorIssN6thrust23THRUST_200600_302600_NS4plusIsEEEEZZNS1_33reduce_by_key_impl_wrapped_configILNS1_25lookback_scan_determinismE0ES3_S9_NS6_6detail15normal_iteratorINS6_10device_ptrIsEEEESG_SG_SG_PmS8_22is_equal_div_10_reduceIsEEE10hipError_tPvRmT2_T3_mT4_T5_T6_T7_T8_P12ihipStream_tbENKUlT_T0_E_clISt17integral_constantIbLb0EES11_EEDaSW_SX_EUlSW_E_NS1_11comp_targetILNS1_3genE0ELNS1_11target_archE4294967295ELNS1_3gpuE0ELNS1_3repE0EEENS1_30default_config_static_selectorELNS0_4arch9wavefront6targetE0EEEvT1_
; %bb.0:
	.section	.rodata,"a",@progbits
	.p2align	6, 0x0
	.amdhsa_kernel _ZN7rocprim17ROCPRIM_400000_NS6detail17trampoline_kernelINS0_14default_configENS1_29reduce_by_key_config_selectorIssN6thrust23THRUST_200600_302600_NS4plusIsEEEEZZNS1_33reduce_by_key_impl_wrapped_configILNS1_25lookback_scan_determinismE0ES3_S9_NS6_6detail15normal_iteratorINS6_10device_ptrIsEEEESG_SG_SG_PmS8_22is_equal_div_10_reduceIsEEE10hipError_tPvRmT2_T3_mT4_T5_T6_T7_T8_P12ihipStream_tbENKUlT_T0_E_clISt17integral_constantIbLb0EES11_EEDaSW_SX_EUlSW_E_NS1_11comp_targetILNS1_3genE0ELNS1_11target_archE4294967295ELNS1_3gpuE0ELNS1_3repE0EEENS1_30default_config_static_selectorELNS0_4arch9wavefront6targetE0EEEvT1_
		.amdhsa_group_segment_fixed_size 0
		.amdhsa_private_segment_fixed_size 0
		.amdhsa_kernarg_size 120
		.amdhsa_user_sgpr_count 15
		.amdhsa_user_sgpr_dispatch_ptr 0
		.amdhsa_user_sgpr_queue_ptr 0
		.amdhsa_user_sgpr_kernarg_segment_ptr 1
		.amdhsa_user_sgpr_dispatch_id 0
		.amdhsa_user_sgpr_private_segment_size 0
		.amdhsa_wavefront_size32 1
		.amdhsa_uses_dynamic_stack 0
		.amdhsa_enable_private_segment 0
		.amdhsa_system_sgpr_workgroup_id_x 1
		.amdhsa_system_sgpr_workgroup_id_y 0
		.amdhsa_system_sgpr_workgroup_id_z 0
		.amdhsa_system_sgpr_workgroup_info 0
		.amdhsa_system_vgpr_workitem_id 0
		.amdhsa_next_free_vgpr 1
		.amdhsa_next_free_sgpr 1
		.amdhsa_reserve_vcc 0
		.amdhsa_float_round_mode_32 0
		.amdhsa_float_round_mode_16_64 0
		.amdhsa_float_denorm_mode_32 3
		.amdhsa_float_denorm_mode_16_64 3
		.amdhsa_dx10_clamp 1
		.amdhsa_ieee_mode 1
		.amdhsa_fp16_overflow 0
		.amdhsa_workgroup_processor_mode 1
		.amdhsa_memory_ordered 1
		.amdhsa_forward_progress 0
		.amdhsa_shared_vgpr_count 0
		.amdhsa_exception_fp_ieee_invalid_op 0
		.amdhsa_exception_fp_denorm_src 0
		.amdhsa_exception_fp_ieee_div_zero 0
		.amdhsa_exception_fp_ieee_overflow 0
		.amdhsa_exception_fp_ieee_underflow 0
		.amdhsa_exception_fp_ieee_inexact 0
		.amdhsa_exception_int_div_zero 0
	.end_amdhsa_kernel
	.section	.text._ZN7rocprim17ROCPRIM_400000_NS6detail17trampoline_kernelINS0_14default_configENS1_29reduce_by_key_config_selectorIssN6thrust23THRUST_200600_302600_NS4plusIsEEEEZZNS1_33reduce_by_key_impl_wrapped_configILNS1_25lookback_scan_determinismE0ES3_S9_NS6_6detail15normal_iteratorINS6_10device_ptrIsEEEESG_SG_SG_PmS8_22is_equal_div_10_reduceIsEEE10hipError_tPvRmT2_T3_mT4_T5_T6_T7_T8_P12ihipStream_tbENKUlT_T0_E_clISt17integral_constantIbLb0EES11_EEDaSW_SX_EUlSW_E_NS1_11comp_targetILNS1_3genE0ELNS1_11target_archE4294967295ELNS1_3gpuE0ELNS1_3repE0EEENS1_30default_config_static_selectorELNS0_4arch9wavefront6targetE0EEEvT1_,"axG",@progbits,_ZN7rocprim17ROCPRIM_400000_NS6detail17trampoline_kernelINS0_14default_configENS1_29reduce_by_key_config_selectorIssN6thrust23THRUST_200600_302600_NS4plusIsEEEEZZNS1_33reduce_by_key_impl_wrapped_configILNS1_25lookback_scan_determinismE0ES3_S9_NS6_6detail15normal_iteratorINS6_10device_ptrIsEEEESG_SG_SG_PmS8_22is_equal_div_10_reduceIsEEE10hipError_tPvRmT2_T3_mT4_T5_T6_T7_T8_P12ihipStream_tbENKUlT_T0_E_clISt17integral_constantIbLb0EES11_EEDaSW_SX_EUlSW_E_NS1_11comp_targetILNS1_3genE0ELNS1_11target_archE4294967295ELNS1_3gpuE0ELNS1_3repE0EEENS1_30default_config_static_selectorELNS0_4arch9wavefront6targetE0EEEvT1_,comdat
.Lfunc_end661:
	.size	_ZN7rocprim17ROCPRIM_400000_NS6detail17trampoline_kernelINS0_14default_configENS1_29reduce_by_key_config_selectorIssN6thrust23THRUST_200600_302600_NS4plusIsEEEEZZNS1_33reduce_by_key_impl_wrapped_configILNS1_25lookback_scan_determinismE0ES3_S9_NS6_6detail15normal_iteratorINS6_10device_ptrIsEEEESG_SG_SG_PmS8_22is_equal_div_10_reduceIsEEE10hipError_tPvRmT2_T3_mT4_T5_T6_T7_T8_P12ihipStream_tbENKUlT_T0_E_clISt17integral_constantIbLb0EES11_EEDaSW_SX_EUlSW_E_NS1_11comp_targetILNS1_3genE0ELNS1_11target_archE4294967295ELNS1_3gpuE0ELNS1_3repE0EEENS1_30default_config_static_selectorELNS0_4arch9wavefront6targetE0EEEvT1_, .Lfunc_end661-_ZN7rocprim17ROCPRIM_400000_NS6detail17trampoline_kernelINS0_14default_configENS1_29reduce_by_key_config_selectorIssN6thrust23THRUST_200600_302600_NS4plusIsEEEEZZNS1_33reduce_by_key_impl_wrapped_configILNS1_25lookback_scan_determinismE0ES3_S9_NS6_6detail15normal_iteratorINS6_10device_ptrIsEEEESG_SG_SG_PmS8_22is_equal_div_10_reduceIsEEE10hipError_tPvRmT2_T3_mT4_T5_T6_T7_T8_P12ihipStream_tbENKUlT_T0_E_clISt17integral_constantIbLb0EES11_EEDaSW_SX_EUlSW_E_NS1_11comp_targetILNS1_3genE0ELNS1_11target_archE4294967295ELNS1_3gpuE0ELNS1_3repE0EEENS1_30default_config_static_selectorELNS0_4arch9wavefront6targetE0EEEvT1_
                                        ; -- End function
	.section	.AMDGPU.csdata,"",@progbits
; Kernel info:
; codeLenInByte = 0
; NumSgprs: 0
; NumVgprs: 0
; ScratchSize: 0
; MemoryBound: 0
; FloatMode: 240
; IeeeMode: 1
; LDSByteSize: 0 bytes/workgroup (compile time only)
; SGPRBlocks: 0
; VGPRBlocks: 0
; NumSGPRsForWavesPerEU: 1
; NumVGPRsForWavesPerEU: 1
; Occupancy: 16
; WaveLimiterHint : 0
; COMPUTE_PGM_RSRC2:SCRATCH_EN: 0
; COMPUTE_PGM_RSRC2:USER_SGPR: 15
; COMPUTE_PGM_RSRC2:TRAP_HANDLER: 0
; COMPUTE_PGM_RSRC2:TGID_X_EN: 1
; COMPUTE_PGM_RSRC2:TGID_Y_EN: 0
; COMPUTE_PGM_RSRC2:TGID_Z_EN: 0
; COMPUTE_PGM_RSRC2:TIDIG_COMP_CNT: 0
	.section	.text._ZN7rocprim17ROCPRIM_400000_NS6detail17trampoline_kernelINS0_14default_configENS1_29reduce_by_key_config_selectorIssN6thrust23THRUST_200600_302600_NS4plusIsEEEEZZNS1_33reduce_by_key_impl_wrapped_configILNS1_25lookback_scan_determinismE0ES3_S9_NS6_6detail15normal_iteratorINS6_10device_ptrIsEEEESG_SG_SG_PmS8_22is_equal_div_10_reduceIsEEE10hipError_tPvRmT2_T3_mT4_T5_T6_T7_T8_P12ihipStream_tbENKUlT_T0_E_clISt17integral_constantIbLb0EES11_EEDaSW_SX_EUlSW_E_NS1_11comp_targetILNS1_3genE5ELNS1_11target_archE942ELNS1_3gpuE9ELNS1_3repE0EEENS1_30default_config_static_selectorELNS0_4arch9wavefront6targetE0EEEvT1_,"axG",@progbits,_ZN7rocprim17ROCPRIM_400000_NS6detail17trampoline_kernelINS0_14default_configENS1_29reduce_by_key_config_selectorIssN6thrust23THRUST_200600_302600_NS4plusIsEEEEZZNS1_33reduce_by_key_impl_wrapped_configILNS1_25lookback_scan_determinismE0ES3_S9_NS6_6detail15normal_iteratorINS6_10device_ptrIsEEEESG_SG_SG_PmS8_22is_equal_div_10_reduceIsEEE10hipError_tPvRmT2_T3_mT4_T5_T6_T7_T8_P12ihipStream_tbENKUlT_T0_E_clISt17integral_constantIbLb0EES11_EEDaSW_SX_EUlSW_E_NS1_11comp_targetILNS1_3genE5ELNS1_11target_archE942ELNS1_3gpuE9ELNS1_3repE0EEENS1_30default_config_static_selectorELNS0_4arch9wavefront6targetE0EEEvT1_,comdat
	.protected	_ZN7rocprim17ROCPRIM_400000_NS6detail17trampoline_kernelINS0_14default_configENS1_29reduce_by_key_config_selectorIssN6thrust23THRUST_200600_302600_NS4plusIsEEEEZZNS1_33reduce_by_key_impl_wrapped_configILNS1_25lookback_scan_determinismE0ES3_S9_NS6_6detail15normal_iteratorINS6_10device_ptrIsEEEESG_SG_SG_PmS8_22is_equal_div_10_reduceIsEEE10hipError_tPvRmT2_T3_mT4_T5_T6_T7_T8_P12ihipStream_tbENKUlT_T0_E_clISt17integral_constantIbLb0EES11_EEDaSW_SX_EUlSW_E_NS1_11comp_targetILNS1_3genE5ELNS1_11target_archE942ELNS1_3gpuE9ELNS1_3repE0EEENS1_30default_config_static_selectorELNS0_4arch9wavefront6targetE0EEEvT1_ ; -- Begin function _ZN7rocprim17ROCPRIM_400000_NS6detail17trampoline_kernelINS0_14default_configENS1_29reduce_by_key_config_selectorIssN6thrust23THRUST_200600_302600_NS4plusIsEEEEZZNS1_33reduce_by_key_impl_wrapped_configILNS1_25lookback_scan_determinismE0ES3_S9_NS6_6detail15normal_iteratorINS6_10device_ptrIsEEEESG_SG_SG_PmS8_22is_equal_div_10_reduceIsEEE10hipError_tPvRmT2_T3_mT4_T5_T6_T7_T8_P12ihipStream_tbENKUlT_T0_E_clISt17integral_constantIbLb0EES11_EEDaSW_SX_EUlSW_E_NS1_11comp_targetILNS1_3genE5ELNS1_11target_archE942ELNS1_3gpuE9ELNS1_3repE0EEENS1_30default_config_static_selectorELNS0_4arch9wavefront6targetE0EEEvT1_
	.globl	_ZN7rocprim17ROCPRIM_400000_NS6detail17trampoline_kernelINS0_14default_configENS1_29reduce_by_key_config_selectorIssN6thrust23THRUST_200600_302600_NS4plusIsEEEEZZNS1_33reduce_by_key_impl_wrapped_configILNS1_25lookback_scan_determinismE0ES3_S9_NS6_6detail15normal_iteratorINS6_10device_ptrIsEEEESG_SG_SG_PmS8_22is_equal_div_10_reduceIsEEE10hipError_tPvRmT2_T3_mT4_T5_T6_T7_T8_P12ihipStream_tbENKUlT_T0_E_clISt17integral_constantIbLb0EES11_EEDaSW_SX_EUlSW_E_NS1_11comp_targetILNS1_3genE5ELNS1_11target_archE942ELNS1_3gpuE9ELNS1_3repE0EEENS1_30default_config_static_selectorELNS0_4arch9wavefront6targetE0EEEvT1_
	.p2align	8
	.type	_ZN7rocprim17ROCPRIM_400000_NS6detail17trampoline_kernelINS0_14default_configENS1_29reduce_by_key_config_selectorIssN6thrust23THRUST_200600_302600_NS4plusIsEEEEZZNS1_33reduce_by_key_impl_wrapped_configILNS1_25lookback_scan_determinismE0ES3_S9_NS6_6detail15normal_iteratorINS6_10device_ptrIsEEEESG_SG_SG_PmS8_22is_equal_div_10_reduceIsEEE10hipError_tPvRmT2_T3_mT4_T5_T6_T7_T8_P12ihipStream_tbENKUlT_T0_E_clISt17integral_constantIbLb0EES11_EEDaSW_SX_EUlSW_E_NS1_11comp_targetILNS1_3genE5ELNS1_11target_archE942ELNS1_3gpuE9ELNS1_3repE0EEENS1_30default_config_static_selectorELNS0_4arch9wavefront6targetE0EEEvT1_,@function
_ZN7rocprim17ROCPRIM_400000_NS6detail17trampoline_kernelINS0_14default_configENS1_29reduce_by_key_config_selectorIssN6thrust23THRUST_200600_302600_NS4plusIsEEEEZZNS1_33reduce_by_key_impl_wrapped_configILNS1_25lookback_scan_determinismE0ES3_S9_NS6_6detail15normal_iteratorINS6_10device_ptrIsEEEESG_SG_SG_PmS8_22is_equal_div_10_reduceIsEEE10hipError_tPvRmT2_T3_mT4_T5_T6_T7_T8_P12ihipStream_tbENKUlT_T0_E_clISt17integral_constantIbLb0EES11_EEDaSW_SX_EUlSW_E_NS1_11comp_targetILNS1_3genE5ELNS1_11target_archE942ELNS1_3gpuE9ELNS1_3repE0EEENS1_30default_config_static_selectorELNS0_4arch9wavefront6targetE0EEEvT1_: ; @_ZN7rocprim17ROCPRIM_400000_NS6detail17trampoline_kernelINS0_14default_configENS1_29reduce_by_key_config_selectorIssN6thrust23THRUST_200600_302600_NS4plusIsEEEEZZNS1_33reduce_by_key_impl_wrapped_configILNS1_25lookback_scan_determinismE0ES3_S9_NS6_6detail15normal_iteratorINS6_10device_ptrIsEEEESG_SG_SG_PmS8_22is_equal_div_10_reduceIsEEE10hipError_tPvRmT2_T3_mT4_T5_T6_T7_T8_P12ihipStream_tbENKUlT_T0_E_clISt17integral_constantIbLb0EES11_EEDaSW_SX_EUlSW_E_NS1_11comp_targetILNS1_3genE5ELNS1_11target_archE942ELNS1_3gpuE9ELNS1_3repE0EEENS1_30default_config_static_selectorELNS0_4arch9wavefront6targetE0EEEvT1_
; %bb.0:
	.section	.rodata,"a",@progbits
	.p2align	6, 0x0
	.amdhsa_kernel _ZN7rocprim17ROCPRIM_400000_NS6detail17trampoline_kernelINS0_14default_configENS1_29reduce_by_key_config_selectorIssN6thrust23THRUST_200600_302600_NS4plusIsEEEEZZNS1_33reduce_by_key_impl_wrapped_configILNS1_25lookback_scan_determinismE0ES3_S9_NS6_6detail15normal_iteratorINS6_10device_ptrIsEEEESG_SG_SG_PmS8_22is_equal_div_10_reduceIsEEE10hipError_tPvRmT2_T3_mT4_T5_T6_T7_T8_P12ihipStream_tbENKUlT_T0_E_clISt17integral_constantIbLb0EES11_EEDaSW_SX_EUlSW_E_NS1_11comp_targetILNS1_3genE5ELNS1_11target_archE942ELNS1_3gpuE9ELNS1_3repE0EEENS1_30default_config_static_selectorELNS0_4arch9wavefront6targetE0EEEvT1_
		.amdhsa_group_segment_fixed_size 0
		.amdhsa_private_segment_fixed_size 0
		.amdhsa_kernarg_size 120
		.amdhsa_user_sgpr_count 15
		.amdhsa_user_sgpr_dispatch_ptr 0
		.amdhsa_user_sgpr_queue_ptr 0
		.amdhsa_user_sgpr_kernarg_segment_ptr 1
		.amdhsa_user_sgpr_dispatch_id 0
		.amdhsa_user_sgpr_private_segment_size 0
		.amdhsa_wavefront_size32 1
		.amdhsa_uses_dynamic_stack 0
		.amdhsa_enable_private_segment 0
		.amdhsa_system_sgpr_workgroup_id_x 1
		.amdhsa_system_sgpr_workgroup_id_y 0
		.amdhsa_system_sgpr_workgroup_id_z 0
		.amdhsa_system_sgpr_workgroup_info 0
		.amdhsa_system_vgpr_workitem_id 0
		.amdhsa_next_free_vgpr 1
		.amdhsa_next_free_sgpr 1
		.amdhsa_reserve_vcc 0
		.amdhsa_float_round_mode_32 0
		.amdhsa_float_round_mode_16_64 0
		.amdhsa_float_denorm_mode_32 3
		.amdhsa_float_denorm_mode_16_64 3
		.amdhsa_dx10_clamp 1
		.amdhsa_ieee_mode 1
		.amdhsa_fp16_overflow 0
		.amdhsa_workgroup_processor_mode 1
		.amdhsa_memory_ordered 1
		.amdhsa_forward_progress 0
		.amdhsa_shared_vgpr_count 0
		.amdhsa_exception_fp_ieee_invalid_op 0
		.amdhsa_exception_fp_denorm_src 0
		.amdhsa_exception_fp_ieee_div_zero 0
		.amdhsa_exception_fp_ieee_overflow 0
		.amdhsa_exception_fp_ieee_underflow 0
		.amdhsa_exception_fp_ieee_inexact 0
		.amdhsa_exception_int_div_zero 0
	.end_amdhsa_kernel
	.section	.text._ZN7rocprim17ROCPRIM_400000_NS6detail17trampoline_kernelINS0_14default_configENS1_29reduce_by_key_config_selectorIssN6thrust23THRUST_200600_302600_NS4plusIsEEEEZZNS1_33reduce_by_key_impl_wrapped_configILNS1_25lookback_scan_determinismE0ES3_S9_NS6_6detail15normal_iteratorINS6_10device_ptrIsEEEESG_SG_SG_PmS8_22is_equal_div_10_reduceIsEEE10hipError_tPvRmT2_T3_mT4_T5_T6_T7_T8_P12ihipStream_tbENKUlT_T0_E_clISt17integral_constantIbLb0EES11_EEDaSW_SX_EUlSW_E_NS1_11comp_targetILNS1_3genE5ELNS1_11target_archE942ELNS1_3gpuE9ELNS1_3repE0EEENS1_30default_config_static_selectorELNS0_4arch9wavefront6targetE0EEEvT1_,"axG",@progbits,_ZN7rocprim17ROCPRIM_400000_NS6detail17trampoline_kernelINS0_14default_configENS1_29reduce_by_key_config_selectorIssN6thrust23THRUST_200600_302600_NS4plusIsEEEEZZNS1_33reduce_by_key_impl_wrapped_configILNS1_25lookback_scan_determinismE0ES3_S9_NS6_6detail15normal_iteratorINS6_10device_ptrIsEEEESG_SG_SG_PmS8_22is_equal_div_10_reduceIsEEE10hipError_tPvRmT2_T3_mT4_T5_T6_T7_T8_P12ihipStream_tbENKUlT_T0_E_clISt17integral_constantIbLb0EES11_EEDaSW_SX_EUlSW_E_NS1_11comp_targetILNS1_3genE5ELNS1_11target_archE942ELNS1_3gpuE9ELNS1_3repE0EEENS1_30default_config_static_selectorELNS0_4arch9wavefront6targetE0EEEvT1_,comdat
.Lfunc_end662:
	.size	_ZN7rocprim17ROCPRIM_400000_NS6detail17trampoline_kernelINS0_14default_configENS1_29reduce_by_key_config_selectorIssN6thrust23THRUST_200600_302600_NS4plusIsEEEEZZNS1_33reduce_by_key_impl_wrapped_configILNS1_25lookback_scan_determinismE0ES3_S9_NS6_6detail15normal_iteratorINS6_10device_ptrIsEEEESG_SG_SG_PmS8_22is_equal_div_10_reduceIsEEE10hipError_tPvRmT2_T3_mT4_T5_T6_T7_T8_P12ihipStream_tbENKUlT_T0_E_clISt17integral_constantIbLb0EES11_EEDaSW_SX_EUlSW_E_NS1_11comp_targetILNS1_3genE5ELNS1_11target_archE942ELNS1_3gpuE9ELNS1_3repE0EEENS1_30default_config_static_selectorELNS0_4arch9wavefront6targetE0EEEvT1_, .Lfunc_end662-_ZN7rocprim17ROCPRIM_400000_NS6detail17trampoline_kernelINS0_14default_configENS1_29reduce_by_key_config_selectorIssN6thrust23THRUST_200600_302600_NS4plusIsEEEEZZNS1_33reduce_by_key_impl_wrapped_configILNS1_25lookback_scan_determinismE0ES3_S9_NS6_6detail15normal_iteratorINS6_10device_ptrIsEEEESG_SG_SG_PmS8_22is_equal_div_10_reduceIsEEE10hipError_tPvRmT2_T3_mT4_T5_T6_T7_T8_P12ihipStream_tbENKUlT_T0_E_clISt17integral_constantIbLb0EES11_EEDaSW_SX_EUlSW_E_NS1_11comp_targetILNS1_3genE5ELNS1_11target_archE942ELNS1_3gpuE9ELNS1_3repE0EEENS1_30default_config_static_selectorELNS0_4arch9wavefront6targetE0EEEvT1_
                                        ; -- End function
	.section	.AMDGPU.csdata,"",@progbits
; Kernel info:
; codeLenInByte = 0
; NumSgprs: 0
; NumVgprs: 0
; ScratchSize: 0
; MemoryBound: 0
; FloatMode: 240
; IeeeMode: 1
; LDSByteSize: 0 bytes/workgroup (compile time only)
; SGPRBlocks: 0
; VGPRBlocks: 0
; NumSGPRsForWavesPerEU: 1
; NumVGPRsForWavesPerEU: 1
; Occupancy: 16
; WaveLimiterHint : 0
; COMPUTE_PGM_RSRC2:SCRATCH_EN: 0
; COMPUTE_PGM_RSRC2:USER_SGPR: 15
; COMPUTE_PGM_RSRC2:TRAP_HANDLER: 0
; COMPUTE_PGM_RSRC2:TGID_X_EN: 1
; COMPUTE_PGM_RSRC2:TGID_Y_EN: 0
; COMPUTE_PGM_RSRC2:TGID_Z_EN: 0
; COMPUTE_PGM_RSRC2:TIDIG_COMP_CNT: 0
	.section	.text._ZN7rocprim17ROCPRIM_400000_NS6detail17trampoline_kernelINS0_14default_configENS1_29reduce_by_key_config_selectorIssN6thrust23THRUST_200600_302600_NS4plusIsEEEEZZNS1_33reduce_by_key_impl_wrapped_configILNS1_25lookback_scan_determinismE0ES3_S9_NS6_6detail15normal_iteratorINS6_10device_ptrIsEEEESG_SG_SG_PmS8_22is_equal_div_10_reduceIsEEE10hipError_tPvRmT2_T3_mT4_T5_T6_T7_T8_P12ihipStream_tbENKUlT_T0_E_clISt17integral_constantIbLb0EES11_EEDaSW_SX_EUlSW_E_NS1_11comp_targetILNS1_3genE4ELNS1_11target_archE910ELNS1_3gpuE8ELNS1_3repE0EEENS1_30default_config_static_selectorELNS0_4arch9wavefront6targetE0EEEvT1_,"axG",@progbits,_ZN7rocprim17ROCPRIM_400000_NS6detail17trampoline_kernelINS0_14default_configENS1_29reduce_by_key_config_selectorIssN6thrust23THRUST_200600_302600_NS4plusIsEEEEZZNS1_33reduce_by_key_impl_wrapped_configILNS1_25lookback_scan_determinismE0ES3_S9_NS6_6detail15normal_iteratorINS6_10device_ptrIsEEEESG_SG_SG_PmS8_22is_equal_div_10_reduceIsEEE10hipError_tPvRmT2_T3_mT4_T5_T6_T7_T8_P12ihipStream_tbENKUlT_T0_E_clISt17integral_constantIbLb0EES11_EEDaSW_SX_EUlSW_E_NS1_11comp_targetILNS1_3genE4ELNS1_11target_archE910ELNS1_3gpuE8ELNS1_3repE0EEENS1_30default_config_static_selectorELNS0_4arch9wavefront6targetE0EEEvT1_,comdat
	.protected	_ZN7rocprim17ROCPRIM_400000_NS6detail17trampoline_kernelINS0_14default_configENS1_29reduce_by_key_config_selectorIssN6thrust23THRUST_200600_302600_NS4plusIsEEEEZZNS1_33reduce_by_key_impl_wrapped_configILNS1_25lookback_scan_determinismE0ES3_S9_NS6_6detail15normal_iteratorINS6_10device_ptrIsEEEESG_SG_SG_PmS8_22is_equal_div_10_reduceIsEEE10hipError_tPvRmT2_T3_mT4_T5_T6_T7_T8_P12ihipStream_tbENKUlT_T0_E_clISt17integral_constantIbLb0EES11_EEDaSW_SX_EUlSW_E_NS1_11comp_targetILNS1_3genE4ELNS1_11target_archE910ELNS1_3gpuE8ELNS1_3repE0EEENS1_30default_config_static_selectorELNS0_4arch9wavefront6targetE0EEEvT1_ ; -- Begin function _ZN7rocprim17ROCPRIM_400000_NS6detail17trampoline_kernelINS0_14default_configENS1_29reduce_by_key_config_selectorIssN6thrust23THRUST_200600_302600_NS4plusIsEEEEZZNS1_33reduce_by_key_impl_wrapped_configILNS1_25lookback_scan_determinismE0ES3_S9_NS6_6detail15normal_iteratorINS6_10device_ptrIsEEEESG_SG_SG_PmS8_22is_equal_div_10_reduceIsEEE10hipError_tPvRmT2_T3_mT4_T5_T6_T7_T8_P12ihipStream_tbENKUlT_T0_E_clISt17integral_constantIbLb0EES11_EEDaSW_SX_EUlSW_E_NS1_11comp_targetILNS1_3genE4ELNS1_11target_archE910ELNS1_3gpuE8ELNS1_3repE0EEENS1_30default_config_static_selectorELNS0_4arch9wavefront6targetE0EEEvT1_
	.globl	_ZN7rocprim17ROCPRIM_400000_NS6detail17trampoline_kernelINS0_14default_configENS1_29reduce_by_key_config_selectorIssN6thrust23THRUST_200600_302600_NS4plusIsEEEEZZNS1_33reduce_by_key_impl_wrapped_configILNS1_25lookback_scan_determinismE0ES3_S9_NS6_6detail15normal_iteratorINS6_10device_ptrIsEEEESG_SG_SG_PmS8_22is_equal_div_10_reduceIsEEE10hipError_tPvRmT2_T3_mT4_T5_T6_T7_T8_P12ihipStream_tbENKUlT_T0_E_clISt17integral_constantIbLb0EES11_EEDaSW_SX_EUlSW_E_NS1_11comp_targetILNS1_3genE4ELNS1_11target_archE910ELNS1_3gpuE8ELNS1_3repE0EEENS1_30default_config_static_selectorELNS0_4arch9wavefront6targetE0EEEvT1_
	.p2align	8
	.type	_ZN7rocprim17ROCPRIM_400000_NS6detail17trampoline_kernelINS0_14default_configENS1_29reduce_by_key_config_selectorIssN6thrust23THRUST_200600_302600_NS4plusIsEEEEZZNS1_33reduce_by_key_impl_wrapped_configILNS1_25lookback_scan_determinismE0ES3_S9_NS6_6detail15normal_iteratorINS6_10device_ptrIsEEEESG_SG_SG_PmS8_22is_equal_div_10_reduceIsEEE10hipError_tPvRmT2_T3_mT4_T5_T6_T7_T8_P12ihipStream_tbENKUlT_T0_E_clISt17integral_constantIbLb0EES11_EEDaSW_SX_EUlSW_E_NS1_11comp_targetILNS1_3genE4ELNS1_11target_archE910ELNS1_3gpuE8ELNS1_3repE0EEENS1_30default_config_static_selectorELNS0_4arch9wavefront6targetE0EEEvT1_,@function
_ZN7rocprim17ROCPRIM_400000_NS6detail17trampoline_kernelINS0_14default_configENS1_29reduce_by_key_config_selectorIssN6thrust23THRUST_200600_302600_NS4plusIsEEEEZZNS1_33reduce_by_key_impl_wrapped_configILNS1_25lookback_scan_determinismE0ES3_S9_NS6_6detail15normal_iteratorINS6_10device_ptrIsEEEESG_SG_SG_PmS8_22is_equal_div_10_reduceIsEEE10hipError_tPvRmT2_T3_mT4_T5_T6_T7_T8_P12ihipStream_tbENKUlT_T0_E_clISt17integral_constantIbLb0EES11_EEDaSW_SX_EUlSW_E_NS1_11comp_targetILNS1_3genE4ELNS1_11target_archE910ELNS1_3gpuE8ELNS1_3repE0EEENS1_30default_config_static_selectorELNS0_4arch9wavefront6targetE0EEEvT1_: ; @_ZN7rocprim17ROCPRIM_400000_NS6detail17trampoline_kernelINS0_14default_configENS1_29reduce_by_key_config_selectorIssN6thrust23THRUST_200600_302600_NS4plusIsEEEEZZNS1_33reduce_by_key_impl_wrapped_configILNS1_25lookback_scan_determinismE0ES3_S9_NS6_6detail15normal_iteratorINS6_10device_ptrIsEEEESG_SG_SG_PmS8_22is_equal_div_10_reduceIsEEE10hipError_tPvRmT2_T3_mT4_T5_T6_T7_T8_P12ihipStream_tbENKUlT_T0_E_clISt17integral_constantIbLb0EES11_EEDaSW_SX_EUlSW_E_NS1_11comp_targetILNS1_3genE4ELNS1_11target_archE910ELNS1_3gpuE8ELNS1_3repE0EEENS1_30default_config_static_selectorELNS0_4arch9wavefront6targetE0EEEvT1_
; %bb.0:
	.section	.rodata,"a",@progbits
	.p2align	6, 0x0
	.amdhsa_kernel _ZN7rocprim17ROCPRIM_400000_NS6detail17trampoline_kernelINS0_14default_configENS1_29reduce_by_key_config_selectorIssN6thrust23THRUST_200600_302600_NS4plusIsEEEEZZNS1_33reduce_by_key_impl_wrapped_configILNS1_25lookback_scan_determinismE0ES3_S9_NS6_6detail15normal_iteratorINS6_10device_ptrIsEEEESG_SG_SG_PmS8_22is_equal_div_10_reduceIsEEE10hipError_tPvRmT2_T3_mT4_T5_T6_T7_T8_P12ihipStream_tbENKUlT_T0_E_clISt17integral_constantIbLb0EES11_EEDaSW_SX_EUlSW_E_NS1_11comp_targetILNS1_3genE4ELNS1_11target_archE910ELNS1_3gpuE8ELNS1_3repE0EEENS1_30default_config_static_selectorELNS0_4arch9wavefront6targetE0EEEvT1_
		.amdhsa_group_segment_fixed_size 0
		.amdhsa_private_segment_fixed_size 0
		.amdhsa_kernarg_size 120
		.amdhsa_user_sgpr_count 15
		.amdhsa_user_sgpr_dispatch_ptr 0
		.amdhsa_user_sgpr_queue_ptr 0
		.amdhsa_user_sgpr_kernarg_segment_ptr 1
		.amdhsa_user_sgpr_dispatch_id 0
		.amdhsa_user_sgpr_private_segment_size 0
		.amdhsa_wavefront_size32 1
		.amdhsa_uses_dynamic_stack 0
		.amdhsa_enable_private_segment 0
		.amdhsa_system_sgpr_workgroup_id_x 1
		.amdhsa_system_sgpr_workgroup_id_y 0
		.amdhsa_system_sgpr_workgroup_id_z 0
		.amdhsa_system_sgpr_workgroup_info 0
		.amdhsa_system_vgpr_workitem_id 0
		.amdhsa_next_free_vgpr 1
		.amdhsa_next_free_sgpr 1
		.amdhsa_reserve_vcc 0
		.amdhsa_float_round_mode_32 0
		.amdhsa_float_round_mode_16_64 0
		.amdhsa_float_denorm_mode_32 3
		.amdhsa_float_denorm_mode_16_64 3
		.amdhsa_dx10_clamp 1
		.amdhsa_ieee_mode 1
		.amdhsa_fp16_overflow 0
		.amdhsa_workgroup_processor_mode 1
		.amdhsa_memory_ordered 1
		.amdhsa_forward_progress 0
		.amdhsa_shared_vgpr_count 0
		.amdhsa_exception_fp_ieee_invalid_op 0
		.amdhsa_exception_fp_denorm_src 0
		.amdhsa_exception_fp_ieee_div_zero 0
		.amdhsa_exception_fp_ieee_overflow 0
		.amdhsa_exception_fp_ieee_underflow 0
		.amdhsa_exception_fp_ieee_inexact 0
		.amdhsa_exception_int_div_zero 0
	.end_amdhsa_kernel
	.section	.text._ZN7rocprim17ROCPRIM_400000_NS6detail17trampoline_kernelINS0_14default_configENS1_29reduce_by_key_config_selectorIssN6thrust23THRUST_200600_302600_NS4plusIsEEEEZZNS1_33reduce_by_key_impl_wrapped_configILNS1_25lookback_scan_determinismE0ES3_S9_NS6_6detail15normal_iteratorINS6_10device_ptrIsEEEESG_SG_SG_PmS8_22is_equal_div_10_reduceIsEEE10hipError_tPvRmT2_T3_mT4_T5_T6_T7_T8_P12ihipStream_tbENKUlT_T0_E_clISt17integral_constantIbLb0EES11_EEDaSW_SX_EUlSW_E_NS1_11comp_targetILNS1_3genE4ELNS1_11target_archE910ELNS1_3gpuE8ELNS1_3repE0EEENS1_30default_config_static_selectorELNS0_4arch9wavefront6targetE0EEEvT1_,"axG",@progbits,_ZN7rocprim17ROCPRIM_400000_NS6detail17trampoline_kernelINS0_14default_configENS1_29reduce_by_key_config_selectorIssN6thrust23THRUST_200600_302600_NS4plusIsEEEEZZNS1_33reduce_by_key_impl_wrapped_configILNS1_25lookback_scan_determinismE0ES3_S9_NS6_6detail15normal_iteratorINS6_10device_ptrIsEEEESG_SG_SG_PmS8_22is_equal_div_10_reduceIsEEE10hipError_tPvRmT2_T3_mT4_T5_T6_T7_T8_P12ihipStream_tbENKUlT_T0_E_clISt17integral_constantIbLb0EES11_EEDaSW_SX_EUlSW_E_NS1_11comp_targetILNS1_3genE4ELNS1_11target_archE910ELNS1_3gpuE8ELNS1_3repE0EEENS1_30default_config_static_selectorELNS0_4arch9wavefront6targetE0EEEvT1_,comdat
.Lfunc_end663:
	.size	_ZN7rocprim17ROCPRIM_400000_NS6detail17trampoline_kernelINS0_14default_configENS1_29reduce_by_key_config_selectorIssN6thrust23THRUST_200600_302600_NS4plusIsEEEEZZNS1_33reduce_by_key_impl_wrapped_configILNS1_25lookback_scan_determinismE0ES3_S9_NS6_6detail15normal_iteratorINS6_10device_ptrIsEEEESG_SG_SG_PmS8_22is_equal_div_10_reduceIsEEE10hipError_tPvRmT2_T3_mT4_T5_T6_T7_T8_P12ihipStream_tbENKUlT_T0_E_clISt17integral_constantIbLb0EES11_EEDaSW_SX_EUlSW_E_NS1_11comp_targetILNS1_3genE4ELNS1_11target_archE910ELNS1_3gpuE8ELNS1_3repE0EEENS1_30default_config_static_selectorELNS0_4arch9wavefront6targetE0EEEvT1_, .Lfunc_end663-_ZN7rocprim17ROCPRIM_400000_NS6detail17trampoline_kernelINS0_14default_configENS1_29reduce_by_key_config_selectorIssN6thrust23THRUST_200600_302600_NS4plusIsEEEEZZNS1_33reduce_by_key_impl_wrapped_configILNS1_25lookback_scan_determinismE0ES3_S9_NS6_6detail15normal_iteratorINS6_10device_ptrIsEEEESG_SG_SG_PmS8_22is_equal_div_10_reduceIsEEE10hipError_tPvRmT2_T3_mT4_T5_T6_T7_T8_P12ihipStream_tbENKUlT_T0_E_clISt17integral_constantIbLb0EES11_EEDaSW_SX_EUlSW_E_NS1_11comp_targetILNS1_3genE4ELNS1_11target_archE910ELNS1_3gpuE8ELNS1_3repE0EEENS1_30default_config_static_selectorELNS0_4arch9wavefront6targetE0EEEvT1_
                                        ; -- End function
	.section	.AMDGPU.csdata,"",@progbits
; Kernel info:
; codeLenInByte = 0
; NumSgprs: 0
; NumVgprs: 0
; ScratchSize: 0
; MemoryBound: 0
; FloatMode: 240
; IeeeMode: 1
; LDSByteSize: 0 bytes/workgroup (compile time only)
; SGPRBlocks: 0
; VGPRBlocks: 0
; NumSGPRsForWavesPerEU: 1
; NumVGPRsForWavesPerEU: 1
; Occupancy: 16
; WaveLimiterHint : 0
; COMPUTE_PGM_RSRC2:SCRATCH_EN: 0
; COMPUTE_PGM_RSRC2:USER_SGPR: 15
; COMPUTE_PGM_RSRC2:TRAP_HANDLER: 0
; COMPUTE_PGM_RSRC2:TGID_X_EN: 1
; COMPUTE_PGM_RSRC2:TGID_Y_EN: 0
; COMPUTE_PGM_RSRC2:TGID_Z_EN: 0
; COMPUTE_PGM_RSRC2:TIDIG_COMP_CNT: 0
	.section	.text._ZN7rocprim17ROCPRIM_400000_NS6detail17trampoline_kernelINS0_14default_configENS1_29reduce_by_key_config_selectorIssN6thrust23THRUST_200600_302600_NS4plusIsEEEEZZNS1_33reduce_by_key_impl_wrapped_configILNS1_25lookback_scan_determinismE0ES3_S9_NS6_6detail15normal_iteratorINS6_10device_ptrIsEEEESG_SG_SG_PmS8_22is_equal_div_10_reduceIsEEE10hipError_tPvRmT2_T3_mT4_T5_T6_T7_T8_P12ihipStream_tbENKUlT_T0_E_clISt17integral_constantIbLb0EES11_EEDaSW_SX_EUlSW_E_NS1_11comp_targetILNS1_3genE3ELNS1_11target_archE908ELNS1_3gpuE7ELNS1_3repE0EEENS1_30default_config_static_selectorELNS0_4arch9wavefront6targetE0EEEvT1_,"axG",@progbits,_ZN7rocprim17ROCPRIM_400000_NS6detail17trampoline_kernelINS0_14default_configENS1_29reduce_by_key_config_selectorIssN6thrust23THRUST_200600_302600_NS4plusIsEEEEZZNS1_33reduce_by_key_impl_wrapped_configILNS1_25lookback_scan_determinismE0ES3_S9_NS6_6detail15normal_iteratorINS6_10device_ptrIsEEEESG_SG_SG_PmS8_22is_equal_div_10_reduceIsEEE10hipError_tPvRmT2_T3_mT4_T5_T6_T7_T8_P12ihipStream_tbENKUlT_T0_E_clISt17integral_constantIbLb0EES11_EEDaSW_SX_EUlSW_E_NS1_11comp_targetILNS1_3genE3ELNS1_11target_archE908ELNS1_3gpuE7ELNS1_3repE0EEENS1_30default_config_static_selectorELNS0_4arch9wavefront6targetE0EEEvT1_,comdat
	.protected	_ZN7rocprim17ROCPRIM_400000_NS6detail17trampoline_kernelINS0_14default_configENS1_29reduce_by_key_config_selectorIssN6thrust23THRUST_200600_302600_NS4plusIsEEEEZZNS1_33reduce_by_key_impl_wrapped_configILNS1_25lookback_scan_determinismE0ES3_S9_NS6_6detail15normal_iteratorINS6_10device_ptrIsEEEESG_SG_SG_PmS8_22is_equal_div_10_reduceIsEEE10hipError_tPvRmT2_T3_mT4_T5_T6_T7_T8_P12ihipStream_tbENKUlT_T0_E_clISt17integral_constantIbLb0EES11_EEDaSW_SX_EUlSW_E_NS1_11comp_targetILNS1_3genE3ELNS1_11target_archE908ELNS1_3gpuE7ELNS1_3repE0EEENS1_30default_config_static_selectorELNS0_4arch9wavefront6targetE0EEEvT1_ ; -- Begin function _ZN7rocprim17ROCPRIM_400000_NS6detail17trampoline_kernelINS0_14default_configENS1_29reduce_by_key_config_selectorIssN6thrust23THRUST_200600_302600_NS4plusIsEEEEZZNS1_33reduce_by_key_impl_wrapped_configILNS1_25lookback_scan_determinismE0ES3_S9_NS6_6detail15normal_iteratorINS6_10device_ptrIsEEEESG_SG_SG_PmS8_22is_equal_div_10_reduceIsEEE10hipError_tPvRmT2_T3_mT4_T5_T6_T7_T8_P12ihipStream_tbENKUlT_T0_E_clISt17integral_constantIbLb0EES11_EEDaSW_SX_EUlSW_E_NS1_11comp_targetILNS1_3genE3ELNS1_11target_archE908ELNS1_3gpuE7ELNS1_3repE0EEENS1_30default_config_static_selectorELNS0_4arch9wavefront6targetE0EEEvT1_
	.globl	_ZN7rocprim17ROCPRIM_400000_NS6detail17trampoline_kernelINS0_14default_configENS1_29reduce_by_key_config_selectorIssN6thrust23THRUST_200600_302600_NS4plusIsEEEEZZNS1_33reduce_by_key_impl_wrapped_configILNS1_25lookback_scan_determinismE0ES3_S9_NS6_6detail15normal_iteratorINS6_10device_ptrIsEEEESG_SG_SG_PmS8_22is_equal_div_10_reduceIsEEE10hipError_tPvRmT2_T3_mT4_T5_T6_T7_T8_P12ihipStream_tbENKUlT_T0_E_clISt17integral_constantIbLb0EES11_EEDaSW_SX_EUlSW_E_NS1_11comp_targetILNS1_3genE3ELNS1_11target_archE908ELNS1_3gpuE7ELNS1_3repE0EEENS1_30default_config_static_selectorELNS0_4arch9wavefront6targetE0EEEvT1_
	.p2align	8
	.type	_ZN7rocprim17ROCPRIM_400000_NS6detail17trampoline_kernelINS0_14default_configENS1_29reduce_by_key_config_selectorIssN6thrust23THRUST_200600_302600_NS4plusIsEEEEZZNS1_33reduce_by_key_impl_wrapped_configILNS1_25lookback_scan_determinismE0ES3_S9_NS6_6detail15normal_iteratorINS6_10device_ptrIsEEEESG_SG_SG_PmS8_22is_equal_div_10_reduceIsEEE10hipError_tPvRmT2_T3_mT4_T5_T6_T7_T8_P12ihipStream_tbENKUlT_T0_E_clISt17integral_constantIbLb0EES11_EEDaSW_SX_EUlSW_E_NS1_11comp_targetILNS1_3genE3ELNS1_11target_archE908ELNS1_3gpuE7ELNS1_3repE0EEENS1_30default_config_static_selectorELNS0_4arch9wavefront6targetE0EEEvT1_,@function
_ZN7rocprim17ROCPRIM_400000_NS6detail17trampoline_kernelINS0_14default_configENS1_29reduce_by_key_config_selectorIssN6thrust23THRUST_200600_302600_NS4plusIsEEEEZZNS1_33reduce_by_key_impl_wrapped_configILNS1_25lookback_scan_determinismE0ES3_S9_NS6_6detail15normal_iteratorINS6_10device_ptrIsEEEESG_SG_SG_PmS8_22is_equal_div_10_reduceIsEEE10hipError_tPvRmT2_T3_mT4_T5_T6_T7_T8_P12ihipStream_tbENKUlT_T0_E_clISt17integral_constantIbLb0EES11_EEDaSW_SX_EUlSW_E_NS1_11comp_targetILNS1_3genE3ELNS1_11target_archE908ELNS1_3gpuE7ELNS1_3repE0EEENS1_30default_config_static_selectorELNS0_4arch9wavefront6targetE0EEEvT1_: ; @_ZN7rocprim17ROCPRIM_400000_NS6detail17trampoline_kernelINS0_14default_configENS1_29reduce_by_key_config_selectorIssN6thrust23THRUST_200600_302600_NS4plusIsEEEEZZNS1_33reduce_by_key_impl_wrapped_configILNS1_25lookback_scan_determinismE0ES3_S9_NS6_6detail15normal_iteratorINS6_10device_ptrIsEEEESG_SG_SG_PmS8_22is_equal_div_10_reduceIsEEE10hipError_tPvRmT2_T3_mT4_T5_T6_T7_T8_P12ihipStream_tbENKUlT_T0_E_clISt17integral_constantIbLb0EES11_EEDaSW_SX_EUlSW_E_NS1_11comp_targetILNS1_3genE3ELNS1_11target_archE908ELNS1_3gpuE7ELNS1_3repE0EEENS1_30default_config_static_selectorELNS0_4arch9wavefront6targetE0EEEvT1_
; %bb.0:
	.section	.rodata,"a",@progbits
	.p2align	6, 0x0
	.amdhsa_kernel _ZN7rocprim17ROCPRIM_400000_NS6detail17trampoline_kernelINS0_14default_configENS1_29reduce_by_key_config_selectorIssN6thrust23THRUST_200600_302600_NS4plusIsEEEEZZNS1_33reduce_by_key_impl_wrapped_configILNS1_25lookback_scan_determinismE0ES3_S9_NS6_6detail15normal_iteratorINS6_10device_ptrIsEEEESG_SG_SG_PmS8_22is_equal_div_10_reduceIsEEE10hipError_tPvRmT2_T3_mT4_T5_T6_T7_T8_P12ihipStream_tbENKUlT_T0_E_clISt17integral_constantIbLb0EES11_EEDaSW_SX_EUlSW_E_NS1_11comp_targetILNS1_3genE3ELNS1_11target_archE908ELNS1_3gpuE7ELNS1_3repE0EEENS1_30default_config_static_selectorELNS0_4arch9wavefront6targetE0EEEvT1_
		.amdhsa_group_segment_fixed_size 0
		.amdhsa_private_segment_fixed_size 0
		.amdhsa_kernarg_size 120
		.amdhsa_user_sgpr_count 15
		.amdhsa_user_sgpr_dispatch_ptr 0
		.amdhsa_user_sgpr_queue_ptr 0
		.amdhsa_user_sgpr_kernarg_segment_ptr 1
		.amdhsa_user_sgpr_dispatch_id 0
		.amdhsa_user_sgpr_private_segment_size 0
		.amdhsa_wavefront_size32 1
		.amdhsa_uses_dynamic_stack 0
		.amdhsa_enable_private_segment 0
		.amdhsa_system_sgpr_workgroup_id_x 1
		.amdhsa_system_sgpr_workgroup_id_y 0
		.amdhsa_system_sgpr_workgroup_id_z 0
		.amdhsa_system_sgpr_workgroup_info 0
		.amdhsa_system_vgpr_workitem_id 0
		.amdhsa_next_free_vgpr 1
		.amdhsa_next_free_sgpr 1
		.amdhsa_reserve_vcc 0
		.amdhsa_float_round_mode_32 0
		.amdhsa_float_round_mode_16_64 0
		.amdhsa_float_denorm_mode_32 3
		.amdhsa_float_denorm_mode_16_64 3
		.amdhsa_dx10_clamp 1
		.amdhsa_ieee_mode 1
		.amdhsa_fp16_overflow 0
		.amdhsa_workgroup_processor_mode 1
		.amdhsa_memory_ordered 1
		.amdhsa_forward_progress 0
		.amdhsa_shared_vgpr_count 0
		.amdhsa_exception_fp_ieee_invalid_op 0
		.amdhsa_exception_fp_denorm_src 0
		.amdhsa_exception_fp_ieee_div_zero 0
		.amdhsa_exception_fp_ieee_overflow 0
		.amdhsa_exception_fp_ieee_underflow 0
		.amdhsa_exception_fp_ieee_inexact 0
		.amdhsa_exception_int_div_zero 0
	.end_amdhsa_kernel
	.section	.text._ZN7rocprim17ROCPRIM_400000_NS6detail17trampoline_kernelINS0_14default_configENS1_29reduce_by_key_config_selectorIssN6thrust23THRUST_200600_302600_NS4plusIsEEEEZZNS1_33reduce_by_key_impl_wrapped_configILNS1_25lookback_scan_determinismE0ES3_S9_NS6_6detail15normal_iteratorINS6_10device_ptrIsEEEESG_SG_SG_PmS8_22is_equal_div_10_reduceIsEEE10hipError_tPvRmT2_T3_mT4_T5_T6_T7_T8_P12ihipStream_tbENKUlT_T0_E_clISt17integral_constantIbLb0EES11_EEDaSW_SX_EUlSW_E_NS1_11comp_targetILNS1_3genE3ELNS1_11target_archE908ELNS1_3gpuE7ELNS1_3repE0EEENS1_30default_config_static_selectorELNS0_4arch9wavefront6targetE0EEEvT1_,"axG",@progbits,_ZN7rocprim17ROCPRIM_400000_NS6detail17trampoline_kernelINS0_14default_configENS1_29reduce_by_key_config_selectorIssN6thrust23THRUST_200600_302600_NS4plusIsEEEEZZNS1_33reduce_by_key_impl_wrapped_configILNS1_25lookback_scan_determinismE0ES3_S9_NS6_6detail15normal_iteratorINS6_10device_ptrIsEEEESG_SG_SG_PmS8_22is_equal_div_10_reduceIsEEE10hipError_tPvRmT2_T3_mT4_T5_T6_T7_T8_P12ihipStream_tbENKUlT_T0_E_clISt17integral_constantIbLb0EES11_EEDaSW_SX_EUlSW_E_NS1_11comp_targetILNS1_3genE3ELNS1_11target_archE908ELNS1_3gpuE7ELNS1_3repE0EEENS1_30default_config_static_selectorELNS0_4arch9wavefront6targetE0EEEvT1_,comdat
.Lfunc_end664:
	.size	_ZN7rocprim17ROCPRIM_400000_NS6detail17trampoline_kernelINS0_14default_configENS1_29reduce_by_key_config_selectorIssN6thrust23THRUST_200600_302600_NS4plusIsEEEEZZNS1_33reduce_by_key_impl_wrapped_configILNS1_25lookback_scan_determinismE0ES3_S9_NS6_6detail15normal_iteratorINS6_10device_ptrIsEEEESG_SG_SG_PmS8_22is_equal_div_10_reduceIsEEE10hipError_tPvRmT2_T3_mT4_T5_T6_T7_T8_P12ihipStream_tbENKUlT_T0_E_clISt17integral_constantIbLb0EES11_EEDaSW_SX_EUlSW_E_NS1_11comp_targetILNS1_3genE3ELNS1_11target_archE908ELNS1_3gpuE7ELNS1_3repE0EEENS1_30default_config_static_selectorELNS0_4arch9wavefront6targetE0EEEvT1_, .Lfunc_end664-_ZN7rocprim17ROCPRIM_400000_NS6detail17trampoline_kernelINS0_14default_configENS1_29reduce_by_key_config_selectorIssN6thrust23THRUST_200600_302600_NS4plusIsEEEEZZNS1_33reduce_by_key_impl_wrapped_configILNS1_25lookback_scan_determinismE0ES3_S9_NS6_6detail15normal_iteratorINS6_10device_ptrIsEEEESG_SG_SG_PmS8_22is_equal_div_10_reduceIsEEE10hipError_tPvRmT2_T3_mT4_T5_T6_T7_T8_P12ihipStream_tbENKUlT_T0_E_clISt17integral_constantIbLb0EES11_EEDaSW_SX_EUlSW_E_NS1_11comp_targetILNS1_3genE3ELNS1_11target_archE908ELNS1_3gpuE7ELNS1_3repE0EEENS1_30default_config_static_selectorELNS0_4arch9wavefront6targetE0EEEvT1_
                                        ; -- End function
	.section	.AMDGPU.csdata,"",@progbits
; Kernel info:
; codeLenInByte = 0
; NumSgprs: 0
; NumVgprs: 0
; ScratchSize: 0
; MemoryBound: 0
; FloatMode: 240
; IeeeMode: 1
; LDSByteSize: 0 bytes/workgroup (compile time only)
; SGPRBlocks: 0
; VGPRBlocks: 0
; NumSGPRsForWavesPerEU: 1
; NumVGPRsForWavesPerEU: 1
; Occupancy: 16
; WaveLimiterHint : 0
; COMPUTE_PGM_RSRC2:SCRATCH_EN: 0
; COMPUTE_PGM_RSRC2:USER_SGPR: 15
; COMPUTE_PGM_RSRC2:TRAP_HANDLER: 0
; COMPUTE_PGM_RSRC2:TGID_X_EN: 1
; COMPUTE_PGM_RSRC2:TGID_Y_EN: 0
; COMPUTE_PGM_RSRC2:TGID_Z_EN: 0
; COMPUTE_PGM_RSRC2:TIDIG_COMP_CNT: 0
	.section	.text._ZN7rocprim17ROCPRIM_400000_NS6detail17trampoline_kernelINS0_14default_configENS1_29reduce_by_key_config_selectorIssN6thrust23THRUST_200600_302600_NS4plusIsEEEEZZNS1_33reduce_by_key_impl_wrapped_configILNS1_25lookback_scan_determinismE0ES3_S9_NS6_6detail15normal_iteratorINS6_10device_ptrIsEEEESG_SG_SG_PmS8_22is_equal_div_10_reduceIsEEE10hipError_tPvRmT2_T3_mT4_T5_T6_T7_T8_P12ihipStream_tbENKUlT_T0_E_clISt17integral_constantIbLb0EES11_EEDaSW_SX_EUlSW_E_NS1_11comp_targetILNS1_3genE2ELNS1_11target_archE906ELNS1_3gpuE6ELNS1_3repE0EEENS1_30default_config_static_selectorELNS0_4arch9wavefront6targetE0EEEvT1_,"axG",@progbits,_ZN7rocprim17ROCPRIM_400000_NS6detail17trampoline_kernelINS0_14default_configENS1_29reduce_by_key_config_selectorIssN6thrust23THRUST_200600_302600_NS4plusIsEEEEZZNS1_33reduce_by_key_impl_wrapped_configILNS1_25lookback_scan_determinismE0ES3_S9_NS6_6detail15normal_iteratorINS6_10device_ptrIsEEEESG_SG_SG_PmS8_22is_equal_div_10_reduceIsEEE10hipError_tPvRmT2_T3_mT4_T5_T6_T7_T8_P12ihipStream_tbENKUlT_T0_E_clISt17integral_constantIbLb0EES11_EEDaSW_SX_EUlSW_E_NS1_11comp_targetILNS1_3genE2ELNS1_11target_archE906ELNS1_3gpuE6ELNS1_3repE0EEENS1_30default_config_static_selectorELNS0_4arch9wavefront6targetE0EEEvT1_,comdat
	.protected	_ZN7rocprim17ROCPRIM_400000_NS6detail17trampoline_kernelINS0_14default_configENS1_29reduce_by_key_config_selectorIssN6thrust23THRUST_200600_302600_NS4plusIsEEEEZZNS1_33reduce_by_key_impl_wrapped_configILNS1_25lookback_scan_determinismE0ES3_S9_NS6_6detail15normal_iteratorINS6_10device_ptrIsEEEESG_SG_SG_PmS8_22is_equal_div_10_reduceIsEEE10hipError_tPvRmT2_T3_mT4_T5_T6_T7_T8_P12ihipStream_tbENKUlT_T0_E_clISt17integral_constantIbLb0EES11_EEDaSW_SX_EUlSW_E_NS1_11comp_targetILNS1_3genE2ELNS1_11target_archE906ELNS1_3gpuE6ELNS1_3repE0EEENS1_30default_config_static_selectorELNS0_4arch9wavefront6targetE0EEEvT1_ ; -- Begin function _ZN7rocprim17ROCPRIM_400000_NS6detail17trampoline_kernelINS0_14default_configENS1_29reduce_by_key_config_selectorIssN6thrust23THRUST_200600_302600_NS4plusIsEEEEZZNS1_33reduce_by_key_impl_wrapped_configILNS1_25lookback_scan_determinismE0ES3_S9_NS6_6detail15normal_iteratorINS6_10device_ptrIsEEEESG_SG_SG_PmS8_22is_equal_div_10_reduceIsEEE10hipError_tPvRmT2_T3_mT4_T5_T6_T7_T8_P12ihipStream_tbENKUlT_T0_E_clISt17integral_constantIbLb0EES11_EEDaSW_SX_EUlSW_E_NS1_11comp_targetILNS1_3genE2ELNS1_11target_archE906ELNS1_3gpuE6ELNS1_3repE0EEENS1_30default_config_static_selectorELNS0_4arch9wavefront6targetE0EEEvT1_
	.globl	_ZN7rocprim17ROCPRIM_400000_NS6detail17trampoline_kernelINS0_14default_configENS1_29reduce_by_key_config_selectorIssN6thrust23THRUST_200600_302600_NS4plusIsEEEEZZNS1_33reduce_by_key_impl_wrapped_configILNS1_25lookback_scan_determinismE0ES3_S9_NS6_6detail15normal_iteratorINS6_10device_ptrIsEEEESG_SG_SG_PmS8_22is_equal_div_10_reduceIsEEE10hipError_tPvRmT2_T3_mT4_T5_T6_T7_T8_P12ihipStream_tbENKUlT_T0_E_clISt17integral_constantIbLb0EES11_EEDaSW_SX_EUlSW_E_NS1_11comp_targetILNS1_3genE2ELNS1_11target_archE906ELNS1_3gpuE6ELNS1_3repE0EEENS1_30default_config_static_selectorELNS0_4arch9wavefront6targetE0EEEvT1_
	.p2align	8
	.type	_ZN7rocprim17ROCPRIM_400000_NS6detail17trampoline_kernelINS0_14default_configENS1_29reduce_by_key_config_selectorIssN6thrust23THRUST_200600_302600_NS4plusIsEEEEZZNS1_33reduce_by_key_impl_wrapped_configILNS1_25lookback_scan_determinismE0ES3_S9_NS6_6detail15normal_iteratorINS6_10device_ptrIsEEEESG_SG_SG_PmS8_22is_equal_div_10_reduceIsEEE10hipError_tPvRmT2_T3_mT4_T5_T6_T7_T8_P12ihipStream_tbENKUlT_T0_E_clISt17integral_constantIbLb0EES11_EEDaSW_SX_EUlSW_E_NS1_11comp_targetILNS1_3genE2ELNS1_11target_archE906ELNS1_3gpuE6ELNS1_3repE0EEENS1_30default_config_static_selectorELNS0_4arch9wavefront6targetE0EEEvT1_,@function
_ZN7rocprim17ROCPRIM_400000_NS6detail17trampoline_kernelINS0_14default_configENS1_29reduce_by_key_config_selectorIssN6thrust23THRUST_200600_302600_NS4plusIsEEEEZZNS1_33reduce_by_key_impl_wrapped_configILNS1_25lookback_scan_determinismE0ES3_S9_NS6_6detail15normal_iteratorINS6_10device_ptrIsEEEESG_SG_SG_PmS8_22is_equal_div_10_reduceIsEEE10hipError_tPvRmT2_T3_mT4_T5_T6_T7_T8_P12ihipStream_tbENKUlT_T0_E_clISt17integral_constantIbLb0EES11_EEDaSW_SX_EUlSW_E_NS1_11comp_targetILNS1_3genE2ELNS1_11target_archE906ELNS1_3gpuE6ELNS1_3repE0EEENS1_30default_config_static_selectorELNS0_4arch9wavefront6targetE0EEEvT1_: ; @_ZN7rocprim17ROCPRIM_400000_NS6detail17trampoline_kernelINS0_14default_configENS1_29reduce_by_key_config_selectorIssN6thrust23THRUST_200600_302600_NS4plusIsEEEEZZNS1_33reduce_by_key_impl_wrapped_configILNS1_25lookback_scan_determinismE0ES3_S9_NS6_6detail15normal_iteratorINS6_10device_ptrIsEEEESG_SG_SG_PmS8_22is_equal_div_10_reduceIsEEE10hipError_tPvRmT2_T3_mT4_T5_T6_T7_T8_P12ihipStream_tbENKUlT_T0_E_clISt17integral_constantIbLb0EES11_EEDaSW_SX_EUlSW_E_NS1_11comp_targetILNS1_3genE2ELNS1_11target_archE906ELNS1_3gpuE6ELNS1_3repE0EEENS1_30default_config_static_selectorELNS0_4arch9wavefront6targetE0EEEvT1_
; %bb.0:
	.section	.rodata,"a",@progbits
	.p2align	6, 0x0
	.amdhsa_kernel _ZN7rocprim17ROCPRIM_400000_NS6detail17trampoline_kernelINS0_14default_configENS1_29reduce_by_key_config_selectorIssN6thrust23THRUST_200600_302600_NS4plusIsEEEEZZNS1_33reduce_by_key_impl_wrapped_configILNS1_25lookback_scan_determinismE0ES3_S9_NS6_6detail15normal_iteratorINS6_10device_ptrIsEEEESG_SG_SG_PmS8_22is_equal_div_10_reduceIsEEE10hipError_tPvRmT2_T3_mT4_T5_T6_T7_T8_P12ihipStream_tbENKUlT_T0_E_clISt17integral_constantIbLb0EES11_EEDaSW_SX_EUlSW_E_NS1_11comp_targetILNS1_3genE2ELNS1_11target_archE906ELNS1_3gpuE6ELNS1_3repE0EEENS1_30default_config_static_selectorELNS0_4arch9wavefront6targetE0EEEvT1_
		.amdhsa_group_segment_fixed_size 0
		.amdhsa_private_segment_fixed_size 0
		.amdhsa_kernarg_size 120
		.amdhsa_user_sgpr_count 15
		.amdhsa_user_sgpr_dispatch_ptr 0
		.amdhsa_user_sgpr_queue_ptr 0
		.amdhsa_user_sgpr_kernarg_segment_ptr 1
		.amdhsa_user_sgpr_dispatch_id 0
		.amdhsa_user_sgpr_private_segment_size 0
		.amdhsa_wavefront_size32 1
		.amdhsa_uses_dynamic_stack 0
		.amdhsa_enable_private_segment 0
		.amdhsa_system_sgpr_workgroup_id_x 1
		.amdhsa_system_sgpr_workgroup_id_y 0
		.amdhsa_system_sgpr_workgroup_id_z 0
		.amdhsa_system_sgpr_workgroup_info 0
		.amdhsa_system_vgpr_workitem_id 0
		.amdhsa_next_free_vgpr 1
		.amdhsa_next_free_sgpr 1
		.amdhsa_reserve_vcc 0
		.amdhsa_float_round_mode_32 0
		.amdhsa_float_round_mode_16_64 0
		.amdhsa_float_denorm_mode_32 3
		.amdhsa_float_denorm_mode_16_64 3
		.amdhsa_dx10_clamp 1
		.amdhsa_ieee_mode 1
		.amdhsa_fp16_overflow 0
		.amdhsa_workgroup_processor_mode 1
		.amdhsa_memory_ordered 1
		.amdhsa_forward_progress 0
		.amdhsa_shared_vgpr_count 0
		.amdhsa_exception_fp_ieee_invalid_op 0
		.amdhsa_exception_fp_denorm_src 0
		.amdhsa_exception_fp_ieee_div_zero 0
		.amdhsa_exception_fp_ieee_overflow 0
		.amdhsa_exception_fp_ieee_underflow 0
		.amdhsa_exception_fp_ieee_inexact 0
		.amdhsa_exception_int_div_zero 0
	.end_amdhsa_kernel
	.section	.text._ZN7rocprim17ROCPRIM_400000_NS6detail17trampoline_kernelINS0_14default_configENS1_29reduce_by_key_config_selectorIssN6thrust23THRUST_200600_302600_NS4plusIsEEEEZZNS1_33reduce_by_key_impl_wrapped_configILNS1_25lookback_scan_determinismE0ES3_S9_NS6_6detail15normal_iteratorINS6_10device_ptrIsEEEESG_SG_SG_PmS8_22is_equal_div_10_reduceIsEEE10hipError_tPvRmT2_T3_mT4_T5_T6_T7_T8_P12ihipStream_tbENKUlT_T0_E_clISt17integral_constantIbLb0EES11_EEDaSW_SX_EUlSW_E_NS1_11comp_targetILNS1_3genE2ELNS1_11target_archE906ELNS1_3gpuE6ELNS1_3repE0EEENS1_30default_config_static_selectorELNS0_4arch9wavefront6targetE0EEEvT1_,"axG",@progbits,_ZN7rocprim17ROCPRIM_400000_NS6detail17trampoline_kernelINS0_14default_configENS1_29reduce_by_key_config_selectorIssN6thrust23THRUST_200600_302600_NS4plusIsEEEEZZNS1_33reduce_by_key_impl_wrapped_configILNS1_25lookback_scan_determinismE0ES3_S9_NS6_6detail15normal_iteratorINS6_10device_ptrIsEEEESG_SG_SG_PmS8_22is_equal_div_10_reduceIsEEE10hipError_tPvRmT2_T3_mT4_T5_T6_T7_T8_P12ihipStream_tbENKUlT_T0_E_clISt17integral_constantIbLb0EES11_EEDaSW_SX_EUlSW_E_NS1_11comp_targetILNS1_3genE2ELNS1_11target_archE906ELNS1_3gpuE6ELNS1_3repE0EEENS1_30default_config_static_selectorELNS0_4arch9wavefront6targetE0EEEvT1_,comdat
.Lfunc_end665:
	.size	_ZN7rocprim17ROCPRIM_400000_NS6detail17trampoline_kernelINS0_14default_configENS1_29reduce_by_key_config_selectorIssN6thrust23THRUST_200600_302600_NS4plusIsEEEEZZNS1_33reduce_by_key_impl_wrapped_configILNS1_25lookback_scan_determinismE0ES3_S9_NS6_6detail15normal_iteratorINS6_10device_ptrIsEEEESG_SG_SG_PmS8_22is_equal_div_10_reduceIsEEE10hipError_tPvRmT2_T3_mT4_T5_T6_T7_T8_P12ihipStream_tbENKUlT_T0_E_clISt17integral_constantIbLb0EES11_EEDaSW_SX_EUlSW_E_NS1_11comp_targetILNS1_3genE2ELNS1_11target_archE906ELNS1_3gpuE6ELNS1_3repE0EEENS1_30default_config_static_selectorELNS0_4arch9wavefront6targetE0EEEvT1_, .Lfunc_end665-_ZN7rocprim17ROCPRIM_400000_NS6detail17trampoline_kernelINS0_14default_configENS1_29reduce_by_key_config_selectorIssN6thrust23THRUST_200600_302600_NS4plusIsEEEEZZNS1_33reduce_by_key_impl_wrapped_configILNS1_25lookback_scan_determinismE0ES3_S9_NS6_6detail15normal_iteratorINS6_10device_ptrIsEEEESG_SG_SG_PmS8_22is_equal_div_10_reduceIsEEE10hipError_tPvRmT2_T3_mT4_T5_T6_T7_T8_P12ihipStream_tbENKUlT_T0_E_clISt17integral_constantIbLb0EES11_EEDaSW_SX_EUlSW_E_NS1_11comp_targetILNS1_3genE2ELNS1_11target_archE906ELNS1_3gpuE6ELNS1_3repE0EEENS1_30default_config_static_selectorELNS0_4arch9wavefront6targetE0EEEvT1_
                                        ; -- End function
	.section	.AMDGPU.csdata,"",@progbits
; Kernel info:
; codeLenInByte = 0
; NumSgprs: 0
; NumVgprs: 0
; ScratchSize: 0
; MemoryBound: 0
; FloatMode: 240
; IeeeMode: 1
; LDSByteSize: 0 bytes/workgroup (compile time only)
; SGPRBlocks: 0
; VGPRBlocks: 0
; NumSGPRsForWavesPerEU: 1
; NumVGPRsForWavesPerEU: 1
; Occupancy: 16
; WaveLimiterHint : 0
; COMPUTE_PGM_RSRC2:SCRATCH_EN: 0
; COMPUTE_PGM_RSRC2:USER_SGPR: 15
; COMPUTE_PGM_RSRC2:TRAP_HANDLER: 0
; COMPUTE_PGM_RSRC2:TGID_X_EN: 1
; COMPUTE_PGM_RSRC2:TGID_Y_EN: 0
; COMPUTE_PGM_RSRC2:TGID_Z_EN: 0
; COMPUTE_PGM_RSRC2:TIDIG_COMP_CNT: 0
	.section	.text._ZN7rocprim17ROCPRIM_400000_NS6detail17trampoline_kernelINS0_14default_configENS1_29reduce_by_key_config_selectorIssN6thrust23THRUST_200600_302600_NS4plusIsEEEEZZNS1_33reduce_by_key_impl_wrapped_configILNS1_25lookback_scan_determinismE0ES3_S9_NS6_6detail15normal_iteratorINS6_10device_ptrIsEEEESG_SG_SG_PmS8_22is_equal_div_10_reduceIsEEE10hipError_tPvRmT2_T3_mT4_T5_T6_T7_T8_P12ihipStream_tbENKUlT_T0_E_clISt17integral_constantIbLb0EES11_EEDaSW_SX_EUlSW_E_NS1_11comp_targetILNS1_3genE10ELNS1_11target_archE1201ELNS1_3gpuE5ELNS1_3repE0EEENS1_30default_config_static_selectorELNS0_4arch9wavefront6targetE0EEEvT1_,"axG",@progbits,_ZN7rocprim17ROCPRIM_400000_NS6detail17trampoline_kernelINS0_14default_configENS1_29reduce_by_key_config_selectorIssN6thrust23THRUST_200600_302600_NS4plusIsEEEEZZNS1_33reduce_by_key_impl_wrapped_configILNS1_25lookback_scan_determinismE0ES3_S9_NS6_6detail15normal_iteratorINS6_10device_ptrIsEEEESG_SG_SG_PmS8_22is_equal_div_10_reduceIsEEE10hipError_tPvRmT2_T3_mT4_T5_T6_T7_T8_P12ihipStream_tbENKUlT_T0_E_clISt17integral_constantIbLb0EES11_EEDaSW_SX_EUlSW_E_NS1_11comp_targetILNS1_3genE10ELNS1_11target_archE1201ELNS1_3gpuE5ELNS1_3repE0EEENS1_30default_config_static_selectorELNS0_4arch9wavefront6targetE0EEEvT1_,comdat
	.protected	_ZN7rocprim17ROCPRIM_400000_NS6detail17trampoline_kernelINS0_14default_configENS1_29reduce_by_key_config_selectorIssN6thrust23THRUST_200600_302600_NS4plusIsEEEEZZNS1_33reduce_by_key_impl_wrapped_configILNS1_25lookback_scan_determinismE0ES3_S9_NS6_6detail15normal_iteratorINS6_10device_ptrIsEEEESG_SG_SG_PmS8_22is_equal_div_10_reduceIsEEE10hipError_tPvRmT2_T3_mT4_T5_T6_T7_T8_P12ihipStream_tbENKUlT_T0_E_clISt17integral_constantIbLb0EES11_EEDaSW_SX_EUlSW_E_NS1_11comp_targetILNS1_3genE10ELNS1_11target_archE1201ELNS1_3gpuE5ELNS1_3repE0EEENS1_30default_config_static_selectorELNS0_4arch9wavefront6targetE0EEEvT1_ ; -- Begin function _ZN7rocprim17ROCPRIM_400000_NS6detail17trampoline_kernelINS0_14default_configENS1_29reduce_by_key_config_selectorIssN6thrust23THRUST_200600_302600_NS4plusIsEEEEZZNS1_33reduce_by_key_impl_wrapped_configILNS1_25lookback_scan_determinismE0ES3_S9_NS6_6detail15normal_iteratorINS6_10device_ptrIsEEEESG_SG_SG_PmS8_22is_equal_div_10_reduceIsEEE10hipError_tPvRmT2_T3_mT4_T5_T6_T7_T8_P12ihipStream_tbENKUlT_T0_E_clISt17integral_constantIbLb0EES11_EEDaSW_SX_EUlSW_E_NS1_11comp_targetILNS1_3genE10ELNS1_11target_archE1201ELNS1_3gpuE5ELNS1_3repE0EEENS1_30default_config_static_selectorELNS0_4arch9wavefront6targetE0EEEvT1_
	.globl	_ZN7rocprim17ROCPRIM_400000_NS6detail17trampoline_kernelINS0_14default_configENS1_29reduce_by_key_config_selectorIssN6thrust23THRUST_200600_302600_NS4plusIsEEEEZZNS1_33reduce_by_key_impl_wrapped_configILNS1_25lookback_scan_determinismE0ES3_S9_NS6_6detail15normal_iteratorINS6_10device_ptrIsEEEESG_SG_SG_PmS8_22is_equal_div_10_reduceIsEEE10hipError_tPvRmT2_T3_mT4_T5_T6_T7_T8_P12ihipStream_tbENKUlT_T0_E_clISt17integral_constantIbLb0EES11_EEDaSW_SX_EUlSW_E_NS1_11comp_targetILNS1_3genE10ELNS1_11target_archE1201ELNS1_3gpuE5ELNS1_3repE0EEENS1_30default_config_static_selectorELNS0_4arch9wavefront6targetE0EEEvT1_
	.p2align	8
	.type	_ZN7rocprim17ROCPRIM_400000_NS6detail17trampoline_kernelINS0_14default_configENS1_29reduce_by_key_config_selectorIssN6thrust23THRUST_200600_302600_NS4plusIsEEEEZZNS1_33reduce_by_key_impl_wrapped_configILNS1_25lookback_scan_determinismE0ES3_S9_NS6_6detail15normal_iteratorINS6_10device_ptrIsEEEESG_SG_SG_PmS8_22is_equal_div_10_reduceIsEEE10hipError_tPvRmT2_T3_mT4_T5_T6_T7_T8_P12ihipStream_tbENKUlT_T0_E_clISt17integral_constantIbLb0EES11_EEDaSW_SX_EUlSW_E_NS1_11comp_targetILNS1_3genE10ELNS1_11target_archE1201ELNS1_3gpuE5ELNS1_3repE0EEENS1_30default_config_static_selectorELNS0_4arch9wavefront6targetE0EEEvT1_,@function
_ZN7rocprim17ROCPRIM_400000_NS6detail17trampoline_kernelINS0_14default_configENS1_29reduce_by_key_config_selectorIssN6thrust23THRUST_200600_302600_NS4plusIsEEEEZZNS1_33reduce_by_key_impl_wrapped_configILNS1_25lookback_scan_determinismE0ES3_S9_NS6_6detail15normal_iteratorINS6_10device_ptrIsEEEESG_SG_SG_PmS8_22is_equal_div_10_reduceIsEEE10hipError_tPvRmT2_T3_mT4_T5_T6_T7_T8_P12ihipStream_tbENKUlT_T0_E_clISt17integral_constantIbLb0EES11_EEDaSW_SX_EUlSW_E_NS1_11comp_targetILNS1_3genE10ELNS1_11target_archE1201ELNS1_3gpuE5ELNS1_3repE0EEENS1_30default_config_static_selectorELNS0_4arch9wavefront6targetE0EEEvT1_: ; @_ZN7rocprim17ROCPRIM_400000_NS6detail17trampoline_kernelINS0_14default_configENS1_29reduce_by_key_config_selectorIssN6thrust23THRUST_200600_302600_NS4plusIsEEEEZZNS1_33reduce_by_key_impl_wrapped_configILNS1_25lookback_scan_determinismE0ES3_S9_NS6_6detail15normal_iteratorINS6_10device_ptrIsEEEESG_SG_SG_PmS8_22is_equal_div_10_reduceIsEEE10hipError_tPvRmT2_T3_mT4_T5_T6_T7_T8_P12ihipStream_tbENKUlT_T0_E_clISt17integral_constantIbLb0EES11_EEDaSW_SX_EUlSW_E_NS1_11comp_targetILNS1_3genE10ELNS1_11target_archE1201ELNS1_3gpuE5ELNS1_3repE0EEENS1_30default_config_static_selectorELNS0_4arch9wavefront6targetE0EEEvT1_
; %bb.0:
	.section	.rodata,"a",@progbits
	.p2align	6, 0x0
	.amdhsa_kernel _ZN7rocprim17ROCPRIM_400000_NS6detail17trampoline_kernelINS0_14default_configENS1_29reduce_by_key_config_selectorIssN6thrust23THRUST_200600_302600_NS4plusIsEEEEZZNS1_33reduce_by_key_impl_wrapped_configILNS1_25lookback_scan_determinismE0ES3_S9_NS6_6detail15normal_iteratorINS6_10device_ptrIsEEEESG_SG_SG_PmS8_22is_equal_div_10_reduceIsEEE10hipError_tPvRmT2_T3_mT4_T5_T6_T7_T8_P12ihipStream_tbENKUlT_T0_E_clISt17integral_constantIbLb0EES11_EEDaSW_SX_EUlSW_E_NS1_11comp_targetILNS1_3genE10ELNS1_11target_archE1201ELNS1_3gpuE5ELNS1_3repE0EEENS1_30default_config_static_selectorELNS0_4arch9wavefront6targetE0EEEvT1_
		.amdhsa_group_segment_fixed_size 0
		.amdhsa_private_segment_fixed_size 0
		.amdhsa_kernarg_size 120
		.amdhsa_user_sgpr_count 15
		.amdhsa_user_sgpr_dispatch_ptr 0
		.amdhsa_user_sgpr_queue_ptr 0
		.amdhsa_user_sgpr_kernarg_segment_ptr 1
		.amdhsa_user_sgpr_dispatch_id 0
		.amdhsa_user_sgpr_private_segment_size 0
		.amdhsa_wavefront_size32 1
		.amdhsa_uses_dynamic_stack 0
		.amdhsa_enable_private_segment 0
		.amdhsa_system_sgpr_workgroup_id_x 1
		.amdhsa_system_sgpr_workgroup_id_y 0
		.amdhsa_system_sgpr_workgroup_id_z 0
		.amdhsa_system_sgpr_workgroup_info 0
		.amdhsa_system_vgpr_workitem_id 0
		.amdhsa_next_free_vgpr 1
		.amdhsa_next_free_sgpr 1
		.amdhsa_reserve_vcc 0
		.amdhsa_float_round_mode_32 0
		.amdhsa_float_round_mode_16_64 0
		.amdhsa_float_denorm_mode_32 3
		.amdhsa_float_denorm_mode_16_64 3
		.amdhsa_dx10_clamp 1
		.amdhsa_ieee_mode 1
		.amdhsa_fp16_overflow 0
		.amdhsa_workgroup_processor_mode 1
		.amdhsa_memory_ordered 1
		.amdhsa_forward_progress 0
		.amdhsa_shared_vgpr_count 0
		.amdhsa_exception_fp_ieee_invalid_op 0
		.amdhsa_exception_fp_denorm_src 0
		.amdhsa_exception_fp_ieee_div_zero 0
		.amdhsa_exception_fp_ieee_overflow 0
		.amdhsa_exception_fp_ieee_underflow 0
		.amdhsa_exception_fp_ieee_inexact 0
		.amdhsa_exception_int_div_zero 0
	.end_amdhsa_kernel
	.section	.text._ZN7rocprim17ROCPRIM_400000_NS6detail17trampoline_kernelINS0_14default_configENS1_29reduce_by_key_config_selectorIssN6thrust23THRUST_200600_302600_NS4plusIsEEEEZZNS1_33reduce_by_key_impl_wrapped_configILNS1_25lookback_scan_determinismE0ES3_S9_NS6_6detail15normal_iteratorINS6_10device_ptrIsEEEESG_SG_SG_PmS8_22is_equal_div_10_reduceIsEEE10hipError_tPvRmT2_T3_mT4_T5_T6_T7_T8_P12ihipStream_tbENKUlT_T0_E_clISt17integral_constantIbLb0EES11_EEDaSW_SX_EUlSW_E_NS1_11comp_targetILNS1_3genE10ELNS1_11target_archE1201ELNS1_3gpuE5ELNS1_3repE0EEENS1_30default_config_static_selectorELNS0_4arch9wavefront6targetE0EEEvT1_,"axG",@progbits,_ZN7rocprim17ROCPRIM_400000_NS6detail17trampoline_kernelINS0_14default_configENS1_29reduce_by_key_config_selectorIssN6thrust23THRUST_200600_302600_NS4plusIsEEEEZZNS1_33reduce_by_key_impl_wrapped_configILNS1_25lookback_scan_determinismE0ES3_S9_NS6_6detail15normal_iteratorINS6_10device_ptrIsEEEESG_SG_SG_PmS8_22is_equal_div_10_reduceIsEEE10hipError_tPvRmT2_T3_mT4_T5_T6_T7_T8_P12ihipStream_tbENKUlT_T0_E_clISt17integral_constantIbLb0EES11_EEDaSW_SX_EUlSW_E_NS1_11comp_targetILNS1_3genE10ELNS1_11target_archE1201ELNS1_3gpuE5ELNS1_3repE0EEENS1_30default_config_static_selectorELNS0_4arch9wavefront6targetE0EEEvT1_,comdat
.Lfunc_end666:
	.size	_ZN7rocprim17ROCPRIM_400000_NS6detail17trampoline_kernelINS0_14default_configENS1_29reduce_by_key_config_selectorIssN6thrust23THRUST_200600_302600_NS4plusIsEEEEZZNS1_33reduce_by_key_impl_wrapped_configILNS1_25lookback_scan_determinismE0ES3_S9_NS6_6detail15normal_iteratorINS6_10device_ptrIsEEEESG_SG_SG_PmS8_22is_equal_div_10_reduceIsEEE10hipError_tPvRmT2_T3_mT4_T5_T6_T7_T8_P12ihipStream_tbENKUlT_T0_E_clISt17integral_constantIbLb0EES11_EEDaSW_SX_EUlSW_E_NS1_11comp_targetILNS1_3genE10ELNS1_11target_archE1201ELNS1_3gpuE5ELNS1_3repE0EEENS1_30default_config_static_selectorELNS0_4arch9wavefront6targetE0EEEvT1_, .Lfunc_end666-_ZN7rocprim17ROCPRIM_400000_NS6detail17trampoline_kernelINS0_14default_configENS1_29reduce_by_key_config_selectorIssN6thrust23THRUST_200600_302600_NS4plusIsEEEEZZNS1_33reduce_by_key_impl_wrapped_configILNS1_25lookback_scan_determinismE0ES3_S9_NS6_6detail15normal_iteratorINS6_10device_ptrIsEEEESG_SG_SG_PmS8_22is_equal_div_10_reduceIsEEE10hipError_tPvRmT2_T3_mT4_T5_T6_T7_T8_P12ihipStream_tbENKUlT_T0_E_clISt17integral_constantIbLb0EES11_EEDaSW_SX_EUlSW_E_NS1_11comp_targetILNS1_3genE10ELNS1_11target_archE1201ELNS1_3gpuE5ELNS1_3repE0EEENS1_30default_config_static_selectorELNS0_4arch9wavefront6targetE0EEEvT1_
                                        ; -- End function
	.section	.AMDGPU.csdata,"",@progbits
; Kernel info:
; codeLenInByte = 0
; NumSgprs: 0
; NumVgprs: 0
; ScratchSize: 0
; MemoryBound: 0
; FloatMode: 240
; IeeeMode: 1
; LDSByteSize: 0 bytes/workgroup (compile time only)
; SGPRBlocks: 0
; VGPRBlocks: 0
; NumSGPRsForWavesPerEU: 1
; NumVGPRsForWavesPerEU: 1
; Occupancy: 16
; WaveLimiterHint : 0
; COMPUTE_PGM_RSRC2:SCRATCH_EN: 0
; COMPUTE_PGM_RSRC2:USER_SGPR: 15
; COMPUTE_PGM_RSRC2:TRAP_HANDLER: 0
; COMPUTE_PGM_RSRC2:TGID_X_EN: 1
; COMPUTE_PGM_RSRC2:TGID_Y_EN: 0
; COMPUTE_PGM_RSRC2:TGID_Z_EN: 0
; COMPUTE_PGM_RSRC2:TIDIG_COMP_CNT: 0
	.section	.text._ZN7rocprim17ROCPRIM_400000_NS6detail17trampoline_kernelINS0_14default_configENS1_29reduce_by_key_config_selectorIssN6thrust23THRUST_200600_302600_NS4plusIsEEEEZZNS1_33reduce_by_key_impl_wrapped_configILNS1_25lookback_scan_determinismE0ES3_S9_NS6_6detail15normal_iteratorINS6_10device_ptrIsEEEESG_SG_SG_PmS8_22is_equal_div_10_reduceIsEEE10hipError_tPvRmT2_T3_mT4_T5_T6_T7_T8_P12ihipStream_tbENKUlT_T0_E_clISt17integral_constantIbLb0EES11_EEDaSW_SX_EUlSW_E_NS1_11comp_targetILNS1_3genE10ELNS1_11target_archE1200ELNS1_3gpuE4ELNS1_3repE0EEENS1_30default_config_static_selectorELNS0_4arch9wavefront6targetE0EEEvT1_,"axG",@progbits,_ZN7rocprim17ROCPRIM_400000_NS6detail17trampoline_kernelINS0_14default_configENS1_29reduce_by_key_config_selectorIssN6thrust23THRUST_200600_302600_NS4plusIsEEEEZZNS1_33reduce_by_key_impl_wrapped_configILNS1_25lookback_scan_determinismE0ES3_S9_NS6_6detail15normal_iteratorINS6_10device_ptrIsEEEESG_SG_SG_PmS8_22is_equal_div_10_reduceIsEEE10hipError_tPvRmT2_T3_mT4_T5_T6_T7_T8_P12ihipStream_tbENKUlT_T0_E_clISt17integral_constantIbLb0EES11_EEDaSW_SX_EUlSW_E_NS1_11comp_targetILNS1_3genE10ELNS1_11target_archE1200ELNS1_3gpuE4ELNS1_3repE0EEENS1_30default_config_static_selectorELNS0_4arch9wavefront6targetE0EEEvT1_,comdat
	.protected	_ZN7rocprim17ROCPRIM_400000_NS6detail17trampoline_kernelINS0_14default_configENS1_29reduce_by_key_config_selectorIssN6thrust23THRUST_200600_302600_NS4plusIsEEEEZZNS1_33reduce_by_key_impl_wrapped_configILNS1_25lookback_scan_determinismE0ES3_S9_NS6_6detail15normal_iteratorINS6_10device_ptrIsEEEESG_SG_SG_PmS8_22is_equal_div_10_reduceIsEEE10hipError_tPvRmT2_T3_mT4_T5_T6_T7_T8_P12ihipStream_tbENKUlT_T0_E_clISt17integral_constantIbLb0EES11_EEDaSW_SX_EUlSW_E_NS1_11comp_targetILNS1_3genE10ELNS1_11target_archE1200ELNS1_3gpuE4ELNS1_3repE0EEENS1_30default_config_static_selectorELNS0_4arch9wavefront6targetE0EEEvT1_ ; -- Begin function _ZN7rocprim17ROCPRIM_400000_NS6detail17trampoline_kernelINS0_14default_configENS1_29reduce_by_key_config_selectorIssN6thrust23THRUST_200600_302600_NS4plusIsEEEEZZNS1_33reduce_by_key_impl_wrapped_configILNS1_25lookback_scan_determinismE0ES3_S9_NS6_6detail15normal_iteratorINS6_10device_ptrIsEEEESG_SG_SG_PmS8_22is_equal_div_10_reduceIsEEE10hipError_tPvRmT2_T3_mT4_T5_T6_T7_T8_P12ihipStream_tbENKUlT_T0_E_clISt17integral_constantIbLb0EES11_EEDaSW_SX_EUlSW_E_NS1_11comp_targetILNS1_3genE10ELNS1_11target_archE1200ELNS1_3gpuE4ELNS1_3repE0EEENS1_30default_config_static_selectorELNS0_4arch9wavefront6targetE0EEEvT1_
	.globl	_ZN7rocprim17ROCPRIM_400000_NS6detail17trampoline_kernelINS0_14default_configENS1_29reduce_by_key_config_selectorIssN6thrust23THRUST_200600_302600_NS4plusIsEEEEZZNS1_33reduce_by_key_impl_wrapped_configILNS1_25lookback_scan_determinismE0ES3_S9_NS6_6detail15normal_iteratorINS6_10device_ptrIsEEEESG_SG_SG_PmS8_22is_equal_div_10_reduceIsEEE10hipError_tPvRmT2_T3_mT4_T5_T6_T7_T8_P12ihipStream_tbENKUlT_T0_E_clISt17integral_constantIbLb0EES11_EEDaSW_SX_EUlSW_E_NS1_11comp_targetILNS1_3genE10ELNS1_11target_archE1200ELNS1_3gpuE4ELNS1_3repE0EEENS1_30default_config_static_selectorELNS0_4arch9wavefront6targetE0EEEvT1_
	.p2align	8
	.type	_ZN7rocprim17ROCPRIM_400000_NS6detail17trampoline_kernelINS0_14default_configENS1_29reduce_by_key_config_selectorIssN6thrust23THRUST_200600_302600_NS4plusIsEEEEZZNS1_33reduce_by_key_impl_wrapped_configILNS1_25lookback_scan_determinismE0ES3_S9_NS6_6detail15normal_iteratorINS6_10device_ptrIsEEEESG_SG_SG_PmS8_22is_equal_div_10_reduceIsEEE10hipError_tPvRmT2_T3_mT4_T5_T6_T7_T8_P12ihipStream_tbENKUlT_T0_E_clISt17integral_constantIbLb0EES11_EEDaSW_SX_EUlSW_E_NS1_11comp_targetILNS1_3genE10ELNS1_11target_archE1200ELNS1_3gpuE4ELNS1_3repE0EEENS1_30default_config_static_selectorELNS0_4arch9wavefront6targetE0EEEvT1_,@function
_ZN7rocprim17ROCPRIM_400000_NS6detail17trampoline_kernelINS0_14default_configENS1_29reduce_by_key_config_selectorIssN6thrust23THRUST_200600_302600_NS4plusIsEEEEZZNS1_33reduce_by_key_impl_wrapped_configILNS1_25lookback_scan_determinismE0ES3_S9_NS6_6detail15normal_iteratorINS6_10device_ptrIsEEEESG_SG_SG_PmS8_22is_equal_div_10_reduceIsEEE10hipError_tPvRmT2_T3_mT4_T5_T6_T7_T8_P12ihipStream_tbENKUlT_T0_E_clISt17integral_constantIbLb0EES11_EEDaSW_SX_EUlSW_E_NS1_11comp_targetILNS1_3genE10ELNS1_11target_archE1200ELNS1_3gpuE4ELNS1_3repE0EEENS1_30default_config_static_selectorELNS0_4arch9wavefront6targetE0EEEvT1_: ; @_ZN7rocprim17ROCPRIM_400000_NS6detail17trampoline_kernelINS0_14default_configENS1_29reduce_by_key_config_selectorIssN6thrust23THRUST_200600_302600_NS4plusIsEEEEZZNS1_33reduce_by_key_impl_wrapped_configILNS1_25lookback_scan_determinismE0ES3_S9_NS6_6detail15normal_iteratorINS6_10device_ptrIsEEEESG_SG_SG_PmS8_22is_equal_div_10_reduceIsEEE10hipError_tPvRmT2_T3_mT4_T5_T6_T7_T8_P12ihipStream_tbENKUlT_T0_E_clISt17integral_constantIbLb0EES11_EEDaSW_SX_EUlSW_E_NS1_11comp_targetILNS1_3genE10ELNS1_11target_archE1200ELNS1_3gpuE4ELNS1_3repE0EEENS1_30default_config_static_selectorELNS0_4arch9wavefront6targetE0EEEvT1_
; %bb.0:
	.section	.rodata,"a",@progbits
	.p2align	6, 0x0
	.amdhsa_kernel _ZN7rocprim17ROCPRIM_400000_NS6detail17trampoline_kernelINS0_14default_configENS1_29reduce_by_key_config_selectorIssN6thrust23THRUST_200600_302600_NS4plusIsEEEEZZNS1_33reduce_by_key_impl_wrapped_configILNS1_25lookback_scan_determinismE0ES3_S9_NS6_6detail15normal_iteratorINS6_10device_ptrIsEEEESG_SG_SG_PmS8_22is_equal_div_10_reduceIsEEE10hipError_tPvRmT2_T3_mT4_T5_T6_T7_T8_P12ihipStream_tbENKUlT_T0_E_clISt17integral_constantIbLb0EES11_EEDaSW_SX_EUlSW_E_NS1_11comp_targetILNS1_3genE10ELNS1_11target_archE1200ELNS1_3gpuE4ELNS1_3repE0EEENS1_30default_config_static_selectorELNS0_4arch9wavefront6targetE0EEEvT1_
		.amdhsa_group_segment_fixed_size 0
		.amdhsa_private_segment_fixed_size 0
		.amdhsa_kernarg_size 120
		.amdhsa_user_sgpr_count 15
		.amdhsa_user_sgpr_dispatch_ptr 0
		.amdhsa_user_sgpr_queue_ptr 0
		.amdhsa_user_sgpr_kernarg_segment_ptr 1
		.amdhsa_user_sgpr_dispatch_id 0
		.amdhsa_user_sgpr_private_segment_size 0
		.amdhsa_wavefront_size32 1
		.amdhsa_uses_dynamic_stack 0
		.amdhsa_enable_private_segment 0
		.amdhsa_system_sgpr_workgroup_id_x 1
		.amdhsa_system_sgpr_workgroup_id_y 0
		.amdhsa_system_sgpr_workgroup_id_z 0
		.amdhsa_system_sgpr_workgroup_info 0
		.amdhsa_system_vgpr_workitem_id 0
		.amdhsa_next_free_vgpr 1
		.amdhsa_next_free_sgpr 1
		.amdhsa_reserve_vcc 0
		.amdhsa_float_round_mode_32 0
		.amdhsa_float_round_mode_16_64 0
		.amdhsa_float_denorm_mode_32 3
		.amdhsa_float_denorm_mode_16_64 3
		.amdhsa_dx10_clamp 1
		.amdhsa_ieee_mode 1
		.amdhsa_fp16_overflow 0
		.amdhsa_workgroup_processor_mode 1
		.amdhsa_memory_ordered 1
		.amdhsa_forward_progress 0
		.amdhsa_shared_vgpr_count 0
		.amdhsa_exception_fp_ieee_invalid_op 0
		.amdhsa_exception_fp_denorm_src 0
		.amdhsa_exception_fp_ieee_div_zero 0
		.amdhsa_exception_fp_ieee_overflow 0
		.amdhsa_exception_fp_ieee_underflow 0
		.amdhsa_exception_fp_ieee_inexact 0
		.amdhsa_exception_int_div_zero 0
	.end_amdhsa_kernel
	.section	.text._ZN7rocprim17ROCPRIM_400000_NS6detail17trampoline_kernelINS0_14default_configENS1_29reduce_by_key_config_selectorIssN6thrust23THRUST_200600_302600_NS4plusIsEEEEZZNS1_33reduce_by_key_impl_wrapped_configILNS1_25lookback_scan_determinismE0ES3_S9_NS6_6detail15normal_iteratorINS6_10device_ptrIsEEEESG_SG_SG_PmS8_22is_equal_div_10_reduceIsEEE10hipError_tPvRmT2_T3_mT4_T5_T6_T7_T8_P12ihipStream_tbENKUlT_T0_E_clISt17integral_constantIbLb0EES11_EEDaSW_SX_EUlSW_E_NS1_11comp_targetILNS1_3genE10ELNS1_11target_archE1200ELNS1_3gpuE4ELNS1_3repE0EEENS1_30default_config_static_selectorELNS0_4arch9wavefront6targetE0EEEvT1_,"axG",@progbits,_ZN7rocprim17ROCPRIM_400000_NS6detail17trampoline_kernelINS0_14default_configENS1_29reduce_by_key_config_selectorIssN6thrust23THRUST_200600_302600_NS4plusIsEEEEZZNS1_33reduce_by_key_impl_wrapped_configILNS1_25lookback_scan_determinismE0ES3_S9_NS6_6detail15normal_iteratorINS6_10device_ptrIsEEEESG_SG_SG_PmS8_22is_equal_div_10_reduceIsEEE10hipError_tPvRmT2_T3_mT4_T5_T6_T7_T8_P12ihipStream_tbENKUlT_T0_E_clISt17integral_constantIbLb0EES11_EEDaSW_SX_EUlSW_E_NS1_11comp_targetILNS1_3genE10ELNS1_11target_archE1200ELNS1_3gpuE4ELNS1_3repE0EEENS1_30default_config_static_selectorELNS0_4arch9wavefront6targetE0EEEvT1_,comdat
.Lfunc_end667:
	.size	_ZN7rocprim17ROCPRIM_400000_NS6detail17trampoline_kernelINS0_14default_configENS1_29reduce_by_key_config_selectorIssN6thrust23THRUST_200600_302600_NS4plusIsEEEEZZNS1_33reduce_by_key_impl_wrapped_configILNS1_25lookback_scan_determinismE0ES3_S9_NS6_6detail15normal_iteratorINS6_10device_ptrIsEEEESG_SG_SG_PmS8_22is_equal_div_10_reduceIsEEE10hipError_tPvRmT2_T3_mT4_T5_T6_T7_T8_P12ihipStream_tbENKUlT_T0_E_clISt17integral_constantIbLb0EES11_EEDaSW_SX_EUlSW_E_NS1_11comp_targetILNS1_3genE10ELNS1_11target_archE1200ELNS1_3gpuE4ELNS1_3repE0EEENS1_30default_config_static_selectorELNS0_4arch9wavefront6targetE0EEEvT1_, .Lfunc_end667-_ZN7rocprim17ROCPRIM_400000_NS6detail17trampoline_kernelINS0_14default_configENS1_29reduce_by_key_config_selectorIssN6thrust23THRUST_200600_302600_NS4plusIsEEEEZZNS1_33reduce_by_key_impl_wrapped_configILNS1_25lookback_scan_determinismE0ES3_S9_NS6_6detail15normal_iteratorINS6_10device_ptrIsEEEESG_SG_SG_PmS8_22is_equal_div_10_reduceIsEEE10hipError_tPvRmT2_T3_mT4_T5_T6_T7_T8_P12ihipStream_tbENKUlT_T0_E_clISt17integral_constantIbLb0EES11_EEDaSW_SX_EUlSW_E_NS1_11comp_targetILNS1_3genE10ELNS1_11target_archE1200ELNS1_3gpuE4ELNS1_3repE0EEENS1_30default_config_static_selectorELNS0_4arch9wavefront6targetE0EEEvT1_
                                        ; -- End function
	.section	.AMDGPU.csdata,"",@progbits
; Kernel info:
; codeLenInByte = 0
; NumSgprs: 0
; NumVgprs: 0
; ScratchSize: 0
; MemoryBound: 0
; FloatMode: 240
; IeeeMode: 1
; LDSByteSize: 0 bytes/workgroup (compile time only)
; SGPRBlocks: 0
; VGPRBlocks: 0
; NumSGPRsForWavesPerEU: 1
; NumVGPRsForWavesPerEU: 1
; Occupancy: 16
; WaveLimiterHint : 0
; COMPUTE_PGM_RSRC2:SCRATCH_EN: 0
; COMPUTE_PGM_RSRC2:USER_SGPR: 15
; COMPUTE_PGM_RSRC2:TRAP_HANDLER: 0
; COMPUTE_PGM_RSRC2:TGID_X_EN: 1
; COMPUTE_PGM_RSRC2:TGID_Y_EN: 0
; COMPUTE_PGM_RSRC2:TGID_Z_EN: 0
; COMPUTE_PGM_RSRC2:TIDIG_COMP_CNT: 0
	.section	.text._ZN7rocprim17ROCPRIM_400000_NS6detail17trampoline_kernelINS0_14default_configENS1_29reduce_by_key_config_selectorIssN6thrust23THRUST_200600_302600_NS4plusIsEEEEZZNS1_33reduce_by_key_impl_wrapped_configILNS1_25lookback_scan_determinismE0ES3_S9_NS6_6detail15normal_iteratorINS6_10device_ptrIsEEEESG_SG_SG_PmS8_22is_equal_div_10_reduceIsEEE10hipError_tPvRmT2_T3_mT4_T5_T6_T7_T8_P12ihipStream_tbENKUlT_T0_E_clISt17integral_constantIbLb0EES11_EEDaSW_SX_EUlSW_E_NS1_11comp_targetILNS1_3genE9ELNS1_11target_archE1100ELNS1_3gpuE3ELNS1_3repE0EEENS1_30default_config_static_selectorELNS0_4arch9wavefront6targetE0EEEvT1_,"axG",@progbits,_ZN7rocprim17ROCPRIM_400000_NS6detail17trampoline_kernelINS0_14default_configENS1_29reduce_by_key_config_selectorIssN6thrust23THRUST_200600_302600_NS4plusIsEEEEZZNS1_33reduce_by_key_impl_wrapped_configILNS1_25lookback_scan_determinismE0ES3_S9_NS6_6detail15normal_iteratorINS6_10device_ptrIsEEEESG_SG_SG_PmS8_22is_equal_div_10_reduceIsEEE10hipError_tPvRmT2_T3_mT4_T5_T6_T7_T8_P12ihipStream_tbENKUlT_T0_E_clISt17integral_constantIbLb0EES11_EEDaSW_SX_EUlSW_E_NS1_11comp_targetILNS1_3genE9ELNS1_11target_archE1100ELNS1_3gpuE3ELNS1_3repE0EEENS1_30default_config_static_selectorELNS0_4arch9wavefront6targetE0EEEvT1_,comdat
	.protected	_ZN7rocprim17ROCPRIM_400000_NS6detail17trampoline_kernelINS0_14default_configENS1_29reduce_by_key_config_selectorIssN6thrust23THRUST_200600_302600_NS4plusIsEEEEZZNS1_33reduce_by_key_impl_wrapped_configILNS1_25lookback_scan_determinismE0ES3_S9_NS6_6detail15normal_iteratorINS6_10device_ptrIsEEEESG_SG_SG_PmS8_22is_equal_div_10_reduceIsEEE10hipError_tPvRmT2_T3_mT4_T5_T6_T7_T8_P12ihipStream_tbENKUlT_T0_E_clISt17integral_constantIbLb0EES11_EEDaSW_SX_EUlSW_E_NS1_11comp_targetILNS1_3genE9ELNS1_11target_archE1100ELNS1_3gpuE3ELNS1_3repE0EEENS1_30default_config_static_selectorELNS0_4arch9wavefront6targetE0EEEvT1_ ; -- Begin function _ZN7rocprim17ROCPRIM_400000_NS6detail17trampoline_kernelINS0_14default_configENS1_29reduce_by_key_config_selectorIssN6thrust23THRUST_200600_302600_NS4plusIsEEEEZZNS1_33reduce_by_key_impl_wrapped_configILNS1_25lookback_scan_determinismE0ES3_S9_NS6_6detail15normal_iteratorINS6_10device_ptrIsEEEESG_SG_SG_PmS8_22is_equal_div_10_reduceIsEEE10hipError_tPvRmT2_T3_mT4_T5_T6_T7_T8_P12ihipStream_tbENKUlT_T0_E_clISt17integral_constantIbLb0EES11_EEDaSW_SX_EUlSW_E_NS1_11comp_targetILNS1_3genE9ELNS1_11target_archE1100ELNS1_3gpuE3ELNS1_3repE0EEENS1_30default_config_static_selectorELNS0_4arch9wavefront6targetE0EEEvT1_
	.globl	_ZN7rocprim17ROCPRIM_400000_NS6detail17trampoline_kernelINS0_14default_configENS1_29reduce_by_key_config_selectorIssN6thrust23THRUST_200600_302600_NS4plusIsEEEEZZNS1_33reduce_by_key_impl_wrapped_configILNS1_25lookback_scan_determinismE0ES3_S9_NS6_6detail15normal_iteratorINS6_10device_ptrIsEEEESG_SG_SG_PmS8_22is_equal_div_10_reduceIsEEE10hipError_tPvRmT2_T3_mT4_T5_T6_T7_T8_P12ihipStream_tbENKUlT_T0_E_clISt17integral_constantIbLb0EES11_EEDaSW_SX_EUlSW_E_NS1_11comp_targetILNS1_3genE9ELNS1_11target_archE1100ELNS1_3gpuE3ELNS1_3repE0EEENS1_30default_config_static_selectorELNS0_4arch9wavefront6targetE0EEEvT1_
	.p2align	8
	.type	_ZN7rocprim17ROCPRIM_400000_NS6detail17trampoline_kernelINS0_14default_configENS1_29reduce_by_key_config_selectorIssN6thrust23THRUST_200600_302600_NS4plusIsEEEEZZNS1_33reduce_by_key_impl_wrapped_configILNS1_25lookback_scan_determinismE0ES3_S9_NS6_6detail15normal_iteratorINS6_10device_ptrIsEEEESG_SG_SG_PmS8_22is_equal_div_10_reduceIsEEE10hipError_tPvRmT2_T3_mT4_T5_T6_T7_T8_P12ihipStream_tbENKUlT_T0_E_clISt17integral_constantIbLb0EES11_EEDaSW_SX_EUlSW_E_NS1_11comp_targetILNS1_3genE9ELNS1_11target_archE1100ELNS1_3gpuE3ELNS1_3repE0EEENS1_30default_config_static_selectorELNS0_4arch9wavefront6targetE0EEEvT1_,@function
_ZN7rocprim17ROCPRIM_400000_NS6detail17trampoline_kernelINS0_14default_configENS1_29reduce_by_key_config_selectorIssN6thrust23THRUST_200600_302600_NS4plusIsEEEEZZNS1_33reduce_by_key_impl_wrapped_configILNS1_25lookback_scan_determinismE0ES3_S9_NS6_6detail15normal_iteratorINS6_10device_ptrIsEEEESG_SG_SG_PmS8_22is_equal_div_10_reduceIsEEE10hipError_tPvRmT2_T3_mT4_T5_T6_T7_T8_P12ihipStream_tbENKUlT_T0_E_clISt17integral_constantIbLb0EES11_EEDaSW_SX_EUlSW_E_NS1_11comp_targetILNS1_3genE9ELNS1_11target_archE1100ELNS1_3gpuE3ELNS1_3repE0EEENS1_30default_config_static_selectorELNS0_4arch9wavefront6targetE0EEEvT1_: ; @_ZN7rocprim17ROCPRIM_400000_NS6detail17trampoline_kernelINS0_14default_configENS1_29reduce_by_key_config_selectorIssN6thrust23THRUST_200600_302600_NS4plusIsEEEEZZNS1_33reduce_by_key_impl_wrapped_configILNS1_25lookback_scan_determinismE0ES3_S9_NS6_6detail15normal_iteratorINS6_10device_ptrIsEEEESG_SG_SG_PmS8_22is_equal_div_10_reduceIsEEE10hipError_tPvRmT2_T3_mT4_T5_T6_T7_T8_P12ihipStream_tbENKUlT_T0_E_clISt17integral_constantIbLb0EES11_EEDaSW_SX_EUlSW_E_NS1_11comp_targetILNS1_3genE9ELNS1_11target_archE1100ELNS1_3gpuE3ELNS1_3repE0EEENS1_30default_config_static_selectorELNS0_4arch9wavefront6targetE0EEEvT1_
; %bb.0:
	s_clause 0x4
	s_load_b256 s[16:23], s[0:1], 0x0
	s_load_b256 s[24:31], s[0:1], 0x38
	s_load_b128 s[36:39], s[0:1], 0x20
	s_load_b64 s[34:35], s[0:1], 0x68
	s_load_b128 s[40:43], s[0:1], 0x58
	s_mov_b32 s3, 0
	s_mul_i32 s2, s15, 0xf00
	v_mul_u32_u24_e32 v5, 15, v0
	s_waitcnt lgkmcnt(0)
	s_lshl_b64 s[0:1], s[18:19], 1
	s_mul_i32 s4, s28, s27
	s_add_u32 s8, s16, s0
	s_mul_hi_u32 s5, s28, s26
	s_addc_u32 s9, s17, s1
	s_add_u32 s10, s20, s0
	s_mul_i32 s6, s29, s26
	s_addc_u32 s11, s21, s1
	s_add_i32 s4, s5, s4
	s_lshl_b64 s[0:1], s[2:3], 1
	s_add_i32 s4, s4, s6
	s_add_u32 s14, s8, s0
	s_addc_u32 s21, s9, s1
	s_mul_i32 s7, s28, s26
	s_add_u32 s20, s10, s0
	s_addc_u32 s29, s11, s1
	s_add_u32 s16, s7, s15
	s_addc_u32 s17, s4, 0
	s_add_u32 s0, s30, -1
	s_addc_u32 s1, s31, -1
	s_mul_i32 s19, s0, 0xfffff100
	s_cmp_eq_u64 s[16:17], s[0:1]
	s_cselect_b32 s18, -1, 0
	s_cmp_lg_u64 s[16:17], s[0:1]
	s_cselect_b32 s28, -1, 0
	s_and_b32 vcc_lo, exec_lo, s18
	s_cbranch_vccnz .LBB668_2
; %bb.1:
	v_lshlrev_b32_e32 v9, 1, v0
	s_delay_alu instid0(VALU_DEP_1) | instskip(NEXT) | instid1(VALU_DEP_1)
	v_add_co_u32 v1, s0, s14, v9
	v_add_co_ci_u32_e64 v2, null, s21, 0, s0
	v_add_co_u32 v7, s0, s20, v9
	s_delay_alu instid0(VALU_DEP_3) | instskip(NEXT) | instid1(VALU_DEP_3)
	v_add_co_u32 v3, vcc_lo, 0x1000, v1
	v_add_co_ci_u32_e32 v4, vcc_lo, 0, v2, vcc_lo
	s_clause 0xe
	flat_load_u16 v10, v[1:2]
	flat_load_u16 v11, v[1:2] offset:512
	flat_load_u16 v12, v[1:2] offset:1024
	;; [unrolled: 1-line block ×7, first 2 shown]
	flat_load_u16 v2, v[3:4]
	flat_load_u16 v19, v[3:4] offset:512
	flat_load_u16 v20, v[3:4] offset:1024
	;; [unrolled: 1-line block ×6, first 2 shown]
	v_add_co_ci_u32_e64 v8, null, s29, 0, s0
	v_mad_u32_u24 v6, v0, 28, v9
	v_add_co_u32 v13, vcc_lo, 0x1000, v7
	s_delay_alu instid0(VALU_DEP_3)
	v_add_co_ci_u32_e32 v14, vcc_lo, 0, v8, vcc_lo
	s_waitcnt vmcnt(14) lgkmcnt(14)
	ds_store_b16 v9, v10
	s_waitcnt vmcnt(13) lgkmcnt(14)
	ds_store_b16 v9, v11 offset:512
	s_waitcnt vmcnt(12) lgkmcnt(14)
	ds_store_b16 v9, v12 offset:1024
	;; [unrolled: 2-line block ×14, first 2 shown]
	s_waitcnt lgkmcnt(0)
	s_barrier
	buffer_gl0_inv
	ds_load_u16 v62, v6
	ds_load_b128 v[1:4], v6 offset:2
	ds_load_b96 v[10:12], v6 offset:18
	s_waitcnt lgkmcnt(0)
	s_barrier
	buffer_gl0_inv
	s_clause 0xe
	flat_load_u16 v15, v[7:8]
	flat_load_u16 v16, v[7:8] offset:512
	flat_load_u16 v17, v[7:8] offset:1024
	;; [unrolled: 1-line block ×7, first 2 shown]
	flat_load_u16 v8, v[13:14]
	flat_load_u16 v22, v[13:14] offset:512
	flat_load_u16 v23, v[13:14] offset:1024
	;; [unrolled: 1-line block ×6, first 2 shown]
	v_mul_u32_u24_e32 v13, 15, v0
	s_waitcnt vmcnt(14) lgkmcnt(14)
	ds_store_b16 v9, v15
	s_waitcnt vmcnt(13) lgkmcnt(14)
	ds_store_b16 v9, v16 offset:512
	s_waitcnt vmcnt(12) lgkmcnt(14)
	ds_store_b16 v9, v17 offset:1024
	;; [unrolled: 2-line block ×14, first 2 shown]
	s_waitcnt lgkmcnt(0)
	s_barrier
	s_and_not1_b32 vcc_lo, exec_lo, s3
	s_add_i32 s19, s19, s40
	s_cbranch_vccz .LBB668_3
	s_branch .LBB668_50
.LBB668_2:
                                        ; implicit-def: $vgpr1
                                        ; implicit-def: $vgpr10
                                        ; implicit-def: $vgpr13
                                        ; implicit-def: $vgpr6
                                        ; implicit-def: $vgpr62
	s_add_i32 s19, s19, s40
.LBB668_3:
	s_delay_alu instid0(SALU_CYCLE_1)
	v_cmp_gt_u32_e32 vcc_lo, s19, v0
                                        ; implicit-def: $vgpr1
	s_and_saveexec_b32 s0, vcc_lo
	s_cbranch_execz .LBB668_5
; %bb.4:
	v_lshlrev_b32_e32 v1, 1, v0
	s_delay_alu instid0(VALU_DEP_1) | instskip(NEXT) | instid1(VALU_DEP_1)
	v_add_co_u32 v1, s1, s14, v1
	v_add_co_ci_u32_e64 v2, null, s21, 0, s1
	flat_load_u16 v1, v[1:2]
.LBB668_5:
	s_or_b32 exec_lo, exec_lo, s0
	v_or_b32_e32 v2, 0x100, v0
	s_delay_alu instid0(VALU_DEP_1) | instskip(NEXT) | instid1(VALU_DEP_1)
	v_cmp_gt_u32_e64 s0, s19, v2
                                        ; implicit-def: $vgpr2
	s_and_saveexec_b32 s1, s0
	s_cbranch_execz .LBB668_7
; %bb.6:
	v_lshlrev_b32_e32 v2, 1, v0
	s_delay_alu instid0(VALU_DEP_1) | instskip(NEXT) | instid1(VALU_DEP_1)
	v_add_co_u32 v2, s2, s14, v2
	v_add_co_ci_u32_e64 v3, null, s21, 0, s2
	flat_load_u16 v2, v[2:3] offset:512
.LBB668_7:
	s_or_b32 exec_lo, exec_lo, s1
	v_or_b32_e32 v3, 0x200, v0
	s_delay_alu instid0(VALU_DEP_1) | instskip(NEXT) | instid1(VALU_DEP_1)
	v_cmp_gt_u32_e64 s1, s19, v3
                                        ; implicit-def: $vgpr3
	s_and_saveexec_b32 s2, s1
	s_cbranch_execz .LBB668_9
; %bb.8:
	v_lshlrev_b32_e32 v3, 1, v0
	s_delay_alu instid0(VALU_DEP_1) | instskip(NEXT) | instid1(VALU_DEP_1)
	v_add_co_u32 v3, s3, s14, v3
	v_add_co_ci_u32_e64 v4, null, s21, 0, s3
	flat_load_u16 v3, v[3:4] offset:1024
.LBB668_9:
	s_or_b32 exec_lo, exec_lo, s2
	v_or_b32_e32 v4, 0x300, v0
	s_delay_alu instid0(VALU_DEP_1) | instskip(NEXT) | instid1(VALU_DEP_1)
	v_cmp_gt_u32_e64 s2, s19, v4
                                        ; implicit-def: $vgpr4
	s_and_saveexec_b32 s3, s2
	s_cbranch_execz .LBB668_11
; %bb.10:
	v_lshlrev_b32_e32 v4, 1, v0
	s_delay_alu instid0(VALU_DEP_1) | instskip(NEXT) | instid1(VALU_DEP_1)
	v_add_co_u32 v6, s4, s14, v4
	v_add_co_ci_u32_e64 v7, null, s21, 0, s4
	flat_load_u16 v4, v[6:7] offset:1536
.LBB668_11:
	s_or_b32 exec_lo, exec_lo, s3
	v_or_b32_e32 v6, 0x400, v0
	s_delay_alu instid0(VALU_DEP_1) | instskip(NEXT) | instid1(VALU_DEP_1)
	v_cmp_gt_u32_e64 s3, s19, v6
                                        ; implicit-def: $vgpr6
	s_and_saveexec_b32 s4, s3
	s_cbranch_execz .LBB668_13
; %bb.12:
	v_lshlrev_b32_e32 v6, 1, v0
	s_delay_alu instid0(VALU_DEP_1) | instskip(NEXT) | instid1(VALU_DEP_1)
	v_add_co_u32 v6, s5, s14, v6
	v_add_co_ci_u32_e64 v7, null, s21, 0, s5
	flat_load_u16 v6, v[6:7] offset:2048
.LBB668_13:
	s_or_b32 exec_lo, exec_lo, s4
	v_or_b32_e32 v7, 0x500, v0
                                        ; implicit-def: $vgpr10
	s_delay_alu instid0(VALU_DEP_1) | instskip(NEXT) | instid1(VALU_DEP_1)
	v_cmp_gt_u32_e64 s4, s19, v7
	s_and_saveexec_b32 s5, s4
	s_cbranch_execz .LBB668_15
; %bb.14:
	v_lshlrev_b32_e32 v7, 1, v0
	s_delay_alu instid0(VALU_DEP_1) | instskip(NEXT) | instid1(VALU_DEP_1)
	v_add_co_u32 v7, s6, s14, v7
	v_add_co_ci_u32_e64 v8, null, s21, 0, s6
	flat_load_u16 v10, v[7:8] offset:2560
.LBB668_15:
	s_or_b32 exec_lo, exec_lo, s5
	v_or_b32_e32 v7, 0x600, v0
                                        ; implicit-def: $vgpr11
	s_delay_alu instid0(VALU_DEP_1) | instskip(NEXT) | instid1(VALU_DEP_1)
	v_cmp_gt_u32_e64 s5, s19, v7
	s_and_saveexec_b32 s6, s5
	s_cbranch_execz .LBB668_17
; %bb.16:
	v_lshlrev_b32_e32 v7, 1, v0
	s_delay_alu instid0(VALU_DEP_1) | instskip(NEXT) | instid1(VALU_DEP_1)
	v_add_co_u32 v7, s7, s14, v7
	v_add_co_ci_u32_e64 v8, null, s21, 0, s7
	flat_load_u16 v11, v[7:8] offset:3072
.LBB668_17:
	s_or_b32 exec_lo, exec_lo, s6
	v_or_b32_e32 v7, 0x700, v0
                                        ; implicit-def: $vgpr12
	s_delay_alu instid0(VALU_DEP_1) | instskip(NEXT) | instid1(VALU_DEP_1)
	v_cmp_gt_u32_e64 s6, s19, v7
	s_and_saveexec_b32 s7, s6
	s_cbranch_execz .LBB668_19
; %bb.18:
	v_lshlrev_b32_e32 v7, 1, v0
	s_delay_alu instid0(VALU_DEP_1) | instskip(NEXT) | instid1(VALU_DEP_1)
	v_add_co_u32 v7, s8, s14, v7
	v_add_co_ci_u32_e64 v8, null, s21, 0, s8
	flat_load_u16 v12, v[7:8] offset:3584
.LBB668_19:
	s_or_b32 exec_lo, exec_lo, s7
	v_or_b32_e32 v7, 0x800, v0
                                        ; implicit-def: $vgpr18
	s_delay_alu instid0(VALU_DEP_1) | instskip(SKIP_1) | instid1(VALU_DEP_2)
	v_cmp_gt_u32_e64 s7, s19, v7
	v_lshlrev_b32_e32 v8, 1, v7
	s_and_saveexec_b32 s8, s7
	s_cbranch_execz .LBB668_21
; %bb.20:
	s_delay_alu instid0(VALU_DEP_1) | instskip(NEXT) | instid1(VALU_DEP_1)
	v_add_co_u32 v13, s9, s14, v8
	v_add_co_ci_u32_e64 v14, null, s21, 0, s9
	flat_load_u16 v18, v[13:14]
.LBB668_21:
	s_or_b32 exec_lo, exec_lo, s8
	v_or_b32_e32 v7, 0x900, v0
                                        ; implicit-def: $vgpr19
	s_delay_alu instid0(VALU_DEP_1) | instskip(SKIP_1) | instid1(VALU_DEP_2)
	v_cmp_gt_u32_e64 s8, s19, v7
	v_lshlrev_b32_e32 v9, 1, v7
	s_and_saveexec_b32 s9, s8
	s_cbranch_execz .LBB668_23
; %bb.22:
	s_delay_alu instid0(VALU_DEP_1) | instskip(NEXT) | instid1(VALU_DEP_1)
	v_add_co_u32 v13, s10, s14, v9
	v_add_co_ci_u32_e64 v14, null, s21, 0, s10
	flat_load_u16 v19, v[13:14]
.LBB668_23:
	s_or_b32 exec_lo, exec_lo, s9
	v_or_b32_e32 v7, 0xa00, v0
                                        ; implicit-def: $vgpr20
	s_delay_alu instid0(VALU_DEP_1) | instskip(SKIP_1) | instid1(VALU_DEP_2)
	v_cmp_gt_u32_e64 s9, s19, v7
	v_lshlrev_b32_e32 v13, 1, v7
	s_and_saveexec_b32 s10, s9
	s_cbranch_execz .LBB668_25
; %bb.24:
	s_delay_alu instid0(VALU_DEP_1) | instskip(NEXT) | instid1(VALU_DEP_1)
	v_add_co_u32 v14, s11, s14, v13
	v_add_co_ci_u32_e64 v15, null, s21, 0, s11
	flat_load_u16 v20, v[14:15]
.LBB668_25:
	s_or_b32 exec_lo, exec_lo, s10
	v_or_b32_e32 v7, 0xb00, v0
                                        ; implicit-def: $vgpr21
	s_delay_alu instid0(VALU_DEP_1) | instskip(SKIP_1) | instid1(VALU_DEP_2)
	v_cmp_gt_u32_e64 s10, s19, v7
	v_lshlrev_b32_e32 v14, 1, v7
	s_and_saveexec_b32 s11, s10
	s_cbranch_execz .LBB668_27
; %bb.26:
	s_delay_alu instid0(VALU_DEP_1) | instskip(NEXT) | instid1(VALU_DEP_1)
	v_add_co_u32 v15, s12, s14, v14
	v_add_co_ci_u32_e64 v16, null, s21, 0, s12
	flat_load_u16 v21, v[15:16]
.LBB668_27:
	s_or_b32 exec_lo, exec_lo, s11
	v_or_b32_e32 v7, 0xc00, v0
                                        ; implicit-def: $vgpr22
	s_delay_alu instid0(VALU_DEP_1) | instskip(SKIP_1) | instid1(VALU_DEP_2)
	v_cmp_gt_u32_e64 s11, s19, v7
	v_lshlrev_b32_e32 v15, 1, v7
	s_and_saveexec_b32 s12, s11
	s_cbranch_execz .LBB668_29
; %bb.28:
	s_delay_alu instid0(VALU_DEP_1) | instskip(NEXT) | instid1(VALU_DEP_1)
	v_add_co_u32 v16, s13, s14, v15
	v_add_co_ci_u32_e64 v17, null, s21, 0, s13
	flat_load_u16 v22, v[16:17]
.LBB668_29:
	s_or_b32 exec_lo, exec_lo, s12
	v_or_b32_e32 v7, 0xd00, v0
                                        ; implicit-def: $vgpr23
	s_delay_alu instid0(VALU_DEP_1) | instskip(SKIP_1) | instid1(VALU_DEP_2)
	v_cmp_gt_u32_e64 s12, s19, v7
	v_lshlrev_b32_e32 v16, 1, v7
	s_and_saveexec_b32 s13, s12
	s_cbranch_execz .LBB668_31
; %bb.30:
	s_delay_alu instid0(VALU_DEP_1) | instskip(NEXT) | instid1(VALU_DEP_1)
	v_add_co_u32 v23, s30, s14, v16
	v_add_co_ci_u32_e64 v24, null, s21, 0, s30
	flat_load_u16 v23, v[23:24]
.LBB668_31:
	s_or_b32 exec_lo, exec_lo, s13
	v_or_b32_e32 v7, 0xe00, v0
                                        ; implicit-def: $vgpr24
	s_delay_alu instid0(VALU_DEP_1) | instskip(SKIP_1) | instid1(VALU_DEP_2)
	v_cmp_gt_u32_e64 s13, s19, v7
	v_lshlrev_b32_e32 v17, 1, v7
	s_and_saveexec_b32 s30, s13
	s_cbranch_execz .LBB668_33
; %bb.32:
	s_delay_alu instid0(VALU_DEP_1) | instskip(NEXT) | instid1(VALU_DEP_1)
	v_add_co_u32 v24, s31, s14, v17
	v_add_co_ci_u32_e64 v25, null, s21, 0, s31
	flat_load_u16 v24, v[24:25]
.LBB668_33:
	s_or_b32 exec_lo, exec_lo, s30
	v_lshlrev_b32_e32 v7, 1, v0
	s_waitcnt vmcnt(0) lgkmcnt(0)
	ds_store_b16 v7, v1
	ds_store_b16 v7, v2 offset:512
	ds_store_b16 v7, v3 offset:1024
	;; [unrolled: 1-line block ×7, first 2 shown]
	v_mad_u32_u24 v6, v0, 28, v7
	ds_store_b16 v7, v18 offset:4096
	ds_store_b16 v7, v19 offset:4608
	;; [unrolled: 1-line block ×7, first 2 shown]
	s_waitcnt lgkmcnt(0)
	s_barrier
	buffer_gl0_inv
	ds_load_u16 v62, v6
	ds_load_b128 v[1:4], v6 offset:2
	ds_load_b96 v[10:12], v6 offset:18
	s_waitcnt lgkmcnt(0)
	s_barrier
	buffer_gl0_inv
                                        ; implicit-def: $vgpr18
	s_and_saveexec_b32 s30, vcc_lo
	s_cbranch_execnz .LBB668_57
; %bb.34:
	s_or_b32 exec_lo, exec_lo, s30
                                        ; implicit-def: $vgpr19
	s_and_saveexec_b32 s30, s0
	s_cbranch_execnz .LBB668_58
.LBB668_35:
	s_or_b32 exec_lo, exec_lo, s30
                                        ; implicit-def: $vgpr20
	s_and_saveexec_b32 s0, s1
	s_cbranch_execnz .LBB668_59
.LBB668_36:
	s_or_b32 exec_lo, exec_lo, s0
                                        ; implicit-def: $vgpr21
	s_and_saveexec_b32 s0, s2
	s_cbranch_execnz .LBB668_60
.LBB668_37:
	s_or_b32 exec_lo, exec_lo, s0
                                        ; implicit-def: $vgpr22
	s_and_saveexec_b32 s0, s3
	s_cbranch_execnz .LBB668_61
.LBB668_38:
	s_or_b32 exec_lo, exec_lo, s0
                                        ; implicit-def: $vgpr23
	s_and_saveexec_b32 s0, s4
	s_cbranch_execnz .LBB668_62
.LBB668_39:
	s_or_b32 exec_lo, exec_lo, s0
                                        ; implicit-def: $vgpr24
	s_and_saveexec_b32 s0, s5
	s_cbranch_execnz .LBB668_63
.LBB668_40:
	s_or_b32 exec_lo, exec_lo, s0
                                        ; implicit-def: $vgpr26
	s_and_saveexec_b32 s0, s6
	s_cbranch_execnz .LBB668_64
.LBB668_41:
	s_or_b32 exec_lo, exec_lo, s0
                                        ; implicit-def: $vgpr25
	s_and_saveexec_b32 s0, s7
	s_cbranch_execnz .LBB668_65
.LBB668_42:
	s_or_b32 exec_lo, exec_lo, s0
                                        ; implicit-def: $vgpr8
	s_and_saveexec_b32 s0, s8
	s_cbranch_execnz .LBB668_66
.LBB668_43:
	s_or_b32 exec_lo, exec_lo, s0
                                        ; implicit-def: $vgpr9
	s_and_saveexec_b32 s0, s9
	s_cbranch_execnz .LBB668_67
.LBB668_44:
	s_or_b32 exec_lo, exec_lo, s0
                                        ; implicit-def: $vgpr27
	s_and_saveexec_b32 s0, s10
	s_cbranch_execnz .LBB668_68
.LBB668_45:
	s_or_b32 exec_lo, exec_lo, s0
                                        ; implicit-def: $vgpr14
	s_and_saveexec_b32 s0, s11
	s_cbranch_execnz .LBB668_69
.LBB668_46:
	s_or_b32 exec_lo, exec_lo, s0
                                        ; implicit-def: $vgpr15
	s_and_saveexec_b32 s0, s12
	s_cbranch_execnz .LBB668_70
.LBB668_47:
	s_or_b32 exec_lo, exec_lo, s0
                                        ; implicit-def: $vgpr16
	s_and_saveexec_b32 s0, s13
	s_cbranch_execz .LBB668_49
.LBB668_48:
	v_add_co_u32 v16, s1, s20, v17
	s_delay_alu instid0(VALU_DEP_1)
	v_add_co_ci_u32_e64 v17, null, s29, 0, s1
	flat_load_u16 v16, v[16:17]
.LBB668_49:
	s_or_b32 exec_lo, exec_lo, s0
	v_mov_b32_e32 v13, v5
	s_waitcnt vmcnt(0) lgkmcnt(0)
	ds_store_b16 v7, v18
	ds_store_b16 v7, v19 offset:512
	ds_store_b16 v7, v20 offset:1024
	;; [unrolled: 1-line block ×14, first 2 shown]
	s_waitcnt lgkmcnt(0)
	s_barrier
.LBB668_50:
	v_lshlrev_b32_e32 v7, 1, v13
	buffer_gl0_inv
	ds_load_u16 v74, v6
	ds_load_u16 v73, v6 offset:2
	ds_load_u16 v71, v6 offset:6
	;; [unrolled: 1-line block ×14, first 2 shown]
	s_cmp_eq_u64 s[16:17], 0
	s_waitcnt lgkmcnt(0)
	s_cselect_b32 s20, -1, 0
	s_cmp_lg_u64 s[16:17], 0
	s_barrier
	s_cselect_b32 s29, -1, 0
	s_and_b32 vcc_lo, exec_lo, s28
	buffer_gl0_inv
	s_cbranch_vccz .LBB668_56
; %bb.51:
	v_ashrrev_i32_e32 v6, 16, v12
	s_and_b32 vcc_lo, exec_lo, s29
	s_cbranch_vccz .LBB668_71
; %bb.52:
	v_add_co_u32 v7, s0, -2, s14
	s_delay_alu instid0(VALU_DEP_1)
	v_add_co_ci_u32_e64 v8, null, -1, s21, s0
	v_mul_i32_i24_e32 v9, 0x6667, v6
	v_ashrrev_i32_e32 v16, 16, v11
	v_lshrrev_b32_e32 v17, 16, v12
	flat_load_u16 v7, v[7:8]
	v_bfe_i32 v8, v12, 0, 16
	v_lshrrev_b32_e32 v15, 31, v9
	v_ashrrev_i32_e32 v9, 18, v9
	v_ashrrev_i32_e32 v20, 16, v2
	s_mov_b32 s28, -1
	v_mul_i32_i24_e32 v8, 0x6667, v8
	s_mov_b32 s30, 0
	v_add_nc_u16 v9, v9, v15
	v_mul_i32_i24_e32 v15, 0x6667, v16
	v_ashrrev_i32_e32 v16, 16, v10
	v_lshrrev_b32_e32 v13, 31, v8
	v_ashrrev_i32_e32 v14, 18, v8
	v_lshlrev_b32_e32 v8, 1, v0
	s_mov_b32 s31, exec_lo
	v_mul_i32_i24_e32 v16, 0x6667, v16
	s_delay_alu instid0(VALU_DEP_3)
	v_add_nc_u16 v13, v14, v13
	v_bfe_i32 v14, v11, 0, 16
	ds_store_b16 v8, v17
	v_bfe_i32 v17, v10, 0, 16
	v_lshrrev_b32_e32 v19, 31, v16
	v_cmp_ne_u16_e32 vcc_lo, v13, v9
	v_mul_i32_i24_e32 v9, 0x6667, v14
	v_lshrrev_b32_e32 v14, 31, v15
	v_ashrrev_i32_e32 v15, 18, v15
	v_ashrrev_i32_e32 v16, 18, v16
	v_mul_i32_i24_e32 v17, 0x6667, v17
	v_lshrrev_b32_e32 v18, 31, v9
	v_ashrrev_i32_e32 v9, 18, v9
	v_add_nc_u16 v14, v15, v14
	v_ashrrev_i32_e32 v15, 16, v4
	v_add_nc_u16 v16, v16, v19
	s_waitcnt vmcnt(0) lgkmcnt(0)
	v_add_nc_u16 v9, v9, v18
	v_lshrrev_b32_e32 v18, 31, v17
	v_ashrrev_i32_e32 v17, 18, v17
	v_cmp_ne_u16_e64 s0, v14, v13
	v_mul_i32_i24_e32 v13, 0x6667, v15
	v_cmp_ne_u16_e64 s1, v9, v14
	v_cmp_ne_u16_e64 s2, v16, v9
	v_add_nc_u16 v9, v17, v18
	v_bfe_i32 v14, v4, 0, 16
	v_ashrrev_i32_e32 v17, 16, v3
	v_lshrrev_b32_e32 v15, 31, v13
	v_ashrrev_i32_e32 v13, 18, v13
	v_bfe_i32 v18, v3, 0, 16
	v_mul_i32_i24_e32 v14, 0x6667, v14
	v_cmp_ne_u16_e64 s3, v9, v16
	v_mul_i32_i24_e32 v16, 0x6667, v17
	v_add_nc_u16 v13, v13, v15
	v_mul_i32_i24_e32 v15, 0x6667, v18
	v_lshrrev_b32_e32 v17, 31, v14
	v_ashrrev_i32_e32 v14, 18, v14
	v_lshrrev_b32_e32 v18, 31, v16
	v_ashrrev_i32_e32 v16, 18, v16
	v_cmp_ne_u16_e64 s4, v13, v9
	v_lshrrev_b32_e32 v19, 31, v15
	v_add_nc_u16 v14, v14, v17
	v_ashrrev_i32_e32 v15, 18, v15
	v_add_nc_u16 v9, v16, v18
	v_bfe_i32 v17, v1, 0, 16
	v_bfe_i32 v18, v62, 0, 16
	v_cmp_ne_u16_e64 s5, v14, v13
	v_bfe_i32 v13, v2, 0, 16
	v_cmp_ne_u16_e64 s6, v9, v14
	v_ashrrev_i32_e32 v14, 16, v1
	v_add_nc_u16 v15, v15, v19
	v_mul_i32_i24_e32 v16, 0x6667, v20
	v_mul_i32_i24_e32 v13, 0x6667, v13
	;; [unrolled: 1-line block ×5, first 2 shown]
	v_cmp_ne_u16_e64 s7, v15, v9
	v_lshrrev_b32_e32 v9, 31, v16
	v_ashrrev_i32_e32 v16, 18, v16
	v_lshrrev_b32_e32 v19, 31, v13
	v_ashrrev_i32_e32 v13, 18, v13
	;; [unrolled: 2-line block ×5, first 2 shown]
	v_add_nc_u16 v16, v16, v9
	v_add_nc_u16 v13, v13, v19
	;; [unrolled: 1-line block ×5, first 2 shown]
	v_cmp_ne_u16_e64 s12, v16, v15
	v_cmp_ne_u16_e64 s8, v13, v16
	v_cmp_ne_u16_e64 s9, v14, v13
	v_cmp_ne_u16_e64 s10, v17, v14
	v_cmp_ne_u16_e64 s11, v9, v17
	s_barrier
	buffer_gl0_inv
	v_cmpx_ne_u32_e32 0, v0
	s_cbranch_execz .LBB668_54
; %bb.53:
	v_add_nc_u32_e32 v7, -2, v8
	ds_load_u16 v7, v7
.LBB668_54:
	s_or_b32 exec_lo, exec_lo, s31
	s_waitcnt lgkmcnt(0)
	v_bfe_i32 v8, v7, 0, 16
	v_cndmask_b32_e64 v61, 0, 1, vcc_lo
	v_cndmask_b32_e64 v7, 0, 1, s0
	v_cndmask_b32_e64 v63, 0, 1, s1
	;; [unrolled: 1-line block ×3, first 2 shown]
	v_mul_i32_i24_e32 v8, 0x6667, v8
	v_cndmask_b32_e64 v13, 0, 1, s3
	v_cndmask_b32_e64 v16, 0, 1, s4
	;; [unrolled: 1-line block ×4, first 2 shown]
	v_lshrrev_b32_e32 v17, 31, v8
	v_ashrrev_i32_e32 v8, 18, v8
	v_cndmask_b32_e64 v19, 0, 1, s7
	v_cndmask_b32_e64 v22, 0, 1, s12
	;; [unrolled: 1-line block ×4, first 2 shown]
	v_add_nc_u16 v8, v8, v17
	v_cndmask_b32_e64 v23, 0, 1, s10
	v_cndmask_b32_e64 v26, 0, 1, s11
	s_delay_alu instid0(VALU_DEP_3)
	v_cmp_ne_u16_e64 s2, v8, v9
	s_and_b32 vcc_lo, exec_lo, s30
	s_cbranch_vccnz .LBB668_72
.LBB668_55:
                                        ; implicit-def: $sgpr0
	s_branch .LBB668_75
.LBB668_56:
	s_mov_b32 s28, 0
                                        ; implicit-def: $sgpr2
                                        ; implicit-def: $vgpr61
                                        ; implicit-def: $vgpr7
                                        ; implicit-def: $vgpr63
                                        ; implicit-def: $vgpr14
                                        ; implicit-def: $vgpr13
                                        ; implicit-def: $vgpr16
                                        ; implicit-def: $vgpr15
                                        ; implicit-def: $vgpr20
                                        ; implicit-def: $vgpr19
                                        ; implicit-def: $vgpr22
                                        ; implicit-def: $vgpr21
                                        ; implicit-def: $vgpr24
                                        ; implicit-def: $vgpr23
                                        ; implicit-def: $vgpr26
                                        ; implicit-def: $vgpr18
                                        ; implicit-def: $sgpr0
	s_cbranch_execnz .LBB668_76
	s_branch .LBB668_111
.LBB668_57:
	v_add_co_u32 v18, s31, s20, v7
	s_delay_alu instid0(VALU_DEP_1)
	v_add_co_ci_u32_e64 v19, null, s29, 0, s31
	flat_load_u16 v18, v[18:19]
	s_or_b32 exec_lo, exec_lo, s30
                                        ; implicit-def: $vgpr19
	s_and_saveexec_b32 s30, s0
	s_cbranch_execz .LBB668_35
.LBB668_58:
	v_add_co_u32 v19, s0, s20, v7
	s_delay_alu instid0(VALU_DEP_1)
	v_add_co_ci_u32_e64 v20, null, s29, 0, s0
	flat_load_u16 v19, v[19:20] offset:512
	s_or_b32 exec_lo, exec_lo, s30
                                        ; implicit-def: $vgpr20
	s_and_saveexec_b32 s0, s1
	s_cbranch_execz .LBB668_36
.LBB668_59:
	v_add_co_u32 v20, s1, s20, v7
	s_delay_alu instid0(VALU_DEP_1)
	v_add_co_ci_u32_e64 v21, null, s29, 0, s1
	flat_load_u16 v20, v[20:21] offset:1024
	s_or_b32 exec_lo, exec_lo, s0
                                        ; implicit-def: $vgpr21
	s_and_saveexec_b32 s0, s2
	s_cbranch_execz .LBB668_37
.LBB668_60:
	v_add_co_u32 v21, s1, s20, v7
	s_delay_alu instid0(VALU_DEP_1)
	v_add_co_ci_u32_e64 v22, null, s29, 0, s1
	flat_load_u16 v21, v[21:22] offset:1536
	s_or_b32 exec_lo, exec_lo, s0
                                        ; implicit-def: $vgpr22
	s_and_saveexec_b32 s0, s3
	s_cbranch_execz .LBB668_38
.LBB668_61:
	v_add_co_u32 v22, s1, s20, v7
	s_delay_alu instid0(VALU_DEP_1)
	v_add_co_ci_u32_e64 v23, null, s29, 0, s1
	flat_load_u16 v22, v[22:23] offset:2048
	s_or_b32 exec_lo, exec_lo, s0
                                        ; implicit-def: $vgpr23
	s_and_saveexec_b32 s0, s4
	s_cbranch_execz .LBB668_39
.LBB668_62:
	v_add_co_u32 v23, s1, s20, v7
	s_delay_alu instid0(VALU_DEP_1)
	v_add_co_ci_u32_e64 v24, null, s29, 0, s1
	flat_load_u16 v23, v[23:24] offset:2560
	s_or_b32 exec_lo, exec_lo, s0
                                        ; implicit-def: $vgpr24
	s_and_saveexec_b32 s0, s5
	s_cbranch_execz .LBB668_40
.LBB668_63:
	v_add_co_u32 v24, s1, s20, v7
	s_delay_alu instid0(VALU_DEP_1)
	v_add_co_ci_u32_e64 v25, null, s29, 0, s1
	flat_load_u16 v24, v[24:25] offset:3072
	s_or_b32 exec_lo, exec_lo, s0
                                        ; implicit-def: $vgpr26
	s_and_saveexec_b32 s0, s6
	s_cbranch_execz .LBB668_41
.LBB668_64:
	v_add_co_u32 v25, s1, s20, v7
	s_delay_alu instid0(VALU_DEP_1)
	v_add_co_ci_u32_e64 v26, null, s29, 0, s1
	flat_load_u16 v26, v[25:26] offset:3584
	s_or_b32 exec_lo, exec_lo, s0
                                        ; implicit-def: $vgpr25
	s_and_saveexec_b32 s0, s7
	s_cbranch_execz .LBB668_42
.LBB668_65:
	v_add_co_u32 v27, s1, s20, v8
	s_delay_alu instid0(VALU_DEP_1)
	v_add_co_ci_u32_e64 v28, null, s29, 0, s1
	flat_load_u16 v25, v[27:28]
	s_or_b32 exec_lo, exec_lo, s0
                                        ; implicit-def: $vgpr8
	s_and_saveexec_b32 s0, s8
	s_cbranch_execz .LBB668_43
.LBB668_66:
	v_add_co_u32 v8, s1, s20, v9
	s_delay_alu instid0(VALU_DEP_1)
	v_add_co_ci_u32_e64 v9, null, s29, 0, s1
	flat_load_u16 v8, v[8:9]
	s_or_b32 exec_lo, exec_lo, s0
                                        ; implicit-def: $vgpr9
	s_and_saveexec_b32 s0, s9
	s_cbranch_execz .LBB668_44
.LBB668_67:
	v_add_co_u32 v27, s1, s20, v13
	s_delay_alu instid0(VALU_DEP_1)
	v_add_co_ci_u32_e64 v28, null, s29, 0, s1
	flat_load_u16 v9, v[27:28]
	s_or_b32 exec_lo, exec_lo, s0
                                        ; implicit-def: $vgpr27
	s_and_saveexec_b32 s0, s10
	s_cbranch_execz .LBB668_45
.LBB668_68:
	v_add_co_u32 v13, s1, s20, v14
	s_delay_alu instid0(VALU_DEP_1)
	v_add_co_ci_u32_e64 v14, null, s29, 0, s1
	flat_load_u16 v27, v[13:14]
	s_or_b32 exec_lo, exec_lo, s0
                                        ; implicit-def: $vgpr14
	s_and_saveexec_b32 s0, s11
	s_cbranch_execz .LBB668_46
.LBB668_69:
	v_add_co_u32 v13, s1, s20, v15
	s_delay_alu instid0(VALU_DEP_1)
	v_add_co_ci_u32_e64 v14, null, s29, 0, s1
	flat_load_u16 v14, v[13:14]
	s_or_b32 exec_lo, exec_lo, s0
                                        ; implicit-def: $vgpr15
	s_and_saveexec_b32 s0, s12
	s_cbranch_execz .LBB668_47
.LBB668_70:
	v_add_co_u32 v15, s1, s20, v16
	s_delay_alu instid0(VALU_DEP_1)
	v_add_co_ci_u32_e64 v16, null, s29, 0, s1
	flat_load_u16 v15, v[15:16]
	s_or_b32 exec_lo, exec_lo, s0
                                        ; implicit-def: $vgpr16
	s_and_saveexec_b32 s0, s13
	s_cbranch_execnz .LBB668_48
	s_branch .LBB668_49
.LBB668_71:
	s_mov_b32 s28, 0
                                        ; implicit-def: $sgpr2
                                        ; implicit-def: $vgpr61
                                        ; implicit-def: $vgpr7
                                        ; implicit-def: $vgpr63
                                        ; implicit-def: $vgpr14
                                        ; implicit-def: $vgpr13
                                        ; implicit-def: $vgpr16
                                        ; implicit-def: $vgpr15
                                        ; implicit-def: $vgpr20
                                        ; implicit-def: $vgpr19
                                        ; implicit-def: $vgpr22
                                        ; implicit-def: $vgpr21
                                        ; implicit-def: $vgpr24
                                        ; implicit-def: $vgpr23
                                        ; implicit-def: $vgpr26
	s_cbranch_execz .LBB668_55
.LBB668_72:
	v_bfe_i32 v7, v12, 0, 16
	v_mul_i32_i24_e32 v8, 0x6667, v6
	v_ashrrev_i32_e32 v13, 16, v11
	v_bfe_i32 v16, v11, 0, 16
	v_ashrrev_i32_e32 v17, 16, v10
	v_mul_i32_i24_e32 v7, 0x6667, v7
	v_lshrrev_b32_e32 v14, 31, v8
	v_ashrrev_i32_e32 v8, 18, v8
	v_mul_i32_i24_e32 v13, 0x6667, v13
	v_ashrrev_i32_e32 v19, 16, v3
	v_lshrrev_b32_e32 v15, 31, v7
	v_ashrrev_i32_e32 v7, 18, v7
	v_add_nc_u16 v8, v8, v14
	v_mul_i32_i24_e32 v14, 0x6667, v16
	v_lshrrev_b32_e32 v16, 31, v13
	v_ashrrev_i32_e32 v13, 18, v13
	v_add_nc_u16 v7, v7, v15
	v_mul_i32_i24_e32 v15, 0x6667, v17
	v_bfe_i32 v17, v10, 0, 16
	v_ashrrev_i32_e32 v22, 16, v2
	v_add_nc_u16 v13, v13, v16
	v_cmp_ne_u16_e32 vcc_lo, v7, v8
	v_lshrrev_b32_e32 v8, 31, v14
	v_ashrrev_i32_e32 v14, 18, v14
	v_lshrrev_b32_e32 v16, 31, v15
	v_ashrrev_i32_e32 v15, 18, v15
	v_cndmask_b32_e64 v61, 0, 1, vcc_lo
	v_cmp_ne_u16_e32 vcc_lo, v13, v7
	v_add_nc_u16 v8, v14, v8
	v_mul_i32_i24_e32 v14, 0x6667, v17
	v_add_nc_u16 v15, v15, v16
	v_ashrrev_i32_e32 v16, 16, v4
	v_cndmask_b32_e64 v7, 0, 1, vcc_lo
	v_cmp_ne_u16_e32 vcc_lo, v8, v13
	v_lshrrev_b32_e32 v13, 31, v14
	v_ashrrev_i32_e32 v17, 18, v14
	v_mul_i32_i24_e32 v16, 0x6667, v16
	v_bfe_i32 v23, v1, 0, 16
	v_cndmask_b32_e64 v63, 0, 1, vcc_lo
	v_cmp_ne_u16_e32 vcc_lo, v15, v8
	v_bfe_i32 v8, v4, 0, 16
	v_add_nc_u16 v17, v17, v13
	v_lshrrev_b32_e32 v18, 31, v16
	v_ashrrev_i32_e32 v16, 18, v16
	v_cndmask_b32_e64 v14, 0, 1, vcc_lo
	v_mul_i32_i24_e32 v8, 0x6667, v8
	v_cmp_ne_u16_e32 vcc_lo, v17, v15
	v_mul_i32_i24_e32 v15, 0x6667, v19
	v_add_nc_u16 v18, v16, v18
	v_bfe_i32 v16, v3, 0, 16
	v_lshrrev_b32_e32 v19, 31, v8
	v_ashrrev_i32_e32 v8, 18, v8
	v_cndmask_b32_e64 v13, 0, 1, vcc_lo
	v_lshrrev_b32_e32 v20, 31, v15
	v_ashrrev_i32_e32 v15, 18, v15
	v_mul_i32_i24_e32 v21, 0x6667, v16
	v_cmp_ne_u16_e32 vcc_lo, v18, v17
	v_add_nc_u16 v8, v8, v19
	v_mul_i32_i24_e32 v19, 0x6667, v22
	v_add_nc_u16 v17, v15, v20
	v_lshrrev_b32_e32 v20, 31, v21
	v_cndmask_b32_e64 v16, 0, 1, vcc_lo
	v_ashrrev_i32_e32 v21, 18, v21
	v_cmp_ne_u16_e32 vcc_lo, v8, v18
	v_lshrrev_b32_e32 v18, 31, v19
	v_ashrrev_i32_e32 v19, 18, v19
	v_mul_i32_i24_e32 v23, 0x6667, v23
	v_add_nc_u16 v21, v21, v20
	v_cndmask_b32_e64 v15, 0, 1, vcc_lo
	v_cmp_ne_u16_e32 vcc_lo, v17, v8
	v_bfe_i32 v8, v2, 0, 16
	v_add_nc_u16 v18, v19, v18
	v_lshrrev_b32_e32 v26, 31, v23
	v_ashrrev_i32_e32 v23, 18, v23
	v_cndmask_b32_e64 v20, 0, 1, vcc_lo
	v_cmp_ne_u16_e32 vcc_lo, v21, v17
	v_ashrrev_i32_e32 v17, 16, v1
	v_mul_i32_i24_e32 v8, 0x6667, v8
	v_lshlrev_b32_e32 v6, 1, v0
	v_lshrrev_b32_e32 v9, 16, v12
	v_cndmask_b32_e64 v19, 0, 1, vcc_lo
	v_mul_i32_i24_e32 v17, 0x6667, v17
	v_lshrrev_b32_e32 v24, 31, v8
	v_ashrrev_i32_e32 v8, 18, v8
	v_cmp_ne_u16_e32 vcc_lo, v18, v21
	v_bfe_i32 v21, v62, 0, 16
	v_lshrrev_b32_e32 v25, 31, v17
	v_ashrrev_i32_e32 v17, 18, v17
	v_add_nc_u16 v24, v8, v24
	v_cndmask_b32_e64 v22, 0, 1, vcc_lo
	v_mul_i32_i24_e32 v21, 0x6667, v21
	s_mov_b32 s0, 1
	v_add_nc_u16 v17, v17, v25
	v_cmp_ne_u16_e32 vcc_lo, v24, v18
	v_add_nc_u16 v25, v23, v26
	v_lshrrev_b32_e32 v8, 31, v21
	v_ashrrev_i32_e32 v27, 18, v21
	s_mov_b32 s1, exec_lo
	v_cndmask_b32_e64 v21, 0, 1, vcc_lo
	v_cmp_ne_u16_e32 vcc_lo, v17, v24
	ds_store_b16 v6, v9
	v_add_nc_u16 v8, v27, v8
	s_waitcnt lgkmcnt(0)
	s_barrier
	v_cndmask_b32_e64 v24, 0, 1, vcc_lo
	v_cmp_ne_u16_e32 vcc_lo, v25, v17
	buffer_gl0_inv
                                        ; implicit-def: $sgpr2
	v_cndmask_b32_e64 v23, 0, 1, vcc_lo
	v_cmp_ne_u16_e32 vcc_lo, v8, v25
	v_cndmask_b32_e64 v26, 0, 1, vcc_lo
	v_cmpx_ne_u32_e32 0, v0
	s_xor_b32 s1, exec_lo, s1
	s_cbranch_execz .LBB668_74
; %bb.73:
	v_add_nc_u32_e32 v6, -2, v6
	s_or_b32 s28, s28, exec_lo
	ds_load_i16 v6, v6
	s_waitcnt lgkmcnt(0)
	v_mul_i32_i24_e32 v6, 0x6667, v6
	s_delay_alu instid0(VALU_DEP_1) | instskip(SKIP_1) | instid1(VALU_DEP_1)
	v_lshrrev_b32_e32 v9, 31, v6
	v_ashrrev_i32_e32 v6, 18, v6
	v_add_nc_u16 v6, v6, v9
	s_delay_alu instid0(VALU_DEP_1)
	v_cmp_ne_u16_e32 vcc_lo, v6, v8
	s_and_b32 s2, vcc_lo, exec_lo
.LBB668_74:
	s_or_b32 exec_lo, exec_lo, s1
.LBB668_75:
	v_mov_b32_e32 v18, v7
	s_branch .LBB668_111
.LBB668_76:
	s_mul_hi_u32 s0, s16, 0xfffff100
	s_mul_i32 s1, s17, 0xfffff100
	s_sub_i32 s0, s0, s16
	s_mul_i32 s2, s16, 0xfffff100
	v_lshrrev_b32_e32 v8, 16, v12
	v_mad_u32_u24 v17, v0, 15, 14
	s_add_i32 s1, s0, s1
	s_add_u32 s0, s2, s40
	s_addc_u32 s1, s1, s41
	s_and_b32 vcc_lo, exec_lo, s29
	s_cbranch_vccz .LBB668_215
; %bb.77:
	v_add_co_u32 v6, s2, -2, s14
	s_delay_alu instid0(VALU_DEP_1)
	v_add_co_ci_u32_e64 v7, null, -1, s21, s2
	v_mov_b32_e32 v61, 0
	s_mov_b32 s2, exec_lo
	v_lshlrev_b32_e32 v27, 1, v0
	flat_load_u16 v9, v[6:7]
	v_mov_b32_e32 v7, 0
	ds_store_b16 v27, v8
	v_mov_b32_e32 v18, v7
	s_delay_alu instid0(VALU_DEP_1)
	v_cmpx_gt_u64_e64 s[0:1], v[17:18]
	s_cbranch_execz .LBB668_79
; %bb.78:
	v_bfe_i32 v6, v12, 0, 16
	v_bfe_i32 v13, v8, 0, 16
	s_delay_alu instid0(VALU_DEP_2) | instskip(NEXT) | instid1(VALU_DEP_2)
	v_mul_i32_i24_e32 v6, 0x6667, v6
	v_mul_i32_i24_e32 v13, 0x6667, v13
	s_delay_alu instid0(VALU_DEP_2) | instskip(SKIP_1) | instid1(VALU_DEP_3)
	v_lshrrev_b32_e32 v14, 31, v6
	v_ashrrev_i32_e32 v6, 18, v6
	v_lshrrev_b32_e32 v15, 31, v13
	v_ashrrev_i32_e32 v13, 18, v13
	s_delay_alu instid0(VALU_DEP_3) | instskip(NEXT) | instid1(VALU_DEP_2)
	v_add_nc_u16 v6, v6, v14
	v_add_nc_u16 v13, v13, v15
	s_delay_alu instid0(VALU_DEP_1)
	v_cmp_ne_u16_e32 vcc_lo, v6, v13
	v_cndmask_b32_e64 v61, 0, 1, vcc_lo
.LBB668_79:
	s_or_b32 exec_lo, exec_lo, s2
	v_add_nc_u32_e32 v6, 13, v5
	s_mov_b32 s2, exec_lo
	s_delay_alu instid0(VALU_DEP_1)
	v_cmpx_gt_u64_e64 s[0:1], v[6:7]
	s_cbranch_execz .LBB668_81
; %bb.80:
	v_ashrrev_i32_e32 v6, 16, v11
	v_bfe_i32 v7, v12, 0, 16
	s_delay_alu instid0(VALU_DEP_2) | instskip(NEXT) | instid1(VALU_DEP_2)
	v_mul_i32_i24_e32 v6, 0x6667, v6
	v_mul_i32_i24_e32 v7, 0x6667, v7
	s_delay_alu instid0(VALU_DEP_2) | instskip(SKIP_1) | instid1(VALU_DEP_3)
	v_lshrrev_b32_e32 v13, 31, v6
	v_ashrrev_i32_e32 v6, 18, v6
	v_lshrrev_b32_e32 v14, 31, v7
	v_ashrrev_i32_e32 v7, 18, v7
	s_delay_alu instid0(VALU_DEP_3) | instskip(NEXT) | instid1(VALU_DEP_2)
	v_add_nc_u16 v6, v6, v13
	v_add_nc_u16 v7, v7, v14
	s_delay_alu instid0(VALU_DEP_1)
	v_cmp_ne_u16_e32 vcc_lo, v6, v7
	v_cndmask_b32_e64 v7, 0, 1, vcc_lo
.LBB668_81:
	s_or_b32 exec_lo, exec_lo, s2
	v_dual_mov_b32 v14, 0 :: v_dual_add_nc_u32 v13, 12, v5
	v_mov_b32_e32 v63, 0
	s_mov_b32 s2, exec_lo
	s_delay_alu instid0(VALU_DEP_2)
	v_cmpx_gt_u64_e64 s[0:1], v[13:14]
	s_cbranch_execz .LBB668_83
; %bb.82:
	v_bfe_i32 v6, v11, 0, 16
	v_ashrrev_i32_e32 v13, 16, v11
	s_delay_alu instid0(VALU_DEP_2) | instskip(NEXT) | instid1(VALU_DEP_2)
	v_mul_i32_i24_e32 v6, 0x6667, v6
	v_mul_i32_i24_e32 v13, 0x6667, v13
	s_delay_alu instid0(VALU_DEP_2) | instskip(SKIP_1) | instid1(VALU_DEP_3)
	v_lshrrev_b32_e32 v15, 31, v6
	v_ashrrev_i32_e32 v6, 18, v6
	v_lshrrev_b32_e32 v16, 31, v13
	v_ashrrev_i32_e32 v13, 18, v13
	s_delay_alu instid0(VALU_DEP_3) | instskip(NEXT) | instid1(VALU_DEP_2)
	v_add_nc_u16 v6, v6, v15
	v_add_nc_u16 v13, v13, v16
	s_delay_alu instid0(VALU_DEP_1)
	v_cmp_ne_u16_e32 vcc_lo, v6, v13
	v_cndmask_b32_e64 v63, 0, 1, vcc_lo
.LBB668_83:
	s_or_b32 exec_lo, exec_lo, s2
	v_add_nc_u32_e32 v13, 11, v5
	s_mov_b32 s2, exec_lo
	s_delay_alu instid0(VALU_DEP_1)
	v_cmpx_gt_u64_e64 s[0:1], v[13:14]
	s_cbranch_execz .LBB668_85
; %bb.84:
	v_ashrrev_i32_e32 v6, 16, v10
	v_bfe_i32 v13, v11, 0, 16
	s_delay_alu instid0(VALU_DEP_2) | instskip(NEXT) | instid1(VALU_DEP_2)
	v_mul_i32_i24_e32 v6, 0x6667, v6
	v_mul_i32_i24_e32 v13, 0x6667, v13
	s_delay_alu instid0(VALU_DEP_2) | instskip(SKIP_1) | instid1(VALU_DEP_3)
	v_lshrrev_b32_e32 v14, 31, v6
	v_ashrrev_i32_e32 v6, 18, v6
	v_lshrrev_b32_e32 v15, 31, v13
	v_ashrrev_i32_e32 v13, 18, v13
	s_delay_alu instid0(VALU_DEP_3) | instskip(NEXT) | instid1(VALU_DEP_2)
	v_add_nc_u16 v6, v6, v14
	v_add_nc_u16 v13, v13, v15
	s_delay_alu instid0(VALU_DEP_1)
	v_cmp_ne_u16_e32 vcc_lo, v6, v13
	v_cndmask_b32_e64 v14, 0, 1, vcc_lo
.LBB668_85:
	s_or_b32 exec_lo, exec_lo, s2
	v_dual_mov_b32 v16, 0 :: v_dual_add_nc_u32 v15, 10, v5
	v_mov_b32_e32 v13, 0
	s_mov_b32 s2, exec_lo
	s_delay_alu instid0(VALU_DEP_2)
	v_cmpx_gt_u64_e64 s[0:1], v[15:16]
	s_cbranch_execz .LBB668_87
; %bb.86:
	v_bfe_i32 v6, v10, 0, 16
	v_ashrrev_i32_e32 v13, 16, v10
	s_delay_alu instid0(VALU_DEP_2) | instskip(NEXT) | instid1(VALU_DEP_2)
	v_mul_i32_i24_e32 v6, 0x6667, v6
	v_mul_i32_i24_e32 v13, 0x6667, v13
	s_delay_alu instid0(VALU_DEP_2) | instskip(SKIP_1) | instid1(VALU_DEP_3)
	v_lshrrev_b32_e32 v15, 31, v6
	v_ashrrev_i32_e32 v6, 18, v6
	v_lshrrev_b32_e32 v18, 31, v13
	v_ashrrev_i32_e32 v13, 18, v13
	s_delay_alu instid0(VALU_DEP_3) | instskip(NEXT) | instid1(VALU_DEP_2)
	v_add_nc_u16 v6, v6, v15
	v_add_nc_u16 v13, v13, v18
	s_delay_alu instid0(VALU_DEP_1)
	v_cmp_ne_u16_e32 vcc_lo, v6, v13
	v_cndmask_b32_e64 v13, 0, 1, vcc_lo
.LBB668_87:
	;; [unrolled: 49-line block ×6, first 2 shown]
	s_or_b32 exec_lo, exec_lo, s2
	v_add_nc_u32_e32 v25, 1, v5
	s_mov_b32 s2, exec_lo
	s_delay_alu instid0(VALU_DEP_1)
	v_cmpx_gt_u64_e64 s[0:1], v[25:26]
	s_cbranch_execz .LBB668_105
; %bb.104:
	v_bfe_i32 v6, v62, 0, 16
	v_bfe_i32 v18, v1, 0, 16
	s_delay_alu instid0(VALU_DEP_2) | instskip(NEXT) | instid1(VALU_DEP_2)
	v_mul_i32_i24_e32 v6, 0x6667, v6
	v_mul_i32_i24_e32 v18, 0x6667, v18
	s_delay_alu instid0(VALU_DEP_2) | instskip(SKIP_1) | instid1(VALU_DEP_3)
	v_lshrrev_b32_e32 v25, 31, v6
	v_ashrrev_i32_e32 v6, 18, v6
	v_lshrrev_b32_e32 v26, 31, v18
	v_ashrrev_i32_e32 v18, 18, v18
	s_delay_alu instid0(VALU_DEP_3) | instskip(NEXT) | instid1(VALU_DEP_2)
	v_add_nc_u16 v6, v6, v25
	v_add_nc_u16 v18, v18, v26
	s_delay_alu instid0(VALU_DEP_1)
	v_cmp_ne_u16_e32 vcc_lo, v6, v18
	v_cndmask_b32_e64 v26, 0, 1, vcc_lo
.LBB668_105:
	s_or_b32 exec_lo, exec_lo, s2
	s_mov_b32 s2, 0
	s_mov_b32 s3, exec_lo
	s_waitcnt vmcnt(0) lgkmcnt(0)
	s_barrier
	buffer_gl0_inv
	v_cmpx_ne_u32_e32 0, v0
	s_cbranch_execz .LBB668_107
; %bb.106:
	v_add_nc_u32_e32 v6, -2, v27
	ds_load_u16 v9, v6
.LBB668_107:
	s_or_b32 exec_lo, exec_lo, s3
	v_mov_b32_e32 v6, 0
	s_mov_b32 s3, exec_lo
	s_delay_alu instid0(VALU_DEP_1)
	v_cmpx_gt_u64_e64 s[0:1], v[5:6]
	s_cbranch_execz .LBB668_109
; %bb.108:
	s_waitcnt lgkmcnt(0)
	v_bfe_i32 v6, v9, 0, 16
	v_bfe_i32 v9, v62, 0, 16
	s_delay_alu instid0(VALU_DEP_2) | instskip(NEXT) | instid1(VALU_DEP_2)
	v_mul_i32_i24_e32 v6, 0x6667, v6
	v_mul_i32_i24_e32 v9, 0x6667, v9
	s_delay_alu instid0(VALU_DEP_2) | instskip(SKIP_1) | instid1(VALU_DEP_3)
	v_lshrrev_b32_e32 v18, 31, v6
	v_ashrrev_i32_e32 v6, 18, v6
	v_lshrrev_b32_e32 v25, 31, v9
	v_ashrrev_i32_e32 v9, 18, v9
	s_delay_alu instid0(VALU_DEP_3) | instskip(NEXT) | instid1(VALU_DEP_2)
	v_add_nc_u16 v6, v6, v18
	v_add_nc_u16 v9, v9, v25
	s_delay_alu instid0(VALU_DEP_1)
	v_cmp_ne_u16_e32 vcc_lo, v6, v9
	s_and_b32 s2, vcc_lo, exec_lo
.LBB668_109:
	s_or_b32 exec_lo, exec_lo, s3
	s_mov_b32 s28, -1
.LBB668_110:
                                        ; implicit-def: $vgpr18
                                        ; implicit-def: $sgpr0
.LBB668_111:
	v_mov_b32_e32 v25, s0
	s_and_saveexec_b32 s0, s28
.LBB668_112:
	v_cndmask_b32_e64 v25, 0, 1, s2
	v_mov_b32_e32 v18, v7
.LBB668_113:
	s_or_b32 exec_lo, exec_lo, s0
	s_delay_alu instid0(VALU_DEP_1)
	v_add3_u32 v5, v26, v25, v23
	v_cmp_eq_u32_e64 s12, 0, v26
	v_cmp_eq_u32_e64 s11, 0, v23
	;; [unrolled: 1-line block ×4, first 2 shown]
	v_add3_u32 v80, v5, v24, v21
	v_cmp_eq_u32_e64 s8, 0, v22
	v_cmp_eq_u32_e64 s7, 0, v19
	;; [unrolled: 1-line block ×9, first 2 shown]
	v_cmp_eq_u32_e32 vcc_lo, 0, v61
	v_mbcnt_lo_u32_b32 v77, -1, 0
	v_lshrrev_b32_e32 v78, 5, v0
	v_or_b32_e32 v79, 31, v0
	s_cmp_eq_u64 s[26:27], 0
	s_cselect_b32 s16, -1, 0
	s_cmp_lg_u32 s15, 0
	s_cbranch_scc0 .LBB668_139
; %bb.114:
	v_cndmask_b32_e64 v5, 0, v74, s12
	v_add3_u32 v6, v80, v22, v19
	s_waitcnt lgkmcnt(0)
	v_and_b32_e32 v9, 15, v77
	s_delay_alu instid0(VALU_DEP_3) | instskip(NEXT) | instid1(VALU_DEP_3)
	v_add_nc_u16 v5, v5, v73
	v_add3_u32 v6, v6, v20, v15
	s_delay_alu instid0(VALU_DEP_2) | instskip(NEXT) | instid1(VALU_DEP_2)
	v_cndmask_b32_e64 v5, 0, v5, s11
	v_add3_u32 v6, v6, v16, v13
	s_delay_alu instid0(VALU_DEP_2) | instskip(NEXT) | instid1(VALU_DEP_2)
	v_add_nc_u16 v5, v5, v75
	v_add3_u32 v6, v6, v14, v63
	s_delay_alu instid0(VALU_DEP_2) | instskip(NEXT) | instid1(VALU_DEP_2)
	v_cndmask_b32_e64 v5, 0, v5, s10
	v_add3_u32 v6, v6, v18, v61
	s_delay_alu instid0(VALU_DEP_2) | instskip(NEXT) | instid1(VALU_DEP_2)
	v_add_nc_u16 v5, v5, v71
	v_mov_b32_dpp v17, v6 row_shr:1 row_mask:0xf bank_mask:0xf
	s_delay_alu instid0(VALU_DEP_2) | instskip(NEXT) | instid1(VALU_DEP_1)
	v_cndmask_b32_e64 v5, 0, v5, s9
	v_add_nc_u16 v5, v5, v72
	s_delay_alu instid0(VALU_DEP_1) | instskip(NEXT) | instid1(VALU_DEP_1)
	v_cndmask_b32_e64 v5, 0, v5, s8
	v_add_nc_u16 v5, v5, v69
	s_delay_alu instid0(VALU_DEP_1) | instskip(NEXT) | instid1(VALU_DEP_1)
	v_cndmask_b32_e64 v5, 0, v5, s7
	v_add_nc_u16 v5, v5, v70
	s_delay_alu instid0(VALU_DEP_1) | instskip(NEXT) | instid1(VALU_DEP_1)
	v_cndmask_b32_e64 v5, 0, v5, s6
	v_add_nc_u16 v5, v5, v67
	s_delay_alu instid0(VALU_DEP_1) | instskip(NEXT) | instid1(VALU_DEP_1)
	v_cndmask_b32_e64 v5, 0, v5, s5
	v_add_nc_u16 v5, v5, v68
	s_delay_alu instid0(VALU_DEP_1) | instskip(NEXT) | instid1(VALU_DEP_1)
	v_cndmask_b32_e64 v5, 0, v5, s4
	v_add_nc_u16 v5, v5, v66
	s_delay_alu instid0(VALU_DEP_1) | instskip(NEXT) | instid1(VALU_DEP_1)
	v_cndmask_b32_e64 v5, 0, v5, s3
	v_add_nc_u16 v5, v5, v65
	s_delay_alu instid0(VALU_DEP_1) | instskip(NEXT) | instid1(VALU_DEP_1)
	v_cndmask_b32_e64 v5, 0, v5, s2
	v_add_nc_u16 v5, v5, v64
	s_delay_alu instid0(VALU_DEP_1) | instskip(NEXT) | instid1(VALU_DEP_1)
	v_cndmask_b32_e64 v5, 0, v5, s1
	v_add_nc_u16 v5, v5, v60
	s_delay_alu instid0(VALU_DEP_1) | instskip(NEXT) | instid1(VALU_DEP_1)
	v_cndmask_b32_e64 v5, 0, v5, s0
	v_add_nc_u16 v5, v5, v59
	s_delay_alu instid0(VALU_DEP_1) | instskip(SKIP_1) | instid1(VALU_DEP_2)
	v_cndmask_b32_e32 v5, 0, v5, vcc_lo
	v_cmp_eq_u32_e32 vcc_lo, 0, v6
	v_add_nc_u16 v5, v5, v76
	s_delay_alu instid0(VALU_DEP_1) | instskip(NEXT) | instid1(VALU_DEP_1)
	v_and_b32_e32 v7, 0xffff, v5
	v_mov_b32_dpp v8, v7 row_shr:1 row_mask:0xf bank_mask:0xf
	s_delay_alu instid0(VALU_DEP_1) | instskip(SKIP_1) | instid1(VALU_DEP_2)
	v_cndmask_b32_e32 v8, 0, v8, vcc_lo
	v_cmp_eq_u32_e32 vcc_lo, 0, v9
	v_add_nc_u16 v8, v8, v5
	v_cndmask_b32_e64 v17, v17, 0, vcc_lo
	s_delay_alu instid0(VALU_DEP_2) | instskip(NEXT) | instid1(VALU_DEP_2)
	v_and_b32_e32 v27, 0xffff, v8
	v_dual_cndmask_b32 v5, v8, v5 :: v_dual_add_nc_u32 v6, v17, v6
	s_delay_alu instid0(VALU_DEP_2) | instskip(NEXT) | instid1(VALU_DEP_2)
	v_cndmask_b32_e32 v7, v27, v7, vcc_lo
	v_cmp_eq_u32_e32 vcc_lo, 0, v6
	s_delay_alu instid0(VALU_DEP_2) | instskip(NEXT) | instid1(VALU_DEP_1)
	v_mov_b32_dpp v17, v7 row_shr:2 row_mask:0xf bank_mask:0xf
	v_cndmask_b32_e32 v8, 0, v17, vcc_lo
	v_mov_b32_dpp v17, v6 row_shr:2 row_mask:0xf bank_mask:0xf
	v_cmp_lt_u32_e32 vcc_lo, 1, v9
	s_delay_alu instid0(VALU_DEP_3) | instskip(NEXT) | instid1(VALU_DEP_1)
	v_add_nc_u16 v8, v8, v5
	v_and_b32_e32 v27, 0xffff, v8
	s_delay_alu instid0(VALU_DEP_4) | instskip(NEXT) | instid1(VALU_DEP_1)
	v_dual_cndmask_b32 v5, v5, v8 :: v_dual_cndmask_b32 v8, 0, v17
	v_dual_cndmask_b32 v7, v7, v27 :: v_dual_add_nc_u32 v6, v6, v8
	s_delay_alu instid0(VALU_DEP_1) | instskip(NEXT) | instid1(VALU_DEP_2)
	v_cmp_eq_u32_e32 vcc_lo, 0, v6
	v_mov_b32_dpp v8, v7 row_shr:4 row_mask:0xf bank_mask:0xf
	v_mov_b32_dpp v17, v6 row_shr:4 row_mask:0xf bank_mask:0xf
	s_delay_alu instid0(VALU_DEP_2) | instskip(SKIP_1) | instid1(VALU_DEP_2)
	v_cndmask_b32_e32 v8, 0, v8, vcc_lo
	v_cmp_lt_u32_e32 vcc_lo, 3, v9
	v_add_nc_u16 v8, v8, v5
	s_delay_alu instid0(VALU_DEP_1) | instskip(SKIP_1) | instid1(VALU_DEP_1)
	v_and_b32_e32 v27, 0xffff, v8
	v_dual_cndmask_b32 v5, v5, v8 :: v_dual_cndmask_b32 v8, 0, v17
	v_dual_cndmask_b32 v7, v7, v27 :: v_dual_add_nc_u32 v6, v8, v6
	s_delay_alu instid0(VALU_DEP_1) | instskip(NEXT) | instid1(VALU_DEP_2)
	v_cmp_eq_u32_e32 vcc_lo, 0, v6
	v_mov_b32_dpp v8, v7 row_shr:8 row_mask:0xf bank_mask:0xf
	v_mov_b32_dpp v17, v6 row_shr:8 row_mask:0xf bank_mask:0xf
	s_delay_alu instid0(VALU_DEP_2) | instskip(SKIP_1) | instid1(VALU_DEP_2)
	v_cndmask_b32_e32 v8, 0, v8, vcc_lo
	v_cmp_lt_u32_e32 vcc_lo, 7, v9
	v_add_nc_u16 v8, v8, v5
	s_delay_alu instid0(VALU_DEP_4) | instskip(SKIP_1) | instid1(VALU_DEP_3)
	v_cndmask_b32_e32 v9, 0, v17, vcc_lo
	v_bfe_i32 v17, v77, 4, 1
	v_cndmask_b32_e32 v5, v5, v8, vcc_lo
	v_and_b32_e32 v8, 0xffff, v8
	s_delay_alu instid0(VALU_DEP_4) | instskip(SKIP_1) | instid1(VALU_DEP_3)
	v_add_nc_u32_e32 v6, v9, v6
	v_and_b32_e32 v9, 16, v77
	v_cndmask_b32_e32 v7, v7, v8, vcc_lo
	ds_swizzle_b32 v8, v6 offset:swizzle(BROADCAST,32,15)
	v_cmp_ne_u32_e32 vcc_lo, 0, v9
	v_cmp_eq_u32_e64 s13, 0, v6
	ds_swizzle_b32 v7, v7 offset:swizzle(BROADCAST,32,15)
	s_and_b32 vcc_lo, vcc_lo, s13
	s_mov_b32 s13, exec_lo
	s_waitcnt lgkmcnt(0)
	v_dual_cndmask_b32 v7, 0, v7 :: v_dual_and_b32 v8, v17, v8
	s_delay_alu instid0(VALU_DEP_1) | instskip(NEXT) | instid1(VALU_DEP_2)
	v_add_nc_u32_e32 v6, v8, v6
	v_add_nc_u16 v5, v7, v5
	v_lshlrev_b32_e32 v7, 3, v78
	v_cmpx_eq_u32_e64 v79, v0
	s_cbranch_execz .LBB668_116
; %bb.115:
	ds_store_b32 v7, v6 offset:1040
	ds_store_b16 v7, v5 offset:1044
.LBB668_116:
	s_or_b32 exec_lo, exec_lo, s13
	s_delay_alu instid0(SALU_CYCLE_1)
	s_mov_b32 s14, exec_lo
	s_waitcnt lgkmcnt(0)
	s_barrier
	buffer_gl0_inv
	v_cmpx_gt_u32_e32 8, v0
	s_cbranch_execz .LBB668_118
; %bb.117:
	v_lshlrev_b32_e32 v17, 3, v0
	v_and_b32_e32 v30, 7, v77
	ds_load_b64 v[8:9], v17 offset:1040
	s_waitcnt lgkmcnt(0)
	v_mov_b32_dpp v27, v9 row_shr:1 row_mask:0xf bank_mask:0xf
	v_cmp_eq_u32_e32 vcc_lo, 0, v8
	v_mov_b32_dpp v31, v8 row_shr:1 row_mask:0xf bank_mask:0xf
	s_delay_alu instid0(VALU_DEP_3) | instskip(SKIP_1) | instid1(VALU_DEP_2)
	v_dual_cndmask_b32 v27, 0, v27 :: v_dual_and_b32 v28, 0xffff0000, v9
	v_cmp_eq_u32_e32 vcc_lo, 0, v30
	v_add_nc_u16 v27, v27, v9
	s_delay_alu instid0(VALU_DEP_4) | instskip(NEXT) | instid1(VALU_DEP_2)
	v_cndmask_b32_e64 v31, v31, 0, vcc_lo
	v_and_b32_e32 v29, 0xffff, v27
	s_delay_alu instid0(VALU_DEP_2) | instskip(NEXT) | instid1(VALU_DEP_2)
	v_add_nc_u32_e32 v8, v31, v8
	v_or_b32_e32 v29, v28, v29
	s_delay_alu instid0(VALU_DEP_1) | instskip(SKIP_1) | instid1(VALU_DEP_4)
	v_cndmask_b32_e32 v29, v29, v9, vcc_lo
	v_cndmask_b32_e32 v9, v27, v9, vcc_lo
	v_cmp_eq_u32_e32 vcc_lo, 0, v8
	s_delay_alu instid0(VALU_DEP_3) | instskip(NEXT) | instid1(VALU_DEP_1)
	v_mov_b32_dpp v31, v29 row_shr:2 row_mask:0xf bank_mask:0xf
	v_cndmask_b32_e32 v27, 0, v31, vcc_lo
	v_mov_b32_dpp v31, v8 row_shr:2 row_mask:0xf bank_mask:0xf
	v_cmp_lt_u32_e32 vcc_lo, 1, v30
	v_cmp_lt_u32_e64 s13, 3, v30
	s_delay_alu instid0(VALU_DEP_4) | instskip(NEXT) | instid1(VALU_DEP_1)
	v_add_nc_u16 v27, v27, v9
	v_and_b32_e32 v32, 0xffff, v27
	v_cndmask_b32_e32 v9, v9, v27, vcc_lo
	v_cndmask_b32_e32 v27, 0, v31, vcc_lo
	s_delay_alu instid0(VALU_DEP_3) | instskip(NEXT) | instid1(VALU_DEP_2)
	v_or_b32_e32 v28, v28, v32
	v_add_nc_u32_e32 v8, v27, v8
	s_delay_alu instid0(VALU_DEP_2) | instskip(NEXT) | instid1(VALU_DEP_2)
	v_cndmask_b32_e32 v27, v29, v28, vcc_lo
	v_cmp_eq_u32_e32 vcc_lo, 0, v8
	v_mov_b32_dpp v28, v8 row_shr:4 row_mask:0xf bank_mask:0xf
	s_delay_alu instid0(VALU_DEP_3) | instskip(SKIP_1) | instid1(VALU_DEP_2)
	v_mov_b32_dpp v27, v27 row_shr:4 row_mask:0xf bank_mask:0xf
	s_and_b32 vcc_lo, s13, vcc_lo
	v_cndmask_b32_e64 v28, 0, v28, s13
	s_delay_alu instid0(VALU_DEP_1) | instskip(NEXT) | instid1(VALU_DEP_1)
	v_dual_cndmask_b32 v27, 0, v27 :: v_dual_add_nc_u32 v8, v28, v8
	v_add_nc_u16 v9, v9, v27
	ds_store_b32 v17, v8 offset:1040
	ds_store_b16 v17, v9 offset:1044
.LBB668_118:
	s_or_b32 exec_lo, exec_lo, s14
	v_cmp_gt_u32_e32 vcc_lo, 32, v0
	v_mov_b32_e32 v31, 0
	v_mov_b32_e32 v17, 0
	s_mov_b32 s14, exec_lo
	s_waitcnt lgkmcnt(0)
	s_barrier
	buffer_gl0_inv
	v_cmpx_lt_u32_e32 31, v0
	s_cbranch_execz .LBB668_120
; %bb.119:
	ds_load_u16 v17, v7 offset:1036
	ds_load_b32 v31, v7 offset:1032
	v_cmp_eq_u32_e64 s13, 0, v6
	s_waitcnt lgkmcnt(1)
	s_delay_alu instid0(VALU_DEP_1) | instskip(SKIP_2) | instid1(VALU_DEP_2)
	v_cndmask_b32_e64 v7, 0, v17, s13
	s_waitcnt lgkmcnt(0)
	v_add_nc_u32_e32 v6, v31, v6
	v_add_nc_u16 v5, v7, v5
.LBB668_120:
	s_or_b32 exec_lo, exec_lo, s14
	v_add_nc_u32_e32 v7, -1, v77
	s_delay_alu instid0(VALU_DEP_2) | instskip(NEXT) | instid1(VALU_DEP_2)
	v_and_b32_e32 v5, 0xffff, v5
	v_cmp_gt_i32_e64 s13, 0, v7
	s_delay_alu instid0(VALU_DEP_1) | instskip(SKIP_1) | instid1(VALU_DEP_2)
	v_cndmask_b32_e64 v7, v7, v77, s13
	v_cmp_eq_u32_e64 s13, 0, v77
	v_lshlrev_b32_e32 v7, 2, v7
	ds_bpermute_b32 v32, v7, v6
	ds_bpermute_b32 v33, v7, v5
	s_and_saveexec_b32 s17, vcc_lo
	s_cbranch_execz .LBB668_138
; %bb.121:
	v_mov_b32_e32 v8, 0
	ds_load_b64 v[5:6], v8 offset:1096
	s_waitcnt lgkmcnt(0)
	v_readfirstlane_b32 s21, v6
	s_and_saveexec_b32 s14, s13
	s_cbranch_execz .LBB668_123
; %bb.122:
	s_add_i32 s26, s15, 32
	s_mov_b32 s27, 0
	v_mov_b32_e32 v7, 1
	s_lshl_b64 s[28:29], s[26:27], 4
	s_mov_b32 s30, s27
	s_add_u32 s28, s24, s28
	s_addc_u32 s29, s25, s29
	s_and_b32 s31, s21, 0xff000000
	s_and_b32 s41, s21, 0xff0000
	s_mov_b32 s40, s27
	v_dual_mov_b32 v27, s28 :: v_dual_mov_b32 v28, s29
	s_or_b64 s[30:31], s[40:41], s[30:31]
	s_and_b32 s41, s21, 0xff00
	s_delay_alu instid0(SALU_CYCLE_1) | instskip(SKIP_1) | instid1(SALU_CYCLE_1)
	s_or_b64 s[30:31], s[30:31], s[40:41]
	s_and_b32 s41, s21, 0xff
	s_or_b64 s[26:27], s[30:31], s[40:41]
	s_delay_alu instid0(SALU_CYCLE_1)
	v_mov_b32_e32 v6, s27
	;;#ASMSTART
	global_store_dwordx4 v[27:28], v[5:8] off	
s_waitcnt vmcnt(0)
	;;#ASMEND
.LBB668_123:
	s_or_b32 exec_lo, exec_lo, s14
	v_xad_u32 v27, v77, -1, s15
	s_mov_b32 s26, 0
	s_mov_b32 s14, exec_lo
	s_delay_alu instid0(VALU_DEP_1) | instskip(NEXT) | instid1(VALU_DEP_1)
	v_add_nc_u32_e32 v7, 32, v27
	v_lshlrev_b64 v[6:7], 4, v[7:8]
	s_delay_alu instid0(VALU_DEP_1) | instskip(NEXT) | instid1(VALU_DEP_2)
	v_add_co_u32 v28, vcc_lo, s24, v6
	v_add_co_ci_u32_e32 v29, vcc_lo, s25, v7, vcc_lo
	;;#ASMSTART
	global_load_dwordx4 v[6:9], v[28:29] off glc	
s_waitcnt vmcnt(0)
	;;#ASMEND
	v_and_b32_e32 v9, 0xffffff, v6
	v_and_b32_e32 v6, 0xff000000, v6
	;; [unrolled: 1-line block ×4, first 2 shown]
	s_delay_alu instid0(VALU_DEP_3) | instskip(SKIP_1) | instid1(VALU_DEP_3)
	v_or_b32_e32 v6, v9, v6
	v_and_b32_e32 v9, 0xff, v8
	v_or3_b32 v7, 0, v30, v7
	s_delay_alu instid0(VALU_DEP_3) | instskip(NEXT) | instid1(VALU_DEP_3)
	v_or3_b32 v6, v6, 0, 0
	v_cmpx_eq_u16_e32 0, v9
	s_cbranch_execz .LBB668_126
.LBB668_124:                            ; =>This Inner Loop Header: Depth=1
	;;#ASMSTART
	global_load_dwordx4 v[6:9], v[28:29] off glc	
s_waitcnt vmcnt(0)
	;;#ASMEND
	v_and_b32_e32 v9, 0xff, v8
	s_delay_alu instid0(VALU_DEP_1) | instskip(SKIP_1) | instid1(SALU_CYCLE_1)
	v_cmp_ne_u16_e32 vcc_lo, 0, v9
	s_or_b32 s26, vcc_lo, s26
	s_and_not1_b32 exec_lo, exec_lo, s26
	s_cbranch_execnz .LBB668_124
; %bb.125:
	s_or_b32 exec_lo, exec_lo, s26
	v_and_b32_e32 v7, 0xffff, v7
.LBB668_126:
	s_or_b32 exec_lo, exec_lo, s14
	v_cmp_ne_u32_e32 vcc_lo, 31, v77
	v_cmp_eq_u32_e64 s14, 0, v6
	v_lshlrev_b32_e64 v35, v77, -1
	v_add_nc_u32_e32 v43, 8, v77
	v_add_nc_u32_e32 v45, 16, v77
	v_add_co_ci_u32_e32 v9, vcc_lo, 0, v77, vcc_lo
	s_delay_alu instid0(VALU_DEP_1) | instskip(SKIP_4) | instid1(VALU_DEP_1)
	v_lshlrev_b32_e32 v34, 2, v9
	ds_bpermute_b32 v9, v34, v7
	ds_bpermute_b32 v30, v34, v6
	s_waitcnt lgkmcnt(1)
	v_cndmask_b32_e64 v9, 0, v9, s14
	v_add_nc_u16 v9, v9, v7
	v_and_b32_e32 v28, 0xff, v8
	s_delay_alu instid0(VALU_DEP_2) | instskip(NEXT) | instid1(VALU_DEP_2)
	v_and_b32_e32 v37, 0xffff, v9
	v_cmp_eq_u16_e32 vcc_lo, 2, v28
	v_and_or_b32 v28, vcc_lo, v35, 0x80000000
	v_cmp_gt_u32_e32 vcc_lo, 30, v77
	s_delay_alu instid0(VALU_DEP_2) | instskip(SKIP_1) | instid1(VALU_DEP_2)
	v_ctz_i32_b32_e32 v28, v28
	v_cndmask_b32_e64 v29, 0, 1, vcc_lo
	v_cmp_lt_u32_e32 vcc_lo, v77, v28
	s_waitcnt lgkmcnt(0)
	s_delay_alu instid0(VALU_DEP_2) | instskip(NEXT) | instid1(VALU_DEP_1)
	v_dual_cndmask_b32 v30, 0, v30 :: v_dual_lshlrev_b32 v29, 1, v29
	v_add_lshl_u32 v36, v29, v77, 2
	v_cndmask_b32_e32 v9, v7, v9, vcc_lo
	v_cndmask_b32_e32 v7, v7, v37, vcc_lo
	v_add_nc_u32_e32 v37, 2, v77
	v_add_nc_u32_e32 v6, v30, v6
	ds_bpermute_b32 v29, v36, v7
	v_cmp_eq_u32_e32 vcc_lo, 0, v6
	ds_bpermute_b32 v39, v36, v6
	s_waitcnt lgkmcnt(1)
	v_cndmask_b32_e32 v29, 0, v29, vcc_lo
	v_cmp_gt_u32_e32 vcc_lo, 28, v77
	v_cndmask_b32_e64 v30, 0, 1, vcc_lo
	v_cmp_gt_u32_e32 vcc_lo, v37, v28
	s_delay_alu instid0(VALU_DEP_2) | instskip(SKIP_1) | instid1(VALU_DEP_2)
	v_lshlrev_b32_e32 v30, 2, v30
	v_add_nc_u16 v29, v29, v9
	v_add_lshl_u32 v38, v30, v77, 2
	s_delay_alu instid0(VALU_DEP_2) | instskip(SKIP_4) | instid1(VALU_DEP_3)
	v_and_b32_e32 v40, 0xffff, v29
	s_waitcnt lgkmcnt(0)
	v_cndmask_b32_e64 v30, v39, 0, vcc_lo
	v_cndmask_b32_e32 v9, v29, v9, vcc_lo
	v_add_nc_u32_e32 v39, 4, v77
	v_dual_cndmask_b32 v7, v40, v7 :: v_dual_add_nc_u32 v6, v6, v30
	ds_bpermute_b32 v29, v38, v7
	v_cmp_eq_u32_e32 vcc_lo, 0, v6
	ds_bpermute_b32 v40, v38, v6
	s_waitcnt lgkmcnt(1)
	v_cndmask_b32_e32 v29, 0, v29, vcc_lo
	v_cmp_gt_u32_e32 vcc_lo, 24, v77
	v_cndmask_b32_e64 v30, 0, 1, vcc_lo
	v_cmp_gt_u32_e32 vcc_lo, v39, v28
	s_delay_alu instid0(VALU_DEP_2) | instskip(SKIP_1) | instid1(VALU_DEP_2)
	v_lshlrev_b32_e32 v30, 3, v30
	v_add_nc_u16 v29, v9, v29
	v_add_lshl_u32 v41, v30, v77, 2
	s_delay_alu instid0(VALU_DEP_2) | instskip(SKIP_3) | instid1(VALU_DEP_3)
	v_and_b32_e32 v42, 0xffff, v29
	s_waitcnt lgkmcnt(0)
	v_cndmask_b32_e64 v30, v40, 0, vcc_lo
	v_cndmask_b32_e32 v9, v29, v9, vcc_lo
	v_cndmask_b32_e32 v7, v42, v7, vcc_lo
	s_delay_alu instid0(VALU_DEP_3)
	v_add_nc_u32_e32 v6, v6, v30
	ds_bpermute_b32 v29, v41, v7
	v_cmp_eq_u32_e32 vcc_lo, 0, v6
	ds_bpermute_b32 v30, v41, v6
	s_waitcnt lgkmcnt(1)
	v_cndmask_b32_e32 v29, 0, v29, vcc_lo
	v_cmp_gt_u32_e32 vcc_lo, 16, v77
	v_cndmask_b32_e64 v40, 0, 1, vcc_lo
	v_cmp_gt_u32_e32 vcc_lo, v43, v28
	s_delay_alu instid0(VALU_DEP_2) | instskip(SKIP_1) | instid1(VALU_DEP_2)
	v_lshlrev_b32_e32 v40, 4, v40
	v_add_nc_u16 v29, v9, v29
	v_add_lshl_u32 v44, v40, v77, 2
	s_delay_alu instid0(VALU_DEP_2) | instskip(SKIP_3) | instid1(VALU_DEP_3)
	v_and_b32_e32 v42, 0xffff, v29
	v_cndmask_b32_e32 v9, v29, v9, vcc_lo
	s_waitcnt lgkmcnt(0)
	v_cndmask_b32_e64 v29, v30, 0, vcc_lo
	v_cndmask_b32_e32 v7, v42, v7, vcc_lo
	s_delay_alu instid0(VALU_DEP_2)
	v_add_nc_u32_e32 v6, v6, v29
	ds_bpermute_b32 v7, v44, v7
	ds_bpermute_b32 v29, v44, v6
	v_cmp_eq_u32_e32 vcc_lo, 0, v6
	s_waitcnt lgkmcnt(1)
	v_cndmask_b32_e32 v7, 0, v7, vcc_lo
	v_cmp_gt_u32_e32 vcc_lo, v45, v28
	s_delay_alu instid0(VALU_DEP_2) | instskip(SKIP_2) | instid1(VALU_DEP_1)
	v_cndmask_b32_e64 v7, v7, 0, vcc_lo
	s_waitcnt lgkmcnt(0)
	v_cndmask_b32_e64 v28, v29, 0, vcc_lo
	v_add_nc_u32_e32 v6, v28, v6
	s_delay_alu instid0(VALU_DEP_3)
	v_add_nc_u16 v7, v9, v7
	v_mov_b32_e32 v28, 0
	s_branch .LBB668_128
.LBB668_127:                            ;   in Loop: Header=BB668_128 Depth=1
	s_or_b32 exec_lo, exec_lo, s14
	ds_bpermute_b32 v9, v34, v7
	ds_bpermute_b32 v30, v34, v6
	v_and_b32_e32 v29, 0xff, v8
	v_cmp_eq_u32_e64 s14, 0, v6
	v_subrev_nc_u32_e32 v27, 32, v27
	s_delay_alu instid0(VALU_DEP_3) | instskip(SKIP_1) | instid1(VALU_DEP_1)
	v_cmp_eq_u16_e32 vcc_lo, 2, v29
	v_and_or_b32 v29, vcc_lo, v35, 0x80000000
	v_ctz_i32_b32_e32 v29, v29
	s_waitcnt lgkmcnt(1)
	v_cndmask_b32_e64 v9, 0, v9, s14
	s_delay_alu instid0(VALU_DEP_2) | instskip(NEXT) | instid1(VALU_DEP_2)
	v_cmp_lt_u32_e32 vcc_lo, v77, v29
	v_add_nc_u16 v9, v9, v7
	s_waitcnt lgkmcnt(0)
	v_cndmask_b32_e32 v30, 0, v30, vcc_lo
	s_delay_alu instid0(VALU_DEP_2) | instskip(NEXT) | instid1(VALU_DEP_2)
	v_and_b32_e32 v46, 0xffff, v9
	v_dual_cndmask_b32 v9, v7, v9 :: v_dual_add_nc_u32 v6, v30, v6
	s_delay_alu instid0(VALU_DEP_2) | instskip(NEXT) | instid1(VALU_DEP_2)
	v_cndmask_b32_e32 v7, v7, v46, vcc_lo
	v_cmp_eq_u32_e32 vcc_lo, 0, v6
	ds_bpermute_b32 v46, v36, v7
	s_waitcnt lgkmcnt(0)
	v_cndmask_b32_e32 v30, 0, v46, vcc_lo
	ds_bpermute_b32 v46, v36, v6
	v_cmp_gt_u32_e32 vcc_lo, v37, v29
	v_add_nc_u16 v30, v30, v9
	s_delay_alu instid0(VALU_DEP_1) | instskip(SKIP_1) | instid1(VALU_DEP_2)
	v_and_b32_e32 v47, 0xffff, v30
	v_cndmask_b32_e32 v9, v30, v9, vcc_lo
	v_cndmask_b32_e32 v7, v47, v7, vcc_lo
	ds_bpermute_b32 v30, v38, v7
	s_waitcnt lgkmcnt(1)
	v_cndmask_b32_e64 v46, v46, 0, vcc_lo
	s_delay_alu instid0(VALU_DEP_1) | instskip(NEXT) | instid1(VALU_DEP_1)
	v_add_nc_u32_e32 v6, v6, v46
	v_cmp_eq_u32_e32 vcc_lo, 0, v6
	ds_bpermute_b32 v46, v38, v6
	s_waitcnt lgkmcnt(1)
	v_cndmask_b32_e32 v30, 0, v30, vcc_lo
	v_cmp_gt_u32_e32 vcc_lo, v39, v29
	s_delay_alu instid0(VALU_DEP_2) | instskip(NEXT) | instid1(VALU_DEP_1)
	v_add_nc_u16 v30, v9, v30
	v_and_b32_e32 v47, 0xffff, v30
	v_cndmask_b32_e32 v9, v30, v9, vcc_lo
	s_waitcnt lgkmcnt(0)
	v_cndmask_b32_e64 v46, v46, 0, vcc_lo
	s_delay_alu instid0(VALU_DEP_1)
	v_dual_cndmask_b32 v7, v47, v7 :: v_dual_add_nc_u32 v6, v6, v46
	ds_bpermute_b32 v30, v41, v7
	v_cmp_eq_u32_e32 vcc_lo, 0, v6
	ds_bpermute_b32 v46, v41, v6
	s_waitcnt lgkmcnt(1)
	v_cndmask_b32_e32 v30, 0, v30, vcc_lo
	v_cmp_gt_u32_e32 vcc_lo, v43, v29
	s_delay_alu instid0(VALU_DEP_2) | instskip(NEXT) | instid1(VALU_DEP_1)
	v_add_nc_u16 v30, v9, v30
	v_and_b32_e32 v47, 0xffff, v30
	v_cndmask_b32_e32 v9, v30, v9, vcc_lo
	s_waitcnt lgkmcnt(0)
	v_cndmask_b32_e64 v30, v46, 0, vcc_lo
	s_delay_alu instid0(VALU_DEP_1)
	v_dual_cndmask_b32 v7, v47, v7 :: v_dual_add_nc_u32 v6, v6, v30
	ds_bpermute_b32 v7, v44, v7
	ds_bpermute_b32 v30, v44, v6
	v_cmp_eq_u32_e32 vcc_lo, 0, v6
	s_waitcnt lgkmcnt(1)
	v_cndmask_b32_e32 v7, 0, v7, vcc_lo
	v_cmp_gt_u32_e32 vcc_lo, v45, v29
	s_delay_alu instid0(VALU_DEP_2) | instskip(NEXT) | instid1(VALU_DEP_1)
	v_cndmask_b32_e64 v7, v7, 0, vcc_lo
	v_add_nc_u16 v7, v9, v7
	s_waitcnt lgkmcnt(0)
	v_cndmask_b32_e64 v9, v30, 0, vcc_lo
	v_cmp_eq_u32_e32 vcc_lo, 0, v42
	s_delay_alu instid0(VALU_DEP_3) | instskip(NEXT) | instid1(VALU_DEP_3)
	v_cndmask_b32_e32 v7, 0, v7, vcc_lo
	v_add3_u32 v6, v6, v42, v9
	s_delay_alu instid0(VALU_DEP_2)
	v_add_nc_u16 v7, v7, v40
.LBB668_128:                            ; =>This Loop Header: Depth=1
                                        ;     Child Loop BB668_131 Depth 2
	v_and_b32_e32 v8, 0xff, v8
	s_delay_alu instid0(VALU_DEP_2) | instskip(NEXT) | instid1(VALU_DEP_4)
	v_mov_b32_e32 v40, v7
	v_mov_b32_e32 v42, v6
	s_delay_alu instid0(VALU_DEP_3) | instskip(SKIP_2) | instid1(VALU_DEP_1)
	v_cmp_ne_u16_e32 vcc_lo, 2, v8
	v_cndmask_b32_e64 v8, 0, 1, vcc_lo
	;;#ASMSTART
	;;#ASMEND
	v_cmp_ne_u32_e32 vcc_lo, 0, v8
	s_cmp_lg_u32 vcc_lo, exec_lo
	s_cbranch_scc1 .LBB668_133
; %bb.129:                              ;   in Loop: Header=BB668_128 Depth=1
	v_lshlrev_b64 v[6:7], 4, v[27:28]
	s_mov_b32 s14, exec_lo
	s_delay_alu instid0(VALU_DEP_1) | instskip(NEXT) | instid1(VALU_DEP_2)
	v_add_co_u32 v29, vcc_lo, s24, v6
	v_add_co_ci_u32_e32 v30, vcc_lo, s25, v7, vcc_lo
	;;#ASMSTART
	global_load_dwordx4 v[6:9], v[29:30] off glc	
s_waitcnt vmcnt(0)
	;;#ASMEND
	v_and_b32_e32 v9, 0xffffff, v6
	v_and_b32_e32 v6, 0xff000000, v6
	;; [unrolled: 1-line block ×4, first 2 shown]
	s_delay_alu instid0(VALU_DEP_3) | instskip(SKIP_1) | instid1(VALU_DEP_3)
	v_or_b32_e32 v6, v9, v6
	v_and_b32_e32 v9, 0xff, v8
	v_or3_b32 v7, 0, v46, v7
	s_delay_alu instid0(VALU_DEP_3) | instskip(NEXT) | instid1(VALU_DEP_3)
	v_or3_b32 v6, v6, 0, 0
	v_cmpx_eq_u16_e32 0, v9
	s_cbranch_execz .LBB668_127
; %bb.130:                              ;   in Loop: Header=BB668_128 Depth=1
	s_mov_b32 s26, 0
.LBB668_131:                            ;   Parent Loop BB668_128 Depth=1
                                        ; =>  This Inner Loop Header: Depth=2
	;;#ASMSTART
	global_load_dwordx4 v[6:9], v[29:30] off glc	
s_waitcnt vmcnt(0)
	;;#ASMEND
	v_and_b32_e32 v9, 0xff, v8
	s_delay_alu instid0(VALU_DEP_1) | instskip(SKIP_1) | instid1(SALU_CYCLE_1)
	v_cmp_ne_u16_e32 vcc_lo, 0, v9
	s_or_b32 s26, vcc_lo, s26
	s_and_not1_b32 exec_lo, exec_lo, s26
	s_cbranch_execnz .LBB668_131
; %bb.132:                              ;   in Loop: Header=BB668_128 Depth=1
	s_or_b32 exec_lo, exec_lo, s26
	v_and_b32_e32 v7, 0xffff, v7
	s_branch .LBB668_127
.LBB668_133:                            ;   in Loop: Header=BB668_128 Depth=1
                                        ; implicit-def: $vgpr7
                                        ; implicit-def: $vgpr6
                                        ; implicit-def: $vgpr8
	s_cbranch_execz .LBB668_128
; %bb.134:
	s_and_saveexec_b32 s14, s13
	s_cbranch_execz .LBB668_136
; %bb.135:
	v_cmp_eq_u32_e32 vcc_lo, 0, v5
	s_mov_b32 s27, 0
	s_add_i32 s26, s15, 32
	v_add_nc_u32_e64 v29, 0x400, 0
	s_lshl_b64 s[26:27], s[26:27], 4
	v_dual_cndmask_b32 v6, 0, v40 :: v_dual_mov_b32 v9, 0
	s_add_u32 s26, s24, s26
	s_addc_u32 s27, s25, s27
	v_mov_b32_e32 v30, s21
	s_delay_alu instid0(VALU_DEP_2) | instskip(SKIP_1) | instid1(VALU_DEP_2)
	v_add_nc_u16 v7, v6, s21
	v_add_nc_u32_e32 v6, v42, v5
	v_dual_mov_b32 v8, 2 :: v_dual_and_b32 v27, 0xff00, v7
	v_and_b32_e32 v7, 0xff, v7
	s_delay_alu instid0(VALU_DEP_1)
	v_or_b32_e32 v7, v27, v7
	v_dual_mov_b32 v28, s27 :: v_dual_mov_b32 v27, s26
	;;#ASMSTART
	global_store_dwordx4 v[27:28], v[6:9] off	
s_waitcnt vmcnt(0)
	;;#ASMEND
	ds_store_2addr_b32 v29, v5, v42 offset1:2
	ds_store_b16 v9, v30 offset:1028
	ds_store_b16 v9, v40 offset:1036
.LBB668_136:
	s_or_b32 exec_lo, exec_lo, s14
	v_cmp_eq_u32_e32 vcc_lo, 0, v0
	s_and_b32 exec_lo, exec_lo, vcc_lo
	s_cbranch_execz .LBB668_138
; %bb.137:
	v_mov_b32_e32 v5, 0
	ds_store_b32 v5, v42 offset:1096
	ds_store_b16 v5, v40 offset:1100
.LBB668_138:
	s_or_b32 exec_lo, exec_lo, s17
	v_mov_b32_e32 v7, 0
	s_waitcnt lgkmcnt(0)
	s_barrier
	buffer_gl0_inv
	v_cndmask_b32_e64 v8, v32, v31, s13
	ds_load_b64 v[5:6], v7 offset:1096
	v_cndmask_b32_e64 v9, v33, v17, s13
	v_cmp_eq_u32_e64 s13, 0, v25
	s_waitcnt lgkmcnt(0)
	v_cmp_eq_u32_e32 vcc_lo, 0, v8
	s_barrier
	buffer_gl0_inv
	v_cndmask_b32_e32 v17, 0, v6, vcc_lo
	v_cmp_eq_u32_e32 vcc_lo, 0, v0
	s_delay_alu instid0(VALU_DEP_2) | instskip(NEXT) | instid1(VALU_DEP_1)
	v_add_nc_u16 v9, v17, v9
	v_cndmask_b32_e32 v9, v9, v6, vcc_lo
	s_delay_alu instid0(VALU_DEP_1) | instskip(NEXT) | instid1(VALU_DEP_1)
	v_cndmask_b32_e64 v6, 0, v9, s13
	v_add_nc_u16 v17, v6, v74
	s_delay_alu instid0(VALU_DEP_1) | instskip(SKIP_2) | instid1(VALU_DEP_2)
	v_and_b32_e32 v50, 0xffff, v17
	v_cndmask_b32_e64 v6, 0, v17, s12
	v_and_b32_e32 v56, 0xffff, v9
	v_add_nc_u16 v27, v6, v73
	s_delay_alu instid0(VALU_DEP_1) | instskip(SKIP_1) | instid1(VALU_DEP_2)
	v_cndmask_b32_e64 v6, 0, v27, s11
	v_and_b32_e32 v52, 0xffff, v27
	v_add_nc_u16 v28, v6, v75
	s_delay_alu instid0(VALU_DEP_1) | instskip(SKIP_1) | instid1(VALU_DEP_2)
	;; [unrolled: 4-line block ×3, first 2 shown]
	v_cndmask_b32_e64 v6, 0, v29, s9
	v_and_b32_e32 v36, 0xffff, v29
	v_add_nc_u16 v30, v6, v72
	s_delay_alu instid0(VALU_DEP_1) | instskip(NEXT) | instid1(VALU_DEP_1)
	v_cndmask_b32_e64 v6, 0, v30, s8
	v_add_nc_u16 v34, v6, v69
	v_cndmask_b32_e64 v6, v8, 0, vcc_lo
	s_delay_alu instid0(VALU_DEP_2) | instskip(NEXT) | instid1(VALU_DEP_2)
	v_cndmask_b32_e64 v8, 0, v34, s7
	v_add_nc_u32_e32 v55, v5, v6
	v_and_b32_e32 v34, 0xffff, v34
	s_delay_alu instid0(VALU_DEP_3) | instskip(NEXT) | instid1(VALU_DEP_3)
	v_add_nc_u16 v38, v8, v70
	v_add_nc_u32_e32 v49, v55, v25
	s_delay_alu instid0(VALU_DEP_2) | instskip(NEXT) | instid1(VALU_DEP_2)
	v_cndmask_b32_e64 v5, 0, v38, s6
	v_add_nc_u32_e32 v51, v49, v26
	v_and_b32_e32 v54, 0xffff, v38
	s_delay_alu instid0(VALU_DEP_3) | instskip(NEXT) | instid1(VALU_DEP_3)
	v_add_nc_u16 v40, v5, v67
	v_add_nc_u32_e32 v47, v51, v23
	;; [unrolled: 7-line block ×4, first 2 shown]
	ds_load_b128 v[5:8], v7 offset:1024
	v_cndmask_b32_e64 v32, 0, v44, s3
	v_add_nc_u32_e32 v57, v53, v20
	v_and_b32_e32 v44, 0xffff, v44
	s_delay_alu instid0(VALU_DEP_3) | instskip(NEXT) | instid1(VALU_DEP_3)
	v_add_nc_u16 v81, v32, v65
	v_add_nc_u32_e32 v45, v57, v15
	s_delay_alu instid0(VALU_DEP_2) | instskip(NEXT) | instid1(VALU_DEP_2)
	v_cndmask_b32_e64 v32, 0, v81, s2
	v_add_nc_u32_e32 v43, v45, v16
	v_and_b32_e32 v38, 0xffff, v81
	s_delay_alu instid0(VALU_DEP_3) | instskip(NEXT) | instid1(VALU_DEP_3)
	v_add_nc_u16 v82, v32, v64
	v_add_nc_u32_e32 v37, v43, v13
	s_waitcnt lgkmcnt(0)
	v_cmp_eq_u32_e32 vcc_lo, 0, v5
	v_and_b32_e32 v32, 0xffff, v30
	v_cndmask_b32_e64 v9, 0, v82, s1
	v_dual_cndmask_b32 v8, 0, v8 :: v_dual_add_nc_u32 v41, v37, v14
	v_and_b32_e32 v42, 0xffff, v82
	s_delay_alu instid0(VALU_DEP_3) | instskip(NEXT) | instid1(VALU_DEP_3)
	v_add_nc_u16 v9, v9, v60
	v_add_nc_u32_e32 v39, v41, v63
	s_delay_alu instid0(VALU_DEP_2) | instskip(NEXT) | instid1(VALU_DEP_2)
	v_cndmask_b32_e64 v17, 0, v9, s0
	v_add_nc_u32_e32 v29, v39, v18
	v_and_b32_e32 v40, 0xffff, v9
	s_delay_alu instid0(VALU_DEP_3) | instskip(NEXT) | instid1(VALU_DEP_1)
	v_add_nc_u16 v17, v17, v59
	v_and_b32_e32 v30, 0xffff, v17
	v_add_nc_u32_e32 v17, v8, v6
	s_branch .LBB668_151
.LBB668_139:
                                        ; implicit-def: $vgpr5
                                        ; implicit-def: $vgpr17
                                        ; implicit-def: $vgpr55_vgpr56
                                        ; implicit-def: $vgpr49_vgpr50
                                        ; implicit-def: $vgpr51_vgpr52
                                        ; implicit-def: $vgpr47_vgpr48
                                        ; implicit-def: $vgpr35_vgpr36
                                        ; implicit-def: $vgpr31_vgpr32
                                        ; implicit-def: $vgpr33_vgpr34
                                        ; implicit-def: $vgpr53_vgpr54
                                        ; implicit-def: $vgpr57_vgpr58
                                        ; implicit-def: $vgpr45_vgpr46
                                        ; implicit-def: $vgpr43_vgpr44
                                        ; implicit-def: $vgpr37_vgpr38
                                        ; implicit-def: $vgpr41_vgpr42
                                        ; implicit-def: $vgpr39_vgpr40
                                        ; implicit-def: $vgpr29_vgpr30
	s_cbranch_execz .LBB668_151
; %bb.140:
	s_and_b32 s0, s16, exec_lo
	v_mov_b32_e32 v6, v74
	s_cselect_b32 s1, 0, s35
	s_cselect_b32 s0, 0, s34
	s_delay_alu instid0(SALU_CYCLE_1)
	s_cmp_eq_u64 s[0:1], 0
	s_cbranch_scc1 .LBB668_142
; %bb.141:
	v_mov_b32_e32 v5, 0
	global_load_u16 v6, v5, s[0:1]
.LBB668_142:
	v_cmp_eq_u32_e64 s11, 0, v26
	v_cmp_eq_u32_e64 s10, 0, v23
	;; [unrolled: 1-line block ×5, first 2 shown]
	v_cndmask_b32_e64 v5, 0, v74, s11
	v_cmp_eq_u32_e64 s7, 0, v19
	v_cmp_eq_u32_e64 s5, 0, v20
	;; [unrolled: 1-line block ×4, first 2 shown]
	v_add_nc_u16 v5, v5, v73
	v_cmp_eq_u32_e64 s2, 0, v13
	v_cmp_eq_u32_e64 s1, 0, v14
	;; [unrolled: 1-line block ×3, first 2 shown]
	v_cmp_eq_u32_e32 vcc_lo, 0, v18
	v_cndmask_b32_e64 v5, 0, v5, s10
	v_add3_u32 v7, v80, v22, v19
	v_cmp_eq_u32_e64 s12, 0, v61
	v_and_b32_e32 v17, 15, v77
	s_delay_alu instid0(VALU_DEP_4) | instskip(NEXT) | instid1(VALU_DEP_4)
	v_add_nc_u16 v5, v5, v75
	v_add3_u32 v7, v7, v20, v15
	s_delay_alu instid0(VALU_DEP_2) | instskip(NEXT) | instid1(VALU_DEP_2)
	v_cndmask_b32_e64 v5, 0, v5, s9
	v_add3_u32 v7, v7, v16, v13
	s_delay_alu instid0(VALU_DEP_2) | instskip(NEXT) | instid1(VALU_DEP_2)
	v_add_nc_u16 v5, v5, v71
	v_add3_u32 v7, v7, v14, v63
	s_delay_alu instid0(VALU_DEP_2) | instskip(NEXT) | instid1(VALU_DEP_2)
	v_cndmask_b32_e64 v5, 0, v5, s8
	v_add3_u32 v7, v7, v18, v61
	s_delay_alu instid0(VALU_DEP_2) | instskip(NEXT) | instid1(VALU_DEP_2)
	v_add_nc_u16 v5, v5, v72
	v_mov_b32_dpp v27, v7 row_shr:1 row_mask:0xf bank_mask:0xf
	s_delay_alu instid0(VALU_DEP_2) | instskip(NEXT) | instid1(VALU_DEP_1)
	v_cndmask_b32_e64 v5, 0, v5, s6
	v_add_nc_u16 v5, v5, v69
	s_delay_alu instid0(VALU_DEP_1) | instskip(NEXT) | instid1(VALU_DEP_1)
	v_cndmask_b32_e64 v5, 0, v5, s7
	v_add_nc_u16 v5, v5, v70
	s_delay_alu instid0(VALU_DEP_1) | instskip(NEXT) | instid1(VALU_DEP_1)
	;; [unrolled: 3-line block ×8, first 2 shown]
	v_cndmask_b32_e32 v5, 0, v5, vcc_lo
	v_add_nc_u16 v5, v5, v59
	s_delay_alu instid0(VALU_DEP_1) | instskip(SKIP_1) | instid1(VALU_DEP_2)
	v_cndmask_b32_e64 v5, 0, v5, s12
	v_cmp_eq_u32_e64 s12, 0, v7
	v_add_nc_u16 v5, v5, v76
	s_delay_alu instid0(VALU_DEP_1) | instskip(SKIP_1) | instid1(VALU_DEP_1)
	v_and_b32_e32 v8, 0xffff, v5
	s_waitcnt lgkmcnt(0)
	v_mov_b32_dpp v9, v8 row_shr:1 row_mask:0xf bank_mask:0xf
	s_delay_alu instid0(VALU_DEP_1) | instskip(SKIP_1) | instid1(VALU_DEP_2)
	v_cndmask_b32_e64 v9, 0, v9, s12
	v_cmp_eq_u32_e64 s12, 0, v17
	v_add_nc_u16 v9, v9, v5
	s_delay_alu instid0(VALU_DEP_2) | instskip(NEXT) | instid1(VALU_DEP_2)
	v_cndmask_b32_e64 v27, v27, 0, s12
	v_and_b32_e32 v28, 0xffff, v9
	s_delay_alu instid0(VALU_DEP_2) | instskip(SKIP_1) | instid1(VALU_DEP_3)
	v_add_nc_u32_e32 v7, v27, v7
	v_cndmask_b32_e64 v5, v9, v5, s12
	v_cndmask_b32_e64 v8, v28, v8, s12
	s_delay_alu instid0(VALU_DEP_3) | instskip(NEXT) | instid1(VALU_DEP_2)
	v_cmp_eq_u32_e64 s12, 0, v7
	v_mov_b32_dpp v27, v8 row_shr:2 row_mask:0xf bank_mask:0xf
	s_delay_alu instid0(VALU_DEP_1) | instskip(SKIP_2) | instid1(VALU_DEP_3)
	v_cndmask_b32_e64 v9, 0, v27, s12
	v_mov_b32_dpp v27, v7 row_shr:2 row_mask:0xf bank_mask:0xf
	v_cmp_lt_u32_e64 s12, 1, v17
	v_add_nc_u16 v9, v9, v5
	s_delay_alu instid0(VALU_DEP_1) | instskip(NEXT) | instid1(VALU_DEP_3)
	v_and_b32_e32 v28, 0xffff, v9
	v_cndmask_b32_e64 v5, v5, v9, s12
	v_cndmask_b32_e64 v9, 0, v27, s12
	s_delay_alu instid0(VALU_DEP_3) | instskip(NEXT) | instid1(VALU_DEP_2)
	v_cndmask_b32_e64 v8, v8, v28, s12
	v_add_nc_u32_e32 v7, v7, v9
	s_delay_alu instid0(VALU_DEP_2) | instskip(NEXT) | instid1(VALU_DEP_2)
	v_mov_b32_dpp v9, v8 row_shr:4 row_mask:0xf bank_mask:0xf
	v_cmp_eq_u32_e64 s12, 0, v7
	v_mov_b32_dpp v27, v7 row_shr:4 row_mask:0xf bank_mask:0xf
	s_delay_alu instid0(VALU_DEP_2) | instskip(SKIP_1) | instid1(VALU_DEP_2)
	v_cndmask_b32_e64 v9, 0, v9, s12
	v_cmp_lt_u32_e64 s12, 3, v17
	v_add_nc_u16 v9, v9, v5
	s_delay_alu instid0(VALU_DEP_1) | instskip(NEXT) | instid1(VALU_DEP_3)
	v_and_b32_e32 v28, 0xffff, v9
	v_cndmask_b32_e64 v5, v5, v9, s12
	v_cndmask_b32_e64 v9, 0, v27, s12
	s_delay_alu instid0(VALU_DEP_3) | instskip(NEXT) | instid1(VALU_DEP_2)
	v_cndmask_b32_e64 v8, v8, v28, s12
	v_add_nc_u32_e32 v7, v9, v7
	s_delay_alu instid0(VALU_DEP_2) | instskip(NEXT) | instid1(VALU_DEP_2)
	v_mov_b32_dpp v9, v8 row_shr:8 row_mask:0xf bank_mask:0xf
	v_cmp_eq_u32_e64 s12, 0, v7
	v_mov_b32_dpp v27, v7 row_shr:8 row_mask:0xf bank_mask:0xf
	s_delay_alu instid0(VALU_DEP_2) | instskip(SKIP_1) | instid1(VALU_DEP_2)
	v_cndmask_b32_e64 v9, 0, v9, s12
	v_cmp_lt_u32_e64 s12, 7, v17
	v_add_nc_u16 v9, v9, v5
	s_delay_alu instid0(VALU_DEP_1) | instskip(SKIP_3) | instid1(VALU_DEP_3)
	v_cndmask_b32_e64 v17, v5, v9, s12
	v_cndmask_b32_e64 v5, 0, v27, s12
	v_and_b32_e32 v9, 0xffff, v9
	v_bfe_i32 v27, v77, 4, 1
	v_add_nc_u32_e32 v5, v5, v7
	s_delay_alu instid0(VALU_DEP_3)
	v_cndmask_b32_e64 v7, v8, v9, s12
	v_and_b32_e32 v9, 16, v77
	ds_swizzle_b32 v8, v5 offset:swizzle(BROADCAST,32,15)
	ds_swizzle_b32 v7, v7 offset:swizzle(BROADCAST,32,15)
	v_cmp_ne_u32_e64 s12, 0, v9
	v_cmp_eq_u32_e64 s13, 0, v5
	v_lshlrev_b32_e32 v9, 3, v78
	s_delay_alu instid0(VALU_DEP_2)
	s_and_b32 s12, s12, s13
	s_mov_b32 s13, exec_lo
	s_waitcnt lgkmcnt(1)
	v_and_b32_e32 v8, v27, v8
	s_waitcnt lgkmcnt(0)
	v_cndmask_b32_e64 v7, 0, v7, s12
	s_delay_alu instid0(VALU_DEP_2) | instskip(NEXT) | instid1(VALU_DEP_2)
	v_add_nc_u32_e32 v5, v8, v5
	v_add_nc_u16 v8, v7, v17
	v_cmpx_eq_u32_e64 v79, v0
	s_cbranch_execz .LBB668_144
; %bb.143:
	ds_store_b32 v9, v5 offset:1040
	ds_store_b16 v9, v8 offset:1044
.LBB668_144:
	s_or_b32 exec_lo, exec_lo, s13
	s_delay_alu instid0(SALU_CYCLE_1)
	s_mov_b32 s14, exec_lo
	s_waitcnt vmcnt(0) lgkmcnt(0)
	s_barrier
	buffer_gl0_inv
	v_cmpx_gt_u32_e32 8, v0
	s_cbranch_execz .LBB668_146
; %bb.145:
	v_lshlrev_b32_e32 v7, 3, v0
	v_and_b32_e32 v31, 7, v77
	ds_load_b64 v[27:28], v7 offset:1040
	v_cmp_lt_u32_e64 s13, 3, v31
	s_waitcnt lgkmcnt(0)
	v_mov_b32_dpp v17, v28 row_shr:1 row_mask:0xf bank_mask:0xf
	v_cmp_eq_u32_e64 s12, 0, v27
	v_and_b32_e32 v29, 0xffff0000, v28
	v_mov_b32_dpp v32, v27 row_shr:1 row_mask:0xf bank_mask:0xf
	s_delay_alu instid0(VALU_DEP_3) | instskip(SKIP_1) | instid1(VALU_DEP_2)
	v_cndmask_b32_e64 v17, 0, v17, s12
	v_cmp_eq_u32_e64 s12, 0, v31
	v_add_nc_u16 v17, v17, v28
	s_delay_alu instid0(VALU_DEP_2) | instskip(NEXT) | instid1(VALU_DEP_2)
	v_cndmask_b32_e64 v32, v32, 0, s12
	v_and_b32_e32 v30, 0xffff, v17
	s_delay_alu instid0(VALU_DEP_2) | instskip(SKIP_1) | instid1(VALU_DEP_3)
	v_add_nc_u32_e32 v27, v32, v27
	v_cndmask_b32_e64 v17, v17, v28, s12
	v_or_b32_e32 v30, v29, v30
	s_delay_alu instid0(VALU_DEP_1) | instskip(NEXT) | instid1(VALU_DEP_4)
	v_cndmask_b32_e64 v30, v30, v28, s12
	v_cmp_eq_u32_e64 s12, 0, v27
	s_delay_alu instid0(VALU_DEP_2) | instskip(NEXT) | instid1(VALU_DEP_1)
	v_mov_b32_dpp v32, v30 row_shr:2 row_mask:0xf bank_mask:0xf
	v_cndmask_b32_e64 v28, 0, v32, s12
	v_mov_b32_dpp v32, v27 row_shr:2 row_mask:0xf bank_mask:0xf
	v_cmp_lt_u32_e64 s12, 1, v31
	s_delay_alu instid0(VALU_DEP_3) | instskip(NEXT) | instid1(VALU_DEP_1)
	v_add_nc_u16 v28, v28, v17
	v_and_b32_e32 v33, 0xffff, v28
	s_delay_alu instid0(VALU_DEP_3) | instskip(SKIP_1) | instid1(VALU_DEP_3)
	v_cndmask_b32_e64 v17, v17, v28, s12
	v_cndmask_b32_e64 v28, 0, v32, s12
	v_or_b32_e32 v29, v29, v33
	s_delay_alu instid0(VALU_DEP_2) | instskip(NEXT) | instid1(VALU_DEP_2)
	v_add_nc_u32_e32 v27, v28, v27
	v_cndmask_b32_e64 v28, v30, v29, s12
	s_delay_alu instid0(VALU_DEP_2) | instskip(SKIP_1) | instid1(VALU_DEP_3)
	v_cmp_eq_u32_e64 s12, 0, v27
	v_mov_b32_dpp v29, v27 row_shr:4 row_mask:0xf bank_mask:0xf
	v_mov_b32_dpp v28, v28 row_shr:4 row_mask:0xf bank_mask:0xf
	s_delay_alu instid0(VALU_DEP_3) | instskip(NEXT) | instid1(VALU_DEP_2)
	s_and_b32 s12, s13, s12
	v_cndmask_b32_e64 v29, 0, v29, s13
	s_delay_alu instid0(VALU_DEP_2) | instskip(NEXT) | instid1(VALU_DEP_2)
	v_cndmask_b32_e64 v28, 0, v28, s12
	v_add_nc_u32_e32 v27, v29, v27
	s_delay_alu instid0(VALU_DEP_2)
	v_add_nc_u16 v17, v17, v28
	ds_store_b32 v7, v27 offset:1040
	ds_store_b16 v7, v17 offset:1044
.LBB668_146:
	s_or_b32 exec_lo, exec_lo, s14
	v_mov_b32_e32 v7, 0
	v_mov_b32_e32 v17, 0
	;; [unrolled: 1-line block ×3, first 2 shown]
	s_mov_b32 s13, exec_lo
	s_waitcnt lgkmcnt(0)
	s_barrier
	buffer_gl0_inv
	v_cmpx_lt_u32_e32 31, v0
	s_cbranch_execz .LBB668_148
; %bb.147:
	ds_load_b32 v17, v9 offset:1032
	ds_load_u16 v9, v9 offset:1036
	s_waitcnt lgkmcnt(1)
	v_cmp_eq_u32_e64 s12, 0, v17
	s_delay_alu instid0(VALU_DEP_1) | instskip(SKIP_1) | instid1(VALU_DEP_1)
	v_cndmask_b32_e64 v27, 0, v6, s12
	s_waitcnt lgkmcnt(0)
	v_add_nc_u16 v27, v27, v9
.LBB668_148:
	s_or_b32 exec_lo, exec_lo, s13
	v_add_nc_u32_e32 v9, -1, v77
	v_cmp_eq_u32_e64 s12, 0, v5
	v_add_nc_u32_e32 v5, v17, v5
	v_cmp_eq_u32_e64 s13, 0, v25
	s_delay_alu instid0(VALU_DEP_3) | instskip(SKIP_1) | instid1(VALU_DEP_2)
	v_cndmask_b32_e64 v28, 0, v27, s12
	v_cmp_gt_i32_e64 s12, 0, v9
	v_add_nc_u16 v8, v28, v8
	s_delay_alu instid0(VALU_DEP_2) | instskip(SKIP_1) | instid1(VALU_DEP_3)
	v_cndmask_b32_e64 v9, v9, v77, s12
	v_cmp_eq_u32_e64 s12, 0, v77
	v_and_b32_e32 v8, 0xffff, v8
	s_delay_alu instid0(VALU_DEP_3)
	v_lshlrev_b32_e32 v9, 2, v9
	ds_bpermute_b32 v5, v9, v5
	ds_bpermute_b32 v8, v9, v8
	s_waitcnt lgkmcnt(1)
	v_cndmask_b32_e64 v5, v5, v17, s12
	s_waitcnt lgkmcnt(0)
	v_cndmask_b32_e64 v8, v8, v27, s12
	v_cmp_eq_u32_e64 s12, 0, v0
	s_delay_alu instid0(VALU_DEP_1) | instskip(SKIP_1) | instid1(VALU_DEP_2)
	v_cndmask_b32_e64 v8, v8, v6, s12
	v_cndmask_b32_e64 v55, v5, 0, s12
	;; [unrolled: 1-line block ×3, first 2 shown]
	s_delay_alu instid0(VALU_DEP_2) | instskip(SKIP_1) | instid1(VALU_DEP_3)
	v_add_nc_u32_e32 v49, v55, v25
	v_and_b32_e32 v56, 0xffff, v8
	v_add_nc_u16 v9, v9, v74
	s_delay_alu instid0(VALU_DEP_3) | instskip(NEXT) | instid1(VALU_DEP_2)
	v_add_nc_u32_e32 v51, v49, v26
	v_cndmask_b32_e64 v17, 0, v9, s11
	s_delay_alu instid0(VALU_DEP_2) | instskip(NEXT) | instid1(VALU_DEP_2)
	v_add_nc_u32_e32 v47, v51, v23
	v_add_nc_u16 v17, v17, v73
	s_delay_alu instid0(VALU_DEP_2) | instskip(NEXT) | instid1(VALU_DEP_2)
	v_add_nc_u32_e32 v35, v47, v24
	v_cndmask_b32_e64 v27, 0, v17, s10
	v_and_b32_e32 v52, 0xffff, v17
	s_delay_alu instid0(VALU_DEP_2) | instskip(NEXT) | instid1(VALU_DEP_1)
	v_add_nc_u16 v27, v27, v75
	v_cndmask_b32_e64 v28, 0, v27, s9
	v_and_b32_e32 v48, 0xffff, v27
	s_delay_alu instid0(VALU_DEP_2) | instskip(NEXT) | instid1(VALU_DEP_1)
	v_add_nc_u16 v28, v28, v71
	;; [unrolled: 4-line block ×3, first 2 shown]
	v_cndmask_b32_e64 v30, 0, v29, s6
	s_delay_alu instid0(VALU_DEP_1) | instskip(NEXT) | instid1(VALU_DEP_1)
	v_add_nc_u16 v30, v30, v69
	v_cndmask_b32_e64 v31, 0, v30, s7
	v_and_b32_e32 v34, 0xffff, v30
	s_delay_alu instid0(VALU_DEP_2) | instskip(SKIP_1) | instid1(VALU_DEP_2)
	v_add_nc_u16 v38, v31, v70
	v_add_nc_u32_e32 v31, v35, v21
	v_cndmask_b32_e64 v5, 0, v38, s5
	s_delay_alu instid0(VALU_DEP_2) | instskip(SKIP_1) | instid1(VALU_DEP_3)
	v_add_nc_u32_e32 v33, v31, v22
	v_and_b32_e32 v54, 0xffff, v38
	v_add_nc_u16 v40, v5, v67
	s_delay_alu instid0(VALU_DEP_3) | instskip(NEXT) | instid1(VALU_DEP_2)
	v_add_nc_u32_e32 v53, v33, v19
	v_cndmask_b32_e64 v5, 0, v40, s4
	s_delay_alu instid0(VALU_DEP_2) | instskip(SKIP_1) | instid1(VALU_DEP_3)
	v_add_nc_u32_e32 v57, v53, v20
	v_and_b32_e32 v58, 0xffff, v40
	v_add_nc_u16 v42, v5, v68
	s_delay_alu instid0(VALU_DEP_3) | instskip(NEXT) | instid1(VALU_DEP_2)
	v_add_nc_u32_e32 v45, v57, v15
	v_cndmask_b32_e64 v5, 0, v42, s3
	s_delay_alu instid0(VALU_DEP_2) | instskip(SKIP_1) | instid1(VALU_DEP_3)
	v_add_nc_u32_e32 v43, v45, v16
	v_and_b32_e32 v46, 0xffff, v42
	v_add_nc_u16 v44, v5, v66
	ds_load_b32 v5, v7 offset:1096
	ds_load_u16 v7, v7 offset:1100
	v_add_nc_u32_e32 v37, v43, v13
	v_cndmask_b32_e64 v32, 0, v44, s2
	v_and_b32_e32 v44, 0xffff, v44
	s_delay_alu instid0(VALU_DEP_3) | instskip(NEXT) | instid1(VALU_DEP_3)
	v_add_nc_u32_e32 v41, v37, v14
	v_add_nc_u16 v65, v32, v65
	s_delay_alu instid0(VALU_DEP_2) | instskip(NEXT) | instid1(VALU_DEP_2)
	v_add_nc_u32_e32 v39, v41, v63
	v_cndmask_b32_e64 v32, 0, v65, s1
	v_and_b32_e32 v38, 0xffff, v65
	s_delay_alu instid0(VALU_DEP_2)
	v_add_nc_u16 v64, v32, v64
	s_waitcnt lgkmcnt(1)
	v_cmp_eq_u32_e64 s1, 0, v5
	v_and_b32_e32 v32, 0xffff, v29
	v_add_nc_u32_e32 v29, v39, v18
	v_cndmask_b32_e64 v8, 0, v64, s0
	s_delay_alu instid0(VALU_DEP_4) | instskip(SKIP_1) | instid1(VALU_DEP_3)
	v_cndmask_b32_e64 v6, 0, v6, s1
	v_and_b32_e32 v42, 0xffff, v64
	v_add_nc_u16 v8, v8, v60
	v_and_b32_e32 v50, 0xffff, v9
	s_waitcnt lgkmcnt(0)
	v_add_nc_u16 v17, v6, v7
	s_delay_alu instid0(VALU_DEP_3) | instskip(SKIP_1) | instid1(VALU_DEP_2)
	v_cndmask_b32_e32 v9, 0, v8, vcc_lo
	v_and_b32_e32 v40, 0xffff, v8
	v_add_nc_u16 v9, v9, v59
	s_delay_alu instid0(VALU_DEP_1)
	v_and_b32_e32 v30, 0xffff, v9
	s_and_saveexec_b32 s0, s12
	s_cbranch_execz .LBB668_150
; %bb.149:
	v_and_b32_e32 v6, 0xff00, v17
	v_dual_mov_b32 v8, 0 :: v_dual_and_b32 v7, 0xff, v17
	s_add_u32 s2, s24, 0x200
	s_addc_u32 s3, s25, 0
	s_delay_alu instid0(VALU_DEP_1)
	v_or_b32_e32 v6, v6, v7
	v_dual_mov_b32 v7, 2 :: v_dual_mov_b32 v28, s3
	v_mov_b32_e32 v27, s2
	;;#ASMSTART
	global_store_dwordx4 v[27:28], v[5:8] off	
s_waitcnt vmcnt(0)
	;;#ASMEND
.LBB668_150:
	s_or_b32 exec_lo, exec_lo, s0
	v_mov_b32_e32 v7, 0
.LBB668_151:
	v_mov_b32_e32 v27, 0
	s_and_b32 s0, s16, exec_lo
	v_mov_b32_e32 v28, 0
	s_cselect_b32 s1, 0, s43
	s_cselect_b32 s0, 0, s42
	s_waitcnt lgkmcnt(0)
	s_cmp_eq_u64 s[0:1], 0
	s_barrier
	buffer_gl0_inv
	s_cbranch_scc1 .LBB668_153
; %bb.152:
	v_mov_b32_e32 v6, 0
	global_load_b64 v[27:28], v6, s[0:1]
.LBB668_153:
	v_cmp_eq_u32_e32 vcc_lo, 0, v25
	s_waitcnt vmcnt(0)
	v_lshlrev_b64 v[59:60], 1, v[27:28]
	v_cmp_ne_u32_e64 s14, 0, v25
	v_cmp_ne_u32_e64 s13, 0, v26
	;; [unrolled: 1-line block ×3, first 2 shown]
	v_cndmask_b32_e64 v6, 1, 2, vcc_lo
	v_cmp_eq_u32_e32 vcc_lo, 0, v26
	v_cmp_ne_u32_e64 s11, 0, v24
	v_cmp_ne_u32_e64 s10, 0, v21
	;; [unrolled: 1-line block ×4, first 2 shown]
	v_cndmask_b32_e64 v8, 1, 2, vcc_lo
	v_cmp_eq_u32_e32 vcc_lo, 0, v23
	v_cmp_ne_u32_e64 s5, 0, v20
	v_cmp_ne_u32_e64 s8, 0, v15
	;; [unrolled: 1-line block ×3, first 2 shown]
	v_and_b32_e32 v6, v8, v6
	v_cndmask_b32_e64 v9, 1, 2, vcc_lo
	v_cmp_eq_u32_e32 vcc_lo, 0, v24
	v_cmp_ne_u32_e64 s4, 0, v13
	v_cmp_ne_u32_e64 s3, 0, v14
	;; [unrolled: 1-line block ×3, first 2 shown]
	v_and_b32_e32 v6, v6, v9
	v_cndmask_b32_e64 v8, 1, 2, vcc_lo
	v_cmp_eq_u32_e32 vcc_lo, 0, v21
	v_cmp_ne_u32_e64 s1, 0, v18
	v_cmp_ne_u32_e64 s0, 0, v61
	s_mov_b32 s16, -1
	v_and_b32_e32 v6, v6, v8
	v_cndmask_b32_e64 v9, 1, 2, vcc_lo
	v_cmp_eq_u32_e32 vcc_lo, 0, v22
	s_delay_alu instid0(VALU_DEP_2) | instskip(SKIP_2) | instid1(VALU_DEP_2)
	v_and_b32_e32 v6, v6, v9
	v_cndmask_b32_e64 v8, 1, 2, vcc_lo
	v_cmp_eq_u32_e32 vcc_lo, 0, v19
	v_and_b32_e32 v6, v6, v8
	v_cndmask_b32_e64 v9, 1, 2, vcc_lo
	v_cmp_eq_u32_e32 vcc_lo, 0, v20
	s_delay_alu instid0(VALU_DEP_2) | instskip(SKIP_2) | instid1(VALU_DEP_2)
	v_and_b32_e32 v6, v6, v9
	v_cndmask_b32_e64 v64, 1, 2, vcc_lo
	v_cmp_eq_u32_e32 vcc_lo, 0, v15
	;; [unrolled: 7-line block ×4, first 2 shown]
	v_and_b32_e32 v6, v6, v64
	v_cndmask_b32_e64 v65, 1, 2, vcc_lo
	v_mov_b32_e32 v8, 0
	v_cmp_eq_u32_e32 vcc_lo, 0, v18
	s_delay_alu instid0(VALU_DEP_3) | instskip(NEXT) | instid1(VALU_DEP_3)
	v_and_b32_e32 v65, v6, v65
	v_lshlrev_b64 v[8:9], 1, v[7:8]
	v_cndmask_b32_e64 v66, 1, 2, vcc_lo
	v_add_co_u32 v64, vcc_lo, s22, v59
	v_add_co_ci_u32_e32 v67, vcc_lo, s23, v60, vcc_lo
	s_delay_alu instid0(VALU_DEP_3) | instskip(NEXT) | instid1(VALU_DEP_3)
	v_and_b32_e32 v65, v65, v66
	v_add_co_u32 v6, vcc_lo, v64, v8
	s_delay_alu instid0(VALU_DEP_3) | instskip(SKIP_3) | instid1(VALU_DEP_2)
	v_add_co_ci_u32_e32 v64, vcc_lo, v67, v9, vcc_lo
	v_cmp_eq_u32_e32 vcc_lo, 0, v61
	v_cndmask_b32_e64 v66, 1, 2, vcc_lo
	v_cmp_gt_u32_e32 vcc_lo, 0x100, v5
	v_and_b32_e32 v65, v65, v66
	s_delay_alu instid0(VALU_DEP_1)
	v_cmp_gt_i16_e64 s15, 2, v65
	s_cbranch_vccz .LBB668_160
; %bb.154:
	s_delay_alu instid0(VALU_DEP_1)
	s_and_saveexec_b32 s16, s15
	s_cbranch_execz .LBB668_159
; %bb.155:
	s_mov_b32 s17, 0
	s_mov_b32 s15, exec_lo
	v_cmpx_ne_u16_e32 1, v65
	s_xor_b32 s15, exec_lo, s15
	s_cbranch_execnz .LBB668_249
; %bb.156:
	s_and_not1_saveexec_b32 s15, s15
	s_cbranch_execnz .LBB668_265
.LBB668_157:
	s_or_b32 exec_lo, exec_lo, s15
	s_delay_alu instid0(SALU_CYCLE_1)
	s_and_b32 exec_lo, exec_lo, s17
	s_cbranch_execz .LBB668_159
.LBB668_158:
	v_sub_nc_u32_e32 v66, v29, v7
	v_mov_b32_e32 v67, 0
	s_delay_alu instid0(VALU_DEP_1) | instskip(NEXT) | instid1(VALU_DEP_1)
	v_lshlrev_b64 v[66:67], 1, v[66:67]
	v_add_co_u32 v66, vcc_lo, v6, v66
	s_delay_alu instid0(VALU_DEP_2)
	v_add_co_ci_u32_e32 v67, vcc_lo, v64, v67, vcc_lo
	global_store_d16_hi_b16 v[66:67], v12, off
.LBB668_159:
	s_or_b32 exec_lo, exec_lo, s16
	s_mov_b32 s16, 0
.LBB668_160:
	s_delay_alu instid0(SALU_CYCLE_1)
	s_and_b32 vcc_lo, exec_lo, s16
	s_cbranch_vccz .LBB668_182
; %bb.161:
	s_mov_b32 s15, exec_lo
	v_cmpx_gt_i16_e32 2, v65
	s_cbranch_execz .LBB668_166
; %bb.162:
	s_mov_b32 s17, 0
	s_mov_b32 s16, exec_lo
	v_cmpx_ne_u16_e32 1, v65
	s_xor_b32 s16, exec_lo, s16
	s_cbranch_execnz .LBB668_266
; %bb.163:
	s_and_not1_saveexec_b32 s0, s16
	s_cbranch_execnz .LBB668_282
.LBB668_164:
	s_or_b32 exec_lo, exec_lo, s0
	s_delay_alu instid0(SALU_CYCLE_1)
	s_and_b32 exec_lo, exec_lo, s17
	s_cbranch_execz .LBB668_166
.LBB668_165:
	v_sub_nc_u32_e32 v1, v29, v7
	s_delay_alu instid0(VALU_DEP_1)
	v_lshlrev_b32_e32 v1, 1, v1
	ds_store_b16_d16_hi v1, v12
.LBB668_166:
	s_or_b32 exec_lo, exec_lo, s15
	s_delay_alu instid0(SALU_CYCLE_1)
	s_mov_b32 s1, exec_lo
	s_waitcnt lgkmcnt(0)
	s_waitcnt_vscnt null, 0x0
	s_barrier
	buffer_gl0_inv
	v_cmpx_lt_u32_e64 v0, v5
	s_cbranch_execz .LBB668_181
; %bb.167:
	v_xad_u32 v2, v0, -1, v5
	v_mov_b32_e32 v1, v0
	s_mov_b32 s0, -1
	s_mov_b32 s3, exec_lo
	s_delay_alu instid0(VALU_DEP_2)
	v_cmp_gt_u32_e64 s2, 0x1900, v2
	v_cmpx_lt_u32_e32 0x18ff, v2
	s_cbranch_execz .LBB668_178
; %bb.168:
	v_sub_nc_u32_e32 v1, v0, v5
	s_delay_alu instid0(VALU_DEP_1) | instskip(NEXT) | instid1(VALU_DEP_1)
	v_or_b32_e32 v1, 0xff, v1
	v_cmp_ge_u32_e32 vcc_lo, v1, v0
	v_mov_b32_e32 v1, v0
	s_and_saveexec_b32 s4, vcc_lo
	s_cbranch_execz .LBB668_177
; %bb.169:
	v_lshrrev_b32_e32 v4, 8, v2
	v_or_b32_e32 v1, 0x100, v0
	v_mov_b32_e32 v66, 0
	s_delay_alu instid0(VALU_DEP_3) | instskip(NEXT) | instid1(VALU_DEP_1)
	v_add_nc_u32_e32 v2, -1, v4
	v_lshrrev_b32_e32 v3, 1, v2
	v_cmp_lt_u32_e32 vcc_lo, 13, v2
	s_delay_alu instid0(VALU_DEP_2)
	v_dual_mov_b32 v3, v1 :: v_dual_add_nc_u32 v12, 1, v3
	v_mov_b32_e32 v2, v0
	s_and_saveexec_b32 s0, vcc_lo
	s_cbranch_execz .LBB668_173
; %bb.170:
	s_delay_alu instid0(VALU_DEP_2)
	v_dual_mov_b32 v3, v1 :: v_dual_and_b32 v62, -8, v12
	v_mov_b32_e32 v11, 0
	v_dual_mov_b32 v2, v0 :: v_dual_lshlrev_b32 v65, 1, v0
	s_mov_b32 s5, 0
	s_mov_b32 s6, 0
.LBB668_171:                            ; =>This Inner Loop Header: Depth=1
	s_delay_alu instid0(VALU_DEP_1) | instskip(SKIP_2) | instid1(VALU_DEP_3)
	v_dual_mov_b32 v10, v2 :: v_dual_add_nc_u32 v67, 0x200, v3
	v_add_nc_u32_e32 v62, -8, v62
	v_dual_mov_b32 v68, v11 :: v_dual_add_nc_u32 v69, 0x400, v3
	v_lshlrev_b64 v[81:82], 1, v[10:11]
	v_dual_mov_b32 v70, v11 :: v_dual_add_nc_u32 v71, 0x600, v3
	s_delay_alu instid0(VALU_DEP_4) | instskip(NEXT) | instid1(VALU_DEP_4)
	v_cmp_eq_u32_e32 vcc_lo, 0, v62
	v_lshlrev_b64 v[67:68], 1, v[67:68]
	v_dual_mov_b32 v72, v11 :: v_dual_add_nc_u32 v73, 0x800, v3
	s_add_i32 s6, s6, 16
	v_lshlrev_b64 v[69:70], 1, v[69:70]
	s_or_b32 s5, vcc_lo, s5
	v_add_co_u32 v81, vcc_lo, v6, v81
	v_dual_mov_b32 v74, v11 :: v_dual_add_nc_u32 v75, 0xa00, v3
	v_add_co_ci_u32_e32 v82, vcc_lo, v64, v82, vcc_lo
	v_lshlrev_b64 v[71:72], 1, v[71:72]
	v_add_co_u32 v67, vcc_lo, v6, v67
	v_dual_mov_b32 v76, v11 :: v_dual_add_nc_u32 v77, 0xc00, v3
	v_add_co_ci_u32_e32 v68, vcc_lo, v64, v68, vcc_lo
	v_lshlrev_b64 v[73:74], 1, v[73:74]
	v_add_co_u32 v69, vcc_lo, v6, v69
	v_dual_mov_b32 v78, v11 :: v_dual_add_nc_u32 v79, 0xe00, v3
	v_add_co_ci_u32_e32 v70, vcc_lo, v64, v70, vcc_lo
	v_lshlrev_b64 v[75:76], 1, v[75:76]
	v_add_co_u32 v71, vcc_lo, v6, v71
	v_mov_b32_e32 v80, v11
	v_mov_b32_e32 v10, v3
	v_add_co_ci_u32_e32 v72, vcc_lo, v64, v72, vcc_lo
	v_lshlrev_b64 v[77:78], 1, v[77:78]
	v_add_co_u32 v73, vcc_lo, v6, v73
	ds_load_u16 v1, v65
	ds_load_u16 v87, v65 offset:512
	ds_load_u16 v88, v65 offset:1024
	;; [unrolled: 1-line block ×7, first 2 shown]
	v_add_co_ci_u32_e32 v74, vcc_lo, v64, v74, vcc_lo
	ds_load_u16 v94, v65 offset:4096
	ds_load_u16 v95, v65 offset:4608
	;; [unrolled: 1-line block ×8, first 2 shown]
	v_add_nc_u32_e32 v65, 0x2000, v65
	v_lshlrev_b64 v[79:80], 1, v[79:80]
	v_add_co_u32 v75, vcc_lo, v6, v75
	v_lshlrev_b64 v[83:84], 1, v[10:11]
	v_add_nc_u32_e32 v10, 0x200, v2
	v_add_co_ci_u32_e32 v76, vcc_lo, v64, v76, vcc_lo
	v_add_co_u32 v77, vcc_lo, v6, v77
	v_add_co_ci_u32_e32 v78, vcc_lo, v64, v78, vcc_lo
	v_add_co_u32 v79, vcc_lo, v6, v79
	v_lshlrev_b64 v[85:86], 1, v[10:11]
	v_add_nc_u32_e32 v10, 0x400, v2
	v_add_co_ci_u32_e32 v80, vcc_lo, v64, v80, vcc_lo
	v_add_co_u32 v83, vcc_lo, v6, v83
	v_add_co_ci_u32_e32 v84, vcc_lo, v64, v84, vcc_lo
	s_waitcnt lgkmcnt(15)
	global_store_b16 v[81:82], v1, off
	v_lshlrev_b64 v[81:82], 1, v[10:11]
	v_add_nc_u32_e32 v10, 0x600, v2
	v_add_co_u32 v85, vcc_lo, v6, v85
	v_add_co_ci_u32_e32 v86, vcc_lo, v64, v86, vcc_lo
	s_waitcnt lgkmcnt(14)
	global_store_b16 v[83:84], v87, off
	v_lshlrev_b64 v[83:84], 1, v[10:11]
	v_add_nc_u32_e32 v10, 0x800, v2
	s_waitcnt lgkmcnt(13)
	global_store_b16 v[85:86], v88, off
	s_waitcnt lgkmcnt(12)
	global_store_b16 v[67:68], v89, off
	v_add_co_u32 v67, vcc_lo, v6, v81
	v_add_co_ci_u32_e32 v68, vcc_lo, v64, v82, vcc_lo
	v_lshlrev_b64 v[81:82], 1, v[10:11]
	v_add_nc_u32_e32 v10, 0xa00, v2
	v_add_co_u32 v83, vcc_lo, v6, v83
	v_add_co_ci_u32_e32 v84, vcc_lo, v64, v84, vcc_lo
	s_waitcnt lgkmcnt(11)
	global_store_b16 v[67:68], v90, off
	s_waitcnt lgkmcnt(10)
	global_store_b16 v[69:70], v91, off
	v_lshlrev_b64 v[67:68], 1, v[10:11]
	v_add_nc_u32_e32 v10, 0xc00, v2
	v_add_co_u32 v69, vcc_lo, v6, v81
	s_waitcnt lgkmcnt(9)
	global_store_b16 v[83:84], v92, off
	s_waitcnt lgkmcnt(8)
	global_store_b16 v[71:72], v93, off
	v_add_co_ci_u32_e32 v70, vcc_lo, v64, v82, vcc_lo
	v_lshlrev_b64 v[71:72], 1, v[10:11]
	v_add_nc_u32_e32 v10, 0xe00, v2
	v_add_co_u32 v67, vcc_lo, v6, v67
	v_add_co_ci_u32_e32 v68, vcc_lo, v64, v68, vcc_lo
	s_waitcnt lgkmcnt(7)
	global_store_b16 v[69:70], v94, off
	s_waitcnt lgkmcnt(6)
	global_store_b16 v[73:74], v95, off
	v_lshlrev_b64 v[69:70], 1, v[10:11]
	v_dual_mov_b32 v66, s6 :: v_dual_add_nc_u32 v3, 0x1000, v3
	s_waitcnt lgkmcnt(5)
	global_store_b16 v[67:68], v96, off
	v_add_co_u32 v67, vcc_lo, v6, v71
	v_add_nc_u32_e32 v2, 0x1000, v2
	v_add_co_ci_u32_e32 v68, vcc_lo, v64, v72, vcc_lo
	v_add_co_u32 v69, vcc_lo, v6, v69
	v_add_co_ci_u32_e32 v70, vcc_lo, v64, v70, vcc_lo
	s_waitcnt lgkmcnt(4)
	global_store_b16 v[75:76], v97, off
	s_waitcnt lgkmcnt(3)
	global_store_b16 v[67:68], v98, off
	;; [unrolled: 2-line block ×5, first 2 shown]
	s_and_not1_b32 exec_lo, exec_lo, s5
	s_cbranch_execnz .LBB668_171
; %bb.172:
	s_or_b32 exec_lo, exec_lo, s5
.LBB668_173:
	s_delay_alu instid0(SALU_CYCLE_1) | instskip(SKIP_3) | instid1(VALU_DEP_1)
	s_or_b32 exec_lo, exec_lo, s0
	v_and_b32_e32 v1, 7, v12
	s_mov_b32 s6, 0
	s_mov_b32 s5, exec_lo
	v_cmpx_ne_u32_e32 0, v1
	s_cbranch_execz .LBB668_176
; %bb.174:
	v_dual_mov_b32 v11, 0 :: v_dual_lshlrev_b32 v10, 1, v0
	s_delay_alu instid0(VALU_DEP_1)
	v_lshl_or_b32 v12, v66, 9, v10
	s_set_inst_prefetch_distance 0x1
	.p2align	6
.LBB668_175:                            ; =>This Inner Loop Header: Depth=1
	v_dual_mov_b32 v10, v2 :: v_dual_add_nc_u32 v1, -1, v1
	ds_load_u16 v62, v12
	ds_load_u16 v69, v12 offset:512
	v_add_nc_u32_e32 v2, 0x200, v2
	v_add_nc_u32_e32 v12, 0x400, v12
	v_lshlrev_b64 v[65:66], 1, v[10:11]
	v_dual_mov_b32 v10, v3 :: v_dual_add_nc_u32 v3, 0x200, v3
	v_cmp_eq_u32_e32 vcc_lo, 0, v1
	s_delay_alu instid0(VALU_DEP_2) | instskip(NEXT) | instid1(VALU_DEP_4)
	v_lshlrev_b64 v[67:68], 1, v[10:11]
	v_add_co_u32 v65, s0, v6, v65
	s_delay_alu instid0(VALU_DEP_1) | instskip(SKIP_1) | instid1(VALU_DEP_3)
	v_add_co_ci_u32_e64 v66, s0, v64, v66, s0
	s_or_b32 s6, vcc_lo, s6
	v_add_co_u32 v67, s0, v6, v67
	s_delay_alu instid0(VALU_DEP_1)
	v_add_co_ci_u32_e64 v68, s0, v64, v68, s0
	s_waitcnt lgkmcnt(1)
	global_store_b16 v[65:66], v62, off
	s_waitcnt lgkmcnt(0)
	global_store_b16 v[67:68], v69, off
	s_and_not1_b32 exec_lo, exec_lo, s6
	s_cbranch_execnz .LBB668_175
.LBB668_176:
	s_set_inst_prefetch_distance 0x2
	s_or_b32 exec_lo, exec_lo, s5
	v_add_nc_u32_e32 v1, 1, v4
	s_delay_alu instid0(VALU_DEP_1) | instskip(NEXT) | instid1(VALU_DEP_1)
	v_and_b32_e32 v2, 0x1fffffe, v1
	v_cmp_ne_u32_e32 vcc_lo, v1, v2
	v_lshl_or_b32 v1, v2, 8, v0
	s_or_not1_b32 s0, vcc_lo, exec_lo
.LBB668_177:
	s_or_b32 exec_lo, exec_lo, s4
	s_delay_alu instid0(SALU_CYCLE_1) | instskip(SKIP_1) | instid1(SALU_CYCLE_1)
	s_and_not1_b32 s2, s2, exec_lo
	s_and_b32 s0, s0, exec_lo
	s_or_b32 s2, s2, s0
.LBB668_178:
	s_or_b32 exec_lo, exec_lo, s3
	s_delay_alu instid0(VALU_DEP_2) | instid1(SALU_CYCLE_1)
	s_and_b32 exec_lo, exec_lo, s2
	s_cbranch_execz .LBB668_181
; %bb.179:
	v_dual_mov_b32 v2, 0 :: v_dual_lshlrev_b32 v3, 1, v1
	s_mov_b32 s2, 0
	.p2align	6
.LBB668_180:                            ; =>This Inner Loop Header: Depth=1
	ds_load_u16 v4, v3
	v_lshlrev_b64 v[10:11], 1, v[1:2]
	v_add_nc_u32_e32 v1, 0x100, v1
	v_add_nc_u32_e32 v3, 0x200, v3
	s_delay_alu instid0(VALU_DEP_2) | instskip(NEXT) | instid1(VALU_DEP_4)
	v_cmp_ge_u32_e32 vcc_lo, v1, v5
	v_add_co_u32 v10, s0, v6, v10
	s_delay_alu instid0(VALU_DEP_1)
	v_add_co_ci_u32_e64 v11, s0, v64, v11, s0
	s_or_b32 s2, vcc_lo, s2
	s_waitcnt lgkmcnt(0)
	global_store_b16 v[10:11], v4, off
	s_and_not1_b32 exec_lo, exec_lo, s2
	s_cbranch_execnz .LBB668_180
.LBB668_181:
	s_or_b32 exec_lo, exec_lo, s1
.LBB668_182:
	s_cmpk_lg_i32 s19, 0xf00
	v_cmp_eq_u32_e32 vcc_lo, 0, v0
	s_cselect_b32 s0, -1, 0
	v_cndmask_b32_e64 v2, 0, 1, s20
	s_and_b32 s0, s18, s0
	v_mad_i32_i24 v6, v0, -15, s19
	v_cndmask_b32_e64 v1, 0, 1, s0
	s_mul_hi_u32 s0, s19, 0x88888889
	s_and_b32 s1, vcc_lo, s20
	s_lshr_b32 s0, s0, 3
	v_sub_nc_u32_e32 v3, v5, v2
	v_cndmask_b32_e64 v10, v25, 0, s1
	v_cmp_eq_u32_e32 vcc_lo, s0, v0
	v_cmp_ne_u32_e64 s0, 0, v6
	s_mov_b32 s16, -1
	s_waitcnt_vscnt null, 0x0
	s_barrier
	s_and_b32 vcc_lo, s18, vcc_lo
	v_add_nc_u32_e32 v4, v3, v1
	v_cndmask_b32_e64 v3, 1, v10, s0
	v_cmp_ne_u32_e64 s0, 1, v6
	buffer_gl0_inv
	v_cndmask_b32_e64 v11, 1, v26, s0
	v_cmp_ne_u32_e64 s0, 14, v6
	s_delay_alu instid0(VALU_DEP_2) | instskip(NEXT) | instid1(VALU_DEP_2)
	v_cndmask_b32_e32 v26, v26, v11, vcc_lo
	v_cndmask_b32_e64 v12, 1, v61, s0
	v_cmp_ne_u32_e64 s0, 2, v6
	s_delay_alu instid0(VALU_DEP_2) | instskip(NEXT) | instid1(VALU_DEP_2)
	v_cndmask_b32_e32 v61, v61, v12, vcc_lo
	v_cndmask_b32_e64 v25, 1, v23, s0
	v_cmp_ne_u32_e64 s0, 3, v6
	s_delay_alu instid0(VALU_DEP_2) | instskip(NEXT) | instid1(VALU_DEP_2)
	v_dual_cndmask_b32 v64, v10, v3 :: v_dual_cndmask_b32 v23, v23, v25
	v_cndmask_b32_e64 v62, 1, v24, s0
	v_cmp_ne_u32_e64 s0, 4, v6
	s_delay_alu instid0(VALU_DEP_3) | instskip(NEXT) | instid1(VALU_DEP_4)
	v_cmp_ne_u32_e64 s14, 0, v64
	v_cmp_ne_u32_e64 s12, 0, v23
	s_delay_alu instid0(VALU_DEP_3) | instskip(SKIP_1) | instid1(VALU_DEP_2)
	v_cndmask_b32_e64 v3, 1, v21, s0
	v_cmp_ne_u32_e64 s0, 5, v6
	v_dual_cndmask_b32 v24, v24, v62 :: v_dual_cndmask_b32 v21, v21, v3
	s_delay_alu instid0(VALU_DEP_2) | instskip(SKIP_1) | instid1(VALU_DEP_3)
	v_cndmask_b32_e64 v10, 1, v22, s0
	v_cmp_eq_u32_e64 s0, 0, v64
	v_cmp_ne_u32_e64 s11, 0, v24
	s_delay_alu instid0(VALU_DEP_4) | instskip(NEXT) | instid1(VALU_DEP_4)
	v_cmp_ne_u32_e64 s10, 0, v21
	v_cndmask_b32_e32 v22, v22, v10, vcc_lo
	s_delay_alu instid0(VALU_DEP_4) | instskip(SKIP_1) | instid1(VALU_DEP_3)
	v_cndmask_b32_e64 v11, 1, 2, s0
	v_cmp_eq_u32_e64 s0, 0, v26
	v_cmp_ne_u32_e64 s9, 0, v22
	s_delay_alu instid0(VALU_DEP_2) | instskip(SKIP_1) | instid1(VALU_DEP_2)
	v_cndmask_b32_e64 v12, 1, 2, s0
	v_cmp_ne_u32_e64 s0, 6, v6
	v_and_b32_e32 v11, v12, v11
	s_delay_alu instid0(VALU_DEP_2) | instskip(SKIP_1) | instid1(VALU_DEP_2)
	v_cndmask_b32_e64 v25, 1, v19, s0
	v_cmp_eq_u32_e64 s0, 0, v23
	v_cndmask_b32_e32 v19, v19, v25, vcc_lo
	s_delay_alu instid0(VALU_DEP_2) | instskip(SKIP_1) | instid1(VALU_DEP_3)
	v_cndmask_b32_e64 v12, 1, 2, s0
	v_cmp_ne_u32_e64 s0, 7, v6
	v_cmp_ne_u32_e64 s8, 0, v19
	s_delay_alu instid0(VALU_DEP_3) | instskip(NEXT) | instid1(VALU_DEP_3)
	v_and_b32_e32 v11, v11, v12
	v_cndmask_b32_e64 v62, 1, v20, s0
	v_cmp_ne_u32_e64 s0, 8, v6
	v_cmp_ne_u32_e64 s13, 0, v26
	s_delay_alu instid0(VALU_DEP_2) | instskip(SKIP_1) | instid1(VALU_DEP_2)
	v_cndmask_b32_e64 v65, 1, v15, s0
	v_cmp_eq_u32_e64 s0, 0, v24
	v_dual_cndmask_b32 v20, v20, v62 :: v_dual_cndmask_b32 v15, v15, v65
	s_delay_alu instid0(VALU_DEP_2) | instskip(SKIP_1) | instid1(VALU_DEP_3)
	v_cndmask_b32_e64 v12, 1, 2, s0
	v_cmp_ne_u32_e64 s0, 9, v6
	v_cmp_ne_u32_e64 s7, 0, v20
	s_delay_alu instid0(VALU_DEP_4) | instskip(NEXT) | instid1(VALU_DEP_4)
	v_cmp_ne_u32_e64 s6, 0, v15
	v_and_b32_e32 v10, v11, v12
	s_delay_alu instid0(VALU_DEP_4) | instskip(SKIP_1) | instid1(VALU_DEP_2)
	v_cndmask_b32_e64 v3, 1, v16, s0
	v_cmp_eq_u32_e64 s0, 0, v21
	v_cndmask_b32_e32 v16, v16, v3, vcc_lo
	s_delay_alu instid0(VALU_DEP_2) | instskip(SKIP_1) | instid1(VALU_DEP_2)
	v_cndmask_b32_e64 v11, 1, 2, s0
	v_cmp_ne_u32_e64 s0, 10, v6
	v_and_b32_e32 v10, v10, v11
	s_delay_alu instid0(VALU_DEP_2) | instskip(SKIP_1) | instid1(VALU_DEP_2)
	v_cndmask_b32_e64 v12, 1, v13, s0
	v_cmp_ne_u32_e64 s0, 12, v6
	v_cndmask_b32_e32 v13, v13, v12, vcc_lo
	s_delay_alu instid0(VALU_DEP_2) | instskip(SKIP_1) | instid1(VALU_DEP_3)
	v_cndmask_b32_e64 v66, 1, v63, s0
	v_cmp_eq_u32_e64 s0, 0, v22
	v_cmp_ne_u32_e64 s4, 0, v13
	s_delay_alu instid0(VALU_DEP_2) | instskip(SKIP_1) | instid1(VALU_DEP_2)
	v_cndmask_b32_e64 v11, 1, 2, s0
	v_cmp_ne_u32_e64 s0, 13, v6
	v_and_b32_e32 v10, v10, v11
	s_delay_alu instid0(VALU_DEP_2) | instskip(SKIP_1) | instid1(VALU_DEP_2)
	v_cndmask_b32_e64 v25, 1, v18, s0
	v_cmp_eq_u32_e64 s0, 0, v19
	v_cndmask_b32_e32 v18, v18, v25, vcc_lo
	s_delay_alu instid0(VALU_DEP_2) | instskip(SKIP_2) | instid1(VALU_DEP_4)
	v_cndmask_b32_e64 v11, 1, 2, s0
	v_cmp_ne_u32_e64 s0, 11, v6
	v_cndmask_b32_e32 v25, v63, v66, vcc_lo
	v_cmp_ne_u32_e64 s1, 0, v18
	s_delay_alu instid0(VALU_DEP_4) | instskip(NEXT) | instid1(VALU_DEP_4)
	v_and_b32_e32 v10, v10, v11
	v_cndmask_b32_e64 v6, 1, v14, s0
	v_cmp_eq_u32_e64 s0, 0, v20
	v_cmp_ne_u32_e64 s2, 0, v25
	s_delay_alu instid0(VALU_DEP_3) | instskip(NEXT) | instid1(VALU_DEP_3)
	v_cndmask_b32_e32 v14, v14, v6, vcc_lo
	v_cndmask_b32_e64 v11, 1, 2, s0
	v_cmp_eq_u32_e32 vcc_lo, 0, v15
	v_cmp_ne_u32_e64 s0, 0, v61
	s_delay_alu instid0(VALU_DEP_4) | instskip(NEXT) | instid1(VALU_DEP_4)
	v_cmp_ne_u32_e64 s3, 0, v14
	v_and_b32_e32 v3, v10, v11
	v_cndmask_b32_e64 v6, 1, 2, vcc_lo
	v_add_co_u32 v10, vcc_lo, s36, v59
	v_add_co_ci_u32_e32 v11, vcc_lo, s37, v60, vcc_lo
	s_delay_alu instid0(VALU_DEP_3)
	v_and_b32_e32 v3, v3, v6
	v_cmp_eq_u32_e32 vcc_lo, 0, v16
	v_cmp_ne_u32_e64 s5, 0, v16
	v_cndmask_b32_e64 v6, 1, 2, vcc_lo
	v_add_co_u32 v10, vcc_lo, v10, v8
	v_add_co_ci_u32_e32 v11, vcc_lo, v11, v9, vcc_lo
	v_lshlrev_b32_e32 v8, 1, v2
	v_cmp_eq_u32_e32 vcc_lo, 0, v13
	v_and_b32_e32 v3, v3, v6
	v_cndmask_b32_e64 v6, 1, 2, vcc_lo
	s_delay_alu instid0(VALU_DEP_4) | instskip(SKIP_2) | instid1(VALU_DEP_4)
	v_add_co_u32 v8, vcc_lo, v8, v10
	v_add_co_ci_u32_e32 v9, vcc_lo, 0, v11, vcc_lo
	v_cmp_eq_u32_e32 vcc_lo, 0, v14
	v_and_b32_e32 v59, v3, v6
	v_add_nc_u32_e32 v3, v7, v2
	v_cndmask_b32_e64 v60, 1, 2, vcc_lo
	v_add_co_u32 v6, vcc_lo, v8, -2
	v_add_co_ci_u32_e32 v12, vcc_lo, -1, v9, vcc_lo
	v_cmp_eq_u32_e32 vcc_lo, 0, v25
	s_delay_alu instid0(VALU_DEP_4) | instskip(SKIP_2) | instid1(VALU_DEP_2)
	v_and_b32_e32 v8, v59, v60
	v_cndmask_b32_e64 v9, 1, 2, vcc_lo
	v_cmp_eq_u32_e32 vcc_lo, 0, v18
	v_and_b32_e32 v8, v8, v9
	v_cndmask_b32_e64 v9, 1, 2, vcc_lo
	v_cmp_eq_u32_e32 vcc_lo, 0, v61
	s_delay_alu instid0(VALU_DEP_2) | instskip(SKIP_2) | instid1(VALU_DEP_2)
	v_and_b32_e32 v8, v8, v9
	v_cndmask_b32_e64 v9, 1, 2, vcc_lo
	v_cmp_gt_u32_e32 vcc_lo, 0x100, v4
	v_and_b32_e32 v8, v8, v9
	s_delay_alu instid0(VALU_DEP_1)
	v_cmp_gt_i16_e64 s15, 2, v8
	s_cbranch_vccnz .LBB668_186
; %bb.183:
	s_and_b32 vcc_lo, exec_lo, s16
	s_cbranch_vccnz .LBB668_192
.LBB668_184:
	v_cmp_eq_u32_e32 vcc_lo, 0xff, v0
	s_and_b32 s0, vcc_lo, s18
	s_delay_alu instid0(SALU_CYCLE_1)
	s_and_saveexec_b32 s1, s0
	s_cbranch_execnz .LBB668_213
.LBB668_185:
	s_nop 0
	s_sendmsg sendmsg(MSG_DEALLOC_VGPRS)
	s_endpgm
.LBB668_186:
	s_delay_alu instid0(VALU_DEP_1)
	s_and_saveexec_b32 s16, s15
	s_cbranch_execz .LBB668_191
; %bb.187:
	s_mov_b32 s17, 0
	s_mov_b32 s15, exec_lo
	v_cmpx_ne_u16_e32 1, v8
	s_xor_b32 s15, exec_lo, s15
	s_cbranch_execnz .LBB668_283
; %bb.188:
	s_and_not1_saveexec_b32 s15, s15
	s_cbranch_execnz .LBB668_299
.LBB668_189:
	s_or_b32 exec_lo, exec_lo, s15
	s_delay_alu instid0(SALU_CYCLE_1)
	s_and_b32 exec_lo, exec_lo, s17
	s_cbranch_execz .LBB668_191
.LBB668_190:
	v_sub_nc_u32_e32 v13, v29, v3
	v_mov_b32_e32 v14, 0
	s_delay_alu instid0(VALU_DEP_1) | instskip(NEXT) | instid1(VALU_DEP_1)
	v_lshlrev_b64 v[13:14], 1, v[13:14]
	v_add_co_u32 v13, vcc_lo, v6, v13
	s_delay_alu instid0(VALU_DEP_2)
	v_add_co_ci_u32_e32 v14, vcc_lo, v12, v14, vcc_lo
	global_store_b16 v[13:14], v30, off
.LBB668_191:
	s_or_b32 exec_lo, exec_lo, s16
	s_branch .LBB668_184
.LBB668_192:
	s_mov_b32 s15, exec_lo
	v_cmpx_gt_i16_e32 2, v8
	s_cbranch_execz .LBB668_197
; %bb.193:
	s_mov_b32 s17, 0
	s_mov_b32 s16, exec_lo
	v_cmpx_ne_u16_e32 1, v8
	s_xor_b32 s16, exec_lo, s16
	s_cbranch_execnz .LBB668_300
; %bb.194:
	s_and_not1_saveexec_b32 s0, s16
	s_cbranch_execnz .LBB668_316
.LBB668_195:
	s_or_b32 exec_lo, exec_lo, s0
	s_delay_alu instid0(SALU_CYCLE_1)
	s_and_b32 exec_lo, exec_lo, s17
	s_cbranch_execz .LBB668_197
.LBB668_196:
	v_sub_nc_u32_e32 v3, v29, v3
	s_delay_alu instid0(VALU_DEP_1)
	v_lshlrev_b32_e32 v3, 1, v3
	ds_store_b16 v3, v30
.LBB668_197:
	s_or_b32 exec_lo, exec_lo, s15
	s_delay_alu instid0(SALU_CYCLE_1)
	s_mov_b32 s1, exec_lo
	s_waitcnt lgkmcnt(0)
	s_waitcnt_vscnt null, 0x0
	s_barrier
	buffer_gl0_inv
	v_cmpx_lt_u32_e64 v0, v4
	s_cbranch_execz .LBB668_212
; %bb.198:
	v_add_nc_u32_e32 v8, v5, v1
	s_mov_b32 s0, -1
	s_mov_b32 s3, exec_lo
	s_delay_alu instid0(VALU_DEP_1) | instskip(NEXT) | instid1(VALU_DEP_1)
	v_xad_u32 v1, v0, -1, v8
	v_sub_nc_u32_e32 v3, v1, v2
	v_mov_b32_e32 v1, v0
	s_delay_alu instid0(VALU_DEP_2)
	v_cmp_gt_u32_e64 s2, 0x1b00, v3
	v_cmpx_lt_u32_e32 0x1aff, v3
	s_cbranch_execz .LBB668_209
; %bb.199:
	v_sub_nc_u32_e32 v1, v0, v8
	s_delay_alu instid0(VALU_DEP_1) | instskip(NEXT) | instid1(VALU_DEP_1)
	v_add_nc_u32_e32 v1, v1, v2
	v_or_b32_e32 v1, 0xff, v1
	s_delay_alu instid0(VALU_DEP_1)
	v_cmp_ge_u32_e32 vcc_lo, v1, v0
	v_mov_b32_e32 v1, v0
	s_and_saveexec_b32 s4, vcc_lo
	s_cbranch_execz .LBB668_208
; %bb.200:
	v_lshrrev_b32_e32 v13, 8, v3
	v_or_b32_e32 v1, 0x100, v0
	v_dual_mov_b32 v19, 0 :: v_dual_lshlrev_b32 v14, 1, v0
	s_delay_alu instid0(VALU_DEP_3) | instskip(NEXT) | instid1(VALU_DEP_1)
	v_add_nc_u32_e32 v2, -1, v13
	v_lshrrev_b32_e32 v3, 1, v2
	v_cmp_lt_u32_e32 vcc_lo, 13, v2
	s_delay_alu instid0(VALU_DEP_2)
	v_add_nc_u32_e32 v15, 1, v3
	v_dual_mov_b32 v3, v1 :: v_dual_mov_b32 v2, v0
	s_and_saveexec_b32 s0, vcc_lo
	s_cbranch_execz .LBB668_204
; %bb.201:
	v_dual_mov_b32 v18, v14 :: v_dual_mov_b32 v3, v1
	v_dual_mov_b32 v9, 0 :: v_dual_and_b32 v16, -8, v15
	v_mov_b32_e32 v2, v0
	s_mov_b32 s5, 0
	s_mov_b32 s6, 0
.LBB668_202:                            ; =>This Inner Loop Header: Depth=1
	s_delay_alu instid0(VALU_DEP_1) | instskip(SKIP_2) | instid1(VALU_DEP_3)
	v_dual_mov_b32 v8, v2 :: v_dual_mov_b32 v21, v9
	v_add_nc_u32_e32 v16, -8, v16
	v_dual_mov_b32 v23, v9 :: v_dual_add_nc_u32 v20, 0x200, v3
	v_lshlrev_b64 v[37:38], 1, v[8:9]
	v_dual_mov_b32 v25, v9 :: v_dual_add_nc_u32 v22, 0x400, v3
	s_delay_alu instid0(VALU_DEP_4) | instskip(NEXT) | instid1(VALU_DEP_4)
	v_cmp_eq_u32_e32 vcc_lo, 0, v16
	v_lshlrev_b64 v[20:21], 1, v[20:21]
	s_add_i32 s6, s6, 16
	s_delay_alu instid0(SALU_CYCLE_1)
	v_dual_mov_b32 v19, s6 :: v_dual_add_nc_u32 v24, 0x600, v3
	v_lshlrev_b64 v[22:23], 1, v[22:23]
	s_or_b32 s5, vcc_lo, s5
	v_add_co_u32 v37, vcc_lo, v6, v37
	v_dual_mov_b32 v30, v9 :: v_dual_add_nc_u32 v29, 0x800, v3
	v_add_co_ci_u32_e32 v38, vcc_lo, v12, v38, vcc_lo
	v_lshlrev_b64 v[24:25], 1, v[24:25]
	v_add_co_u32 v20, vcc_lo, v6, v20
	v_dual_mov_b32 v32, v9 :: v_dual_add_nc_u32 v31, 0xa00, v3
	v_add_co_ci_u32_e32 v21, vcc_lo, v12, v21, vcc_lo
	v_lshlrev_b64 v[29:30], 1, v[29:30]
	;; [unrolled: 4-line block ×3, first 2 shown]
	v_add_co_u32 v24, vcc_lo, v6, v24
	v_dual_mov_b32 v36, v9 :: v_dual_add_nc_u32 v35, 0xe00, v3
	v_dual_mov_b32 v8, v3 :: v_dual_add_nc_u32 v3, 0x1000, v3
	v_add_co_ci_u32_e32 v25, vcc_lo, v12, v25, vcc_lo
	v_lshlrev_b64 v[33:34], 1, v[33:34]
	v_add_co_u32 v29, vcc_lo, v6, v29
	ds_load_u16 v1, v18
	ds_load_u16 v26, v18 offset:512
	ds_load_u16 v43, v18 offset:1024
	;; [unrolled: 1-line block ×7, first 2 shown]
	v_add_co_ci_u32_e32 v30, vcc_lo, v12, v30, vcc_lo
	v_lshlrev_b64 v[35:36], 1, v[35:36]
	v_add_co_u32 v31, vcc_lo, v6, v31
	v_lshlrev_b64 v[39:40], 1, v[8:9]
	v_add_nc_u32_e32 v8, 0x200, v2
	v_add_co_ci_u32_e32 v32, vcc_lo, v12, v32, vcc_lo
	v_add_co_u32 v33, vcc_lo, v6, v33
	v_add_co_ci_u32_e32 v34, vcc_lo, v12, v34, vcc_lo
	v_add_co_u32 v35, vcc_lo, v6, v35
	v_lshlrev_b64 v[41:42], 1, v[8:9]
	v_add_nc_u32_e32 v8, 0x400, v2
	v_add_co_ci_u32_e32 v36, vcc_lo, v12, v36, vcc_lo
	v_add_co_u32 v39, vcc_lo, v6, v39
	ds_load_u16 v49, v18 offset:4096
	ds_load_u16 v50, v18 offset:4608
	;; [unrolled: 1-line block ×8, first 2 shown]
	v_add_co_ci_u32_e32 v40, vcc_lo, v12, v40, vcc_lo
	s_waitcnt lgkmcnt(15)
	global_store_b16 v[37:38], v1, off
	v_lshlrev_b64 v[37:38], 1, v[8:9]
	v_add_nc_u32_e32 v8, 0x600, v2
	v_add_co_u32 v41, vcc_lo, v6, v41
	v_add_co_ci_u32_e32 v42, vcc_lo, v12, v42, vcc_lo
	s_waitcnt lgkmcnt(14)
	global_store_b16 v[39:40], v26, off
	v_lshlrev_b64 v[39:40], 1, v[8:9]
	v_add_nc_u32_e32 v8, 0x800, v2
	s_waitcnt lgkmcnt(13)
	global_store_b16 v[41:42], v43, off
	s_waitcnt lgkmcnt(12)
	global_store_b16 v[20:21], v44, off
	v_add_co_u32 v20, vcc_lo, v6, v37
	v_add_co_ci_u32_e32 v21, vcc_lo, v12, v38, vcc_lo
	v_lshlrev_b64 v[37:38], 1, v[8:9]
	v_add_nc_u32_e32 v8, 0xa00, v2
	v_add_co_u32 v39, vcc_lo, v6, v39
	v_add_co_ci_u32_e32 v40, vcc_lo, v12, v40, vcc_lo
	s_waitcnt lgkmcnt(11)
	global_store_b16 v[20:21], v45, off
	s_waitcnt lgkmcnt(10)
	global_store_b16 v[22:23], v46, off
	v_lshlrev_b64 v[20:21], 1, v[8:9]
	v_add_nc_u32_e32 v8, 0xc00, v2
	v_add_co_u32 v22, vcc_lo, v6, v37
	s_waitcnt lgkmcnt(9)
	global_store_b16 v[39:40], v47, off
	s_waitcnt lgkmcnt(8)
	global_store_b16 v[24:25], v48, off
	v_add_co_ci_u32_e32 v23, vcc_lo, v12, v38, vcc_lo
	v_lshlrev_b64 v[24:25], 1, v[8:9]
	v_add_nc_u32_e32 v8, 0xe00, v2
	v_add_co_u32 v20, vcc_lo, v6, v20
	v_add_co_ci_u32_e32 v21, vcc_lo, v12, v21, vcc_lo
	s_waitcnt lgkmcnt(7)
	global_store_b16 v[22:23], v49, off
	s_waitcnt lgkmcnt(6)
	global_store_b16 v[29:30], v50, off
	v_lshlrev_b64 v[22:23], 1, v[8:9]
	v_add_nc_u32_e32 v18, 0x2000, v18
	s_waitcnt lgkmcnt(5)
	global_store_b16 v[20:21], v51, off
	v_add_co_u32 v20, vcc_lo, v6, v24
	v_add_nc_u32_e32 v2, 0x1000, v2
	v_add_co_ci_u32_e32 v21, vcc_lo, v12, v25, vcc_lo
	v_add_co_u32 v22, vcc_lo, v6, v22
	v_add_co_ci_u32_e32 v23, vcc_lo, v12, v23, vcc_lo
	s_waitcnt lgkmcnt(4)
	global_store_b16 v[31:32], v52, off
	s_waitcnt lgkmcnt(3)
	global_store_b16 v[20:21], v53, off
	;; [unrolled: 2-line block ×5, first 2 shown]
	s_and_not1_b32 exec_lo, exec_lo, s5
	s_cbranch_execnz .LBB668_202
; %bb.203:
	s_or_b32 exec_lo, exec_lo, s5
.LBB668_204:
	s_delay_alu instid0(SALU_CYCLE_1) | instskip(SKIP_3) | instid1(VALU_DEP_1)
	s_or_b32 exec_lo, exec_lo, s0
	v_and_b32_e32 v1, 7, v15
	s_mov_b32 s6, 0
	s_mov_b32 s5, exec_lo
	v_cmpx_ne_u32_e32 0, v1
	s_cbranch_execz .LBB668_207
; %bb.205:
	v_lshl_or_b32 v14, v19, 9, v14
	v_mov_b32_e32 v9, 0
	s_set_inst_prefetch_distance 0x1
	.p2align	6
.LBB668_206:                            ; =>This Inner Loop Header: Depth=1
	v_dual_mov_b32 v8, v2 :: v_dual_add_nc_u32 v1, -1, v1
	ds_load_u16 v20, v14
	ds_load_u16 v21, v14 offset:512
	v_add_nc_u32_e32 v2, 0x200, v2
	v_add_nc_u32_e32 v14, 0x400, v14
	v_lshlrev_b64 v[15:16], 1, v[8:9]
	v_dual_mov_b32 v8, v3 :: v_dual_add_nc_u32 v3, 0x200, v3
	v_cmp_eq_u32_e32 vcc_lo, 0, v1
	s_delay_alu instid0(VALU_DEP_2) | instskip(NEXT) | instid1(VALU_DEP_4)
	v_lshlrev_b64 v[18:19], 1, v[8:9]
	v_add_co_u32 v15, s0, v6, v15
	s_delay_alu instid0(VALU_DEP_1) | instskip(SKIP_1) | instid1(VALU_DEP_3)
	v_add_co_ci_u32_e64 v16, s0, v12, v16, s0
	s_or_b32 s6, vcc_lo, s6
	v_add_co_u32 v18, s0, v6, v18
	s_delay_alu instid0(VALU_DEP_1)
	v_add_co_ci_u32_e64 v19, s0, v12, v19, s0
	s_waitcnt lgkmcnt(1)
	global_store_b16 v[15:16], v20, off
	s_waitcnt lgkmcnt(0)
	global_store_b16 v[18:19], v21, off
	s_and_not1_b32 exec_lo, exec_lo, s6
	s_cbranch_execnz .LBB668_206
.LBB668_207:
	s_set_inst_prefetch_distance 0x2
	s_or_b32 exec_lo, exec_lo, s5
	v_add_nc_u32_e32 v1, 1, v13
	s_delay_alu instid0(VALU_DEP_1) | instskip(NEXT) | instid1(VALU_DEP_1)
	v_and_b32_e32 v2, 0x1fffffe, v1
	v_cmp_ne_u32_e32 vcc_lo, v1, v2
	v_lshl_or_b32 v1, v2, 8, v0
	s_or_not1_b32 s0, vcc_lo, exec_lo
.LBB668_208:
	s_or_b32 exec_lo, exec_lo, s4
	s_delay_alu instid0(SALU_CYCLE_1) | instskip(SKIP_1) | instid1(SALU_CYCLE_1)
	s_and_not1_b32 s2, s2, exec_lo
	s_and_b32 s0, s0, exec_lo
	s_or_b32 s2, s2, s0
.LBB668_209:
	s_or_b32 exec_lo, exec_lo, s3
	s_delay_alu instid0(VALU_DEP_2) | instid1(SALU_CYCLE_1)
	s_and_b32 exec_lo, exec_lo, s2
	s_cbranch_execz .LBB668_212
; %bb.210:
	v_dual_mov_b32 v2, 0 :: v_dual_lshlrev_b32 v3, 1, v1
	s_mov_b32 s2, 0
	.p2align	6
.LBB668_211:                            ; =>This Inner Loop Header: Depth=1
	ds_load_u16 v13, v3
	v_lshlrev_b64 v[8:9], 1, v[1:2]
	v_add_nc_u32_e32 v1, 0x100, v1
	v_add_nc_u32_e32 v3, 0x200, v3
	s_delay_alu instid0(VALU_DEP_2) | instskip(NEXT) | instid1(VALU_DEP_4)
	v_cmp_ge_u32_e32 vcc_lo, v1, v4
	v_add_co_u32 v8, s0, v6, v8
	s_delay_alu instid0(VALU_DEP_1)
	v_add_co_ci_u32_e64 v9, s0, v12, v9, s0
	s_or_b32 s2, vcc_lo, s2
	s_waitcnt lgkmcnt(0)
	global_store_b16 v[8:9], v13, off
	s_and_not1_b32 exec_lo, exec_lo, s2
	s_cbranch_execnz .LBB668_211
.LBB668_212:
	s_or_b32 exec_lo, exec_lo, s1
	v_cmp_eq_u32_e32 vcc_lo, 0xff, v0
	s_and_b32 s0, vcc_lo, s18
	s_delay_alu instid0(SALU_CYCLE_1)
	s_and_saveexec_b32 s1, s0
	s_cbranch_execz .LBB668_185
.LBB668_213:
	v_add_co_u32 v0, s0, v5, v7
	s_delay_alu instid0(VALU_DEP_1) | instskip(SKIP_1) | instid1(VALU_DEP_3)
	v_add_co_ci_u32_e64 v1, null, 0, 0, s0
	v_mov_b32_e32 v6, 0
	v_add_co_u32 v0, vcc_lo, v0, v27
	s_delay_alu instid0(VALU_DEP_3)
	v_add_co_ci_u32_e32 v1, vcc_lo, v1, v28, vcc_lo
	s_cmpk_lg_i32 s19, 0xf00
	global_store_b64 v6, v[0:1], s[38:39]
	s_cbranch_scc1 .LBB668_185
; %bb.214:
	v_lshlrev_b64 v[0:1], 1, v[5:6]
	s_delay_alu instid0(VALU_DEP_1) | instskip(NEXT) | instid1(VALU_DEP_2)
	v_add_co_u32 v0, vcc_lo, v10, v0
	v_add_co_ci_u32_e32 v1, vcc_lo, v11, v1, vcc_lo
	global_store_b16 v[0:1], v17, off offset:-2
	s_nop 0
	s_sendmsg sendmsg(MSG_DEALLOC_VGPRS)
	s_endpgm
.LBB668_215:
                                        ; implicit-def: $sgpr2
                                        ; implicit-def: $vgpr61
                                        ; implicit-def: $vgpr7
                                        ; implicit-def: $vgpr63
                                        ; implicit-def: $vgpr14
                                        ; implicit-def: $vgpr13
                                        ; implicit-def: $vgpr16
                                        ; implicit-def: $vgpr15
                                        ; implicit-def: $vgpr20
                                        ; implicit-def: $vgpr19
                                        ; implicit-def: $vgpr22
                                        ; implicit-def: $vgpr21
                                        ; implicit-def: $vgpr24
                                        ; implicit-def: $vgpr23
                                        ; implicit-def: $vgpr26
	s_cbranch_execz .LBB668_110
; %bb.216:
	v_dual_mov_b32 v18, 0 :: v_dual_lshlrev_b32 v7, 1, v0
	v_mov_b32_e32 v61, 0
	s_mov_b32 s2, exec_lo
	ds_store_b16 v7, v8
	v_cmpx_gt_u64_e64 s[0:1], v[17:18]
	s_cbranch_execz .LBB668_218
; %bb.217:
	v_bfe_i32 v6, v12, 0, 16
	v_bfe_i32 v8, v8, 0, 16
	s_delay_alu instid0(VALU_DEP_2) | instskip(NEXT) | instid1(VALU_DEP_2)
	v_mul_i32_i24_e32 v6, 0x6667, v6
	v_mul_i32_i24_e32 v8, 0x6667, v8
	s_waitcnt lgkmcnt(1)
	s_delay_alu instid0(VALU_DEP_2) | instskip(SKIP_1) | instid1(VALU_DEP_3)
	v_lshrrev_b32_e32 v9, 31, v6
	v_ashrrev_i32_e32 v6, 18, v6
	v_lshrrev_b32_e32 v13, 31, v8
	v_ashrrev_i32_e32 v8, 18, v8
	s_delay_alu instid0(VALU_DEP_3) | instskip(NEXT) | instid1(VALU_DEP_2)
	v_add_nc_u16 v6, v6, v9
	v_add_nc_u16 v8, v8, v13
	s_delay_alu instid0(VALU_DEP_1)
	v_cmp_ne_u16_e32 vcc_lo, v6, v8
	v_cndmask_b32_e64 v61, 0, 1, vcc_lo
.LBB668_218:
	s_or_b32 exec_lo, exec_lo, s2
	v_add_nc_u32_e32 v17, 13, v5
	s_mov_b32 s2, exec_lo
	s_delay_alu instid0(VALU_DEP_1)
	v_cmpx_gt_u64_e64 s[0:1], v[17:18]
	s_cbranch_execz .LBB668_220
; %bb.219:
	v_ashrrev_i32_e32 v6, 16, v11
	v_bfe_i32 v8, v12, 0, 16
	s_delay_alu instid0(VALU_DEP_2) | instskip(NEXT) | instid1(VALU_DEP_2)
	v_mul_i32_i24_e32 v6, 0x6667, v6
	v_mul_i32_i24_e32 v8, 0x6667, v8
	s_waitcnt lgkmcnt(1)
	s_delay_alu instid0(VALU_DEP_2) | instskip(SKIP_1) | instid1(VALU_DEP_3)
	v_lshrrev_b32_e32 v9, 31, v6
	v_ashrrev_i32_e32 v6, 18, v6
	v_lshrrev_b32_e32 v13, 31, v8
	v_ashrrev_i32_e32 v8, 18, v8
	s_delay_alu instid0(VALU_DEP_3) | instskip(NEXT) | instid1(VALU_DEP_2)
	v_add_nc_u16 v6, v6, v9
	v_add_nc_u16 v8, v8, v13
	s_delay_alu instid0(VALU_DEP_1)
	v_cmp_ne_u16_e32 vcc_lo, v6, v8
	v_cndmask_b32_e64 v18, 0, 1, vcc_lo
.LBB668_220:
	s_or_b32 exec_lo, exec_lo, s2
	v_dual_mov_b32 v14, 0 :: v_dual_add_nc_u32 v13, 12, v5
	v_mov_b32_e32 v63, 0
	s_mov_b32 s2, exec_lo
	s_delay_alu instid0(VALU_DEP_2)
	v_cmpx_gt_u64_e64 s[0:1], v[13:14]
	s_cbranch_execz .LBB668_222
; %bb.221:
	v_bfe_i32 v6, v11, 0, 16
	v_ashrrev_i32_e32 v8, 16, v11
	s_delay_alu instid0(VALU_DEP_2) | instskip(NEXT) | instid1(VALU_DEP_2)
	v_mul_i32_i24_e32 v6, 0x6667, v6
	v_mul_i32_i24_e32 v8, 0x6667, v8
	s_waitcnt lgkmcnt(1)
	s_delay_alu instid0(VALU_DEP_2) | instskip(SKIP_1) | instid1(VALU_DEP_3)
	v_lshrrev_b32_e32 v9, 31, v6
	v_ashrrev_i32_e32 v6, 18, v6
	v_lshrrev_b32_e32 v13, 31, v8
	v_ashrrev_i32_e32 v8, 18, v8
	s_delay_alu instid0(VALU_DEP_3) | instskip(NEXT) | instid1(VALU_DEP_2)
	v_add_nc_u16 v6, v6, v9
	v_add_nc_u16 v8, v8, v13
	s_delay_alu instid0(VALU_DEP_1)
	v_cmp_ne_u16_e32 vcc_lo, v6, v8
	v_cndmask_b32_e64 v63, 0, 1, vcc_lo
.LBB668_222:
	s_or_b32 exec_lo, exec_lo, s2
	v_add_nc_u32_e32 v13, 11, v5
	s_mov_b32 s2, exec_lo
	s_delay_alu instid0(VALU_DEP_1)
	v_cmpx_gt_u64_e64 s[0:1], v[13:14]
	s_cbranch_execz .LBB668_224
; %bb.223:
	v_ashrrev_i32_e32 v6, 16, v10
	v_bfe_i32 v8, v11, 0, 16
	s_delay_alu instid0(VALU_DEP_2) | instskip(NEXT) | instid1(VALU_DEP_2)
	v_mul_i32_i24_e32 v6, 0x6667, v6
	v_mul_i32_i24_e32 v8, 0x6667, v8
	s_waitcnt lgkmcnt(1)
	s_delay_alu instid0(VALU_DEP_2) | instskip(SKIP_1) | instid1(VALU_DEP_3)
	v_lshrrev_b32_e32 v9, 31, v6
	v_ashrrev_i32_e32 v6, 18, v6
	v_lshrrev_b32_e32 v13, 31, v8
	v_ashrrev_i32_e32 v8, 18, v8
	s_delay_alu instid0(VALU_DEP_3) | instskip(NEXT) | instid1(VALU_DEP_2)
	v_add_nc_u16 v6, v6, v9
	v_add_nc_u16 v8, v8, v13
	s_delay_alu instid0(VALU_DEP_1)
	v_cmp_ne_u16_e32 vcc_lo, v6, v8
	v_cndmask_b32_e64 v14, 0, 1, vcc_lo
.LBB668_224:
	s_or_b32 exec_lo, exec_lo, s2
	v_dual_mov_b32 v16, 0 :: v_dual_add_nc_u32 v15, 10, v5
	v_mov_b32_e32 v13, 0
	s_mov_b32 s2, exec_lo
	s_delay_alu instid0(VALU_DEP_2)
	v_cmpx_gt_u64_e64 s[0:1], v[15:16]
	s_cbranch_execz .LBB668_226
; %bb.225:
	v_bfe_i32 v6, v10, 0, 16
	v_ashrrev_i32_e32 v8, 16, v10
	s_delay_alu instid0(VALU_DEP_2) | instskip(NEXT) | instid1(VALU_DEP_2)
	v_mul_i32_i24_e32 v6, 0x6667, v6
	v_mul_i32_i24_e32 v8, 0x6667, v8
	s_waitcnt lgkmcnt(1)
	s_delay_alu instid0(VALU_DEP_2) | instskip(SKIP_1) | instid1(VALU_DEP_3)
	v_lshrrev_b32_e32 v9, 31, v6
	v_ashrrev_i32_e32 v6, 18, v6
	v_lshrrev_b32_e32 v13, 31, v8
	v_ashrrev_i32_e32 v8, 18, v8
	s_delay_alu instid0(VALU_DEP_3) | instskip(NEXT) | instid1(VALU_DEP_2)
	v_add_nc_u16 v6, v6, v9
	v_add_nc_u16 v8, v8, v13
	s_delay_alu instid0(VALU_DEP_1)
	v_cmp_ne_u16_e32 vcc_lo, v6, v8
	v_cndmask_b32_e64 v13, 0, 1, vcc_lo
.LBB668_226:
	;; [unrolled: 51-line block ×6, first 2 shown]
	s_or_b32 exec_lo, exec_lo, s2
	v_add_nc_u32_e32 v25, 1, v5
	s_mov_b32 s2, exec_lo
	s_delay_alu instid0(VALU_DEP_1)
	v_cmpx_gt_u64_e64 s[0:1], v[25:26]
	s_cbranch_execz .LBB668_244
; %bb.243:
	v_bfe_i32 v6, v62, 0, 16
	v_bfe_i32 v8, v1, 0, 16
	s_delay_alu instid0(VALU_DEP_2) | instskip(NEXT) | instid1(VALU_DEP_2)
	v_mul_i32_i24_e32 v6, 0x6667, v6
	v_mul_i32_i24_e32 v8, 0x6667, v8
	s_waitcnt lgkmcnt(1)
	s_delay_alu instid0(VALU_DEP_2) | instskip(SKIP_1) | instid1(VALU_DEP_3)
	v_lshrrev_b32_e32 v9, 31, v6
	v_ashrrev_i32_e32 v6, 18, v6
	v_lshrrev_b32_e32 v17, 31, v8
	v_ashrrev_i32_e32 v8, 18, v8
	s_delay_alu instid0(VALU_DEP_3) | instskip(NEXT) | instid1(VALU_DEP_2)
	v_add_nc_u16 v6, v6, v9
	v_add_nc_u16 v8, v8, v17
	s_delay_alu instid0(VALU_DEP_1)
	v_cmp_ne_u16_e32 vcc_lo, v6, v8
	v_cndmask_b32_e64 v26, 0, 1, vcc_lo
.LBB668_244:
	s_or_b32 exec_lo, exec_lo, s2
	s_mov_b32 s4, 0
	s_mov_b32 s3, exec_lo
	s_waitcnt lgkmcnt(0)
	s_barrier
	buffer_gl0_inv
                                        ; implicit-def: $sgpr2
	v_cmpx_ne_u32_e32 0, v0
	s_cbranch_execz .LBB668_248
; %bb.245:
	v_mov_b32_e32 v6, 0
	s_delay_alu instid0(VALU_DEP_1)
	v_cmp_gt_u64_e32 vcc_lo, s[0:1], v[5:6]
	s_and_saveexec_b32 s0, vcc_lo
	s_cbranch_execz .LBB668_247
; %bb.246:
	v_add_nc_u32_e32 v5, -2, v7
	v_bfe_i32 v6, v62, 0, 16
	ds_load_i16 v5, v5
	v_mul_i32_i24_e32 v6, 0x6667, v6
	s_delay_alu instid0(VALU_DEP_1) | instskip(SKIP_1) | instid1(VALU_DEP_1)
	v_lshrrev_b32_e32 v7, 31, v6
	v_ashrrev_i32_e32 v6, 18, v6
	v_add_nc_u16 v6, v6, v7
	s_waitcnt lgkmcnt(0)
	v_mul_i32_i24_e32 v5, 0x6667, v5
	s_delay_alu instid0(VALU_DEP_1) | instskip(SKIP_1) | instid1(VALU_DEP_1)
	v_lshrrev_b32_e32 v8, 31, v5
	v_ashrrev_i32_e32 v5, 18, v5
	v_add_nc_u16 v5, v5, v8
	s_delay_alu instid0(VALU_DEP_1)
	v_cmp_ne_u16_e32 vcc_lo, v5, v6
	s_and_b32 s4, vcc_lo, exec_lo
.LBB668_247:
	s_or_b32 exec_lo, exec_lo, s0
	s_delay_alu instid0(SALU_CYCLE_1)
	s_and_b32 s2, s4, exec_lo
	s_or_b32 s28, s28, exec_lo
.LBB668_248:
	s_or_b32 exec_lo, exec_lo, s3
	v_mov_b32_e32 v7, v18
	s_mov_b32 s0, 1
	s_delay_alu instid0(SALU_CYCLE_1)
	v_mov_b32_e32 v25, s0
	s_and_saveexec_b32 s0, s28
	s_cbranch_execnz .LBB668_112
	s_branch .LBB668_113
.LBB668_249:
	s_and_saveexec_b32 s17, s14
	s_cbranch_execnz .LBB668_317
; %bb.250:
	s_or_b32 exec_lo, exec_lo, s17
	s_and_saveexec_b32 s17, s13
	s_cbranch_execnz .LBB668_318
.LBB668_251:
	s_or_b32 exec_lo, exec_lo, s17
	s_and_saveexec_b32 s17, s12
	s_cbranch_execnz .LBB668_319
.LBB668_252:
	s_or_b32 exec_lo, exec_lo, s17
	s_and_saveexec_b32 s17, s11
	s_cbranch_execnz .LBB668_320
.LBB668_253:
	s_or_b32 exec_lo, exec_lo, s17
	s_and_saveexec_b32 s17, s10
	s_cbranch_execnz .LBB668_321
.LBB668_254:
	s_or_b32 exec_lo, exec_lo, s17
	s_and_saveexec_b32 s17, s9
	s_cbranch_execnz .LBB668_322
.LBB668_255:
	s_or_b32 exec_lo, exec_lo, s17
	s_and_saveexec_b32 s17, s7
	s_cbranch_execnz .LBB668_323
.LBB668_256:
	s_or_b32 exec_lo, exec_lo, s17
	s_and_saveexec_b32 s17, s5
	s_cbranch_execnz .LBB668_324
.LBB668_257:
	s_or_b32 exec_lo, exec_lo, s17
	s_and_saveexec_b32 s17, s8
	s_cbranch_execnz .LBB668_325
.LBB668_258:
	s_or_b32 exec_lo, exec_lo, s17
	s_and_saveexec_b32 s17, s6
	s_cbranch_execnz .LBB668_326
.LBB668_259:
	s_or_b32 exec_lo, exec_lo, s17
	s_and_saveexec_b32 s17, s4
	s_cbranch_execnz .LBB668_327
.LBB668_260:
	s_or_b32 exec_lo, exec_lo, s17
	s_and_saveexec_b32 s17, s3
	s_cbranch_execnz .LBB668_328
.LBB668_261:
	s_or_b32 exec_lo, exec_lo, s17
	s_and_saveexec_b32 s17, s2
	s_cbranch_execnz .LBB668_329
.LBB668_262:
	s_or_b32 exec_lo, exec_lo, s17
	s_and_saveexec_b32 s17, s1
	s_cbranch_execz .LBB668_264
.LBB668_263:
	v_sub_nc_u32_e32 v66, v39, v7
	v_mov_b32_e32 v67, 0
	s_delay_alu instid0(VALU_DEP_1) | instskip(NEXT) | instid1(VALU_DEP_1)
	v_lshlrev_b64 v[66:67], 1, v[66:67]
	v_add_co_u32 v66, vcc_lo, v6, v66
	s_delay_alu instid0(VALU_DEP_2)
	v_add_co_ci_u32_e32 v67, vcc_lo, v64, v67, vcc_lo
	global_store_b16 v[66:67], v12, off
.LBB668_264:
	s_or_b32 exec_lo, exec_lo, s17
	s_delay_alu instid0(SALU_CYCLE_1)
	s_and_b32 s17, s0, exec_lo
	s_and_not1_saveexec_b32 s15, s15
	s_cbranch_execz .LBB668_157
.LBB668_265:
	v_sub_nc_u32_e32 v66, v55, v7
	v_mov_b32_e32 v67, 0
	s_or_b32 s17, s17, exec_lo
	s_delay_alu instid0(VALU_DEP_1) | instskip(SKIP_1) | instid1(VALU_DEP_1)
	v_lshlrev_b64 v[68:69], 1, v[66:67]
	v_sub_nc_u32_e32 v66, v49, v7
	v_lshlrev_b64 v[70:71], 1, v[66:67]
	v_sub_nc_u32_e32 v66, v51, v7
	s_delay_alu instid0(VALU_DEP_4) | instskip(SKIP_1) | instid1(VALU_DEP_3)
	v_add_co_u32 v68, vcc_lo, v6, v68
	v_add_co_ci_u32_e32 v69, vcc_lo, v64, v69, vcc_lo
	v_lshlrev_b64 v[72:73], 1, v[66:67]
	v_sub_nc_u32_e32 v66, v47, v7
	v_add_co_u32 v70, vcc_lo, v6, v70
	v_add_co_ci_u32_e32 v71, vcc_lo, v64, v71, vcc_lo
	global_store_b16 v[68:69], v62, off
	v_lshlrev_b64 v[68:69], 1, v[66:67]
	v_sub_nc_u32_e32 v66, v35, v7
	global_store_b16 v[70:71], v1, off
	v_add_co_u32 v70, vcc_lo, v6, v72
	v_add_co_ci_u32_e32 v71, vcc_lo, v64, v73, vcc_lo
	v_lshlrev_b64 v[72:73], 1, v[66:67]
	v_sub_nc_u32_e32 v66, v31, v7
	v_add_co_u32 v68, vcc_lo, v6, v68
	v_add_co_ci_u32_e32 v69, vcc_lo, v64, v69, vcc_lo
	s_delay_alu instid0(VALU_DEP_3) | instskip(SKIP_3) | instid1(VALU_DEP_3)
	v_lshlrev_b64 v[74:75], 1, v[66:67]
	v_sub_nc_u32_e32 v66, v33, v7
	v_add_co_u32 v72, vcc_lo, v6, v72
	v_add_co_ci_u32_e32 v73, vcc_lo, v64, v73, vcc_lo
	v_lshlrev_b64 v[76:77], 1, v[66:67]
	v_sub_nc_u32_e32 v66, v53, v7
	v_add_co_u32 v74, vcc_lo, v6, v74
	v_add_co_ci_u32_e32 v75, vcc_lo, v64, v75, vcc_lo
	s_clause 0x3
	global_store_d16_hi_b16 v[70:71], v1, off
	global_store_b16 v[68:69], v2, off
	global_store_d16_hi_b16 v[72:73], v2, off
	global_store_b16 v[74:75], v3, off
	v_lshlrev_b64 v[68:69], 1, v[66:67]
	v_sub_nc_u32_e32 v66, v57, v7
	v_add_co_u32 v70, vcc_lo, v6, v76
	v_add_co_ci_u32_e32 v71, vcc_lo, v64, v77, vcc_lo
	s_delay_alu instid0(VALU_DEP_3) | instskip(SKIP_3) | instid1(VALU_DEP_3)
	v_lshlrev_b64 v[72:73], 1, v[66:67]
	v_sub_nc_u32_e32 v66, v45, v7
	v_add_co_u32 v68, vcc_lo, v6, v68
	v_add_co_ci_u32_e32 v69, vcc_lo, v64, v69, vcc_lo
	v_lshlrev_b64 v[74:75], 1, v[66:67]
	v_sub_nc_u32_e32 v66, v43, v7
	v_add_co_u32 v72, vcc_lo, v6, v72
	v_add_co_ci_u32_e32 v73, vcc_lo, v64, v73, vcc_lo
	s_delay_alu instid0(VALU_DEP_3)
	v_lshlrev_b64 v[76:77], 1, v[66:67]
	v_sub_nc_u32_e32 v66, v37, v7
	v_add_co_u32 v74, vcc_lo, v6, v74
	v_add_co_ci_u32_e32 v75, vcc_lo, v64, v75, vcc_lo
	s_clause 0x3
	global_store_d16_hi_b16 v[70:71], v3, off
	global_store_b16 v[68:69], v4, off
	global_store_d16_hi_b16 v[72:73], v4, off
	global_store_b16 v[74:75], v10, off
	v_lshlrev_b64 v[68:69], 1, v[66:67]
	v_sub_nc_u32_e32 v66, v41, v7
	v_add_co_u32 v70, vcc_lo, v6, v76
	v_add_co_ci_u32_e32 v71, vcc_lo, v64, v77, vcc_lo
	s_delay_alu instid0(VALU_DEP_3) | instskip(SKIP_3) | instid1(VALU_DEP_3)
	v_lshlrev_b64 v[72:73], 1, v[66:67]
	v_sub_nc_u32_e32 v66, v39, v7
	v_add_co_u32 v68, vcc_lo, v6, v68
	v_add_co_ci_u32_e32 v69, vcc_lo, v64, v69, vcc_lo
	v_lshlrev_b64 v[66:67], 1, v[66:67]
	v_add_co_u32 v72, vcc_lo, v6, v72
	v_add_co_ci_u32_e32 v73, vcc_lo, v64, v73, vcc_lo
	s_clause 0x2
	global_store_d16_hi_b16 v[70:71], v10, off
	global_store_b16 v[68:69], v11, off
	global_store_d16_hi_b16 v[72:73], v11, off
	v_add_co_u32 v66, vcc_lo, v6, v66
	v_add_co_ci_u32_e32 v67, vcc_lo, v64, v67, vcc_lo
	global_store_b16 v[66:67], v12, off
	s_or_b32 exec_lo, exec_lo, s15
	s_delay_alu instid0(SALU_CYCLE_1)
	s_and_b32 exec_lo, exec_lo, s17
	s_cbranch_execnz .LBB668_158
	s_branch .LBB668_159
.LBB668_266:
	s_and_saveexec_b32 s17, s14
	s_cbranch_execnz .LBB668_330
; %bb.267:
	s_or_b32 exec_lo, exec_lo, s17
	s_and_saveexec_b32 s14, s13
	s_cbranch_execnz .LBB668_331
.LBB668_268:
	s_or_b32 exec_lo, exec_lo, s14
	s_and_saveexec_b32 s13, s12
	s_cbranch_execnz .LBB668_332
.LBB668_269:
	s_or_b32 exec_lo, exec_lo, s13
	s_and_saveexec_b32 s12, s11
	s_cbranch_execnz .LBB668_333
.LBB668_270:
	s_or_b32 exec_lo, exec_lo, s12
	s_and_saveexec_b32 s11, s10
	s_cbranch_execnz .LBB668_334
.LBB668_271:
	s_or_b32 exec_lo, exec_lo, s11
	s_and_saveexec_b32 s10, s9
	s_cbranch_execnz .LBB668_335
.LBB668_272:
	s_or_b32 exec_lo, exec_lo, s10
	s_and_saveexec_b32 s9, s7
	s_cbranch_execnz .LBB668_336
.LBB668_273:
	s_or_b32 exec_lo, exec_lo, s9
	s_and_saveexec_b32 s7, s5
	s_cbranch_execnz .LBB668_337
.LBB668_274:
	s_or_b32 exec_lo, exec_lo, s7
	s_and_saveexec_b32 s5, s8
	s_cbranch_execnz .LBB668_338
.LBB668_275:
	s_or_b32 exec_lo, exec_lo, s5
	s_and_saveexec_b32 s5, s6
	s_cbranch_execnz .LBB668_339
.LBB668_276:
	s_or_b32 exec_lo, exec_lo, s5
	s_and_saveexec_b32 s5, s4
	s_cbranch_execnz .LBB668_340
.LBB668_277:
	s_or_b32 exec_lo, exec_lo, s5
	s_and_saveexec_b32 s4, s3
	s_cbranch_execnz .LBB668_341
.LBB668_278:
	s_or_b32 exec_lo, exec_lo, s4
	s_and_saveexec_b32 s3, s2
	s_cbranch_execnz .LBB668_342
.LBB668_279:
	s_or_b32 exec_lo, exec_lo, s3
	s_and_saveexec_b32 s2, s1
	s_cbranch_execz .LBB668_281
.LBB668_280:
	v_sub_nc_u32_e32 v1, v39, v7
	s_delay_alu instid0(VALU_DEP_1)
	v_lshlrev_b32_e32 v1, 1, v1
	ds_store_b16 v1, v12
.LBB668_281:
	s_or_b32 exec_lo, exec_lo, s2
	s_delay_alu instid0(SALU_CYCLE_1)
	s_and_b32 s17, s0, exec_lo
                                        ; implicit-def: $vgpr62
                                        ; implicit-def: $vgpr1
	s_and_not1_saveexec_b32 s0, s16
	s_cbranch_execz .LBB668_164
.LBB668_282:
	v_sub_nc_u32_e32 v65, v55, v7
	v_sub_nc_u32_e32 v66, v49, v7
	;; [unrolled: 1-line block ×4, first 2 shown]
	s_or_b32 s17, s17, exec_lo
	v_lshlrev_b32_e32 v65, 1, v65
	v_lshlrev_b32_e32 v66, 1, v66
	v_lshlrev_b32_e32 v67, 1, v67
	v_lshlrev_b32_e32 v68, 1, v68
	ds_store_b16 v65, v62
	ds_store_b16 v66, v1
	ds_store_b16_d16_hi v67, v1
	v_sub_nc_u32_e32 v1, v35, v7
	v_sub_nc_u32_e32 v62, v31, v7
	v_sub_nc_u32_e32 v67, v57, v7
	v_sub_nc_u32_e32 v65, v33, v7
	v_sub_nc_u32_e32 v66, v53, v7
	v_lshlrev_b32_e32 v1, 1, v1
	ds_store_b16 v68, v2
	v_lshlrev_b32_e32 v62, 1, v62
	v_lshlrev_b32_e32 v65, 1, v65
	;; [unrolled: 1-line block ×3, first 2 shown]
	ds_store_b16_d16_hi v1, v2
	v_lshlrev_b32_e32 v1, 1, v67
	v_sub_nc_u32_e32 v2, v45, v7
	ds_store_b16 v62, v3
	ds_store_b16_d16_hi v65, v3
	ds_store_b16 v66, v4
	v_sub_nc_u32_e32 v62, v39, v7
	v_sub_nc_u32_e32 v3, v37, v7
	ds_store_b16_d16_hi v1, v4
	v_sub_nc_u32_e32 v1, v43, v7
	v_lshlrev_b32_e32 v2, 1, v2
	v_sub_nc_u32_e32 v4, v41, v7
	v_lshlrev_b32_e32 v3, 1, v3
	s_delay_alu instid0(VALU_DEP_4)
	v_lshlrev_b32_e32 v1, 1, v1
	ds_store_b16 v2, v10
	v_lshlrev_b32_e32 v2, 1, v62
	v_lshlrev_b32_e32 v4, 1, v4
	ds_store_b16_d16_hi v1, v10
	ds_store_b16 v3, v11
	ds_store_b16_d16_hi v4, v11
	ds_store_b16 v2, v12
	s_or_b32 exec_lo, exec_lo, s0
	s_delay_alu instid0(SALU_CYCLE_1)
	s_and_b32 exec_lo, exec_lo, s17
	s_cbranch_execnz .LBB668_165
	s_branch .LBB668_166
.LBB668_283:
	s_and_saveexec_b32 s17, s14
	s_cbranch_execnz .LBB668_343
; %bb.284:
	s_or_b32 exec_lo, exec_lo, s17
	s_and_saveexec_b32 s17, s13
	s_cbranch_execnz .LBB668_344
.LBB668_285:
	s_or_b32 exec_lo, exec_lo, s17
	s_and_saveexec_b32 s17, s12
	s_cbranch_execnz .LBB668_345
.LBB668_286:
	s_or_b32 exec_lo, exec_lo, s17
	s_and_saveexec_b32 s17, s11
	s_cbranch_execnz .LBB668_346
.LBB668_287:
	s_or_b32 exec_lo, exec_lo, s17
	s_and_saveexec_b32 s17, s10
	s_cbranch_execnz .LBB668_347
.LBB668_288:
	s_or_b32 exec_lo, exec_lo, s17
	s_and_saveexec_b32 s17, s9
	s_cbranch_execnz .LBB668_348
.LBB668_289:
	s_or_b32 exec_lo, exec_lo, s17
	s_and_saveexec_b32 s17, s8
	s_cbranch_execnz .LBB668_349
.LBB668_290:
	s_or_b32 exec_lo, exec_lo, s17
	s_and_saveexec_b32 s17, s7
	s_cbranch_execnz .LBB668_350
.LBB668_291:
	s_or_b32 exec_lo, exec_lo, s17
	s_and_saveexec_b32 s17, s6
	s_cbranch_execnz .LBB668_351
.LBB668_292:
	s_or_b32 exec_lo, exec_lo, s17
	s_and_saveexec_b32 s17, s5
	s_cbranch_execnz .LBB668_352
.LBB668_293:
	s_or_b32 exec_lo, exec_lo, s17
	s_and_saveexec_b32 s17, s4
	s_cbranch_execnz .LBB668_353
.LBB668_294:
	s_or_b32 exec_lo, exec_lo, s17
	s_and_saveexec_b32 s17, s3
	s_cbranch_execnz .LBB668_354
.LBB668_295:
	s_or_b32 exec_lo, exec_lo, s17
	s_and_saveexec_b32 s17, s2
	s_cbranch_execnz .LBB668_355
.LBB668_296:
	s_or_b32 exec_lo, exec_lo, s17
	s_and_saveexec_b32 s17, s1
	s_cbranch_execz .LBB668_298
.LBB668_297:
	v_sub_nc_u32_e32 v13, v39, v3
	v_mov_b32_e32 v14, 0
	s_delay_alu instid0(VALU_DEP_1) | instskip(NEXT) | instid1(VALU_DEP_1)
	v_lshlrev_b64 v[13:14], 1, v[13:14]
	v_add_co_u32 v13, vcc_lo, v6, v13
	s_delay_alu instid0(VALU_DEP_2)
	v_add_co_ci_u32_e32 v14, vcc_lo, v12, v14, vcc_lo
	global_store_b16 v[13:14], v40, off
.LBB668_298:
	s_or_b32 exec_lo, exec_lo, s17
	s_delay_alu instid0(SALU_CYCLE_1)
	s_and_b32 s17, s0, exec_lo
	s_and_not1_saveexec_b32 s15, s15
	s_cbranch_execz .LBB668_189
.LBB668_299:
	v_sub_nc_u32_e32 v13, v55, v3
	v_mov_b32_e32 v14, 0
	s_or_b32 s17, s17, exec_lo
	s_delay_alu instid0(VALU_DEP_1) | instskip(SKIP_1) | instid1(VALU_DEP_1)
	v_lshlrev_b64 v[15:16], 1, v[13:14]
	v_sub_nc_u32_e32 v13, v49, v3
	v_lshlrev_b64 v[18:19], 1, v[13:14]
	v_sub_nc_u32_e32 v13, v51, v3
	s_delay_alu instid0(VALU_DEP_4) | instskip(SKIP_1) | instid1(VALU_DEP_3)
	v_add_co_u32 v15, vcc_lo, v6, v15
	v_add_co_ci_u32_e32 v16, vcc_lo, v12, v16, vcc_lo
	v_lshlrev_b64 v[20:21], 1, v[13:14]
	v_sub_nc_u32_e32 v13, v47, v3
	v_add_co_u32 v18, vcc_lo, v6, v18
	v_add_co_ci_u32_e32 v19, vcc_lo, v12, v19, vcc_lo
	global_store_b16 v[15:16], v56, off
	v_lshlrev_b64 v[15:16], 1, v[13:14]
	v_sub_nc_u32_e32 v13, v35, v3
	global_store_b16 v[18:19], v50, off
	v_add_co_u32 v18, vcc_lo, v6, v20
	v_add_co_ci_u32_e32 v19, vcc_lo, v12, v21, vcc_lo
	v_lshlrev_b64 v[20:21], 1, v[13:14]
	v_sub_nc_u32_e32 v13, v31, v3
	v_add_co_u32 v15, vcc_lo, v6, v15
	v_add_co_ci_u32_e32 v16, vcc_lo, v12, v16, vcc_lo
	s_delay_alu instid0(VALU_DEP_3) | instskip(SKIP_3) | instid1(VALU_DEP_3)
	v_lshlrev_b64 v[22:23], 1, v[13:14]
	v_sub_nc_u32_e32 v13, v33, v3
	v_add_co_u32 v20, vcc_lo, v6, v20
	v_add_co_ci_u32_e32 v21, vcc_lo, v12, v21, vcc_lo
	v_lshlrev_b64 v[24:25], 1, v[13:14]
	v_sub_nc_u32_e32 v13, v53, v3
	v_add_co_u32 v22, vcc_lo, v6, v22
	v_add_co_ci_u32_e32 v23, vcc_lo, v12, v23, vcc_lo
	s_clause 0x3
	global_store_b16 v[18:19], v52, off
	global_store_b16 v[15:16], v48, off
	;; [unrolled: 1-line block ×4, first 2 shown]
	v_lshlrev_b64 v[15:16], 1, v[13:14]
	v_sub_nc_u32_e32 v13, v57, v3
	v_add_co_u32 v18, vcc_lo, v6, v24
	v_add_co_ci_u32_e32 v19, vcc_lo, v12, v25, vcc_lo
	s_delay_alu instid0(VALU_DEP_3) | instskip(SKIP_3) | instid1(VALU_DEP_3)
	v_lshlrev_b64 v[20:21], 1, v[13:14]
	v_sub_nc_u32_e32 v13, v45, v3
	v_add_co_u32 v15, vcc_lo, v6, v15
	v_add_co_ci_u32_e32 v16, vcc_lo, v12, v16, vcc_lo
	v_lshlrev_b64 v[22:23], 1, v[13:14]
	v_sub_nc_u32_e32 v13, v43, v3
	v_add_co_u32 v20, vcc_lo, v6, v20
	v_add_co_ci_u32_e32 v21, vcc_lo, v12, v21, vcc_lo
	s_delay_alu instid0(VALU_DEP_3)
	v_lshlrev_b64 v[24:25], 1, v[13:14]
	v_sub_nc_u32_e32 v13, v37, v3
	v_add_co_u32 v22, vcc_lo, v6, v22
	v_add_co_ci_u32_e32 v23, vcc_lo, v12, v23, vcc_lo
	s_clause 0x3
	global_store_b16 v[18:19], v34, off
	global_store_b16 v[15:16], v54, off
	;; [unrolled: 1-line block ×4, first 2 shown]
	v_lshlrev_b64 v[15:16], 1, v[13:14]
	v_sub_nc_u32_e32 v13, v41, v3
	v_add_co_u32 v18, vcc_lo, v6, v24
	v_add_co_ci_u32_e32 v19, vcc_lo, v12, v25, vcc_lo
	s_delay_alu instid0(VALU_DEP_3) | instskip(SKIP_3) | instid1(VALU_DEP_3)
	v_lshlrev_b64 v[20:21], 1, v[13:14]
	v_sub_nc_u32_e32 v13, v39, v3
	v_add_co_u32 v15, vcc_lo, v6, v15
	v_add_co_ci_u32_e32 v16, vcc_lo, v12, v16, vcc_lo
	v_lshlrev_b64 v[13:14], 1, v[13:14]
	v_add_co_u32 v20, vcc_lo, v6, v20
	v_add_co_ci_u32_e32 v21, vcc_lo, v12, v21, vcc_lo
	s_clause 0x2
	global_store_b16 v[18:19], v44, off
	global_store_b16 v[15:16], v38, off
	;; [unrolled: 1-line block ×3, first 2 shown]
	v_add_co_u32 v13, vcc_lo, v6, v13
	v_add_co_ci_u32_e32 v14, vcc_lo, v12, v14, vcc_lo
	global_store_b16 v[13:14], v40, off
	s_or_b32 exec_lo, exec_lo, s15
	s_delay_alu instid0(SALU_CYCLE_1)
	s_and_b32 exec_lo, exec_lo, s17
	s_cbranch_execnz .LBB668_190
	s_branch .LBB668_191
.LBB668_300:
	s_and_saveexec_b32 s17, s14
	s_cbranch_execnz .LBB668_356
; %bb.301:
	s_or_b32 exec_lo, exec_lo, s17
	s_and_saveexec_b32 s14, s13
	s_cbranch_execnz .LBB668_357
.LBB668_302:
	s_or_b32 exec_lo, exec_lo, s14
	s_and_saveexec_b32 s13, s12
	s_cbranch_execnz .LBB668_358
.LBB668_303:
	s_or_b32 exec_lo, exec_lo, s13
	s_and_saveexec_b32 s12, s11
	s_cbranch_execnz .LBB668_359
.LBB668_304:
	s_or_b32 exec_lo, exec_lo, s12
	s_and_saveexec_b32 s11, s10
	s_cbranch_execnz .LBB668_360
.LBB668_305:
	s_or_b32 exec_lo, exec_lo, s11
	s_and_saveexec_b32 s10, s9
	s_cbranch_execnz .LBB668_361
.LBB668_306:
	s_or_b32 exec_lo, exec_lo, s10
	s_and_saveexec_b32 s9, s8
	s_cbranch_execnz .LBB668_362
.LBB668_307:
	s_or_b32 exec_lo, exec_lo, s9
	s_and_saveexec_b32 s8, s7
	s_cbranch_execnz .LBB668_363
.LBB668_308:
	s_or_b32 exec_lo, exec_lo, s8
	s_and_saveexec_b32 s7, s6
	s_cbranch_execnz .LBB668_364
.LBB668_309:
	s_or_b32 exec_lo, exec_lo, s7
	s_and_saveexec_b32 s6, s5
	s_cbranch_execnz .LBB668_365
.LBB668_310:
	s_or_b32 exec_lo, exec_lo, s6
	s_and_saveexec_b32 s5, s4
	s_cbranch_execnz .LBB668_366
.LBB668_311:
	s_or_b32 exec_lo, exec_lo, s5
	s_and_saveexec_b32 s4, s3
	s_cbranch_execnz .LBB668_367
.LBB668_312:
	s_or_b32 exec_lo, exec_lo, s4
	s_and_saveexec_b32 s3, s2
	s_cbranch_execnz .LBB668_368
.LBB668_313:
	s_or_b32 exec_lo, exec_lo, s3
	s_and_saveexec_b32 s2, s1
	s_cbranch_execz .LBB668_315
.LBB668_314:
	v_sub_nc_u32_e32 v8, v39, v3
	s_delay_alu instid0(VALU_DEP_1)
	v_lshlrev_b32_e32 v8, 1, v8
	ds_store_b16 v8, v40
.LBB668_315:
	s_or_b32 exec_lo, exec_lo, s2
	s_delay_alu instid0(SALU_CYCLE_1)
	s_and_b32 s17, s0, exec_lo
                                        ; implicit-def: $vgpr55_vgpr56
                                        ; implicit-def: $vgpr49_vgpr50
                                        ; implicit-def: $vgpr51_vgpr52
                                        ; implicit-def: $vgpr47_vgpr48
                                        ; implicit-def: $vgpr35_vgpr36
                                        ; implicit-def: $vgpr31_vgpr32
                                        ; implicit-def: $vgpr33_vgpr34
                                        ; implicit-def: $vgpr53_vgpr54
                                        ; implicit-def: $vgpr57_vgpr58
                                        ; implicit-def: $vgpr45_vgpr46
                                        ; implicit-def: $vgpr43_vgpr44
                                        ; implicit-def: $vgpr37_vgpr38
                                        ; implicit-def: $vgpr41_vgpr42
                                        ; implicit-def: $vgpr39_vgpr40
	s_and_not1_saveexec_b32 s0, s16
	s_cbranch_execz .LBB668_195
.LBB668_316:
	v_sub_nc_u32_e32 v8, v55, v3
	v_sub_nc_u32_e32 v9, v49, v3
	;; [unrolled: 1-line block ×5, first 2 shown]
	v_lshlrev_b32_e32 v8, 1, v8
	v_lshlrev_b32_e32 v9, 1, v9
	v_lshlrev_b32_e32 v13, 1, v13
	v_lshlrev_b32_e32 v14, 1, v14
	s_or_b32 s17, s17, exec_lo
	ds_store_b16 v8, v56
	ds_store_b16 v9, v50
	;; [unrolled: 1-line block ×3, first 2 shown]
	v_sub_nc_u32_e32 v8, v35, v3
	v_sub_nc_u32_e32 v9, v31, v3
	;; [unrolled: 1-line block ×3, first 2 shown]
	ds_store_b16 v14, v48
	v_sub_nc_u32_e32 v14, v53, v3
	v_lshlrev_b32_e32 v8, 1, v8
	v_lshlrev_b32_e32 v9, 1, v9
	;; [unrolled: 1-line block ×3, first 2 shown]
	s_delay_alu instid0(VALU_DEP_4)
	v_lshlrev_b32_e32 v14, 1, v14
	ds_store_b16 v8, v36
	v_lshlrev_b32_e32 v8, 1, v15
	ds_store_b16 v9, v32
	ds_store_b16 v13, v34
	;; [unrolled: 1-line block ×3, first 2 shown]
	v_sub_nc_u32_e32 v9, v45, v3
	v_sub_nc_u32_e32 v15, v39, v3
	;; [unrolled: 1-line block ×3, first 2 shown]
	ds_store_b16 v8, v58
	v_sub_nc_u32_e32 v8, v43, v3
	v_lshlrev_b32_e32 v9, 1, v9
	v_sub_nc_u32_e32 v14, v41, v3
	v_lshlrev_b32_e32 v13, 1, v13
	s_delay_alu instid0(VALU_DEP_4)
	v_lshlrev_b32_e32 v8, 1, v8
	ds_store_b16 v9, v46
	v_lshlrev_b32_e32 v9, 1, v15
	v_lshlrev_b32_e32 v14, 1, v14
	ds_store_b16 v8, v44
	ds_store_b16 v13, v38
	;; [unrolled: 1-line block ×4, first 2 shown]
	s_or_b32 exec_lo, exec_lo, s0
	s_delay_alu instid0(SALU_CYCLE_1)
	s_and_b32 exec_lo, exec_lo, s17
	s_cbranch_execnz .LBB668_196
	s_branch .LBB668_197
.LBB668_317:
	v_sub_nc_u32_e32 v66, v55, v7
	v_mov_b32_e32 v67, 0
	s_delay_alu instid0(VALU_DEP_1) | instskip(NEXT) | instid1(VALU_DEP_1)
	v_lshlrev_b64 v[66:67], 1, v[66:67]
	v_add_co_u32 v66, vcc_lo, v6, v66
	s_delay_alu instid0(VALU_DEP_2)
	v_add_co_ci_u32_e32 v67, vcc_lo, v64, v67, vcc_lo
	global_store_b16 v[66:67], v62, off
	s_or_b32 exec_lo, exec_lo, s17
	s_and_saveexec_b32 s17, s13
	s_cbranch_execz .LBB668_251
.LBB668_318:
	v_sub_nc_u32_e32 v66, v49, v7
	v_mov_b32_e32 v67, 0
	s_delay_alu instid0(VALU_DEP_1) | instskip(NEXT) | instid1(VALU_DEP_1)
	v_lshlrev_b64 v[66:67], 1, v[66:67]
	v_add_co_u32 v66, vcc_lo, v6, v66
	s_delay_alu instid0(VALU_DEP_2)
	v_add_co_ci_u32_e32 v67, vcc_lo, v64, v67, vcc_lo
	global_store_b16 v[66:67], v1, off
	s_or_b32 exec_lo, exec_lo, s17
	s_and_saveexec_b32 s17, s12
	s_cbranch_execz .LBB668_252
.LBB668_319:
	v_sub_nc_u32_e32 v66, v51, v7
	v_mov_b32_e32 v67, 0
	s_delay_alu instid0(VALU_DEP_1) | instskip(NEXT) | instid1(VALU_DEP_1)
	v_lshlrev_b64 v[66:67], 1, v[66:67]
	v_add_co_u32 v66, vcc_lo, v6, v66
	s_delay_alu instid0(VALU_DEP_2)
	v_add_co_ci_u32_e32 v67, vcc_lo, v64, v67, vcc_lo
	global_store_d16_hi_b16 v[66:67], v1, off
	s_or_b32 exec_lo, exec_lo, s17
	s_and_saveexec_b32 s17, s11
	s_cbranch_execz .LBB668_253
.LBB668_320:
	v_sub_nc_u32_e32 v66, v47, v7
	v_mov_b32_e32 v67, 0
	s_delay_alu instid0(VALU_DEP_1) | instskip(NEXT) | instid1(VALU_DEP_1)
	v_lshlrev_b64 v[66:67], 1, v[66:67]
	v_add_co_u32 v66, vcc_lo, v6, v66
	s_delay_alu instid0(VALU_DEP_2)
	v_add_co_ci_u32_e32 v67, vcc_lo, v64, v67, vcc_lo
	global_store_b16 v[66:67], v2, off
	s_or_b32 exec_lo, exec_lo, s17
	s_and_saveexec_b32 s17, s10
	s_cbranch_execz .LBB668_254
.LBB668_321:
	v_sub_nc_u32_e32 v66, v35, v7
	v_mov_b32_e32 v67, 0
	s_delay_alu instid0(VALU_DEP_1) | instskip(NEXT) | instid1(VALU_DEP_1)
	v_lshlrev_b64 v[66:67], 1, v[66:67]
	v_add_co_u32 v66, vcc_lo, v6, v66
	s_delay_alu instid0(VALU_DEP_2)
	v_add_co_ci_u32_e32 v67, vcc_lo, v64, v67, vcc_lo
	global_store_d16_hi_b16 v[66:67], v2, off
	s_or_b32 exec_lo, exec_lo, s17
	s_and_saveexec_b32 s17, s9
	s_cbranch_execz .LBB668_255
.LBB668_322:
	v_sub_nc_u32_e32 v66, v31, v7
	v_mov_b32_e32 v67, 0
	s_delay_alu instid0(VALU_DEP_1) | instskip(NEXT) | instid1(VALU_DEP_1)
	v_lshlrev_b64 v[66:67], 1, v[66:67]
	v_add_co_u32 v66, vcc_lo, v6, v66
	s_delay_alu instid0(VALU_DEP_2)
	v_add_co_ci_u32_e32 v67, vcc_lo, v64, v67, vcc_lo
	global_store_b16 v[66:67], v3, off
	s_or_b32 exec_lo, exec_lo, s17
	s_and_saveexec_b32 s17, s7
	s_cbranch_execz .LBB668_256
.LBB668_323:
	v_sub_nc_u32_e32 v66, v33, v7
	v_mov_b32_e32 v67, 0
	s_delay_alu instid0(VALU_DEP_1) | instskip(NEXT) | instid1(VALU_DEP_1)
	v_lshlrev_b64 v[66:67], 1, v[66:67]
	v_add_co_u32 v66, vcc_lo, v6, v66
	s_delay_alu instid0(VALU_DEP_2)
	v_add_co_ci_u32_e32 v67, vcc_lo, v64, v67, vcc_lo
	global_store_d16_hi_b16 v[66:67], v3, off
	s_or_b32 exec_lo, exec_lo, s17
	s_and_saveexec_b32 s17, s5
	s_cbranch_execz .LBB668_257
.LBB668_324:
	v_sub_nc_u32_e32 v66, v53, v7
	v_mov_b32_e32 v67, 0
	s_delay_alu instid0(VALU_DEP_1) | instskip(NEXT) | instid1(VALU_DEP_1)
	v_lshlrev_b64 v[66:67], 1, v[66:67]
	v_add_co_u32 v66, vcc_lo, v6, v66
	s_delay_alu instid0(VALU_DEP_2)
	v_add_co_ci_u32_e32 v67, vcc_lo, v64, v67, vcc_lo
	global_store_b16 v[66:67], v4, off
	s_or_b32 exec_lo, exec_lo, s17
	s_and_saveexec_b32 s17, s8
	s_cbranch_execz .LBB668_258
.LBB668_325:
	v_sub_nc_u32_e32 v66, v57, v7
	v_mov_b32_e32 v67, 0
	s_delay_alu instid0(VALU_DEP_1) | instskip(NEXT) | instid1(VALU_DEP_1)
	v_lshlrev_b64 v[66:67], 1, v[66:67]
	v_add_co_u32 v66, vcc_lo, v6, v66
	s_delay_alu instid0(VALU_DEP_2)
	v_add_co_ci_u32_e32 v67, vcc_lo, v64, v67, vcc_lo
	global_store_d16_hi_b16 v[66:67], v4, off
	s_or_b32 exec_lo, exec_lo, s17
	s_and_saveexec_b32 s17, s6
	s_cbranch_execz .LBB668_259
.LBB668_326:
	v_sub_nc_u32_e32 v66, v45, v7
	v_mov_b32_e32 v67, 0
	s_delay_alu instid0(VALU_DEP_1) | instskip(NEXT) | instid1(VALU_DEP_1)
	v_lshlrev_b64 v[66:67], 1, v[66:67]
	v_add_co_u32 v66, vcc_lo, v6, v66
	s_delay_alu instid0(VALU_DEP_2)
	v_add_co_ci_u32_e32 v67, vcc_lo, v64, v67, vcc_lo
	global_store_b16 v[66:67], v10, off
	s_or_b32 exec_lo, exec_lo, s17
	s_and_saveexec_b32 s17, s4
	s_cbranch_execz .LBB668_260
.LBB668_327:
	v_sub_nc_u32_e32 v66, v43, v7
	v_mov_b32_e32 v67, 0
	s_delay_alu instid0(VALU_DEP_1) | instskip(NEXT) | instid1(VALU_DEP_1)
	v_lshlrev_b64 v[66:67], 1, v[66:67]
	v_add_co_u32 v66, vcc_lo, v6, v66
	s_delay_alu instid0(VALU_DEP_2)
	v_add_co_ci_u32_e32 v67, vcc_lo, v64, v67, vcc_lo
	global_store_d16_hi_b16 v[66:67], v10, off
	s_or_b32 exec_lo, exec_lo, s17
	s_and_saveexec_b32 s17, s3
	s_cbranch_execz .LBB668_261
.LBB668_328:
	v_sub_nc_u32_e32 v66, v37, v7
	v_mov_b32_e32 v67, 0
	s_delay_alu instid0(VALU_DEP_1) | instskip(NEXT) | instid1(VALU_DEP_1)
	v_lshlrev_b64 v[66:67], 1, v[66:67]
	v_add_co_u32 v66, vcc_lo, v6, v66
	s_delay_alu instid0(VALU_DEP_2)
	v_add_co_ci_u32_e32 v67, vcc_lo, v64, v67, vcc_lo
	global_store_b16 v[66:67], v11, off
	s_or_b32 exec_lo, exec_lo, s17
	s_and_saveexec_b32 s17, s2
	s_cbranch_execz .LBB668_262
.LBB668_329:
	v_sub_nc_u32_e32 v66, v41, v7
	v_mov_b32_e32 v67, 0
	s_delay_alu instid0(VALU_DEP_1) | instskip(NEXT) | instid1(VALU_DEP_1)
	v_lshlrev_b64 v[66:67], 1, v[66:67]
	v_add_co_u32 v66, vcc_lo, v6, v66
	s_delay_alu instid0(VALU_DEP_2)
	v_add_co_ci_u32_e32 v67, vcc_lo, v64, v67, vcc_lo
	global_store_d16_hi_b16 v[66:67], v11, off
	s_or_b32 exec_lo, exec_lo, s17
	s_and_saveexec_b32 s17, s1
	s_cbranch_execnz .LBB668_263
	s_branch .LBB668_264
.LBB668_330:
	v_sub_nc_u32_e32 v65, v55, v7
	s_delay_alu instid0(VALU_DEP_1)
	v_lshlrev_b32_e32 v65, 1, v65
	ds_store_b16 v65, v62
	s_or_b32 exec_lo, exec_lo, s17
	s_and_saveexec_b32 s14, s13
	s_cbranch_execz .LBB668_268
.LBB668_331:
	v_sub_nc_u32_e32 v62, v49, v7
	s_delay_alu instid0(VALU_DEP_1)
	v_lshlrev_b32_e32 v62, 1, v62
	ds_store_b16 v62, v1
	s_or_b32 exec_lo, exec_lo, s14
	s_and_saveexec_b32 s13, s12
	s_cbranch_execz .LBB668_269
.LBB668_332:
	v_sub_nc_u32_e32 v62, v51, v7
	s_delay_alu instid0(VALU_DEP_1)
	v_lshlrev_b32_e32 v62, 1, v62
	ds_store_b16_d16_hi v62, v1
	s_or_b32 exec_lo, exec_lo, s13
	s_and_saveexec_b32 s12, s11
	s_cbranch_execz .LBB668_270
.LBB668_333:
	v_sub_nc_u32_e32 v1, v47, v7
	s_delay_alu instid0(VALU_DEP_1)
	v_lshlrev_b32_e32 v1, 1, v1
	ds_store_b16 v1, v2
	s_or_b32 exec_lo, exec_lo, s12
	s_and_saveexec_b32 s11, s10
	s_cbranch_execz .LBB668_271
.LBB668_334:
	v_sub_nc_u32_e32 v1, v35, v7
	s_delay_alu instid0(VALU_DEP_1)
	v_lshlrev_b32_e32 v1, 1, v1
	ds_store_b16_d16_hi v1, v2
	s_or_b32 exec_lo, exec_lo, s11
	s_and_saveexec_b32 s10, s9
	s_cbranch_execz .LBB668_272
.LBB668_335:
	v_sub_nc_u32_e32 v1, v31, v7
	s_delay_alu instid0(VALU_DEP_1)
	v_lshlrev_b32_e32 v1, 1, v1
	ds_store_b16 v1, v3
	s_or_b32 exec_lo, exec_lo, s10
	s_and_saveexec_b32 s9, s7
	s_cbranch_execz .LBB668_273
.LBB668_336:
	v_sub_nc_u32_e32 v1, v33, v7
	s_delay_alu instid0(VALU_DEP_1)
	v_lshlrev_b32_e32 v1, 1, v1
	ds_store_b16_d16_hi v1, v3
	s_or_b32 exec_lo, exec_lo, s9
	s_and_saveexec_b32 s7, s5
	s_cbranch_execz .LBB668_274
.LBB668_337:
	v_sub_nc_u32_e32 v1, v53, v7
	s_delay_alu instid0(VALU_DEP_1)
	v_lshlrev_b32_e32 v1, 1, v1
	ds_store_b16 v1, v4
	s_or_b32 exec_lo, exec_lo, s7
	s_and_saveexec_b32 s5, s8
	s_cbranch_execz .LBB668_275
.LBB668_338:
	v_sub_nc_u32_e32 v1, v57, v7
	s_delay_alu instid0(VALU_DEP_1)
	v_lshlrev_b32_e32 v1, 1, v1
	ds_store_b16_d16_hi v1, v4
	s_or_b32 exec_lo, exec_lo, s5
	s_and_saveexec_b32 s5, s6
	s_cbranch_execz .LBB668_276
.LBB668_339:
	v_sub_nc_u32_e32 v1, v45, v7
	s_delay_alu instid0(VALU_DEP_1)
	v_lshlrev_b32_e32 v1, 1, v1
	ds_store_b16 v1, v10
	s_or_b32 exec_lo, exec_lo, s5
	s_and_saveexec_b32 s5, s4
	s_cbranch_execz .LBB668_277
.LBB668_340:
	v_sub_nc_u32_e32 v1, v43, v7
	s_delay_alu instid0(VALU_DEP_1)
	v_lshlrev_b32_e32 v1, 1, v1
	ds_store_b16_d16_hi v1, v10
	s_or_b32 exec_lo, exec_lo, s5
	s_and_saveexec_b32 s4, s3
	s_cbranch_execz .LBB668_278
.LBB668_341:
	v_sub_nc_u32_e32 v1, v37, v7
	s_delay_alu instid0(VALU_DEP_1)
	v_lshlrev_b32_e32 v1, 1, v1
	ds_store_b16 v1, v11
	s_or_b32 exec_lo, exec_lo, s4
	s_and_saveexec_b32 s3, s2
	s_cbranch_execz .LBB668_279
.LBB668_342:
	v_sub_nc_u32_e32 v1, v41, v7
	s_delay_alu instid0(VALU_DEP_1)
	v_lshlrev_b32_e32 v1, 1, v1
	ds_store_b16_d16_hi v1, v11
	s_or_b32 exec_lo, exec_lo, s3
	s_and_saveexec_b32 s2, s1
	s_cbranch_execnz .LBB668_280
	s_branch .LBB668_281
.LBB668_343:
	v_sub_nc_u32_e32 v13, v55, v3
	v_mov_b32_e32 v14, 0
	s_delay_alu instid0(VALU_DEP_1) | instskip(NEXT) | instid1(VALU_DEP_1)
	v_lshlrev_b64 v[13:14], 1, v[13:14]
	v_add_co_u32 v13, vcc_lo, v6, v13
	s_delay_alu instid0(VALU_DEP_2)
	v_add_co_ci_u32_e32 v14, vcc_lo, v12, v14, vcc_lo
	global_store_b16 v[13:14], v56, off
	s_or_b32 exec_lo, exec_lo, s17
	s_and_saveexec_b32 s17, s13
	s_cbranch_execz .LBB668_285
.LBB668_344:
	v_sub_nc_u32_e32 v13, v49, v3
	v_mov_b32_e32 v14, 0
	s_delay_alu instid0(VALU_DEP_1) | instskip(NEXT) | instid1(VALU_DEP_1)
	v_lshlrev_b64 v[13:14], 1, v[13:14]
	v_add_co_u32 v13, vcc_lo, v6, v13
	s_delay_alu instid0(VALU_DEP_2)
	v_add_co_ci_u32_e32 v14, vcc_lo, v12, v14, vcc_lo
	global_store_b16 v[13:14], v50, off
	s_or_b32 exec_lo, exec_lo, s17
	s_and_saveexec_b32 s17, s12
	s_cbranch_execz .LBB668_286
.LBB668_345:
	v_sub_nc_u32_e32 v13, v51, v3
	v_mov_b32_e32 v14, 0
	s_delay_alu instid0(VALU_DEP_1) | instskip(NEXT) | instid1(VALU_DEP_1)
	v_lshlrev_b64 v[13:14], 1, v[13:14]
	v_add_co_u32 v13, vcc_lo, v6, v13
	s_delay_alu instid0(VALU_DEP_2)
	v_add_co_ci_u32_e32 v14, vcc_lo, v12, v14, vcc_lo
	global_store_b16 v[13:14], v52, off
	s_or_b32 exec_lo, exec_lo, s17
	s_and_saveexec_b32 s17, s11
	s_cbranch_execz .LBB668_287
.LBB668_346:
	v_sub_nc_u32_e32 v13, v47, v3
	v_mov_b32_e32 v14, 0
	s_delay_alu instid0(VALU_DEP_1) | instskip(NEXT) | instid1(VALU_DEP_1)
	v_lshlrev_b64 v[13:14], 1, v[13:14]
	v_add_co_u32 v13, vcc_lo, v6, v13
	s_delay_alu instid0(VALU_DEP_2)
	v_add_co_ci_u32_e32 v14, vcc_lo, v12, v14, vcc_lo
	global_store_b16 v[13:14], v48, off
	s_or_b32 exec_lo, exec_lo, s17
	s_and_saveexec_b32 s17, s10
	s_cbranch_execz .LBB668_288
.LBB668_347:
	v_sub_nc_u32_e32 v13, v35, v3
	v_mov_b32_e32 v14, 0
	s_delay_alu instid0(VALU_DEP_1) | instskip(NEXT) | instid1(VALU_DEP_1)
	v_lshlrev_b64 v[13:14], 1, v[13:14]
	v_add_co_u32 v13, vcc_lo, v6, v13
	s_delay_alu instid0(VALU_DEP_2)
	v_add_co_ci_u32_e32 v14, vcc_lo, v12, v14, vcc_lo
	global_store_b16 v[13:14], v36, off
	s_or_b32 exec_lo, exec_lo, s17
	s_and_saveexec_b32 s17, s9
	s_cbranch_execz .LBB668_289
.LBB668_348:
	v_sub_nc_u32_e32 v13, v31, v3
	v_mov_b32_e32 v14, 0
	s_delay_alu instid0(VALU_DEP_1) | instskip(NEXT) | instid1(VALU_DEP_1)
	v_lshlrev_b64 v[13:14], 1, v[13:14]
	v_add_co_u32 v13, vcc_lo, v6, v13
	s_delay_alu instid0(VALU_DEP_2)
	v_add_co_ci_u32_e32 v14, vcc_lo, v12, v14, vcc_lo
	global_store_b16 v[13:14], v32, off
	s_or_b32 exec_lo, exec_lo, s17
	s_and_saveexec_b32 s17, s8
	s_cbranch_execz .LBB668_290
.LBB668_349:
	v_sub_nc_u32_e32 v13, v33, v3
	v_mov_b32_e32 v14, 0
	s_delay_alu instid0(VALU_DEP_1) | instskip(NEXT) | instid1(VALU_DEP_1)
	v_lshlrev_b64 v[13:14], 1, v[13:14]
	v_add_co_u32 v13, vcc_lo, v6, v13
	s_delay_alu instid0(VALU_DEP_2)
	v_add_co_ci_u32_e32 v14, vcc_lo, v12, v14, vcc_lo
	global_store_b16 v[13:14], v34, off
	s_or_b32 exec_lo, exec_lo, s17
	s_and_saveexec_b32 s17, s7
	s_cbranch_execz .LBB668_291
.LBB668_350:
	v_sub_nc_u32_e32 v13, v53, v3
	v_mov_b32_e32 v14, 0
	s_delay_alu instid0(VALU_DEP_1) | instskip(NEXT) | instid1(VALU_DEP_1)
	v_lshlrev_b64 v[13:14], 1, v[13:14]
	v_add_co_u32 v13, vcc_lo, v6, v13
	s_delay_alu instid0(VALU_DEP_2)
	v_add_co_ci_u32_e32 v14, vcc_lo, v12, v14, vcc_lo
	global_store_b16 v[13:14], v54, off
	s_or_b32 exec_lo, exec_lo, s17
	s_and_saveexec_b32 s17, s6
	s_cbranch_execz .LBB668_292
.LBB668_351:
	v_sub_nc_u32_e32 v13, v57, v3
	v_mov_b32_e32 v14, 0
	s_delay_alu instid0(VALU_DEP_1) | instskip(NEXT) | instid1(VALU_DEP_1)
	v_lshlrev_b64 v[13:14], 1, v[13:14]
	v_add_co_u32 v13, vcc_lo, v6, v13
	s_delay_alu instid0(VALU_DEP_2)
	v_add_co_ci_u32_e32 v14, vcc_lo, v12, v14, vcc_lo
	global_store_b16 v[13:14], v58, off
	s_or_b32 exec_lo, exec_lo, s17
	s_and_saveexec_b32 s17, s5
	s_cbranch_execz .LBB668_293
.LBB668_352:
	v_sub_nc_u32_e32 v13, v45, v3
	v_mov_b32_e32 v14, 0
	s_delay_alu instid0(VALU_DEP_1) | instskip(NEXT) | instid1(VALU_DEP_1)
	v_lshlrev_b64 v[13:14], 1, v[13:14]
	v_add_co_u32 v13, vcc_lo, v6, v13
	s_delay_alu instid0(VALU_DEP_2)
	v_add_co_ci_u32_e32 v14, vcc_lo, v12, v14, vcc_lo
	global_store_b16 v[13:14], v46, off
	s_or_b32 exec_lo, exec_lo, s17
	s_and_saveexec_b32 s17, s4
	s_cbranch_execz .LBB668_294
.LBB668_353:
	v_sub_nc_u32_e32 v13, v43, v3
	v_mov_b32_e32 v14, 0
	s_delay_alu instid0(VALU_DEP_1) | instskip(NEXT) | instid1(VALU_DEP_1)
	v_lshlrev_b64 v[13:14], 1, v[13:14]
	v_add_co_u32 v13, vcc_lo, v6, v13
	s_delay_alu instid0(VALU_DEP_2)
	v_add_co_ci_u32_e32 v14, vcc_lo, v12, v14, vcc_lo
	global_store_b16 v[13:14], v44, off
	s_or_b32 exec_lo, exec_lo, s17
	s_and_saveexec_b32 s17, s3
	s_cbranch_execz .LBB668_295
.LBB668_354:
	v_sub_nc_u32_e32 v13, v37, v3
	v_mov_b32_e32 v14, 0
	s_delay_alu instid0(VALU_DEP_1) | instskip(NEXT) | instid1(VALU_DEP_1)
	v_lshlrev_b64 v[13:14], 1, v[13:14]
	v_add_co_u32 v13, vcc_lo, v6, v13
	s_delay_alu instid0(VALU_DEP_2)
	v_add_co_ci_u32_e32 v14, vcc_lo, v12, v14, vcc_lo
	global_store_b16 v[13:14], v38, off
	s_or_b32 exec_lo, exec_lo, s17
	s_and_saveexec_b32 s17, s2
	s_cbranch_execz .LBB668_296
.LBB668_355:
	v_sub_nc_u32_e32 v13, v41, v3
	v_mov_b32_e32 v14, 0
	s_delay_alu instid0(VALU_DEP_1) | instskip(NEXT) | instid1(VALU_DEP_1)
	v_lshlrev_b64 v[13:14], 1, v[13:14]
	v_add_co_u32 v13, vcc_lo, v6, v13
	s_delay_alu instid0(VALU_DEP_2)
	v_add_co_ci_u32_e32 v14, vcc_lo, v12, v14, vcc_lo
	global_store_b16 v[13:14], v42, off
	s_or_b32 exec_lo, exec_lo, s17
	s_and_saveexec_b32 s17, s1
	s_cbranch_execnz .LBB668_297
	s_branch .LBB668_298
.LBB668_356:
	v_sub_nc_u32_e32 v8, v55, v3
	s_delay_alu instid0(VALU_DEP_1)
	v_lshlrev_b32_e32 v8, 1, v8
	ds_store_b16 v8, v56
	s_or_b32 exec_lo, exec_lo, s17
	s_and_saveexec_b32 s14, s13
	s_cbranch_execz .LBB668_302
.LBB668_357:
	v_sub_nc_u32_e32 v8, v49, v3
	s_delay_alu instid0(VALU_DEP_1)
	v_lshlrev_b32_e32 v8, 1, v8
	ds_store_b16 v8, v50
	s_or_b32 exec_lo, exec_lo, s14
	s_and_saveexec_b32 s13, s12
	s_cbranch_execz .LBB668_303
.LBB668_358:
	v_sub_nc_u32_e32 v8, v51, v3
	s_delay_alu instid0(VALU_DEP_1)
	v_lshlrev_b32_e32 v8, 1, v8
	ds_store_b16 v8, v52
	s_or_b32 exec_lo, exec_lo, s13
	s_and_saveexec_b32 s12, s11
	s_cbranch_execz .LBB668_304
.LBB668_359:
	v_sub_nc_u32_e32 v8, v47, v3
	s_delay_alu instid0(VALU_DEP_1)
	v_lshlrev_b32_e32 v8, 1, v8
	ds_store_b16 v8, v48
	s_or_b32 exec_lo, exec_lo, s12
	s_and_saveexec_b32 s11, s10
	s_cbranch_execz .LBB668_305
.LBB668_360:
	v_sub_nc_u32_e32 v8, v35, v3
	s_delay_alu instid0(VALU_DEP_1)
	v_lshlrev_b32_e32 v8, 1, v8
	ds_store_b16 v8, v36
	s_or_b32 exec_lo, exec_lo, s11
	s_and_saveexec_b32 s10, s9
	s_cbranch_execz .LBB668_306
.LBB668_361:
	v_sub_nc_u32_e32 v8, v31, v3
	s_delay_alu instid0(VALU_DEP_1)
	v_lshlrev_b32_e32 v8, 1, v8
	ds_store_b16 v8, v32
	s_or_b32 exec_lo, exec_lo, s10
	s_and_saveexec_b32 s9, s8
	s_cbranch_execz .LBB668_307
.LBB668_362:
	v_sub_nc_u32_e32 v8, v33, v3
	s_delay_alu instid0(VALU_DEP_1)
	v_lshlrev_b32_e32 v8, 1, v8
	ds_store_b16 v8, v34
	s_or_b32 exec_lo, exec_lo, s9
	s_and_saveexec_b32 s8, s7
	s_cbranch_execz .LBB668_308
.LBB668_363:
	v_sub_nc_u32_e32 v8, v53, v3
	s_delay_alu instid0(VALU_DEP_1)
	v_lshlrev_b32_e32 v8, 1, v8
	ds_store_b16 v8, v54
	s_or_b32 exec_lo, exec_lo, s8
	s_and_saveexec_b32 s7, s6
	s_cbranch_execz .LBB668_309
.LBB668_364:
	v_sub_nc_u32_e32 v8, v57, v3
	s_delay_alu instid0(VALU_DEP_1)
	v_lshlrev_b32_e32 v8, 1, v8
	ds_store_b16 v8, v58
	s_or_b32 exec_lo, exec_lo, s7
	s_and_saveexec_b32 s6, s5
	s_cbranch_execz .LBB668_310
.LBB668_365:
	v_sub_nc_u32_e32 v8, v45, v3
	s_delay_alu instid0(VALU_DEP_1)
	v_lshlrev_b32_e32 v8, 1, v8
	ds_store_b16 v8, v46
	s_or_b32 exec_lo, exec_lo, s6
	s_and_saveexec_b32 s5, s4
	s_cbranch_execz .LBB668_311
.LBB668_366:
	v_sub_nc_u32_e32 v8, v43, v3
	s_delay_alu instid0(VALU_DEP_1)
	v_lshlrev_b32_e32 v8, 1, v8
	ds_store_b16 v8, v44
	s_or_b32 exec_lo, exec_lo, s5
	s_and_saveexec_b32 s4, s3
	s_cbranch_execz .LBB668_312
.LBB668_367:
	v_sub_nc_u32_e32 v8, v37, v3
	s_delay_alu instid0(VALU_DEP_1)
	v_lshlrev_b32_e32 v8, 1, v8
	ds_store_b16 v8, v38
	s_or_b32 exec_lo, exec_lo, s4
	s_and_saveexec_b32 s3, s2
	s_cbranch_execz .LBB668_313
.LBB668_368:
	v_sub_nc_u32_e32 v8, v41, v3
	s_delay_alu instid0(VALU_DEP_1)
	v_lshlrev_b32_e32 v8, 1, v8
	ds_store_b16 v8, v42
	s_or_b32 exec_lo, exec_lo, s3
	s_and_saveexec_b32 s2, s1
	s_cbranch_execnz .LBB668_314
	s_branch .LBB668_315
	.section	.rodata,"a",@progbits
	.p2align	6, 0x0
	.amdhsa_kernel _ZN7rocprim17ROCPRIM_400000_NS6detail17trampoline_kernelINS0_14default_configENS1_29reduce_by_key_config_selectorIssN6thrust23THRUST_200600_302600_NS4plusIsEEEEZZNS1_33reduce_by_key_impl_wrapped_configILNS1_25lookback_scan_determinismE0ES3_S9_NS6_6detail15normal_iteratorINS6_10device_ptrIsEEEESG_SG_SG_PmS8_22is_equal_div_10_reduceIsEEE10hipError_tPvRmT2_T3_mT4_T5_T6_T7_T8_P12ihipStream_tbENKUlT_T0_E_clISt17integral_constantIbLb0EES11_EEDaSW_SX_EUlSW_E_NS1_11comp_targetILNS1_3genE9ELNS1_11target_archE1100ELNS1_3gpuE3ELNS1_3repE0EEENS1_30default_config_static_selectorELNS0_4arch9wavefront6targetE0EEEvT1_
		.amdhsa_group_segment_fixed_size 7680
		.amdhsa_private_segment_fixed_size 0
		.amdhsa_kernarg_size 120
		.amdhsa_user_sgpr_count 15
		.amdhsa_user_sgpr_dispatch_ptr 0
		.amdhsa_user_sgpr_queue_ptr 0
		.amdhsa_user_sgpr_kernarg_segment_ptr 1
		.amdhsa_user_sgpr_dispatch_id 0
		.amdhsa_user_sgpr_private_segment_size 0
		.amdhsa_wavefront_size32 1
		.amdhsa_uses_dynamic_stack 0
		.amdhsa_enable_private_segment 0
		.amdhsa_system_sgpr_workgroup_id_x 1
		.amdhsa_system_sgpr_workgroup_id_y 0
		.amdhsa_system_sgpr_workgroup_id_z 0
		.amdhsa_system_sgpr_workgroup_info 0
		.amdhsa_system_vgpr_workitem_id 0
		.amdhsa_next_free_vgpr 102
		.amdhsa_next_free_sgpr 44
		.amdhsa_reserve_vcc 1
		.amdhsa_float_round_mode_32 0
		.amdhsa_float_round_mode_16_64 0
		.amdhsa_float_denorm_mode_32 3
		.amdhsa_float_denorm_mode_16_64 3
		.amdhsa_dx10_clamp 1
		.amdhsa_ieee_mode 1
		.amdhsa_fp16_overflow 0
		.amdhsa_workgroup_processor_mode 1
		.amdhsa_memory_ordered 1
		.amdhsa_forward_progress 0
		.amdhsa_shared_vgpr_count 0
		.amdhsa_exception_fp_ieee_invalid_op 0
		.amdhsa_exception_fp_denorm_src 0
		.amdhsa_exception_fp_ieee_div_zero 0
		.amdhsa_exception_fp_ieee_overflow 0
		.amdhsa_exception_fp_ieee_underflow 0
		.amdhsa_exception_fp_ieee_inexact 0
		.amdhsa_exception_int_div_zero 0
	.end_amdhsa_kernel
	.section	.text._ZN7rocprim17ROCPRIM_400000_NS6detail17trampoline_kernelINS0_14default_configENS1_29reduce_by_key_config_selectorIssN6thrust23THRUST_200600_302600_NS4plusIsEEEEZZNS1_33reduce_by_key_impl_wrapped_configILNS1_25lookback_scan_determinismE0ES3_S9_NS6_6detail15normal_iteratorINS6_10device_ptrIsEEEESG_SG_SG_PmS8_22is_equal_div_10_reduceIsEEE10hipError_tPvRmT2_T3_mT4_T5_T6_T7_T8_P12ihipStream_tbENKUlT_T0_E_clISt17integral_constantIbLb0EES11_EEDaSW_SX_EUlSW_E_NS1_11comp_targetILNS1_3genE9ELNS1_11target_archE1100ELNS1_3gpuE3ELNS1_3repE0EEENS1_30default_config_static_selectorELNS0_4arch9wavefront6targetE0EEEvT1_,"axG",@progbits,_ZN7rocprim17ROCPRIM_400000_NS6detail17trampoline_kernelINS0_14default_configENS1_29reduce_by_key_config_selectorIssN6thrust23THRUST_200600_302600_NS4plusIsEEEEZZNS1_33reduce_by_key_impl_wrapped_configILNS1_25lookback_scan_determinismE0ES3_S9_NS6_6detail15normal_iteratorINS6_10device_ptrIsEEEESG_SG_SG_PmS8_22is_equal_div_10_reduceIsEEE10hipError_tPvRmT2_T3_mT4_T5_T6_T7_T8_P12ihipStream_tbENKUlT_T0_E_clISt17integral_constantIbLb0EES11_EEDaSW_SX_EUlSW_E_NS1_11comp_targetILNS1_3genE9ELNS1_11target_archE1100ELNS1_3gpuE3ELNS1_3repE0EEENS1_30default_config_static_selectorELNS0_4arch9wavefront6targetE0EEEvT1_,comdat
.Lfunc_end668:
	.size	_ZN7rocprim17ROCPRIM_400000_NS6detail17trampoline_kernelINS0_14default_configENS1_29reduce_by_key_config_selectorIssN6thrust23THRUST_200600_302600_NS4plusIsEEEEZZNS1_33reduce_by_key_impl_wrapped_configILNS1_25lookback_scan_determinismE0ES3_S9_NS6_6detail15normal_iteratorINS6_10device_ptrIsEEEESG_SG_SG_PmS8_22is_equal_div_10_reduceIsEEE10hipError_tPvRmT2_T3_mT4_T5_T6_T7_T8_P12ihipStream_tbENKUlT_T0_E_clISt17integral_constantIbLb0EES11_EEDaSW_SX_EUlSW_E_NS1_11comp_targetILNS1_3genE9ELNS1_11target_archE1100ELNS1_3gpuE3ELNS1_3repE0EEENS1_30default_config_static_selectorELNS0_4arch9wavefront6targetE0EEEvT1_, .Lfunc_end668-_ZN7rocprim17ROCPRIM_400000_NS6detail17trampoline_kernelINS0_14default_configENS1_29reduce_by_key_config_selectorIssN6thrust23THRUST_200600_302600_NS4plusIsEEEEZZNS1_33reduce_by_key_impl_wrapped_configILNS1_25lookback_scan_determinismE0ES3_S9_NS6_6detail15normal_iteratorINS6_10device_ptrIsEEEESG_SG_SG_PmS8_22is_equal_div_10_reduceIsEEE10hipError_tPvRmT2_T3_mT4_T5_T6_T7_T8_P12ihipStream_tbENKUlT_T0_E_clISt17integral_constantIbLb0EES11_EEDaSW_SX_EUlSW_E_NS1_11comp_targetILNS1_3genE9ELNS1_11target_archE1100ELNS1_3gpuE3ELNS1_3repE0EEENS1_30default_config_static_selectorELNS0_4arch9wavefront6targetE0EEEvT1_
                                        ; -- End function
	.section	.AMDGPU.csdata,"",@progbits
; Kernel info:
; codeLenInByte = 24592
; NumSgprs: 46
; NumVgprs: 102
; ScratchSize: 0
; MemoryBound: 0
; FloatMode: 240
; IeeeMode: 1
; LDSByteSize: 7680 bytes/workgroup (compile time only)
; SGPRBlocks: 5
; VGPRBlocks: 12
; NumSGPRsForWavesPerEU: 46
; NumVGPRsForWavesPerEU: 102
; Occupancy: 12
; WaveLimiterHint : 1
; COMPUTE_PGM_RSRC2:SCRATCH_EN: 0
; COMPUTE_PGM_RSRC2:USER_SGPR: 15
; COMPUTE_PGM_RSRC2:TRAP_HANDLER: 0
; COMPUTE_PGM_RSRC2:TGID_X_EN: 1
; COMPUTE_PGM_RSRC2:TGID_Y_EN: 0
; COMPUTE_PGM_RSRC2:TGID_Z_EN: 0
; COMPUTE_PGM_RSRC2:TIDIG_COMP_CNT: 0
	.section	.text._ZN7rocprim17ROCPRIM_400000_NS6detail17trampoline_kernelINS0_14default_configENS1_29reduce_by_key_config_selectorIssN6thrust23THRUST_200600_302600_NS4plusIsEEEEZZNS1_33reduce_by_key_impl_wrapped_configILNS1_25lookback_scan_determinismE0ES3_S9_NS6_6detail15normal_iteratorINS6_10device_ptrIsEEEESG_SG_SG_PmS8_22is_equal_div_10_reduceIsEEE10hipError_tPvRmT2_T3_mT4_T5_T6_T7_T8_P12ihipStream_tbENKUlT_T0_E_clISt17integral_constantIbLb0EES11_EEDaSW_SX_EUlSW_E_NS1_11comp_targetILNS1_3genE8ELNS1_11target_archE1030ELNS1_3gpuE2ELNS1_3repE0EEENS1_30default_config_static_selectorELNS0_4arch9wavefront6targetE0EEEvT1_,"axG",@progbits,_ZN7rocprim17ROCPRIM_400000_NS6detail17trampoline_kernelINS0_14default_configENS1_29reduce_by_key_config_selectorIssN6thrust23THRUST_200600_302600_NS4plusIsEEEEZZNS1_33reduce_by_key_impl_wrapped_configILNS1_25lookback_scan_determinismE0ES3_S9_NS6_6detail15normal_iteratorINS6_10device_ptrIsEEEESG_SG_SG_PmS8_22is_equal_div_10_reduceIsEEE10hipError_tPvRmT2_T3_mT4_T5_T6_T7_T8_P12ihipStream_tbENKUlT_T0_E_clISt17integral_constantIbLb0EES11_EEDaSW_SX_EUlSW_E_NS1_11comp_targetILNS1_3genE8ELNS1_11target_archE1030ELNS1_3gpuE2ELNS1_3repE0EEENS1_30default_config_static_selectorELNS0_4arch9wavefront6targetE0EEEvT1_,comdat
	.protected	_ZN7rocprim17ROCPRIM_400000_NS6detail17trampoline_kernelINS0_14default_configENS1_29reduce_by_key_config_selectorIssN6thrust23THRUST_200600_302600_NS4plusIsEEEEZZNS1_33reduce_by_key_impl_wrapped_configILNS1_25lookback_scan_determinismE0ES3_S9_NS6_6detail15normal_iteratorINS6_10device_ptrIsEEEESG_SG_SG_PmS8_22is_equal_div_10_reduceIsEEE10hipError_tPvRmT2_T3_mT4_T5_T6_T7_T8_P12ihipStream_tbENKUlT_T0_E_clISt17integral_constantIbLb0EES11_EEDaSW_SX_EUlSW_E_NS1_11comp_targetILNS1_3genE8ELNS1_11target_archE1030ELNS1_3gpuE2ELNS1_3repE0EEENS1_30default_config_static_selectorELNS0_4arch9wavefront6targetE0EEEvT1_ ; -- Begin function _ZN7rocprim17ROCPRIM_400000_NS6detail17trampoline_kernelINS0_14default_configENS1_29reduce_by_key_config_selectorIssN6thrust23THRUST_200600_302600_NS4plusIsEEEEZZNS1_33reduce_by_key_impl_wrapped_configILNS1_25lookback_scan_determinismE0ES3_S9_NS6_6detail15normal_iteratorINS6_10device_ptrIsEEEESG_SG_SG_PmS8_22is_equal_div_10_reduceIsEEE10hipError_tPvRmT2_T3_mT4_T5_T6_T7_T8_P12ihipStream_tbENKUlT_T0_E_clISt17integral_constantIbLb0EES11_EEDaSW_SX_EUlSW_E_NS1_11comp_targetILNS1_3genE8ELNS1_11target_archE1030ELNS1_3gpuE2ELNS1_3repE0EEENS1_30default_config_static_selectorELNS0_4arch9wavefront6targetE0EEEvT1_
	.globl	_ZN7rocprim17ROCPRIM_400000_NS6detail17trampoline_kernelINS0_14default_configENS1_29reduce_by_key_config_selectorIssN6thrust23THRUST_200600_302600_NS4plusIsEEEEZZNS1_33reduce_by_key_impl_wrapped_configILNS1_25lookback_scan_determinismE0ES3_S9_NS6_6detail15normal_iteratorINS6_10device_ptrIsEEEESG_SG_SG_PmS8_22is_equal_div_10_reduceIsEEE10hipError_tPvRmT2_T3_mT4_T5_T6_T7_T8_P12ihipStream_tbENKUlT_T0_E_clISt17integral_constantIbLb0EES11_EEDaSW_SX_EUlSW_E_NS1_11comp_targetILNS1_3genE8ELNS1_11target_archE1030ELNS1_3gpuE2ELNS1_3repE0EEENS1_30default_config_static_selectorELNS0_4arch9wavefront6targetE0EEEvT1_
	.p2align	8
	.type	_ZN7rocprim17ROCPRIM_400000_NS6detail17trampoline_kernelINS0_14default_configENS1_29reduce_by_key_config_selectorIssN6thrust23THRUST_200600_302600_NS4plusIsEEEEZZNS1_33reduce_by_key_impl_wrapped_configILNS1_25lookback_scan_determinismE0ES3_S9_NS6_6detail15normal_iteratorINS6_10device_ptrIsEEEESG_SG_SG_PmS8_22is_equal_div_10_reduceIsEEE10hipError_tPvRmT2_T3_mT4_T5_T6_T7_T8_P12ihipStream_tbENKUlT_T0_E_clISt17integral_constantIbLb0EES11_EEDaSW_SX_EUlSW_E_NS1_11comp_targetILNS1_3genE8ELNS1_11target_archE1030ELNS1_3gpuE2ELNS1_3repE0EEENS1_30default_config_static_selectorELNS0_4arch9wavefront6targetE0EEEvT1_,@function
_ZN7rocprim17ROCPRIM_400000_NS6detail17trampoline_kernelINS0_14default_configENS1_29reduce_by_key_config_selectorIssN6thrust23THRUST_200600_302600_NS4plusIsEEEEZZNS1_33reduce_by_key_impl_wrapped_configILNS1_25lookback_scan_determinismE0ES3_S9_NS6_6detail15normal_iteratorINS6_10device_ptrIsEEEESG_SG_SG_PmS8_22is_equal_div_10_reduceIsEEE10hipError_tPvRmT2_T3_mT4_T5_T6_T7_T8_P12ihipStream_tbENKUlT_T0_E_clISt17integral_constantIbLb0EES11_EEDaSW_SX_EUlSW_E_NS1_11comp_targetILNS1_3genE8ELNS1_11target_archE1030ELNS1_3gpuE2ELNS1_3repE0EEENS1_30default_config_static_selectorELNS0_4arch9wavefront6targetE0EEEvT1_: ; @_ZN7rocprim17ROCPRIM_400000_NS6detail17trampoline_kernelINS0_14default_configENS1_29reduce_by_key_config_selectorIssN6thrust23THRUST_200600_302600_NS4plusIsEEEEZZNS1_33reduce_by_key_impl_wrapped_configILNS1_25lookback_scan_determinismE0ES3_S9_NS6_6detail15normal_iteratorINS6_10device_ptrIsEEEESG_SG_SG_PmS8_22is_equal_div_10_reduceIsEEE10hipError_tPvRmT2_T3_mT4_T5_T6_T7_T8_P12ihipStream_tbENKUlT_T0_E_clISt17integral_constantIbLb0EES11_EEDaSW_SX_EUlSW_E_NS1_11comp_targetILNS1_3genE8ELNS1_11target_archE1030ELNS1_3gpuE2ELNS1_3repE0EEENS1_30default_config_static_selectorELNS0_4arch9wavefront6targetE0EEEvT1_
; %bb.0:
	.section	.rodata,"a",@progbits
	.p2align	6, 0x0
	.amdhsa_kernel _ZN7rocprim17ROCPRIM_400000_NS6detail17trampoline_kernelINS0_14default_configENS1_29reduce_by_key_config_selectorIssN6thrust23THRUST_200600_302600_NS4plusIsEEEEZZNS1_33reduce_by_key_impl_wrapped_configILNS1_25lookback_scan_determinismE0ES3_S9_NS6_6detail15normal_iteratorINS6_10device_ptrIsEEEESG_SG_SG_PmS8_22is_equal_div_10_reduceIsEEE10hipError_tPvRmT2_T3_mT4_T5_T6_T7_T8_P12ihipStream_tbENKUlT_T0_E_clISt17integral_constantIbLb0EES11_EEDaSW_SX_EUlSW_E_NS1_11comp_targetILNS1_3genE8ELNS1_11target_archE1030ELNS1_3gpuE2ELNS1_3repE0EEENS1_30default_config_static_selectorELNS0_4arch9wavefront6targetE0EEEvT1_
		.amdhsa_group_segment_fixed_size 0
		.amdhsa_private_segment_fixed_size 0
		.amdhsa_kernarg_size 120
		.amdhsa_user_sgpr_count 15
		.amdhsa_user_sgpr_dispatch_ptr 0
		.amdhsa_user_sgpr_queue_ptr 0
		.amdhsa_user_sgpr_kernarg_segment_ptr 1
		.amdhsa_user_sgpr_dispatch_id 0
		.amdhsa_user_sgpr_private_segment_size 0
		.amdhsa_wavefront_size32 1
		.amdhsa_uses_dynamic_stack 0
		.amdhsa_enable_private_segment 0
		.amdhsa_system_sgpr_workgroup_id_x 1
		.amdhsa_system_sgpr_workgroup_id_y 0
		.amdhsa_system_sgpr_workgroup_id_z 0
		.amdhsa_system_sgpr_workgroup_info 0
		.amdhsa_system_vgpr_workitem_id 0
		.amdhsa_next_free_vgpr 1
		.amdhsa_next_free_sgpr 1
		.amdhsa_reserve_vcc 0
		.amdhsa_float_round_mode_32 0
		.amdhsa_float_round_mode_16_64 0
		.amdhsa_float_denorm_mode_32 3
		.amdhsa_float_denorm_mode_16_64 3
		.amdhsa_dx10_clamp 1
		.amdhsa_ieee_mode 1
		.amdhsa_fp16_overflow 0
		.amdhsa_workgroup_processor_mode 1
		.amdhsa_memory_ordered 1
		.amdhsa_forward_progress 0
		.amdhsa_shared_vgpr_count 0
		.amdhsa_exception_fp_ieee_invalid_op 0
		.amdhsa_exception_fp_denorm_src 0
		.amdhsa_exception_fp_ieee_div_zero 0
		.amdhsa_exception_fp_ieee_overflow 0
		.amdhsa_exception_fp_ieee_underflow 0
		.amdhsa_exception_fp_ieee_inexact 0
		.amdhsa_exception_int_div_zero 0
	.end_amdhsa_kernel
	.section	.text._ZN7rocprim17ROCPRIM_400000_NS6detail17trampoline_kernelINS0_14default_configENS1_29reduce_by_key_config_selectorIssN6thrust23THRUST_200600_302600_NS4plusIsEEEEZZNS1_33reduce_by_key_impl_wrapped_configILNS1_25lookback_scan_determinismE0ES3_S9_NS6_6detail15normal_iteratorINS6_10device_ptrIsEEEESG_SG_SG_PmS8_22is_equal_div_10_reduceIsEEE10hipError_tPvRmT2_T3_mT4_T5_T6_T7_T8_P12ihipStream_tbENKUlT_T0_E_clISt17integral_constantIbLb0EES11_EEDaSW_SX_EUlSW_E_NS1_11comp_targetILNS1_3genE8ELNS1_11target_archE1030ELNS1_3gpuE2ELNS1_3repE0EEENS1_30default_config_static_selectorELNS0_4arch9wavefront6targetE0EEEvT1_,"axG",@progbits,_ZN7rocprim17ROCPRIM_400000_NS6detail17trampoline_kernelINS0_14default_configENS1_29reduce_by_key_config_selectorIssN6thrust23THRUST_200600_302600_NS4plusIsEEEEZZNS1_33reduce_by_key_impl_wrapped_configILNS1_25lookback_scan_determinismE0ES3_S9_NS6_6detail15normal_iteratorINS6_10device_ptrIsEEEESG_SG_SG_PmS8_22is_equal_div_10_reduceIsEEE10hipError_tPvRmT2_T3_mT4_T5_T6_T7_T8_P12ihipStream_tbENKUlT_T0_E_clISt17integral_constantIbLb0EES11_EEDaSW_SX_EUlSW_E_NS1_11comp_targetILNS1_3genE8ELNS1_11target_archE1030ELNS1_3gpuE2ELNS1_3repE0EEENS1_30default_config_static_selectorELNS0_4arch9wavefront6targetE0EEEvT1_,comdat
.Lfunc_end669:
	.size	_ZN7rocprim17ROCPRIM_400000_NS6detail17trampoline_kernelINS0_14default_configENS1_29reduce_by_key_config_selectorIssN6thrust23THRUST_200600_302600_NS4plusIsEEEEZZNS1_33reduce_by_key_impl_wrapped_configILNS1_25lookback_scan_determinismE0ES3_S9_NS6_6detail15normal_iteratorINS6_10device_ptrIsEEEESG_SG_SG_PmS8_22is_equal_div_10_reduceIsEEE10hipError_tPvRmT2_T3_mT4_T5_T6_T7_T8_P12ihipStream_tbENKUlT_T0_E_clISt17integral_constantIbLb0EES11_EEDaSW_SX_EUlSW_E_NS1_11comp_targetILNS1_3genE8ELNS1_11target_archE1030ELNS1_3gpuE2ELNS1_3repE0EEENS1_30default_config_static_selectorELNS0_4arch9wavefront6targetE0EEEvT1_, .Lfunc_end669-_ZN7rocprim17ROCPRIM_400000_NS6detail17trampoline_kernelINS0_14default_configENS1_29reduce_by_key_config_selectorIssN6thrust23THRUST_200600_302600_NS4plusIsEEEEZZNS1_33reduce_by_key_impl_wrapped_configILNS1_25lookback_scan_determinismE0ES3_S9_NS6_6detail15normal_iteratorINS6_10device_ptrIsEEEESG_SG_SG_PmS8_22is_equal_div_10_reduceIsEEE10hipError_tPvRmT2_T3_mT4_T5_T6_T7_T8_P12ihipStream_tbENKUlT_T0_E_clISt17integral_constantIbLb0EES11_EEDaSW_SX_EUlSW_E_NS1_11comp_targetILNS1_3genE8ELNS1_11target_archE1030ELNS1_3gpuE2ELNS1_3repE0EEENS1_30default_config_static_selectorELNS0_4arch9wavefront6targetE0EEEvT1_
                                        ; -- End function
	.section	.AMDGPU.csdata,"",@progbits
; Kernel info:
; codeLenInByte = 0
; NumSgprs: 0
; NumVgprs: 0
; ScratchSize: 0
; MemoryBound: 0
; FloatMode: 240
; IeeeMode: 1
; LDSByteSize: 0 bytes/workgroup (compile time only)
; SGPRBlocks: 0
; VGPRBlocks: 0
; NumSGPRsForWavesPerEU: 1
; NumVGPRsForWavesPerEU: 1
; Occupancy: 16
; WaveLimiterHint : 0
; COMPUTE_PGM_RSRC2:SCRATCH_EN: 0
; COMPUTE_PGM_RSRC2:USER_SGPR: 15
; COMPUTE_PGM_RSRC2:TRAP_HANDLER: 0
; COMPUTE_PGM_RSRC2:TGID_X_EN: 1
; COMPUTE_PGM_RSRC2:TGID_Y_EN: 0
; COMPUTE_PGM_RSRC2:TGID_Z_EN: 0
; COMPUTE_PGM_RSRC2:TIDIG_COMP_CNT: 0
	.section	.text._ZN7rocprim17ROCPRIM_400000_NS6detail17trampoline_kernelINS0_14default_configENS1_29reduce_by_key_config_selectorIssN6thrust23THRUST_200600_302600_NS4plusIsEEEEZZNS1_33reduce_by_key_impl_wrapped_configILNS1_25lookback_scan_determinismE0ES3_S9_NS6_6detail15normal_iteratorINS6_10device_ptrIsEEEESG_SG_SG_PmS8_22is_equal_div_10_reduceIsEEE10hipError_tPvRmT2_T3_mT4_T5_T6_T7_T8_P12ihipStream_tbENKUlT_T0_E_clISt17integral_constantIbLb1EES11_EEDaSW_SX_EUlSW_E_NS1_11comp_targetILNS1_3genE0ELNS1_11target_archE4294967295ELNS1_3gpuE0ELNS1_3repE0EEENS1_30default_config_static_selectorELNS0_4arch9wavefront6targetE0EEEvT1_,"axG",@progbits,_ZN7rocprim17ROCPRIM_400000_NS6detail17trampoline_kernelINS0_14default_configENS1_29reduce_by_key_config_selectorIssN6thrust23THRUST_200600_302600_NS4plusIsEEEEZZNS1_33reduce_by_key_impl_wrapped_configILNS1_25lookback_scan_determinismE0ES3_S9_NS6_6detail15normal_iteratorINS6_10device_ptrIsEEEESG_SG_SG_PmS8_22is_equal_div_10_reduceIsEEE10hipError_tPvRmT2_T3_mT4_T5_T6_T7_T8_P12ihipStream_tbENKUlT_T0_E_clISt17integral_constantIbLb1EES11_EEDaSW_SX_EUlSW_E_NS1_11comp_targetILNS1_3genE0ELNS1_11target_archE4294967295ELNS1_3gpuE0ELNS1_3repE0EEENS1_30default_config_static_selectorELNS0_4arch9wavefront6targetE0EEEvT1_,comdat
	.protected	_ZN7rocprim17ROCPRIM_400000_NS6detail17trampoline_kernelINS0_14default_configENS1_29reduce_by_key_config_selectorIssN6thrust23THRUST_200600_302600_NS4plusIsEEEEZZNS1_33reduce_by_key_impl_wrapped_configILNS1_25lookback_scan_determinismE0ES3_S9_NS6_6detail15normal_iteratorINS6_10device_ptrIsEEEESG_SG_SG_PmS8_22is_equal_div_10_reduceIsEEE10hipError_tPvRmT2_T3_mT4_T5_T6_T7_T8_P12ihipStream_tbENKUlT_T0_E_clISt17integral_constantIbLb1EES11_EEDaSW_SX_EUlSW_E_NS1_11comp_targetILNS1_3genE0ELNS1_11target_archE4294967295ELNS1_3gpuE0ELNS1_3repE0EEENS1_30default_config_static_selectorELNS0_4arch9wavefront6targetE0EEEvT1_ ; -- Begin function _ZN7rocprim17ROCPRIM_400000_NS6detail17trampoline_kernelINS0_14default_configENS1_29reduce_by_key_config_selectorIssN6thrust23THRUST_200600_302600_NS4plusIsEEEEZZNS1_33reduce_by_key_impl_wrapped_configILNS1_25lookback_scan_determinismE0ES3_S9_NS6_6detail15normal_iteratorINS6_10device_ptrIsEEEESG_SG_SG_PmS8_22is_equal_div_10_reduceIsEEE10hipError_tPvRmT2_T3_mT4_T5_T6_T7_T8_P12ihipStream_tbENKUlT_T0_E_clISt17integral_constantIbLb1EES11_EEDaSW_SX_EUlSW_E_NS1_11comp_targetILNS1_3genE0ELNS1_11target_archE4294967295ELNS1_3gpuE0ELNS1_3repE0EEENS1_30default_config_static_selectorELNS0_4arch9wavefront6targetE0EEEvT1_
	.globl	_ZN7rocprim17ROCPRIM_400000_NS6detail17trampoline_kernelINS0_14default_configENS1_29reduce_by_key_config_selectorIssN6thrust23THRUST_200600_302600_NS4plusIsEEEEZZNS1_33reduce_by_key_impl_wrapped_configILNS1_25lookback_scan_determinismE0ES3_S9_NS6_6detail15normal_iteratorINS6_10device_ptrIsEEEESG_SG_SG_PmS8_22is_equal_div_10_reduceIsEEE10hipError_tPvRmT2_T3_mT4_T5_T6_T7_T8_P12ihipStream_tbENKUlT_T0_E_clISt17integral_constantIbLb1EES11_EEDaSW_SX_EUlSW_E_NS1_11comp_targetILNS1_3genE0ELNS1_11target_archE4294967295ELNS1_3gpuE0ELNS1_3repE0EEENS1_30default_config_static_selectorELNS0_4arch9wavefront6targetE0EEEvT1_
	.p2align	8
	.type	_ZN7rocprim17ROCPRIM_400000_NS6detail17trampoline_kernelINS0_14default_configENS1_29reduce_by_key_config_selectorIssN6thrust23THRUST_200600_302600_NS4plusIsEEEEZZNS1_33reduce_by_key_impl_wrapped_configILNS1_25lookback_scan_determinismE0ES3_S9_NS6_6detail15normal_iteratorINS6_10device_ptrIsEEEESG_SG_SG_PmS8_22is_equal_div_10_reduceIsEEE10hipError_tPvRmT2_T3_mT4_T5_T6_T7_T8_P12ihipStream_tbENKUlT_T0_E_clISt17integral_constantIbLb1EES11_EEDaSW_SX_EUlSW_E_NS1_11comp_targetILNS1_3genE0ELNS1_11target_archE4294967295ELNS1_3gpuE0ELNS1_3repE0EEENS1_30default_config_static_selectorELNS0_4arch9wavefront6targetE0EEEvT1_,@function
_ZN7rocprim17ROCPRIM_400000_NS6detail17trampoline_kernelINS0_14default_configENS1_29reduce_by_key_config_selectorIssN6thrust23THRUST_200600_302600_NS4plusIsEEEEZZNS1_33reduce_by_key_impl_wrapped_configILNS1_25lookback_scan_determinismE0ES3_S9_NS6_6detail15normal_iteratorINS6_10device_ptrIsEEEESG_SG_SG_PmS8_22is_equal_div_10_reduceIsEEE10hipError_tPvRmT2_T3_mT4_T5_T6_T7_T8_P12ihipStream_tbENKUlT_T0_E_clISt17integral_constantIbLb1EES11_EEDaSW_SX_EUlSW_E_NS1_11comp_targetILNS1_3genE0ELNS1_11target_archE4294967295ELNS1_3gpuE0ELNS1_3repE0EEENS1_30default_config_static_selectorELNS0_4arch9wavefront6targetE0EEEvT1_: ; @_ZN7rocprim17ROCPRIM_400000_NS6detail17trampoline_kernelINS0_14default_configENS1_29reduce_by_key_config_selectorIssN6thrust23THRUST_200600_302600_NS4plusIsEEEEZZNS1_33reduce_by_key_impl_wrapped_configILNS1_25lookback_scan_determinismE0ES3_S9_NS6_6detail15normal_iteratorINS6_10device_ptrIsEEEESG_SG_SG_PmS8_22is_equal_div_10_reduceIsEEE10hipError_tPvRmT2_T3_mT4_T5_T6_T7_T8_P12ihipStream_tbENKUlT_T0_E_clISt17integral_constantIbLb1EES11_EEDaSW_SX_EUlSW_E_NS1_11comp_targetILNS1_3genE0ELNS1_11target_archE4294967295ELNS1_3gpuE0ELNS1_3repE0EEENS1_30default_config_static_selectorELNS0_4arch9wavefront6targetE0EEEvT1_
; %bb.0:
	.section	.rodata,"a",@progbits
	.p2align	6, 0x0
	.amdhsa_kernel _ZN7rocprim17ROCPRIM_400000_NS6detail17trampoline_kernelINS0_14default_configENS1_29reduce_by_key_config_selectorIssN6thrust23THRUST_200600_302600_NS4plusIsEEEEZZNS1_33reduce_by_key_impl_wrapped_configILNS1_25lookback_scan_determinismE0ES3_S9_NS6_6detail15normal_iteratorINS6_10device_ptrIsEEEESG_SG_SG_PmS8_22is_equal_div_10_reduceIsEEE10hipError_tPvRmT2_T3_mT4_T5_T6_T7_T8_P12ihipStream_tbENKUlT_T0_E_clISt17integral_constantIbLb1EES11_EEDaSW_SX_EUlSW_E_NS1_11comp_targetILNS1_3genE0ELNS1_11target_archE4294967295ELNS1_3gpuE0ELNS1_3repE0EEENS1_30default_config_static_selectorELNS0_4arch9wavefront6targetE0EEEvT1_
		.amdhsa_group_segment_fixed_size 0
		.amdhsa_private_segment_fixed_size 0
		.amdhsa_kernarg_size 120
		.amdhsa_user_sgpr_count 15
		.amdhsa_user_sgpr_dispatch_ptr 0
		.amdhsa_user_sgpr_queue_ptr 0
		.amdhsa_user_sgpr_kernarg_segment_ptr 1
		.amdhsa_user_sgpr_dispatch_id 0
		.amdhsa_user_sgpr_private_segment_size 0
		.amdhsa_wavefront_size32 1
		.amdhsa_uses_dynamic_stack 0
		.amdhsa_enable_private_segment 0
		.amdhsa_system_sgpr_workgroup_id_x 1
		.amdhsa_system_sgpr_workgroup_id_y 0
		.amdhsa_system_sgpr_workgroup_id_z 0
		.amdhsa_system_sgpr_workgroup_info 0
		.amdhsa_system_vgpr_workitem_id 0
		.amdhsa_next_free_vgpr 1
		.amdhsa_next_free_sgpr 1
		.amdhsa_reserve_vcc 0
		.amdhsa_float_round_mode_32 0
		.amdhsa_float_round_mode_16_64 0
		.amdhsa_float_denorm_mode_32 3
		.amdhsa_float_denorm_mode_16_64 3
		.amdhsa_dx10_clamp 1
		.amdhsa_ieee_mode 1
		.amdhsa_fp16_overflow 0
		.amdhsa_workgroup_processor_mode 1
		.amdhsa_memory_ordered 1
		.amdhsa_forward_progress 0
		.amdhsa_shared_vgpr_count 0
		.amdhsa_exception_fp_ieee_invalid_op 0
		.amdhsa_exception_fp_denorm_src 0
		.amdhsa_exception_fp_ieee_div_zero 0
		.amdhsa_exception_fp_ieee_overflow 0
		.amdhsa_exception_fp_ieee_underflow 0
		.amdhsa_exception_fp_ieee_inexact 0
		.amdhsa_exception_int_div_zero 0
	.end_amdhsa_kernel
	.section	.text._ZN7rocprim17ROCPRIM_400000_NS6detail17trampoline_kernelINS0_14default_configENS1_29reduce_by_key_config_selectorIssN6thrust23THRUST_200600_302600_NS4plusIsEEEEZZNS1_33reduce_by_key_impl_wrapped_configILNS1_25lookback_scan_determinismE0ES3_S9_NS6_6detail15normal_iteratorINS6_10device_ptrIsEEEESG_SG_SG_PmS8_22is_equal_div_10_reduceIsEEE10hipError_tPvRmT2_T3_mT4_T5_T6_T7_T8_P12ihipStream_tbENKUlT_T0_E_clISt17integral_constantIbLb1EES11_EEDaSW_SX_EUlSW_E_NS1_11comp_targetILNS1_3genE0ELNS1_11target_archE4294967295ELNS1_3gpuE0ELNS1_3repE0EEENS1_30default_config_static_selectorELNS0_4arch9wavefront6targetE0EEEvT1_,"axG",@progbits,_ZN7rocprim17ROCPRIM_400000_NS6detail17trampoline_kernelINS0_14default_configENS1_29reduce_by_key_config_selectorIssN6thrust23THRUST_200600_302600_NS4plusIsEEEEZZNS1_33reduce_by_key_impl_wrapped_configILNS1_25lookback_scan_determinismE0ES3_S9_NS6_6detail15normal_iteratorINS6_10device_ptrIsEEEESG_SG_SG_PmS8_22is_equal_div_10_reduceIsEEE10hipError_tPvRmT2_T3_mT4_T5_T6_T7_T8_P12ihipStream_tbENKUlT_T0_E_clISt17integral_constantIbLb1EES11_EEDaSW_SX_EUlSW_E_NS1_11comp_targetILNS1_3genE0ELNS1_11target_archE4294967295ELNS1_3gpuE0ELNS1_3repE0EEENS1_30default_config_static_selectorELNS0_4arch9wavefront6targetE0EEEvT1_,comdat
.Lfunc_end670:
	.size	_ZN7rocprim17ROCPRIM_400000_NS6detail17trampoline_kernelINS0_14default_configENS1_29reduce_by_key_config_selectorIssN6thrust23THRUST_200600_302600_NS4plusIsEEEEZZNS1_33reduce_by_key_impl_wrapped_configILNS1_25lookback_scan_determinismE0ES3_S9_NS6_6detail15normal_iteratorINS6_10device_ptrIsEEEESG_SG_SG_PmS8_22is_equal_div_10_reduceIsEEE10hipError_tPvRmT2_T3_mT4_T5_T6_T7_T8_P12ihipStream_tbENKUlT_T0_E_clISt17integral_constantIbLb1EES11_EEDaSW_SX_EUlSW_E_NS1_11comp_targetILNS1_3genE0ELNS1_11target_archE4294967295ELNS1_3gpuE0ELNS1_3repE0EEENS1_30default_config_static_selectorELNS0_4arch9wavefront6targetE0EEEvT1_, .Lfunc_end670-_ZN7rocprim17ROCPRIM_400000_NS6detail17trampoline_kernelINS0_14default_configENS1_29reduce_by_key_config_selectorIssN6thrust23THRUST_200600_302600_NS4plusIsEEEEZZNS1_33reduce_by_key_impl_wrapped_configILNS1_25lookback_scan_determinismE0ES3_S9_NS6_6detail15normal_iteratorINS6_10device_ptrIsEEEESG_SG_SG_PmS8_22is_equal_div_10_reduceIsEEE10hipError_tPvRmT2_T3_mT4_T5_T6_T7_T8_P12ihipStream_tbENKUlT_T0_E_clISt17integral_constantIbLb1EES11_EEDaSW_SX_EUlSW_E_NS1_11comp_targetILNS1_3genE0ELNS1_11target_archE4294967295ELNS1_3gpuE0ELNS1_3repE0EEENS1_30default_config_static_selectorELNS0_4arch9wavefront6targetE0EEEvT1_
                                        ; -- End function
	.section	.AMDGPU.csdata,"",@progbits
; Kernel info:
; codeLenInByte = 0
; NumSgprs: 0
; NumVgprs: 0
; ScratchSize: 0
; MemoryBound: 0
; FloatMode: 240
; IeeeMode: 1
; LDSByteSize: 0 bytes/workgroup (compile time only)
; SGPRBlocks: 0
; VGPRBlocks: 0
; NumSGPRsForWavesPerEU: 1
; NumVGPRsForWavesPerEU: 1
; Occupancy: 16
; WaveLimiterHint : 0
; COMPUTE_PGM_RSRC2:SCRATCH_EN: 0
; COMPUTE_PGM_RSRC2:USER_SGPR: 15
; COMPUTE_PGM_RSRC2:TRAP_HANDLER: 0
; COMPUTE_PGM_RSRC2:TGID_X_EN: 1
; COMPUTE_PGM_RSRC2:TGID_Y_EN: 0
; COMPUTE_PGM_RSRC2:TGID_Z_EN: 0
; COMPUTE_PGM_RSRC2:TIDIG_COMP_CNT: 0
	.section	.text._ZN7rocprim17ROCPRIM_400000_NS6detail17trampoline_kernelINS0_14default_configENS1_29reduce_by_key_config_selectorIssN6thrust23THRUST_200600_302600_NS4plusIsEEEEZZNS1_33reduce_by_key_impl_wrapped_configILNS1_25lookback_scan_determinismE0ES3_S9_NS6_6detail15normal_iteratorINS6_10device_ptrIsEEEESG_SG_SG_PmS8_22is_equal_div_10_reduceIsEEE10hipError_tPvRmT2_T3_mT4_T5_T6_T7_T8_P12ihipStream_tbENKUlT_T0_E_clISt17integral_constantIbLb1EES11_EEDaSW_SX_EUlSW_E_NS1_11comp_targetILNS1_3genE5ELNS1_11target_archE942ELNS1_3gpuE9ELNS1_3repE0EEENS1_30default_config_static_selectorELNS0_4arch9wavefront6targetE0EEEvT1_,"axG",@progbits,_ZN7rocprim17ROCPRIM_400000_NS6detail17trampoline_kernelINS0_14default_configENS1_29reduce_by_key_config_selectorIssN6thrust23THRUST_200600_302600_NS4plusIsEEEEZZNS1_33reduce_by_key_impl_wrapped_configILNS1_25lookback_scan_determinismE0ES3_S9_NS6_6detail15normal_iteratorINS6_10device_ptrIsEEEESG_SG_SG_PmS8_22is_equal_div_10_reduceIsEEE10hipError_tPvRmT2_T3_mT4_T5_T6_T7_T8_P12ihipStream_tbENKUlT_T0_E_clISt17integral_constantIbLb1EES11_EEDaSW_SX_EUlSW_E_NS1_11comp_targetILNS1_3genE5ELNS1_11target_archE942ELNS1_3gpuE9ELNS1_3repE0EEENS1_30default_config_static_selectorELNS0_4arch9wavefront6targetE0EEEvT1_,comdat
	.protected	_ZN7rocprim17ROCPRIM_400000_NS6detail17trampoline_kernelINS0_14default_configENS1_29reduce_by_key_config_selectorIssN6thrust23THRUST_200600_302600_NS4plusIsEEEEZZNS1_33reduce_by_key_impl_wrapped_configILNS1_25lookback_scan_determinismE0ES3_S9_NS6_6detail15normal_iteratorINS6_10device_ptrIsEEEESG_SG_SG_PmS8_22is_equal_div_10_reduceIsEEE10hipError_tPvRmT2_T3_mT4_T5_T6_T7_T8_P12ihipStream_tbENKUlT_T0_E_clISt17integral_constantIbLb1EES11_EEDaSW_SX_EUlSW_E_NS1_11comp_targetILNS1_3genE5ELNS1_11target_archE942ELNS1_3gpuE9ELNS1_3repE0EEENS1_30default_config_static_selectorELNS0_4arch9wavefront6targetE0EEEvT1_ ; -- Begin function _ZN7rocprim17ROCPRIM_400000_NS6detail17trampoline_kernelINS0_14default_configENS1_29reduce_by_key_config_selectorIssN6thrust23THRUST_200600_302600_NS4plusIsEEEEZZNS1_33reduce_by_key_impl_wrapped_configILNS1_25lookback_scan_determinismE0ES3_S9_NS6_6detail15normal_iteratorINS6_10device_ptrIsEEEESG_SG_SG_PmS8_22is_equal_div_10_reduceIsEEE10hipError_tPvRmT2_T3_mT4_T5_T6_T7_T8_P12ihipStream_tbENKUlT_T0_E_clISt17integral_constantIbLb1EES11_EEDaSW_SX_EUlSW_E_NS1_11comp_targetILNS1_3genE5ELNS1_11target_archE942ELNS1_3gpuE9ELNS1_3repE0EEENS1_30default_config_static_selectorELNS0_4arch9wavefront6targetE0EEEvT1_
	.globl	_ZN7rocprim17ROCPRIM_400000_NS6detail17trampoline_kernelINS0_14default_configENS1_29reduce_by_key_config_selectorIssN6thrust23THRUST_200600_302600_NS4plusIsEEEEZZNS1_33reduce_by_key_impl_wrapped_configILNS1_25lookback_scan_determinismE0ES3_S9_NS6_6detail15normal_iteratorINS6_10device_ptrIsEEEESG_SG_SG_PmS8_22is_equal_div_10_reduceIsEEE10hipError_tPvRmT2_T3_mT4_T5_T6_T7_T8_P12ihipStream_tbENKUlT_T0_E_clISt17integral_constantIbLb1EES11_EEDaSW_SX_EUlSW_E_NS1_11comp_targetILNS1_3genE5ELNS1_11target_archE942ELNS1_3gpuE9ELNS1_3repE0EEENS1_30default_config_static_selectorELNS0_4arch9wavefront6targetE0EEEvT1_
	.p2align	8
	.type	_ZN7rocprim17ROCPRIM_400000_NS6detail17trampoline_kernelINS0_14default_configENS1_29reduce_by_key_config_selectorIssN6thrust23THRUST_200600_302600_NS4plusIsEEEEZZNS1_33reduce_by_key_impl_wrapped_configILNS1_25lookback_scan_determinismE0ES3_S9_NS6_6detail15normal_iteratorINS6_10device_ptrIsEEEESG_SG_SG_PmS8_22is_equal_div_10_reduceIsEEE10hipError_tPvRmT2_T3_mT4_T5_T6_T7_T8_P12ihipStream_tbENKUlT_T0_E_clISt17integral_constantIbLb1EES11_EEDaSW_SX_EUlSW_E_NS1_11comp_targetILNS1_3genE5ELNS1_11target_archE942ELNS1_3gpuE9ELNS1_3repE0EEENS1_30default_config_static_selectorELNS0_4arch9wavefront6targetE0EEEvT1_,@function
_ZN7rocprim17ROCPRIM_400000_NS6detail17trampoline_kernelINS0_14default_configENS1_29reduce_by_key_config_selectorIssN6thrust23THRUST_200600_302600_NS4plusIsEEEEZZNS1_33reduce_by_key_impl_wrapped_configILNS1_25lookback_scan_determinismE0ES3_S9_NS6_6detail15normal_iteratorINS6_10device_ptrIsEEEESG_SG_SG_PmS8_22is_equal_div_10_reduceIsEEE10hipError_tPvRmT2_T3_mT4_T5_T6_T7_T8_P12ihipStream_tbENKUlT_T0_E_clISt17integral_constantIbLb1EES11_EEDaSW_SX_EUlSW_E_NS1_11comp_targetILNS1_3genE5ELNS1_11target_archE942ELNS1_3gpuE9ELNS1_3repE0EEENS1_30default_config_static_selectorELNS0_4arch9wavefront6targetE0EEEvT1_: ; @_ZN7rocprim17ROCPRIM_400000_NS6detail17trampoline_kernelINS0_14default_configENS1_29reduce_by_key_config_selectorIssN6thrust23THRUST_200600_302600_NS4plusIsEEEEZZNS1_33reduce_by_key_impl_wrapped_configILNS1_25lookback_scan_determinismE0ES3_S9_NS6_6detail15normal_iteratorINS6_10device_ptrIsEEEESG_SG_SG_PmS8_22is_equal_div_10_reduceIsEEE10hipError_tPvRmT2_T3_mT4_T5_T6_T7_T8_P12ihipStream_tbENKUlT_T0_E_clISt17integral_constantIbLb1EES11_EEDaSW_SX_EUlSW_E_NS1_11comp_targetILNS1_3genE5ELNS1_11target_archE942ELNS1_3gpuE9ELNS1_3repE0EEENS1_30default_config_static_selectorELNS0_4arch9wavefront6targetE0EEEvT1_
; %bb.0:
	.section	.rodata,"a",@progbits
	.p2align	6, 0x0
	.amdhsa_kernel _ZN7rocprim17ROCPRIM_400000_NS6detail17trampoline_kernelINS0_14default_configENS1_29reduce_by_key_config_selectorIssN6thrust23THRUST_200600_302600_NS4plusIsEEEEZZNS1_33reduce_by_key_impl_wrapped_configILNS1_25lookback_scan_determinismE0ES3_S9_NS6_6detail15normal_iteratorINS6_10device_ptrIsEEEESG_SG_SG_PmS8_22is_equal_div_10_reduceIsEEE10hipError_tPvRmT2_T3_mT4_T5_T6_T7_T8_P12ihipStream_tbENKUlT_T0_E_clISt17integral_constantIbLb1EES11_EEDaSW_SX_EUlSW_E_NS1_11comp_targetILNS1_3genE5ELNS1_11target_archE942ELNS1_3gpuE9ELNS1_3repE0EEENS1_30default_config_static_selectorELNS0_4arch9wavefront6targetE0EEEvT1_
		.amdhsa_group_segment_fixed_size 0
		.amdhsa_private_segment_fixed_size 0
		.amdhsa_kernarg_size 120
		.amdhsa_user_sgpr_count 15
		.amdhsa_user_sgpr_dispatch_ptr 0
		.amdhsa_user_sgpr_queue_ptr 0
		.amdhsa_user_sgpr_kernarg_segment_ptr 1
		.amdhsa_user_sgpr_dispatch_id 0
		.amdhsa_user_sgpr_private_segment_size 0
		.amdhsa_wavefront_size32 1
		.amdhsa_uses_dynamic_stack 0
		.amdhsa_enable_private_segment 0
		.amdhsa_system_sgpr_workgroup_id_x 1
		.amdhsa_system_sgpr_workgroup_id_y 0
		.amdhsa_system_sgpr_workgroup_id_z 0
		.amdhsa_system_sgpr_workgroup_info 0
		.amdhsa_system_vgpr_workitem_id 0
		.amdhsa_next_free_vgpr 1
		.amdhsa_next_free_sgpr 1
		.amdhsa_reserve_vcc 0
		.amdhsa_float_round_mode_32 0
		.amdhsa_float_round_mode_16_64 0
		.amdhsa_float_denorm_mode_32 3
		.amdhsa_float_denorm_mode_16_64 3
		.amdhsa_dx10_clamp 1
		.amdhsa_ieee_mode 1
		.amdhsa_fp16_overflow 0
		.amdhsa_workgroup_processor_mode 1
		.amdhsa_memory_ordered 1
		.amdhsa_forward_progress 0
		.amdhsa_shared_vgpr_count 0
		.amdhsa_exception_fp_ieee_invalid_op 0
		.amdhsa_exception_fp_denorm_src 0
		.amdhsa_exception_fp_ieee_div_zero 0
		.amdhsa_exception_fp_ieee_overflow 0
		.amdhsa_exception_fp_ieee_underflow 0
		.amdhsa_exception_fp_ieee_inexact 0
		.amdhsa_exception_int_div_zero 0
	.end_amdhsa_kernel
	.section	.text._ZN7rocprim17ROCPRIM_400000_NS6detail17trampoline_kernelINS0_14default_configENS1_29reduce_by_key_config_selectorIssN6thrust23THRUST_200600_302600_NS4plusIsEEEEZZNS1_33reduce_by_key_impl_wrapped_configILNS1_25lookback_scan_determinismE0ES3_S9_NS6_6detail15normal_iteratorINS6_10device_ptrIsEEEESG_SG_SG_PmS8_22is_equal_div_10_reduceIsEEE10hipError_tPvRmT2_T3_mT4_T5_T6_T7_T8_P12ihipStream_tbENKUlT_T0_E_clISt17integral_constantIbLb1EES11_EEDaSW_SX_EUlSW_E_NS1_11comp_targetILNS1_3genE5ELNS1_11target_archE942ELNS1_3gpuE9ELNS1_3repE0EEENS1_30default_config_static_selectorELNS0_4arch9wavefront6targetE0EEEvT1_,"axG",@progbits,_ZN7rocprim17ROCPRIM_400000_NS6detail17trampoline_kernelINS0_14default_configENS1_29reduce_by_key_config_selectorIssN6thrust23THRUST_200600_302600_NS4plusIsEEEEZZNS1_33reduce_by_key_impl_wrapped_configILNS1_25lookback_scan_determinismE0ES3_S9_NS6_6detail15normal_iteratorINS6_10device_ptrIsEEEESG_SG_SG_PmS8_22is_equal_div_10_reduceIsEEE10hipError_tPvRmT2_T3_mT4_T5_T6_T7_T8_P12ihipStream_tbENKUlT_T0_E_clISt17integral_constantIbLb1EES11_EEDaSW_SX_EUlSW_E_NS1_11comp_targetILNS1_3genE5ELNS1_11target_archE942ELNS1_3gpuE9ELNS1_3repE0EEENS1_30default_config_static_selectorELNS0_4arch9wavefront6targetE0EEEvT1_,comdat
.Lfunc_end671:
	.size	_ZN7rocprim17ROCPRIM_400000_NS6detail17trampoline_kernelINS0_14default_configENS1_29reduce_by_key_config_selectorIssN6thrust23THRUST_200600_302600_NS4plusIsEEEEZZNS1_33reduce_by_key_impl_wrapped_configILNS1_25lookback_scan_determinismE0ES3_S9_NS6_6detail15normal_iteratorINS6_10device_ptrIsEEEESG_SG_SG_PmS8_22is_equal_div_10_reduceIsEEE10hipError_tPvRmT2_T3_mT4_T5_T6_T7_T8_P12ihipStream_tbENKUlT_T0_E_clISt17integral_constantIbLb1EES11_EEDaSW_SX_EUlSW_E_NS1_11comp_targetILNS1_3genE5ELNS1_11target_archE942ELNS1_3gpuE9ELNS1_3repE0EEENS1_30default_config_static_selectorELNS0_4arch9wavefront6targetE0EEEvT1_, .Lfunc_end671-_ZN7rocprim17ROCPRIM_400000_NS6detail17trampoline_kernelINS0_14default_configENS1_29reduce_by_key_config_selectorIssN6thrust23THRUST_200600_302600_NS4plusIsEEEEZZNS1_33reduce_by_key_impl_wrapped_configILNS1_25lookback_scan_determinismE0ES3_S9_NS6_6detail15normal_iteratorINS6_10device_ptrIsEEEESG_SG_SG_PmS8_22is_equal_div_10_reduceIsEEE10hipError_tPvRmT2_T3_mT4_T5_T6_T7_T8_P12ihipStream_tbENKUlT_T0_E_clISt17integral_constantIbLb1EES11_EEDaSW_SX_EUlSW_E_NS1_11comp_targetILNS1_3genE5ELNS1_11target_archE942ELNS1_3gpuE9ELNS1_3repE0EEENS1_30default_config_static_selectorELNS0_4arch9wavefront6targetE0EEEvT1_
                                        ; -- End function
	.section	.AMDGPU.csdata,"",@progbits
; Kernel info:
; codeLenInByte = 0
; NumSgprs: 0
; NumVgprs: 0
; ScratchSize: 0
; MemoryBound: 0
; FloatMode: 240
; IeeeMode: 1
; LDSByteSize: 0 bytes/workgroup (compile time only)
; SGPRBlocks: 0
; VGPRBlocks: 0
; NumSGPRsForWavesPerEU: 1
; NumVGPRsForWavesPerEU: 1
; Occupancy: 16
; WaveLimiterHint : 0
; COMPUTE_PGM_RSRC2:SCRATCH_EN: 0
; COMPUTE_PGM_RSRC2:USER_SGPR: 15
; COMPUTE_PGM_RSRC2:TRAP_HANDLER: 0
; COMPUTE_PGM_RSRC2:TGID_X_EN: 1
; COMPUTE_PGM_RSRC2:TGID_Y_EN: 0
; COMPUTE_PGM_RSRC2:TGID_Z_EN: 0
; COMPUTE_PGM_RSRC2:TIDIG_COMP_CNT: 0
	.section	.text._ZN7rocprim17ROCPRIM_400000_NS6detail17trampoline_kernelINS0_14default_configENS1_29reduce_by_key_config_selectorIssN6thrust23THRUST_200600_302600_NS4plusIsEEEEZZNS1_33reduce_by_key_impl_wrapped_configILNS1_25lookback_scan_determinismE0ES3_S9_NS6_6detail15normal_iteratorINS6_10device_ptrIsEEEESG_SG_SG_PmS8_22is_equal_div_10_reduceIsEEE10hipError_tPvRmT2_T3_mT4_T5_T6_T7_T8_P12ihipStream_tbENKUlT_T0_E_clISt17integral_constantIbLb1EES11_EEDaSW_SX_EUlSW_E_NS1_11comp_targetILNS1_3genE4ELNS1_11target_archE910ELNS1_3gpuE8ELNS1_3repE0EEENS1_30default_config_static_selectorELNS0_4arch9wavefront6targetE0EEEvT1_,"axG",@progbits,_ZN7rocprim17ROCPRIM_400000_NS6detail17trampoline_kernelINS0_14default_configENS1_29reduce_by_key_config_selectorIssN6thrust23THRUST_200600_302600_NS4plusIsEEEEZZNS1_33reduce_by_key_impl_wrapped_configILNS1_25lookback_scan_determinismE0ES3_S9_NS6_6detail15normal_iteratorINS6_10device_ptrIsEEEESG_SG_SG_PmS8_22is_equal_div_10_reduceIsEEE10hipError_tPvRmT2_T3_mT4_T5_T6_T7_T8_P12ihipStream_tbENKUlT_T0_E_clISt17integral_constantIbLb1EES11_EEDaSW_SX_EUlSW_E_NS1_11comp_targetILNS1_3genE4ELNS1_11target_archE910ELNS1_3gpuE8ELNS1_3repE0EEENS1_30default_config_static_selectorELNS0_4arch9wavefront6targetE0EEEvT1_,comdat
	.protected	_ZN7rocprim17ROCPRIM_400000_NS6detail17trampoline_kernelINS0_14default_configENS1_29reduce_by_key_config_selectorIssN6thrust23THRUST_200600_302600_NS4plusIsEEEEZZNS1_33reduce_by_key_impl_wrapped_configILNS1_25lookback_scan_determinismE0ES3_S9_NS6_6detail15normal_iteratorINS6_10device_ptrIsEEEESG_SG_SG_PmS8_22is_equal_div_10_reduceIsEEE10hipError_tPvRmT2_T3_mT4_T5_T6_T7_T8_P12ihipStream_tbENKUlT_T0_E_clISt17integral_constantIbLb1EES11_EEDaSW_SX_EUlSW_E_NS1_11comp_targetILNS1_3genE4ELNS1_11target_archE910ELNS1_3gpuE8ELNS1_3repE0EEENS1_30default_config_static_selectorELNS0_4arch9wavefront6targetE0EEEvT1_ ; -- Begin function _ZN7rocprim17ROCPRIM_400000_NS6detail17trampoline_kernelINS0_14default_configENS1_29reduce_by_key_config_selectorIssN6thrust23THRUST_200600_302600_NS4plusIsEEEEZZNS1_33reduce_by_key_impl_wrapped_configILNS1_25lookback_scan_determinismE0ES3_S9_NS6_6detail15normal_iteratorINS6_10device_ptrIsEEEESG_SG_SG_PmS8_22is_equal_div_10_reduceIsEEE10hipError_tPvRmT2_T3_mT4_T5_T6_T7_T8_P12ihipStream_tbENKUlT_T0_E_clISt17integral_constantIbLb1EES11_EEDaSW_SX_EUlSW_E_NS1_11comp_targetILNS1_3genE4ELNS1_11target_archE910ELNS1_3gpuE8ELNS1_3repE0EEENS1_30default_config_static_selectorELNS0_4arch9wavefront6targetE0EEEvT1_
	.globl	_ZN7rocprim17ROCPRIM_400000_NS6detail17trampoline_kernelINS0_14default_configENS1_29reduce_by_key_config_selectorIssN6thrust23THRUST_200600_302600_NS4plusIsEEEEZZNS1_33reduce_by_key_impl_wrapped_configILNS1_25lookback_scan_determinismE0ES3_S9_NS6_6detail15normal_iteratorINS6_10device_ptrIsEEEESG_SG_SG_PmS8_22is_equal_div_10_reduceIsEEE10hipError_tPvRmT2_T3_mT4_T5_T6_T7_T8_P12ihipStream_tbENKUlT_T0_E_clISt17integral_constantIbLb1EES11_EEDaSW_SX_EUlSW_E_NS1_11comp_targetILNS1_3genE4ELNS1_11target_archE910ELNS1_3gpuE8ELNS1_3repE0EEENS1_30default_config_static_selectorELNS0_4arch9wavefront6targetE0EEEvT1_
	.p2align	8
	.type	_ZN7rocprim17ROCPRIM_400000_NS6detail17trampoline_kernelINS0_14default_configENS1_29reduce_by_key_config_selectorIssN6thrust23THRUST_200600_302600_NS4plusIsEEEEZZNS1_33reduce_by_key_impl_wrapped_configILNS1_25lookback_scan_determinismE0ES3_S9_NS6_6detail15normal_iteratorINS6_10device_ptrIsEEEESG_SG_SG_PmS8_22is_equal_div_10_reduceIsEEE10hipError_tPvRmT2_T3_mT4_T5_T6_T7_T8_P12ihipStream_tbENKUlT_T0_E_clISt17integral_constantIbLb1EES11_EEDaSW_SX_EUlSW_E_NS1_11comp_targetILNS1_3genE4ELNS1_11target_archE910ELNS1_3gpuE8ELNS1_3repE0EEENS1_30default_config_static_selectorELNS0_4arch9wavefront6targetE0EEEvT1_,@function
_ZN7rocprim17ROCPRIM_400000_NS6detail17trampoline_kernelINS0_14default_configENS1_29reduce_by_key_config_selectorIssN6thrust23THRUST_200600_302600_NS4plusIsEEEEZZNS1_33reduce_by_key_impl_wrapped_configILNS1_25lookback_scan_determinismE0ES3_S9_NS6_6detail15normal_iteratorINS6_10device_ptrIsEEEESG_SG_SG_PmS8_22is_equal_div_10_reduceIsEEE10hipError_tPvRmT2_T3_mT4_T5_T6_T7_T8_P12ihipStream_tbENKUlT_T0_E_clISt17integral_constantIbLb1EES11_EEDaSW_SX_EUlSW_E_NS1_11comp_targetILNS1_3genE4ELNS1_11target_archE910ELNS1_3gpuE8ELNS1_3repE0EEENS1_30default_config_static_selectorELNS0_4arch9wavefront6targetE0EEEvT1_: ; @_ZN7rocprim17ROCPRIM_400000_NS6detail17trampoline_kernelINS0_14default_configENS1_29reduce_by_key_config_selectorIssN6thrust23THRUST_200600_302600_NS4plusIsEEEEZZNS1_33reduce_by_key_impl_wrapped_configILNS1_25lookback_scan_determinismE0ES3_S9_NS6_6detail15normal_iteratorINS6_10device_ptrIsEEEESG_SG_SG_PmS8_22is_equal_div_10_reduceIsEEE10hipError_tPvRmT2_T3_mT4_T5_T6_T7_T8_P12ihipStream_tbENKUlT_T0_E_clISt17integral_constantIbLb1EES11_EEDaSW_SX_EUlSW_E_NS1_11comp_targetILNS1_3genE4ELNS1_11target_archE910ELNS1_3gpuE8ELNS1_3repE0EEENS1_30default_config_static_selectorELNS0_4arch9wavefront6targetE0EEEvT1_
; %bb.0:
	.section	.rodata,"a",@progbits
	.p2align	6, 0x0
	.amdhsa_kernel _ZN7rocprim17ROCPRIM_400000_NS6detail17trampoline_kernelINS0_14default_configENS1_29reduce_by_key_config_selectorIssN6thrust23THRUST_200600_302600_NS4plusIsEEEEZZNS1_33reduce_by_key_impl_wrapped_configILNS1_25lookback_scan_determinismE0ES3_S9_NS6_6detail15normal_iteratorINS6_10device_ptrIsEEEESG_SG_SG_PmS8_22is_equal_div_10_reduceIsEEE10hipError_tPvRmT2_T3_mT4_T5_T6_T7_T8_P12ihipStream_tbENKUlT_T0_E_clISt17integral_constantIbLb1EES11_EEDaSW_SX_EUlSW_E_NS1_11comp_targetILNS1_3genE4ELNS1_11target_archE910ELNS1_3gpuE8ELNS1_3repE0EEENS1_30default_config_static_selectorELNS0_4arch9wavefront6targetE0EEEvT1_
		.amdhsa_group_segment_fixed_size 0
		.amdhsa_private_segment_fixed_size 0
		.amdhsa_kernarg_size 120
		.amdhsa_user_sgpr_count 15
		.amdhsa_user_sgpr_dispatch_ptr 0
		.amdhsa_user_sgpr_queue_ptr 0
		.amdhsa_user_sgpr_kernarg_segment_ptr 1
		.amdhsa_user_sgpr_dispatch_id 0
		.amdhsa_user_sgpr_private_segment_size 0
		.amdhsa_wavefront_size32 1
		.amdhsa_uses_dynamic_stack 0
		.amdhsa_enable_private_segment 0
		.amdhsa_system_sgpr_workgroup_id_x 1
		.amdhsa_system_sgpr_workgroup_id_y 0
		.amdhsa_system_sgpr_workgroup_id_z 0
		.amdhsa_system_sgpr_workgroup_info 0
		.amdhsa_system_vgpr_workitem_id 0
		.amdhsa_next_free_vgpr 1
		.amdhsa_next_free_sgpr 1
		.amdhsa_reserve_vcc 0
		.amdhsa_float_round_mode_32 0
		.amdhsa_float_round_mode_16_64 0
		.amdhsa_float_denorm_mode_32 3
		.amdhsa_float_denorm_mode_16_64 3
		.amdhsa_dx10_clamp 1
		.amdhsa_ieee_mode 1
		.amdhsa_fp16_overflow 0
		.amdhsa_workgroup_processor_mode 1
		.amdhsa_memory_ordered 1
		.amdhsa_forward_progress 0
		.amdhsa_shared_vgpr_count 0
		.amdhsa_exception_fp_ieee_invalid_op 0
		.amdhsa_exception_fp_denorm_src 0
		.amdhsa_exception_fp_ieee_div_zero 0
		.amdhsa_exception_fp_ieee_overflow 0
		.amdhsa_exception_fp_ieee_underflow 0
		.amdhsa_exception_fp_ieee_inexact 0
		.amdhsa_exception_int_div_zero 0
	.end_amdhsa_kernel
	.section	.text._ZN7rocprim17ROCPRIM_400000_NS6detail17trampoline_kernelINS0_14default_configENS1_29reduce_by_key_config_selectorIssN6thrust23THRUST_200600_302600_NS4plusIsEEEEZZNS1_33reduce_by_key_impl_wrapped_configILNS1_25lookback_scan_determinismE0ES3_S9_NS6_6detail15normal_iteratorINS6_10device_ptrIsEEEESG_SG_SG_PmS8_22is_equal_div_10_reduceIsEEE10hipError_tPvRmT2_T3_mT4_T5_T6_T7_T8_P12ihipStream_tbENKUlT_T0_E_clISt17integral_constantIbLb1EES11_EEDaSW_SX_EUlSW_E_NS1_11comp_targetILNS1_3genE4ELNS1_11target_archE910ELNS1_3gpuE8ELNS1_3repE0EEENS1_30default_config_static_selectorELNS0_4arch9wavefront6targetE0EEEvT1_,"axG",@progbits,_ZN7rocprim17ROCPRIM_400000_NS6detail17trampoline_kernelINS0_14default_configENS1_29reduce_by_key_config_selectorIssN6thrust23THRUST_200600_302600_NS4plusIsEEEEZZNS1_33reduce_by_key_impl_wrapped_configILNS1_25lookback_scan_determinismE0ES3_S9_NS6_6detail15normal_iteratorINS6_10device_ptrIsEEEESG_SG_SG_PmS8_22is_equal_div_10_reduceIsEEE10hipError_tPvRmT2_T3_mT4_T5_T6_T7_T8_P12ihipStream_tbENKUlT_T0_E_clISt17integral_constantIbLb1EES11_EEDaSW_SX_EUlSW_E_NS1_11comp_targetILNS1_3genE4ELNS1_11target_archE910ELNS1_3gpuE8ELNS1_3repE0EEENS1_30default_config_static_selectorELNS0_4arch9wavefront6targetE0EEEvT1_,comdat
.Lfunc_end672:
	.size	_ZN7rocprim17ROCPRIM_400000_NS6detail17trampoline_kernelINS0_14default_configENS1_29reduce_by_key_config_selectorIssN6thrust23THRUST_200600_302600_NS4plusIsEEEEZZNS1_33reduce_by_key_impl_wrapped_configILNS1_25lookback_scan_determinismE0ES3_S9_NS6_6detail15normal_iteratorINS6_10device_ptrIsEEEESG_SG_SG_PmS8_22is_equal_div_10_reduceIsEEE10hipError_tPvRmT2_T3_mT4_T5_T6_T7_T8_P12ihipStream_tbENKUlT_T0_E_clISt17integral_constantIbLb1EES11_EEDaSW_SX_EUlSW_E_NS1_11comp_targetILNS1_3genE4ELNS1_11target_archE910ELNS1_3gpuE8ELNS1_3repE0EEENS1_30default_config_static_selectorELNS0_4arch9wavefront6targetE0EEEvT1_, .Lfunc_end672-_ZN7rocprim17ROCPRIM_400000_NS6detail17trampoline_kernelINS0_14default_configENS1_29reduce_by_key_config_selectorIssN6thrust23THRUST_200600_302600_NS4plusIsEEEEZZNS1_33reduce_by_key_impl_wrapped_configILNS1_25lookback_scan_determinismE0ES3_S9_NS6_6detail15normal_iteratorINS6_10device_ptrIsEEEESG_SG_SG_PmS8_22is_equal_div_10_reduceIsEEE10hipError_tPvRmT2_T3_mT4_T5_T6_T7_T8_P12ihipStream_tbENKUlT_T0_E_clISt17integral_constantIbLb1EES11_EEDaSW_SX_EUlSW_E_NS1_11comp_targetILNS1_3genE4ELNS1_11target_archE910ELNS1_3gpuE8ELNS1_3repE0EEENS1_30default_config_static_selectorELNS0_4arch9wavefront6targetE0EEEvT1_
                                        ; -- End function
	.section	.AMDGPU.csdata,"",@progbits
; Kernel info:
; codeLenInByte = 0
; NumSgprs: 0
; NumVgprs: 0
; ScratchSize: 0
; MemoryBound: 0
; FloatMode: 240
; IeeeMode: 1
; LDSByteSize: 0 bytes/workgroup (compile time only)
; SGPRBlocks: 0
; VGPRBlocks: 0
; NumSGPRsForWavesPerEU: 1
; NumVGPRsForWavesPerEU: 1
; Occupancy: 16
; WaveLimiterHint : 0
; COMPUTE_PGM_RSRC2:SCRATCH_EN: 0
; COMPUTE_PGM_RSRC2:USER_SGPR: 15
; COMPUTE_PGM_RSRC2:TRAP_HANDLER: 0
; COMPUTE_PGM_RSRC2:TGID_X_EN: 1
; COMPUTE_PGM_RSRC2:TGID_Y_EN: 0
; COMPUTE_PGM_RSRC2:TGID_Z_EN: 0
; COMPUTE_PGM_RSRC2:TIDIG_COMP_CNT: 0
	.section	.text._ZN7rocprim17ROCPRIM_400000_NS6detail17trampoline_kernelINS0_14default_configENS1_29reduce_by_key_config_selectorIssN6thrust23THRUST_200600_302600_NS4plusIsEEEEZZNS1_33reduce_by_key_impl_wrapped_configILNS1_25lookback_scan_determinismE0ES3_S9_NS6_6detail15normal_iteratorINS6_10device_ptrIsEEEESG_SG_SG_PmS8_22is_equal_div_10_reduceIsEEE10hipError_tPvRmT2_T3_mT4_T5_T6_T7_T8_P12ihipStream_tbENKUlT_T0_E_clISt17integral_constantIbLb1EES11_EEDaSW_SX_EUlSW_E_NS1_11comp_targetILNS1_3genE3ELNS1_11target_archE908ELNS1_3gpuE7ELNS1_3repE0EEENS1_30default_config_static_selectorELNS0_4arch9wavefront6targetE0EEEvT1_,"axG",@progbits,_ZN7rocprim17ROCPRIM_400000_NS6detail17trampoline_kernelINS0_14default_configENS1_29reduce_by_key_config_selectorIssN6thrust23THRUST_200600_302600_NS4plusIsEEEEZZNS1_33reduce_by_key_impl_wrapped_configILNS1_25lookback_scan_determinismE0ES3_S9_NS6_6detail15normal_iteratorINS6_10device_ptrIsEEEESG_SG_SG_PmS8_22is_equal_div_10_reduceIsEEE10hipError_tPvRmT2_T3_mT4_T5_T6_T7_T8_P12ihipStream_tbENKUlT_T0_E_clISt17integral_constantIbLb1EES11_EEDaSW_SX_EUlSW_E_NS1_11comp_targetILNS1_3genE3ELNS1_11target_archE908ELNS1_3gpuE7ELNS1_3repE0EEENS1_30default_config_static_selectorELNS0_4arch9wavefront6targetE0EEEvT1_,comdat
	.protected	_ZN7rocprim17ROCPRIM_400000_NS6detail17trampoline_kernelINS0_14default_configENS1_29reduce_by_key_config_selectorIssN6thrust23THRUST_200600_302600_NS4plusIsEEEEZZNS1_33reduce_by_key_impl_wrapped_configILNS1_25lookback_scan_determinismE0ES3_S9_NS6_6detail15normal_iteratorINS6_10device_ptrIsEEEESG_SG_SG_PmS8_22is_equal_div_10_reduceIsEEE10hipError_tPvRmT2_T3_mT4_T5_T6_T7_T8_P12ihipStream_tbENKUlT_T0_E_clISt17integral_constantIbLb1EES11_EEDaSW_SX_EUlSW_E_NS1_11comp_targetILNS1_3genE3ELNS1_11target_archE908ELNS1_3gpuE7ELNS1_3repE0EEENS1_30default_config_static_selectorELNS0_4arch9wavefront6targetE0EEEvT1_ ; -- Begin function _ZN7rocprim17ROCPRIM_400000_NS6detail17trampoline_kernelINS0_14default_configENS1_29reduce_by_key_config_selectorIssN6thrust23THRUST_200600_302600_NS4plusIsEEEEZZNS1_33reduce_by_key_impl_wrapped_configILNS1_25lookback_scan_determinismE0ES3_S9_NS6_6detail15normal_iteratorINS6_10device_ptrIsEEEESG_SG_SG_PmS8_22is_equal_div_10_reduceIsEEE10hipError_tPvRmT2_T3_mT4_T5_T6_T7_T8_P12ihipStream_tbENKUlT_T0_E_clISt17integral_constantIbLb1EES11_EEDaSW_SX_EUlSW_E_NS1_11comp_targetILNS1_3genE3ELNS1_11target_archE908ELNS1_3gpuE7ELNS1_3repE0EEENS1_30default_config_static_selectorELNS0_4arch9wavefront6targetE0EEEvT1_
	.globl	_ZN7rocprim17ROCPRIM_400000_NS6detail17trampoline_kernelINS0_14default_configENS1_29reduce_by_key_config_selectorIssN6thrust23THRUST_200600_302600_NS4plusIsEEEEZZNS1_33reduce_by_key_impl_wrapped_configILNS1_25lookback_scan_determinismE0ES3_S9_NS6_6detail15normal_iteratorINS6_10device_ptrIsEEEESG_SG_SG_PmS8_22is_equal_div_10_reduceIsEEE10hipError_tPvRmT2_T3_mT4_T5_T6_T7_T8_P12ihipStream_tbENKUlT_T0_E_clISt17integral_constantIbLb1EES11_EEDaSW_SX_EUlSW_E_NS1_11comp_targetILNS1_3genE3ELNS1_11target_archE908ELNS1_3gpuE7ELNS1_3repE0EEENS1_30default_config_static_selectorELNS0_4arch9wavefront6targetE0EEEvT1_
	.p2align	8
	.type	_ZN7rocprim17ROCPRIM_400000_NS6detail17trampoline_kernelINS0_14default_configENS1_29reduce_by_key_config_selectorIssN6thrust23THRUST_200600_302600_NS4plusIsEEEEZZNS1_33reduce_by_key_impl_wrapped_configILNS1_25lookback_scan_determinismE0ES3_S9_NS6_6detail15normal_iteratorINS6_10device_ptrIsEEEESG_SG_SG_PmS8_22is_equal_div_10_reduceIsEEE10hipError_tPvRmT2_T3_mT4_T5_T6_T7_T8_P12ihipStream_tbENKUlT_T0_E_clISt17integral_constantIbLb1EES11_EEDaSW_SX_EUlSW_E_NS1_11comp_targetILNS1_3genE3ELNS1_11target_archE908ELNS1_3gpuE7ELNS1_3repE0EEENS1_30default_config_static_selectorELNS0_4arch9wavefront6targetE0EEEvT1_,@function
_ZN7rocprim17ROCPRIM_400000_NS6detail17trampoline_kernelINS0_14default_configENS1_29reduce_by_key_config_selectorIssN6thrust23THRUST_200600_302600_NS4plusIsEEEEZZNS1_33reduce_by_key_impl_wrapped_configILNS1_25lookback_scan_determinismE0ES3_S9_NS6_6detail15normal_iteratorINS6_10device_ptrIsEEEESG_SG_SG_PmS8_22is_equal_div_10_reduceIsEEE10hipError_tPvRmT2_T3_mT4_T5_T6_T7_T8_P12ihipStream_tbENKUlT_T0_E_clISt17integral_constantIbLb1EES11_EEDaSW_SX_EUlSW_E_NS1_11comp_targetILNS1_3genE3ELNS1_11target_archE908ELNS1_3gpuE7ELNS1_3repE0EEENS1_30default_config_static_selectorELNS0_4arch9wavefront6targetE0EEEvT1_: ; @_ZN7rocprim17ROCPRIM_400000_NS6detail17trampoline_kernelINS0_14default_configENS1_29reduce_by_key_config_selectorIssN6thrust23THRUST_200600_302600_NS4plusIsEEEEZZNS1_33reduce_by_key_impl_wrapped_configILNS1_25lookback_scan_determinismE0ES3_S9_NS6_6detail15normal_iteratorINS6_10device_ptrIsEEEESG_SG_SG_PmS8_22is_equal_div_10_reduceIsEEE10hipError_tPvRmT2_T3_mT4_T5_T6_T7_T8_P12ihipStream_tbENKUlT_T0_E_clISt17integral_constantIbLb1EES11_EEDaSW_SX_EUlSW_E_NS1_11comp_targetILNS1_3genE3ELNS1_11target_archE908ELNS1_3gpuE7ELNS1_3repE0EEENS1_30default_config_static_selectorELNS0_4arch9wavefront6targetE0EEEvT1_
; %bb.0:
	.section	.rodata,"a",@progbits
	.p2align	6, 0x0
	.amdhsa_kernel _ZN7rocprim17ROCPRIM_400000_NS6detail17trampoline_kernelINS0_14default_configENS1_29reduce_by_key_config_selectorIssN6thrust23THRUST_200600_302600_NS4plusIsEEEEZZNS1_33reduce_by_key_impl_wrapped_configILNS1_25lookback_scan_determinismE0ES3_S9_NS6_6detail15normal_iteratorINS6_10device_ptrIsEEEESG_SG_SG_PmS8_22is_equal_div_10_reduceIsEEE10hipError_tPvRmT2_T3_mT4_T5_T6_T7_T8_P12ihipStream_tbENKUlT_T0_E_clISt17integral_constantIbLb1EES11_EEDaSW_SX_EUlSW_E_NS1_11comp_targetILNS1_3genE3ELNS1_11target_archE908ELNS1_3gpuE7ELNS1_3repE0EEENS1_30default_config_static_selectorELNS0_4arch9wavefront6targetE0EEEvT1_
		.amdhsa_group_segment_fixed_size 0
		.amdhsa_private_segment_fixed_size 0
		.amdhsa_kernarg_size 120
		.amdhsa_user_sgpr_count 15
		.amdhsa_user_sgpr_dispatch_ptr 0
		.amdhsa_user_sgpr_queue_ptr 0
		.amdhsa_user_sgpr_kernarg_segment_ptr 1
		.amdhsa_user_sgpr_dispatch_id 0
		.amdhsa_user_sgpr_private_segment_size 0
		.amdhsa_wavefront_size32 1
		.amdhsa_uses_dynamic_stack 0
		.amdhsa_enable_private_segment 0
		.amdhsa_system_sgpr_workgroup_id_x 1
		.amdhsa_system_sgpr_workgroup_id_y 0
		.amdhsa_system_sgpr_workgroup_id_z 0
		.amdhsa_system_sgpr_workgroup_info 0
		.amdhsa_system_vgpr_workitem_id 0
		.amdhsa_next_free_vgpr 1
		.amdhsa_next_free_sgpr 1
		.amdhsa_reserve_vcc 0
		.amdhsa_float_round_mode_32 0
		.amdhsa_float_round_mode_16_64 0
		.amdhsa_float_denorm_mode_32 3
		.amdhsa_float_denorm_mode_16_64 3
		.amdhsa_dx10_clamp 1
		.amdhsa_ieee_mode 1
		.amdhsa_fp16_overflow 0
		.amdhsa_workgroup_processor_mode 1
		.amdhsa_memory_ordered 1
		.amdhsa_forward_progress 0
		.amdhsa_shared_vgpr_count 0
		.amdhsa_exception_fp_ieee_invalid_op 0
		.amdhsa_exception_fp_denorm_src 0
		.amdhsa_exception_fp_ieee_div_zero 0
		.amdhsa_exception_fp_ieee_overflow 0
		.amdhsa_exception_fp_ieee_underflow 0
		.amdhsa_exception_fp_ieee_inexact 0
		.amdhsa_exception_int_div_zero 0
	.end_amdhsa_kernel
	.section	.text._ZN7rocprim17ROCPRIM_400000_NS6detail17trampoline_kernelINS0_14default_configENS1_29reduce_by_key_config_selectorIssN6thrust23THRUST_200600_302600_NS4plusIsEEEEZZNS1_33reduce_by_key_impl_wrapped_configILNS1_25lookback_scan_determinismE0ES3_S9_NS6_6detail15normal_iteratorINS6_10device_ptrIsEEEESG_SG_SG_PmS8_22is_equal_div_10_reduceIsEEE10hipError_tPvRmT2_T3_mT4_T5_T6_T7_T8_P12ihipStream_tbENKUlT_T0_E_clISt17integral_constantIbLb1EES11_EEDaSW_SX_EUlSW_E_NS1_11comp_targetILNS1_3genE3ELNS1_11target_archE908ELNS1_3gpuE7ELNS1_3repE0EEENS1_30default_config_static_selectorELNS0_4arch9wavefront6targetE0EEEvT1_,"axG",@progbits,_ZN7rocprim17ROCPRIM_400000_NS6detail17trampoline_kernelINS0_14default_configENS1_29reduce_by_key_config_selectorIssN6thrust23THRUST_200600_302600_NS4plusIsEEEEZZNS1_33reduce_by_key_impl_wrapped_configILNS1_25lookback_scan_determinismE0ES3_S9_NS6_6detail15normal_iteratorINS6_10device_ptrIsEEEESG_SG_SG_PmS8_22is_equal_div_10_reduceIsEEE10hipError_tPvRmT2_T3_mT4_T5_T6_T7_T8_P12ihipStream_tbENKUlT_T0_E_clISt17integral_constantIbLb1EES11_EEDaSW_SX_EUlSW_E_NS1_11comp_targetILNS1_3genE3ELNS1_11target_archE908ELNS1_3gpuE7ELNS1_3repE0EEENS1_30default_config_static_selectorELNS0_4arch9wavefront6targetE0EEEvT1_,comdat
.Lfunc_end673:
	.size	_ZN7rocprim17ROCPRIM_400000_NS6detail17trampoline_kernelINS0_14default_configENS1_29reduce_by_key_config_selectorIssN6thrust23THRUST_200600_302600_NS4plusIsEEEEZZNS1_33reduce_by_key_impl_wrapped_configILNS1_25lookback_scan_determinismE0ES3_S9_NS6_6detail15normal_iteratorINS6_10device_ptrIsEEEESG_SG_SG_PmS8_22is_equal_div_10_reduceIsEEE10hipError_tPvRmT2_T3_mT4_T5_T6_T7_T8_P12ihipStream_tbENKUlT_T0_E_clISt17integral_constantIbLb1EES11_EEDaSW_SX_EUlSW_E_NS1_11comp_targetILNS1_3genE3ELNS1_11target_archE908ELNS1_3gpuE7ELNS1_3repE0EEENS1_30default_config_static_selectorELNS0_4arch9wavefront6targetE0EEEvT1_, .Lfunc_end673-_ZN7rocprim17ROCPRIM_400000_NS6detail17trampoline_kernelINS0_14default_configENS1_29reduce_by_key_config_selectorIssN6thrust23THRUST_200600_302600_NS4plusIsEEEEZZNS1_33reduce_by_key_impl_wrapped_configILNS1_25lookback_scan_determinismE0ES3_S9_NS6_6detail15normal_iteratorINS6_10device_ptrIsEEEESG_SG_SG_PmS8_22is_equal_div_10_reduceIsEEE10hipError_tPvRmT2_T3_mT4_T5_T6_T7_T8_P12ihipStream_tbENKUlT_T0_E_clISt17integral_constantIbLb1EES11_EEDaSW_SX_EUlSW_E_NS1_11comp_targetILNS1_3genE3ELNS1_11target_archE908ELNS1_3gpuE7ELNS1_3repE0EEENS1_30default_config_static_selectorELNS0_4arch9wavefront6targetE0EEEvT1_
                                        ; -- End function
	.section	.AMDGPU.csdata,"",@progbits
; Kernel info:
; codeLenInByte = 0
; NumSgprs: 0
; NumVgprs: 0
; ScratchSize: 0
; MemoryBound: 0
; FloatMode: 240
; IeeeMode: 1
; LDSByteSize: 0 bytes/workgroup (compile time only)
; SGPRBlocks: 0
; VGPRBlocks: 0
; NumSGPRsForWavesPerEU: 1
; NumVGPRsForWavesPerEU: 1
; Occupancy: 16
; WaveLimiterHint : 0
; COMPUTE_PGM_RSRC2:SCRATCH_EN: 0
; COMPUTE_PGM_RSRC2:USER_SGPR: 15
; COMPUTE_PGM_RSRC2:TRAP_HANDLER: 0
; COMPUTE_PGM_RSRC2:TGID_X_EN: 1
; COMPUTE_PGM_RSRC2:TGID_Y_EN: 0
; COMPUTE_PGM_RSRC2:TGID_Z_EN: 0
; COMPUTE_PGM_RSRC2:TIDIG_COMP_CNT: 0
	.section	.text._ZN7rocprim17ROCPRIM_400000_NS6detail17trampoline_kernelINS0_14default_configENS1_29reduce_by_key_config_selectorIssN6thrust23THRUST_200600_302600_NS4plusIsEEEEZZNS1_33reduce_by_key_impl_wrapped_configILNS1_25lookback_scan_determinismE0ES3_S9_NS6_6detail15normal_iteratorINS6_10device_ptrIsEEEESG_SG_SG_PmS8_22is_equal_div_10_reduceIsEEE10hipError_tPvRmT2_T3_mT4_T5_T6_T7_T8_P12ihipStream_tbENKUlT_T0_E_clISt17integral_constantIbLb1EES11_EEDaSW_SX_EUlSW_E_NS1_11comp_targetILNS1_3genE2ELNS1_11target_archE906ELNS1_3gpuE6ELNS1_3repE0EEENS1_30default_config_static_selectorELNS0_4arch9wavefront6targetE0EEEvT1_,"axG",@progbits,_ZN7rocprim17ROCPRIM_400000_NS6detail17trampoline_kernelINS0_14default_configENS1_29reduce_by_key_config_selectorIssN6thrust23THRUST_200600_302600_NS4plusIsEEEEZZNS1_33reduce_by_key_impl_wrapped_configILNS1_25lookback_scan_determinismE0ES3_S9_NS6_6detail15normal_iteratorINS6_10device_ptrIsEEEESG_SG_SG_PmS8_22is_equal_div_10_reduceIsEEE10hipError_tPvRmT2_T3_mT4_T5_T6_T7_T8_P12ihipStream_tbENKUlT_T0_E_clISt17integral_constantIbLb1EES11_EEDaSW_SX_EUlSW_E_NS1_11comp_targetILNS1_3genE2ELNS1_11target_archE906ELNS1_3gpuE6ELNS1_3repE0EEENS1_30default_config_static_selectorELNS0_4arch9wavefront6targetE0EEEvT1_,comdat
	.protected	_ZN7rocprim17ROCPRIM_400000_NS6detail17trampoline_kernelINS0_14default_configENS1_29reduce_by_key_config_selectorIssN6thrust23THRUST_200600_302600_NS4plusIsEEEEZZNS1_33reduce_by_key_impl_wrapped_configILNS1_25lookback_scan_determinismE0ES3_S9_NS6_6detail15normal_iteratorINS6_10device_ptrIsEEEESG_SG_SG_PmS8_22is_equal_div_10_reduceIsEEE10hipError_tPvRmT2_T3_mT4_T5_T6_T7_T8_P12ihipStream_tbENKUlT_T0_E_clISt17integral_constantIbLb1EES11_EEDaSW_SX_EUlSW_E_NS1_11comp_targetILNS1_3genE2ELNS1_11target_archE906ELNS1_3gpuE6ELNS1_3repE0EEENS1_30default_config_static_selectorELNS0_4arch9wavefront6targetE0EEEvT1_ ; -- Begin function _ZN7rocprim17ROCPRIM_400000_NS6detail17trampoline_kernelINS0_14default_configENS1_29reduce_by_key_config_selectorIssN6thrust23THRUST_200600_302600_NS4plusIsEEEEZZNS1_33reduce_by_key_impl_wrapped_configILNS1_25lookback_scan_determinismE0ES3_S9_NS6_6detail15normal_iteratorINS6_10device_ptrIsEEEESG_SG_SG_PmS8_22is_equal_div_10_reduceIsEEE10hipError_tPvRmT2_T3_mT4_T5_T6_T7_T8_P12ihipStream_tbENKUlT_T0_E_clISt17integral_constantIbLb1EES11_EEDaSW_SX_EUlSW_E_NS1_11comp_targetILNS1_3genE2ELNS1_11target_archE906ELNS1_3gpuE6ELNS1_3repE0EEENS1_30default_config_static_selectorELNS0_4arch9wavefront6targetE0EEEvT1_
	.globl	_ZN7rocprim17ROCPRIM_400000_NS6detail17trampoline_kernelINS0_14default_configENS1_29reduce_by_key_config_selectorIssN6thrust23THRUST_200600_302600_NS4plusIsEEEEZZNS1_33reduce_by_key_impl_wrapped_configILNS1_25lookback_scan_determinismE0ES3_S9_NS6_6detail15normal_iteratorINS6_10device_ptrIsEEEESG_SG_SG_PmS8_22is_equal_div_10_reduceIsEEE10hipError_tPvRmT2_T3_mT4_T5_T6_T7_T8_P12ihipStream_tbENKUlT_T0_E_clISt17integral_constantIbLb1EES11_EEDaSW_SX_EUlSW_E_NS1_11comp_targetILNS1_3genE2ELNS1_11target_archE906ELNS1_3gpuE6ELNS1_3repE0EEENS1_30default_config_static_selectorELNS0_4arch9wavefront6targetE0EEEvT1_
	.p2align	8
	.type	_ZN7rocprim17ROCPRIM_400000_NS6detail17trampoline_kernelINS0_14default_configENS1_29reduce_by_key_config_selectorIssN6thrust23THRUST_200600_302600_NS4plusIsEEEEZZNS1_33reduce_by_key_impl_wrapped_configILNS1_25lookback_scan_determinismE0ES3_S9_NS6_6detail15normal_iteratorINS6_10device_ptrIsEEEESG_SG_SG_PmS8_22is_equal_div_10_reduceIsEEE10hipError_tPvRmT2_T3_mT4_T5_T6_T7_T8_P12ihipStream_tbENKUlT_T0_E_clISt17integral_constantIbLb1EES11_EEDaSW_SX_EUlSW_E_NS1_11comp_targetILNS1_3genE2ELNS1_11target_archE906ELNS1_3gpuE6ELNS1_3repE0EEENS1_30default_config_static_selectorELNS0_4arch9wavefront6targetE0EEEvT1_,@function
_ZN7rocprim17ROCPRIM_400000_NS6detail17trampoline_kernelINS0_14default_configENS1_29reduce_by_key_config_selectorIssN6thrust23THRUST_200600_302600_NS4plusIsEEEEZZNS1_33reduce_by_key_impl_wrapped_configILNS1_25lookback_scan_determinismE0ES3_S9_NS6_6detail15normal_iteratorINS6_10device_ptrIsEEEESG_SG_SG_PmS8_22is_equal_div_10_reduceIsEEE10hipError_tPvRmT2_T3_mT4_T5_T6_T7_T8_P12ihipStream_tbENKUlT_T0_E_clISt17integral_constantIbLb1EES11_EEDaSW_SX_EUlSW_E_NS1_11comp_targetILNS1_3genE2ELNS1_11target_archE906ELNS1_3gpuE6ELNS1_3repE0EEENS1_30default_config_static_selectorELNS0_4arch9wavefront6targetE0EEEvT1_: ; @_ZN7rocprim17ROCPRIM_400000_NS6detail17trampoline_kernelINS0_14default_configENS1_29reduce_by_key_config_selectorIssN6thrust23THRUST_200600_302600_NS4plusIsEEEEZZNS1_33reduce_by_key_impl_wrapped_configILNS1_25lookback_scan_determinismE0ES3_S9_NS6_6detail15normal_iteratorINS6_10device_ptrIsEEEESG_SG_SG_PmS8_22is_equal_div_10_reduceIsEEE10hipError_tPvRmT2_T3_mT4_T5_T6_T7_T8_P12ihipStream_tbENKUlT_T0_E_clISt17integral_constantIbLb1EES11_EEDaSW_SX_EUlSW_E_NS1_11comp_targetILNS1_3genE2ELNS1_11target_archE906ELNS1_3gpuE6ELNS1_3repE0EEENS1_30default_config_static_selectorELNS0_4arch9wavefront6targetE0EEEvT1_
; %bb.0:
	.section	.rodata,"a",@progbits
	.p2align	6, 0x0
	.amdhsa_kernel _ZN7rocprim17ROCPRIM_400000_NS6detail17trampoline_kernelINS0_14default_configENS1_29reduce_by_key_config_selectorIssN6thrust23THRUST_200600_302600_NS4plusIsEEEEZZNS1_33reduce_by_key_impl_wrapped_configILNS1_25lookback_scan_determinismE0ES3_S9_NS6_6detail15normal_iteratorINS6_10device_ptrIsEEEESG_SG_SG_PmS8_22is_equal_div_10_reduceIsEEE10hipError_tPvRmT2_T3_mT4_T5_T6_T7_T8_P12ihipStream_tbENKUlT_T0_E_clISt17integral_constantIbLb1EES11_EEDaSW_SX_EUlSW_E_NS1_11comp_targetILNS1_3genE2ELNS1_11target_archE906ELNS1_3gpuE6ELNS1_3repE0EEENS1_30default_config_static_selectorELNS0_4arch9wavefront6targetE0EEEvT1_
		.amdhsa_group_segment_fixed_size 0
		.amdhsa_private_segment_fixed_size 0
		.amdhsa_kernarg_size 120
		.amdhsa_user_sgpr_count 15
		.amdhsa_user_sgpr_dispatch_ptr 0
		.amdhsa_user_sgpr_queue_ptr 0
		.amdhsa_user_sgpr_kernarg_segment_ptr 1
		.amdhsa_user_sgpr_dispatch_id 0
		.amdhsa_user_sgpr_private_segment_size 0
		.amdhsa_wavefront_size32 1
		.amdhsa_uses_dynamic_stack 0
		.amdhsa_enable_private_segment 0
		.amdhsa_system_sgpr_workgroup_id_x 1
		.amdhsa_system_sgpr_workgroup_id_y 0
		.amdhsa_system_sgpr_workgroup_id_z 0
		.amdhsa_system_sgpr_workgroup_info 0
		.amdhsa_system_vgpr_workitem_id 0
		.amdhsa_next_free_vgpr 1
		.amdhsa_next_free_sgpr 1
		.amdhsa_reserve_vcc 0
		.amdhsa_float_round_mode_32 0
		.amdhsa_float_round_mode_16_64 0
		.amdhsa_float_denorm_mode_32 3
		.amdhsa_float_denorm_mode_16_64 3
		.amdhsa_dx10_clamp 1
		.amdhsa_ieee_mode 1
		.amdhsa_fp16_overflow 0
		.amdhsa_workgroup_processor_mode 1
		.amdhsa_memory_ordered 1
		.amdhsa_forward_progress 0
		.amdhsa_shared_vgpr_count 0
		.amdhsa_exception_fp_ieee_invalid_op 0
		.amdhsa_exception_fp_denorm_src 0
		.amdhsa_exception_fp_ieee_div_zero 0
		.amdhsa_exception_fp_ieee_overflow 0
		.amdhsa_exception_fp_ieee_underflow 0
		.amdhsa_exception_fp_ieee_inexact 0
		.amdhsa_exception_int_div_zero 0
	.end_amdhsa_kernel
	.section	.text._ZN7rocprim17ROCPRIM_400000_NS6detail17trampoline_kernelINS0_14default_configENS1_29reduce_by_key_config_selectorIssN6thrust23THRUST_200600_302600_NS4plusIsEEEEZZNS1_33reduce_by_key_impl_wrapped_configILNS1_25lookback_scan_determinismE0ES3_S9_NS6_6detail15normal_iteratorINS6_10device_ptrIsEEEESG_SG_SG_PmS8_22is_equal_div_10_reduceIsEEE10hipError_tPvRmT2_T3_mT4_T5_T6_T7_T8_P12ihipStream_tbENKUlT_T0_E_clISt17integral_constantIbLb1EES11_EEDaSW_SX_EUlSW_E_NS1_11comp_targetILNS1_3genE2ELNS1_11target_archE906ELNS1_3gpuE6ELNS1_3repE0EEENS1_30default_config_static_selectorELNS0_4arch9wavefront6targetE0EEEvT1_,"axG",@progbits,_ZN7rocprim17ROCPRIM_400000_NS6detail17trampoline_kernelINS0_14default_configENS1_29reduce_by_key_config_selectorIssN6thrust23THRUST_200600_302600_NS4plusIsEEEEZZNS1_33reduce_by_key_impl_wrapped_configILNS1_25lookback_scan_determinismE0ES3_S9_NS6_6detail15normal_iteratorINS6_10device_ptrIsEEEESG_SG_SG_PmS8_22is_equal_div_10_reduceIsEEE10hipError_tPvRmT2_T3_mT4_T5_T6_T7_T8_P12ihipStream_tbENKUlT_T0_E_clISt17integral_constantIbLb1EES11_EEDaSW_SX_EUlSW_E_NS1_11comp_targetILNS1_3genE2ELNS1_11target_archE906ELNS1_3gpuE6ELNS1_3repE0EEENS1_30default_config_static_selectorELNS0_4arch9wavefront6targetE0EEEvT1_,comdat
.Lfunc_end674:
	.size	_ZN7rocprim17ROCPRIM_400000_NS6detail17trampoline_kernelINS0_14default_configENS1_29reduce_by_key_config_selectorIssN6thrust23THRUST_200600_302600_NS4plusIsEEEEZZNS1_33reduce_by_key_impl_wrapped_configILNS1_25lookback_scan_determinismE0ES3_S9_NS6_6detail15normal_iteratorINS6_10device_ptrIsEEEESG_SG_SG_PmS8_22is_equal_div_10_reduceIsEEE10hipError_tPvRmT2_T3_mT4_T5_T6_T7_T8_P12ihipStream_tbENKUlT_T0_E_clISt17integral_constantIbLb1EES11_EEDaSW_SX_EUlSW_E_NS1_11comp_targetILNS1_3genE2ELNS1_11target_archE906ELNS1_3gpuE6ELNS1_3repE0EEENS1_30default_config_static_selectorELNS0_4arch9wavefront6targetE0EEEvT1_, .Lfunc_end674-_ZN7rocprim17ROCPRIM_400000_NS6detail17trampoline_kernelINS0_14default_configENS1_29reduce_by_key_config_selectorIssN6thrust23THRUST_200600_302600_NS4plusIsEEEEZZNS1_33reduce_by_key_impl_wrapped_configILNS1_25lookback_scan_determinismE0ES3_S9_NS6_6detail15normal_iteratorINS6_10device_ptrIsEEEESG_SG_SG_PmS8_22is_equal_div_10_reduceIsEEE10hipError_tPvRmT2_T3_mT4_T5_T6_T7_T8_P12ihipStream_tbENKUlT_T0_E_clISt17integral_constantIbLb1EES11_EEDaSW_SX_EUlSW_E_NS1_11comp_targetILNS1_3genE2ELNS1_11target_archE906ELNS1_3gpuE6ELNS1_3repE0EEENS1_30default_config_static_selectorELNS0_4arch9wavefront6targetE0EEEvT1_
                                        ; -- End function
	.section	.AMDGPU.csdata,"",@progbits
; Kernel info:
; codeLenInByte = 0
; NumSgprs: 0
; NumVgprs: 0
; ScratchSize: 0
; MemoryBound: 0
; FloatMode: 240
; IeeeMode: 1
; LDSByteSize: 0 bytes/workgroup (compile time only)
; SGPRBlocks: 0
; VGPRBlocks: 0
; NumSGPRsForWavesPerEU: 1
; NumVGPRsForWavesPerEU: 1
; Occupancy: 16
; WaveLimiterHint : 0
; COMPUTE_PGM_RSRC2:SCRATCH_EN: 0
; COMPUTE_PGM_RSRC2:USER_SGPR: 15
; COMPUTE_PGM_RSRC2:TRAP_HANDLER: 0
; COMPUTE_PGM_RSRC2:TGID_X_EN: 1
; COMPUTE_PGM_RSRC2:TGID_Y_EN: 0
; COMPUTE_PGM_RSRC2:TGID_Z_EN: 0
; COMPUTE_PGM_RSRC2:TIDIG_COMP_CNT: 0
	.section	.text._ZN7rocprim17ROCPRIM_400000_NS6detail17trampoline_kernelINS0_14default_configENS1_29reduce_by_key_config_selectorIssN6thrust23THRUST_200600_302600_NS4plusIsEEEEZZNS1_33reduce_by_key_impl_wrapped_configILNS1_25lookback_scan_determinismE0ES3_S9_NS6_6detail15normal_iteratorINS6_10device_ptrIsEEEESG_SG_SG_PmS8_22is_equal_div_10_reduceIsEEE10hipError_tPvRmT2_T3_mT4_T5_T6_T7_T8_P12ihipStream_tbENKUlT_T0_E_clISt17integral_constantIbLb1EES11_EEDaSW_SX_EUlSW_E_NS1_11comp_targetILNS1_3genE10ELNS1_11target_archE1201ELNS1_3gpuE5ELNS1_3repE0EEENS1_30default_config_static_selectorELNS0_4arch9wavefront6targetE0EEEvT1_,"axG",@progbits,_ZN7rocprim17ROCPRIM_400000_NS6detail17trampoline_kernelINS0_14default_configENS1_29reduce_by_key_config_selectorIssN6thrust23THRUST_200600_302600_NS4plusIsEEEEZZNS1_33reduce_by_key_impl_wrapped_configILNS1_25lookback_scan_determinismE0ES3_S9_NS6_6detail15normal_iteratorINS6_10device_ptrIsEEEESG_SG_SG_PmS8_22is_equal_div_10_reduceIsEEE10hipError_tPvRmT2_T3_mT4_T5_T6_T7_T8_P12ihipStream_tbENKUlT_T0_E_clISt17integral_constantIbLb1EES11_EEDaSW_SX_EUlSW_E_NS1_11comp_targetILNS1_3genE10ELNS1_11target_archE1201ELNS1_3gpuE5ELNS1_3repE0EEENS1_30default_config_static_selectorELNS0_4arch9wavefront6targetE0EEEvT1_,comdat
	.protected	_ZN7rocprim17ROCPRIM_400000_NS6detail17trampoline_kernelINS0_14default_configENS1_29reduce_by_key_config_selectorIssN6thrust23THRUST_200600_302600_NS4plusIsEEEEZZNS1_33reduce_by_key_impl_wrapped_configILNS1_25lookback_scan_determinismE0ES3_S9_NS6_6detail15normal_iteratorINS6_10device_ptrIsEEEESG_SG_SG_PmS8_22is_equal_div_10_reduceIsEEE10hipError_tPvRmT2_T3_mT4_T5_T6_T7_T8_P12ihipStream_tbENKUlT_T0_E_clISt17integral_constantIbLb1EES11_EEDaSW_SX_EUlSW_E_NS1_11comp_targetILNS1_3genE10ELNS1_11target_archE1201ELNS1_3gpuE5ELNS1_3repE0EEENS1_30default_config_static_selectorELNS0_4arch9wavefront6targetE0EEEvT1_ ; -- Begin function _ZN7rocprim17ROCPRIM_400000_NS6detail17trampoline_kernelINS0_14default_configENS1_29reduce_by_key_config_selectorIssN6thrust23THRUST_200600_302600_NS4plusIsEEEEZZNS1_33reduce_by_key_impl_wrapped_configILNS1_25lookback_scan_determinismE0ES3_S9_NS6_6detail15normal_iteratorINS6_10device_ptrIsEEEESG_SG_SG_PmS8_22is_equal_div_10_reduceIsEEE10hipError_tPvRmT2_T3_mT4_T5_T6_T7_T8_P12ihipStream_tbENKUlT_T0_E_clISt17integral_constantIbLb1EES11_EEDaSW_SX_EUlSW_E_NS1_11comp_targetILNS1_3genE10ELNS1_11target_archE1201ELNS1_3gpuE5ELNS1_3repE0EEENS1_30default_config_static_selectorELNS0_4arch9wavefront6targetE0EEEvT1_
	.globl	_ZN7rocprim17ROCPRIM_400000_NS6detail17trampoline_kernelINS0_14default_configENS1_29reduce_by_key_config_selectorIssN6thrust23THRUST_200600_302600_NS4plusIsEEEEZZNS1_33reduce_by_key_impl_wrapped_configILNS1_25lookback_scan_determinismE0ES3_S9_NS6_6detail15normal_iteratorINS6_10device_ptrIsEEEESG_SG_SG_PmS8_22is_equal_div_10_reduceIsEEE10hipError_tPvRmT2_T3_mT4_T5_T6_T7_T8_P12ihipStream_tbENKUlT_T0_E_clISt17integral_constantIbLb1EES11_EEDaSW_SX_EUlSW_E_NS1_11comp_targetILNS1_3genE10ELNS1_11target_archE1201ELNS1_3gpuE5ELNS1_3repE0EEENS1_30default_config_static_selectorELNS0_4arch9wavefront6targetE0EEEvT1_
	.p2align	8
	.type	_ZN7rocprim17ROCPRIM_400000_NS6detail17trampoline_kernelINS0_14default_configENS1_29reduce_by_key_config_selectorIssN6thrust23THRUST_200600_302600_NS4plusIsEEEEZZNS1_33reduce_by_key_impl_wrapped_configILNS1_25lookback_scan_determinismE0ES3_S9_NS6_6detail15normal_iteratorINS6_10device_ptrIsEEEESG_SG_SG_PmS8_22is_equal_div_10_reduceIsEEE10hipError_tPvRmT2_T3_mT4_T5_T6_T7_T8_P12ihipStream_tbENKUlT_T0_E_clISt17integral_constantIbLb1EES11_EEDaSW_SX_EUlSW_E_NS1_11comp_targetILNS1_3genE10ELNS1_11target_archE1201ELNS1_3gpuE5ELNS1_3repE0EEENS1_30default_config_static_selectorELNS0_4arch9wavefront6targetE0EEEvT1_,@function
_ZN7rocprim17ROCPRIM_400000_NS6detail17trampoline_kernelINS0_14default_configENS1_29reduce_by_key_config_selectorIssN6thrust23THRUST_200600_302600_NS4plusIsEEEEZZNS1_33reduce_by_key_impl_wrapped_configILNS1_25lookback_scan_determinismE0ES3_S9_NS6_6detail15normal_iteratorINS6_10device_ptrIsEEEESG_SG_SG_PmS8_22is_equal_div_10_reduceIsEEE10hipError_tPvRmT2_T3_mT4_T5_T6_T7_T8_P12ihipStream_tbENKUlT_T0_E_clISt17integral_constantIbLb1EES11_EEDaSW_SX_EUlSW_E_NS1_11comp_targetILNS1_3genE10ELNS1_11target_archE1201ELNS1_3gpuE5ELNS1_3repE0EEENS1_30default_config_static_selectorELNS0_4arch9wavefront6targetE0EEEvT1_: ; @_ZN7rocprim17ROCPRIM_400000_NS6detail17trampoline_kernelINS0_14default_configENS1_29reduce_by_key_config_selectorIssN6thrust23THRUST_200600_302600_NS4plusIsEEEEZZNS1_33reduce_by_key_impl_wrapped_configILNS1_25lookback_scan_determinismE0ES3_S9_NS6_6detail15normal_iteratorINS6_10device_ptrIsEEEESG_SG_SG_PmS8_22is_equal_div_10_reduceIsEEE10hipError_tPvRmT2_T3_mT4_T5_T6_T7_T8_P12ihipStream_tbENKUlT_T0_E_clISt17integral_constantIbLb1EES11_EEDaSW_SX_EUlSW_E_NS1_11comp_targetILNS1_3genE10ELNS1_11target_archE1201ELNS1_3gpuE5ELNS1_3repE0EEENS1_30default_config_static_selectorELNS0_4arch9wavefront6targetE0EEEvT1_
; %bb.0:
	.section	.rodata,"a",@progbits
	.p2align	6, 0x0
	.amdhsa_kernel _ZN7rocprim17ROCPRIM_400000_NS6detail17trampoline_kernelINS0_14default_configENS1_29reduce_by_key_config_selectorIssN6thrust23THRUST_200600_302600_NS4plusIsEEEEZZNS1_33reduce_by_key_impl_wrapped_configILNS1_25lookback_scan_determinismE0ES3_S9_NS6_6detail15normal_iteratorINS6_10device_ptrIsEEEESG_SG_SG_PmS8_22is_equal_div_10_reduceIsEEE10hipError_tPvRmT2_T3_mT4_T5_T6_T7_T8_P12ihipStream_tbENKUlT_T0_E_clISt17integral_constantIbLb1EES11_EEDaSW_SX_EUlSW_E_NS1_11comp_targetILNS1_3genE10ELNS1_11target_archE1201ELNS1_3gpuE5ELNS1_3repE0EEENS1_30default_config_static_selectorELNS0_4arch9wavefront6targetE0EEEvT1_
		.amdhsa_group_segment_fixed_size 0
		.amdhsa_private_segment_fixed_size 0
		.amdhsa_kernarg_size 120
		.amdhsa_user_sgpr_count 15
		.amdhsa_user_sgpr_dispatch_ptr 0
		.amdhsa_user_sgpr_queue_ptr 0
		.amdhsa_user_sgpr_kernarg_segment_ptr 1
		.amdhsa_user_sgpr_dispatch_id 0
		.amdhsa_user_sgpr_private_segment_size 0
		.amdhsa_wavefront_size32 1
		.amdhsa_uses_dynamic_stack 0
		.amdhsa_enable_private_segment 0
		.amdhsa_system_sgpr_workgroup_id_x 1
		.amdhsa_system_sgpr_workgroup_id_y 0
		.amdhsa_system_sgpr_workgroup_id_z 0
		.amdhsa_system_sgpr_workgroup_info 0
		.amdhsa_system_vgpr_workitem_id 0
		.amdhsa_next_free_vgpr 1
		.amdhsa_next_free_sgpr 1
		.amdhsa_reserve_vcc 0
		.amdhsa_float_round_mode_32 0
		.amdhsa_float_round_mode_16_64 0
		.amdhsa_float_denorm_mode_32 3
		.amdhsa_float_denorm_mode_16_64 3
		.amdhsa_dx10_clamp 1
		.amdhsa_ieee_mode 1
		.amdhsa_fp16_overflow 0
		.amdhsa_workgroup_processor_mode 1
		.amdhsa_memory_ordered 1
		.amdhsa_forward_progress 0
		.amdhsa_shared_vgpr_count 0
		.amdhsa_exception_fp_ieee_invalid_op 0
		.amdhsa_exception_fp_denorm_src 0
		.amdhsa_exception_fp_ieee_div_zero 0
		.amdhsa_exception_fp_ieee_overflow 0
		.amdhsa_exception_fp_ieee_underflow 0
		.amdhsa_exception_fp_ieee_inexact 0
		.amdhsa_exception_int_div_zero 0
	.end_amdhsa_kernel
	.section	.text._ZN7rocprim17ROCPRIM_400000_NS6detail17trampoline_kernelINS0_14default_configENS1_29reduce_by_key_config_selectorIssN6thrust23THRUST_200600_302600_NS4plusIsEEEEZZNS1_33reduce_by_key_impl_wrapped_configILNS1_25lookback_scan_determinismE0ES3_S9_NS6_6detail15normal_iteratorINS6_10device_ptrIsEEEESG_SG_SG_PmS8_22is_equal_div_10_reduceIsEEE10hipError_tPvRmT2_T3_mT4_T5_T6_T7_T8_P12ihipStream_tbENKUlT_T0_E_clISt17integral_constantIbLb1EES11_EEDaSW_SX_EUlSW_E_NS1_11comp_targetILNS1_3genE10ELNS1_11target_archE1201ELNS1_3gpuE5ELNS1_3repE0EEENS1_30default_config_static_selectorELNS0_4arch9wavefront6targetE0EEEvT1_,"axG",@progbits,_ZN7rocprim17ROCPRIM_400000_NS6detail17trampoline_kernelINS0_14default_configENS1_29reduce_by_key_config_selectorIssN6thrust23THRUST_200600_302600_NS4plusIsEEEEZZNS1_33reduce_by_key_impl_wrapped_configILNS1_25lookback_scan_determinismE0ES3_S9_NS6_6detail15normal_iteratorINS6_10device_ptrIsEEEESG_SG_SG_PmS8_22is_equal_div_10_reduceIsEEE10hipError_tPvRmT2_T3_mT4_T5_T6_T7_T8_P12ihipStream_tbENKUlT_T0_E_clISt17integral_constantIbLb1EES11_EEDaSW_SX_EUlSW_E_NS1_11comp_targetILNS1_3genE10ELNS1_11target_archE1201ELNS1_3gpuE5ELNS1_3repE0EEENS1_30default_config_static_selectorELNS0_4arch9wavefront6targetE0EEEvT1_,comdat
.Lfunc_end675:
	.size	_ZN7rocprim17ROCPRIM_400000_NS6detail17trampoline_kernelINS0_14default_configENS1_29reduce_by_key_config_selectorIssN6thrust23THRUST_200600_302600_NS4plusIsEEEEZZNS1_33reduce_by_key_impl_wrapped_configILNS1_25lookback_scan_determinismE0ES3_S9_NS6_6detail15normal_iteratorINS6_10device_ptrIsEEEESG_SG_SG_PmS8_22is_equal_div_10_reduceIsEEE10hipError_tPvRmT2_T3_mT4_T5_T6_T7_T8_P12ihipStream_tbENKUlT_T0_E_clISt17integral_constantIbLb1EES11_EEDaSW_SX_EUlSW_E_NS1_11comp_targetILNS1_3genE10ELNS1_11target_archE1201ELNS1_3gpuE5ELNS1_3repE0EEENS1_30default_config_static_selectorELNS0_4arch9wavefront6targetE0EEEvT1_, .Lfunc_end675-_ZN7rocprim17ROCPRIM_400000_NS6detail17trampoline_kernelINS0_14default_configENS1_29reduce_by_key_config_selectorIssN6thrust23THRUST_200600_302600_NS4plusIsEEEEZZNS1_33reduce_by_key_impl_wrapped_configILNS1_25lookback_scan_determinismE0ES3_S9_NS6_6detail15normal_iteratorINS6_10device_ptrIsEEEESG_SG_SG_PmS8_22is_equal_div_10_reduceIsEEE10hipError_tPvRmT2_T3_mT4_T5_T6_T7_T8_P12ihipStream_tbENKUlT_T0_E_clISt17integral_constantIbLb1EES11_EEDaSW_SX_EUlSW_E_NS1_11comp_targetILNS1_3genE10ELNS1_11target_archE1201ELNS1_3gpuE5ELNS1_3repE0EEENS1_30default_config_static_selectorELNS0_4arch9wavefront6targetE0EEEvT1_
                                        ; -- End function
	.section	.AMDGPU.csdata,"",@progbits
; Kernel info:
; codeLenInByte = 0
; NumSgprs: 0
; NumVgprs: 0
; ScratchSize: 0
; MemoryBound: 0
; FloatMode: 240
; IeeeMode: 1
; LDSByteSize: 0 bytes/workgroup (compile time only)
; SGPRBlocks: 0
; VGPRBlocks: 0
; NumSGPRsForWavesPerEU: 1
; NumVGPRsForWavesPerEU: 1
; Occupancy: 16
; WaveLimiterHint : 0
; COMPUTE_PGM_RSRC2:SCRATCH_EN: 0
; COMPUTE_PGM_RSRC2:USER_SGPR: 15
; COMPUTE_PGM_RSRC2:TRAP_HANDLER: 0
; COMPUTE_PGM_RSRC2:TGID_X_EN: 1
; COMPUTE_PGM_RSRC2:TGID_Y_EN: 0
; COMPUTE_PGM_RSRC2:TGID_Z_EN: 0
; COMPUTE_PGM_RSRC2:TIDIG_COMP_CNT: 0
	.section	.text._ZN7rocprim17ROCPRIM_400000_NS6detail17trampoline_kernelINS0_14default_configENS1_29reduce_by_key_config_selectorIssN6thrust23THRUST_200600_302600_NS4plusIsEEEEZZNS1_33reduce_by_key_impl_wrapped_configILNS1_25lookback_scan_determinismE0ES3_S9_NS6_6detail15normal_iteratorINS6_10device_ptrIsEEEESG_SG_SG_PmS8_22is_equal_div_10_reduceIsEEE10hipError_tPvRmT2_T3_mT4_T5_T6_T7_T8_P12ihipStream_tbENKUlT_T0_E_clISt17integral_constantIbLb1EES11_EEDaSW_SX_EUlSW_E_NS1_11comp_targetILNS1_3genE10ELNS1_11target_archE1200ELNS1_3gpuE4ELNS1_3repE0EEENS1_30default_config_static_selectorELNS0_4arch9wavefront6targetE0EEEvT1_,"axG",@progbits,_ZN7rocprim17ROCPRIM_400000_NS6detail17trampoline_kernelINS0_14default_configENS1_29reduce_by_key_config_selectorIssN6thrust23THRUST_200600_302600_NS4plusIsEEEEZZNS1_33reduce_by_key_impl_wrapped_configILNS1_25lookback_scan_determinismE0ES3_S9_NS6_6detail15normal_iteratorINS6_10device_ptrIsEEEESG_SG_SG_PmS8_22is_equal_div_10_reduceIsEEE10hipError_tPvRmT2_T3_mT4_T5_T6_T7_T8_P12ihipStream_tbENKUlT_T0_E_clISt17integral_constantIbLb1EES11_EEDaSW_SX_EUlSW_E_NS1_11comp_targetILNS1_3genE10ELNS1_11target_archE1200ELNS1_3gpuE4ELNS1_3repE0EEENS1_30default_config_static_selectorELNS0_4arch9wavefront6targetE0EEEvT1_,comdat
	.protected	_ZN7rocprim17ROCPRIM_400000_NS6detail17trampoline_kernelINS0_14default_configENS1_29reduce_by_key_config_selectorIssN6thrust23THRUST_200600_302600_NS4plusIsEEEEZZNS1_33reduce_by_key_impl_wrapped_configILNS1_25lookback_scan_determinismE0ES3_S9_NS6_6detail15normal_iteratorINS6_10device_ptrIsEEEESG_SG_SG_PmS8_22is_equal_div_10_reduceIsEEE10hipError_tPvRmT2_T3_mT4_T5_T6_T7_T8_P12ihipStream_tbENKUlT_T0_E_clISt17integral_constantIbLb1EES11_EEDaSW_SX_EUlSW_E_NS1_11comp_targetILNS1_3genE10ELNS1_11target_archE1200ELNS1_3gpuE4ELNS1_3repE0EEENS1_30default_config_static_selectorELNS0_4arch9wavefront6targetE0EEEvT1_ ; -- Begin function _ZN7rocprim17ROCPRIM_400000_NS6detail17trampoline_kernelINS0_14default_configENS1_29reduce_by_key_config_selectorIssN6thrust23THRUST_200600_302600_NS4plusIsEEEEZZNS1_33reduce_by_key_impl_wrapped_configILNS1_25lookback_scan_determinismE0ES3_S9_NS6_6detail15normal_iteratorINS6_10device_ptrIsEEEESG_SG_SG_PmS8_22is_equal_div_10_reduceIsEEE10hipError_tPvRmT2_T3_mT4_T5_T6_T7_T8_P12ihipStream_tbENKUlT_T0_E_clISt17integral_constantIbLb1EES11_EEDaSW_SX_EUlSW_E_NS1_11comp_targetILNS1_3genE10ELNS1_11target_archE1200ELNS1_3gpuE4ELNS1_3repE0EEENS1_30default_config_static_selectorELNS0_4arch9wavefront6targetE0EEEvT1_
	.globl	_ZN7rocprim17ROCPRIM_400000_NS6detail17trampoline_kernelINS0_14default_configENS1_29reduce_by_key_config_selectorIssN6thrust23THRUST_200600_302600_NS4plusIsEEEEZZNS1_33reduce_by_key_impl_wrapped_configILNS1_25lookback_scan_determinismE0ES3_S9_NS6_6detail15normal_iteratorINS6_10device_ptrIsEEEESG_SG_SG_PmS8_22is_equal_div_10_reduceIsEEE10hipError_tPvRmT2_T3_mT4_T5_T6_T7_T8_P12ihipStream_tbENKUlT_T0_E_clISt17integral_constantIbLb1EES11_EEDaSW_SX_EUlSW_E_NS1_11comp_targetILNS1_3genE10ELNS1_11target_archE1200ELNS1_3gpuE4ELNS1_3repE0EEENS1_30default_config_static_selectorELNS0_4arch9wavefront6targetE0EEEvT1_
	.p2align	8
	.type	_ZN7rocprim17ROCPRIM_400000_NS6detail17trampoline_kernelINS0_14default_configENS1_29reduce_by_key_config_selectorIssN6thrust23THRUST_200600_302600_NS4plusIsEEEEZZNS1_33reduce_by_key_impl_wrapped_configILNS1_25lookback_scan_determinismE0ES3_S9_NS6_6detail15normal_iteratorINS6_10device_ptrIsEEEESG_SG_SG_PmS8_22is_equal_div_10_reduceIsEEE10hipError_tPvRmT2_T3_mT4_T5_T6_T7_T8_P12ihipStream_tbENKUlT_T0_E_clISt17integral_constantIbLb1EES11_EEDaSW_SX_EUlSW_E_NS1_11comp_targetILNS1_3genE10ELNS1_11target_archE1200ELNS1_3gpuE4ELNS1_3repE0EEENS1_30default_config_static_selectorELNS0_4arch9wavefront6targetE0EEEvT1_,@function
_ZN7rocprim17ROCPRIM_400000_NS6detail17trampoline_kernelINS0_14default_configENS1_29reduce_by_key_config_selectorIssN6thrust23THRUST_200600_302600_NS4plusIsEEEEZZNS1_33reduce_by_key_impl_wrapped_configILNS1_25lookback_scan_determinismE0ES3_S9_NS6_6detail15normal_iteratorINS6_10device_ptrIsEEEESG_SG_SG_PmS8_22is_equal_div_10_reduceIsEEE10hipError_tPvRmT2_T3_mT4_T5_T6_T7_T8_P12ihipStream_tbENKUlT_T0_E_clISt17integral_constantIbLb1EES11_EEDaSW_SX_EUlSW_E_NS1_11comp_targetILNS1_3genE10ELNS1_11target_archE1200ELNS1_3gpuE4ELNS1_3repE0EEENS1_30default_config_static_selectorELNS0_4arch9wavefront6targetE0EEEvT1_: ; @_ZN7rocprim17ROCPRIM_400000_NS6detail17trampoline_kernelINS0_14default_configENS1_29reduce_by_key_config_selectorIssN6thrust23THRUST_200600_302600_NS4plusIsEEEEZZNS1_33reduce_by_key_impl_wrapped_configILNS1_25lookback_scan_determinismE0ES3_S9_NS6_6detail15normal_iteratorINS6_10device_ptrIsEEEESG_SG_SG_PmS8_22is_equal_div_10_reduceIsEEE10hipError_tPvRmT2_T3_mT4_T5_T6_T7_T8_P12ihipStream_tbENKUlT_T0_E_clISt17integral_constantIbLb1EES11_EEDaSW_SX_EUlSW_E_NS1_11comp_targetILNS1_3genE10ELNS1_11target_archE1200ELNS1_3gpuE4ELNS1_3repE0EEENS1_30default_config_static_selectorELNS0_4arch9wavefront6targetE0EEEvT1_
; %bb.0:
	.section	.rodata,"a",@progbits
	.p2align	6, 0x0
	.amdhsa_kernel _ZN7rocprim17ROCPRIM_400000_NS6detail17trampoline_kernelINS0_14default_configENS1_29reduce_by_key_config_selectorIssN6thrust23THRUST_200600_302600_NS4plusIsEEEEZZNS1_33reduce_by_key_impl_wrapped_configILNS1_25lookback_scan_determinismE0ES3_S9_NS6_6detail15normal_iteratorINS6_10device_ptrIsEEEESG_SG_SG_PmS8_22is_equal_div_10_reduceIsEEE10hipError_tPvRmT2_T3_mT4_T5_T6_T7_T8_P12ihipStream_tbENKUlT_T0_E_clISt17integral_constantIbLb1EES11_EEDaSW_SX_EUlSW_E_NS1_11comp_targetILNS1_3genE10ELNS1_11target_archE1200ELNS1_3gpuE4ELNS1_3repE0EEENS1_30default_config_static_selectorELNS0_4arch9wavefront6targetE0EEEvT1_
		.amdhsa_group_segment_fixed_size 0
		.amdhsa_private_segment_fixed_size 0
		.amdhsa_kernarg_size 120
		.amdhsa_user_sgpr_count 15
		.amdhsa_user_sgpr_dispatch_ptr 0
		.amdhsa_user_sgpr_queue_ptr 0
		.amdhsa_user_sgpr_kernarg_segment_ptr 1
		.amdhsa_user_sgpr_dispatch_id 0
		.amdhsa_user_sgpr_private_segment_size 0
		.amdhsa_wavefront_size32 1
		.amdhsa_uses_dynamic_stack 0
		.amdhsa_enable_private_segment 0
		.amdhsa_system_sgpr_workgroup_id_x 1
		.amdhsa_system_sgpr_workgroup_id_y 0
		.amdhsa_system_sgpr_workgroup_id_z 0
		.amdhsa_system_sgpr_workgroup_info 0
		.amdhsa_system_vgpr_workitem_id 0
		.amdhsa_next_free_vgpr 1
		.amdhsa_next_free_sgpr 1
		.amdhsa_reserve_vcc 0
		.amdhsa_float_round_mode_32 0
		.amdhsa_float_round_mode_16_64 0
		.amdhsa_float_denorm_mode_32 3
		.amdhsa_float_denorm_mode_16_64 3
		.amdhsa_dx10_clamp 1
		.amdhsa_ieee_mode 1
		.amdhsa_fp16_overflow 0
		.amdhsa_workgroup_processor_mode 1
		.amdhsa_memory_ordered 1
		.amdhsa_forward_progress 0
		.amdhsa_shared_vgpr_count 0
		.amdhsa_exception_fp_ieee_invalid_op 0
		.amdhsa_exception_fp_denorm_src 0
		.amdhsa_exception_fp_ieee_div_zero 0
		.amdhsa_exception_fp_ieee_overflow 0
		.amdhsa_exception_fp_ieee_underflow 0
		.amdhsa_exception_fp_ieee_inexact 0
		.amdhsa_exception_int_div_zero 0
	.end_amdhsa_kernel
	.section	.text._ZN7rocprim17ROCPRIM_400000_NS6detail17trampoline_kernelINS0_14default_configENS1_29reduce_by_key_config_selectorIssN6thrust23THRUST_200600_302600_NS4plusIsEEEEZZNS1_33reduce_by_key_impl_wrapped_configILNS1_25lookback_scan_determinismE0ES3_S9_NS6_6detail15normal_iteratorINS6_10device_ptrIsEEEESG_SG_SG_PmS8_22is_equal_div_10_reduceIsEEE10hipError_tPvRmT2_T3_mT4_T5_T6_T7_T8_P12ihipStream_tbENKUlT_T0_E_clISt17integral_constantIbLb1EES11_EEDaSW_SX_EUlSW_E_NS1_11comp_targetILNS1_3genE10ELNS1_11target_archE1200ELNS1_3gpuE4ELNS1_3repE0EEENS1_30default_config_static_selectorELNS0_4arch9wavefront6targetE0EEEvT1_,"axG",@progbits,_ZN7rocprim17ROCPRIM_400000_NS6detail17trampoline_kernelINS0_14default_configENS1_29reduce_by_key_config_selectorIssN6thrust23THRUST_200600_302600_NS4plusIsEEEEZZNS1_33reduce_by_key_impl_wrapped_configILNS1_25lookback_scan_determinismE0ES3_S9_NS6_6detail15normal_iteratorINS6_10device_ptrIsEEEESG_SG_SG_PmS8_22is_equal_div_10_reduceIsEEE10hipError_tPvRmT2_T3_mT4_T5_T6_T7_T8_P12ihipStream_tbENKUlT_T0_E_clISt17integral_constantIbLb1EES11_EEDaSW_SX_EUlSW_E_NS1_11comp_targetILNS1_3genE10ELNS1_11target_archE1200ELNS1_3gpuE4ELNS1_3repE0EEENS1_30default_config_static_selectorELNS0_4arch9wavefront6targetE0EEEvT1_,comdat
.Lfunc_end676:
	.size	_ZN7rocprim17ROCPRIM_400000_NS6detail17trampoline_kernelINS0_14default_configENS1_29reduce_by_key_config_selectorIssN6thrust23THRUST_200600_302600_NS4plusIsEEEEZZNS1_33reduce_by_key_impl_wrapped_configILNS1_25lookback_scan_determinismE0ES3_S9_NS6_6detail15normal_iteratorINS6_10device_ptrIsEEEESG_SG_SG_PmS8_22is_equal_div_10_reduceIsEEE10hipError_tPvRmT2_T3_mT4_T5_T6_T7_T8_P12ihipStream_tbENKUlT_T0_E_clISt17integral_constantIbLb1EES11_EEDaSW_SX_EUlSW_E_NS1_11comp_targetILNS1_3genE10ELNS1_11target_archE1200ELNS1_3gpuE4ELNS1_3repE0EEENS1_30default_config_static_selectorELNS0_4arch9wavefront6targetE0EEEvT1_, .Lfunc_end676-_ZN7rocprim17ROCPRIM_400000_NS6detail17trampoline_kernelINS0_14default_configENS1_29reduce_by_key_config_selectorIssN6thrust23THRUST_200600_302600_NS4plusIsEEEEZZNS1_33reduce_by_key_impl_wrapped_configILNS1_25lookback_scan_determinismE0ES3_S9_NS6_6detail15normal_iteratorINS6_10device_ptrIsEEEESG_SG_SG_PmS8_22is_equal_div_10_reduceIsEEE10hipError_tPvRmT2_T3_mT4_T5_T6_T7_T8_P12ihipStream_tbENKUlT_T0_E_clISt17integral_constantIbLb1EES11_EEDaSW_SX_EUlSW_E_NS1_11comp_targetILNS1_3genE10ELNS1_11target_archE1200ELNS1_3gpuE4ELNS1_3repE0EEENS1_30default_config_static_selectorELNS0_4arch9wavefront6targetE0EEEvT1_
                                        ; -- End function
	.section	.AMDGPU.csdata,"",@progbits
; Kernel info:
; codeLenInByte = 0
; NumSgprs: 0
; NumVgprs: 0
; ScratchSize: 0
; MemoryBound: 0
; FloatMode: 240
; IeeeMode: 1
; LDSByteSize: 0 bytes/workgroup (compile time only)
; SGPRBlocks: 0
; VGPRBlocks: 0
; NumSGPRsForWavesPerEU: 1
; NumVGPRsForWavesPerEU: 1
; Occupancy: 16
; WaveLimiterHint : 0
; COMPUTE_PGM_RSRC2:SCRATCH_EN: 0
; COMPUTE_PGM_RSRC2:USER_SGPR: 15
; COMPUTE_PGM_RSRC2:TRAP_HANDLER: 0
; COMPUTE_PGM_RSRC2:TGID_X_EN: 1
; COMPUTE_PGM_RSRC2:TGID_Y_EN: 0
; COMPUTE_PGM_RSRC2:TGID_Z_EN: 0
; COMPUTE_PGM_RSRC2:TIDIG_COMP_CNT: 0
	.section	.text._ZN7rocprim17ROCPRIM_400000_NS6detail17trampoline_kernelINS0_14default_configENS1_29reduce_by_key_config_selectorIssN6thrust23THRUST_200600_302600_NS4plusIsEEEEZZNS1_33reduce_by_key_impl_wrapped_configILNS1_25lookback_scan_determinismE0ES3_S9_NS6_6detail15normal_iteratorINS6_10device_ptrIsEEEESG_SG_SG_PmS8_22is_equal_div_10_reduceIsEEE10hipError_tPvRmT2_T3_mT4_T5_T6_T7_T8_P12ihipStream_tbENKUlT_T0_E_clISt17integral_constantIbLb1EES11_EEDaSW_SX_EUlSW_E_NS1_11comp_targetILNS1_3genE9ELNS1_11target_archE1100ELNS1_3gpuE3ELNS1_3repE0EEENS1_30default_config_static_selectorELNS0_4arch9wavefront6targetE0EEEvT1_,"axG",@progbits,_ZN7rocprim17ROCPRIM_400000_NS6detail17trampoline_kernelINS0_14default_configENS1_29reduce_by_key_config_selectorIssN6thrust23THRUST_200600_302600_NS4plusIsEEEEZZNS1_33reduce_by_key_impl_wrapped_configILNS1_25lookback_scan_determinismE0ES3_S9_NS6_6detail15normal_iteratorINS6_10device_ptrIsEEEESG_SG_SG_PmS8_22is_equal_div_10_reduceIsEEE10hipError_tPvRmT2_T3_mT4_T5_T6_T7_T8_P12ihipStream_tbENKUlT_T0_E_clISt17integral_constantIbLb1EES11_EEDaSW_SX_EUlSW_E_NS1_11comp_targetILNS1_3genE9ELNS1_11target_archE1100ELNS1_3gpuE3ELNS1_3repE0EEENS1_30default_config_static_selectorELNS0_4arch9wavefront6targetE0EEEvT1_,comdat
	.protected	_ZN7rocprim17ROCPRIM_400000_NS6detail17trampoline_kernelINS0_14default_configENS1_29reduce_by_key_config_selectorIssN6thrust23THRUST_200600_302600_NS4plusIsEEEEZZNS1_33reduce_by_key_impl_wrapped_configILNS1_25lookback_scan_determinismE0ES3_S9_NS6_6detail15normal_iteratorINS6_10device_ptrIsEEEESG_SG_SG_PmS8_22is_equal_div_10_reduceIsEEE10hipError_tPvRmT2_T3_mT4_T5_T6_T7_T8_P12ihipStream_tbENKUlT_T0_E_clISt17integral_constantIbLb1EES11_EEDaSW_SX_EUlSW_E_NS1_11comp_targetILNS1_3genE9ELNS1_11target_archE1100ELNS1_3gpuE3ELNS1_3repE0EEENS1_30default_config_static_selectorELNS0_4arch9wavefront6targetE0EEEvT1_ ; -- Begin function _ZN7rocprim17ROCPRIM_400000_NS6detail17trampoline_kernelINS0_14default_configENS1_29reduce_by_key_config_selectorIssN6thrust23THRUST_200600_302600_NS4plusIsEEEEZZNS1_33reduce_by_key_impl_wrapped_configILNS1_25lookback_scan_determinismE0ES3_S9_NS6_6detail15normal_iteratorINS6_10device_ptrIsEEEESG_SG_SG_PmS8_22is_equal_div_10_reduceIsEEE10hipError_tPvRmT2_T3_mT4_T5_T6_T7_T8_P12ihipStream_tbENKUlT_T0_E_clISt17integral_constantIbLb1EES11_EEDaSW_SX_EUlSW_E_NS1_11comp_targetILNS1_3genE9ELNS1_11target_archE1100ELNS1_3gpuE3ELNS1_3repE0EEENS1_30default_config_static_selectorELNS0_4arch9wavefront6targetE0EEEvT1_
	.globl	_ZN7rocprim17ROCPRIM_400000_NS6detail17trampoline_kernelINS0_14default_configENS1_29reduce_by_key_config_selectorIssN6thrust23THRUST_200600_302600_NS4plusIsEEEEZZNS1_33reduce_by_key_impl_wrapped_configILNS1_25lookback_scan_determinismE0ES3_S9_NS6_6detail15normal_iteratorINS6_10device_ptrIsEEEESG_SG_SG_PmS8_22is_equal_div_10_reduceIsEEE10hipError_tPvRmT2_T3_mT4_T5_T6_T7_T8_P12ihipStream_tbENKUlT_T0_E_clISt17integral_constantIbLb1EES11_EEDaSW_SX_EUlSW_E_NS1_11comp_targetILNS1_3genE9ELNS1_11target_archE1100ELNS1_3gpuE3ELNS1_3repE0EEENS1_30default_config_static_selectorELNS0_4arch9wavefront6targetE0EEEvT1_
	.p2align	8
	.type	_ZN7rocprim17ROCPRIM_400000_NS6detail17trampoline_kernelINS0_14default_configENS1_29reduce_by_key_config_selectorIssN6thrust23THRUST_200600_302600_NS4plusIsEEEEZZNS1_33reduce_by_key_impl_wrapped_configILNS1_25lookback_scan_determinismE0ES3_S9_NS6_6detail15normal_iteratorINS6_10device_ptrIsEEEESG_SG_SG_PmS8_22is_equal_div_10_reduceIsEEE10hipError_tPvRmT2_T3_mT4_T5_T6_T7_T8_P12ihipStream_tbENKUlT_T0_E_clISt17integral_constantIbLb1EES11_EEDaSW_SX_EUlSW_E_NS1_11comp_targetILNS1_3genE9ELNS1_11target_archE1100ELNS1_3gpuE3ELNS1_3repE0EEENS1_30default_config_static_selectorELNS0_4arch9wavefront6targetE0EEEvT1_,@function
_ZN7rocprim17ROCPRIM_400000_NS6detail17trampoline_kernelINS0_14default_configENS1_29reduce_by_key_config_selectorIssN6thrust23THRUST_200600_302600_NS4plusIsEEEEZZNS1_33reduce_by_key_impl_wrapped_configILNS1_25lookback_scan_determinismE0ES3_S9_NS6_6detail15normal_iteratorINS6_10device_ptrIsEEEESG_SG_SG_PmS8_22is_equal_div_10_reduceIsEEE10hipError_tPvRmT2_T3_mT4_T5_T6_T7_T8_P12ihipStream_tbENKUlT_T0_E_clISt17integral_constantIbLb1EES11_EEDaSW_SX_EUlSW_E_NS1_11comp_targetILNS1_3genE9ELNS1_11target_archE1100ELNS1_3gpuE3ELNS1_3repE0EEENS1_30default_config_static_selectorELNS0_4arch9wavefront6targetE0EEEvT1_: ; @_ZN7rocprim17ROCPRIM_400000_NS6detail17trampoline_kernelINS0_14default_configENS1_29reduce_by_key_config_selectorIssN6thrust23THRUST_200600_302600_NS4plusIsEEEEZZNS1_33reduce_by_key_impl_wrapped_configILNS1_25lookback_scan_determinismE0ES3_S9_NS6_6detail15normal_iteratorINS6_10device_ptrIsEEEESG_SG_SG_PmS8_22is_equal_div_10_reduceIsEEE10hipError_tPvRmT2_T3_mT4_T5_T6_T7_T8_P12ihipStream_tbENKUlT_T0_E_clISt17integral_constantIbLb1EES11_EEDaSW_SX_EUlSW_E_NS1_11comp_targetILNS1_3genE9ELNS1_11target_archE1100ELNS1_3gpuE3ELNS1_3repE0EEENS1_30default_config_static_selectorELNS0_4arch9wavefront6targetE0EEEvT1_
; %bb.0:
	s_clause 0x4
	s_load_b256 s[12:19], s[0:1], 0x0
	s_load_b128 s[28:31], s[0:1], 0x20
	s_load_b256 s[20:27], s[0:1], 0x38
	s_load_b64 s[34:35], s[0:1], 0x68
	s_load_b128 s[36:39], s[0:1], 0x58
	v_cmp_ne_u32_e64 s3, 0, v0
	v_cmp_eq_u32_e64 s2, 0, v0
	s_delay_alu instid0(VALU_DEP_1)
	s_and_saveexec_b32 s4, s2
	s_cbranch_execz .LBB677_4
; %bb.1:
	s_mov_b32 s6, exec_lo
	s_mov_b32 s5, exec_lo
	v_mbcnt_lo_u32_b32 v1, s6, 0
                                        ; implicit-def: $vgpr2
	s_delay_alu instid0(VALU_DEP_1)
	v_cmpx_eq_u32_e32 0, v1
	s_cbranch_execz .LBB677_3
; %bb.2:
	s_load_b64 s[0:1], s[0:1], 0x70
	s_bcnt1_i32_b32 s6, s6
	s_delay_alu instid0(SALU_CYCLE_1)
	v_dual_mov_b32 v2, 0 :: v_dual_mov_b32 v3, s6
	s_waitcnt lgkmcnt(0)
	global_atomic_add_u32 v2, v2, v3, s[0:1] glc
.LBB677_3:
	s_or_b32 exec_lo, exec_lo, s5
	s_waitcnt vmcnt(0)
	v_readfirstlane_b32 s0, v2
	s_delay_alu instid0(VALU_DEP_1)
	v_dual_mov_b32 v2, 0 :: v_dual_add_nc_u32 v1, s0, v1
	ds_store_b32 v2, v1
.LBB677_4:
	s_or_b32 exec_lo, exec_lo, s4
	v_mov_b32_e32 v2, 0
	s_waitcnt lgkmcnt(0)
	s_barrier
	buffer_gl0_inv
	s_lshl_b64 s[4:5], s[14:15], 1
	ds_load_b32 v1, v2
	s_add_u32 s9, s12, s4
	s_mul_i32 s1, s24, s23
	s_mul_hi_u32 s6, s24, s22
	s_addc_u32 s10, s13, s5
	s_add_u32 s11, s16, s4
	s_mul_i32 s7, s25, s22
	s_addc_u32 s12, s17, s5
	s_add_i32 s1, s6, s1
	s_mul_i32 s8, s24, s22
	s_add_i32 s1, s1, s7
	s_mov_b32 s0, 0
	s_waitcnt lgkmcnt(0)
	s_barrier
	buffer_gl0_inv
	v_readfirstlane_b32 s33, v1
	v_mul_lo_u32 v1, 0xf00, v1
	s_delay_alu instid0(VALU_DEP_2) | instskip(SKIP_3) | instid1(VALU_DEP_1)
	s_add_u32 s24, s8, s33
	s_addc_u32 s25, s1, 0
	s_add_u32 s4, s26, -1
	s_addc_u32 s5, s27, -1
	v_lshlrev_b64 v[1:2], 1, v[1:2]
	s_cmp_eq_u64 s[24:25], s[4:5]
	s_mul_i32 s26, s4, 0xfffff100
	s_cselect_b32 s17, -1, 0
	s_cmp_lg_u64 s[24:25], s[4:5]
	s_delay_alu instid0(VALU_DEP_1)
	v_add_co_u32 v5, vcc_lo, s9, v1
	v_add_co_ci_u32_e32 v6, vcc_lo, s10, v2, vcc_lo
	v_add_co_u32 v7, vcc_lo, s11, v1
	v_add_co_ci_u32_e32 v8, vcc_lo, s12, v2, vcc_lo
	s_cselect_b32 s40, -1, 0
	s_and_b32 vcc_lo, exec_lo, s17
	s_cbranch_vccnz .LBB677_6
; %bb.5:
	v_lshlrev_b32_e32 v17, 1, v0
	s_delay_alu instid0(VALU_DEP_1) | instskip(SKIP_2) | instid1(VALU_DEP_3)
	v_add_co_u32 v1, vcc_lo, v5, v17
	v_add_co_ci_u32_e32 v2, vcc_lo, 0, v6, vcc_lo
	v_mad_u32_u24 v9, v0, 28, v17
	v_add_co_u32 v3, vcc_lo, 0x1000, v1
	s_delay_alu instid0(VALU_DEP_3)
	v_add_co_ci_u32_e32 v4, vcc_lo, 0, v2, vcc_lo
	s_clause 0xe
	flat_load_u16 v10, v[1:2]
	flat_load_u16 v11, v[1:2] offset:512
	flat_load_u16 v12, v[1:2] offset:1024
	;; [unrolled: 1-line block ×7, first 2 shown]
	flat_load_u16 v2, v[3:4]
	flat_load_u16 v22, v[3:4] offset:512
	flat_load_u16 v23, v[3:4] offset:1024
	;; [unrolled: 1-line block ×6, first 2 shown]
	v_add_co_u32 v13, vcc_lo, v7, v17
	v_add_co_ci_u32_e32 v14, vcc_lo, 0, v8, vcc_lo
	s_waitcnt vmcnt(14) lgkmcnt(14)
	ds_store_b16 v17, v10
	s_waitcnt vmcnt(13) lgkmcnt(14)
	ds_store_b16 v17, v11 offset:512
	s_waitcnt vmcnt(12) lgkmcnt(14)
	ds_store_b16 v17, v12 offset:1024
	;; [unrolled: 2-line block ×14, first 2 shown]
	v_add_co_u32 v15, vcc_lo, 0x1000, v13
	v_add_co_ci_u32_e32 v16, vcc_lo, 0, v14, vcc_lo
	s_waitcnt lgkmcnt(0)
	s_barrier
	buffer_gl0_inv
	ds_load_u16 v62, v9
	ds_load_b128 v[1:4], v9 offset:2
	ds_load_b96 v[10:12], v9 offset:18
	s_waitcnt lgkmcnt(0)
	s_barrier
	buffer_gl0_inv
	s_clause 0xe
	flat_load_u16 v18, v[13:14]
	flat_load_u16 v19, v[13:14] offset:512
	flat_load_u16 v20, v[13:14] offset:1024
	;; [unrolled: 1-line block ×7, first 2 shown]
	flat_load_u16 v25, v[15:16]
	flat_load_u16 v26, v[15:16] offset:512
	flat_load_u16 v27, v[15:16] offset:1024
	;; [unrolled: 1-line block ×6, first 2 shown]
	v_mul_u32_u24_e32 v14, 15, v0
	s_waitcnt vmcnt(14) lgkmcnt(14)
	ds_store_b16 v17, v18
	s_waitcnt vmcnt(13) lgkmcnt(14)
	ds_store_b16 v17, v19 offset:512
	s_waitcnt vmcnt(12) lgkmcnt(14)
	ds_store_b16 v17, v20 offset:1024
	;; [unrolled: 2-line block ×14, first 2 shown]
	s_waitcnt lgkmcnt(0)
	s_barrier
	s_and_not1_b32 vcc_lo, exec_lo, s0
	s_add_i32 s26, s26, s36
	s_cbranch_vccz .LBB677_7
	s_branch .LBB677_54
.LBB677_6:
                                        ; implicit-def: $vgpr1
                                        ; implicit-def: $vgpr10
                                        ; implicit-def: $vgpr14
                                        ; implicit-def: $vgpr9
                                        ; implicit-def: $vgpr62
	s_add_i32 s26, s26, s36
.LBB677_7:
	s_delay_alu instid0(SALU_CYCLE_1)
	v_cmp_gt_u32_e32 vcc_lo, s26, v0
                                        ; implicit-def: $vgpr1
	s_and_saveexec_b32 s1, vcc_lo
	s_cbranch_execz .LBB677_9
; %bb.8:
	v_lshlrev_b32_e32 v1, 1, v0
	s_delay_alu instid0(VALU_DEP_1) | instskip(NEXT) | instid1(VALU_DEP_1)
	v_add_co_u32 v1, s0, v5, v1
	v_add_co_ci_u32_e64 v2, s0, 0, v6, s0
	flat_load_u16 v1, v[1:2]
.LBB677_9:
	s_or_b32 exec_lo, exec_lo, s1
	v_or_b32_e32 v2, 0x100, v0
	s_delay_alu instid0(VALU_DEP_1) | instskip(NEXT) | instid1(VALU_DEP_1)
	v_cmp_gt_u32_e64 s0, s26, v2
                                        ; implicit-def: $vgpr2
	s_and_saveexec_b32 s4, s0
	s_cbranch_execz .LBB677_11
; %bb.10:
	v_lshlrev_b32_e32 v2, 1, v0
	s_delay_alu instid0(VALU_DEP_1) | instskip(NEXT) | instid1(VALU_DEP_1)
	v_add_co_u32 v2, s1, v5, v2
	v_add_co_ci_u32_e64 v3, s1, 0, v6, s1
	flat_load_u16 v2, v[2:3] offset:512
.LBB677_11:
	s_or_b32 exec_lo, exec_lo, s4
	v_or_b32_e32 v3, 0x200, v0
	s_delay_alu instid0(VALU_DEP_1) | instskip(NEXT) | instid1(VALU_DEP_1)
	v_cmp_gt_u32_e64 s1, s26, v3
                                        ; implicit-def: $vgpr3
	s_and_saveexec_b32 s5, s1
	s_cbranch_execz .LBB677_13
; %bb.12:
	v_lshlrev_b32_e32 v3, 1, v0
	s_delay_alu instid0(VALU_DEP_1) | instskip(NEXT) | instid1(VALU_DEP_1)
	v_add_co_u32 v3, s4, v5, v3
	v_add_co_ci_u32_e64 v4, s4, 0, v6, s4
	flat_load_u16 v3, v[3:4] offset:1024
.LBB677_13:
	s_or_b32 exec_lo, exec_lo, s5
	v_or_b32_e32 v4, 0x300, v0
	s_delay_alu instid0(VALU_DEP_1) | instskip(NEXT) | instid1(VALU_DEP_1)
	v_cmp_gt_u32_e64 s4, s26, v4
                                        ; implicit-def: $vgpr4
	s_and_saveexec_b32 s6, s4
	s_cbranch_execz .LBB677_15
; %bb.14:
	v_lshlrev_b32_e32 v4, 1, v0
	s_delay_alu instid0(VALU_DEP_1) | instskip(NEXT) | instid1(VALU_DEP_1)
	v_add_co_u32 v9, s5, v5, v4
	v_add_co_ci_u32_e64 v10, s5, 0, v6, s5
	flat_load_u16 v4, v[9:10] offset:1536
.LBB677_15:
	s_or_b32 exec_lo, exec_lo, s6
	v_or_b32_e32 v9, 0x400, v0
	s_delay_alu instid0(VALU_DEP_1) | instskip(NEXT) | instid1(VALU_DEP_1)
	v_cmp_gt_u32_e64 s5, s26, v9
                                        ; implicit-def: $vgpr9
	s_and_saveexec_b32 s7, s5
	s_cbranch_execz .LBB677_17
; %bb.16:
	v_lshlrev_b32_e32 v9, 1, v0
	s_delay_alu instid0(VALU_DEP_1) | instskip(NEXT) | instid1(VALU_DEP_1)
	v_add_co_u32 v9, s6, v5, v9
	v_add_co_ci_u32_e64 v10, s6, 0, v6, s6
	flat_load_u16 v9, v[9:10] offset:2048
.LBB677_17:
	s_or_b32 exec_lo, exec_lo, s7
	v_or_b32_e32 v10, 0x500, v0
	s_delay_alu instid0(VALU_DEP_1) | instskip(NEXT) | instid1(VALU_DEP_1)
	v_cmp_gt_u32_e64 s6, s26, v10
                                        ; implicit-def: $vgpr10
	s_and_saveexec_b32 s8, s6
	s_cbranch_execz .LBB677_19
; %bb.18:
	v_lshlrev_b32_e32 v10, 1, v0
	s_delay_alu instid0(VALU_DEP_1) | instskip(NEXT) | instid1(VALU_DEP_1)
	v_add_co_u32 v10, s7, v5, v10
	v_add_co_ci_u32_e64 v11, s7, 0, v6, s7
	flat_load_u16 v10, v[10:11] offset:2560
.LBB677_19:
	s_or_b32 exec_lo, exec_lo, s8
	v_or_b32_e32 v11, 0x600, v0
	s_delay_alu instid0(VALU_DEP_1) | instskip(NEXT) | instid1(VALU_DEP_1)
	v_cmp_gt_u32_e64 s7, s26, v11
                                        ; implicit-def: $vgpr11
	s_and_saveexec_b32 s9, s7
	s_cbranch_execz .LBB677_21
; %bb.20:
	v_lshlrev_b32_e32 v11, 1, v0
	s_delay_alu instid0(VALU_DEP_1) | instskip(NEXT) | instid1(VALU_DEP_1)
	v_add_co_u32 v11, s8, v5, v11
	v_add_co_ci_u32_e64 v12, s8, 0, v6, s8
	flat_load_u16 v11, v[11:12] offset:3072
.LBB677_21:
	s_or_b32 exec_lo, exec_lo, s9
	v_or_b32_e32 v12, 0x700, v0
	s_delay_alu instid0(VALU_DEP_1) | instskip(NEXT) | instid1(VALU_DEP_1)
	v_cmp_gt_u32_e64 s8, s26, v12
                                        ; implicit-def: $vgpr12
	s_and_saveexec_b32 s10, s8
	s_cbranch_execz .LBB677_23
; %bb.22:
	v_lshlrev_b32_e32 v12, 1, v0
	s_delay_alu instid0(VALU_DEP_1) | instskip(NEXT) | instid1(VALU_DEP_1)
	v_add_co_u32 v12, s9, v5, v12
	v_add_co_ci_u32_e64 v13, s9, 0, v6, s9
	flat_load_u16 v12, v[12:13] offset:3584
.LBB677_23:
	s_or_b32 exec_lo, exec_lo, s10
	v_or_b32_e32 v14, 0x800, v0
                                        ; implicit-def: $vgpr21
	s_delay_alu instid0(VALU_DEP_1) | instskip(NEXT) | instid1(VALU_DEP_1)
	v_cmp_gt_u32_e64 s9, s26, v14
	s_and_saveexec_b32 s11, s9
	s_cbranch_execz .LBB677_25
; %bb.24:
	v_lshlrev_b32_e32 v13, 1, v14
	s_delay_alu instid0(VALU_DEP_1) | instskip(NEXT) | instid1(VALU_DEP_1)
	v_add_co_u32 v15, s10, v5, v13
	v_add_co_ci_u32_e64 v16, s10, 0, v6, s10
	flat_load_u16 v21, v[15:16]
.LBB677_25:
	s_or_b32 exec_lo, exec_lo, s11
	v_or_b32_e32 v15, 0x900, v0
                                        ; implicit-def: $vgpr22
	s_delay_alu instid0(VALU_DEP_1) | instskip(NEXT) | instid1(VALU_DEP_1)
	v_cmp_gt_u32_e64 s10, s26, v15
	s_and_saveexec_b32 s12, s10
	s_cbranch_execz .LBB677_27
; %bb.26:
	v_lshlrev_b32_e32 v13, 1, v15
	s_delay_alu instid0(VALU_DEP_1) | instskip(NEXT) | instid1(VALU_DEP_1)
	v_add_co_u32 v16, s11, v5, v13
	v_add_co_ci_u32_e64 v17, s11, 0, v6, s11
	flat_load_u16 v22, v[16:17]
.LBB677_27:
	s_or_b32 exec_lo, exec_lo, s12
	v_or_b32_e32 v16, 0xa00, v0
                                        ; implicit-def: $vgpr23
	s_delay_alu instid0(VALU_DEP_1) | instskip(NEXT) | instid1(VALU_DEP_1)
	v_cmp_gt_u32_e64 s11, s26, v16
	s_and_saveexec_b32 s13, s11
	s_cbranch_execz .LBB677_29
; %bb.28:
	v_lshlrev_b32_e32 v13, 1, v16
	s_delay_alu instid0(VALU_DEP_1) | instskip(NEXT) | instid1(VALU_DEP_1)
	v_add_co_u32 v17, s12, v5, v13
	v_add_co_ci_u32_e64 v18, s12, 0, v6, s12
	flat_load_u16 v23, v[17:18]
.LBB677_29:
	s_or_b32 exec_lo, exec_lo, s13
	v_or_b32_e32 v17, 0xb00, v0
                                        ; implicit-def: $vgpr24
	s_delay_alu instid0(VALU_DEP_1) | instskip(NEXT) | instid1(VALU_DEP_1)
	v_cmp_gt_u32_e64 s12, s26, v17
	s_and_saveexec_b32 s14, s12
	s_cbranch_execz .LBB677_31
; %bb.30:
	v_lshlrev_b32_e32 v13, 1, v17
	s_delay_alu instid0(VALU_DEP_1) | instskip(NEXT) | instid1(VALU_DEP_1)
	v_add_co_u32 v18, s13, v5, v13
	v_add_co_ci_u32_e64 v19, s13, 0, v6, s13
	flat_load_u16 v24, v[18:19]
.LBB677_31:
	s_or_b32 exec_lo, exec_lo, s14
	v_or_b32_e32 v18, 0xc00, v0
                                        ; implicit-def: $vgpr25
	s_delay_alu instid0(VALU_DEP_1) | instskip(NEXT) | instid1(VALU_DEP_1)
	v_cmp_gt_u32_e64 s13, s26, v18
	s_and_saveexec_b32 s15, s13
	s_cbranch_execz .LBB677_33
; %bb.32:
	v_lshlrev_b32_e32 v13, 1, v18
	s_delay_alu instid0(VALU_DEP_1) | instskip(NEXT) | instid1(VALU_DEP_1)
	v_add_co_u32 v19, s14, v5, v13
	v_add_co_ci_u32_e64 v20, s14, 0, v6, s14
	flat_load_u16 v25, v[19:20]
.LBB677_33:
	s_or_b32 exec_lo, exec_lo, s15
	v_or_b32_e32 v19, 0xd00, v0
                                        ; implicit-def: $vgpr26
	s_delay_alu instid0(VALU_DEP_1) | instskip(NEXT) | instid1(VALU_DEP_1)
	v_cmp_gt_u32_e64 s14, s26, v19
	s_and_saveexec_b32 s16, s14
	s_cbranch_execz .LBB677_35
; %bb.34:
	v_lshlrev_b32_e32 v13, 1, v19
	s_delay_alu instid0(VALU_DEP_1) | instskip(NEXT) | instid1(VALU_DEP_1)
	v_add_co_u32 v26, s15, v5, v13
	v_add_co_ci_u32_e64 v27, s15, 0, v6, s15
	flat_load_u16 v26, v[26:27]
.LBB677_35:
	s_or_b32 exec_lo, exec_lo, s16
	v_or_b32_e32 v20, 0xe00, v0
                                        ; implicit-def: $vgpr27
	s_delay_alu instid0(VALU_DEP_1) | instskip(NEXT) | instid1(VALU_DEP_1)
	v_cmp_gt_u32_e64 s15, s26, v20
	s_and_saveexec_b32 s27, s15
	s_cbranch_execz .LBB677_37
; %bb.36:
	v_lshlrev_b32_e32 v13, 1, v20
	s_delay_alu instid0(VALU_DEP_1) | instskip(NEXT) | instid1(VALU_DEP_1)
	v_add_co_u32 v27, s16, v5, v13
	v_add_co_ci_u32_e64 v28, s16, 0, v6, s16
	flat_load_u16 v27, v[27:28]
.LBB677_37:
	s_or_b32 exec_lo, exec_lo, s27
	v_lshlrev_b32_e32 v13, 1, v0
	s_waitcnt vmcnt(0) lgkmcnt(0)
	ds_store_b16 v13, v1
	ds_store_b16 v13, v2 offset:512
	ds_store_b16 v13, v3 offset:1024
	;; [unrolled: 1-line block ×7, first 2 shown]
	v_mad_u32_u24 v9, v0, 28, v13
	ds_store_b16 v13, v21 offset:4096
	ds_store_b16 v13, v22 offset:4608
	;; [unrolled: 1-line block ×7, first 2 shown]
	s_waitcnt lgkmcnt(0)
	s_barrier
	buffer_gl0_inv
	ds_load_u16 v62, v9
	ds_load_b128 v[1:4], v9 offset:2
	ds_load_b96 v[10:12], v9 offset:18
	s_waitcnt lgkmcnt(0)
	s_barrier
	buffer_gl0_inv
                                        ; implicit-def: $vgpr21
	s_and_saveexec_b32 s16, vcc_lo
	s_cbranch_execnz .LBB677_61
; %bb.38:
	s_or_b32 exec_lo, exec_lo, s16
                                        ; implicit-def: $vgpr22
	s_and_saveexec_b32 s16, s0
	s_cbranch_execnz .LBB677_62
.LBB677_39:
	s_or_b32 exec_lo, exec_lo, s16
                                        ; implicit-def: $vgpr23
	s_and_saveexec_b32 s0, s1
	s_cbranch_execnz .LBB677_63
.LBB677_40:
	s_or_b32 exec_lo, exec_lo, s0
                                        ; implicit-def: $vgpr24
	s_and_saveexec_b32 s0, s4
	s_cbranch_execnz .LBB677_64
.LBB677_41:
	s_or_b32 exec_lo, exec_lo, s0
                                        ; implicit-def: $vgpr25
	s_and_saveexec_b32 s0, s5
	s_cbranch_execnz .LBB677_65
.LBB677_42:
	s_or_b32 exec_lo, exec_lo, s0
                                        ; implicit-def: $vgpr26
	s_and_saveexec_b32 s0, s6
	s_cbranch_execnz .LBB677_66
.LBB677_43:
	s_or_b32 exec_lo, exec_lo, s0
                                        ; implicit-def: $vgpr27
	s_and_saveexec_b32 s0, s7
	s_cbranch_execnz .LBB677_67
.LBB677_44:
	s_or_b32 exec_lo, exec_lo, s0
                                        ; implicit-def: $vgpr28
	s_and_saveexec_b32 s0, s8
	s_cbranch_execnz .LBB677_68
.LBB677_45:
	s_or_b32 exec_lo, exec_lo, s0
                                        ; implicit-def: $vgpr29
	s_and_saveexec_b32 s0, s9
	s_cbranch_execnz .LBB677_69
.LBB677_46:
	s_or_b32 exec_lo, exec_lo, s0
                                        ; implicit-def: $vgpr30
	s_and_saveexec_b32 s0, s10
	s_cbranch_execnz .LBB677_70
.LBB677_47:
	s_or_b32 exec_lo, exec_lo, s0
                                        ; implicit-def: $vgpr15
	s_and_saveexec_b32 s0, s11
	s_cbranch_execnz .LBB677_71
.LBB677_48:
	s_or_b32 exec_lo, exec_lo, s0
                                        ; implicit-def: $vgpr16
	s_and_saveexec_b32 s0, s12
	s_cbranch_execnz .LBB677_72
.LBB677_49:
	s_or_b32 exec_lo, exec_lo, s0
                                        ; implicit-def: $vgpr17
	s_and_saveexec_b32 s0, s13
	s_cbranch_execnz .LBB677_73
.LBB677_50:
	s_or_b32 exec_lo, exec_lo, s0
                                        ; implicit-def: $vgpr18
	s_and_saveexec_b32 s0, s14
	s_cbranch_execnz .LBB677_74
.LBB677_51:
	s_or_b32 exec_lo, exec_lo, s0
                                        ; implicit-def: $vgpr19
	s_and_saveexec_b32 s0, s15
	s_cbranch_execz .LBB677_53
.LBB677_52:
	v_lshlrev_b32_e32 v14, 1, v20
	s_delay_alu instid0(VALU_DEP_1)
	v_add_co_u32 v7, vcc_lo, v7, v14
	v_add_co_ci_u32_e32 v8, vcc_lo, 0, v8, vcc_lo
	flat_load_u16 v19, v[7:8]
.LBB677_53:
	s_or_b32 exec_lo, exec_lo, s0
	v_mul_u32_u24_e32 v14, 15, v0
	s_waitcnt vmcnt(0) lgkmcnt(0)
	ds_store_b16 v13, v21
	ds_store_b16 v13, v22 offset:512
	ds_store_b16 v13, v23 offset:1024
	;; [unrolled: 1-line block ×14, first 2 shown]
	s_waitcnt lgkmcnt(0)
	s_barrier
.LBB677_54:
	v_lshlrev_b32_e32 v7, 1, v14
	buffer_gl0_inv
	ds_load_u16 v73, v9
	ds_load_u16 v72, v9 offset:2
	ds_load_u16 v70, v9 offset:6
	;; [unrolled: 1-line block ×14, first 2 shown]
	s_cmp_eq_u64 s[24:25], 0
	s_waitcnt lgkmcnt(0)
	s_cselect_b32 s27, -1, 0
	s_cmp_lg_u64 s[24:25], 0
	s_barrier
	s_cselect_b32 s16, -1, 0
	s_and_b32 vcc_lo, exec_lo, s40
	buffer_gl0_inv
	s_cbranch_vccz .LBB677_60
; %bb.55:
	s_and_b32 vcc_lo, exec_lo, s16
	s_cbranch_vccz .LBB677_75
; %bb.56:
	v_add_co_u32 v7, vcc_lo, -2, v5
	v_add_co_ci_u32_e32 v8, vcc_lo, -1, v6, vcc_lo
	v_ashrrev_i32_e32 v9, 16, v12
	v_ashrrev_i32_e32 v16, 16, v11
	v_bfe_i32 v18, v10, 0, 16
	flat_load_u16 v7, v[7:8]
	v_bfe_i32 v8, v12, 0, 16
	v_mul_i32_i24_e32 v9, 0x6667, v9
	v_ashrrev_i32_e32 v21, 16, v2
	v_mul_i32_i24_e32 v18, 0x6667, v18
	v_lshrrev_b32_e32 v17, 16, v12
	v_mul_i32_i24_e32 v8, 0x6667, v8
	v_lshrrev_b32_e32 v15, 31, v9
	v_ashrrev_i32_e32 v9, 18, v9
	s_mov_b32 s15, -1
	s_delay_alu instid0(VALU_DEP_3) | instskip(SKIP_1) | instid1(VALU_DEP_3)
	v_lshrrev_b32_e32 v13, 31, v8
	v_ashrrev_i32_e32 v14, 18, v8
	v_add_nc_u16 v9, v9, v15
	v_mul_i32_i24_e32 v15, 0x6667, v16
	v_ashrrev_i32_e32 v16, 16, v10
	v_lshlrev_b32_e32 v8, 1, v0
	v_add_nc_u16 v13, v14, v13
	v_bfe_i32 v14, v11, 0, 16
	s_delay_alu instid0(VALU_DEP_4)
	v_mul_i32_i24_e32 v16, 0x6667, v16
	ds_store_b16 v8, v17
	v_cmp_ne_u16_e32 vcc_lo, v13, v9
	v_mul_i32_i24_e32 v9, 0x6667, v14
	v_lshrrev_b32_e32 v14, 31, v15
	v_ashrrev_i32_e32 v15, 18, v15
	v_lshrrev_b32_e32 v20, 31, v16
	v_ashrrev_i32_e32 v16, 18, v16
	;; [unrolled: 2-line block ×3, first 2 shown]
	v_add_nc_u16 v14, v15, v14
	v_ashrrev_i32_e32 v15, 16, v4
	v_add_nc_u16 v16, v16, v20
	s_waitcnt vmcnt(0) lgkmcnt(0)
	v_add_nc_u16 v9, v9, v19
	v_lshrrev_b32_e32 v19, 31, v18
	v_ashrrev_i32_e32 v18, 18, v18
	v_cmp_ne_u16_e64 s0, v14, v13
	v_mul_i32_i24_e32 v13, 0x6667, v15
	v_cmp_ne_u16_e64 s1, v9, v14
	v_cmp_ne_u16_e64 s4, v16, v9
	v_add_nc_u16 v9, v18, v19
	v_bfe_i32 v14, v4, 0, 16
	v_ashrrev_i32_e32 v18, 16, v3
	v_lshrrev_b32_e32 v15, 31, v13
	v_ashrrev_i32_e32 v13, 18, v13
	v_bfe_i32 v19, v3, 0, 16
	v_mul_i32_i24_e32 v14, 0x6667, v14
	v_cmp_ne_u16_e64 s5, v9, v16
	v_mul_i32_i24_e32 v16, 0x6667, v18
	v_add_nc_u16 v13, v13, v15
	v_mul_i32_i24_e32 v15, 0x6667, v19
	v_lshrrev_b32_e32 v18, 31, v14
	v_ashrrev_i32_e32 v14, 18, v14
	v_lshrrev_b32_e32 v19, 31, v16
	v_ashrrev_i32_e32 v16, 18, v16
	v_cmp_ne_u16_e64 s6, v13, v9
	v_lshrrev_b32_e32 v20, 31, v15
	v_add_nc_u16 v14, v14, v18
	v_ashrrev_i32_e32 v15, 18, v15
	v_add_nc_u16 v9, v16, v19
	v_bfe_i32 v18, v1, 0, 16
	v_bfe_i32 v19, v62, 0, 16
	v_cmp_ne_u16_e64 s7, v14, v13
	v_bfe_i32 v13, v2, 0, 16
	v_cmp_ne_u16_e64 s8, v9, v14
	v_ashrrev_i32_e32 v14, 16, v1
	v_add_nc_u16 v15, v15, v20
	v_mul_i32_i24_e32 v16, 0x6667, v21
	v_mul_i32_i24_e32 v13, 0x6667, v13
	;; [unrolled: 1-line block ×5, first 2 shown]
	v_cmp_ne_u16_e64 s9, v15, v9
	v_lshrrev_b32_e32 v9, 31, v16
	v_ashrrev_i32_e32 v16, 18, v16
	v_lshrrev_b32_e32 v20, 31, v13
	v_ashrrev_i32_e32 v13, 18, v13
	;; [unrolled: 2-line block ×5, first 2 shown]
	v_add_nc_u16 v16, v16, v9
	v_add_nc_u16 v13, v13, v20
	;; [unrolled: 1-line block ×5, first 2 shown]
	v_cmp_ne_u16_e64 s14, v16, v15
	v_cmp_ne_u16_e64 s10, v13, v16
	;; [unrolled: 1-line block ×5, first 2 shown]
	s_barrier
	buffer_gl0_inv
	s_and_saveexec_b32 s40, s3
	s_cbranch_execz .LBB677_58
; %bb.57:
	v_add_nc_u32_e32 v7, -2, v8
	ds_load_u16 v7, v7
.LBB677_58:
	s_or_b32 exec_lo, exec_lo, s40
	s_waitcnt lgkmcnt(0)
	v_bfe_i32 v7, v7, 0, 16
	v_cndmask_b32_e64 v61, 0, 1, vcc_lo
	v_cndmask_b32_e64 v14, 0, 1, s0
	v_cndmask_b32_e64 v13, 0, 1, s1
	;; [unrolled: 1-line block ×3, first 2 shown]
	v_mul_i32_i24_e32 v7, 0x6667, v7
	v_cndmask_b32_e64 v15, 0, 1, s5
	v_cndmask_b32_e64 v18, 0, 1, s6
	;; [unrolled: 1-line block ×4, first 2 shown]
	v_lshrrev_b32_e32 v8, 31, v7
	v_ashrrev_i32_e32 v7, 18, v7
	v_cndmask_b32_e64 v19, 0, 1, s9
	v_cndmask_b32_e64 v22, 0, 1, s14
	;; [unrolled: 1-line block ×4, first 2 shown]
	v_add_nc_u16 v7, v7, v8
	v_cndmask_b32_e64 v23, 0, 1, s12
	v_cndmask_b32_e64 v26, 0, 1, s13
	s_delay_alu instid0(VALU_DEP_3)
	v_cmp_ne_u16_e64 s4, v7, v9
.LBB677_59:
                                        ; implicit-def: $sgpr0
	s_branch .LBB677_114
.LBB677_60:
	s_mov_b32 s15, 0
                                        ; implicit-def: $sgpr4
                                        ; implicit-def: $vgpr61
                                        ; implicit-def: $vgpr14
                                        ; implicit-def: $vgpr13
                                        ; implicit-def: $vgpr16
                                        ; implicit-def: $vgpr15
                                        ; implicit-def: $vgpr18
                                        ; implicit-def: $vgpr17
                                        ; implicit-def: $vgpr20
                                        ; implicit-def: $vgpr19
                                        ; implicit-def: $vgpr22
                                        ; implicit-def: $vgpr21
                                        ; implicit-def: $vgpr24
                                        ; implicit-def: $vgpr23
                                        ; implicit-def: $vgpr26
                                        ; implicit-def: $sgpr0
	s_cbranch_execnz .LBB677_79
	s_branch .LBB677_114
.LBB677_61:
	v_add_co_u32 v21, vcc_lo, v7, v13
	v_add_co_ci_u32_e32 v22, vcc_lo, 0, v8, vcc_lo
	flat_load_u16 v21, v[21:22]
	s_or_b32 exec_lo, exec_lo, s16
                                        ; implicit-def: $vgpr22
	s_and_saveexec_b32 s16, s0
	s_cbranch_execz .LBB677_39
.LBB677_62:
	v_add_co_u32 v22, vcc_lo, v7, v13
	v_add_co_ci_u32_e32 v23, vcc_lo, 0, v8, vcc_lo
	flat_load_u16 v22, v[22:23] offset:512
	s_or_b32 exec_lo, exec_lo, s16
                                        ; implicit-def: $vgpr23
	s_and_saveexec_b32 s0, s1
	s_cbranch_execz .LBB677_40
.LBB677_63:
	v_add_co_u32 v23, vcc_lo, v7, v13
	v_add_co_ci_u32_e32 v24, vcc_lo, 0, v8, vcc_lo
	flat_load_u16 v23, v[23:24] offset:1024
	s_or_b32 exec_lo, exec_lo, s0
                                        ; implicit-def: $vgpr24
	s_and_saveexec_b32 s0, s4
	s_cbranch_execz .LBB677_41
.LBB677_64:
	v_add_co_u32 v24, vcc_lo, v7, v13
	v_add_co_ci_u32_e32 v25, vcc_lo, 0, v8, vcc_lo
	flat_load_u16 v24, v[24:25] offset:1536
	s_or_b32 exec_lo, exec_lo, s0
                                        ; implicit-def: $vgpr25
	s_and_saveexec_b32 s0, s5
	s_cbranch_execz .LBB677_42
.LBB677_65:
	v_add_co_u32 v25, vcc_lo, v7, v13
	v_add_co_ci_u32_e32 v26, vcc_lo, 0, v8, vcc_lo
	flat_load_u16 v25, v[25:26] offset:2048
	s_or_b32 exec_lo, exec_lo, s0
                                        ; implicit-def: $vgpr26
	s_and_saveexec_b32 s0, s6
	s_cbranch_execz .LBB677_43
.LBB677_66:
	v_add_co_u32 v26, vcc_lo, v7, v13
	v_add_co_ci_u32_e32 v27, vcc_lo, 0, v8, vcc_lo
	flat_load_u16 v26, v[26:27] offset:2560
	s_or_b32 exec_lo, exec_lo, s0
                                        ; implicit-def: $vgpr27
	s_and_saveexec_b32 s0, s7
	s_cbranch_execz .LBB677_44
.LBB677_67:
	v_add_co_u32 v27, vcc_lo, v7, v13
	v_add_co_ci_u32_e32 v28, vcc_lo, 0, v8, vcc_lo
	flat_load_u16 v27, v[27:28] offset:3072
	s_or_b32 exec_lo, exec_lo, s0
                                        ; implicit-def: $vgpr28
	s_and_saveexec_b32 s0, s8
	s_cbranch_execz .LBB677_45
.LBB677_68:
	v_add_co_u32 v28, vcc_lo, v7, v13
	v_add_co_ci_u32_e32 v29, vcc_lo, 0, v8, vcc_lo
	flat_load_u16 v28, v[28:29] offset:3584
	s_or_b32 exec_lo, exec_lo, s0
                                        ; implicit-def: $vgpr29
	s_and_saveexec_b32 s0, s9
	s_cbranch_execz .LBB677_46
.LBB677_69:
	v_lshlrev_b32_e32 v14, 1, v14
	s_delay_alu instid0(VALU_DEP_1)
	v_add_co_u32 v29, vcc_lo, v7, v14
	v_add_co_ci_u32_e32 v30, vcc_lo, 0, v8, vcc_lo
	flat_load_u16 v29, v[29:30]
	s_or_b32 exec_lo, exec_lo, s0
                                        ; implicit-def: $vgpr30
	s_and_saveexec_b32 s0, s10
	s_cbranch_execz .LBB677_47
.LBB677_70:
	v_lshlrev_b32_e32 v14, 1, v15
	s_delay_alu instid0(VALU_DEP_1)
	v_add_co_u32 v14, vcc_lo, v7, v14
	v_add_co_ci_u32_e32 v15, vcc_lo, 0, v8, vcc_lo
	flat_load_u16 v30, v[14:15]
	s_or_b32 exec_lo, exec_lo, s0
                                        ; implicit-def: $vgpr15
	s_and_saveexec_b32 s0, s11
	s_cbranch_execz .LBB677_48
.LBB677_71:
	v_lshlrev_b32_e32 v14, 1, v16
	s_delay_alu instid0(VALU_DEP_1)
	v_add_co_u32 v14, vcc_lo, v7, v14
	v_add_co_ci_u32_e32 v15, vcc_lo, 0, v8, vcc_lo
	flat_load_u16 v15, v[14:15]
	s_or_b32 exec_lo, exec_lo, s0
                                        ; implicit-def: $vgpr16
	s_and_saveexec_b32 s0, s12
	s_cbranch_execz .LBB677_49
.LBB677_72:
	v_lshlrev_b32_e32 v14, 1, v17
	s_delay_alu instid0(VALU_DEP_1)
	v_add_co_u32 v16, vcc_lo, v7, v14
	v_add_co_ci_u32_e32 v17, vcc_lo, 0, v8, vcc_lo
	flat_load_u16 v16, v[16:17]
	s_or_b32 exec_lo, exec_lo, s0
                                        ; implicit-def: $vgpr17
	s_and_saveexec_b32 s0, s13
	s_cbranch_execz .LBB677_50
.LBB677_73:
	v_lshlrev_b32_e32 v14, 1, v18
	s_delay_alu instid0(VALU_DEP_1)
	v_add_co_u32 v17, vcc_lo, v7, v14
	v_add_co_ci_u32_e32 v18, vcc_lo, 0, v8, vcc_lo
	flat_load_u16 v17, v[17:18]
	s_or_b32 exec_lo, exec_lo, s0
                                        ; implicit-def: $vgpr18
	s_and_saveexec_b32 s0, s14
	s_cbranch_execz .LBB677_51
.LBB677_74:
	v_lshlrev_b32_e32 v14, 1, v19
	s_delay_alu instid0(VALU_DEP_1)
	v_add_co_u32 v18, vcc_lo, v7, v14
	v_add_co_ci_u32_e32 v19, vcc_lo, 0, v8, vcc_lo
	flat_load_u16 v18, v[18:19]
	s_or_b32 exec_lo, exec_lo, s0
                                        ; implicit-def: $vgpr19
	s_and_saveexec_b32 s0, s15
	s_cbranch_execnz .LBB677_52
	s_branch .LBB677_53
.LBB677_75:
	s_mov_b32 s15, 0
                                        ; implicit-def: $sgpr4
                                        ; implicit-def: $vgpr61
                                        ; implicit-def: $vgpr14
                                        ; implicit-def: $vgpr13
                                        ; implicit-def: $vgpr16
                                        ; implicit-def: $vgpr15
                                        ; implicit-def: $vgpr18
                                        ; implicit-def: $vgpr17
                                        ; implicit-def: $vgpr20
                                        ; implicit-def: $vgpr19
                                        ; implicit-def: $vgpr22
                                        ; implicit-def: $vgpr21
                                        ; implicit-def: $vgpr24
                                        ; implicit-def: $vgpr23
                                        ; implicit-def: $vgpr26
	s_cbranch_execz .LBB677_59
; %bb.76:
	v_bfe_i32 v7, v12, 0, 16
	v_ashrrev_i32_e32 v8, 16, v12
	v_ashrrev_i32_e32 v13, 16, v11
	v_bfe_i32 v16, v11, 0, 16
	v_ashrrev_i32_e32 v17, 16, v10
	v_mul_i32_i24_e32 v9, 0x6667, v7
	v_mul_i32_i24_e32 v8, 0x6667, v8
	;; [unrolled: 1-line block ×3, first 2 shown]
	v_bfe_i32 v18, v10, 0, 16
	v_ashrrev_i32_e32 v19, 16, v3
	v_lshrrev_b32_e32 v14, 31, v9
	v_ashrrev_i32_e32 v9, 18, v9
	v_lshrrev_b32_e32 v15, 31, v8
	v_ashrrev_i32_e32 v8, 18, v8
	v_mul_i32_i24_e32 v19, 0x6667, v19
	v_ashrrev_i32_e32 v23, 16, v2
	v_add_nc_u16 v9, v9, v14
	v_lshrrev_b32_e32 v14, 31, v13
	v_add_nc_u16 v8, v8, v15
	v_mul_i32_i24_e32 v15, 0x6667, v16
	v_ashrrev_i32_e32 v13, 18, v13
	v_mul_i32_i24_e32 v16, 0x6667, v17
	v_lshrrev_b32_e32 v21, 31, v19
	v_cmp_ne_u16_e32 vcc_lo, v9, v8
	v_lshrrev_b32_e32 v8, 31, v15
	v_ashrrev_i32_e32 v15, 18, v15
	v_add_nc_u16 v13, v13, v14
	v_lshrrev_b32_e32 v17, 31, v16
	v_cndmask_b32_e64 v61, 0, 1, vcc_lo
	v_ashrrev_i32_e32 v16, 18, v16
	v_add_nc_u16 v8, v15, v8
	v_cmp_ne_u16_e32 vcc_lo, v13, v9
	v_mul_i32_i24_e32 v9, 0x6667, v18
	v_ashrrev_i32_e32 v19, 18, v19
	v_add_nc_u16 v15, v16, v17
	v_ashrrev_i32_e32 v16, 16, v4
	v_cndmask_b32_e64 v14, 0, 1, vcc_lo
	v_cmp_ne_u16_e32 vcc_lo, v8, v13
	v_lshrrev_b32_e32 v17, 31, v9
	v_ashrrev_i32_e32 v9, 18, v9
	v_mul_i32_i24_e32 v18, 0x6667, v16
	v_bfe_i32 v24, v1, 0, 16
	v_cndmask_b32_e64 v13, 0, 1, vcc_lo
	v_cmp_ne_u16_e32 vcc_lo, v15, v8
	v_bfe_i32 v8, v4, 0, 16
	v_add_nc_u16 v9, v9, v17
	v_lshrrev_b32_e32 v17, 31, v18
	v_ashrrev_i32_e32 v18, 18, v18
	v_cndmask_b32_e64 v16, 0, 1, vcc_lo
	v_mul_i32_i24_e32 v8, 0x6667, v8
	v_cmp_ne_u16_e32 vcc_lo, v9, v15
	v_mul_i32_i24_e32 v24, 0x6667, v24
	v_add_nc_u16 v17, v18, v17
	v_bfe_i32 v18, v3, 0, 16
	v_lshrrev_b32_e32 v20, 31, v8
	v_ashrrev_i32_e32 v8, 18, v8
	v_cndmask_b32_e64 v15, 0, 1, vcc_lo
	v_cmp_ne_u16_e32 vcc_lo, v17, v9
	v_mul_i32_i24_e32 v22, 0x6667, v18
	v_add_nc_u16 v9, v19, v21
	v_add_nc_u16 v8, v8, v20
	v_mul_i32_i24_e32 v19, 0x6667, v23
	v_cndmask_b32_e64 v18, 0, 1, vcc_lo
	v_lshrrev_b32_e32 v20, 31, v22
	v_ashrrev_i32_e32 v21, 18, v22
	v_cmp_ne_u16_e32 vcc_lo, v8, v17
	v_lshrrev_b32_e32 v22, 31, v19
	v_ashrrev_i32_e32 v19, 18, v19
	v_lshrrev_b32_e32 v28, 31, v24
	v_add_nc_u16 v21, v21, v20
	v_cndmask_b32_e64 v17, 0, 1, vcc_lo
	v_cmp_ne_u16_e32 vcc_lo, v9, v8
	v_bfe_i32 v8, v2, 0, 16
	v_add_nc_u16 v23, v19, v22
	v_ashrrev_i32_e32 v24, 18, v24
	v_lshlrev_b32_e32 v7, 1, v0
	v_cndmask_b32_e64 v20, 0, 1, vcc_lo
	v_cmp_ne_u16_e32 vcc_lo, v21, v9
	v_ashrrev_i32_e32 v9, 16, v1
	v_mul_i32_i24_e32 v8, 0x6667, v8
	v_lshrrev_b32_e32 v25, 16, v12
	s_mov_b32 s0, 1
	v_cndmask_b32_e64 v19, 0, 1, vcc_lo
	v_mul_i32_i24_e32 v9, 0x6667, v9
	v_lshrrev_b32_e32 v26, 31, v8
	v_ashrrev_i32_e32 v8, 18, v8
	v_cmp_ne_u16_e32 vcc_lo, v23, v21
	v_bfe_i32 v21, v62, 0, 16
	v_lshrrev_b32_e32 v27, 31, v9
	v_ashrrev_i32_e32 v9, 18, v9
	v_add_nc_u16 v26, v8, v26
	v_cndmask_b32_e64 v22, 0, 1, vcc_lo
	v_mul_i32_i24_e32 v21, 0x6667, v21
	ds_store_b16 v7, v25
	v_add_nc_u16 v9, v9, v27
	v_cmp_ne_u16_e32 vcc_lo, v26, v23
	v_add_nc_u16 v27, v24, v28
	v_lshrrev_b32_e32 v8, 31, v21
	v_ashrrev_i32_e32 v29, 18, v21
	s_waitcnt lgkmcnt(0)
	v_cndmask_b32_e64 v21, 0, 1, vcc_lo
	v_cmp_ne_u16_e32 vcc_lo, v9, v26
	s_barrier
	v_add_nc_u16 v8, v29, v8
	buffer_gl0_inv
                                        ; implicit-def: $sgpr4
	v_cndmask_b32_e64 v24, 0, 1, vcc_lo
	v_cmp_ne_u16_e32 vcc_lo, v27, v9
	v_cndmask_b32_e64 v23, 0, 1, vcc_lo
	v_cmp_ne_u16_e32 vcc_lo, v8, v27
	v_cndmask_b32_e64 v26, 0, 1, vcc_lo
	s_and_saveexec_b32 s1, s3
	s_delay_alu instid0(SALU_CYCLE_1)
	s_xor_b32 s1, exec_lo, s1
	s_cbranch_execz .LBB677_78
; %bb.77:
	v_add_nc_u32_e32 v7, -2, v7
	s_or_b32 s15, s15, exec_lo
	ds_load_i16 v7, v7
	s_waitcnt lgkmcnt(0)
	v_mul_i32_i24_e32 v7, 0x6667, v7
	s_delay_alu instid0(VALU_DEP_1) | instskip(SKIP_1) | instid1(VALU_DEP_1)
	v_lshrrev_b32_e32 v9, 31, v7
	v_ashrrev_i32_e32 v7, 18, v7
	v_add_nc_u16 v7, v7, v9
	s_delay_alu instid0(VALU_DEP_1)
	v_cmp_ne_u16_e32 vcc_lo, v7, v8
	s_and_b32 s4, vcc_lo, exec_lo
.LBB677_78:
	s_or_b32 exec_lo, exec_lo, s1
	s_branch .LBB677_114
.LBB677_79:
	s_mul_hi_u32 s0, s24, 0xfffff100
	s_mul_i32 s1, s25, 0xfffff100
	s_sub_i32 s0, s0, s24
	s_mul_i32 s4, s24, 0xfffff100
	s_add_i32 s1, s0, s1
	s_add_u32 s0, s4, s36
	s_addc_u32 s1, s1, s37
	s_and_b32 vcc_lo, exec_lo, s16
	s_cbranch_vccz .LBB677_223
; %bb.80:
	v_add_co_u32 v5, vcc_lo, -2, v5
	v_add_co_ci_u32_e32 v6, vcc_lo, -1, v6, vcc_lo
	v_mad_u32_u24 v13, v0, 15, 14
	v_dual_mov_b32 v14, 0 :: v_dual_mov_b32 v61, 0
	flat_load_u16 v7, v[5:6]
	v_lshlrev_b32_e32 v6, 1, v0
	v_lshrrev_b32_e32 v8, 16, v12
	v_mul_u32_u24_e32 v5, 15, v0
	s_mov_b32 s4, exec_lo
	ds_store_b16 v6, v8
	v_cmpx_gt_u64_e64 s[0:1], v[13:14]
	s_cbranch_execz .LBB677_82
; %bb.81:
	v_bfe_i32 v9, v12, 0, 16
	v_bfe_i32 v8, v8, 0, 16
	s_delay_alu instid0(VALU_DEP_2) | instskip(NEXT) | instid1(VALU_DEP_2)
	v_mul_i32_i24_e32 v9, 0x6667, v9
	v_mul_i32_i24_e32 v8, 0x6667, v8
	s_delay_alu instid0(VALU_DEP_2) | instskip(SKIP_1) | instid1(VALU_DEP_3)
	v_lshrrev_b32_e32 v13, 31, v9
	v_ashrrev_i32_e32 v9, 18, v9
	v_lshrrev_b32_e32 v15, 31, v8
	v_ashrrev_i32_e32 v8, 18, v8
	s_delay_alu instid0(VALU_DEP_3) | instskip(NEXT) | instid1(VALU_DEP_2)
	v_add_nc_u16 v9, v9, v13
	v_add_nc_u16 v8, v8, v15
	s_delay_alu instid0(VALU_DEP_1)
	v_cmp_ne_u16_e32 vcc_lo, v9, v8
	v_cndmask_b32_e64 v61, 0, 1, vcc_lo
.LBB677_82:
	s_or_b32 exec_lo, exec_lo, s4
	v_add_nc_u32_e32 v13, 13, v5
	s_mov_b32 s4, exec_lo
	s_delay_alu instid0(VALU_DEP_1)
	v_cmpx_gt_u64_e64 s[0:1], v[13:14]
	s_cbranch_execz .LBB677_84
; %bb.83:
	v_ashrrev_i32_e32 v8, 16, v11
	v_bfe_i32 v9, v12, 0, 16
	s_delay_alu instid0(VALU_DEP_2) | instskip(NEXT) | instid1(VALU_DEP_2)
	v_mul_i32_i24_e32 v8, 0x6667, v8
	v_mul_i32_i24_e32 v9, 0x6667, v9
	s_delay_alu instid0(VALU_DEP_2) | instskip(SKIP_1) | instid1(VALU_DEP_3)
	v_lshrrev_b32_e32 v13, 31, v8
	v_ashrrev_i32_e32 v8, 18, v8
	v_lshrrev_b32_e32 v14, 31, v9
	v_ashrrev_i32_e32 v9, 18, v9
	s_delay_alu instid0(VALU_DEP_3) | instskip(NEXT) | instid1(VALU_DEP_2)
	v_add_nc_u16 v8, v8, v13
	v_add_nc_u16 v9, v9, v14
	s_delay_alu instid0(VALU_DEP_1)
	v_cmp_ne_u16_e32 vcc_lo, v8, v9
	v_cndmask_b32_e64 v14, 0, 1, vcc_lo
.LBB677_84:
	s_or_b32 exec_lo, exec_lo, s4
	v_dual_mov_b32 v16, 0 :: v_dual_add_nc_u32 v15, 12, v5
	v_mov_b32_e32 v13, 0
	s_mov_b32 s4, exec_lo
	s_delay_alu instid0(VALU_DEP_2)
	v_cmpx_gt_u64_e64 s[0:1], v[15:16]
	s_cbranch_execz .LBB677_86
; %bb.85:
	v_bfe_i32 v8, v11, 0, 16
	v_ashrrev_i32_e32 v9, 16, v11
	s_delay_alu instid0(VALU_DEP_2) | instskip(NEXT) | instid1(VALU_DEP_2)
	v_mul_i32_i24_e32 v8, 0x6667, v8
	v_mul_i32_i24_e32 v9, 0x6667, v9
	s_delay_alu instid0(VALU_DEP_2) | instskip(SKIP_1) | instid1(VALU_DEP_3)
	v_lshrrev_b32_e32 v13, 31, v8
	v_ashrrev_i32_e32 v8, 18, v8
	v_lshrrev_b32_e32 v15, 31, v9
	v_ashrrev_i32_e32 v9, 18, v9
	s_delay_alu instid0(VALU_DEP_3) | instskip(NEXT) | instid1(VALU_DEP_2)
	v_add_nc_u16 v8, v8, v13
	v_add_nc_u16 v9, v9, v15
	s_delay_alu instid0(VALU_DEP_1)
	v_cmp_ne_u16_e32 vcc_lo, v8, v9
	v_cndmask_b32_e64 v13, 0, 1, vcc_lo
.LBB677_86:
	s_or_b32 exec_lo, exec_lo, s4
	v_add_nc_u32_e32 v15, 11, v5
	s_mov_b32 s4, exec_lo
	s_delay_alu instid0(VALU_DEP_1)
	v_cmpx_gt_u64_e64 s[0:1], v[15:16]
	s_cbranch_execz .LBB677_88
; %bb.87:
	v_ashrrev_i32_e32 v8, 16, v10
	v_bfe_i32 v9, v11, 0, 16
	s_delay_alu instid0(VALU_DEP_2) | instskip(NEXT) | instid1(VALU_DEP_2)
	v_mul_i32_i24_e32 v8, 0x6667, v8
	v_mul_i32_i24_e32 v9, 0x6667, v9
	s_delay_alu instid0(VALU_DEP_2) | instskip(SKIP_1) | instid1(VALU_DEP_3)
	v_lshrrev_b32_e32 v15, 31, v8
	v_ashrrev_i32_e32 v8, 18, v8
	v_lshrrev_b32_e32 v16, 31, v9
	v_ashrrev_i32_e32 v9, 18, v9
	s_delay_alu instid0(VALU_DEP_3) | instskip(NEXT) | instid1(VALU_DEP_2)
	v_add_nc_u16 v8, v8, v15
	v_add_nc_u16 v9, v9, v16
	s_delay_alu instid0(VALU_DEP_1)
	v_cmp_ne_u16_e32 vcc_lo, v8, v9
	v_cndmask_b32_e64 v16, 0, 1, vcc_lo
.LBB677_88:
	s_or_b32 exec_lo, exec_lo, s4
	v_dual_mov_b32 v18, 0 :: v_dual_add_nc_u32 v17, 10, v5
	v_mov_b32_e32 v15, 0
	s_mov_b32 s4, exec_lo
	s_delay_alu instid0(VALU_DEP_2)
	v_cmpx_gt_u64_e64 s[0:1], v[17:18]
	s_cbranch_execz .LBB677_90
; %bb.89:
	v_bfe_i32 v8, v10, 0, 16
	v_ashrrev_i32_e32 v9, 16, v10
	s_delay_alu instid0(VALU_DEP_2) | instskip(NEXT) | instid1(VALU_DEP_2)
	v_mul_i32_i24_e32 v8, 0x6667, v8
	v_mul_i32_i24_e32 v9, 0x6667, v9
	s_delay_alu instid0(VALU_DEP_2) | instskip(SKIP_1) | instid1(VALU_DEP_3)
	v_lshrrev_b32_e32 v15, 31, v8
	v_ashrrev_i32_e32 v8, 18, v8
	v_lshrrev_b32_e32 v17, 31, v9
	v_ashrrev_i32_e32 v9, 18, v9
	s_delay_alu instid0(VALU_DEP_3) | instskip(NEXT) | instid1(VALU_DEP_2)
	v_add_nc_u16 v8, v8, v15
	v_add_nc_u16 v9, v9, v17
	s_delay_alu instid0(VALU_DEP_1)
	v_cmp_ne_u16_e32 vcc_lo, v8, v9
	v_cndmask_b32_e64 v15, 0, 1, vcc_lo
.LBB677_90:
	;; [unrolled: 49-line block ×6, first 2 shown]
	s_or_b32 exec_lo, exec_lo, s4
	v_add_nc_u32_e32 v25, 1, v5
	s_mov_b32 s4, exec_lo
	s_delay_alu instid0(VALU_DEP_1)
	v_cmpx_gt_u64_e64 s[0:1], v[25:26]
	s_cbranch_execz .LBB677_108
; %bb.107:
	v_bfe_i32 v8, v62, 0, 16
	v_bfe_i32 v9, v1, 0, 16
	s_delay_alu instid0(VALU_DEP_2) | instskip(NEXT) | instid1(VALU_DEP_2)
	v_mul_i32_i24_e32 v8, 0x6667, v8
	v_mul_i32_i24_e32 v9, 0x6667, v9
	s_delay_alu instid0(VALU_DEP_2) | instskip(SKIP_1) | instid1(VALU_DEP_3)
	v_lshrrev_b32_e32 v25, 31, v8
	v_ashrrev_i32_e32 v8, 18, v8
	v_lshrrev_b32_e32 v26, 31, v9
	v_ashrrev_i32_e32 v9, 18, v9
	s_delay_alu instid0(VALU_DEP_3) | instskip(NEXT) | instid1(VALU_DEP_2)
	v_add_nc_u16 v8, v8, v25
	v_add_nc_u16 v9, v9, v26
	s_delay_alu instid0(VALU_DEP_1)
	v_cmp_ne_u16_e32 vcc_lo, v8, v9
	v_cndmask_b32_e64 v26, 0, 1, vcc_lo
.LBB677_108:
	s_or_b32 exec_lo, exec_lo, s4
	s_waitcnt vmcnt(0) lgkmcnt(0)
	s_barrier
	buffer_gl0_inv
	s_and_saveexec_b32 s4, s3
	s_cbranch_execz .LBB677_110
; %bb.109:
	v_add_nc_u32_e32 v6, -2, v6
	ds_load_u16 v7, v6
.LBB677_110:
	s_or_b32 exec_lo, exec_lo, s4
	v_mov_b32_e32 v6, 0
	s_mov_b32 s5, 0
	s_mov_b32 s4, 0
	s_mov_b32 s6, exec_lo
	s_delay_alu instid0(VALU_DEP_1)
	v_cmpx_gt_u64_e64 s[0:1], v[5:6]
	s_cbranch_execz .LBB677_112
; %bb.111:
	s_waitcnt lgkmcnt(0)
	v_bfe_i32 v5, v7, 0, 16
	v_bfe_i32 v6, v62, 0, 16
	s_delay_alu instid0(VALU_DEP_2) | instskip(NEXT) | instid1(VALU_DEP_2)
	v_mul_i32_i24_e32 v5, 0x6667, v5
	v_mul_i32_i24_e32 v6, 0x6667, v6
	s_delay_alu instid0(VALU_DEP_2) | instskip(SKIP_1) | instid1(VALU_DEP_3)
	v_lshrrev_b32_e32 v7, 31, v5
	v_ashrrev_i32_e32 v5, 18, v5
	v_lshrrev_b32_e32 v8, 31, v6
	v_ashrrev_i32_e32 v6, 18, v6
	s_delay_alu instid0(VALU_DEP_3) | instskip(NEXT) | instid1(VALU_DEP_2)
	v_add_nc_u16 v5, v5, v7
	v_add_nc_u16 v6, v6, v8
	s_delay_alu instid0(VALU_DEP_1)
	v_cmp_ne_u16_e32 vcc_lo, v5, v6
	s_and_b32 s4, vcc_lo, exec_lo
.LBB677_112:
	s_or_b32 exec_lo, exec_lo, s6
	s_mov_b32 s15, -1
	s_and_b32 vcc_lo, exec_lo, s5
	s_cbranch_vccnz .LBB677_224
.LBB677_113:
                                        ; implicit-def: $sgpr0
.LBB677_114:
	v_mov_b32_e32 v76, s0
	s_and_saveexec_b32 s0, s15
.LBB677_115:
	s_delay_alu instid0(VALU_DEP_2)
	v_cndmask_b32_e64 v76, 0, 1, s4
.LBB677_116:
	s_or_b32 exec_lo, exec_lo, s0
	s_delay_alu instid0(VALU_DEP_1)
	v_add3_u32 v5, v26, v76, v23
	v_cmp_eq_u32_e64 s13, 0, v26
	v_cmp_eq_u32_e64 s12, 0, v23
	;; [unrolled: 1-line block ×4, first 2 shown]
	v_add3_u32 v80, v5, v24, v21
	v_cmp_eq_u32_e64 s9, 0, v22
	v_cmp_eq_u32_e64 s8, 0, v19
	;; [unrolled: 1-line block ×9, first 2 shown]
	v_cmp_eq_u32_e32 vcc_lo, 0, v61
	v_mbcnt_lo_u32_b32 v77, -1, 0
	v_lshrrev_b32_e32 v78, 5, v0
	v_or_b32_e32 v79, 31, v0
	s_cmp_eq_u64 s[22:23], 0
	s_cselect_b32 s16, -1, 0
	s_cmp_lg_u32 s33, 0
	s_cbranch_scc0 .LBB677_147
; %bb.117:
	v_cndmask_b32_e64 v5, 0, v73, s13
	v_add3_u32 v6, v80, v22, v19
	v_and_b32_e32 v9, 15, v77
	s_delay_alu instid0(VALU_DEP_3) | instskip(NEXT) | instid1(VALU_DEP_3)
	v_add_nc_u16 v5, v5, v72
	v_add3_u32 v6, v6, v20, v17
	s_delay_alu instid0(VALU_DEP_2) | instskip(NEXT) | instid1(VALU_DEP_2)
	v_cndmask_b32_e64 v5, 0, v5, s12
	v_add3_u32 v6, v6, v18, v15
	s_delay_alu instid0(VALU_DEP_2) | instskip(NEXT) | instid1(VALU_DEP_2)
	v_add_nc_u16 v5, v5, v74
	v_add3_u32 v6, v6, v16, v13
	s_delay_alu instid0(VALU_DEP_2) | instskip(NEXT) | instid1(VALU_DEP_2)
	v_cndmask_b32_e64 v5, 0, v5, s11
	v_add3_u32 v6, v6, v14, v61
	s_delay_alu instid0(VALU_DEP_2) | instskip(NEXT) | instid1(VALU_DEP_2)
	v_add_nc_u16 v5, v5, v70
	v_mov_b32_dpp v25, v6 row_shr:1 row_mask:0xf bank_mask:0xf
	s_delay_alu instid0(VALU_DEP_2) | instskip(NEXT) | instid1(VALU_DEP_1)
	v_cndmask_b32_e64 v5, 0, v5, s10
	v_add_nc_u16 v5, v5, v71
	s_delay_alu instid0(VALU_DEP_1) | instskip(NEXT) | instid1(VALU_DEP_1)
	v_cndmask_b32_e64 v5, 0, v5, s9
	v_add_nc_u16 v5, v5, v68
	s_delay_alu instid0(VALU_DEP_1) | instskip(NEXT) | instid1(VALU_DEP_1)
	;; [unrolled: 3-line block ×9, first 2 shown]
	v_cndmask_b32_e64 v5, 0, v5, s0
	v_add_nc_u16 v5, v5, v59
	s_delay_alu instid0(VALU_DEP_1) | instskip(SKIP_1) | instid1(VALU_DEP_2)
	v_cndmask_b32_e32 v5, 0, v5, vcc_lo
	v_cmp_eq_u32_e32 vcc_lo, 0, v6
	v_add_nc_u16 v5, v5, v75
	s_waitcnt lgkmcnt(0)
	s_delay_alu instid0(VALU_DEP_1) | instskip(NEXT) | instid1(VALU_DEP_1)
	v_and_b32_e32 v7, 0xffff, v5
	v_mov_b32_dpp v8, v7 row_shr:1 row_mask:0xf bank_mask:0xf
	s_delay_alu instid0(VALU_DEP_1) | instskip(SKIP_1) | instid1(VALU_DEP_2)
	v_cndmask_b32_e32 v8, 0, v8, vcc_lo
	v_cmp_eq_u32_e32 vcc_lo, 0, v9
	v_add_nc_u16 v8, v8, v5
	v_cndmask_b32_e64 v25, v25, 0, vcc_lo
	s_delay_alu instid0(VALU_DEP_2) | instskip(NEXT) | instid1(VALU_DEP_2)
	v_and_b32_e32 v27, 0xffff, v8
	v_dual_cndmask_b32 v5, v8, v5 :: v_dual_add_nc_u32 v6, v25, v6
	s_delay_alu instid0(VALU_DEP_2) | instskip(NEXT) | instid1(VALU_DEP_2)
	v_cndmask_b32_e32 v7, v27, v7, vcc_lo
	v_cmp_eq_u32_e32 vcc_lo, 0, v6
	s_delay_alu instid0(VALU_DEP_2) | instskip(NEXT) | instid1(VALU_DEP_1)
	v_mov_b32_dpp v25, v7 row_shr:2 row_mask:0xf bank_mask:0xf
	v_cndmask_b32_e32 v8, 0, v25, vcc_lo
	v_mov_b32_dpp v25, v6 row_shr:2 row_mask:0xf bank_mask:0xf
	v_cmp_lt_u32_e32 vcc_lo, 1, v9
	s_delay_alu instid0(VALU_DEP_3) | instskip(NEXT) | instid1(VALU_DEP_1)
	v_add_nc_u16 v8, v8, v5
	v_and_b32_e32 v27, 0xffff, v8
	s_delay_alu instid0(VALU_DEP_4) | instskip(NEXT) | instid1(VALU_DEP_1)
	v_dual_cndmask_b32 v5, v5, v8 :: v_dual_cndmask_b32 v8, 0, v25
	v_dual_cndmask_b32 v7, v7, v27 :: v_dual_add_nc_u32 v6, v6, v8
	s_delay_alu instid0(VALU_DEP_1) | instskip(NEXT) | instid1(VALU_DEP_2)
	v_cmp_eq_u32_e32 vcc_lo, 0, v6
	v_mov_b32_dpp v8, v7 row_shr:4 row_mask:0xf bank_mask:0xf
	v_mov_b32_dpp v25, v6 row_shr:4 row_mask:0xf bank_mask:0xf
	s_delay_alu instid0(VALU_DEP_2) | instskip(SKIP_1) | instid1(VALU_DEP_2)
	v_cndmask_b32_e32 v8, 0, v8, vcc_lo
	v_cmp_lt_u32_e32 vcc_lo, 3, v9
	v_add_nc_u16 v8, v8, v5
	s_delay_alu instid0(VALU_DEP_1) | instskip(SKIP_1) | instid1(VALU_DEP_1)
	v_and_b32_e32 v27, 0xffff, v8
	v_dual_cndmask_b32 v5, v5, v8 :: v_dual_cndmask_b32 v8, 0, v25
	v_dual_cndmask_b32 v7, v7, v27 :: v_dual_add_nc_u32 v6, v8, v6
	s_delay_alu instid0(VALU_DEP_1) | instskip(NEXT) | instid1(VALU_DEP_2)
	v_cmp_eq_u32_e32 vcc_lo, 0, v6
	v_mov_b32_dpp v8, v7 row_shr:8 row_mask:0xf bank_mask:0xf
	v_mov_b32_dpp v25, v6 row_shr:8 row_mask:0xf bank_mask:0xf
	s_delay_alu instid0(VALU_DEP_2) | instskip(SKIP_1) | instid1(VALU_DEP_2)
	v_cndmask_b32_e32 v8, 0, v8, vcc_lo
	v_cmp_lt_u32_e32 vcc_lo, 7, v9
	v_add_nc_u16 v8, v8, v5
	s_delay_alu instid0(VALU_DEP_4) | instskip(SKIP_1) | instid1(VALU_DEP_3)
	v_cndmask_b32_e32 v9, 0, v25, vcc_lo
	v_bfe_i32 v25, v77, 4, 1
	v_cndmask_b32_e32 v5, v5, v8, vcc_lo
	v_and_b32_e32 v8, 0xffff, v8
	s_delay_alu instid0(VALU_DEP_4) | instskip(SKIP_1) | instid1(VALU_DEP_3)
	v_add_nc_u32_e32 v6, v9, v6
	v_and_b32_e32 v9, 16, v77
	v_cndmask_b32_e32 v7, v7, v8, vcc_lo
	ds_swizzle_b32 v8, v6 offset:swizzle(BROADCAST,32,15)
	v_cmp_ne_u32_e32 vcc_lo, 0, v9
	v_cmp_eq_u32_e64 s14, 0, v6
	ds_swizzle_b32 v7, v7 offset:swizzle(BROADCAST,32,15)
	s_and_b32 vcc_lo, vcc_lo, s14
	s_mov_b32 s14, exec_lo
	s_waitcnt lgkmcnt(0)
	v_dual_cndmask_b32 v7, 0, v7 :: v_dual_and_b32 v8, v25, v8
	s_delay_alu instid0(VALU_DEP_1) | instskip(NEXT) | instid1(VALU_DEP_2)
	v_add_nc_u32_e32 v6, v8, v6
	v_add_nc_u16 v5, v7, v5
	v_lshlrev_b32_e32 v7, 3, v78
	v_cmpx_eq_u32_e64 v79, v0
	s_cbranch_execz .LBB677_119
; %bb.118:
	ds_store_b32 v7, v6 offset:1040
	ds_store_b16 v7, v5 offset:1044
.LBB677_119:
	s_or_b32 exec_lo, exec_lo, s14
	s_delay_alu instid0(SALU_CYCLE_1)
	s_mov_b32 s15, exec_lo
	s_waitcnt lgkmcnt(0)
	s_barrier
	buffer_gl0_inv
	v_cmpx_gt_u32_e32 8, v0
	s_cbranch_execz .LBB677_121
; %bb.120:
	v_lshlrev_b32_e32 v25, 3, v0
	v_and_b32_e32 v30, 7, v77
	ds_load_b64 v[8:9], v25 offset:1040
	s_waitcnt lgkmcnt(0)
	v_mov_b32_dpp v27, v9 row_shr:1 row_mask:0xf bank_mask:0xf
	v_cmp_eq_u32_e32 vcc_lo, 0, v8
	v_mov_b32_dpp v31, v8 row_shr:1 row_mask:0xf bank_mask:0xf
	s_delay_alu instid0(VALU_DEP_3) | instskip(SKIP_1) | instid1(VALU_DEP_2)
	v_dual_cndmask_b32 v27, 0, v27 :: v_dual_and_b32 v28, 0xffff0000, v9
	v_cmp_eq_u32_e32 vcc_lo, 0, v30
	v_add_nc_u16 v27, v27, v9
	s_delay_alu instid0(VALU_DEP_4) | instskip(NEXT) | instid1(VALU_DEP_2)
	v_cndmask_b32_e64 v31, v31, 0, vcc_lo
	v_and_b32_e32 v29, 0xffff, v27
	s_delay_alu instid0(VALU_DEP_2) | instskip(NEXT) | instid1(VALU_DEP_2)
	v_add_nc_u32_e32 v8, v31, v8
	v_or_b32_e32 v29, v28, v29
	s_delay_alu instid0(VALU_DEP_1) | instskip(SKIP_1) | instid1(VALU_DEP_4)
	v_cndmask_b32_e32 v29, v29, v9, vcc_lo
	v_cndmask_b32_e32 v9, v27, v9, vcc_lo
	v_cmp_eq_u32_e32 vcc_lo, 0, v8
	s_delay_alu instid0(VALU_DEP_3) | instskip(NEXT) | instid1(VALU_DEP_1)
	v_mov_b32_dpp v31, v29 row_shr:2 row_mask:0xf bank_mask:0xf
	v_cndmask_b32_e32 v27, 0, v31, vcc_lo
	v_mov_b32_dpp v31, v8 row_shr:2 row_mask:0xf bank_mask:0xf
	v_cmp_lt_u32_e32 vcc_lo, 1, v30
	v_cmp_lt_u32_e64 s14, 3, v30
	s_delay_alu instid0(VALU_DEP_4) | instskip(NEXT) | instid1(VALU_DEP_1)
	v_add_nc_u16 v27, v27, v9
	v_and_b32_e32 v32, 0xffff, v27
	v_cndmask_b32_e32 v9, v9, v27, vcc_lo
	v_cndmask_b32_e32 v27, 0, v31, vcc_lo
	s_delay_alu instid0(VALU_DEP_3) | instskip(NEXT) | instid1(VALU_DEP_2)
	v_or_b32_e32 v28, v28, v32
	v_add_nc_u32_e32 v8, v27, v8
	s_delay_alu instid0(VALU_DEP_2) | instskip(NEXT) | instid1(VALU_DEP_2)
	v_cndmask_b32_e32 v27, v29, v28, vcc_lo
	v_cmp_eq_u32_e32 vcc_lo, 0, v8
	v_mov_b32_dpp v28, v8 row_shr:4 row_mask:0xf bank_mask:0xf
	s_delay_alu instid0(VALU_DEP_3) | instskip(SKIP_1) | instid1(VALU_DEP_2)
	v_mov_b32_dpp v27, v27 row_shr:4 row_mask:0xf bank_mask:0xf
	s_and_b32 vcc_lo, s14, vcc_lo
	v_cndmask_b32_e64 v28, 0, v28, s14
	s_delay_alu instid0(VALU_DEP_1) | instskip(NEXT) | instid1(VALU_DEP_1)
	v_dual_cndmask_b32 v27, 0, v27 :: v_dual_add_nc_u32 v8, v28, v8
	v_add_nc_u16 v9, v9, v27
	ds_store_b32 v25, v8 offset:1040
	ds_store_b16 v25, v9 offset:1044
.LBB677_121:
	s_or_b32 exec_lo, exec_lo, s15
	v_cmp_gt_u32_e32 vcc_lo, 32, v0
	v_mov_b32_e32 v31, 0
	v_mov_b32_e32 v25, 0
	s_mov_b32 s15, exec_lo
	s_waitcnt lgkmcnt(0)
	s_barrier
	buffer_gl0_inv
	v_cmpx_lt_u32_e32 31, v0
	s_cbranch_execz .LBB677_123
; %bb.122:
	ds_load_u16 v25, v7 offset:1036
	ds_load_b32 v31, v7 offset:1032
	v_cmp_eq_u32_e64 s14, 0, v6
	s_waitcnt lgkmcnt(1)
	s_delay_alu instid0(VALU_DEP_1) | instskip(SKIP_2) | instid1(VALU_DEP_2)
	v_cndmask_b32_e64 v7, 0, v25, s14
	s_waitcnt lgkmcnt(0)
	v_add_nc_u32_e32 v6, v31, v6
	v_add_nc_u16 v5, v7, v5
.LBB677_123:
	s_or_b32 exec_lo, exec_lo, s15
	v_add_nc_u32_e32 v7, -1, v77
	s_delay_alu instid0(VALU_DEP_2) | instskip(NEXT) | instid1(VALU_DEP_2)
	v_and_b32_e32 v5, 0xffff, v5
	v_cmp_gt_i32_e64 s14, 0, v7
	s_delay_alu instid0(VALU_DEP_1) | instskip(SKIP_1) | instid1(VALU_DEP_2)
	v_cndmask_b32_e64 v7, v7, v77, s14
	v_cmp_eq_u32_e64 s14, 0, v77
	v_lshlrev_b32_e32 v7, 2, v7
	ds_bpermute_b32 v32, v7, v6
	ds_bpermute_b32 v33, v7, v5
	s_and_saveexec_b32 s22, vcc_lo
	s_cbranch_execz .LBB677_146
; %bb.124:
	v_mov_b32_e32 v8, 0
	ds_load_b64 v[5:6], v8 offset:1096
	s_waitcnt lgkmcnt(0)
	v_readfirstlane_b32 s23, v6
	s_and_saveexec_b32 s15, s14
	s_cbranch_execz .LBB677_126
; %bb.125:
	s_add_i32 s24, s33, 32
	s_mov_b32 s25, 0
	v_mov_b32_e32 v7, 1
	s_lshl_b64 s[36:37], s[24:25], 4
	s_mov_b32 s40, s25
	s_add_u32 s36, s20, s36
	s_addc_u32 s37, s21, s37
	s_and_b32 s41, s23, 0xff000000
	s_and_b32 s43, s23, 0xff0000
	s_mov_b32 s42, s25
	v_dual_mov_b32 v27, s36 :: v_dual_mov_b32 v28, s37
	s_or_b64 s[40:41], s[42:43], s[40:41]
	s_and_b32 s43, s23, 0xff00
	s_delay_alu instid0(SALU_CYCLE_1) | instskip(SKIP_1) | instid1(SALU_CYCLE_1)
	s_or_b64 s[40:41], s[40:41], s[42:43]
	s_and_b32 s43, s23, 0xff
	s_or_b64 s[24:25], s[40:41], s[42:43]
	s_delay_alu instid0(SALU_CYCLE_1)
	v_mov_b32_e32 v6, s25
	;;#ASMSTART
	global_store_dwordx4 v[27:28], v[5:8] off	
s_waitcnt vmcnt(0)
	;;#ASMEND
.LBB677_126:
	s_or_b32 exec_lo, exec_lo, s15
	v_xad_u32 v27, v77, -1, s33
	s_mov_b32 s24, 0
	s_mov_b32 s15, exec_lo
	s_delay_alu instid0(VALU_DEP_1) | instskip(NEXT) | instid1(VALU_DEP_1)
	v_add_nc_u32_e32 v7, 32, v27
	v_lshlrev_b64 v[6:7], 4, v[7:8]
	s_delay_alu instid0(VALU_DEP_1) | instskip(NEXT) | instid1(VALU_DEP_2)
	v_add_co_u32 v28, vcc_lo, s20, v6
	v_add_co_ci_u32_e32 v29, vcc_lo, s21, v7, vcc_lo
	;;#ASMSTART
	global_load_dwordx4 v[6:9], v[28:29] off glc	
s_waitcnt vmcnt(0)
	;;#ASMEND
	v_and_b32_e32 v9, 0xffffff, v6
	v_and_b32_e32 v6, 0xff000000, v6
	;; [unrolled: 1-line block ×4, first 2 shown]
	s_delay_alu instid0(VALU_DEP_3) | instskip(SKIP_1) | instid1(VALU_DEP_3)
	v_or_b32_e32 v6, v9, v6
	v_and_b32_e32 v9, 0xff, v8
	v_or3_b32 v7, 0, v30, v7
	s_delay_alu instid0(VALU_DEP_3) | instskip(NEXT) | instid1(VALU_DEP_3)
	v_or3_b32 v6, v6, 0, 0
	v_cmpx_eq_u16_e32 0, v9
	s_cbranch_execz .LBB677_132
; %bb.127:
	s_mov_b32 s25, 1
	.p2align	6
.LBB677_128:                            ; =>This Loop Header: Depth=1
                                        ;     Child Loop BB677_129 Depth 2
	s_delay_alu instid0(SALU_CYCLE_1)
	s_max_u32 s36, s25, 1
.LBB677_129:                            ;   Parent Loop BB677_128 Depth=1
                                        ; =>  This Inner Loop Header: Depth=2
	s_delay_alu instid0(SALU_CYCLE_1)
	s_add_i32 s36, s36, -1
	s_sleep 1
	s_cmp_eq_u32 s36, 0
	s_cbranch_scc0 .LBB677_129
; %bb.130:                              ;   in Loop: Header=BB677_128 Depth=1
	;;#ASMSTART
	global_load_dwordx4 v[6:9], v[28:29] off glc	
s_waitcnt vmcnt(0)
	;;#ASMEND
	v_and_b32_e32 v9, 0xff, v8
	s_cmp_lt_u32 s25, 32
	s_cselect_b32 s36, -1, 0
	s_delay_alu instid0(SALU_CYCLE_1) | instskip(NEXT) | instid1(VALU_DEP_1)
	s_cmp_lg_u32 s36, 0
	v_cmp_ne_u16_e32 vcc_lo, 0, v9
	s_addc_u32 s25, s25, 0
	s_or_b32 s24, vcc_lo, s24
	s_delay_alu instid0(SALU_CYCLE_1)
	s_and_not1_b32 exec_lo, exec_lo, s24
	s_cbranch_execnz .LBB677_128
; %bb.131:
	s_or_b32 exec_lo, exec_lo, s24
	v_and_b32_e32 v7, 0xffff, v7
.LBB677_132:
	s_or_b32 exec_lo, exec_lo, s15
	v_cmp_ne_u32_e32 vcc_lo, 31, v77
	v_cmp_eq_u32_e64 s15, 0, v6
	v_lshlrev_b32_e64 v35, v77, -1
	v_add_nc_u32_e32 v43, 8, v77
	v_add_nc_u32_e32 v45, 16, v77
	v_add_co_ci_u32_e32 v9, vcc_lo, 0, v77, vcc_lo
	s_delay_alu instid0(VALU_DEP_1) | instskip(SKIP_4) | instid1(VALU_DEP_1)
	v_lshlrev_b32_e32 v34, 2, v9
	ds_bpermute_b32 v9, v34, v7
	ds_bpermute_b32 v30, v34, v6
	s_waitcnt lgkmcnt(1)
	v_cndmask_b32_e64 v9, 0, v9, s15
	v_add_nc_u16 v9, v9, v7
	v_and_b32_e32 v28, 0xff, v8
	s_delay_alu instid0(VALU_DEP_2) | instskip(NEXT) | instid1(VALU_DEP_2)
	v_and_b32_e32 v37, 0xffff, v9
	v_cmp_eq_u16_e32 vcc_lo, 2, v28
	v_and_or_b32 v28, vcc_lo, v35, 0x80000000
	v_cmp_gt_u32_e32 vcc_lo, 30, v77
	s_delay_alu instid0(VALU_DEP_2) | instskip(SKIP_1) | instid1(VALU_DEP_2)
	v_ctz_i32_b32_e32 v28, v28
	v_cndmask_b32_e64 v29, 0, 1, vcc_lo
	v_cmp_lt_u32_e32 vcc_lo, v77, v28
	s_waitcnt lgkmcnt(0)
	s_delay_alu instid0(VALU_DEP_2) | instskip(NEXT) | instid1(VALU_DEP_1)
	v_dual_cndmask_b32 v30, 0, v30 :: v_dual_lshlrev_b32 v29, 1, v29
	v_add_lshl_u32 v36, v29, v77, 2
	v_cndmask_b32_e32 v9, v7, v9, vcc_lo
	v_cndmask_b32_e32 v7, v7, v37, vcc_lo
	v_add_nc_u32_e32 v37, 2, v77
	v_add_nc_u32_e32 v6, v30, v6
	ds_bpermute_b32 v29, v36, v7
	v_cmp_eq_u32_e32 vcc_lo, 0, v6
	ds_bpermute_b32 v39, v36, v6
	s_waitcnt lgkmcnt(1)
	v_cndmask_b32_e32 v29, 0, v29, vcc_lo
	v_cmp_gt_u32_e32 vcc_lo, 28, v77
	v_cndmask_b32_e64 v30, 0, 1, vcc_lo
	v_cmp_gt_u32_e32 vcc_lo, v37, v28
	s_delay_alu instid0(VALU_DEP_2) | instskip(SKIP_1) | instid1(VALU_DEP_2)
	v_lshlrev_b32_e32 v30, 2, v30
	v_add_nc_u16 v29, v29, v9
	v_add_lshl_u32 v38, v30, v77, 2
	s_delay_alu instid0(VALU_DEP_2) | instskip(SKIP_4) | instid1(VALU_DEP_3)
	v_and_b32_e32 v40, 0xffff, v29
	s_waitcnt lgkmcnt(0)
	v_cndmask_b32_e64 v30, v39, 0, vcc_lo
	v_cndmask_b32_e32 v9, v29, v9, vcc_lo
	v_add_nc_u32_e32 v39, 4, v77
	v_dual_cndmask_b32 v7, v40, v7 :: v_dual_add_nc_u32 v6, v6, v30
	ds_bpermute_b32 v29, v38, v7
	v_cmp_eq_u32_e32 vcc_lo, 0, v6
	ds_bpermute_b32 v41, v38, v6
	s_waitcnt lgkmcnt(1)
	v_cndmask_b32_e32 v29, 0, v29, vcc_lo
	v_cmp_gt_u32_e32 vcc_lo, 24, v77
	v_cndmask_b32_e64 v30, 0, 1, vcc_lo
	v_cmp_gt_u32_e32 vcc_lo, v39, v28
	s_delay_alu instid0(VALU_DEP_2) | instskip(SKIP_1) | instid1(VALU_DEP_2)
	v_lshlrev_b32_e32 v30, 3, v30
	v_add_nc_u16 v29, v9, v29
	v_add_lshl_u32 v40, v30, v77, 2
	s_delay_alu instid0(VALU_DEP_2) | instskip(SKIP_3) | instid1(VALU_DEP_3)
	v_and_b32_e32 v42, 0xffff, v29
	s_waitcnt lgkmcnt(0)
	v_cndmask_b32_e64 v30, v41, 0, vcc_lo
	v_cndmask_b32_e32 v9, v29, v9, vcc_lo
	v_cndmask_b32_e32 v7, v42, v7, vcc_lo
	s_delay_alu instid0(VALU_DEP_3)
	v_add_nc_u32_e32 v6, v6, v30
	ds_bpermute_b32 v29, v40, v7
	ds_bpermute_b32 v30, v40, v6
	v_cmp_eq_u32_e32 vcc_lo, 0, v6
	s_waitcnt lgkmcnt(1)
	v_cndmask_b32_e32 v29, 0, v29, vcc_lo
	v_cmp_gt_u32_e32 vcc_lo, 16, v77
	s_delay_alu instid0(VALU_DEP_2) | instskip(SKIP_2) | instid1(VALU_DEP_3)
	v_add_nc_u16 v29, v9, v29
	v_cndmask_b32_e64 v41, 0, 1, vcc_lo
	v_cmp_gt_u32_e32 vcc_lo, v43, v28
	v_and_b32_e32 v42, 0xffff, v29
	s_delay_alu instid0(VALU_DEP_3)
	v_lshlrev_b32_e32 v41, 4, v41
	v_cndmask_b32_e32 v9, v29, v9, vcc_lo
	s_waitcnt lgkmcnt(0)
	v_cndmask_b32_e64 v29, v30, 0, vcc_lo
	v_cndmask_b32_e32 v7, v42, v7, vcc_lo
	v_add_lshl_u32 v44, v41, v77, 2
	s_delay_alu instid0(VALU_DEP_3)
	v_add_nc_u32_e32 v6, v6, v29
	ds_bpermute_b32 v7, v44, v7
	ds_bpermute_b32 v29, v44, v6
	v_cmp_eq_u32_e32 vcc_lo, 0, v6
	s_waitcnt lgkmcnt(1)
	v_cndmask_b32_e32 v7, 0, v7, vcc_lo
	v_cmp_gt_u32_e32 vcc_lo, v45, v28
	s_delay_alu instid0(VALU_DEP_2) | instskip(SKIP_2) | instid1(VALU_DEP_2)
	v_cndmask_b32_e64 v7, v7, 0, vcc_lo
	s_waitcnt lgkmcnt(0)
	v_cndmask_b32_e64 v28, v29, 0, vcc_lo
	v_add_nc_u16 v7, v9, v7
	s_delay_alu instid0(VALU_DEP_2)
	v_add_nc_u32_e32 v6, v28, v6
	v_mov_b32_e32 v28, 0
	s_branch .LBB677_134
.LBB677_133:                            ;   in Loop: Header=BB677_134 Depth=1
	s_or_b32 exec_lo, exec_lo, s15
	ds_bpermute_b32 v9, v34, v7
	ds_bpermute_b32 v30, v34, v6
	v_and_b32_e32 v29, 0xff, v8
	v_cmp_eq_u32_e64 s15, 0, v6
	v_subrev_nc_u32_e32 v27, 32, v27
	s_delay_alu instid0(VALU_DEP_3) | instskip(SKIP_1) | instid1(VALU_DEP_1)
	v_cmp_eq_u16_e32 vcc_lo, 2, v29
	v_and_or_b32 v29, vcc_lo, v35, 0x80000000
	v_ctz_i32_b32_e32 v29, v29
	s_waitcnt lgkmcnt(1)
	v_cndmask_b32_e64 v9, 0, v9, s15
	s_delay_alu instid0(VALU_DEP_2) | instskip(NEXT) | instid1(VALU_DEP_2)
	v_cmp_lt_u32_e32 vcc_lo, v77, v29
	v_add_nc_u16 v9, v9, v7
	s_waitcnt lgkmcnt(0)
	v_cndmask_b32_e32 v30, 0, v30, vcc_lo
	s_delay_alu instid0(VALU_DEP_2) | instskip(NEXT) | instid1(VALU_DEP_2)
	v_and_b32_e32 v46, 0xffff, v9
	v_dual_cndmask_b32 v9, v7, v9 :: v_dual_add_nc_u32 v6, v30, v6
	s_delay_alu instid0(VALU_DEP_2) | instskip(NEXT) | instid1(VALU_DEP_2)
	v_cndmask_b32_e32 v7, v7, v46, vcc_lo
	v_cmp_eq_u32_e32 vcc_lo, 0, v6
	ds_bpermute_b32 v46, v36, v7
	s_waitcnt lgkmcnt(0)
	v_cndmask_b32_e32 v30, 0, v46, vcc_lo
	ds_bpermute_b32 v46, v36, v6
	v_cmp_gt_u32_e32 vcc_lo, v37, v29
	v_add_nc_u16 v30, v30, v9
	s_delay_alu instid0(VALU_DEP_1) | instskip(SKIP_1) | instid1(VALU_DEP_2)
	v_and_b32_e32 v47, 0xffff, v30
	v_cndmask_b32_e32 v9, v30, v9, vcc_lo
	v_cndmask_b32_e32 v7, v47, v7, vcc_lo
	ds_bpermute_b32 v30, v38, v7
	s_waitcnt lgkmcnt(1)
	v_cndmask_b32_e64 v46, v46, 0, vcc_lo
	s_delay_alu instid0(VALU_DEP_1) | instskip(NEXT) | instid1(VALU_DEP_1)
	v_add_nc_u32_e32 v6, v6, v46
	v_cmp_eq_u32_e32 vcc_lo, 0, v6
	ds_bpermute_b32 v46, v38, v6
	s_waitcnt lgkmcnt(1)
	v_cndmask_b32_e32 v30, 0, v30, vcc_lo
	v_cmp_gt_u32_e32 vcc_lo, v39, v29
	s_delay_alu instid0(VALU_DEP_2) | instskip(NEXT) | instid1(VALU_DEP_1)
	v_add_nc_u16 v30, v9, v30
	v_and_b32_e32 v47, 0xffff, v30
	v_cndmask_b32_e32 v9, v30, v9, vcc_lo
	s_waitcnt lgkmcnt(0)
	v_cndmask_b32_e64 v46, v46, 0, vcc_lo
	s_delay_alu instid0(VALU_DEP_1)
	v_dual_cndmask_b32 v7, v47, v7 :: v_dual_add_nc_u32 v6, v6, v46
	ds_bpermute_b32 v30, v40, v7
	v_cmp_eq_u32_e32 vcc_lo, 0, v6
	ds_bpermute_b32 v46, v40, v6
	s_waitcnt lgkmcnt(1)
	v_cndmask_b32_e32 v30, 0, v30, vcc_lo
	v_cmp_gt_u32_e32 vcc_lo, v43, v29
	s_delay_alu instid0(VALU_DEP_2) | instskip(NEXT) | instid1(VALU_DEP_1)
	v_add_nc_u16 v30, v9, v30
	v_and_b32_e32 v47, 0xffff, v30
	v_cndmask_b32_e32 v9, v30, v9, vcc_lo
	s_waitcnt lgkmcnt(0)
	v_cndmask_b32_e64 v30, v46, 0, vcc_lo
	s_delay_alu instid0(VALU_DEP_1)
	v_dual_cndmask_b32 v7, v47, v7 :: v_dual_add_nc_u32 v6, v6, v30
	ds_bpermute_b32 v7, v44, v7
	ds_bpermute_b32 v30, v44, v6
	v_cmp_eq_u32_e32 vcc_lo, 0, v6
	s_waitcnt lgkmcnt(1)
	v_cndmask_b32_e32 v7, 0, v7, vcc_lo
	v_cmp_gt_u32_e32 vcc_lo, v45, v29
	s_delay_alu instid0(VALU_DEP_2) | instskip(NEXT) | instid1(VALU_DEP_1)
	v_cndmask_b32_e64 v7, v7, 0, vcc_lo
	v_add_nc_u16 v7, v9, v7
	s_waitcnt lgkmcnt(0)
	v_cndmask_b32_e64 v9, v30, 0, vcc_lo
	v_cmp_eq_u32_e32 vcc_lo, 0, v42
	s_delay_alu instid0(VALU_DEP_3) | instskip(NEXT) | instid1(VALU_DEP_3)
	v_cndmask_b32_e32 v7, 0, v7, vcc_lo
	v_add3_u32 v6, v6, v42, v9
	s_delay_alu instid0(VALU_DEP_2)
	v_add_nc_u16 v7, v7, v41
.LBB677_134:                            ; =>This Loop Header: Depth=1
                                        ;     Child Loop BB677_137 Depth 2
                                        ;       Child Loop BB677_138 Depth 3
	s_delay_alu instid0(VALU_DEP_1) | instskip(NEXT) | instid1(VALU_DEP_3)
	v_dual_mov_b32 v41, v7 :: v_dual_and_b32 v8, 0xff, v8
	v_mov_b32_e32 v42, v6
	s_delay_alu instid0(VALU_DEP_2) | instskip(SKIP_2) | instid1(VALU_DEP_1)
	v_cmp_ne_u16_e32 vcc_lo, 2, v8
	v_cndmask_b32_e64 v8, 0, 1, vcc_lo
	;;#ASMSTART
	;;#ASMEND
	v_cmp_ne_u32_e32 vcc_lo, 0, v8
	s_cmp_lg_u32 vcc_lo, exec_lo
	s_cbranch_scc1 .LBB677_141
; %bb.135:                              ;   in Loop: Header=BB677_134 Depth=1
	v_lshlrev_b64 v[6:7], 4, v[27:28]
	s_mov_b32 s15, exec_lo
	s_delay_alu instid0(VALU_DEP_1) | instskip(NEXT) | instid1(VALU_DEP_2)
	v_add_co_u32 v29, vcc_lo, s20, v6
	v_add_co_ci_u32_e32 v30, vcc_lo, s21, v7, vcc_lo
	;;#ASMSTART
	global_load_dwordx4 v[6:9], v[29:30] off glc	
s_waitcnt vmcnt(0)
	;;#ASMEND
	v_and_b32_e32 v9, 0xffffff, v6
	v_and_b32_e32 v6, 0xff000000, v6
	;; [unrolled: 1-line block ×4, first 2 shown]
	s_delay_alu instid0(VALU_DEP_3) | instskip(SKIP_1) | instid1(VALU_DEP_3)
	v_or_b32_e32 v6, v9, v6
	v_and_b32_e32 v9, 0xff, v8
	v_or3_b32 v7, 0, v46, v7
	s_delay_alu instid0(VALU_DEP_3) | instskip(NEXT) | instid1(VALU_DEP_3)
	v_or3_b32 v6, v6, 0, 0
	v_cmpx_eq_u16_e32 0, v9
	s_cbranch_execz .LBB677_133
; %bb.136:                              ;   in Loop: Header=BB677_134 Depth=1
	s_mov_b32 s25, 1
	s_mov_b32 s24, 0
	.p2align	6
.LBB677_137:                            ;   Parent Loop BB677_134 Depth=1
                                        ; =>  This Loop Header: Depth=2
                                        ;       Child Loop BB677_138 Depth 3
	s_max_u32 s36, s25, 1
.LBB677_138:                            ;   Parent Loop BB677_134 Depth=1
                                        ;     Parent Loop BB677_137 Depth=2
                                        ; =>    This Inner Loop Header: Depth=3
	s_delay_alu instid0(SALU_CYCLE_1)
	s_add_i32 s36, s36, -1
	s_sleep 1
	s_cmp_eq_u32 s36, 0
	s_cbranch_scc0 .LBB677_138
; %bb.139:                              ;   in Loop: Header=BB677_137 Depth=2
	;;#ASMSTART
	global_load_dwordx4 v[6:9], v[29:30] off glc	
s_waitcnt vmcnt(0)
	;;#ASMEND
	v_and_b32_e32 v9, 0xff, v8
	s_cmp_lt_u32 s25, 32
	s_cselect_b32 s36, -1, 0
	s_delay_alu instid0(SALU_CYCLE_1) | instskip(NEXT) | instid1(VALU_DEP_1)
	s_cmp_lg_u32 s36, 0
	v_cmp_ne_u16_e32 vcc_lo, 0, v9
	s_addc_u32 s25, s25, 0
	s_or_b32 s24, vcc_lo, s24
	s_delay_alu instid0(SALU_CYCLE_1)
	s_and_not1_b32 exec_lo, exec_lo, s24
	s_cbranch_execnz .LBB677_137
; %bb.140:                              ;   in Loop: Header=BB677_134 Depth=1
	s_or_b32 exec_lo, exec_lo, s24
	v_and_b32_e32 v7, 0xffff, v7
	s_branch .LBB677_133
.LBB677_141:                            ;   in Loop: Header=BB677_134 Depth=1
                                        ; implicit-def: $vgpr7
                                        ; implicit-def: $vgpr6
                                        ; implicit-def: $vgpr8
	s_cbranch_execz .LBB677_134
; %bb.142:
	s_and_saveexec_b32 s15, s14
	s_cbranch_execz .LBB677_144
; %bb.143:
	v_cmp_eq_u32_e32 vcc_lo, 0, v5
	s_mov_b32 s25, 0
	s_add_i32 s24, s33, 32
	v_add_nc_u32_e64 v29, 0x400, 0
	s_lshl_b64 s[24:25], s[24:25], 4
	v_dual_cndmask_b32 v6, 0, v41 :: v_dual_mov_b32 v9, 0
	s_add_u32 s24, s20, s24
	s_addc_u32 s25, s21, s25
	v_mov_b32_e32 v30, s23
	s_delay_alu instid0(VALU_DEP_2) | instskip(SKIP_1) | instid1(VALU_DEP_2)
	v_add_nc_u16 v7, v6, s23
	v_add_nc_u32_e32 v6, v42, v5
	v_dual_mov_b32 v8, 2 :: v_dual_and_b32 v27, 0xff00, v7
	v_and_b32_e32 v7, 0xff, v7
	s_delay_alu instid0(VALU_DEP_1)
	v_or_b32_e32 v7, v27, v7
	v_dual_mov_b32 v28, s25 :: v_dual_mov_b32 v27, s24
	;;#ASMSTART
	global_store_dwordx4 v[27:28], v[6:9] off	
s_waitcnt vmcnt(0)
	;;#ASMEND
	ds_store_2addr_b32 v29, v5, v42 offset1:2
	ds_store_b16 v9, v30 offset:1028
	ds_store_b16 v9, v41 offset:1036
.LBB677_144:
	s_or_b32 exec_lo, exec_lo, s15
	s_delay_alu instid0(SALU_CYCLE_1)
	s_and_b32 exec_lo, exec_lo, s2
	s_cbranch_execz .LBB677_146
; %bb.145:
	v_mov_b32_e32 v5, 0
	ds_store_b32 v5, v42 offset:1096
	ds_store_b16 v5, v41 offset:1100
.LBB677_146:
	s_or_b32 exec_lo, exec_lo, s22
	v_mov_b32_e32 v7, 0
	s_waitcnt lgkmcnt(0)
	s_barrier
	buffer_gl0_inv
	v_cndmask_b32_e64 v8, v32, v31, s14
	ds_load_b64 v[5:6], v7 offset:1096
	v_cndmask_b32_e64 v9, v33, v25, s14
	s_waitcnt lgkmcnt(0)
	s_barrier
	v_cmp_eq_u32_e32 vcc_lo, 0, v8
	v_cndmask_b32_e64 v8, v8, 0, s2
	buffer_gl0_inv
	v_cndmask_b32_e32 v25, 0, v6, vcc_lo
	v_cmp_eq_u32_e32 vcc_lo, 0, v76
	v_add_nc_u32_e32 v55, v5, v8
	s_delay_alu instid0(VALU_DEP_3) | instskip(NEXT) | instid1(VALU_DEP_2)
	v_add_nc_u16 v9, v25, v9
	v_add_nc_u32_e32 v51, v55, v76
	s_delay_alu instid0(VALU_DEP_2) | instskip(NEXT) | instid1(VALU_DEP_1)
	v_cndmask_b32_e64 v9, v9, v6, s2
	v_dual_cndmask_b32 v6, 0, v9 :: v_dual_add_nc_u32 v49, v51, v26
	v_and_b32_e32 v56, 0xffff, v9
	s_delay_alu instid0(VALU_DEP_2) | instskip(NEXT) | instid1(VALU_DEP_3)
	v_add_nc_u32_e32 v47, v49, v23
	v_add_nc_u16 v25, v6, v73
	s_delay_alu instid0(VALU_DEP_2) | instskip(NEXT) | instid1(VALU_DEP_2)
	v_add_nc_u32_e32 v35, v47, v24
	v_cndmask_b32_e64 v6, 0, v25, s13
	v_and_b32_e32 v52, 0xffff, v25
	s_delay_alu instid0(VALU_DEP_3) | instskip(NEXT) | instid1(VALU_DEP_3)
	v_add_nc_u32_e32 v33, v35, v21
	v_add_nc_u16 v27, v6, v72
	s_delay_alu instid0(VALU_DEP_2) | instskip(NEXT) | instid1(VALU_DEP_2)
	v_add_nc_u32_e32 v31, v33, v22
	v_cndmask_b32_e64 v6, 0, v27, s12
	v_and_b32_e32 v50, 0xffff, v27
	s_delay_alu instid0(VALU_DEP_3) | instskip(NEXT) | instid1(VALU_DEP_3)
	;; [unrolled: 7-line block ×4, first 2 shown]
	v_add_nc_u32_e32 v39, v43, v15
	v_add_nc_u16 v30, v6, v71
	s_delay_alu instid0(VALU_DEP_2) | instskip(NEXT) | instid1(VALU_DEP_2)
	v_add_nc_u32_e32 v41, v39, v16
	v_cndmask_b32_e64 v6, 0, v30, s9
	s_delay_alu instid0(VALU_DEP_2) | instskip(NEXT) | instid1(VALU_DEP_2)
	v_add_nc_u32_e32 v37, v41, v13
	v_add_nc_u16 v32, v6, v68
	s_delay_alu instid0(VALU_DEP_2) | instskip(NEXT) | instid1(VALU_DEP_2)
	v_add_nc_u32_e32 v29, v37, v14
	v_cndmask_b32_e64 v5, 0, v32, s8
	v_and_b32_e32 v32, 0xffff, v32
	s_delay_alu instid0(VALU_DEP_2) | instskip(NEXT) | instid1(VALU_DEP_1)
	v_add_nc_u16 v38, v5, v69
	v_cndmask_b32_e64 v5, 0, v38, s7
	v_and_b32_e32 v54, 0xffff, v38
	s_delay_alu instid0(VALU_DEP_2) | instskip(NEXT) | instid1(VALU_DEP_1)
	v_add_nc_u16 v40, v5, v66
	;; [unrolled: 4-line block ×3, first 2 shown]
	v_cndmask_b32_e64 v5, 0, v42, s5
	v_and_b32_e32 v46, 0xffff, v42
	s_delay_alu instid0(VALU_DEP_2) | instskip(SKIP_3) | instid1(VALU_DEP_2)
	v_add_nc_u16 v44, v5, v65
	ds_load_b128 v[5:8], v7 offset:1024
	v_cndmask_b32_e64 v34, 0, v44, s4
	v_and_b32_e32 v44, 0xffff, v44
	v_add_nc_u16 v81, v34, v64
	s_delay_alu instid0(VALU_DEP_1) | instskip(SKIP_1) | instid1(VALU_DEP_2)
	v_cndmask_b32_e64 v34, 0, v81, s3
	v_and_b32_e32 v40, 0xffff, v81
	v_add_nc_u16 v82, v34, v63
	s_waitcnt lgkmcnt(0)
	v_cmp_eq_u32_e32 vcc_lo, 0, v5
	s_delay_alu instid0(VALU_DEP_2) | instskip(SKIP_2) | instid1(VALU_DEP_3)
	v_cndmask_b32_e64 v34, 0, v82, s1
	v_cndmask_b32_e32 v8, 0, v8, vcc_lo
	v_and_b32_e32 v42, 0xffff, v82
	v_add_nc_u16 v9, v34, v60
	v_and_b32_e32 v34, 0xffff, v30
	s_delay_alu instid0(VALU_DEP_2) | instskip(SKIP_1) | instid1(VALU_DEP_2)
	v_cndmask_b32_e64 v25, 0, v9, s0
	v_and_b32_e32 v38, 0xffff, v9
	v_add_nc_u16 v25, v25, v59
	s_delay_alu instid0(VALU_DEP_1)
	v_and_b32_e32 v30, 0xffff, v25
	v_add_nc_u32_e32 v25, v8, v6
	s_branch .LBB677_159
.LBB677_147:
                                        ; implicit-def: $vgpr5
                                        ; implicit-def: $vgpr25
                                        ; implicit-def: $vgpr55_vgpr56
                                        ; implicit-def: $vgpr51_vgpr52
                                        ; implicit-def: $vgpr49_vgpr50
                                        ; implicit-def: $vgpr47_vgpr48
                                        ; implicit-def: $vgpr35_vgpr36
                                        ; implicit-def: $vgpr33_vgpr34
                                        ; implicit-def: $vgpr31_vgpr32
                                        ; implicit-def: $vgpr53_vgpr54
                                        ; implicit-def: $vgpr57_vgpr58
                                        ; implicit-def: $vgpr45_vgpr46
                                        ; implicit-def: $vgpr43_vgpr44
                                        ; implicit-def: $vgpr39_vgpr40
                                        ; implicit-def: $vgpr41_vgpr42
                                        ; implicit-def: $vgpr37_vgpr38
                                        ; implicit-def: $vgpr29_vgpr30
	s_cbranch_execz .LBB677_159
; %bb.148:
	s_and_b32 s0, s16, exec_lo
	v_mov_b32_e32 v6, v73
	s_cselect_b32 s1, 0, s35
	s_cselect_b32 s0, 0, s34
	s_delay_alu instid0(SALU_CYCLE_1)
	s_cmp_eq_u64 s[0:1], 0
	s_cbranch_scc1 .LBB677_150
; %bb.149:
	v_mov_b32_e32 v5, 0
	global_load_u16 v6, v5, s[0:1]
.LBB677_150:
	v_cmp_eq_u32_e64 s12, 0, v26
	v_cmp_eq_u32_e64 s11, 0, v23
	v_cmp_eq_u32_e64 s10, 0, v24
	v_cmp_eq_u32_e64 s9, 0, v21
	v_cmp_eq_u32_e64 s7, 0, v22
	v_cndmask_b32_e64 v5, 0, v73, s12
	v_cmp_eq_u32_e64 s8, 0, v19
	v_cmp_eq_u32_e64 s6, 0, v20
	;; [unrolled: 1-line block ×4, first 2 shown]
	v_add_nc_u16 v5, v5, v72
	v_cmp_eq_u32_e64 s3, 0, v15
	v_cmp_eq_u32_e64 s1, 0, v16
	;; [unrolled: 1-line block ×3, first 2 shown]
	v_cmp_eq_u32_e32 vcc_lo, 0, v14
	v_cndmask_b32_e64 v5, 0, v5, s11
	s_waitcnt lgkmcnt(0)
	v_add3_u32 v7, v80, v22, v19
	v_cmp_eq_u32_e64 s13, 0, v61
	v_and_b32_e32 v25, 15, v77
	v_add_nc_u16 v5, v5, v74
	s_delay_alu instid0(VALU_DEP_4) | instskip(NEXT) | instid1(VALU_DEP_2)
	v_add3_u32 v7, v7, v20, v17
	v_cndmask_b32_e64 v5, 0, v5, s10
	s_delay_alu instid0(VALU_DEP_2) | instskip(NEXT) | instid1(VALU_DEP_2)
	v_add3_u32 v7, v7, v18, v15
	v_add_nc_u16 v5, v5, v70
	s_delay_alu instid0(VALU_DEP_2) | instskip(NEXT) | instid1(VALU_DEP_2)
	v_add3_u32 v7, v7, v16, v13
	v_cndmask_b32_e64 v5, 0, v5, s9
	s_delay_alu instid0(VALU_DEP_2) | instskip(NEXT) | instid1(VALU_DEP_2)
	v_add3_u32 v7, v7, v14, v61
	v_add_nc_u16 v5, v5, v71
	s_delay_alu instid0(VALU_DEP_2) | instskip(NEXT) | instid1(VALU_DEP_2)
	v_mov_b32_dpp v27, v7 row_shr:1 row_mask:0xf bank_mask:0xf
	v_cndmask_b32_e64 v5, 0, v5, s7
	s_delay_alu instid0(VALU_DEP_1) | instskip(NEXT) | instid1(VALU_DEP_1)
	v_add_nc_u16 v5, v5, v68
	v_cndmask_b32_e64 v5, 0, v5, s8
	s_delay_alu instid0(VALU_DEP_1) | instskip(NEXT) | instid1(VALU_DEP_1)
	v_add_nc_u16 v5, v5, v69
	;; [unrolled: 3-line block ×8, first 2 shown]
	v_cndmask_b32_e32 v5, 0, v5, vcc_lo
	s_delay_alu instid0(VALU_DEP_1) | instskip(NEXT) | instid1(VALU_DEP_1)
	v_add_nc_u16 v5, v5, v59
	v_cndmask_b32_e64 v5, 0, v5, s13
	v_cmp_eq_u32_e64 s13, 0, v7
	s_delay_alu instid0(VALU_DEP_2) | instskip(NEXT) | instid1(VALU_DEP_1)
	v_add_nc_u16 v5, v5, v75
	v_and_b32_e32 v8, 0xffff, v5
	s_delay_alu instid0(VALU_DEP_1) | instskip(NEXT) | instid1(VALU_DEP_1)
	v_mov_b32_dpp v9, v8 row_shr:1 row_mask:0xf bank_mask:0xf
	v_cndmask_b32_e64 v9, 0, v9, s13
	v_cmp_eq_u32_e64 s13, 0, v25
	s_delay_alu instid0(VALU_DEP_2) | instskip(NEXT) | instid1(VALU_DEP_2)
	v_add_nc_u16 v9, v9, v5
	v_cndmask_b32_e64 v27, v27, 0, s13
	s_delay_alu instid0(VALU_DEP_2) | instskip(NEXT) | instid1(VALU_DEP_2)
	v_and_b32_e32 v28, 0xffff, v9
	v_add_nc_u32_e32 v7, v27, v7
	v_cndmask_b32_e64 v5, v9, v5, s13
	s_delay_alu instid0(VALU_DEP_3) | instskip(NEXT) | instid1(VALU_DEP_3)
	v_cndmask_b32_e64 v8, v28, v8, s13
	v_cmp_eq_u32_e64 s13, 0, v7
	s_delay_alu instid0(VALU_DEP_2) | instskip(NEXT) | instid1(VALU_DEP_1)
	v_mov_b32_dpp v27, v8 row_shr:2 row_mask:0xf bank_mask:0xf
	v_cndmask_b32_e64 v9, 0, v27, s13
	v_mov_b32_dpp v27, v7 row_shr:2 row_mask:0xf bank_mask:0xf
	v_cmp_lt_u32_e64 s13, 1, v25
	s_delay_alu instid0(VALU_DEP_3) | instskip(NEXT) | instid1(VALU_DEP_1)
	v_add_nc_u16 v9, v9, v5
	v_and_b32_e32 v28, 0xffff, v9
	s_delay_alu instid0(VALU_DEP_3) | instskip(SKIP_1) | instid1(VALU_DEP_3)
	v_cndmask_b32_e64 v5, v5, v9, s13
	v_cndmask_b32_e64 v9, 0, v27, s13
	;; [unrolled: 1-line block ×3, first 2 shown]
	s_delay_alu instid0(VALU_DEP_2) | instskip(NEXT) | instid1(VALU_DEP_2)
	v_add_nc_u32_e32 v7, v7, v9
	v_mov_b32_dpp v9, v8 row_shr:4 row_mask:0xf bank_mask:0xf
	s_delay_alu instid0(VALU_DEP_2) | instskip(SKIP_1) | instid1(VALU_DEP_2)
	v_cmp_eq_u32_e64 s13, 0, v7
	v_mov_b32_dpp v27, v7 row_shr:4 row_mask:0xf bank_mask:0xf
	v_cndmask_b32_e64 v9, 0, v9, s13
	v_cmp_lt_u32_e64 s13, 3, v25
	s_delay_alu instid0(VALU_DEP_2) | instskip(NEXT) | instid1(VALU_DEP_1)
	v_add_nc_u16 v9, v9, v5
	v_and_b32_e32 v28, 0xffff, v9
	s_delay_alu instid0(VALU_DEP_3) | instskip(SKIP_1) | instid1(VALU_DEP_3)
	v_cndmask_b32_e64 v5, v5, v9, s13
	v_cndmask_b32_e64 v9, 0, v27, s13
	;; [unrolled: 1-line block ×3, first 2 shown]
	s_delay_alu instid0(VALU_DEP_2) | instskip(NEXT) | instid1(VALU_DEP_2)
	v_add_nc_u32_e32 v7, v9, v7
	v_mov_b32_dpp v9, v8 row_shr:8 row_mask:0xf bank_mask:0xf
	s_delay_alu instid0(VALU_DEP_2) | instskip(SKIP_1) | instid1(VALU_DEP_2)
	v_cmp_eq_u32_e64 s13, 0, v7
	v_mov_b32_dpp v27, v7 row_shr:8 row_mask:0xf bank_mask:0xf
	v_cndmask_b32_e64 v9, 0, v9, s13
	v_cmp_lt_u32_e64 s13, 7, v25
	s_delay_alu instid0(VALU_DEP_2) | instskip(NEXT) | instid1(VALU_DEP_1)
	v_add_nc_u16 v9, v9, v5
	v_cndmask_b32_e64 v25, v5, v9, s13
	v_cndmask_b32_e64 v5, 0, v27, s13
	v_and_b32_e32 v9, 0xffff, v9
	v_bfe_i32 v27, v77, 4, 1
	s_delay_alu instid0(VALU_DEP_3) | instskip(NEXT) | instid1(VALU_DEP_3)
	v_add_nc_u32_e32 v5, v5, v7
	v_cndmask_b32_e64 v7, v8, v9, s13
	v_and_b32_e32 v9, 16, v77
	ds_swizzle_b32 v8, v5 offset:swizzle(BROADCAST,32,15)
	ds_swizzle_b32 v7, v7 offset:swizzle(BROADCAST,32,15)
	v_cmp_ne_u32_e64 s13, 0, v9
	v_cmp_eq_u32_e64 s14, 0, v5
	s_delay_alu instid0(VALU_DEP_1)
	s_and_b32 s13, s13, s14
	s_mov_b32 s14, exec_lo
	s_waitcnt lgkmcnt(1)
	v_and_b32_e32 v8, v27, v8
	s_waitcnt lgkmcnt(0)
	v_cndmask_b32_e64 v7, 0, v7, s13
	s_delay_alu instid0(VALU_DEP_2) | instskip(NEXT) | instid1(VALU_DEP_2)
	v_add_nc_u32_e32 v5, v8, v5
	v_add_nc_u16 v7, v7, v25
	v_cmpx_eq_u32_e64 v79, v0
	s_cbranch_execz .LBB677_152
; %bb.151:
	v_lshlrev_b32_e32 v8, 3, v78
	ds_store_b32 v8, v5 offset:1040
	ds_store_b16 v8, v7 offset:1044
.LBB677_152:
	s_or_b32 exec_lo, exec_lo, s14
	s_delay_alu instid0(SALU_CYCLE_1)
	s_mov_b32 s15, exec_lo
	s_waitcnt vmcnt(0) lgkmcnt(0)
	s_barrier
	buffer_gl0_inv
	v_cmpx_gt_u32_e32 8, v0
	s_cbranch_execz .LBB677_154
; %bb.153:
	v_lshlrev_b32_e32 v25, 3, v0
	v_and_b32_e32 v30, 7, v77
	ds_load_b64 v[8:9], v25 offset:1040
	v_cmp_lt_u32_e64 s14, 3, v30
	s_waitcnt lgkmcnt(0)
	v_mov_b32_dpp v27, v9 row_shr:1 row_mask:0xf bank_mask:0xf
	v_cmp_eq_u32_e64 s13, 0, v8
	v_and_b32_e32 v28, 0xffff0000, v9
	v_mov_b32_dpp v31, v8 row_shr:1 row_mask:0xf bank_mask:0xf
	s_delay_alu instid0(VALU_DEP_3) | instskip(SKIP_1) | instid1(VALU_DEP_2)
	v_cndmask_b32_e64 v27, 0, v27, s13
	v_cmp_eq_u32_e64 s13, 0, v30
	v_add_nc_u16 v27, v27, v9
	s_delay_alu instid0(VALU_DEP_2) | instskip(NEXT) | instid1(VALU_DEP_2)
	v_cndmask_b32_e64 v31, v31, 0, s13
	v_and_b32_e32 v29, 0xffff, v27
	s_delay_alu instid0(VALU_DEP_2) | instskip(NEXT) | instid1(VALU_DEP_2)
	v_add_nc_u32_e32 v8, v31, v8
	v_or_b32_e32 v29, v28, v29
	s_delay_alu instid0(VALU_DEP_1) | instskip(SKIP_1) | instid1(VALU_DEP_4)
	v_cndmask_b32_e64 v29, v29, v9, s13
	v_cndmask_b32_e64 v9, v27, v9, s13
	v_cmp_eq_u32_e64 s13, 0, v8
	s_delay_alu instid0(VALU_DEP_3) | instskip(NEXT) | instid1(VALU_DEP_1)
	v_mov_b32_dpp v31, v29 row_shr:2 row_mask:0xf bank_mask:0xf
	v_cndmask_b32_e64 v27, 0, v31, s13
	v_mov_b32_dpp v31, v8 row_shr:2 row_mask:0xf bank_mask:0xf
	v_cmp_lt_u32_e64 s13, 1, v30
	s_delay_alu instid0(VALU_DEP_3) | instskip(NEXT) | instid1(VALU_DEP_1)
	v_add_nc_u16 v27, v27, v9
	v_and_b32_e32 v32, 0xffff, v27
	s_delay_alu instid0(VALU_DEP_3) | instskip(SKIP_1) | instid1(VALU_DEP_3)
	v_cndmask_b32_e64 v9, v9, v27, s13
	v_cndmask_b32_e64 v27, 0, v31, s13
	v_or_b32_e32 v28, v28, v32
	s_delay_alu instid0(VALU_DEP_2) | instskip(NEXT) | instid1(VALU_DEP_2)
	v_add_nc_u32_e32 v8, v27, v8
	v_cndmask_b32_e64 v27, v29, v28, s13
	s_delay_alu instid0(VALU_DEP_2) | instskip(SKIP_1) | instid1(VALU_DEP_3)
	v_cmp_eq_u32_e64 s13, 0, v8
	v_mov_b32_dpp v28, v8 row_shr:4 row_mask:0xf bank_mask:0xf
	v_mov_b32_dpp v27, v27 row_shr:4 row_mask:0xf bank_mask:0xf
	s_delay_alu instid0(VALU_DEP_3) | instskip(NEXT) | instid1(VALU_DEP_2)
	s_and_b32 s13, s14, s13
	v_cndmask_b32_e64 v28, 0, v28, s14
	s_delay_alu instid0(VALU_DEP_2) | instskip(NEXT) | instid1(VALU_DEP_2)
	v_cndmask_b32_e64 v27, 0, v27, s13
	v_add_nc_u32_e32 v8, v28, v8
	s_delay_alu instid0(VALU_DEP_2)
	v_add_nc_u16 v9, v9, v27
	ds_store_b32 v25, v8 offset:1040
	ds_store_b16 v25, v9 offset:1044
.LBB677_154:
	s_or_b32 exec_lo, exec_lo, s15
	v_dual_mov_b32 v8, 0 :: v_dual_mov_b32 v9, 0
	v_mov_b32_e32 v25, v6
	s_mov_b32 s14, exec_lo
	s_waitcnt lgkmcnt(0)
	s_barrier
	buffer_gl0_inv
	v_cmpx_lt_u32_e32 31, v0
	s_cbranch_execz .LBB677_156
; %bb.155:
	v_lshlrev_b32_e32 v25, 3, v78
	ds_load_b32 v9, v25 offset:1032
	ds_load_u16 v25, v25 offset:1036
	s_waitcnt lgkmcnt(1)
	v_cmp_eq_u32_e64 s13, 0, v9
	s_delay_alu instid0(VALU_DEP_1) | instskip(SKIP_1) | instid1(VALU_DEP_1)
	v_cndmask_b32_e64 v27, 0, v6, s13
	s_waitcnt lgkmcnt(0)
	v_add_nc_u16 v25, v27, v25
.LBB677_156:
	s_or_b32 exec_lo, exec_lo, s14
	v_add_nc_u32_e32 v27, -1, v77
	v_cmp_eq_u32_e64 s13, 0, v5
	v_add_nc_u32_e32 v5, v9, v5
	s_delay_alu instid0(VALU_DEP_2) | instskip(NEXT) | instid1(VALU_DEP_4)
	v_cndmask_b32_e64 v28, 0, v25, s13
	v_cmp_gt_i32_e64 s13, 0, v27
	s_delay_alu instid0(VALU_DEP_2) | instskip(NEXT) | instid1(VALU_DEP_2)
	v_add_nc_u16 v7, v28, v7
	v_cndmask_b32_e64 v27, v27, v77, s13
	v_cmp_eq_u32_e64 s13, 0, v77
	s_delay_alu instid0(VALU_DEP_3) | instskip(NEXT) | instid1(VALU_DEP_3)
	v_and_b32_e32 v7, 0xffff, v7
	v_lshlrev_b32_e32 v27, 2, v27
	ds_bpermute_b32 v7, v27, v7
	ds_bpermute_b32 v5, v27, v5
	s_waitcnt lgkmcnt(1)
	v_cndmask_b32_e64 v7, v7, v25, s13
	s_waitcnt lgkmcnt(0)
	v_cndmask_b32_e64 v5, v5, v9, s13
	v_cmp_eq_u32_e64 s13, 0, v76
	s_delay_alu instid0(VALU_DEP_3) | instskip(NEXT) | instid1(VALU_DEP_3)
	v_cndmask_b32_e64 v7, v7, v6, s2
	v_cndmask_b32_e64 v55, v5, 0, s2
	s_delay_alu instid0(VALU_DEP_2) | instskip(NEXT) | instid1(VALU_DEP_2)
	v_cndmask_b32_e64 v9, 0, v7, s13
	v_add_nc_u32_e32 v51, v55, v76
	v_and_b32_e32 v56, 0xffff, v7
	s_delay_alu instid0(VALU_DEP_3) | instskip(NEXT) | instid1(VALU_DEP_3)
	v_add_nc_u16 v9, v9, v73
	v_add_nc_u32_e32 v49, v51, v26
	s_delay_alu instid0(VALU_DEP_2) | instskip(NEXT) | instid1(VALU_DEP_2)
	v_cndmask_b32_e64 v25, 0, v9, s12
	v_add_nc_u32_e32 v47, v49, v23
	s_delay_alu instid0(VALU_DEP_2) | instskip(NEXT) | instid1(VALU_DEP_2)
	v_add_nc_u16 v25, v25, v72
	v_add_nc_u32_e32 v35, v47, v24
	s_delay_alu instid0(VALU_DEP_2) | instskip(NEXT) | instid1(VALU_DEP_2)
	v_cndmask_b32_e64 v27, 0, v25, s11
	v_add_nc_u32_e32 v33, v35, v21
	v_and_b32_e32 v50, 0xffff, v25
	s_delay_alu instid0(VALU_DEP_3) | instskip(NEXT) | instid1(VALU_DEP_1)
	v_add_nc_u16 v27, v27, v74
	v_cndmask_b32_e64 v28, 0, v27, s10
	v_and_b32_e32 v48, 0xffff, v27
	s_delay_alu instid0(VALU_DEP_2) | instskip(NEXT) | instid1(VALU_DEP_1)
	v_add_nc_u16 v28, v28, v70
	v_cndmask_b32_e64 v29, 0, v28, s9
	v_and_b32_e32 v36, 0xffff, v28
	s_delay_alu instid0(VALU_DEP_2) | instskip(NEXT) | instid1(VALU_DEP_1)
	;; [unrolled: 4-line block ×3, first 2 shown]
	v_add_nc_u16 v30, v30, v68
	v_cndmask_b32_e64 v31, 0, v30, s8
	s_delay_alu instid0(VALU_DEP_1) | instskip(SKIP_1) | instid1(VALU_DEP_2)
	v_add_nc_u16 v38, v31, v69
	v_add_nc_u32_e32 v31, v33, v22
	v_cndmask_b32_e64 v5, 0, v38, s6
	s_delay_alu instid0(VALU_DEP_2) | instskip(SKIP_1) | instid1(VALU_DEP_3)
	v_add_nc_u32_e32 v53, v31, v19
	v_and_b32_e32 v54, 0xffff, v38
	v_add_nc_u16 v40, v5, v66
	s_delay_alu instid0(VALU_DEP_3) | instskip(NEXT) | instid1(VALU_DEP_2)
	v_add_nc_u32_e32 v57, v53, v20
	v_cndmask_b32_e64 v5, 0, v40, s5
	s_delay_alu instid0(VALU_DEP_2) | instskip(SKIP_1) | instid1(VALU_DEP_3)
	v_add_nc_u32_e32 v45, v57, v17
	v_and_b32_e32 v58, 0xffff, v40
	v_add_nc_u16 v42, v5, v67
	s_delay_alu instid0(VALU_DEP_3) | instskip(NEXT) | instid1(VALU_DEP_2)
	v_add_nc_u32_e32 v43, v45, v18
	v_cndmask_b32_e64 v5, 0, v42, s4
	s_delay_alu instid0(VALU_DEP_2) | instskip(SKIP_1) | instid1(VALU_DEP_3)
	v_add_nc_u32_e32 v39, v43, v15
	v_and_b32_e32 v46, 0xffff, v42
	v_add_nc_u16 v44, v5, v65
	ds_load_b32 v5, v8 offset:1096
	ds_load_u16 v8, v8 offset:1100
	v_add_nc_u32_e32 v41, v39, v16
	v_cndmask_b32_e64 v32, 0, v44, s3
	v_and_b32_e32 v44, 0xffff, v44
	s_delay_alu instid0(VALU_DEP_3) | instskip(NEXT) | instid1(VALU_DEP_3)
	v_add_nc_u32_e32 v37, v41, v13
	v_add_nc_u16 v64, v32, v64
	s_delay_alu instid0(VALU_DEP_2) | instskip(NEXT) | instid1(VALU_DEP_2)
	v_add_nc_u32_e32 v29, v37, v14
	v_cndmask_b32_e64 v32, 0, v64, s1
	v_and_b32_e32 v40, 0xffff, v64
	s_delay_alu instid0(VALU_DEP_2) | instskip(SKIP_3) | instid1(VALU_DEP_3)
	v_add_nc_u16 v63, v32, v63
	s_waitcnt lgkmcnt(1)
	v_cmp_eq_u32_e64 s1, 0, v5
	v_and_b32_e32 v32, 0xffff, v30
	v_cndmask_b32_e64 v7, 0, v63, s0
	s_delay_alu instid0(VALU_DEP_3) | instskip(SKIP_1) | instid1(VALU_DEP_3)
	v_cndmask_b32_e64 v6, 0, v6, s1
	v_and_b32_e32 v42, 0xffff, v63
	v_add_nc_u16 v7, v7, v60
	v_and_b32_e32 v52, 0xffff, v9
	s_waitcnt lgkmcnt(0)
	v_add_nc_u16 v25, v6, v8
	s_delay_alu instid0(VALU_DEP_3) | instskip(SKIP_1) | instid1(VALU_DEP_2)
	v_cndmask_b32_e32 v9, 0, v7, vcc_lo
	v_and_b32_e32 v38, 0xffff, v7
	v_add_nc_u16 v9, v9, v59
	s_delay_alu instid0(VALU_DEP_1)
	v_and_b32_e32 v30, 0xffff, v9
	s_and_saveexec_b32 s0, s2
	s_cbranch_execz .LBB677_158
; %bb.157:
	v_and_b32_e32 v6, 0xff00, v25
	v_dual_mov_b32 v8, 0 :: v_dual_and_b32 v7, 0xff, v25
	s_add_u32 s4, s20, 0x200
	s_addc_u32 s5, s21, 0
	s_delay_alu instid0(VALU_DEP_1)
	v_or_b32_e32 v6, v6, v7
	v_dual_mov_b32 v7, 2 :: v_dual_mov_b32 v28, s5
	v_mov_b32_e32 v27, s4
	;;#ASMSTART
	global_store_dwordx4 v[27:28], v[5:8] off	
s_waitcnt vmcnt(0)
	;;#ASMEND
.LBB677_158:
	s_or_b32 exec_lo, exec_lo, s0
	v_mov_b32_e32 v7, 0
.LBB677_159:
	v_mov_b32_e32 v27, 0
	s_and_b32 s0, s16, exec_lo
	v_mov_b32_e32 v28, 0
	s_cselect_b32 s1, 0, s39
	s_cselect_b32 s0, 0, s38
	s_waitcnt lgkmcnt(0)
	s_cmp_eq_u64 s[0:1], 0
	s_barrier
	buffer_gl0_inv
	s_cbranch_scc1 .LBB677_161
; %bb.160:
	v_mov_b32_e32 v6, 0
	global_load_b64 v[27:28], v6, s[0:1]
.LBB677_161:
	v_cmp_eq_u32_e32 vcc_lo, 0, v76
	s_waitcnt vmcnt(0)
	v_lshlrev_b64 v[59:60], 1, v[27:28]
	v_cmp_ne_u32_e64 s15, 0, v76
	v_cmp_ne_u32_e64 s14, 0, v26
	;; [unrolled: 1-line block ×3, first 2 shown]
	v_cndmask_b32_e64 v6, 1, 2, vcc_lo
	v_cmp_eq_u32_e32 vcc_lo, 0, v26
	v_cmp_ne_u32_e64 s12, 0, v24
	v_cmp_ne_u32_e64 s11, 0, v21
	;; [unrolled: 1-line block ×4, first 2 shown]
	v_cndmask_b32_e64 v8, 1, 2, vcc_lo
	v_cmp_eq_u32_e32 vcc_lo, 0, v23
	v_cmp_ne_u32_e64 s6, 0, v20
	v_cmp_ne_u32_e64 s9, 0, v17
	;; [unrolled: 1-line block ×3, first 2 shown]
	v_and_b32_e32 v6, v8, v6
	v_cndmask_b32_e64 v9, 1, 2, vcc_lo
	v_cmp_eq_u32_e32 vcc_lo, 0, v24
	v_cmp_ne_u32_e64 s5, 0, v15
	v_cmp_ne_u32_e64 s4, 0, v16
	v_cmp_ne_u32_e64 s3, 0, v13
	v_and_b32_e32 v6, v6, v9
	v_cndmask_b32_e64 v8, 1, 2, vcc_lo
	v_cmp_eq_u32_e32 vcc_lo, 0, v21
	v_cmp_ne_u32_e64 s1, 0, v14
	v_cmp_ne_u32_e64 s0, 0, v61
	s_delay_alu instid0(VALU_DEP_4) | instskip(SKIP_2) | instid1(VALU_DEP_2)
	v_and_b32_e32 v6, v6, v8
	v_cndmask_b32_e64 v9, 1, 2, vcc_lo
	v_cmp_eq_u32_e32 vcc_lo, 0, v22
	v_and_b32_e32 v6, v6, v9
	v_cndmask_b32_e64 v8, 1, 2, vcc_lo
	v_cmp_eq_u32_e32 vcc_lo, 0, v19
	s_delay_alu instid0(VALU_DEP_2) | instskip(SKIP_3) | instid1(VALU_DEP_3)
	v_and_b32_e32 v6, v6, v8
	v_cndmask_b32_e64 v9, 1, 2, vcc_lo
	v_cmp_eq_u32_e32 vcc_lo, 0, v20
	v_mov_b32_e32 v8, 0
	v_and_b32_e32 v6, v6, v9
	v_cndmask_b32_e64 v63, 1, 2, vcc_lo
	v_cmp_eq_u32_e32 vcc_lo, 0, v17
	s_delay_alu instid0(VALU_DEP_2) | instskip(SKIP_2) | instid1(VALU_DEP_2)
	v_and_b32_e32 v6, v6, v63
	v_cndmask_b32_e64 v9, 1, 2, vcc_lo
	v_cmp_eq_u32_e32 vcc_lo, 0, v18
	v_and_b32_e32 v6, v6, v9
	v_cndmask_b32_e64 v63, 1, 2, vcc_lo
	v_cmp_eq_u32_e32 vcc_lo, 0, v15
	s_delay_alu instid0(VALU_DEP_2) | instskip(SKIP_2) | instid1(VALU_DEP_2)
	v_and_b32_e32 v6, v6, v63
	v_cndmask_b32_e64 v9, 1, 2, vcc_lo
	v_cmp_eq_u32_e32 vcc_lo, 0, v16
	v_and_b32_e32 v6, v6, v9
	v_cndmask_b32_e64 v63, 1, 2, vcc_lo
	v_cmp_eq_u32_e32 vcc_lo, 0, v13
	v_lshlrev_b64 v[8:9], 1, v[7:8]
	s_delay_alu instid0(VALU_DEP_3) | instskip(SKIP_2) | instid1(VALU_DEP_2)
	v_and_b32_e32 v6, v6, v63
	v_cndmask_b32_e64 v64, 1, 2, vcc_lo
	v_cmp_eq_u32_e32 vcc_lo, 0, v14
	v_and_b32_e32 v64, v6, v64
	v_cndmask_b32_e64 v65, 1, 2, vcc_lo
	v_add_co_u32 v63, vcc_lo, s18, v59
	v_add_co_ci_u32_e32 v66, vcc_lo, s19, v60, vcc_lo
	s_delay_alu instid0(VALU_DEP_3) | instskip(NEXT) | instid1(VALU_DEP_3)
	v_and_b32_e32 v64, v64, v65
	v_add_co_u32 v6, vcc_lo, v63, v8
	s_delay_alu instid0(VALU_DEP_3) | instskip(SKIP_4) | instid1(VALU_DEP_2)
	v_add_co_ci_u32_e32 v63, vcc_lo, v66, v9, vcc_lo
	v_cmp_eq_u32_e32 vcc_lo, 0, v61
	s_mov_b32 s18, -1
	v_cndmask_b32_e64 v65, 1, 2, vcc_lo
	v_cmp_gt_u32_e32 vcc_lo, 0x100, v5
	v_and_b32_e32 v64, v64, v65
	s_delay_alu instid0(VALU_DEP_1)
	v_cmp_gt_i16_e64 s16, 2, v64
	s_cbranch_vccz .LBB677_168
; %bb.162:
	s_delay_alu instid0(VALU_DEP_1)
	s_and_saveexec_b32 s18, s16
	s_cbranch_execz .LBB677_167
; %bb.163:
	s_mov_b32 s19, 0
	s_mov_b32 s16, exec_lo
	v_cmpx_ne_u16_e32 1, v64
	s_xor_b32 s16, exec_lo, s16
	s_cbranch_execnz .LBB677_257
; %bb.164:
	s_and_not1_saveexec_b32 s16, s16
	s_cbranch_execnz .LBB677_273
.LBB677_165:
	s_or_b32 exec_lo, exec_lo, s16
	s_delay_alu instid0(SALU_CYCLE_1)
	s_and_b32 exec_lo, exec_lo, s19
	s_cbranch_execz .LBB677_167
.LBB677_166:
	v_sub_nc_u32_e32 v65, v29, v7
	v_mov_b32_e32 v66, 0
	s_delay_alu instid0(VALU_DEP_1) | instskip(NEXT) | instid1(VALU_DEP_1)
	v_lshlrev_b64 v[65:66], 1, v[65:66]
	v_add_co_u32 v65, vcc_lo, v6, v65
	s_delay_alu instid0(VALU_DEP_2)
	v_add_co_ci_u32_e32 v66, vcc_lo, v63, v66, vcc_lo
	global_store_d16_hi_b16 v[65:66], v12, off
.LBB677_167:
	s_or_b32 exec_lo, exec_lo, s18
	s_mov_b32 s18, 0
.LBB677_168:
	s_delay_alu instid0(SALU_CYCLE_1)
	s_and_b32 vcc_lo, exec_lo, s18
	s_cbranch_vccz .LBB677_190
; %bb.169:
	s_mov_b32 s16, exec_lo
	v_cmpx_gt_i16_e32 2, v64
	s_cbranch_execz .LBB677_174
; %bb.170:
	s_mov_b32 s19, 0
	s_mov_b32 s18, exec_lo
	v_cmpx_ne_u16_e32 1, v64
	s_xor_b32 s18, exec_lo, s18
	s_cbranch_execnz .LBB677_274
; %bb.171:
	s_and_not1_saveexec_b32 s0, s18
	s_cbranch_execnz .LBB677_290
.LBB677_172:
	s_or_b32 exec_lo, exec_lo, s0
	s_delay_alu instid0(SALU_CYCLE_1)
	s_and_b32 exec_lo, exec_lo, s19
	s_cbranch_execz .LBB677_174
.LBB677_173:
	v_sub_nc_u32_e32 v1, v29, v7
	s_delay_alu instid0(VALU_DEP_1)
	v_lshlrev_b32_e32 v1, 1, v1
	ds_store_b16_d16_hi v1, v12
.LBB677_174:
	s_or_b32 exec_lo, exec_lo, s16
	s_delay_alu instid0(SALU_CYCLE_1)
	s_mov_b32 s1, exec_lo
	s_waitcnt lgkmcnt(0)
	s_waitcnt_vscnt null, 0x0
	s_barrier
	buffer_gl0_inv
	v_cmpx_lt_u32_e64 v0, v5
	s_cbranch_execz .LBB677_189
; %bb.175:
	v_xad_u32 v2, v0, -1, v5
	v_mov_b32_e32 v1, v0
	s_mov_b32 s0, -1
	s_mov_b32 s4, exec_lo
	s_delay_alu instid0(VALU_DEP_2)
	v_cmp_gt_u32_e64 s3, 0x1900, v2
	v_cmpx_lt_u32_e32 0x18ff, v2
	s_cbranch_execz .LBB677_186
; %bb.176:
	v_sub_nc_u32_e32 v1, v0, v5
	s_delay_alu instid0(VALU_DEP_1) | instskip(NEXT) | instid1(VALU_DEP_1)
	v_or_b32_e32 v1, 0xff, v1
	v_cmp_ge_u32_e32 vcc_lo, v1, v0
	v_mov_b32_e32 v1, v0
	s_and_saveexec_b32 s5, vcc_lo
	s_cbranch_execz .LBB677_185
; %bb.177:
	v_lshrrev_b32_e32 v4, 8, v2
	v_or_b32_e32 v1, 0x100, v0
	s_delay_alu instid0(VALU_DEP_2) | instskip(NEXT) | instid1(VALU_DEP_1)
	v_dual_mov_b32 v65, 0 :: v_dual_add_nc_u32 v2, -1, v4
	v_lshrrev_b32_e32 v3, 1, v2
	v_cmp_lt_u32_e32 vcc_lo, 13, v2
	s_delay_alu instid0(VALU_DEP_2)
	v_dual_mov_b32 v3, v1 :: v_dual_add_nc_u32 v12, 1, v3
	v_mov_b32_e32 v2, v0
	s_and_saveexec_b32 s0, vcc_lo
	s_cbranch_execz .LBB677_181
; %bb.178:
	v_dual_mov_b32 v3, v1 :: v_dual_lshlrev_b32 v64, 1, v0
	v_dual_mov_b32 v11, 0 :: v_dual_and_b32 v62, -8, v12
	v_mov_b32_e32 v2, v0
	s_mov_b32 s6, 0
	s_mov_b32 s7, 0
.LBB677_179:                            ; =>This Inner Loop Header: Depth=1
	s_delay_alu instid0(VALU_DEP_1) | instskip(SKIP_2) | instid1(VALU_DEP_3)
	v_dual_mov_b32 v10, v2 :: v_dual_mov_b32 v67, v11
	v_add_nc_u32_e32 v62, -8, v62
	v_dual_mov_b32 v69, v11 :: v_dual_add_nc_u32 v66, 0x200, v3
	v_lshlrev_b64 v[81:82], 1, v[10:11]
	v_dual_mov_b32 v71, v11 :: v_dual_add_nc_u32 v68, 0x400, v3
	s_delay_alu instid0(VALU_DEP_4) | instskip(NEXT) | instid1(VALU_DEP_4)
	v_cmp_eq_u32_e32 vcc_lo, 0, v62
	v_lshlrev_b64 v[66:67], 1, v[66:67]
	v_dual_mov_b32 v73, v11 :: v_dual_add_nc_u32 v70, 0x600, v3
	s_add_i32 s7, s7, 16
	v_lshlrev_b64 v[68:69], 1, v[68:69]
	s_or_b32 s6, vcc_lo, s6
	v_add_co_u32 v81, vcc_lo, v6, v81
	v_dual_mov_b32 v75, v11 :: v_dual_add_nc_u32 v72, 0x800, v3
	v_add_co_ci_u32_e32 v82, vcc_lo, v63, v82, vcc_lo
	v_lshlrev_b64 v[70:71], 1, v[70:71]
	v_add_co_u32 v66, vcc_lo, v6, v66
	v_dual_mov_b32 v65, s7 :: v_dual_add_nc_u32 v74, 0xa00, v3
	v_add_co_ci_u32_e32 v67, vcc_lo, v63, v67, vcc_lo
	v_lshlrev_b64 v[72:73], 1, v[72:73]
	;; [unrolled: 4-line block ×3, first 2 shown]
	v_add_co_u32 v70, vcc_lo, v6, v70
	v_dual_mov_b32 v80, v11 :: v_dual_add_nc_u32 v79, 0xe00, v3
	v_dual_mov_b32 v10, v3 :: v_dual_add_nc_u32 v3, 0x1000, v3
	v_add_co_ci_u32_e32 v71, vcc_lo, v63, v71, vcc_lo
	v_lshlrev_b64 v[77:78], 1, v[77:78]
	v_add_co_u32 v72, vcc_lo, v6, v72
	ds_load_u16 v1, v64
	ds_load_u16 v87, v64 offset:512
	ds_load_u16 v88, v64 offset:1024
	;; [unrolled: 1-line block ×7, first 2 shown]
	v_add_co_ci_u32_e32 v73, vcc_lo, v63, v73, vcc_lo
	v_lshlrev_b64 v[79:80], 1, v[79:80]
	v_add_co_u32 v74, vcc_lo, v6, v74
	v_lshlrev_b64 v[83:84], 1, v[10:11]
	v_add_nc_u32_e32 v10, 0x200, v2
	v_add_co_ci_u32_e32 v75, vcc_lo, v63, v75, vcc_lo
	v_add_co_u32 v77, vcc_lo, v6, v77
	v_add_co_ci_u32_e32 v78, vcc_lo, v63, v78, vcc_lo
	v_add_co_u32 v79, vcc_lo, v6, v79
	v_lshlrev_b64 v[85:86], 1, v[10:11]
	v_add_nc_u32_e32 v10, 0x400, v2
	v_add_co_ci_u32_e32 v80, vcc_lo, v63, v80, vcc_lo
	v_add_co_u32 v83, vcc_lo, v6, v83
	ds_load_u16 v94, v64 offset:4096
	ds_load_u16 v95, v64 offset:4608
	;; [unrolled: 1-line block ×8, first 2 shown]
	v_add_co_ci_u32_e32 v84, vcc_lo, v63, v84, vcc_lo
	s_waitcnt lgkmcnt(15)
	global_store_b16 v[81:82], v1, off
	v_lshlrev_b64 v[81:82], 1, v[10:11]
	v_add_nc_u32_e32 v10, 0x600, v2
	v_add_co_u32 v85, vcc_lo, v6, v85
	v_add_co_ci_u32_e32 v86, vcc_lo, v63, v86, vcc_lo
	s_waitcnt lgkmcnt(14)
	global_store_b16 v[83:84], v87, off
	v_lshlrev_b64 v[83:84], 1, v[10:11]
	v_add_nc_u32_e32 v10, 0x800, v2
	s_waitcnt lgkmcnt(13)
	global_store_b16 v[85:86], v88, off
	s_waitcnt lgkmcnt(12)
	global_store_b16 v[66:67], v89, off
	v_add_co_u32 v66, vcc_lo, v6, v81
	v_add_co_ci_u32_e32 v67, vcc_lo, v63, v82, vcc_lo
	v_lshlrev_b64 v[81:82], 1, v[10:11]
	v_add_nc_u32_e32 v10, 0xa00, v2
	v_add_co_u32 v83, vcc_lo, v6, v83
	v_add_co_ci_u32_e32 v84, vcc_lo, v63, v84, vcc_lo
	s_waitcnt lgkmcnt(11)
	global_store_b16 v[66:67], v90, off
	s_waitcnt lgkmcnt(10)
	global_store_b16 v[68:69], v91, off
	v_lshlrev_b64 v[66:67], 1, v[10:11]
	v_add_nc_u32_e32 v10, 0xc00, v2
	v_add_co_u32 v68, vcc_lo, v6, v81
	s_waitcnt lgkmcnt(9)
	global_store_b16 v[83:84], v92, off
	s_waitcnt lgkmcnt(8)
	global_store_b16 v[70:71], v93, off
	v_add_co_ci_u32_e32 v69, vcc_lo, v63, v82, vcc_lo
	v_lshlrev_b64 v[70:71], 1, v[10:11]
	v_add_nc_u32_e32 v10, 0xe00, v2
	v_add_co_u32 v66, vcc_lo, v6, v66
	v_add_co_ci_u32_e32 v67, vcc_lo, v63, v67, vcc_lo
	s_waitcnt lgkmcnt(7)
	global_store_b16 v[68:69], v94, off
	s_waitcnt lgkmcnt(6)
	global_store_b16 v[72:73], v95, off
	v_lshlrev_b64 v[68:69], 1, v[10:11]
	v_add_nc_u32_e32 v64, 0x2000, v64
	s_waitcnt lgkmcnt(5)
	global_store_b16 v[66:67], v96, off
	v_add_co_u32 v66, vcc_lo, v6, v70
	v_add_nc_u32_e32 v2, 0x1000, v2
	v_add_co_ci_u32_e32 v67, vcc_lo, v63, v71, vcc_lo
	v_add_co_u32 v68, vcc_lo, v6, v68
	v_add_co_ci_u32_e32 v69, vcc_lo, v63, v69, vcc_lo
	s_waitcnt lgkmcnt(4)
	global_store_b16 v[74:75], v97, off
	s_waitcnt lgkmcnt(3)
	global_store_b16 v[66:67], v98, off
	;; [unrolled: 2-line block ×5, first 2 shown]
	s_and_not1_b32 exec_lo, exec_lo, s6
	s_cbranch_execnz .LBB677_179
; %bb.180:
	s_or_b32 exec_lo, exec_lo, s6
.LBB677_181:
	s_delay_alu instid0(SALU_CYCLE_1) | instskip(SKIP_3) | instid1(VALU_DEP_1)
	s_or_b32 exec_lo, exec_lo, s0
	v_and_b32_e32 v1, 7, v12
	s_mov_b32 s7, 0
	s_mov_b32 s6, exec_lo
	v_cmpx_ne_u32_e32 0, v1
	s_cbranch_execz .LBB677_184
; %bb.182:
	v_dual_mov_b32 v11, 0 :: v_dual_lshlrev_b32 v10, 1, v0
	s_delay_alu instid0(VALU_DEP_1)
	v_lshl_or_b32 v12, v65, 9, v10
	s_set_inst_prefetch_distance 0x1
	.p2align	6
.LBB677_183:                            ; =>This Inner Loop Header: Depth=1
	v_dual_mov_b32 v10, v2 :: v_dual_add_nc_u32 v1, -1, v1
	ds_load_u16 v62, v12
	ds_load_u16 v68, v12 offset:512
	v_add_nc_u32_e32 v2, 0x200, v2
	v_add_nc_u32_e32 v12, 0x400, v12
	v_lshlrev_b64 v[64:65], 1, v[10:11]
	v_dual_mov_b32 v10, v3 :: v_dual_add_nc_u32 v3, 0x200, v3
	v_cmp_eq_u32_e32 vcc_lo, 0, v1
	s_delay_alu instid0(VALU_DEP_2) | instskip(NEXT) | instid1(VALU_DEP_4)
	v_lshlrev_b64 v[66:67], 1, v[10:11]
	v_add_co_u32 v64, s0, v6, v64
	s_delay_alu instid0(VALU_DEP_1) | instskip(SKIP_1) | instid1(VALU_DEP_3)
	v_add_co_ci_u32_e64 v65, s0, v63, v65, s0
	s_or_b32 s7, vcc_lo, s7
	v_add_co_u32 v66, s0, v6, v66
	s_delay_alu instid0(VALU_DEP_1)
	v_add_co_ci_u32_e64 v67, s0, v63, v67, s0
	s_waitcnt lgkmcnt(1)
	global_store_b16 v[64:65], v62, off
	s_waitcnt lgkmcnt(0)
	global_store_b16 v[66:67], v68, off
	s_and_not1_b32 exec_lo, exec_lo, s7
	s_cbranch_execnz .LBB677_183
.LBB677_184:
	s_set_inst_prefetch_distance 0x2
	s_or_b32 exec_lo, exec_lo, s6
	v_add_nc_u32_e32 v1, 1, v4
	s_delay_alu instid0(VALU_DEP_1) | instskip(NEXT) | instid1(VALU_DEP_1)
	v_and_b32_e32 v2, 0x1fffffe, v1
	v_cmp_ne_u32_e32 vcc_lo, v1, v2
	v_lshl_or_b32 v1, v2, 8, v0
	s_or_not1_b32 s0, vcc_lo, exec_lo
.LBB677_185:
	s_or_b32 exec_lo, exec_lo, s5
	s_delay_alu instid0(SALU_CYCLE_1) | instskip(SKIP_1) | instid1(SALU_CYCLE_1)
	s_and_not1_b32 s3, s3, exec_lo
	s_and_b32 s0, s0, exec_lo
	s_or_b32 s3, s3, s0
.LBB677_186:
	s_or_b32 exec_lo, exec_lo, s4
	s_delay_alu instid0(VALU_DEP_2) | instid1(SALU_CYCLE_1)
	s_and_b32 exec_lo, exec_lo, s3
	s_cbranch_execz .LBB677_189
; %bb.187:
	v_dual_mov_b32 v2, 0 :: v_dual_lshlrev_b32 v3, 1, v1
	s_mov_b32 s3, 0
	.p2align	6
.LBB677_188:                            ; =>This Inner Loop Header: Depth=1
	ds_load_u16 v4, v3
	v_lshlrev_b64 v[10:11], 1, v[1:2]
	v_add_nc_u32_e32 v1, 0x100, v1
	v_add_nc_u32_e32 v3, 0x200, v3
	s_delay_alu instid0(VALU_DEP_2) | instskip(NEXT) | instid1(VALU_DEP_4)
	v_cmp_ge_u32_e32 vcc_lo, v1, v5
	v_add_co_u32 v10, s0, v6, v10
	s_delay_alu instid0(VALU_DEP_1)
	v_add_co_ci_u32_e64 v11, s0, v63, v11, s0
	s_or_b32 s3, vcc_lo, s3
	s_waitcnt lgkmcnt(0)
	global_store_b16 v[10:11], v4, off
	s_and_not1_b32 exec_lo, exec_lo, s3
	s_cbranch_execnz .LBB677_188
.LBB677_189:
	s_or_b32 exec_lo, exec_lo, s1
.LBB677_190:
	s_cmpk_lg_i32 s26, 0xf00
	v_cndmask_b32_e64 v2, 0, 1, s27
	s_cselect_b32 s0, -1, 0
	v_mad_i32_i24 v6, v0, -15, s26
	s_and_b32 s0, s0, s17
	s_and_b32 s1, s2, s27
	v_cndmask_b32_e64 v1, 0, 1, s0
	s_mul_hi_u32 s0, s26, 0x88888889
	v_sub_nc_u32_e32 v3, v5, v2
	s_lshr_b32 s0, s0, 3
	v_cndmask_b32_e64 v10, v76, 0, s1
	v_cmp_eq_u32_e32 vcc_lo, s0, v0
	v_cmp_ne_u32_e64 s0, 0, v6
	s_mov_b32 s16, -1
	s_waitcnt_vscnt null, 0x0
	s_barrier
	s_and_b32 vcc_lo, vcc_lo, s17
	v_add_nc_u32_e32 v4, v3, v1
	v_cndmask_b32_e64 v3, 1, v10, s0
	v_cmp_ne_u32_e64 s0, 1, v6
	buffer_gl0_inv
	v_cndmask_b32_e64 v11, 1, v26, s0
	v_cmp_ne_u32_e64 s0, 14, v6
	s_delay_alu instid0(VALU_DEP_2) | instskip(NEXT) | instid1(VALU_DEP_2)
	v_cndmask_b32_e32 v26, v26, v11, vcc_lo
	v_cndmask_b32_e64 v12, 1, v61, s0
	v_cmp_ne_u32_e64 s0, 2, v6
	s_delay_alu instid0(VALU_DEP_2) | instskip(NEXT) | instid1(VALU_DEP_2)
	v_cndmask_b32_e32 v61, v61, v12, vcc_lo
	v_cndmask_b32_e64 v62, 1, v23, s0
	v_cmp_ne_u32_e64 s0, 3, v6
	s_delay_alu instid0(VALU_DEP_2) | instskip(NEXT) | instid1(VALU_DEP_2)
	v_dual_cndmask_b32 v64, v10, v3 :: v_dual_cndmask_b32 v23, v23, v62
	v_cndmask_b32_e64 v63, 1, v24, s0
	v_cmp_ne_u32_e64 s0, 4, v6
	s_delay_alu instid0(VALU_DEP_3) | instskip(NEXT) | instid1(VALU_DEP_4)
	v_cmp_ne_u32_e64 s14, 0, v64
	v_cmp_ne_u32_e64 s12, 0, v23
	s_delay_alu instid0(VALU_DEP_3) | instskip(SKIP_1) | instid1(VALU_DEP_1)
	v_cndmask_b32_e64 v3, 1, v21, s0
	v_cmp_ne_u32_e64 s0, 5, v6
	v_cndmask_b32_e64 v10, 1, v22, s0
	v_cmp_eq_u32_e64 s0, 0, v64
	s_delay_alu instid0(VALU_DEP_2) | instskip(NEXT) | instid1(VALU_DEP_2)
	v_cndmask_b32_e32 v22, v22, v10, vcc_lo
	v_cndmask_b32_e64 v11, 1, 2, s0
	v_cmp_eq_u32_e64 s0, 0, v26
	s_delay_alu instid0(VALU_DEP_3) | instskip(NEXT) | instid1(VALU_DEP_2)
	v_cmp_ne_u32_e64 s9, 0, v22
	v_cndmask_b32_e64 v12, 1, 2, s0
	v_cmp_ne_u32_e64 s0, 6, v6
	s_delay_alu instid0(VALU_DEP_2) | instskip(NEXT) | instid1(VALU_DEP_2)
	v_and_b32_e32 v11, v12, v11
	v_cndmask_b32_e64 v62, 1, v19, s0
	v_cmp_eq_u32_e64 s0, 0, v23
	s_delay_alu instid0(VALU_DEP_2) | instskip(NEXT) | instid1(VALU_DEP_2)
	v_dual_cndmask_b32 v24, v24, v63 :: v_dual_cndmask_b32 v19, v19, v62
	v_cndmask_b32_e64 v12, 1, 2, s0
	v_cmp_ne_u32_e64 s0, 7, v6
	s_delay_alu instid0(VALU_DEP_3) | instskip(NEXT) | instid1(VALU_DEP_4)
	v_cmp_ne_u32_e64 s11, 0, v24
	v_cmp_ne_u32_e64 s8, 0, v19
	s_delay_alu instid0(VALU_DEP_4) | instskip(NEXT) | instid1(VALU_DEP_4)
	v_and_b32_e32 v11, v11, v12
	v_cndmask_b32_e64 v63, 1, v20, s0
	v_cmp_ne_u32_e64 s0, 8, v6
	v_cmp_ne_u32_e64 s13, 0, v26
	s_delay_alu instid0(VALU_DEP_2) | instskip(SKIP_1) | instid1(VALU_DEP_2)
	v_cndmask_b32_e64 v65, 1, v17, s0
	v_cmp_eq_u32_e64 s0, 0, v24
	v_dual_cndmask_b32 v20, v20, v63 :: v_dual_cndmask_b32 v17, v17, v65
	s_delay_alu instid0(VALU_DEP_2) | instskip(SKIP_2) | instid1(VALU_DEP_4)
	v_cndmask_b32_e64 v12, 1, 2, s0
	v_cndmask_b32_e32 v21, v21, v3, vcc_lo
	v_cmp_ne_u32_e64 s0, 9, v6
	v_cmp_ne_u32_e64 s7, 0, v20
	;; [unrolled: 1-line block ×3, first 2 shown]
	v_and_b32_e32 v10, v11, v12
	v_cmp_ne_u32_e64 s10, 0, v21
	v_cndmask_b32_e64 v3, 1, v18, s0
	v_cmp_eq_u32_e64 s0, 0, v21
	s_delay_alu instid0(VALU_DEP_2) | instskip(NEXT) | instid1(VALU_DEP_2)
	v_cndmask_b32_e32 v18, v18, v3, vcc_lo
	v_cndmask_b32_e64 v11, 1, 2, s0
	v_cmp_ne_u32_e64 s0, 10, v6
	s_delay_alu instid0(VALU_DEP_1) | instskip(SKIP_1) | instid1(VALU_DEP_2)
	v_cndmask_b32_e64 v12, 1, v15, s0
	v_cmp_ne_u32_e64 s0, 12, v6
	v_cndmask_b32_e32 v15, v15, v12, vcc_lo
	s_delay_alu instid0(VALU_DEP_2) | instskip(SKIP_2) | instid1(VALU_DEP_4)
	v_cndmask_b32_e64 v66, 1, v13, s0
	v_cmp_eq_u32_e64 s0, 0, v22
	v_and_b32_e32 v10, v10, v11
	v_cmp_ne_u32_e64 s4, 0, v15
	s_delay_alu instid0(VALU_DEP_4) | instskip(NEXT) | instid1(VALU_DEP_4)
	v_cndmask_b32_e32 v13, v13, v66, vcc_lo
	v_cndmask_b32_e64 v11, 1, 2, s0
	v_cmp_ne_u32_e64 s0, 13, v6
	s_delay_alu instid0(VALU_DEP_3) | instskip(NEXT) | instid1(VALU_DEP_3)
	v_cmp_ne_u32_e64 s2, 0, v13
	v_and_b32_e32 v10, v10, v11
	s_delay_alu instid0(VALU_DEP_3) | instskip(SKIP_1) | instid1(VALU_DEP_2)
	v_cndmask_b32_e64 v62, 1, v14, s0
	v_cmp_eq_u32_e64 s0, 0, v19
	v_cndmask_b32_e32 v14, v14, v62, vcc_lo
	s_delay_alu instid0(VALU_DEP_2) | instskip(SKIP_1) | instid1(VALU_DEP_3)
	v_cndmask_b32_e64 v11, 1, 2, s0
	v_cmp_ne_u32_e64 s0, 11, v6
	v_cmp_ne_u32_e64 s1, 0, v14
	s_delay_alu instid0(VALU_DEP_3) | instskip(NEXT) | instid1(VALU_DEP_3)
	v_and_b32_e32 v10, v10, v11
	v_cndmask_b32_e64 v6, 1, v16, s0
	v_cmp_eq_u32_e64 s0, 0, v20
	s_delay_alu instid0(VALU_DEP_1) | instskip(NEXT) | instid1(VALU_DEP_3)
	v_cndmask_b32_e64 v11, 1, 2, s0
	v_cndmask_b32_e32 v16, v16, v6, vcc_lo
	v_cmp_eq_u32_e32 vcc_lo, 0, v17
	v_cmp_ne_u32_e64 s0, 0, v61
	s_delay_alu instid0(VALU_DEP_4) | instskip(NEXT) | instid1(VALU_DEP_4)
	v_and_b32_e32 v3, v10, v11
	v_cmp_ne_u32_e64 s3, 0, v16
	v_cndmask_b32_e64 v6, 1, 2, vcc_lo
	v_add_co_u32 v10, vcc_lo, s28, v59
	v_add_co_ci_u32_e32 v11, vcc_lo, s29, v60, vcc_lo
	s_delay_alu instid0(VALU_DEP_3)
	v_and_b32_e32 v3, v3, v6
	v_cmp_eq_u32_e32 vcc_lo, 0, v18
	v_cmp_ne_u32_e64 s5, 0, v18
	v_cndmask_b32_e64 v6, 1, 2, vcc_lo
	v_add_co_u32 v10, vcc_lo, v10, v8
	v_add_co_ci_u32_e32 v11, vcc_lo, v11, v9, vcc_lo
	v_lshlrev_b32_e32 v8, 1, v2
	v_cmp_eq_u32_e32 vcc_lo, 0, v15
	v_and_b32_e32 v3, v3, v6
	v_cndmask_b32_e64 v6, 1, 2, vcc_lo
	s_delay_alu instid0(VALU_DEP_4) | instskip(SKIP_2) | instid1(VALU_DEP_4)
	v_add_co_u32 v8, vcc_lo, v8, v10
	v_add_co_ci_u32_e32 v9, vcc_lo, 0, v11, vcc_lo
	v_cmp_eq_u32_e32 vcc_lo, 0, v16
	v_and_b32_e32 v59, v3, v6
	v_add_nc_u32_e32 v3, v7, v2
	v_cndmask_b32_e64 v60, 1, 2, vcc_lo
	v_add_co_u32 v6, vcc_lo, v8, -2
	v_add_co_ci_u32_e32 v12, vcc_lo, -1, v9, vcc_lo
	v_cmp_eq_u32_e32 vcc_lo, 0, v13
	s_delay_alu instid0(VALU_DEP_4) | instskip(SKIP_2) | instid1(VALU_DEP_2)
	v_and_b32_e32 v8, v59, v60
	v_cndmask_b32_e64 v9, 1, 2, vcc_lo
	v_cmp_eq_u32_e32 vcc_lo, 0, v14
	v_and_b32_e32 v8, v8, v9
	v_cndmask_b32_e64 v9, 1, 2, vcc_lo
	v_cmp_eq_u32_e32 vcc_lo, 0, v61
	s_delay_alu instid0(VALU_DEP_2) | instskip(SKIP_2) | instid1(VALU_DEP_2)
	v_and_b32_e32 v8, v8, v9
	v_cndmask_b32_e64 v9, 1, 2, vcc_lo
	v_cmp_gt_u32_e32 vcc_lo, 0x100, v4
	v_and_b32_e32 v8, v8, v9
	s_delay_alu instid0(VALU_DEP_1)
	v_cmp_gt_i16_e64 s15, 2, v8
	s_cbranch_vccnz .LBB677_194
; %bb.191:
	s_and_b32 vcc_lo, exec_lo, s16
	s_cbranch_vccnz .LBB677_200
.LBB677_192:
	v_cmp_eq_u32_e32 vcc_lo, 0xff, v0
	s_and_b32 s0, vcc_lo, s17
	s_delay_alu instid0(SALU_CYCLE_1)
	s_and_saveexec_b32 s1, s0
	s_cbranch_execnz .LBB677_221
.LBB677_193:
	s_nop 0
	s_sendmsg sendmsg(MSG_DEALLOC_VGPRS)
	s_endpgm
.LBB677_194:
	s_delay_alu instid0(VALU_DEP_1)
	s_and_saveexec_b32 s16, s15
	s_cbranch_execz .LBB677_199
; %bb.195:
	s_mov_b32 s18, 0
	s_mov_b32 s15, exec_lo
	v_cmpx_ne_u16_e32 1, v8
	s_xor_b32 s15, exec_lo, s15
	s_cbranch_execnz .LBB677_291
; %bb.196:
	s_and_not1_saveexec_b32 s15, s15
	s_cbranch_execnz .LBB677_307
.LBB677_197:
	s_or_b32 exec_lo, exec_lo, s15
	s_delay_alu instid0(SALU_CYCLE_1)
	s_and_b32 exec_lo, exec_lo, s18
	s_cbranch_execz .LBB677_199
.LBB677_198:
	v_sub_nc_u32_e32 v13, v29, v3
	v_mov_b32_e32 v14, 0
	s_delay_alu instid0(VALU_DEP_1) | instskip(NEXT) | instid1(VALU_DEP_1)
	v_lshlrev_b64 v[13:14], 1, v[13:14]
	v_add_co_u32 v13, vcc_lo, v6, v13
	s_delay_alu instid0(VALU_DEP_2)
	v_add_co_ci_u32_e32 v14, vcc_lo, v12, v14, vcc_lo
	global_store_b16 v[13:14], v30, off
.LBB677_199:
	s_or_b32 exec_lo, exec_lo, s16
	s_branch .LBB677_192
.LBB677_200:
	s_mov_b32 s15, exec_lo
	v_cmpx_gt_i16_e32 2, v8
	s_cbranch_execz .LBB677_205
; %bb.201:
	s_mov_b32 s18, 0
	s_mov_b32 s16, exec_lo
	v_cmpx_ne_u16_e32 1, v8
	s_xor_b32 s16, exec_lo, s16
	s_cbranch_execnz .LBB677_308
; %bb.202:
	s_and_not1_saveexec_b32 s0, s16
	s_cbranch_execnz .LBB677_324
.LBB677_203:
	s_or_b32 exec_lo, exec_lo, s0
	s_delay_alu instid0(SALU_CYCLE_1)
	s_and_b32 exec_lo, exec_lo, s18
	s_cbranch_execz .LBB677_205
.LBB677_204:
	v_sub_nc_u32_e32 v3, v29, v3
	s_delay_alu instid0(VALU_DEP_1)
	v_lshlrev_b32_e32 v3, 1, v3
	ds_store_b16 v3, v30
.LBB677_205:
	s_or_b32 exec_lo, exec_lo, s15
	s_delay_alu instid0(SALU_CYCLE_1)
	s_mov_b32 s1, exec_lo
	s_waitcnt lgkmcnt(0)
	s_waitcnt_vscnt null, 0x0
	s_barrier
	buffer_gl0_inv
	v_cmpx_lt_u32_e64 v0, v4
	s_cbranch_execz .LBB677_220
; %bb.206:
	v_add_nc_u32_e32 v8, v5, v1
	s_mov_b32 s0, -1
	s_mov_b32 s3, exec_lo
	s_delay_alu instid0(VALU_DEP_1) | instskip(NEXT) | instid1(VALU_DEP_1)
	v_xad_u32 v1, v0, -1, v8
	v_sub_nc_u32_e32 v3, v1, v2
	v_mov_b32_e32 v1, v0
	s_delay_alu instid0(VALU_DEP_2)
	v_cmp_gt_u32_e64 s2, 0x1b00, v3
	v_cmpx_lt_u32_e32 0x1aff, v3
	s_cbranch_execz .LBB677_217
; %bb.207:
	v_sub_nc_u32_e32 v1, v0, v8
	s_delay_alu instid0(VALU_DEP_1) | instskip(NEXT) | instid1(VALU_DEP_1)
	v_add_nc_u32_e32 v1, v1, v2
	v_or_b32_e32 v1, 0xff, v1
	s_delay_alu instid0(VALU_DEP_1)
	v_cmp_ge_u32_e32 vcc_lo, v1, v0
	v_mov_b32_e32 v1, v0
	s_and_saveexec_b32 s4, vcc_lo
	s_cbranch_execz .LBB677_216
; %bb.208:
	v_lshrrev_b32_e32 v13, 8, v3
	v_or_b32_e32 v1, 0x100, v0
	v_lshlrev_b32_e32 v14, 1, v0
	s_delay_alu instid0(VALU_DEP_3) | instskip(NEXT) | instid1(VALU_DEP_1)
	v_add_nc_u32_e32 v2, -1, v13
	v_lshrrev_b32_e32 v3, 1, v2
	v_mov_b32_e32 v18, 0
	v_cmp_lt_u32_e32 vcc_lo, 13, v2
	s_delay_alu instid0(VALU_DEP_3)
	v_add_nc_u32_e32 v15, 1, v3
	v_dual_mov_b32 v3, v1 :: v_dual_mov_b32 v2, v0
	s_and_saveexec_b32 s0, vcc_lo
	s_cbranch_execz .LBB677_212
; %bb.209:
	s_delay_alu instid0(VALU_DEP_2)
	v_dual_mov_b32 v3, v1 :: v_dual_and_b32 v16, -8, v15
	v_mov_b32_e32 v9, 0
	v_dual_mov_b32 v17, v14 :: v_dual_mov_b32 v2, v0
	s_mov_b32 s5, 0
	s_mov_b32 s6, 0
.LBB677_210:                            ; =>This Inner Loop Header: Depth=1
	s_delay_alu instid0(VALU_DEP_1) | instskip(SKIP_2) | instid1(VALU_DEP_3)
	v_dual_mov_b32 v8, v2 :: v_dual_add_nc_u32 v19, 0x200, v3
	v_add_nc_u32_e32 v16, -8, v16
	v_dual_mov_b32 v20, v9 :: v_dual_add_nc_u32 v21, 0x400, v3
	v_lshlrev_b64 v[37:38], 1, v[8:9]
	v_dual_mov_b32 v22, v9 :: v_dual_add_nc_u32 v23, 0x600, v3
	s_delay_alu instid0(VALU_DEP_4) | instskip(NEXT) | instid1(VALU_DEP_4)
	v_cmp_eq_u32_e32 vcc_lo, 0, v16
	v_lshlrev_b64 v[19:20], 1, v[19:20]
	v_dual_mov_b32 v24, v9 :: v_dual_add_nc_u32 v29, 0x800, v3
	s_add_i32 s6, s6, 16
	v_lshlrev_b64 v[21:22], 1, v[21:22]
	s_or_b32 s5, vcc_lo, s5
	v_add_co_u32 v37, vcc_lo, v6, v37
	v_dual_mov_b32 v30, v9 :: v_dual_add_nc_u32 v31, 0xa00, v3
	v_add_co_ci_u32_e32 v38, vcc_lo, v12, v38, vcc_lo
	v_lshlrev_b64 v[23:24], 1, v[23:24]
	v_add_co_u32 v19, vcc_lo, v6, v19
	v_dual_mov_b32 v32, v9 :: v_dual_add_nc_u32 v33, 0xc00, v3
	v_add_co_ci_u32_e32 v20, vcc_lo, v12, v20, vcc_lo
	v_lshlrev_b64 v[29:30], 1, v[29:30]
	;; [unrolled: 4-line block ×3, first 2 shown]
	v_add_co_u32 v23, vcc_lo, v6, v23
	v_mov_b32_e32 v36, v9
	v_mov_b32_e32 v8, v3
	v_add_co_ci_u32_e32 v24, vcc_lo, v12, v24, vcc_lo
	v_lshlrev_b64 v[33:34], 1, v[33:34]
	v_add_co_u32 v29, vcc_lo, v6, v29
	ds_load_u16 v1, v17
	ds_load_u16 v26, v17 offset:512
	ds_load_u16 v43, v17 offset:1024
	;; [unrolled: 1-line block ×7, first 2 shown]
	v_add_co_ci_u32_e32 v30, vcc_lo, v12, v30, vcc_lo
	ds_load_u16 v49, v17 offset:4096
	ds_load_u16 v50, v17 offset:4608
	;; [unrolled: 1-line block ×8, first 2 shown]
	v_add_nc_u32_e32 v17, 0x2000, v17
	v_lshlrev_b64 v[35:36], 1, v[35:36]
	v_add_co_u32 v31, vcc_lo, v6, v31
	v_lshlrev_b64 v[39:40], 1, v[8:9]
	v_add_nc_u32_e32 v8, 0x200, v2
	v_add_co_ci_u32_e32 v32, vcc_lo, v12, v32, vcc_lo
	v_add_co_u32 v33, vcc_lo, v6, v33
	v_add_co_ci_u32_e32 v34, vcc_lo, v12, v34, vcc_lo
	v_add_co_u32 v35, vcc_lo, v6, v35
	v_lshlrev_b64 v[41:42], 1, v[8:9]
	v_add_nc_u32_e32 v8, 0x400, v2
	v_add_co_ci_u32_e32 v36, vcc_lo, v12, v36, vcc_lo
	v_add_co_u32 v39, vcc_lo, v6, v39
	v_add_co_ci_u32_e32 v40, vcc_lo, v12, v40, vcc_lo
	s_waitcnt lgkmcnt(15)
	global_store_b16 v[37:38], v1, off
	v_lshlrev_b64 v[37:38], 1, v[8:9]
	v_add_nc_u32_e32 v8, 0x600, v2
	v_add_co_u32 v41, vcc_lo, v6, v41
	v_add_co_ci_u32_e32 v42, vcc_lo, v12, v42, vcc_lo
	s_waitcnt lgkmcnt(14)
	global_store_b16 v[39:40], v26, off
	v_lshlrev_b64 v[39:40], 1, v[8:9]
	v_add_nc_u32_e32 v8, 0x800, v2
	s_waitcnt lgkmcnt(13)
	global_store_b16 v[41:42], v43, off
	s_waitcnt lgkmcnt(12)
	global_store_b16 v[19:20], v44, off
	v_add_co_u32 v19, vcc_lo, v6, v37
	v_add_co_ci_u32_e32 v20, vcc_lo, v12, v38, vcc_lo
	v_lshlrev_b64 v[37:38], 1, v[8:9]
	v_add_nc_u32_e32 v8, 0xa00, v2
	v_add_co_u32 v39, vcc_lo, v6, v39
	v_add_co_ci_u32_e32 v40, vcc_lo, v12, v40, vcc_lo
	s_waitcnt lgkmcnt(11)
	global_store_b16 v[19:20], v45, off
	s_waitcnt lgkmcnt(10)
	global_store_b16 v[21:22], v46, off
	v_lshlrev_b64 v[19:20], 1, v[8:9]
	v_add_nc_u32_e32 v8, 0xc00, v2
	v_add_co_u32 v21, vcc_lo, v6, v37
	s_waitcnt lgkmcnt(9)
	global_store_b16 v[39:40], v47, off
	s_waitcnt lgkmcnt(8)
	global_store_b16 v[23:24], v48, off
	v_add_co_ci_u32_e32 v22, vcc_lo, v12, v38, vcc_lo
	v_lshlrev_b64 v[23:24], 1, v[8:9]
	v_add_nc_u32_e32 v8, 0xe00, v2
	v_add_co_u32 v19, vcc_lo, v6, v19
	v_add_co_ci_u32_e32 v20, vcc_lo, v12, v20, vcc_lo
	s_waitcnt lgkmcnt(7)
	global_store_b16 v[21:22], v49, off
	s_waitcnt lgkmcnt(6)
	global_store_b16 v[29:30], v50, off
	v_lshlrev_b64 v[21:22], 1, v[8:9]
	v_dual_mov_b32 v18, s6 :: v_dual_add_nc_u32 v3, 0x1000, v3
	s_waitcnt lgkmcnt(5)
	global_store_b16 v[19:20], v51, off
	v_add_co_u32 v19, vcc_lo, v6, v23
	v_add_nc_u32_e32 v2, 0x1000, v2
	v_add_co_ci_u32_e32 v20, vcc_lo, v12, v24, vcc_lo
	v_add_co_u32 v21, vcc_lo, v6, v21
	v_add_co_ci_u32_e32 v22, vcc_lo, v12, v22, vcc_lo
	s_waitcnt lgkmcnt(4)
	global_store_b16 v[31:32], v52, off
	s_waitcnt lgkmcnt(3)
	global_store_b16 v[19:20], v53, off
	;; [unrolled: 2-line block ×5, first 2 shown]
	s_and_not1_b32 exec_lo, exec_lo, s5
	s_cbranch_execnz .LBB677_210
; %bb.211:
	s_or_b32 exec_lo, exec_lo, s5
.LBB677_212:
	s_delay_alu instid0(SALU_CYCLE_1) | instskip(SKIP_3) | instid1(VALU_DEP_1)
	s_or_b32 exec_lo, exec_lo, s0
	v_and_b32_e32 v1, 7, v15
	s_mov_b32 s6, 0
	s_mov_b32 s5, exec_lo
	v_cmpx_ne_u32_e32 0, v1
	s_cbranch_execz .LBB677_215
; %bb.213:
	v_lshl_or_b32 v14, v18, 9, v14
	v_mov_b32_e32 v9, 0
	s_set_inst_prefetch_distance 0x1
	.p2align	6
.LBB677_214:                            ; =>This Inner Loop Header: Depth=1
	v_dual_mov_b32 v8, v2 :: v_dual_add_nc_u32 v1, -1, v1
	ds_load_u16 v19, v14
	ds_load_u16 v20, v14 offset:512
	v_add_nc_u32_e32 v2, 0x200, v2
	v_add_nc_u32_e32 v14, 0x400, v14
	v_lshlrev_b64 v[15:16], 1, v[8:9]
	v_dual_mov_b32 v8, v3 :: v_dual_add_nc_u32 v3, 0x200, v3
	v_cmp_eq_u32_e32 vcc_lo, 0, v1
	s_delay_alu instid0(VALU_DEP_2) | instskip(NEXT) | instid1(VALU_DEP_4)
	v_lshlrev_b64 v[17:18], 1, v[8:9]
	v_add_co_u32 v15, s0, v6, v15
	s_delay_alu instid0(VALU_DEP_1) | instskip(SKIP_1) | instid1(VALU_DEP_3)
	v_add_co_ci_u32_e64 v16, s0, v12, v16, s0
	s_or_b32 s6, vcc_lo, s6
	v_add_co_u32 v17, s0, v6, v17
	s_delay_alu instid0(VALU_DEP_1)
	v_add_co_ci_u32_e64 v18, s0, v12, v18, s0
	s_waitcnt lgkmcnt(1)
	global_store_b16 v[15:16], v19, off
	s_waitcnt lgkmcnt(0)
	global_store_b16 v[17:18], v20, off
	s_and_not1_b32 exec_lo, exec_lo, s6
	s_cbranch_execnz .LBB677_214
.LBB677_215:
	s_set_inst_prefetch_distance 0x2
	s_or_b32 exec_lo, exec_lo, s5
	v_add_nc_u32_e32 v1, 1, v13
	s_delay_alu instid0(VALU_DEP_1) | instskip(NEXT) | instid1(VALU_DEP_1)
	v_and_b32_e32 v2, 0x1fffffe, v1
	v_cmp_ne_u32_e32 vcc_lo, v1, v2
	v_lshl_or_b32 v1, v2, 8, v0
	s_or_not1_b32 s0, vcc_lo, exec_lo
.LBB677_216:
	s_or_b32 exec_lo, exec_lo, s4
	s_delay_alu instid0(SALU_CYCLE_1) | instskip(SKIP_1) | instid1(SALU_CYCLE_1)
	s_and_not1_b32 s2, s2, exec_lo
	s_and_b32 s0, s0, exec_lo
	s_or_b32 s2, s2, s0
.LBB677_217:
	s_or_b32 exec_lo, exec_lo, s3
	s_delay_alu instid0(VALU_DEP_2) | instid1(SALU_CYCLE_1)
	s_and_b32 exec_lo, exec_lo, s2
	s_cbranch_execz .LBB677_220
; %bb.218:
	v_dual_mov_b32 v2, 0 :: v_dual_lshlrev_b32 v3, 1, v1
	s_mov_b32 s2, 0
	.p2align	6
.LBB677_219:                            ; =>This Inner Loop Header: Depth=1
	ds_load_u16 v13, v3
	v_lshlrev_b64 v[8:9], 1, v[1:2]
	v_add_nc_u32_e32 v1, 0x100, v1
	v_add_nc_u32_e32 v3, 0x200, v3
	s_delay_alu instid0(VALU_DEP_2) | instskip(NEXT) | instid1(VALU_DEP_4)
	v_cmp_ge_u32_e32 vcc_lo, v1, v4
	v_add_co_u32 v8, s0, v6, v8
	s_delay_alu instid0(VALU_DEP_1)
	v_add_co_ci_u32_e64 v9, s0, v12, v9, s0
	s_or_b32 s2, vcc_lo, s2
	s_waitcnt lgkmcnt(0)
	global_store_b16 v[8:9], v13, off
	s_and_not1_b32 exec_lo, exec_lo, s2
	s_cbranch_execnz .LBB677_219
.LBB677_220:
	s_or_b32 exec_lo, exec_lo, s1
	v_cmp_eq_u32_e32 vcc_lo, 0xff, v0
	s_and_b32 s0, vcc_lo, s17
	s_delay_alu instid0(SALU_CYCLE_1)
	s_and_saveexec_b32 s1, s0
	s_cbranch_execz .LBB677_193
.LBB677_221:
	v_add_co_u32 v0, s0, v5, v7
	s_delay_alu instid0(VALU_DEP_1) | instskip(SKIP_1) | instid1(VALU_DEP_3)
	v_add_co_ci_u32_e64 v1, null, 0, 0, s0
	v_mov_b32_e32 v6, 0
	v_add_co_u32 v0, vcc_lo, v0, v27
	s_delay_alu instid0(VALU_DEP_3)
	v_add_co_ci_u32_e32 v1, vcc_lo, v1, v28, vcc_lo
	s_cmpk_lg_i32 s26, 0xf00
	global_store_b64 v6, v[0:1], s[30:31]
	s_cbranch_scc1 .LBB677_193
; %bb.222:
	v_lshlrev_b64 v[0:1], 1, v[5:6]
	s_delay_alu instid0(VALU_DEP_1) | instskip(NEXT) | instid1(VALU_DEP_2)
	v_add_co_u32 v0, vcc_lo, v10, v0
	v_add_co_ci_u32_e32 v1, vcc_lo, v11, v1, vcc_lo
	global_store_b16 v[0:1], v25, off offset:-2
	s_nop 0
	s_sendmsg sendmsg(MSG_DEALLOC_VGPRS)
	s_endpgm
.LBB677_223:
                                        ; implicit-def: $sgpr4
                                        ; implicit-def: $vgpr61
                                        ; implicit-def: $vgpr14
                                        ; implicit-def: $vgpr13
                                        ; implicit-def: $vgpr16
                                        ; implicit-def: $vgpr15
                                        ; implicit-def: $vgpr18
                                        ; implicit-def: $vgpr17
                                        ; implicit-def: $vgpr20
                                        ; implicit-def: $vgpr19
                                        ; implicit-def: $vgpr22
                                        ; implicit-def: $vgpr21
                                        ; implicit-def: $vgpr24
                                        ; implicit-def: $vgpr23
                                        ; implicit-def: $vgpr26
	s_cbranch_execz .LBB677_113
.LBB677_224:
	v_mad_u32_u24 v13, v0, 15, 14
	s_waitcnt lgkmcnt(0)
	v_dual_mov_b32 v14, 0 :: v_dual_lshlrev_b32 v7, 1, v0
	v_lshrrev_b32_e32 v6, 16, v12
	v_mul_u32_u24_e32 v5, 15, v0
	v_mov_b32_e32 v61, 0
	s_mov_b32 s4, exec_lo
	ds_store_b16 v7, v6
	v_cmpx_gt_u64_e64 s[0:1], v[13:14]
	s_cbranch_execz .LBB677_226
; %bb.225:
	v_bfe_i32 v8, v12, 0, 16
	v_bfe_i32 v6, v6, 0, 16
	s_delay_alu instid0(VALU_DEP_2) | instskip(NEXT) | instid1(VALU_DEP_2)
	v_mul_i32_i24_e32 v8, 0x6667, v8
	v_mul_i32_i24_e32 v6, 0x6667, v6
	s_delay_alu instid0(VALU_DEP_2) | instskip(SKIP_1) | instid1(VALU_DEP_3)
	v_lshrrev_b32_e32 v9, 31, v8
	v_ashrrev_i32_e32 v8, 18, v8
	v_lshrrev_b32_e32 v13, 31, v6
	v_ashrrev_i32_e32 v6, 18, v6
	s_delay_alu instid0(VALU_DEP_3) | instskip(NEXT) | instid1(VALU_DEP_2)
	v_add_nc_u16 v8, v8, v9
	v_add_nc_u16 v6, v6, v13
	s_delay_alu instid0(VALU_DEP_1)
	v_cmp_ne_u16_e32 vcc_lo, v8, v6
	v_cndmask_b32_e64 v61, 0, 1, vcc_lo
.LBB677_226:
	s_or_b32 exec_lo, exec_lo, s4
	v_add_nc_u32_e32 v13, 13, v5
	s_mov_b32 s4, exec_lo
	s_delay_alu instid0(VALU_DEP_1)
	v_cmpx_gt_u64_e64 s[0:1], v[13:14]
	s_cbranch_execz .LBB677_228
; %bb.227:
	v_ashrrev_i32_e32 v6, 16, v11
	v_bfe_i32 v8, v12, 0, 16
	s_delay_alu instid0(VALU_DEP_2) | instskip(NEXT) | instid1(VALU_DEP_2)
	v_mul_i32_i24_e32 v6, 0x6667, v6
	v_mul_i32_i24_e32 v8, 0x6667, v8
	s_delay_alu instid0(VALU_DEP_2) | instskip(SKIP_1) | instid1(VALU_DEP_3)
	v_lshrrev_b32_e32 v9, 31, v6
	v_ashrrev_i32_e32 v6, 18, v6
	v_lshrrev_b32_e32 v13, 31, v8
	v_ashrrev_i32_e32 v8, 18, v8
	s_delay_alu instid0(VALU_DEP_3) | instskip(NEXT) | instid1(VALU_DEP_2)
	v_add_nc_u16 v6, v6, v9
	v_add_nc_u16 v8, v8, v13
	s_delay_alu instid0(VALU_DEP_1)
	v_cmp_ne_u16_e32 vcc_lo, v6, v8
	v_cndmask_b32_e64 v14, 0, 1, vcc_lo
.LBB677_228:
	s_or_b32 exec_lo, exec_lo, s4
	v_dual_mov_b32 v16, 0 :: v_dual_add_nc_u32 v15, 12, v5
	v_mov_b32_e32 v13, 0
	s_mov_b32 s4, exec_lo
	s_delay_alu instid0(VALU_DEP_2)
	v_cmpx_gt_u64_e64 s[0:1], v[15:16]
	s_cbranch_execz .LBB677_230
; %bb.229:
	v_bfe_i32 v6, v11, 0, 16
	v_ashrrev_i32_e32 v8, 16, v11
	s_delay_alu instid0(VALU_DEP_2) | instskip(NEXT) | instid1(VALU_DEP_2)
	v_mul_i32_i24_e32 v6, 0x6667, v6
	v_mul_i32_i24_e32 v8, 0x6667, v8
	s_delay_alu instid0(VALU_DEP_2) | instskip(SKIP_1) | instid1(VALU_DEP_3)
	v_lshrrev_b32_e32 v9, 31, v6
	v_ashrrev_i32_e32 v6, 18, v6
	v_lshrrev_b32_e32 v13, 31, v8
	v_ashrrev_i32_e32 v8, 18, v8
	s_delay_alu instid0(VALU_DEP_3) | instskip(NEXT) | instid1(VALU_DEP_2)
	v_add_nc_u16 v6, v6, v9
	v_add_nc_u16 v8, v8, v13
	s_delay_alu instid0(VALU_DEP_1)
	v_cmp_ne_u16_e32 vcc_lo, v6, v8
	v_cndmask_b32_e64 v13, 0, 1, vcc_lo
.LBB677_230:
	s_or_b32 exec_lo, exec_lo, s4
	v_add_nc_u32_e32 v15, 11, v5
	s_mov_b32 s4, exec_lo
	s_delay_alu instid0(VALU_DEP_1)
	v_cmpx_gt_u64_e64 s[0:1], v[15:16]
	s_cbranch_execz .LBB677_232
; %bb.231:
	v_ashrrev_i32_e32 v6, 16, v10
	v_bfe_i32 v8, v11, 0, 16
	s_delay_alu instid0(VALU_DEP_2) | instskip(NEXT) | instid1(VALU_DEP_2)
	v_mul_i32_i24_e32 v6, 0x6667, v6
	v_mul_i32_i24_e32 v8, 0x6667, v8
	s_delay_alu instid0(VALU_DEP_2) | instskip(SKIP_1) | instid1(VALU_DEP_3)
	v_lshrrev_b32_e32 v9, 31, v6
	v_ashrrev_i32_e32 v6, 18, v6
	v_lshrrev_b32_e32 v15, 31, v8
	v_ashrrev_i32_e32 v8, 18, v8
	s_delay_alu instid0(VALU_DEP_3) | instskip(NEXT) | instid1(VALU_DEP_2)
	v_add_nc_u16 v6, v6, v9
	v_add_nc_u16 v8, v8, v15
	s_delay_alu instid0(VALU_DEP_1)
	v_cmp_ne_u16_e32 vcc_lo, v6, v8
	v_cndmask_b32_e64 v16, 0, 1, vcc_lo
.LBB677_232:
	s_or_b32 exec_lo, exec_lo, s4
	v_dual_mov_b32 v18, 0 :: v_dual_add_nc_u32 v17, 10, v5
	v_mov_b32_e32 v15, 0
	s_mov_b32 s4, exec_lo
	s_delay_alu instid0(VALU_DEP_2)
	v_cmpx_gt_u64_e64 s[0:1], v[17:18]
	s_cbranch_execz .LBB677_234
; %bb.233:
	v_bfe_i32 v6, v10, 0, 16
	v_ashrrev_i32_e32 v8, 16, v10
	s_delay_alu instid0(VALU_DEP_2) | instskip(NEXT) | instid1(VALU_DEP_2)
	v_mul_i32_i24_e32 v6, 0x6667, v6
	v_mul_i32_i24_e32 v8, 0x6667, v8
	s_delay_alu instid0(VALU_DEP_2) | instskip(SKIP_1) | instid1(VALU_DEP_3)
	v_lshrrev_b32_e32 v9, 31, v6
	v_ashrrev_i32_e32 v6, 18, v6
	v_lshrrev_b32_e32 v15, 31, v8
	v_ashrrev_i32_e32 v8, 18, v8
	s_delay_alu instid0(VALU_DEP_3) | instskip(NEXT) | instid1(VALU_DEP_2)
	v_add_nc_u16 v6, v6, v9
	v_add_nc_u16 v8, v8, v15
	s_delay_alu instid0(VALU_DEP_1)
	v_cmp_ne_u16_e32 vcc_lo, v6, v8
	v_cndmask_b32_e64 v15, 0, 1, vcc_lo
.LBB677_234:
	;; [unrolled: 49-line block ×6, first 2 shown]
	s_or_b32 exec_lo, exec_lo, s4
	v_add_nc_u32_e32 v25, 1, v5
	s_mov_b32 s4, exec_lo
	s_delay_alu instid0(VALU_DEP_1)
	v_cmpx_gt_u64_e64 s[0:1], v[25:26]
	s_cbranch_execz .LBB677_252
; %bb.251:
	v_bfe_i32 v6, v62, 0, 16
	v_bfe_i32 v8, v1, 0, 16
	s_delay_alu instid0(VALU_DEP_2) | instskip(NEXT) | instid1(VALU_DEP_2)
	v_mul_i32_i24_e32 v6, 0x6667, v6
	v_mul_i32_i24_e32 v8, 0x6667, v8
	s_delay_alu instid0(VALU_DEP_2) | instskip(SKIP_1) | instid1(VALU_DEP_3)
	v_lshrrev_b32_e32 v9, 31, v6
	v_ashrrev_i32_e32 v6, 18, v6
	v_lshrrev_b32_e32 v25, 31, v8
	v_ashrrev_i32_e32 v8, 18, v8
	s_delay_alu instid0(VALU_DEP_3) | instskip(NEXT) | instid1(VALU_DEP_2)
	v_add_nc_u16 v6, v6, v9
	v_add_nc_u16 v8, v8, v25
	s_delay_alu instid0(VALU_DEP_1)
	v_cmp_ne_u16_e32 vcc_lo, v6, v8
	v_cndmask_b32_e64 v26, 0, 1, vcc_lo
.LBB677_252:
	s_or_b32 exec_lo, exec_lo, s4
	s_waitcnt lgkmcnt(0)
	s_barrier
	buffer_gl0_inv
                                        ; implicit-def: $sgpr4
	s_and_saveexec_b32 s5, s3
	s_cbranch_execz .LBB677_256
; %bb.253:
	v_mov_b32_e32 v6, 0
	s_delay_alu instid0(VALU_DEP_1)
	v_cmp_gt_u64_e32 vcc_lo, s[0:1], v[5:6]
	s_mov_b32 s1, 0
	s_and_saveexec_b32 s0, vcc_lo
	s_cbranch_execz .LBB677_255
; %bb.254:
	v_add_nc_u32_e32 v5, -2, v7
	v_bfe_i32 v6, v62, 0, 16
	ds_load_i16 v5, v5
	v_mul_i32_i24_e32 v6, 0x6667, v6
	s_delay_alu instid0(VALU_DEP_1) | instskip(SKIP_1) | instid1(VALU_DEP_1)
	v_lshrrev_b32_e32 v7, 31, v6
	v_ashrrev_i32_e32 v6, 18, v6
	v_add_nc_u16 v6, v6, v7
	s_waitcnt lgkmcnt(0)
	v_mul_i32_i24_e32 v5, 0x6667, v5
	s_delay_alu instid0(VALU_DEP_1) | instskip(SKIP_1) | instid1(VALU_DEP_1)
	v_lshrrev_b32_e32 v8, 31, v5
	v_ashrrev_i32_e32 v5, 18, v5
	v_add_nc_u16 v5, v5, v8
	s_delay_alu instid0(VALU_DEP_1)
	v_cmp_ne_u16_e32 vcc_lo, v5, v6
	s_and_b32 s1, vcc_lo, exec_lo
.LBB677_255:
	s_or_b32 exec_lo, exec_lo, s0
	s_delay_alu instid0(SALU_CYCLE_1)
	s_and_b32 s4, s1, exec_lo
	s_or_b32 s15, s15, exec_lo
.LBB677_256:
	s_or_b32 exec_lo, exec_lo, s5
	s_mov_b32 s0, 1
	s_delay_alu instid0(SALU_CYCLE_1)
	v_mov_b32_e32 v76, s0
	s_and_saveexec_b32 s0, s15
	s_cbranch_execnz .LBB677_115
	s_branch .LBB677_116
.LBB677_257:
	s_and_saveexec_b32 s19, s15
	s_cbranch_execnz .LBB677_325
; %bb.258:
	s_or_b32 exec_lo, exec_lo, s19
	s_and_saveexec_b32 s19, s14
	s_cbranch_execnz .LBB677_326
.LBB677_259:
	s_or_b32 exec_lo, exec_lo, s19
	s_and_saveexec_b32 s19, s13
	s_cbranch_execnz .LBB677_327
.LBB677_260:
	s_or_b32 exec_lo, exec_lo, s19
	s_and_saveexec_b32 s19, s12
	s_cbranch_execnz .LBB677_328
.LBB677_261:
	s_or_b32 exec_lo, exec_lo, s19
	s_and_saveexec_b32 s19, s11
	s_cbranch_execnz .LBB677_329
.LBB677_262:
	s_or_b32 exec_lo, exec_lo, s19
	s_and_saveexec_b32 s19, s10
	s_cbranch_execnz .LBB677_330
.LBB677_263:
	s_or_b32 exec_lo, exec_lo, s19
	s_and_saveexec_b32 s19, s8
	s_cbranch_execnz .LBB677_331
.LBB677_264:
	s_or_b32 exec_lo, exec_lo, s19
	s_and_saveexec_b32 s19, s6
	s_cbranch_execnz .LBB677_332
.LBB677_265:
	s_or_b32 exec_lo, exec_lo, s19
	s_and_saveexec_b32 s19, s9
	s_cbranch_execnz .LBB677_333
.LBB677_266:
	s_or_b32 exec_lo, exec_lo, s19
	s_and_saveexec_b32 s19, s7
	s_cbranch_execnz .LBB677_334
.LBB677_267:
	s_or_b32 exec_lo, exec_lo, s19
	s_and_saveexec_b32 s19, s5
	s_cbranch_execnz .LBB677_335
.LBB677_268:
	s_or_b32 exec_lo, exec_lo, s19
	s_and_saveexec_b32 s19, s4
	s_cbranch_execnz .LBB677_336
.LBB677_269:
	s_or_b32 exec_lo, exec_lo, s19
	s_and_saveexec_b32 s19, s3
	s_cbranch_execnz .LBB677_337
.LBB677_270:
	s_or_b32 exec_lo, exec_lo, s19
	s_and_saveexec_b32 s19, s1
	s_cbranch_execz .LBB677_272
.LBB677_271:
	v_sub_nc_u32_e32 v65, v37, v7
	v_mov_b32_e32 v66, 0
	s_delay_alu instid0(VALU_DEP_1) | instskip(NEXT) | instid1(VALU_DEP_1)
	v_lshlrev_b64 v[65:66], 1, v[65:66]
	v_add_co_u32 v65, vcc_lo, v6, v65
	s_delay_alu instid0(VALU_DEP_2)
	v_add_co_ci_u32_e32 v66, vcc_lo, v63, v66, vcc_lo
	global_store_b16 v[65:66], v12, off
.LBB677_272:
	s_or_b32 exec_lo, exec_lo, s19
	s_delay_alu instid0(SALU_CYCLE_1)
	s_and_b32 s19, s0, exec_lo
	s_and_not1_saveexec_b32 s16, s16
	s_cbranch_execz .LBB677_165
.LBB677_273:
	v_sub_nc_u32_e32 v65, v55, v7
	v_mov_b32_e32 v66, 0
	s_or_b32 s19, s19, exec_lo
	s_delay_alu instid0(VALU_DEP_1) | instskip(SKIP_1) | instid1(VALU_DEP_1)
	v_lshlrev_b64 v[67:68], 1, v[65:66]
	v_sub_nc_u32_e32 v65, v51, v7
	v_lshlrev_b64 v[69:70], 1, v[65:66]
	v_sub_nc_u32_e32 v65, v49, v7
	s_delay_alu instid0(VALU_DEP_4) | instskip(SKIP_1) | instid1(VALU_DEP_3)
	v_add_co_u32 v67, vcc_lo, v6, v67
	v_add_co_ci_u32_e32 v68, vcc_lo, v63, v68, vcc_lo
	v_lshlrev_b64 v[71:72], 1, v[65:66]
	v_sub_nc_u32_e32 v65, v47, v7
	v_add_co_u32 v69, vcc_lo, v6, v69
	v_add_co_ci_u32_e32 v70, vcc_lo, v63, v70, vcc_lo
	global_store_b16 v[67:68], v62, off
	v_lshlrev_b64 v[67:68], 1, v[65:66]
	v_sub_nc_u32_e32 v65, v35, v7
	global_store_b16 v[69:70], v1, off
	v_add_co_u32 v69, vcc_lo, v6, v71
	v_add_co_ci_u32_e32 v70, vcc_lo, v63, v72, vcc_lo
	v_lshlrev_b64 v[71:72], 1, v[65:66]
	v_sub_nc_u32_e32 v65, v33, v7
	v_add_co_u32 v67, vcc_lo, v6, v67
	v_add_co_ci_u32_e32 v68, vcc_lo, v63, v68, vcc_lo
	s_delay_alu instid0(VALU_DEP_3) | instskip(SKIP_3) | instid1(VALU_DEP_3)
	v_lshlrev_b64 v[73:74], 1, v[65:66]
	v_sub_nc_u32_e32 v65, v31, v7
	v_add_co_u32 v71, vcc_lo, v6, v71
	v_add_co_ci_u32_e32 v72, vcc_lo, v63, v72, vcc_lo
	v_lshlrev_b64 v[77:78], 1, v[65:66]
	v_sub_nc_u32_e32 v65, v53, v7
	v_add_co_u32 v73, vcc_lo, v6, v73
	v_add_co_ci_u32_e32 v74, vcc_lo, v63, v74, vcc_lo
	s_clause 0x3
	global_store_d16_hi_b16 v[69:70], v1, off
	global_store_b16 v[67:68], v2, off
	global_store_d16_hi_b16 v[71:72], v2, off
	global_store_b16 v[73:74], v3, off
	v_lshlrev_b64 v[67:68], 1, v[65:66]
	v_sub_nc_u32_e32 v65, v57, v7
	v_add_co_u32 v69, vcc_lo, v6, v77
	v_add_co_ci_u32_e32 v70, vcc_lo, v63, v78, vcc_lo
	s_delay_alu instid0(VALU_DEP_3) | instskip(SKIP_3) | instid1(VALU_DEP_3)
	v_lshlrev_b64 v[71:72], 1, v[65:66]
	v_sub_nc_u32_e32 v65, v45, v7
	v_add_co_u32 v67, vcc_lo, v6, v67
	v_add_co_ci_u32_e32 v68, vcc_lo, v63, v68, vcc_lo
	v_lshlrev_b64 v[73:74], 1, v[65:66]
	v_sub_nc_u32_e32 v65, v43, v7
	v_add_co_u32 v71, vcc_lo, v6, v71
	v_add_co_ci_u32_e32 v72, vcc_lo, v63, v72, vcc_lo
	s_delay_alu instid0(VALU_DEP_3)
	v_lshlrev_b64 v[77:78], 1, v[65:66]
	v_sub_nc_u32_e32 v65, v39, v7
	v_add_co_u32 v73, vcc_lo, v6, v73
	v_add_co_ci_u32_e32 v74, vcc_lo, v63, v74, vcc_lo
	s_clause 0x3
	global_store_d16_hi_b16 v[69:70], v3, off
	global_store_b16 v[67:68], v4, off
	global_store_d16_hi_b16 v[71:72], v4, off
	global_store_b16 v[73:74], v10, off
	v_lshlrev_b64 v[67:68], 1, v[65:66]
	v_sub_nc_u32_e32 v65, v41, v7
	v_add_co_u32 v69, vcc_lo, v6, v77
	v_add_co_ci_u32_e32 v70, vcc_lo, v63, v78, vcc_lo
	s_delay_alu instid0(VALU_DEP_3) | instskip(SKIP_3) | instid1(VALU_DEP_3)
	v_lshlrev_b64 v[71:72], 1, v[65:66]
	v_sub_nc_u32_e32 v65, v37, v7
	v_add_co_u32 v67, vcc_lo, v6, v67
	v_add_co_ci_u32_e32 v68, vcc_lo, v63, v68, vcc_lo
	v_lshlrev_b64 v[65:66], 1, v[65:66]
	v_add_co_u32 v71, vcc_lo, v6, v71
	v_add_co_ci_u32_e32 v72, vcc_lo, v63, v72, vcc_lo
	s_clause 0x2
	global_store_d16_hi_b16 v[69:70], v10, off
	global_store_b16 v[67:68], v11, off
	global_store_d16_hi_b16 v[71:72], v11, off
	v_add_co_u32 v65, vcc_lo, v6, v65
	v_add_co_ci_u32_e32 v66, vcc_lo, v63, v66, vcc_lo
	global_store_b16 v[65:66], v12, off
	s_or_b32 exec_lo, exec_lo, s16
	s_delay_alu instid0(SALU_CYCLE_1)
	s_and_b32 exec_lo, exec_lo, s19
	s_cbranch_execnz .LBB677_166
	s_branch .LBB677_167
.LBB677_274:
	s_and_saveexec_b32 s19, s15
	s_cbranch_execnz .LBB677_338
; %bb.275:
	s_or_b32 exec_lo, exec_lo, s19
	s_and_saveexec_b32 s15, s14
	s_cbranch_execnz .LBB677_339
.LBB677_276:
	s_or_b32 exec_lo, exec_lo, s15
	s_and_saveexec_b32 s14, s13
	s_cbranch_execnz .LBB677_340
.LBB677_277:
	s_or_b32 exec_lo, exec_lo, s14
	s_and_saveexec_b32 s13, s12
	s_cbranch_execnz .LBB677_341
.LBB677_278:
	s_or_b32 exec_lo, exec_lo, s13
	s_and_saveexec_b32 s12, s11
	s_cbranch_execnz .LBB677_342
.LBB677_279:
	s_or_b32 exec_lo, exec_lo, s12
	s_and_saveexec_b32 s11, s10
	s_cbranch_execnz .LBB677_343
.LBB677_280:
	s_or_b32 exec_lo, exec_lo, s11
	s_and_saveexec_b32 s10, s8
	s_cbranch_execnz .LBB677_344
.LBB677_281:
	s_or_b32 exec_lo, exec_lo, s10
	s_and_saveexec_b32 s8, s6
	s_cbranch_execnz .LBB677_345
.LBB677_282:
	s_or_b32 exec_lo, exec_lo, s8
	s_and_saveexec_b32 s6, s9
	s_cbranch_execnz .LBB677_346
.LBB677_283:
	s_or_b32 exec_lo, exec_lo, s6
	s_and_saveexec_b32 s6, s7
	s_cbranch_execnz .LBB677_347
.LBB677_284:
	s_or_b32 exec_lo, exec_lo, s6
	s_and_saveexec_b32 s6, s5
	s_cbranch_execnz .LBB677_348
.LBB677_285:
	s_or_b32 exec_lo, exec_lo, s6
	s_and_saveexec_b32 s5, s4
	s_cbranch_execnz .LBB677_349
.LBB677_286:
	s_or_b32 exec_lo, exec_lo, s5
	s_and_saveexec_b32 s4, s3
	s_cbranch_execnz .LBB677_350
.LBB677_287:
	s_or_b32 exec_lo, exec_lo, s4
	s_and_saveexec_b32 s3, s1
	s_cbranch_execz .LBB677_289
.LBB677_288:
	v_sub_nc_u32_e32 v1, v37, v7
	s_delay_alu instid0(VALU_DEP_1)
	v_lshlrev_b32_e32 v1, 1, v1
	ds_store_b16 v1, v12
.LBB677_289:
	s_or_b32 exec_lo, exec_lo, s3
	s_delay_alu instid0(SALU_CYCLE_1)
	s_and_b32 s19, s0, exec_lo
                                        ; implicit-def: $vgpr62
                                        ; implicit-def: $vgpr1
	s_and_not1_saveexec_b32 s0, s18
	s_cbranch_execz .LBB677_172
.LBB677_290:
	v_sub_nc_u32_e32 v64, v55, v7
	v_sub_nc_u32_e32 v65, v51, v7
	;; [unrolled: 1-line block ×4, first 2 shown]
	s_or_b32 s19, s19, exec_lo
	v_lshlrev_b32_e32 v64, 1, v64
	v_lshlrev_b32_e32 v65, 1, v65
	;; [unrolled: 1-line block ×4, first 2 shown]
	ds_store_b16 v64, v62
	ds_store_b16 v65, v1
	ds_store_b16_d16_hi v66, v1
	v_sub_nc_u32_e32 v1, v35, v7
	v_sub_nc_u32_e32 v62, v33, v7
	;; [unrolled: 1-line block ×5, first 2 shown]
	v_lshlrev_b32_e32 v1, 1, v1
	ds_store_b16 v67, v2
	v_lshlrev_b32_e32 v62, 1, v62
	v_lshlrev_b32_e32 v64, 1, v64
	;; [unrolled: 1-line block ×3, first 2 shown]
	ds_store_b16_d16_hi v1, v2
	v_lshlrev_b32_e32 v1, 1, v66
	v_sub_nc_u32_e32 v2, v45, v7
	ds_store_b16 v62, v3
	ds_store_b16_d16_hi v64, v3
	ds_store_b16 v65, v4
	v_sub_nc_u32_e32 v62, v37, v7
	v_sub_nc_u32_e32 v3, v39, v7
	ds_store_b16_d16_hi v1, v4
	v_sub_nc_u32_e32 v1, v43, v7
	v_lshlrev_b32_e32 v2, 1, v2
	v_sub_nc_u32_e32 v4, v41, v7
	v_lshlrev_b32_e32 v3, 1, v3
	s_delay_alu instid0(VALU_DEP_4)
	v_lshlrev_b32_e32 v1, 1, v1
	ds_store_b16 v2, v10
	v_lshlrev_b32_e32 v2, 1, v62
	v_lshlrev_b32_e32 v4, 1, v4
	ds_store_b16_d16_hi v1, v10
	ds_store_b16 v3, v11
	ds_store_b16_d16_hi v4, v11
	ds_store_b16 v2, v12
	s_or_b32 exec_lo, exec_lo, s0
	s_delay_alu instid0(SALU_CYCLE_1)
	s_and_b32 exec_lo, exec_lo, s19
	s_cbranch_execnz .LBB677_173
	s_branch .LBB677_174
.LBB677_291:
	s_and_saveexec_b32 s18, s14
	s_cbranch_execnz .LBB677_351
; %bb.292:
	s_or_b32 exec_lo, exec_lo, s18
	s_and_saveexec_b32 s18, s13
	s_cbranch_execnz .LBB677_352
.LBB677_293:
	s_or_b32 exec_lo, exec_lo, s18
	s_and_saveexec_b32 s18, s12
	s_cbranch_execnz .LBB677_353
.LBB677_294:
	s_or_b32 exec_lo, exec_lo, s18
	s_and_saveexec_b32 s18, s11
	s_cbranch_execnz .LBB677_354
.LBB677_295:
	s_or_b32 exec_lo, exec_lo, s18
	s_and_saveexec_b32 s18, s10
	s_cbranch_execnz .LBB677_355
.LBB677_296:
	s_or_b32 exec_lo, exec_lo, s18
	s_and_saveexec_b32 s18, s9
	s_cbranch_execnz .LBB677_356
.LBB677_297:
	s_or_b32 exec_lo, exec_lo, s18
	s_and_saveexec_b32 s18, s8
	s_cbranch_execnz .LBB677_357
.LBB677_298:
	s_or_b32 exec_lo, exec_lo, s18
	s_and_saveexec_b32 s18, s7
	s_cbranch_execnz .LBB677_358
.LBB677_299:
	s_or_b32 exec_lo, exec_lo, s18
	s_and_saveexec_b32 s18, s6
	s_cbranch_execnz .LBB677_359
.LBB677_300:
	s_or_b32 exec_lo, exec_lo, s18
	s_and_saveexec_b32 s18, s5
	s_cbranch_execnz .LBB677_360
.LBB677_301:
	s_or_b32 exec_lo, exec_lo, s18
	s_and_saveexec_b32 s18, s4
	s_cbranch_execnz .LBB677_361
.LBB677_302:
	s_or_b32 exec_lo, exec_lo, s18
	s_and_saveexec_b32 s18, s3
	s_cbranch_execnz .LBB677_362
.LBB677_303:
	s_or_b32 exec_lo, exec_lo, s18
	s_and_saveexec_b32 s18, s2
	s_cbranch_execnz .LBB677_363
.LBB677_304:
	s_or_b32 exec_lo, exec_lo, s18
	s_and_saveexec_b32 s18, s1
	s_cbranch_execz .LBB677_306
.LBB677_305:
	v_sub_nc_u32_e32 v13, v37, v3
	v_mov_b32_e32 v14, 0
	s_delay_alu instid0(VALU_DEP_1) | instskip(NEXT) | instid1(VALU_DEP_1)
	v_lshlrev_b64 v[13:14], 1, v[13:14]
	v_add_co_u32 v13, vcc_lo, v6, v13
	s_delay_alu instid0(VALU_DEP_2)
	v_add_co_ci_u32_e32 v14, vcc_lo, v12, v14, vcc_lo
	global_store_b16 v[13:14], v38, off
.LBB677_306:
	s_or_b32 exec_lo, exec_lo, s18
	s_delay_alu instid0(SALU_CYCLE_1)
	s_and_b32 s18, s0, exec_lo
	s_and_not1_saveexec_b32 s15, s15
	s_cbranch_execz .LBB677_197
.LBB677_307:
	v_sub_nc_u32_e32 v13, v55, v3
	v_mov_b32_e32 v14, 0
	s_or_b32 s18, s18, exec_lo
	s_delay_alu instid0(VALU_DEP_1) | instskip(SKIP_1) | instid1(VALU_DEP_1)
	v_lshlrev_b64 v[15:16], 1, v[13:14]
	v_sub_nc_u32_e32 v13, v51, v3
	v_lshlrev_b64 v[17:18], 1, v[13:14]
	v_sub_nc_u32_e32 v13, v49, v3
	s_delay_alu instid0(VALU_DEP_4) | instskip(SKIP_1) | instid1(VALU_DEP_3)
	v_add_co_u32 v15, vcc_lo, v6, v15
	v_add_co_ci_u32_e32 v16, vcc_lo, v12, v16, vcc_lo
	v_lshlrev_b64 v[19:20], 1, v[13:14]
	v_sub_nc_u32_e32 v13, v47, v3
	v_add_co_u32 v17, vcc_lo, v6, v17
	v_add_co_ci_u32_e32 v18, vcc_lo, v12, v18, vcc_lo
	global_store_b16 v[15:16], v56, off
	v_lshlrev_b64 v[15:16], 1, v[13:14]
	v_sub_nc_u32_e32 v13, v35, v3
	global_store_b16 v[17:18], v52, off
	v_add_co_u32 v17, vcc_lo, v6, v19
	v_add_co_ci_u32_e32 v18, vcc_lo, v12, v20, vcc_lo
	v_lshlrev_b64 v[19:20], 1, v[13:14]
	v_sub_nc_u32_e32 v13, v33, v3
	v_add_co_u32 v15, vcc_lo, v6, v15
	v_add_co_ci_u32_e32 v16, vcc_lo, v12, v16, vcc_lo
	s_delay_alu instid0(VALU_DEP_3) | instskip(SKIP_3) | instid1(VALU_DEP_3)
	v_lshlrev_b64 v[21:22], 1, v[13:14]
	v_sub_nc_u32_e32 v13, v31, v3
	v_add_co_u32 v19, vcc_lo, v6, v19
	v_add_co_ci_u32_e32 v20, vcc_lo, v12, v20, vcc_lo
	v_lshlrev_b64 v[23:24], 1, v[13:14]
	v_sub_nc_u32_e32 v13, v53, v3
	v_add_co_u32 v21, vcc_lo, v6, v21
	v_add_co_ci_u32_e32 v22, vcc_lo, v12, v22, vcc_lo
	s_clause 0x3
	global_store_b16 v[17:18], v50, off
	global_store_b16 v[15:16], v48, off
	;; [unrolled: 1-line block ×4, first 2 shown]
	v_lshlrev_b64 v[15:16], 1, v[13:14]
	v_sub_nc_u32_e32 v13, v57, v3
	v_add_co_u32 v17, vcc_lo, v6, v23
	v_add_co_ci_u32_e32 v18, vcc_lo, v12, v24, vcc_lo
	s_delay_alu instid0(VALU_DEP_3) | instskip(SKIP_3) | instid1(VALU_DEP_3)
	v_lshlrev_b64 v[19:20], 1, v[13:14]
	v_sub_nc_u32_e32 v13, v45, v3
	v_add_co_u32 v15, vcc_lo, v6, v15
	v_add_co_ci_u32_e32 v16, vcc_lo, v12, v16, vcc_lo
	v_lshlrev_b64 v[21:22], 1, v[13:14]
	v_sub_nc_u32_e32 v13, v43, v3
	v_add_co_u32 v19, vcc_lo, v6, v19
	v_add_co_ci_u32_e32 v20, vcc_lo, v12, v20, vcc_lo
	s_delay_alu instid0(VALU_DEP_3)
	v_lshlrev_b64 v[23:24], 1, v[13:14]
	v_sub_nc_u32_e32 v13, v39, v3
	v_add_co_u32 v21, vcc_lo, v6, v21
	v_add_co_ci_u32_e32 v22, vcc_lo, v12, v22, vcc_lo
	s_clause 0x3
	global_store_b16 v[17:18], v32, off
	global_store_b16 v[15:16], v54, off
	global_store_b16 v[19:20], v58, off
	global_store_b16 v[21:22], v46, off
	v_lshlrev_b64 v[15:16], 1, v[13:14]
	v_sub_nc_u32_e32 v13, v41, v3
	v_add_co_u32 v17, vcc_lo, v6, v23
	v_add_co_ci_u32_e32 v18, vcc_lo, v12, v24, vcc_lo
	s_delay_alu instid0(VALU_DEP_3) | instskip(SKIP_3) | instid1(VALU_DEP_3)
	v_lshlrev_b64 v[19:20], 1, v[13:14]
	v_sub_nc_u32_e32 v13, v37, v3
	v_add_co_u32 v15, vcc_lo, v6, v15
	v_add_co_ci_u32_e32 v16, vcc_lo, v12, v16, vcc_lo
	v_lshlrev_b64 v[13:14], 1, v[13:14]
	v_add_co_u32 v19, vcc_lo, v6, v19
	v_add_co_ci_u32_e32 v20, vcc_lo, v12, v20, vcc_lo
	s_clause 0x2
	global_store_b16 v[17:18], v44, off
	global_store_b16 v[15:16], v40, off
	;; [unrolled: 1-line block ×3, first 2 shown]
	v_add_co_u32 v13, vcc_lo, v6, v13
	v_add_co_ci_u32_e32 v14, vcc_lo, v12, v14, vcc_lo
	global_store_b16 v[13:14], v38, off
	s_or_b32 exec_lo, exec_lo, s15
	s_delay_alu instid0(SALU_CYCLE_1)
	s_and_b32 exec_lo, exec_lo, s18
	s_cbranch_execnz .LBB677_198
	s_branch .LBB677_199
.LBB677_308:
	s_and_saveexec_b32 s18, s14
	s_cbranch_execnz .LBB677_364
; %bb.309:
	s_or_b32 exec_lo, exec_lo, s18
	s_and_saveexec_b32 s14, s13
	s_cbranch_execnz .LBB677_365
.LBB677_310:
	s_or_b32 exec_lo, exec_lo, s14
	s_and_saveexec_b32 s13, s12
	s_cbranch_execnz .LBB677_366
.LBB677_311:
	s_or_b32 exec_lo, exec_lo, s13
	s_and_saveexec_b32 s12, s11
	s_cbranch_execnz .LBB677_367
.LBB677_312:
	s_or_b32 exec_lo, exec_lo, s12
	s_and_saveexec_b32 s11, s10
	s_cbranch_execnz .LBB677_368
.LBB677_313:
	s_or_b32 exec_lo, exec_lo, s11
	s_and_saveexec_b32 s10, s9
	s_cbranch_execnz .LBB677_369
.LBB677_314:
	s_or_b32 exec_lo, exec_lo, s10
	s_and_saveexec_b32 s9, s8
	s_cbranch_execnz .LBB677_370
.LBB677_315:
	s_or_b32 exec_lo, exec_lo, s9
	s_and_saveexec_b32 s8, s7
	s_cbranch_execnz .LBB677_371
.LBB677_316:
	s_or_b32 exec_lo, exec_lo, s8
	s_and_saveexec_b32 s7, s6
	s_cbranch_execnz .LBB677_372
.LBB677_317:
	s_or_b32 exec_lo, exec_lo, s7
	s_and_saveexec_b32 s6, s5
	s_cbranch_execnz .LBB677_373
.LBB677_318:
	s_or_b32 exec_lo, exec_lo, s6
	s_and_saveexec_b32 s5, s4
	s_cbranch_execnz .LBB677_374
.LBB677_319:
	s_or_b32 exec_lo, exec_lo, s5
	s_and_saveexec_b32 s4, s3
	s_cbranch_execnz .LBB677_375
.LBB677_320:
	s_or_b32 exec_lo, exec_lo, s4
	s_and_saveexec_b32 s3, s2
	s_cbranch_execnz .LBB677_376
.LBB677_321:
	s_or_b32 exec_lo, exec_lo, s3
	s_and_saveexec_b32 s2, s1
	s_cbranch_execz .LBB677_323
.LBB677_322:
	v_sub_nc_u32_e32 v8, v37, v3
	s_delay_alu instid0(VALU_DEP_1)
	v_lshlrev_b32_e32 v8, 1, v8
	ds_store_b16 v8, v38
.LBB677_323:
	s_or_b32 exec_lo, exec_lo, s2
	s_delay_alu instid0(SALU_CYCLE_1)
	s_and_b32 s18, s0, exec_lo
                                        ; implicit-def: $vgpr55_vgpr56
                                        ; implicit-def: $vgpr51_vgpr52
                                        ; implicit-def: $vgpr49_vgpr50
                                        ; implicit-def: $vgpr47_vgpr48
                                        ; implicit-def: $vgpr35_vgpr36
                                        ; implicit-def: $vgpr33_vgpr34
                                        ; implicit-def: $vgpr31_vgpr32
                                        ; implicit-def: $vgpr53_vgpr54
                                        ; implicit-def: $vgpr57_vgpr58
                                        ; implicit-def: $vgpr45_vgpr46
                                        ; implicit-def: $vgpr43_vgpr44
                                        ; implicit-def: $vgpr39_vgpr40
                                        ; implicit-def: $vgpr41_vgpr42
                                        ; implicit-def: $vgpr37_vgpr38
	s_and_not1_saveexec_b32 s0, s16
	s_cbranch_execz .LBB677_203
.LBB677_324:
	v_sub_nc_u32_e32 v8, v55, v3
	v_sub_nc_u32_e32 v9, v51, v3
	;; [unrolled: 1-line block ×5, first 2 shown]
	v_lshlrev_b32_e32 v8, 1, v8
	v_lshlrev_b32_e32 v9, 1, v9
	;; [unrolled: 1-line block ×4, first 2 shown]
	s_or_b32 s18, s18, exec_lo
	ds_store_b16 v8, v56
	ds_store_b16 v9, v52
	;; [unrolled: 1-line block ×3, first 2 shown]
	v_sub_nc_u32_e32 v8, v35, v3
	v_sub_nc_u32_e32 v9, v33, v3
	;; [unrolled: 1-line block ×3, first 2 shown]
	ds_store_b16 v14, v48
	v_sub_nc_u32_e32 v14, v53, v3
	v_lshlrev_b32_e32 v8, 1, v8
	v_lshlrev_b32_e32 v9, 1, v9
	;; [unrolled: 1-line block ×3, first 2 shown]
	s_delay_alu instid0(VALU_DEP_4)
	v_lshlrev_b32_e32 v14, 1, v14
	ds_store_b16 v8, v36
	v_lshlrev_b32_e32 v8, 1, v15
	ds_store_b16 v9, v34
	ds_store_b16 v13, v32
	;; [unrolled: 1-line block ×3, first 2 shown]
	v_sub_nc_u32_e32 v9, v45, v3
	v_sub_nc_u32_e32 v15, v37, v3
	;; [unrolled: 1-line block ×3, first 2 shown]
	ds_store_b16 v8, v58
	v_sub_nc_u32_e32 v8, v43, v3
	v_lshlrev_b32_e32 v9, 1, v9
	v_sub_nc_u32_e32 v14, v41, v3
	v_lshlrev_b32_e32 v13, 1, v13
	s_delay_alu instid0(VALU_DEP_4)
	v_lshlrev_b32_e32 v8, 1, v8
	ds_store_b16 v9, v46
	v_lshlrev_b32_e32 v9, 1, v15
	v_lshlrev_b32_e32 v14, 1, v14
	ds_store_b16 v8, v44
	ds_store_b16 v13, v40
	;; [unrolled: 1-line block ×4, first 2 shown]
	s_or_b32 exec_lo, exec_lo, s0
	s_delay_alu instid0(SALU_CYCLE_1)
	s_and_b32 exec_lo, exec_lo, s18
	s_cbranch_execnz .LBB677_204
	s_branch .LBB677_205
.LBB677_325:
	v_sub_nc_u32_e32 v65, v55, v7
	v_mov_b32_e32 v66, 0
	s_delay_alu instid0(VALU_DEP_1) | instskip(NEXT) | instid1(VALU_DEP_1)
	v_lshlrev_b64 v[65:66], 1, v[65:66]
	v_add_co_u32 v65, vcc_lo, v6, v65
	s_delay_alu instid0(VALU_DEP_2)
	v_add_co_ci_u32_e32 v66, vcc_lo, v63, v66, vcc_lo
	global_store_b16 v[65:66], v62, off
	s_or_b32 exec_lo, exec_lo, s19
	s_and_saveexec_b32 s19, s14
	s_cbranch_execz .LBB677_259
.LBB677_326:
	v_sub_nc_u32_e32 v65, v51, v7
	v_mov_b32_e32 v66, 0
	s_delay_alu instid0(VALU_DEP_1) | instskip(NEXT) | instid1(VALU_DEP_1)
	v_lshlrev_b64 v[65:66], 1, v[65:66]
	v_add_co_u32 v65, vcc_lo, v6, v65
	s_delay_alu instid0(VALU_DEP_2)
	v_add_co_ci_u32_e32 v66, vcc_lo, v63, v66, vcc_lo
	global_store_b16 v[65:66], v1, off
	s_or_b32 exec_lo, exec_lo, s19
	s_and_saveexec_b32 s19, s13
	s_cbranch_execz .LBB677_260
.LBB677_327:
	v_sub_nc_u32_e32 v65, v49, v7
	v_mov_b32_e32 v66, 0
	s_delay_alu instid0(VALU_DEP_1) | instskip(NEXT) | instid1(VALU_DEP_1)
	v_lshlrev_b64 v[65:66], 1, v[65:66]
	v_add_co_u32 v65, vcc_lo, v6, v65
	s_delay_alu instid0(VALU_DEP_2)
	v_add_co_ci_u32_e32 v66, vcc_lo, v63, v66, vcc_lo
	global_store_d16_hi_b16 v[65:66], v1, off
	s_or_b32 exec_lo, exec_lo, s19
	s_and_saveexec_b32 s19, s12
	s_cbranch_execz .LBB677_261
.LBB677_328:
	v_sub_nc_u32_e32 v65, v47, v7
	v_mov_b32_e32 v66, 0
	s_delay_alu instid0(VALU_DEP_1) | instskip(NEXT) | instid1(VALU_DEP_1)
	v_lshlrev_b64 v[65:66], 1, v[65:66]
	v_add_co_u32 v65, vcc_lo, v6, v65
	s_delay_alu instid0(VALU_DEP_2)
	v_add_co_ci_u32_e32 v66, vcc_lo, v63, v66, vcc_lo
	global_store_b16 v[65:66], v2, off
	s_or_b32 exec_lo, exec_lo, s19
	s_and_saveexec_b32 s19, s11
	s_cbranch_execz .LBB677_262
.LBB677_329:
	v_sub_nc_u32_e32 v65, v35, v7
	v_mov_b32_e32 v66, 0
	s_delay_alu instid0(VALU_DEP_1) | instskip(NEXT) | instid1(VALU_DEP_1)
	v_lshlrev_b64 v[65:66], 1, v[65:66]
	v_add_co_u32 v65, vcc_lo, v6, v65
	s_delay_alu instid0(VALU_DEP_2)
	v_add_co_ci_u32_e32 v66, vcc_lo, v63, v66, vcc_lo
	global_store_d16_hi_b16 v[65:66], v2, off
	s_or_b32 exec_lo, exec_lo, s19
	s_and_saveexec_b32 s19, s10
	s_cbranch_execz .LBB677_263
.LBB677_330:
	v_sub_nc_u32_e32 v65, v33, v7
	v_mov_b32_e32 v66, 0
	s_delay_alu instid0(VALU_DEP_1) | instskip(NEXT) | instid1(VALU_DEP_1)
	v_lshlrev_b64 v[65:66], 1, v[65:66]
	v_add_co_u32 v65, vcc_lo, v6, v65
	s_delay_alu instid0(VALU_DEP_2)
	v_add_co_ci_u32_e32 v66, vcc_lo, v63, v66, vcc_lo
	global_store_b16 v[65:66], v3, off
	s_or_b32 exec_lo, exec_lo, s19
	s_and_saveexec_b32 s19, s8
	s_cbranch_execz .LBB677_264
.LBB677_331:
	v_sub_nc_u32_e32 v65, v31, v7
	v_mov_b32_e32 v66, 0
	s_delay_alu instid0(VALU_DEP_1) | instskip(NEXT) | instid1(VALU_DEP_1)
	v_lshlrev_b64 v[65:66], 1, v[65:66]
	v_add_co_u32 v65, vcc_lo, v6, v65
	s_delay_alu instid0(VALU_DEP_2)
	v_add_co_ci_u32_e32 v66, vcc_lo, v63, v66, vcc_lo
	global_store_d16_hi_b16 v[65:66], v3, off
	s_or_b32 exec_lo, exec_lo, s19
	s_and_saveexec_b32 s19, s6
	s_cbranch_execz .LBB677_265
.LBB677_332:
	v_sub_nc_u32_e32 v65, v53, v7
	v_mov_b32_e32 v66, 0
	s_delay_alu instid0(VALU_DEP_1) | instskip(NEXT) | instid1(VALU_DEP_1)
	v_lshlrev_b64 v[65:66], 1, v[65:66]
	v_add_co_u32 v65, vcc_lo, v6, v65
	s_delay_alu instid0(VALU_DEP_2)
	v_add_co_ci_u32_e32 v66, vcc_lo, v63, v66, vcc_lo
	global_store_b16 v[65:66], v4, off
	s_or_b32 exec_lo, exec_lo, s19
	s_and_saveexec_b32 s19, s9
	s_cbranch_execz .LBB677_266
.LBB677_333:
	v_sub_nc_u32_e32 v65, v57, v7
	v_mov_b32_e32 v66, 0
	s_delay_alu instid0(VALU_DEP_1) | instskip(NEXT) | instid1(VALU_DEP_1)
	v_lshlrev_b64 v[65:66], 1, v[65:66]
	v_add_co_u32 v65, vcc_lo, v6, v65
	s_delay_alu instid0(VALU_DEP_2)
	v_add_co_ci_u32_e32 v66, vcc_lo, v63, v66, vcc_lo
	global_store_d16_hi_b16 v[65:66], v4, off
	s_or_b32 exec_lo, exec_lo, s19
	s_and_saveexec_b32 s19, s7
	s_cbranch_execz .LBB677_267
.LBB677_334:
	v_sub_nc_u32_e32 v65, v45, v7
	v_mov_b32_e32 v66, 0
	s_delay_alu instid0(VALU_DEP_1) | instskip(NEXT) | instid1(VALU_DEP_1)
	v_lshlrev_b64 v[65:66], 1, v[65:66]
	v_add_co_u32 v65, vcc_lo, v6, v65
	s_delay_alu instid0(VALU_DEP_2)
	v_add_co_ci_u32_e32 v66, vcc_lo, v63, v66, vcc_lo
	global_store_b16 v[65:66], v10, off
	s_or_b32 exec_lo, exec_lo, s19
	s_and_saveexec_b32 s19, s5
	s_cbranch_execz .LBB677_268
.LBB677_335:
	v_sub_nc_u32_e32 v65, v43, v7
	v_mov_b32_e32 v66, 0
	s_delay_alu instid0(VALU_DEP_1) | instskip(NEXT) | instid1(VALU_DEP_1)
	v_lshlrev_b64 v[65:66], 1, v[65:66]
	v_add_co_u32 v65, vcc_lo, v6, v65
	s_delay_alu instid0(VALU_DEP_2)
	v_add_co_ci_u32_e32 v66, vcc_lo, v63, v66, vcc_lo
	global_store_d16_hi_b16 v[65:66], v10, off
	s_or_b32 exec_lo, exec_lo, s19
	s_and_saveexec_b32 s19, s4
	s_cbranch_execz .LBB677_269
.LBB677_336:
	v_sub_nc_u32_e32 v65, v39, v7
	v_mov_b32_e32 v66, 0
	s_delay_alu instid0(VALU_DEP_1) | instskip(NEXT) | instid1(VALU_DEP_1)
	v_lshlrev_b64 v[65:66], 1, v[65:66]
	v_add_co_u32 v65, vcc_lo, v6, v65
	s_delay_alu instid0(VALU_DEP_2)
	v_add_co_ci_u32_e32 v66, vcc_lo, v63, v66, vcc_lo
	global_store_b16 v[65:66], v11, off
	s_or_b32 exec_lo, exec_lo, s19
	s_and_saveexec_b32 s19, s3
	s_cbranch_execz .LBB677_270
.LBB677_337:
	v_sub_nc_u32_e32 v65, v41, v7
	v_mov_b32_e32 v66, 0
	s_delay_alu instid0(VALU_DEP_1) | instskip(NEXT) | instid1(VALU_DEP_1)
	v_lshlrev_b64 v[65:66], 1, v[65:66]
	v_add_co_u32 v65, vcc_lo, v6, v65
	s_delay_alu instid0(VALU_DEP_2)
	v_add_co_ci_u32_e32 v66, vcc_lo, v63, v66, vcc_lo
	global_store_d16_hi_b16 v[65:66], v11, off
	s_or_b32 exec_lo, exec_lo, s19
	s_and_saveexec_b32 s19, s1
	s_cbranch_execnz .LBB677_271
	s_branch .LBB677_272
.LBB677_338:
	v_sub_nc_u32_e32 v64, v55, v7
	s_delay_alu instid0(VALU_DEP_1)
	v_lshlrev_b32_e32 v64, 1, v64
	ds_store_b16 v64, v62
	s_or_b32 exec_lo, exec_lo, s19
	s_and_saveexec_b32 s15, s14
	s_cbranch_execz .LBB677_276
.LBB677_339:
	v_sub_nc_u32_e32 v62, v51, v7
	s_delay_alu instid0(VALU_DEP_1)
	v_lshlrev_b32_e32 v62, 1, v62
	ds_store_b16 v62, v1
	s_or_b32 exec_lo, exec_lo, s15
	s_and_saveexec_b32 s14, s13
	s_cbranch_execz .LBB677_277
.LBB677_340:
	v_sub_nc_u32_e32 v62, v49, v7
	s_delay_alu instid0(VALU_DEP_1)
	v_lshlrev_b32_e32 v62, 1, v62
	ds_store_b16_d16_hi v62, v1
	s_or_b32 exec_lo, exec_lo, s14
	s_and_saveexec_b32 s13, s12
	s_cbranch_execz .LBB677_278
.LBB677_341:
	v_sub_nc_u32_e32 v1, v47, v7
	s_delay_alu instid0(VALU_DEP_1)
	v_lshlrev_b32_e32 v1, 1, v1
	ds_store_b16 v1, v2
	s_or_b32 exec_lo, exec_lo, s13
	s_and_saveexec_b32 s12, s11
	s_cbranch_execz .LBB677_279
.LBB677_342:
	v_sub_nc_u32_e32 v1, v35, v7
	s_delay_alu instid0(VALU_DEP_1)
	v_lshlrev_b32_e32 v1, 1, v1
	ds_store_b16_d16_hi v1, v2
	s_or_b32 exec_lo, exec_lo, s12
	s_and_saveexec_b32 s11, s10
	s_cbranch_execz .LBB677_280
.LBB677_343:
	v_sub_nc_u32_e32 v1, v33, v7
	s_delay_alu instid0(VALU_DEP_1)
	v_lshlrev_b32_e32 v1, 1, v1
	ds_store_b16 v1, v3
	s_or_b32 exec_lo, exec_lo, s11
	s_and_saveexec_b32 s10, s8
	s_cbranch_execz .LBB677_281
.LBB677_344:
	v_sub_nc_u32_e32 v1, v31, v7
	s_delay_alu instid0(VALU_DEP_1)
	v_lshlrev_b32_e32 v1, 1, v1
	ds_store_b16_d16_hi v1, v3
	s_or_b32 exec_lo, exec_lo, s10
	s_and_saveexec_b32 s8, s6
	s_cbranch_execz .LBB677_282
.LBB677_345:
	v_sub_nc_u32_e32 v1, v53, v7
	s_delay_alu instid0(VALU_DEP_1)
	v_lshlrev_b32_e32 v1, 1, v1
	ds_store_b16 v1, v4
	s_or_b32 exec_lo, exec_lo, s8
	s_and_saveexec_b32 s6, s9
	s_cbranch_execz .LBB677_283
.LBB677_346:
	v_sub_nc_u32_e32 v1, v57, v7
	s_delay_alu instid0(VALU_DEP_1)
	v_lshlrev_b32_e32 v1, 1, v1
	ds_store_b16_d16_hi v1, v4
	s_or_b32 exec_lo, exec_lo, s6
	s_and_saveexec_b32 s6, s7
	s_cbranch_execz .LBB677_284
.LBB677_347:
	v_sub_nc_u32_e32 v1, v45, v7
	s_delay_alu instid0(VALU_DEP_1)
	v_lshlrev_b32_e32 v1, 1, v1
	ds_store_b16 v1, v10
	s_or_b32 exec_lo, exec_lo, s6
	s_and_saveexec_b32 s6, s5
	s_cbranch_execz .LBB677_285
.LBB677_348:
	v_sub_nc_u32_e32 v1, v43, v7
	s_delay_alu instid0(VALU_DEP_1)
	v_lshlrev_b32_e32 v1, 1, v1
	ds_store_b16_d16_hi v1, v10
	s_or_b32 exec_lo, exec_lo, s6
	s_and_saveexec_b32 s5, s4
	s_cbranch_execz .LBB677_286
.LBB677_349:
	v_sub_nc_u32_e32 v1, v39, v7
	s_delay_alu instid0(VALU_DEP_1)
	v_lshlrev_b32_e32 v1, 1, v1
	ds_store_b16 v1, v11
	s_or_b32 exec_lo, exec_lo, s5
	s_and_saveexec_b32 s4, s3
	s_cbranch_execz .LBB677_287
.LBB677_350:
	v_sub_nc_u32_e32 v1, v41, v7
	s_delay_alu instid0(VALU_DEP_1)
	v_lshlrev_b32_e32 v1, 1, v1
	ds_store_b16_d16_hi v1, v11
	s_or_b32 exec_lo, exec_lo, s4
	s_and_saveexec_b32 s3, s1
	s_cbranch_execnz .LBB677_288
	s_branch .LBB677_289
.LBB677_351:
	v_sub_nc_u32_e32 v13, v55, v3
	v_mov_b32_e32 v14, 0
	s_delay_alu instid0(VALU_DEP_1) | instskip(NEXT) | instid1(VALU_DEP_1)
	v_lshlrev_b64 v[13:14], 1, v[13:14]
	v_add_co_u32 v13, vcc_lo, v6, v13
	s_delay_alu instid0(VALU_DEP_2)
	v_add_co_ci_u32_e32 v14, vcc_lo, v12, v14, vcc_lo
	global_store_b16 v[13:14], v56, off
	s_or_b32 exec_lo, exec_lo, s18
	s_and_saveexec_b32 s18, s13
	s_cbranch_execz .LBB677_293
.LBB677_352:
	v_sub_nc_u32_e32 v13, v51, v3
	v_mov_b32_e32 v14, 0
	s_delay_alu instid0(VALU_DEP_1) | instskip(NEXT) | instid1(VALU_DEP_1)
	v_lshlrev_b64 v[13:14], 1, v[13:14]
	v_add_co_u32 v13, vcc_lo, v6, v13
	s_delay_alu instid0(VALU_DEP_2)
	v_add_co_ci_u32_e32 v14, vcc_lo, v12, v14, vcc_lo
	global_store_b16 v[13:14], v52, off
	s_or_b32 exec_lo, exec_lo, s18
	s_and_saveexec_b32 s18, s12
	s_cbranch_execz .LBB677_294
.LBB677_353:
	v_sub_nc_u32_e32 v13, v49, v3
	v_mov_b32_e32 v14, 0
	s_delay_alu instid0(VALU_DEP_1) | instskip(NEXT) | instid1(VALU_DEP_1)
	v_lshlrev_b64 v[13:14], 1, v[13:14]
	v_add_co_u32 v13, vcc_lo, v6, v13
	s_delay_alu instid0(VALU_DEP_2)
	v_add_co_ci_u32_e32 v14, vcc_lo, v12, v14, vcc_lo
	global_store_b16 v[13:14], v50, off
	s_or_b32 exec_lo, exec_lo, s18
	s_and_saveexec_b32 s18, s11
	s_cbranch_execz .LBB677_295
.LBB677_354:
	v_sub_nc_u32_e32 v13, v47, v3
	v_mov_b32_e32 v14, 0
	s_delay_alu instid0(VALU_DEP_1) | instskip(NEXT) | instid1(VALU_DEP_1)
	v_lshlrev_b64 v[13:14], 1, v[13:14]
	v_add_co_u32 v13, vcc_lo, v6, v13
	s_delay_alu instid0(VALU_DEP_2)
	v_add_co_ci_u32_e32 v14, vcc_lo, v12, v14, vcc_lo
	global_store_b16 v[13:14], v48, off
	s_or_b32 exec_lo, exec_lo, s18
	s_and_saveexec_b32 s18, s10
	s_cbranch_execz .LBB677_296
.LBB677_355:
	v_sub_nc_u32_e32 v13, v35, v3
	v_mov_b32_e32 v14, 0
	s_delay_alu instid0(VALU_DEP_1) | instskip(NEXT) | instid1(VALU_DEP_1)
	v_lshlrev_b64 v[13:14], 1, v[13:14]
	v_add_co_u32 v13, vcc_lo, v6, v13
	s_delay_alu instid0(VALU_DEP_2)
	v_add_co_ci_u32_e32 v14, vcc_lo, v12, v14, vcc_lo
	global_store_b16 v[13:14], v36, off
	s_or_b32 exec_lo, exec_lo, s18
	s_and_saveexec_b32 s18, s9
	s_cbranch_execz .LBB677_297
.LBB677_356:
	v_sub_nc_u32_e32 v13, v33, v3
	v_mov_b32_e32 v14, 0
	s_delay_alu instid0(VALU_DEP_1) | instskip(NEXT) | instid1(VALU_DEP_1)
	v_lshlrev_b64 v[13:14], 1, v[13:14]
	v_add_co_u32 v13, vcc_lo, v6, v13
	s_delay_alu instid0(VALU_DEP_2)
	v_add_co_ci_u32_e32 v14, vcc_lo, v12, v14, vcc_lo
	global_store_b16 v[13:14], v34, off
	s_or_b32 exec_lo, exec_lo, s18
	s_and_saveexec_b32 s18, s8
	s_cbranch_execz .LBB677_298
.LBB677_357:
	v_sub_nc_u32_e32 v13, v31, v3
	v_mov_b32_e32 v14, 0
	s_delay_alu instid0(VALU_DEP_1) | instskip(NEXT) | instid1(VALU_DEP_1)
	v_lshlrev_b64 v[13:14], 1, v[13:14]
	v_add_co_u32 v13, vcc_lo, v6, v13
	s_delay_alu instid0(VALU_DEP_2)
	v_add_co_ci_u32_e32 v14, vcc_lo, v12, v14, vcc_lo
	global_store_b16 v[13:14], v32, off
	s_or_b32 exec_lo, exec_lo, s18
	s_and_saveexec_b32 s18, s7
	s_cbranch_execz .LBB677_299
.LBB677_358:
	v_sub_nc_u32_e32 v13, v53, v3
	v_mov_b32_e32 v14, 0
	s_delay_alu instid0(VALU_DEP_1) | instskip(NEXT) | instid1(VALU_DEP_1)
	v_lshlrev_b64 v[13:14], 1, v[13:14]
	v_add_co_u32 v13, vcc_lo, v6, v13
	s_delay_alu instid0(VALU_DEP_2)
	v_add_co_ci_u32_e32 v14, vcc_lo, v12, v14, vcc_lo
	global_store_b16 v[13:14], v54, off
	s_or_b32 exec_lo, exec_lo, s18
	s_and_saveexec_b32 s18, s6
	s_cbranch_execz .LBB677_300
.LBB677_359:
	v_sub_nc_u32_e32 v13, v57, v3
	v_mov_b32_e32 v14, 0
	s_delay_alu instid0(VALU_DEP_1) | instskip(NEXT) | instid1(VALU_DEP_1)
	v_lshlrev_b64 v[13:14], 1, v[13:14]
	v_add_co_u32 v13, vcc_lo, v6, v13
	s_delay_alu instid0(VALU_DEP_2)
	v_add_co_ci_u32_e32 v14, vcc_lo, v12, v14, vcc_lo
	global_store_b16 v[13:14], v58, off
	s_or_b32 exec_lo, exec_lo, s18
	s_and_saveexec_b32 s18, s5
	s_cbranch_execz .LBB677_301
.LBB677_360:
	v_sub_nc_u32_e32 v13, v45, v3
	v_mov_b32_e32 v14, 0
	s_delay_alu instid0(VALU_DEP_1) | instskip(NEXT) | instid1(VALU_DEP_1)
	v_lshlrev_b64 v[13:14], 1, v[13:14]
	v_add_co_u32 v13, vcc_lo, v6, v13
	s_delay_alu instid0(VALU_DEP_2)
	v_add_co_ci_u32_e32 v14, vcc_lo, v12, v14, vcc_lo
	global_store_b16 v[13:14], v46, off
	s_or_b32 exec_lo, exec_lo, s18
	s_and_saveexec_b32 s18, s4
	s_cbranch_execz .LBB677_302
.LBB677_361:
	v_sub_nc_u32_e32 v13, v43, v3
	v_mov_b32_e32 v14, 0
	s_delay_alu instid0(VALU_DEP_1) | instskip(NEXT) | instid1(VALU_DEP_1)
	v_lshlrev_b64 v[13:14], 1, v[13:14]
	v_add_co_u32 v13, vcc_lo, v6, v13
	s_delay_alu instid0(VALU_DEP_2)
	v_add_co_ci_u32_e32 v14, vcc_lo, v12, v14, vcc_lo
	global_store_b16 v[13:14], v44, off
	s_or_b32 exec_lo, exec_lo, s18
	s_and_saveexec_b32 s18, s3
	s_cbranch_execz .LBB677_303
.LBB677_362:
	v_sub_nc_u32_e32 v13, v39, v3
	v_mov_b32_e32 v14, 0
	s_delay_alu instid0(VALU_DEP_1) | instskip(NEXT) | instid1(VALU_DEP_1)
	v_lshlrev_b64 v[13:14], 1, v[13:14]
	v_add_co_u32 v13, vcc_lo, v6, v13
	s_delay_alu instid0(VALU_DEP_2)
	v_add_co_ci_u32_e32 v14, vcc_lo, v12, v14, vcc_lo
	global_store_b16 v[13:14], v40, off
	s_or_b32 exec_lo, exec_lo, s18
	s_and_saveexec_b32 s18, s2
	s_cbranch_execz .LBB677_304
.LBB677_363:
	v_sub_nc_u32_e32 v13, v41, v3
	v_mov_b32_e32 v14, 0
	s_delay_alu instid0(VALU_DEP_1) | instskip(NEXT) | instid1(VALU_DEP_1)
	v_lshlrev_b64 v[13:14], 1, v[13:14]
	v_add_co_u32 v13, vcc_lo, v6, v13
	s_delay_alu instid0(VALU_DEP_2)
	v_add_co_ci_u32_e32 v14, vcc_lo, v12, v14, vcc_lo
	global_store_b16 v[13:14], v42, off
	s_or_b32 exec_lo, exec_lo, s18
	s_and_saveexec_b32 s18, s1
	s_cbranch_execnz .LBB677_305
	s_branch .LBB677_306
.LBB677_364:
	v_sub_nc_u32_e32 v8, v55, v3
	s_delay_alu instid0(VALU_DEP_1)
	v_lshlrev_b32_e32 v8, 1, v8
	ds_store_b16 v8, v56
	s_or_b32 exec_lo, exec_lo, s18
	s_and_saveexec_b32 s14, s13
	s_cbranch_execz .LBB677_310
.LBB677_365:
	v_sub_nc_u32_e32 v8, v51, v3
	s_delay_alu instid0(VALU_DEP_1)
	v_lshlrev_b32_e32 v8, 1, v8
	ds_store_b16 v8, v52
	s_or_b32 exec_lo, exec_lo, s14
	s_and_saveexec_b32 s13, s12
	s_cbranch_execz .LBB677_311
.LBB677_366:
	v_sub_nc_u32_e32 v8, v49, v3
	s_delay_alu instid0(VALU_DEP_1)
	v_lshlrev_b32_e32 v8, 1, v8
	ds_store_b16 v8, v50
	s_or_b32 exec_lo, exec_lo, s13
	s_and_saveexec_b32 s12, s11
	s_cbranch_execz .LBB677_312
.LBB677_367:
	v_sub_nc_u32_e32 v8, v47, v3
	s_delay_alu instid0(VALU_DEP_1)
	v_lshlrev_b32_e32 v8, 1, v8
	ds_store_b16 v8, v48
	s_or_b32 exec_lo, exec_lo, s12
	s_and_saveexec_b32 s11, s10
	s_cbranch_execz .LBB677_313
.LBB677_368:
	v_sub_nc_u32_e32 v8, v35, v3
	s_delay_alu instid0(VALU_DEP_1)
	v_lshlrev_b32_e32 v8, 1, v8
	ds_store_b16 v8, v36
	s_or_b32 exec_lo, exec_lo, s11
	s_and_saveexec_b32 s10, s9
	s_cbranch_execz .LBB677_314
.LBB677_369:
	v_sub_nc_u32_e32 v8, v33, v3
	s_delay_alu instid0(VALU_DEP_1)
	v_lshlrev_b32_e32 v8, 1, v8
	ds_store_b16 v8, v34
	s_or_b32 exec_lo, exec_lo, s10
	s_and_saveexec_b32 s9, s8
	s_cbranch_execz .LBB677_315
.LBB677_370:
	v_sub_nc_u32_e32 v8, v31, v3
	s_delay_alu instid0(VALU_DEP_1)
	v_lshlrev_b32_e32 v8, 1, v8
	ds_store_b16 v8, v32
	s_or_b32 exec_lo, exec_lo, s9
	s_and_saveexec_b32 s8, s7
	s_cbranch_execz .LBB677_316
.LBB677_371:
	v_sub_nc_u32_e32 v8, v53, v3
	s_delay_alu instid0(VALU_DEP_1)
	v_lshlrev_b32_e32 v8, 1, v8
	ds_store_b16 v8, v54
	s_or_b32 exec_lo, exec_lo, s8
	s_and_saveexec_b32 s7, s6
	s_cbranch_execz .LBB677_317
.LBB677_372:
	v_sub_nc_u32_e32 v8, v57, v3
	s_delay_alu instid0(VALU_DEP_1)
	v_lshlrev_b32_e32 v8, 1, v8
	ds_store_b16 v8, v58
	s_or_b32 exec_lo, exec_lo, s7
	s_and_saveexec_b32 s6, s5
	s_cbranch_execz .LBB677_318
.LBB677_373:
	v_sub_nc_u32_e32 v8, v45, v3
	s_delay_alu instid0(VALU_DEP_1)
	v_lshlrev_b32_e32 v8, 1, v8
	ds_store_b16 v8, v46
	s_or_b32 exec_lo, exec_lo, s6
	s_and_saveexec_b32 s5, s4
	s_cbranch_execz .LBB677_319
.LBB677_374:
	v_sub_nc_u32_e32 v8, v43, v3
	s_delay_alu instid0(VALU_DEP_1)
	v_lshlrev_b32_e32 v8, 1, v8
	ds_store_b16 v8, v44
	s_or_b32 exec_lo, exec_lo, s5
	s_and_saveexec_b32 s4, s3
	s_cbranch_execz .LBB677_320
.LBB677_375:
	v_sub_nc_u32_e32 v8, v39, v3
	s_delay_alu instid0(VALU_DEP_1)
	v_lshlrev_b32_e32 v8, 1, v8
	ds_store_b16 v8, v40
	s_or_b32 exec_lo, exec_lo, s4
	s_and_saveexec_b32 s3, s2
	s_cbranch_execz .LBB677_321
.LBB677_376:
	v_sub_nc_u32_e32 v8, v41, v3
	s_delay_alu instid0(VALU_DEP_1)
	v_lshlrev_b32_e32 v8, 1, v8
	ds_store_b16 v8, v42
	s_or_b32 exec_lo, exec_lo, s3
	s_and_saveexec_b32 s2, s1
	s_cbranch_execnz .LBB677_322
	s_branch .LBB677_323
	.section	.rodata,"a",@progbits
	.p2align	6, 0x0
	.amdhsa_kernel _ZN7rocprim17ROCPRIM_400000_NS6detail17trampoline_kernelINS0_14default_configENS1_29reduce_by_key_config_selectorIssN6thrust23THRUST_200600_302600_NS4plusIsEEEEZZNS1_33reduce_by_key_impl_wrapped_configILNS1_25lookback_scan_determinismE0ES3_S9_NS6_6detail15normal_iteratorINS6_10device_ptrIsEEEESG_SG_SG_PmS8_22is_equal_div_10_reduceIsEEE10hipError_tPvRmT2_T3_mT4_T5_T6_T7_T8_P12ihipStream_tbENKUlT_T0_E_clISt17integral_constantIbLb1EES11_EEDaSW_SX_EUlSW_E_NS1_11comp_targetILNS1_3genE9ELNS1_11target_archE1100ELNS1_3gpuE3ELNS1_3repE0EEENS1_30default_config_static_selectorELNS0_4arch9wavefront6targetE0EEEvT1_
		.amdhsa_group_segment_fixed_size 7680
		.amdhsa_private_segment_fixed_size 0
		.amdhsa_kernarg_size 120
		.amdhsa_user_sgpr_count 15
		.amdhsa_user_sgpr_dispatch_ptr 0
		.amdhsa_user_sgpr_queue_ptr 0
		.amdhsa_user_sgpr_kernarg_segment_ptr 1
		.amdhsa_user_sgpr_dispatch_id 0
		.amdhsa_user_sgpr_private_segment_size 0
		.amdhsa_wavefront_size32 1
		.amdhsa_uses_dynamic_stack 0
		.amdhsa_enable_private_segment 0
		.amdhsa_system_sgpr_workgroup_id_x 1
		.amdhsa_system_sgpr_workgroup_id_y 0
		.amdhsa_system_sgpr_workgroup_id_z 0
		.amdhsa_system_sgpr_workgroup_info 0
		.amdhsa_system_vgpr_workitem_id 0
		.amdhsa_next_free_vgpr 102
		.amdhsa_next_free_sgpr 44
		.amdhsa_reserve_vcc 1
		.amdhsa_float_round_mode_32 0
		.amdhsa_float_round_mode_16_64 0
		.amdhsa_float_denorm_mode_32 3
		.amdhsa_float_denorm_mode_16_64 3
		.amdhsa_dx10_clamp 1
		.amdhsa_ieee_mode 1
		.amdhsa_fp16_overflow 0
		.amdhsa_workgroup_processor_mode 1
		.amdhsa_memory_ordered 1
		.amdhsa_forward_progress 0
		.amdhsa_shared_vgpr_count 0
		.amdhsa_exception_fp_ieee_invalid_op 0
		.amdhsa_exception_fp_denorm_src 0
		.amdhsa_exception_fp_ieee_div_zero 0
		.amdhsa_exception_fp_ieee_overflow 0
		.amdhsa_exception_fp_ieee_underflow 0
		.amdhsa_exception_fp_ieee_inexact 0
		.amdhsa_exception_int_div_zero 0
	.end_amdhsa_kernel
	.section	.text._ZN7rocprim17ROCPRIM_400000_NS6detail17trampoline_kernelINS0_14default_configENS1_29reduce_by_key_config_selectorIssN6thrust23THRUST_200600_302600_NS4plusIsEEEEZZNS1_33reduce_by_key_impl_wrapped_configILNS1_25lookback_scan_determinismE0ES3_S9_NS6_6detail15normal_iteratorINS6_10device_ptrIsEEEESG_SG_SG_PmS8_22is_equal_div_10_reduceIsEEE10hipError_tPvRmT2_T3_mT4_T5_T6_T7_T8_P12ihipStream_tbENKUlT_T0_E_clISt17integral_constantIbLb1EES11_EEDaSW_SX_EUlSW_E_NS1_11comp_targetILNS1_3genE9ELNS1_11target_archE1100ELNS1_3gpuE3ELNS1_3repE0EEENS1_30default_config_static_selectorELNS0_4arch9wavefront6targetE0EEEvT1_,"axG",@progbits,_ZN7rocprim17ROCPRIM_400000_NS6detail17trampoline_kernelINS0_14default_configENS1_29reduce_by_key_config_selectorIssN6thrust23THRUST_200600_302600_NS4plusIsEEEEZZNS1_33reduce_by_key_impl_wrapped_configILNS1_25lookback_scan_determinismE0ES3_S9_NS6_6detail15normal_iteratorINS6_10device_ptrIsEEEESG_SG_SG_PmS8_22is_equal_div_10_reduceIsEEE10hipError_tPvRmT2_T3_mT4_T5_T6_T7_T8_P12ihipStream_tbENKUlT_T0_E_clISt17integral_constantIbLb1EES11_EEDaSW_SX_EUlSW_E_NS1_11comp_targetILNS1_3genE9ELNS1_11target_archE1100ELNS1_3gpuE3ELNS1_3repE0EEENS1_30default_config_static_selectorELNS0_4arch9wavefront6targetE0EEEvT1_,comdat
.Lfunc_end677:
	.size	_ZN7rocprim17ROCPRIM_400000_NS6detail17trampoline_kernelINS0_14default_configENS1_29reduce_by_key_config_selectorIssN6thrust23THRUST_200600_302600_NS4plusIsEEEEZZNS1_33reduce_by_key_impl_wrapped_configILNS1_25lookback_scan_determinismE0ES3_S9_NS6_6detail15normal_iteratorINS6_10device_ptrIsEEEESG_SG_SG_PmS8_22is_equal_div_10_reduceIsEEE10hipError_tPvRmT2_T3_mT4_T5_T6_T7_T8_P12ihipStream_tbENKUlT_T0_E_clISt17integral_constantIbLb1EES11_EEDaSW_SX_EUlSW_E_NS1_11comp_targetILNS1_3genE9ELNS1_11target_archE1100ELNS1_3gpuE3ELNS1_3repE0EEENS1_30default_config_static_selectorELNS0_4arch9wavefront6targetE0EEEvT1_, .Lfunc_end677-_ZN7rocprim17ROCPRIM_400000_NS6detail17trampoline_kernelINS0_14default_configENS1_29reduce_by_key_config_selectorIssN6thrust23THRUST_200600_302600_NS4plusIsEEEEZZNS1_33reduce_by_key_impl_wrapped_configILNS1_25lookback_scan_determinismE0ES3_S9_NS6_6detail15normal_iteratorINS6_10device_ptrIsEEEESG_SG_SG_PmS8_22is_equal_div_10_reduceIsEEE10hipError_tPvRmT2_T3_mT4_T5_T6_T7_T8_P12ihipStream_tbENKUlT_T0_E_clISt17integral_constantIbLb1EES11_EEDaSW_SX_EUlSW_E_NS1_11comp_targetILNS1_3genE9ELNS1_11target_archE1100ELNS1_3gpuE3ELNS1_3repE0EEENS1_30default_config_static_selectorELNS0_4arch9wavefront6targetE0EEEvT1_
                                        ; -- End function
	.section	.AMDGPU.csdata,"",@progbits
; Kernel info:
; codeLenInByte = 24716
; NumSgprs: 46
; NumVgprs: 102
; ScratchSize: 0
; MemoryBound: 0
; FloatMode: 240
; IeeeMode: 1
; LDSByteSize: 7680 bytes/workgroup (compile time only)
; SGPRBlocks: 5
; VGPRBlocks: 12
; NumSGPRsForWavesPerEU: 46
; NumVGPRsForWavesPerEU: 102
; Occupancy: 12
; WaveLimiterHint : 1
; COMPUTE_PGM_RSRC2:SCRATCH_EN: 0
; COMPUTE_PGM_RSRC2:USER_SGPR: 15
; COMPUTE_PGM_RSRC2:TRAP_HANDLER: 0
; COMPUTE_PGM_RSRC2:TGID_X_EN: 1
; COMPUTE_PGM_RSRC2:TGID_Y_EN: 0
; COMPUTE_PGM_RSRC2:TGID_Z_EN: 0
; COMPUTE_PGM_RSRC2:TIDIG_COMP_CNT: 0
	.section	.text._ZN7rocprim17ROCPRIM_400000_NS6detail17trampoline_kernelINS0_14default_configENS1_29reduce_by_key_config_selectorIssN6thrust23THRUST_200600_302600_NS4plusIsEEEEZZNS1_33reduce_by_key_impl_wrapped_configILNS1_25lookback_scan_determinismE0ES3_S9_NS6_6detail15normal_iteratorINS6_10device_ptrIsEEEESG_SG_SG_PmS8_22is_equal_div_10_reduceIsEEE10hipError_tPvRmT2_T3_mT4_T5_T6_T7_T8_P12ihipStream_tbENKUlT_T0_E_clISt17integral_constantIbLb1EES11_EEDaSW_SX_EUlSW_E_NS1_11comp_targetILNS1_3genE8ELNS1_11target_archE1030ELNS1_3gpuE2ELNS1_3repE0EEENS1_30default_config_static_selectorELNS0_4arch9wavefront6targetE0EEEvT1_,"axG",@progbits,_ZN7rocprim17ROCPRIM_400000_NS6detail17trampoline_kernelINS0_14default_configENS1_29reduce_by_key_config_selectorIssN6thrust23THRUST_200600_302600_NS4plusIsEEEEZZNS1_33reduce_by_key_impl_wrapped_configILNS1_25lookback_scan_determinismE0ES3_S9_NS6_6detail15normal_iteratorINS6_10device_ptrIsEEEESG_SG_SG_PmS8_22is_equal_div_10_reduceIsEEE10hipError_tPvRmT2_T3_mT4_T5_T6_T7_T8_P12ihipStream_tbENKUlT_T0_E_clISt17integral_constantIbLb1EES11_EEDaSW_SX_EUlSW_E_NS1_11comp_targetILNS1_3genE8ELNS1_11target_archE1030ELNS1_3gpuE2ELNS1_3repE0EEENS1_30default_config_static_selectorELNS0_4arch9wavefront6targetE0EEEvT1_,comdat
	.protected	_ZN7rocprim17ROCPRIM_400000_NS6detail17trampoline_kernelINS0_14default_configENS1_29reduce_by_key_config_selectorIssN6thrust23THRUST_200600_302600_NS4plusIsEEEEZZNS1_33reduce_by_key_impl_wrapped_configILNS1_25lookback_scan_determinismE0ES3_S9_NS6_6detail15normal_iteratorINS6_10device_ptrIsEEEESG_SG_SG_PmS8_22is_equal_div_10_reduceIsEEE10hipError_tPvRmT2_T3_mT4_T5_T6_T7_T8_P12ihipStream_tbENKUlT_T0_E_clISt17integral_constantIbLb1EES11_EEDaSW_SX_EUlSW_E_NS1_11comp_targetILNS1_3genE8ELNS1_11target_archE1030ELNS1_3gpuE2ELNS1_3repE0EEENS1_30default_config_static_selectorELNS0_4arch9wavefront6targetE0EEEvT1_ ; -- Begin function _ZN7rocprim17ROCPRIM_400000_NS6detail17trampoline_kernelINS0_14default_configENS1_29reduce_by_key_config_selectorIssN6thrust23THRUST_200600_302600_NS4plusIsEEEEZZNS1_33reduce_by_key_impl_wrapped_configILNS1_25lookback_scan_determinismE0ES3_S9_NS6_6detail15normal_iteratorINS6_10device_ptrIsEEEESG_SG_SG_PmS8_22is_equal_div_10_reduceIsEEE10hipError_tPvRmT2_T3_mT4_T5_T6_T7_T8_P12ihipStream_tbENKUlT_T0_E_clISt17integral_constantIbLb1EES11_EEDaSW_SX_EUlSW_E_NS1_11comp_targetILNS1_3genE8ELNS1_11target_archE1030ELNS1_3gpuE2ELNS1_3repE0EEENS1_30default_config_static_selectorELNS0_4arch9wavefront6targetE0EEEvT1_
	.globl	_ZN7rocprim17ROCPRIM_400000_NS6detail17trampoline_kernelINS0_14default_configENS1_29reduce_by_key_config_selectorIssN6thrust23THRUST_200600_302600_NS4plusIsEEEEZZNS1_33reduce_by_key_impl_wrapped_configILNS1_25lookback_scan_determinismE0ES3_S9_NS6_6detail15normal_iteratorINS6_10device_ptrIsEEEESG_SG_SG_PmS8_22is_equal_div_10_reduceIsEEE10hipError_tPvRmT2_T3_mT4_T5_T6_T7_T8_P12ihipStream_tbENKUlT_T0_E_clISt17integral_constantIbLb1EES11_EEDaSW_SX_EUlSW_E_NS1_11comp_targetILNS1_3genE8ELNS1_11target_archE1030ELNS1_3gpuE2ELNS1_3repE0EEENS1_30default_config_static_selectorELNS0_4arch9wavefront6targetE0EEEvT1_
	.p2align	8
	.type	_ZN7rocprim17ROCPRIM_400000_NS6detail17trampoline_kernelINS0_14default_configENS1_29reduce_by_key_config_selectorIssN6thrust23THRUST_200600_302600_NS4plusIsEEEEZZNS1_33reduce_by_key_impl_wrapped_configILNS1_25lookback_scan_determinismE0ES3_S9_NS6_6detail15normal_iteratorINS6_10device_ptrIsEEEESG_SG_SG_PmS8_22is_equal_div_10_reduceIsEEE10hipError_tPvRmT2_T3_mT4_T5_T6_T7_T8_P12ihipStream_tbENKUlT_T0_E_clISt17integral_constantIbLb1EES11_EEDaSW_SX_EUlSW_E_NS1_11comp_targetILNS1_3genE8ELNS1_11target_archE1030ELNS1_3gpuE2ELNS1_3repE0EEENS1_30default_config_static_selectorELNS0_4arch9wavefront6targetE0EEEvT1_,@function
_ZN7rocprim17ROCPRIM_400000_NS6detail17trampoline_kernelINS0_14default_configENS1_29reduce_by_key_config_selectorIssN6thrust23THRUST_200600_302600_NS4plusIsEEEEZZNS1_33reduce_by_key_impl_wrapped_configILNS1_25lookback_scan_determinismE0ES3_S9_NS6_6detail15normal_iteratorINS6_10device_ptrIsEEEESG_SG_SG_PmS8_22is_equal_div_10_reduceIsEEE10hipError_tPvRmT2_T3_mT4_T5_T6_T7_T8_P12ihipStream_tbENKUlT_T0_E_clISt17integral_constantIbLb1EES11_EEDaSW_SX_EUlSW_E_NS1_11comp_targetILNS1_3genE8ELNS1_11target_archE1030ELNS1_3gpuE2ELNS1_3repE0EEENS1_30default_config_static_selectorELNS0_4arch9wavefront6targetE0EEEvT1_: ; @_ZN7rocprim17ROCPRIM_400000_NS6detail17trampoline_kernelINS0_14default_configENS1_29reduce_by_key_config_selectorIssN6thrust23THRUST_200600_302600_NS4plusIsEEEEZZNS1_33reduce_by_key_impl_wrapped_configILNS1_25lookback_scan_determinismE0ES3_S9_NS6_6detail15normal_iteratorINS6_10device_ptrIsEEEESG_SG_SG_PmS8_22is_equal_div_10_reduceIsEEE10hipError_tPvRmT2_T3_mT4_T5_T6_T7_T8_P12ihipStream_tbENKUlT_T0_E_clISt17integral_constantIbLb1EES11_EEDaSW_SX_EUlSW_E_NS1_11comp_targetILNS1_3genE8ELNS1_11target_archE1030ELNS1_3gpuE2ELNS1_3repE0EEENS1_30default_config_static_selectorELNS0_4arch9wavefront6targetE0EEEvT1_
; %bb.0:
	.section	.rodata,"a",@progbits
	.p2align	6, 0x0
	.amdhsa_kernel _ZN7rocprim17ROCPRIM_400000_NS6detail17trampoline_kernelINS0_14default_configENS1_29reduce_by_key_config_selectorIssN6thrust23THRUST_200600_302600_NS4plusIsEEEEZZNS1_33reduce_by_key_impl_wrapped_configILNS1_25lookback_scan_determinismE0ES3_S9_NS6_6detail15normal_iteratorINS6_10device_ptrIsEEEESG_SG_SG_PmS8_22is_equal_div_10_reduceIsEEE10hipError_tPvRmT2_T3_mT4_T5_T6_T7_T8_P12ihipStream_tbENKUlT_T0_E_clISt17integral_constantIbLb1EES11_EEDaSW_SX_EUlSW_E_NS1_11comp_targetILNS1_3genE8ELNS1_11target_archE1030ELNS1_3gpuE2ELNS1_3repE0EEENS1_30default_config_static_selectorELNS0_4arch9wavefront6targetE0EEEvT1_
		.amdhsa_group_segment_fixed_size 0
		.amdhsa_private_segment_fixed_size 0
		.amdhsa_kernarg_size 120
		.amdhsa_user_sgpr_count 15
		.amdhsa_user_sgpr_dispatch_ptr 0
		.amdhsa_user_sgpr_queue_ptr 0
		.amdhsa_user_sgpr_kernarg_segment_ptr 1
		.amdhsa_user_sgpr_dispatch_id 0
		.amdhsa_user_sgpr_private_segment_size 0
		.amdhsa_wavefront_size32 1
		.amdhsa_uses_dynamic_stack 0
		.amdhsa_enable_private_segment 0
		.amdhsa_system_sgpr_workgroup_id_x 1
		.amdhsa_system_sgpr_workgroup_id_y 0
		.amdhsa_system_sgpr_workgroup_id_z 0
		.amdhsa_system_sgpr_workgroup_info 0
		.amdhsa_system_vgpr_workitem_id 0
		.amdhsa_next_free_vgpr 1
		.amdhsa_next_free_sgpr 1
		.amdhsa_reserve_vcc 0
		.amdhsa_float_round_mode_32 0
		.amdhsa_float_round_mode_16_64 0
		.amdhsa_float_denorm_mode_32 3
		.amdhsa_float_denorm_mode_16_64 3
		.amdhsa_dx10_clamp 1
		.amdhsa_ieee_mode 1
		.amdhsa_fp16_overflow 0
		.amdhsa_workgroup_processor_mode 1
		.amdhsa_memory_ordered 1
		.amdhsa_forward_progress 0
		.amdhsa_shared_vgpr_count 0
		.amdhsa_exception_fp_ieee_invalid_op 0
		.amdhsa_exception_fp_denorm_src 0
		.amdhsa_exception_fp_ieee_div_zero 0
		.amdhsa_exception_fp_ieee_overflow 0
		.amdhsa_exception_fp_ieee_underflow 0
		.amdhsa_exception_fp_ieee_inexact 0
		.amdhsa_exception_int_div_zero 0
	.end_amdhsa_kernel
	.section	.text._ZN7rocprim17ROCPRIM_400000_NS6detail17trampoline_kernelINS0_14default_configENS1_29reduce_by_key_config_selectorIssN6thrust23THRUST_200600_302600_NS4plusIsEEEEZZNS1_33reduce_by_key_impl_wrapped_configILNS1_25lookback_scan_determinismE0ES3_S9_NS6_6detail15normal_iteratorINS6_10device_ptrIsEEEESG_SG_SG_PmS8_22is_equal_div_10_reduceIsEEE10hipError_tPvRmT2_T3_mT4_T5_T6_T7_T8_P12ihipStream_tbENKUlT_T0_E_clISt17integral_constantIbLb1EES11_EEDaSW_SX_EUlSW_E_NS1_11comp_targetILNS1_3genE8ELNS1_11target_archE1030ELNS1_3gpuE2ELNS1_3repE0EEENS1_30default_config_static_selectorELNS0_4arch9wavefront6targetE0EEEvT1_,"axG",@progbits,_ZN7rocprim17ROCPRIM_400000_NS6detail17trampoline_kernelINS0_14default_configENS1_29reduce_by_key_config_selectorIssN6thrust23THRUST_200600_302600_NS4plusIsEEEEZZNS1_33reduce_by_key_impl_wrapped_configILNS1_25lookback_scan_determinismE0ES3_S9_NS6_6detail15normal_iteratorINS6_10device_ptrIsEEEESG_SG_SG_PmS8_22is_equal_div_10_reduceIsEEE10hipError_tPvRmT2_T3_mT4_T5_T6_T7_T8_P12ihipStream_tbENKUlT_T0_E_clISt17integral_constantIbLb1EES11_EEDaSW_SX_EUlSW_E_NS1_11comp_targetILNS1_3genE8ELNS1_11target_archE1030ELNS1_3gpuE2ELNS1_3repE0EEENS1_30default_config_static_selectorELNS0_4arch9wavefront6targetE0EEEvT1_,comdat
.Lfunc_end678:
	.size	_ZN7rocprim17ROCPRIM_400000_NS6detail17trampoline_kernelINS0_14default_configENS1_29reduce_by_key_config_selectorIssN6thrust23THRUST_200600_302600_NS4plusIsEEEEZZNS1_33reduce_by_key_impl_wrapped_configILNS1_25lookback_scan_determinismE0ES3_S9_NS6_6detail15normal_iteratorINS6_10device_ptrIsEEEESG_SG_SG_PmS8_22is_equal_div_10_reduceIsEEE10hipError_tPvRmT2_T3_mT4_T5_T6_T7_T8_P12ihipStream_tbENKUlT_T0_E_clISt17integral_constantIbLb1EES11_EEDaSW_SX_EUlSW_E_NS1_11comp_targetILNS1_3genE8ELNS1_11target_archE1030ELNS1_3gpuE2ELNS1_3repE0EEENS1_30default_config_static_selectorELNS0_4arch9wavefront6targetE0EEEvT1_, .Lfunc_end678-_ZN7rocprim17ROCPRIM_400000_NS6detail17trampoline_kernelINS0_14default_configENS1_29reduce_by_key_config_selectorIssN6thrust23THRUST_200600_302600_NS4plusIsEEEEZZNS1_33reduce_by_key_impl_wrapped_configILNS1_25lookback_scan_determinismE0ES3_S9_NS6_6detail15normal_iteratorINS6_10device_ptrIsEEEESG_SG_SG_PmS8_22is_equal_div_10_reduceIsEEE10hipError_tPvRmT2_T3_mT4_T5_T6_T7_T8_P12ihipStream_tbENKUlT_T0_E_clISt17integral_constantIbLb1EES11_EEDaSW_SX_EUlSW_E_NS1_11comp_targetILNS1_3genE8ELNS1_11target_archE1030ELNS1_3gpuE2ELNS1_3repE0EEENS1_30default_config_static_selectorELNS0_4arch9wavefront6targetE0EEEvT1_
                                        ; -- End function
	.section	.AMDGPU.csdata,"",@progbits
; Kernel info:
; codeLenInByte = 0
; NumSgprs: 0
; NumVgprs: 0
; ScratchSize: 0
; MemoryBound: 0
; FloatMode: 240
; IeeeMode: 1
; LDSByteSize: 0 bytes/workgroup (compile time only)
; SGPRBlocks: 0
; VGPRBlocks: 0
; NumSGPRsForWavesPerEU: 1
; NumVGPRsForWavesPerEU: 1
; Occupancy: 16
; WaveLimiterHint : 0
; COMPUTE_PGM_RSRC2:SCRATCH_EN: 0
; COMPUTE_PGM_RSRC2:USER_SGPR: 15
; COMPUTE_PGM_RSRC2:TRAP_HANDLER: 0
; COMPUTE_PGM_RSRC2:TGID_X_EN: 1
; COMPUTE_PGM_RSRC2:TGID_Y_EN: 0
; COMPUTE_PGM_RSRC2:TGID_Z_EN: 0
; COMPUTE_PGM_RSRC2:TIDIG_COMP_CNT: 0
	.section	.text._ZN7rocprim17ROCPRIM_400000_NS6detail17trampoline_kernelINS0_14default_configENS1_29reduce_by_key_config_selectorIssN6thrust23THRUST_200600_302600_NS4plusIsEEEEZZNS1_33reduce_by_key_impl_wrapped_configILNS1_25lookback_scan_determinismE0ES3_S9_NS6_6detail15normal_iteratorINS6_10device_ptrIsEEEESG_SG_SG_PmS8_22is_equal_div_10_reduceIsEEE10hipError_tPvRmT2_T3_mT4_T5_T6_T7_T8_P12ihipStream_tbENKUlT_T0_E_clISt17integral_constantIbLb1EES10_IbLb0EEEEDaSW_SX_EUlSW_E_NS1_11comp_targetILNS1_3genE0ELNS1_11target_archE4294967295ELNS1_3gpuE0ELNS1_3repE0EEENS1_30default_config_static_selectorELNS0_4arch9wavefront6targetE0EEEvT1_,"axG",@progbits,_ZN7rocprim17ROCPRIM_400000_NS6detail17trampoline_kernelINS0_14default_configENS1_29reduce_by_key_config_selectorIssN6thrust23THRUST_200600_302600_NS4plusIsEEEEZZNS1_33reduce_by_key_impl_wrapped_configILNS1_25lookback_scan_determinismE0ES3_S9_NS6_6detail15normal_iteratorINS6_10device_ptrIsEEEESG_SG_SG_PmS8_22is_equal_div_10_reduceIsEEE10hipError_tPvRmT2_T3_mT4_T5_T6_T7_T8_P12ihipStream_tbENKUlT_T0_E_clISt17integral_constantIbLb1EES10_IbLb0EEEEDaSW_SX_EUlSW_E_NS1_11comp_targetILNS1_3genE0ELNS1_11target_archE4294967295ELNS1_3gpuE0ELNS1_3repE0EEENS1_30default_config_static_selectorELNS0_4arch9wavefront6targetE0EEEvT1_,comdat
	.protected	_ZN7rocprim17ROCPRIM_400000_NS6detail17trampoline_kernelINS0_14default_configENS1_29reduce_by_key_config_selectorIssN6thrust23THRUST_200600_302600_NS4plusIsEEEEZZNS1_33reduce_by_key_impl_wrapped_configILNS1_25lookback_scan_determinismE0ES3_S9_NS6_6detail15normal_iteratorINS6_10device_ptrIsEEEESG_SG_SG_PmS8_22is_equal_div_10_reduceIsEEE10hipError_tPvRmT2_T3_mT4_T5_T6_T7_T8_P12ihipStream_tbENKUlT_T0_E_clISt17integral_constantIbLb1EES10_IbLb0EEEEDaSW_SX_EUlSW_E_NS1_11comp_targetILNS1_3genE0ELNS1_11target_archE4294967295ELNS1_3gpuE0ELNS1_3repE0EEENS1_30default_config_static_selectorELNS0_4arch9wavefront6targetE0EEEvT1_ ; -- Begin function _ZN7rocprim17ROCPRIM_400000_NS6detail17trampoline_kernelINS0_14default_configENS1_29reduce_by_key_config_selectorIssN6thrust23THRUST_200600_302600_NS4plusIsEEEEZZNS1_33reduce_by_key_impl_wrapped_configILNS1_25lookback_scan_determinismE0ES3_S9_NS6_6detail15normal_iteratorINS6_10device_ptrIsEEEESG_SG_SG_PmS8_22is_equal_div_10_reduceIsEEE10hipError_tPvRmT2_T3_mT4_T5_T6_T7_T8_P12ihipStream_tbENKUlT_T0_E_clISt17integral_constantIbLb1EES10_IbLb0EEEEDaSW_SX_EUlSW_E_NS1_11comp_targetILNS1_3genE0ELNS1_11target_archE4294967295ELNS1_3gpuE0ELNS1_3repE0EEENS1_30default_config_static_selectorELNS0_4arch9wavefront6targetE0EEEvT1_
	.globl	_ZN7rocprim17ROCPRIM_400000_NS6detail17trampoline_kernelINS0_14default_configENS1_29reduce_by_key_config_selectorIssN6thrust23THRUST_200600_302600_NS4plusIsEEEEZZNS1_33reduce_by_key_impl_wrapped_configILNS1_25lookback_scan_determinismE0ES3_S9_NS6_6detail15normal_iteratorINS6_10device_ptrIsEEEESG_SG_SG_PmS8_22is_equal_div_10_reduceIsEEE10hipError_tPvRmT2_T3_mT4_T5_T6_T7_T8_P12ihipStream_tbENKUlT_T0_E_clISt17integral_constantIbLb1EES10_IbLb0EEEEDaSW_SX_EUlSW_E_NS1_11comp_targetILNS1_3genE0ELNS1_11target_archE4294967295ELNS1_3gpuE0ELNS1_3repE0EEENS1_30default_config_static_selectorELNS0_4arch9wavefront6targetE0EEEvT1_
	.p2align	8
	.type	_ZN7rocprim17ROCPRIM_400000_NS6detail17trampoline_kernelINS0_14default_configENS1_29reduce_by_key_config_selectorIssN6thrust23THRUST_200600_302600_NS4plusIsEEEEZZNS1_33reduce_by_key_impl_wrapped_configILNS1_25lookback_scan_determinismE0ES3_S9_NS6_6detail15normal_iteratorINS6_10device_ptrIsEEEESG_SG_SG_PmS8_22is_equal_div_10_reduceIsEEE10hipError_tPvRmT2_T3_mT4_T5_T6_T7_T8_P12ihipStream_tbENKUlT_T0_E_clISt17integral_constantIbLb1EES10_IbLb0EEEEDaSW_SX_EUlSW_E_NS1_11comp_targetILNS1_3genE0ELNS1_11target_archE4294967295ELNS1_3gpuE0ELNS1_3repE0EEENS1_30default_config_static_selectorELNS0_4arch9wavefront6targetE0EEEvT1_,@function
_ZN7rocprim17ROCPRIM_400000_NS6detail17trampoline_kernelINS0_14default_configENS1_29reduce_by_key_config_selectorIssN6thrust23THRUST_200600_302600_NS4plusIsEEEEZZNS1_33reduce_by_key_impl_wrapped_configILNS1_25lookback_scan_determinismE0ES3_S9_NS6_6detail15normal_iteratorINS6_10device_ptrIsEEEESG_SG_SG_PmS8_22is_equal_div_10_reduceIsEEE10hipError_tPvRmT2_T3_mT4_T5_T6_T7_T8_P12ihipStream_tbENKUlT_T0_E_clISt17integral_constantIbLb1EES10_IbLb0EEEEDaSW_SX_EUlSW_E_NS1_11comp_targetILNS1_3genE0ELNS1_11target_archE4294967295ELNS1_3gpuE0ELNS1_3repE0EEENS1_30default_config_static_selectorELNS0_4arch9wavefront6targetE0EEEvT1_: ; @_ZN7rocprim17ROCPRIM_400000_NS6detail17trampoline_kernelINS0_14default_configENS1_29reduce_by_key_config_selectorIssN6thrust23THRUST_200600_302600_NS4plusIsEEEEZZNS1_33reduce_by_key_impl_wrapped_configILNS1_25lookback_scan_determinismE0ES3_S9_NS6_6detail15normal_iteratorINS6_10device_ptrIsEEEESG_SG_SG_PmS8_22is_equal_div_10_reduceIsEEE10hipError_tPvRmT2_T3_mT4_T5_T6_T7_T8_P12ihipStream_tbENKUlT_T0_E_clISt17integral_constantIbLb1EES10_IbLb0EEEEDaSW_SX_EUlSW_E_NS1_11comp_targetILNS1_3genE0ELNS1_11target_archE4294967295ELNS1_3gpuE0ELNS1_3repE0EEENS1_30default_config_static_selectorELNS0_4arch9wavefront6targetE0EEEvT1_
; %bb.0:
	.section	.rodata,"a",@progbits
	.p2align	6, 0x0
	.amdhsa_kernel _ZN7rocprim17ROCPRIM_400000_NS6detail17trampoline_kernelINS0_14default_configENS1_29reduce_by_key_config_selectorIssN6thrust23THRUST_200600_302600_NS4plusIsEEEEZZNS1_33reduce_by_key_impl_wrapped_configILNS1_25lookback_scan_determinismE0ES3_S9_NS6_6detail15normal_iteratorINS6_10device_ptrIsEEEESG_SG_SG_PmS8_22is_equal_div_10_reduceIsEEE10hipError_tPvRmT2_T3_mT4_T5_T6_T7_T8_P12ihipStream_tbENKUlT_T0_E_clISt17integral_constantIbLb1EES10_IbLb0EEEEDaSW_SX_EUlSW_E_NS1_11comp_targetILNS1_3genE0ELNS1_11target_archE4294967295ELNS1_3gpuE0ELNS1_3repE0EEENS1_30default_config_static_selectorELNS0_4arch9wavefront6targetE0EEEvT1_
		.amdhsa_group_segment_fixed_size 0
		.amdhsa_private_segment_fixed_size 0
		.amdhsa_kernarg_size 120
		.amdhsa_user_sgpr_count 15
		.amdhsa_user_sgpr_dispatch_ptr 0
		.amdhsa_user_sgpr_queue_ptr 0
		.amdhsa_user_sgpr_kernarg_segment_ptr 1
		.amdhsa_user_sgpr_dispatch_id 0
		.amdhsa_user_sgpr_private_segment_size 0
		.amdhsa_wavefront_size32 1
		.amdhsa_uses_dynamic_stack 0
		.amdhsa_enable_private_segment 0
		.amdhsa_system_sgpr_workgroup_id_x 1
		.amdhsa_system_sgpr_workgroup_id_y 0
		.amdhsa_system_sgpr_workgroup_id_z 0
		.amdhsa_system_sgpr_workgroup_info 0
		.amdhsa_system_vgpr_workitem_id 0
		.amdhsa_next_free_vgpr 1
		.amdhsa_next_free_sgpr 1
		.amdhsa_reserve_vcc 0
		.amdhsa_float_round_mode_32 0
		.amdhsa_float_round_mode_16_64 0
		.amdhsa_float_denorm_mode_32 3
		.amdhsa_float_denorm_mode_16_64 3
		.amdhsa_dx10_clamp 1
		.amdhsa_ieee_mode 1
		.amdhsa_fp16_overflow 0
		.amdhsa_workgroup_processor_mode 1
		.amdhsa_memory_ordered 1
		.amdhsa_forward_progress 0
		.amdhsa_shared_vgpr_count 0
		.amdhsa_exception_fp_ieee_invalid_op 0
		.amdhsa_exception_fp_denorm_src 0
		.amdhsa_exception_fp_ieee_div_zero 0
		.amdhsa_exception_fp_ieee_overflow 0
		.amdhsa_exception_fp_ieee_underflow 0
		.amdhsa_exception_fp_ieee_inexact 0
		.amdhsa_exception_int_div_zero 0
	.end_amdhsa_kernel
	.section	.text._ZN7rocprim17ROCPRIM_400000_NS6detail17trampoline_kernelINS0_14default_configENS1_29reduce_by_key_config_selectorIssN6thrust23THRUST_200600_302600_NS4plusIsEEEEZZNS1_33reduce_by_key_impl_wrapped_configILNS1_25lookback_scan_determinismE0ES3_S9_NS6_6detail15normal_iteratorINS6_10device_ptrIsEEEESG_SG_SG_PmS8_22is_equal_div_10_reduceIsEEE10hipError_tPvRmT2_T3_mT4_T5_T6_T7_T8_P12ihipStream_tbENKUlT_T0_E_clISt17integral_constantIbLb1EES10_IbLb0EEEEDaSW_SX_EUlSW_E_NS1_11comp_targetILNS1_3genE0ELNS1_11target_archE4294967295ELNS1_3gpuE0ELNS1_3repE0EEENS1_30default_config_static_selectorELNS0_4arch9wavefront6targetE0EEEvT1_,"axG",@progbits,_ZN7rocprim17ROCPRIM_400000_NS6detail17trampoline_kernelINS0_14default_configENS1_29reduce_by_key_config_selectorIssN6thrust23THRUST_200600_302600_NS4plusIsEEEEZZNS1_33reduce_by_key_impl_wrapped_configILNS1_25lookback_scan_determinismE0ES3_S9_NS6_6detail15normal_iteratorINS6_10device_ptrIsEEEESG_SG_SG_PmS8_22is_equal_div_10_reduceIsEEE10hipError_tPvRmT2_T3_mT4_T5_T6_T7_T8_P12ihipStream_tbENKUlT_T0_E_clISt17integral_constantIbLb1EES10_IbLb0EEEEDaSW_SX_EUlSW_E_NS1_11comp_targetILNS1_3genE0ELNS1_11target_archE4294967295ELNS1_3gpuE0ELNS1_3repE0EEENS1_30default_config_static_selectorELNS0_4arch9wavefront6targetE0EEEvT1_,comdat
.Lfunc_end679:
	.size	_ZN7rocprim17ROCPRIM_400000_NS6detail17trampoline_kernelINS0_14default_configENS1_29reduce_by_key_config_selectorIssN6thrust23THRUST_200600_302600_NS4plusIsEEEEZZNS1_33reduce_by_key_impl_wrapped_configILNS1_25lookback_scan_determinismE0ES3_S9_NS6_6detail15normal_iteratorINS6_10device_ptrIsEEEESG_SG_SG_PmS8_22is_equal_div_10_reduceIsEEE10hipError_tPvRmT2_T3_mT4_T5_T6_T7_T8_P12ihipStream_tbENKUlT_T0_E_clISt17integral_constantIbLb1EES10_IbLb0EEEEDaSW_SX_EUlSW_E_NS1_11comp_targetILNS1_3genE0ELNS1_11target_archE4294967295ELNS1_3gpuE0ELNS1_3repE0EEENS1_30default_config_static_selectorELNS0_4arch9wavefront6targetE0EEEvT1_, .Lfunc_end679-_ZN7rocprim17ROCPRIM_400000_NS6detail17trampoline_kernelINS0_14default_configENS1_29reduce_by_key_config_selectorIssN6thrust23THRUST_200600_302600_NS4plusIsEEEEZZNS1_33reduce_by_key_impl_wrapped_configILNS1_25lookback_scan_determinismE0ES3_S9_NS6_6detail15normal_iteratorINS6_10device_ptrIsEEEESG_SG_SG_PmS8_22is_equal_div_10_reduceIsEEE10hipError_tPvRmT2_T3_mT4_T5_T6_T7_T8_P12ihipStream_tbENKUlT_T0_E_clISt17integral_constantIbLb1EES10_IbLb0EEEEDaSW_SX_EUlSW_E_NS1_11comp_targetILNS1_3genE0ELNS1_11target_archE4294967295ELNS1_3gpuE0ELNS1_3repE0EEENS1_30default_config_static_selectorELNS0_4arch9wavefront6targetE0EEEvT1_
                                        ; -- End function
	.section	.AMDGPU.csdata,"",@progbits
; Kernel info:
; codeLenInByte = 0
; NumSgprs: 0
; NumVgprs: 0
; ScratchSize: 0
; MemoryBound: 0
; FloatMode: 240
; IeeeMode: 1
; LDSByteSize: 0 bytes/workgroup (compile time only)
; SGPRBlocks: 0
; VGPRBlocks: 0
; NumSGPRsForWavesPerEU: 1
; NumVGPRsForWavesPerEU: 1
; Occupancy: 16
; WaveLimiterHint : 0
; COMPUTE_PGM_RSRC2:SCRATCH_EN: 0
; COMPUTE_PGM_RSRC2:USER_SGPR: 15
; COMPUTE_PGM_RSRC2:TRAP_HANDLER: 0
; COMPUTE_PGM_RSRC2:TGID_X_EN: 1
; COMPUTE_PGM_RSRC2:TGID_Y_EN: 0
; COMPUTE_PGM_RSRC2:TGID_Z_EN: 0
; COMPUTE_PGM_RSRC2:TIDIG_COMP_CNT: 0
	.section	.text._ZN7rocprim17ROCPRIM_400000_NS6detail17trampoline_kernelINS0_14default_configENS1_29reduce_by_key_config_selectorIssN6thrust23THRUST_200600_302600_NS4plusIsEEEEZZNS1_33reduce_by_key_impl_wrapped_configILNS1_25lookback_scan_determinismE0ES3_S9_NS6_6detail15normal_iteratorINS6_10device_ptrIsEEEESG_SG_SG_PmS8_22is_equal_div_10_reduceIsEEE10hipError_tPvRmT2_T3_mT4_T5_T6_T7_T8_P12ihipStream_tbENKUlT_T0_E_clISt17integral_constantIbLb1EES10_IbLb0EEEEDaSW_SX_EUlSW_E_NS1_11comp_targetILNS1_3genE5ELNS1_11target_archE942ELNS1_3gpuE9ELNS1_3repE0EEENS1_30default_config_static_selectorELNS0_4arch9wavefront6targetE0EEEvT1_,"axG",@progbits,_ZN7rocprim17ROCPRIM_400000_NS6detail17trampoline_kernelINS0_14default_configENS1_29reduce_by_key_config_selectorIssN6thrust23THRUST_200600_302600_NS4plusIsEEEEZZNS1_33reduce_by_key_impl_wrapped_configILNS1_25lookback_scan_determinismE0ES3_S9_NS6_6detail15normal_iteratorINS6_10device_ptrIsEEEESG_SG_SG_PmS8_22is_equal_div_10_reduceIsEEE10hipError_tPvRmT2_T3_mT4_T5_T6_T7_T8_P12ihipStream_tbENKUlT_T0_E_clISt17integral_constantIbLb1EES10_IbLb0EEEEDaSW_SX_EUlSW_E_NS1_11comp_targetILNS1_3genE5ELNS1_11target_archE942ELNS1_3gpuE9ELNS1_3repE0EEENS1_30default_config_static_selectorELNS0_4arch9wavefront6targetE0EEEvT1_,comdat
	.protected	_ZN7rocprim17ROCPRIM_400000_NS6detail17trampoline_kernelINS0_14default_configENS1_29reduce_by_key_config_selectorIssN6thrust23THRUST_200600_302600_NS4plusIsEEEEZZNS1_33reduce_by_key_impl_wrapped_configILNS1_25lookback_scan_determinismE0ES3_S9_NS6_6detail15normal_iteratorINS6_10device_ptrIsEEEESG_SG_SG_PmS8_22is_equal_div_10_reduceIsEEE10hipError_tPvRmT2_T3_mT4_T5_T6_T7_T8_P12ihipStream_tbENKUlT_T0_E_clISt17integral_constantIbLb1EES10_IbLb0EEEEDaSW_SX_EUlSW_E_NS1_11comp_targetILNS1_3genE5ELNS1_11target_archE942ELNS1_3gpuE9ELNS1_3repE0EEENS1_30default_config_static_selectorELNS0_4arch9wavefront6targetE0EEEvT1_ ; -- Begin function _ZN7rocprim17ROCPRIM_400000_NS6detail17trampoline_kernelINS0_14default_configENS1_29reduce_by_key_config_selectorIssN6thrust23THRUST_200600_302600_NS4plusIsEEEEZZNS1_33reduce_by_key_impl_wrapped_configILNS1_25lookback_scan_determinismE0ES3_S9_NS6_6detail15normal_iteratorINS6_10device_ptrIsEEEESG_SG_SG_PmS8_22is_equal_div_10_reduceIsEEE10hipError_tPvRmT2_T3_mT4_T5_T6_T7_T8_P12ihipStream_tbENKUlT_T0_E_clISt17integral_constantIbLb1EES10_IbLb0EEEEDaSW_SX_EUlSW_E_NS1_11comp_targetILNS1_3genE5ELNS1_11target_archE942ELNS1_3gpuE9ELNS1_3repE0EEENS1_30default_config_static_selectorELNS0_4arch9wavefront6targetE0EEEvT1_
	.globl	_ZN7rocprim17ROCPRIM_400000_NS6detail17trampoline_kernelINS0_14default_configENS1_29reduce_by_key_config_selectorIssN6thrust23THRUST_200600_302600_NS4plusIsEEEEZZNS1_33reduce_by_key_impl_wrapped_configILNS1_25lookback_scan_determinismE0ES3_S9_NS6_6detail15normal_iteratorINS6_10device_ptrIsEEEESG_SG_SG_PmS8_22is_equal_div_10_reduceIsEEE10hipError_tPvRmT2_T3_mT4_T5_T6_T7_T8_P12ihipStream_tbENKUlT_T0_E_clISt17integral_constantIbLb1EES10_IbLb0EEEEDaSW_SX_EUlSW_E_NS1_11comp_targetILNS1_3genE5ELNS1_11target_archE942ELNS1_3gpuE9ELNS1_3repE0EEENS1_30default_config_static_selectorELNS0_4arch9wavefront6targetE0EEEvT1_
	.p2align	8
	.type	_ZN7rocprim17ROCPRIM_400000_NS6detail17trampoline_kernelINS0_14default_configENS1_29reduce_by_key_config_selectorIssN6thrust23THRUST_200600_302600_NS4plusIsEEEEZZNS1_33reduce_by_key_impl_wrapped_configILNS1_25lookback_scan_determinismE0ES3_S9_NS6_6detail15normal_iteratorINS6_10device_ptrIsEEEESG_SG_SG_PmS8_22is_equal_div_10_reduceIsEEE10hipError_tPvRmT2_T3_mT4_T5_T6_T7_T8_P12ihipStream_tbENKUlT_T0_E_clISt17integral_constantIbLb1EES10_IbLb0EEEEDaSW_SX_EUlSW_E_NS1_11comp_targetILNS1_3genE5ELNS1_11target_archE942ELNS1_3gpuE9ELNS1_3repE0EEENS1_30default_config_static_selectorELNS0_4arch9wavefront6targetE0EEEvT1_,@function
_ZN7rocprim17ROCPRIM_400000_NS6detail17trampoline_kernelINS0_14default_configENS1_29reduce_by_key_config_selectorIssN6thrust23THRUST_200600_302600_NS4plusIsEEEEZZNS1_33reduce_by_key_impl_wrapped_configILNS1_25lookback_scan_determinismE0ES3_S9_NS6_6detail15normal_iteratorINS6_10device_ptrIsEEEESG_SG_SG_PmS8_22is_equal_div_10_reduceIsEEE10hipError_tPvRmT2_T3_mT4_T5_T6_T7_T8_P12ihipStream_tbENKUlT_T0_E_clISt17integral_constantIbLb1EES10_IbLb0EEEEDaSW_SX_EUlSW_E_NS1_11comp_targetILNS1_3genE5ELNS1_11target_archE942ELNS1_3gpuE9ELNS1_3repE0EEENS1_30default_config_static_selectorELNS0_4arch9wavefront6targetE0EEEvT1_: ; @_ZN7rocprim17ROCPRIM_400000_NS6detail17trampoline_kernelINS0_14default_configENS1_29reduce_by_key_config_selectorIssN6thrust23THRUST_200600_302600_NS4plusIsEEEEZZNS1_33reduce_by_key_impl_wrapped_configILNS1_25lookback_scan_determinismE0ES3_S9_NS6_6detail15normal_iteratorINS6_10device_ptrIsEEEESG_SG_SG_PmS8_22is_equal_div_10_reduceIsEEE10hipError_tPvRmT2_T3_mT4_T5_T6_T7_T8_P12ihipStream_tbENKUlT_T0_E_clISt17integral_constantIbLb1EES10_IbLb0EEEEDaSW_SX_EUlSW_E_NS1_11comp_targetILNS1_3genE5ELNS1_11target_archE942ELNS1_3gpuE9ELNS1_3repE0EEENS1_30default_config_static_selectorELNS0_4arch9wavefront6targetE0EEEvT1_
; %bb.0:
	.section	.rodata,"a",@progbits
	.p2align	6, 0x0
	.amdhsa_kernel _ZN7rocprim17ROCPRIM_400000_NS6detail17trampoline_kernelINS0_14default_configENS1_29reduce_by_key_config_selectorIssN6thrust23THRUST_200600_302600_NS4plusIsEEEEZZNS1_33reduce_by_key_impl_wrapped_configILNS1_25lookback_scan_determinismE0ES3_S9_NS6_6detail15normal_iteratorINS6_10device_ptrIsEEEESG_SG_SG_PmS8_22is_equal_div_10_reduceIsEEE10hipError_tPvRmT2_T3_mT4_T5_T6_T7_T8_P12ihipStream_tbENKUlT_T0_E_clISt17integral_constantIbLb1EES10_IbLb0EEEEDaSW_SX_EUlSW_E_NS1_11comp_targetILNS1_3genE5ELNS1_11target_archE942ELNS1_3gpuE9ELNS1_3repE0EEENS1_30default_config_static_selectorELNS0_4arch9wavefront6targetE0EEEvT1_
		.amdhsa_group_segment_fixed_size 0
		.amdhsa_private_segment_fixed_size 0
		.amdhsa_kernarg_size 120
		.amdhsa_user_sgpr_count 15
		.amdhsa_user_sgpr_dispatch_ptr 0
		.amdhsa_user_sgpr_queue_ptr 0
		.amdhsa_user_sgpr_kernarg_segment_ptr 1
		.amdhsa_user_sgpr_dispatch_id 0
		.amdhsa_user_sgpr_private_segment_size 0
		.amdhsa_wavefront_size32 1
		.amdhsa_uses_dynamic_stack 0
		.amdhsa_enable_private_segment 0
		.amdhsa_system_sgpr_workgroup_id_x 1
		.amdhsa_system_sgpr_workgroup_id_y 0
		.amdhsa_system_sgpr_workgroup_id_z 0
		.amdhsa_system_sgpr_workgroup_info 0
		.amdhsa_system_vgpr_workitem_id 0
		.amdhsa_next_free_vgpr 1
		.amdhsa_next_free_sgpr 1
		.amdhsa_reserve_vcc 0
		.amdhsa_float_round_mode_32 0
		.amdhsa_float_round_mode_16_64 0
		.amdhsa_float_denorm_mode_32 3
		.amdhsa_float_denorm_mode_16_64 3
		.amdhsa_dx10_clamp 1
		.amdhsa_ieee_mode 1
		.amdhsa_fp16_overflow 0
		.amdhsa_workgroup_processor_mode 1
		.amdhsa_memory_ordered 1
		.amdhsa_forward_progress 0
		.amdhsa_shared_vgpr_count 0
		.amdhsa_exception_fp_ieee_invalid_op 0
		.amdhsa_exception_fp_denorm_src 0
		.amdhsa_exception_fp_ieee_div_zero 0
		.amdhsa_exception_fp_ieee_overflow 0
		.amdhsa_exception_fp_ieee_underflow 0
		.amdhsa_exception_fp_ieee_inexact 0
		.amdhsa_exception_int_div_zero 0
	.end_amdhsa_kernel
	.section	.text._ZN7rocprim17ROCPRIM_400000_NS6detail17trampoline_kernelINS0_14default_configENS1_29reduce_by_key_config_selectorIssN6thrust23THRUST_200600_302600_NS4plusIsEEEEZZNS1_33reduce_by_key_impl_wrapped_configILNS1_25lookback_scan_determinismE0ES3_S9_NS6_6detail15normal_iteratorINS6_10device_ptrIsEEEESG_SG_SG_PmS8_22is_equal_div_10_reduceIsEEE10hipError_tPvRmT2_T3_mT4_T5_T6_T7_T8_P12ihipStream_tbENKUlT_T0_E_clISt17integral_constantIbLb1EES10_IbLb0EEEEDaSW_SX_EUlSW_E_NS1_11comp_targetILNS1_3genE5ELNS1_11target_archE942ELNS1_3gpuE9ELNS1_3repE0EEENS1_30default_config_static_selectorELNS0_4arch9wavefront6targetE0EEEvT1_,"axG",@progbits,_ZN7rocprim17ROCPRIM_400000_NS6detail17trampoline_kernelINS0_14default_configENS1_29reduce_by_key_config_selectorIssN6thrust23THRUST_200600_302600_NS4plusIsEEEEZZNS1_33reduce_by_key_impl_wrapped_configILNS1_25lookback_scan_determinismE0ES3_S9_NS6_6detail15normal_iteratorINS6_10device_ptrIsEEEESG_SG_SG_PmS8_22is_equal_div_10_reduceIsEEE10hipError_tPvRmT2_T3_mT4_T5_T6_T7_T8_P12ihipStream_tbENKUlT_T0_E_clISt17integral_constantIbLb1EES10_IbLb0EEEEDaSW_SX_EUlSW_E_NS1_11comp_targetILNS1_3genE5ELNS1_11target_archE942ELNS1_3gpuE9ELNS1_3repE0EEENS1_30default_config_static_selectorELNS0_4arch9wavefront6targetE0EEEvT1_,comdat
.Lfunc_end680:
	.size	_ZN7rocprim17ROCPRIM_400000_NS6detail17trampoline_kernelINS0_14default_configENS1_29reduce_by_key_config_selectorIssN6thrust23THRUST_200600_302600_NS4plusIsEEEEZZNS1_33reduce_by_key_impl_wrapped_configILNS1_25lookback_scan_determinismE0ES3_S9_NS6_6detail15normal_iteratorINS6_10device_ptrIsEEEESG_SG_SG_PmS8_22is_equal_div_10_reduceIsEEE10hipError_tPvRmT2_T3_mT4_T5_T6_T7_T8_P12ihipStream_tbENKUlT_T0_E_clISt17integral_constantIbLb1EES10_IbLb0EEEEDaSW_SX_EUlSW_E_NS1_11comp_targetILNS1_3genE5ELNS1_11target_archE942ELNS1_3gpuE9ELNS1_3repE0EEENS1_30default_config_static_selectorELNS0_4arch9wavefront6targetE0EEEvT1_, .Lfunc_end680-_ZN7rocprim17ROCPRIM_400000_NS6detail17trampoline_kernelINS0_14default_configENS1_29reduce_by_key_config_selectorIssN6thrust23THRUST_200600_302600_NS4plusIsEEEEZZNS1_33reduce_by_key_impl_wrapped_configILNS1_25lookback_scan_determinismE0ES3_S9_NS6_6detail15normal_iteratorINS6_10device_ptrIsEEEESG_SG_SG_PmS8_22is_equal_div_10_reduceIsEEE10hipError_tPvRmT2_T3_mT4_T5_T6_T7_T8_P12ihipStream_tbENKUlT_T0_E_clISt17integral_constantIbLb1EES10_IbLb0EEEEDaSW_SX_EUlSW_E_NS1_11comp_targetILNS1_3genE5ELNS1_11target_archE942ELNS1_3gpuE9ELNS1_3repE0EEENS1_30default_config_static_selectorELNS0_4arch9wavefront6targetE0EEEvT1_
                                        ; -- End function
	.section	.AMDGPU.csdata,"",@progbits
; Kernel info:
; codeLenInByte = 0
; NumSgprs: 0
; NumVgprs: 0
; ScratchSize: 0
; MemoryBound: 0
; FloatMode: 240
; IeeeMode: 1
; LDSByteSize: 0 bytes/workgroup (compile time only)
; SGPRBlocks: 0
; VGPRBlocks: 0
; NumSGPRsForWavesPerEU: 1
; NumVGPRsForWavesPerEU: 1
; Occupancy: 16
; WaveLimiterHint : 0
; COMPUTE_PGM_RSRC2:SCRATCH_EN: 0
; COMPUTE_PGM_RSRC2:USER_SGPR: 15
; COMPUTE_PGM_RSRC2:TRAP_HANDLER: 0
; COMPUTE_PGM_RSRC2:TGID_X_EN: 1
; COMPUTE_PGM_RSRC2:TGID_Y_EN: 0
; COMPUTE_PGM_RSRC2:TGID_Z_EN: 0
; COMPUTE_PGM_RSRC2:TIDIG_COMP_CNT: 0
	.section	.text._ZN7rocprim17ROCPRIM_400000_NS6detail17trampoline_kernelINS0_14default_configENS1_29reduce_by_key_config_selectorIssN6thrust23THRUST_200600_302600_NS4plusIsEEEEZZNS1_33reduce_by_key_impl_wrapped_configILNS1_25lookback_scan_determinismE0ES3_S9_NS6_6detail15normal_iteratorINS6_10device_ptrIsEEEESG_SG_SG_PmS8_22is_equal_div_10_reduceIsEEE10hipError_tPvRmT2_T3_mT4_T5_T6_T7_T8_P12ihipStream_tbENKUlT_T0_E_clISt17integral_constantIbLb1EES10_IbLb0EEEEDaSW_SX_EUlSW_E_NS1_11comp_targetILNS1_3genE4ELNS1_11target_archE910ELNS1_3gpuE8ELNS1_3repE0EEENS1_30default_config_static_selectorELNS0_4arch9wavefront6targetE0EEEvT1_,"axG",@progbits,_ZN7rocprim17ROCPRIM_400000_NS6detail17trampoline_kernelINS0_14default_configENS1_29reduce_by_key_config_selectorIssN6thrust23THRUST_200600_302600_NS4plusIsEEEEZZNS1_33reduce_by_key_impl_wrapped_configILNS1_25lookback_scan_determinismE0ES3_S9_NS6_6detail15normal_iteratorINS6_10device_ptrIsEEEESG_SG_SG_PmS8_22is_equal_div_10_reduceIsEEE10hipError_tPvRmT2_T3_mT4_T5_T6_T7_T8_P12ihipStream_tbENKUlT_T0_E_clISt17integral_constantIbLb1EES10_IbLb0EEEEDaSW_SX_EUlSW_E_NS1_11comp_targetILNS1_3genE4ELNS1_11target_archE910ELNS1_3gpuE8ELNS1_3repE0EEENS1_30default_config_static_selectorELNS0_4arch9wavefront6targetE0EEEvT1_,comdat
	.protected	_ZN7rocprim17ROCPRIM_400000_NS6detail17trampoline_kernelINS0_14default_configENS1_29reduce_by_key_config_selectorIssN6thrust23THRUST_200600_302600_NS4plusIsEEEEZZNS1_33reduce_by_key_impl_wrapped_configILNS1_25lookback_scan_determinismE0ES3_S9_NS6_6detail15normal_iteratorINS6_10device_ptrIsEEEESG_SG_SG_PmS8_22is_equal_div_10_reduceIsEEE10hipError_tPvRmT2_T3_mT4_T5_T6_T7_T8_P12ihipStream_tbENKUlT_T0_E_clISt17integral_constantIbLb1EES10_IbLb0EEEEDaSW_SX_EUlSW_E_NS1_11comp_targetILNS1_3genE4ELNS1_11target_archE910ELNS1_3gpuE8ELNS1_3repE0EEENS1_30default_config_static_selectorELNS0_4arch9wavefront6targetE0EEEvT1_ ; -- Begin function _ZN7rocprim17ROCPRIM_400000_NS6detail17trampoline_kernelINS0_14default_configENS1_29reduce_by_key_config_selectorIssN6thrust23THRUST_200600_302600_NS4plusIsEEEEZZNS1_33reduce_by_key_impl_wrapped_configILNS1_25lookback_scan_determinismE0ES3_S9_NS6_6detail15normal_iteratorINS6_10device_ptrIsEEEESG_SG_SG_PmS8_22is_equal_div_10_reduceIsEEE10hipError_tPvRmT2_T3_mT4_T5_T6_T7_T8_P12ihipStream_tbENKUlT_T0_E_clISt17integral_constantIbLb1EES10_IbLb0EEEEDaSW_SX_EUlSW_E_NS1_11comp_targetILNS1_3genE4ELNS1_11target_archE910ELNS1_3gpuE8ELNS1_3repE0EEENS1_30default_config_static_selectorELNS0_4arch9wavefront6targetE0EEEvT1_
	.globl	_ZN7rocprim17ROCPRIM_400000_NS6detail17trampoline_kernelINS0_14default_configENS1_29reduce_by_key_config_selectorIssN6thrust23THRUST_200600_302600_NS4plusIsEEEEZZNS1_33reduce_by_key_impl_wrapped_configILNS1_25lookback_scan_determinismE0ES3_S9_NS6_6detail15normal_iteratorINS6_10device_ptrIsEEEESG_SG_SG_PmS8_22is_equal_div_10_reduceIsEEE10hipError_tPvRmT2_T3_mT4_T5_T6_T7_T8_P12ihipStream_tbENKUlT_T0_E_clISt17integral_constantIbLb1EES10_IbLb0EEEEDaSW_SX_EUlSW_E_NS1_11comp_targetILNS1_3genE4ELNS1_11target_archE910ELNS1_3gpuE8ELNS1_3repE0EEENS1_30default_config_static_selectorELNS0_4arch9wavefront6targetE0EEEvT1_
	.p2align	8
	.type	_ZN7rocprim17ROCPRIM_400000_NS6detail17trampoline_kernelINS0_14default_configENS1_29reduce_by_key_config_selectorIssN6thrust23THRUST_200600_302600_NS4plusIsEEEEZZNS1_33reduce_by_key_impl_wrapped_configILNS1_25lookback_scan_determinismE0ES3_S9_NS6_6detail15normal_iteratorINS6_10device_ptrIsEEEESG_SG_SG_PmS8_22is_equal_div_10_reduceIsEEE10hipError_tPvRmT2_T3_mT4_T5_T6_T7_T8_P12ihipStream_tbENKUlT_T0_E_clISt17integral_constantIbLb1EES10_IbLb0EEEEDaSW_SX_EUlSW_E_NS1_11comp_targetILNS1_3genE4ELNS1_11target_archE910ELNS1_3gpuE8ELNS1_3repE0EEENS1_30default_config_static_selectorELNS0_4arch9wavefront6targetE0EEEvT1_,@function
_ZN7rocprim17ROCPRIM_400000_NS6detail17trampoline_kernelINS0_14default_configENS1_29reduce_by_key_config_selectorIssN6thrust23THRUST_200600_302600_NS4plusIsEEEEZZNS1_33reduce_by_key_impl_wrapped_configILNS1_25lookback_scan_determinismE0ES3_S9_NS6_6detail15normal_iteratorINS6_10device_ptrIsEEEESG_SG_SG_PmS8_22is_equal_div_10_reduceIsEEE10hipError_tPvRmT2_T3_mT4_T5_T6_T7_T8_P12ihipStream_tbENKUlT_T0_E_clISt17integral_constantIbLb1EES10_IbLb0EEEEDaSW_SX_EUlSW_E_NS1_11comp_targetILNS1_3genE4ELNS1_11target_archE910ELNS1_3gpuE8ELNS1_3repE0EEENS1_30default_config_static_selectorELNS0_4arch9wavefront6targetE0EEEvT1_: ; @_ZN7rocprim17ROCPRIM_400000_NS6detail17trampoline_kernelINS0_14default_configENS1_29reduce_by_key_config_selectorIssN6thrust23THRUST_200600_302600_NS4plusIsEEEEZZNS1_33reduce_by_key_impl_wrapped_configILNS1_25lookback_scan_determinismE0ES3_S9_NS6_6detail15normal_iteratorINS6_10device_ptrIsEEEESG_SG_SG_PmS8_22is_equal_div_10_reduceIsEEE10hipError_tPvRmT2_T3_mT4_T5_T6_T7_T8_P12ihipStream_tbENKUlT_T0_E_clISt17integral_constantIbLb1EES10_IbLb0EEEEDaSW_SX_EUlSW_E_NS1_11comp_targetILNS1_3genE4ELNS1_11target_archE910ELNS1_3gpuE8ELNS1_3repE0EEENS1_30default_config_static_selectorELNS0_4arch9wavefront6targetE0EEEvT1_
; %bb.0:
	.section	.rodata,"a",@progbits
	.p2align	6, 0x0
	.amdhsa_kernel _ZN7rocprim17ROCPRIM_400000_NS6detail17trampoline_kernelINS0_14default_configENS1_29reduce_by_key_config_selectorIssN6thrust23THRUST_200600_302600_NS4plusIsEEEEZZNS1_33reduce_by_key_impl_wrapped_configILNS1_25lookback_scan_determinismE0ES3_S9_NS6_6detail15normal_iteratorINS6_10device_ptrIsEEEESG_SG_SG_PmS8_22is_equal_div_10_reduceIsEEE10hipError_tPvRmT2_T3_mT4_T5_T6_T7_T8_P12ihipStream_tbENKUlT_T0_E_clISt17integral_constantIbLb1EES10_IbLb0EEEEDaSW_SX_EUlSW_E_NS1_11comp_targetILNS1_3genE4ELNS1_11target_archE910ELNS1_3gpuE8ELNS1_3repE0EEENS1_30default_config_static_selectorELNS0_4arch9wavefront6targetE0EEEvT1_
		.amdhsa_group_segment_fixed_size 0
		.amdhsa_private_segment_fixed_size 0
		.amdhsa_kernarg_size 120
		.amdhsa_user_sgpr_count 15
		.amdhsa_user_sgpr_dispatch_ptr 0
		.amdhsa_user_sgpr_queue_ptr 0
		.amdhsa_user_sgpr_kernarg_segment_ptr 1
		.amdhsa_user_sgpr_dispatch_id 0
		.amdhsa_user_sgpr_private_segment_size 0
		.amdhsa_wavefront_size32 1
		.amdhsa_uses_dynamic_stack 0
		.amdhsa_enable_private_segment 0
		.amdhsa_system_sgpr_workgroup_id_x 1
		.amdhsa_system_sgpr_workgroup_id_y 0
		.amdhsa_system_sgpr_workgroup_id_z 0
		.amdhsa_system_sgpr_workgroup_info 0
		.amdhsa_system_vgpr_workitem_id 0
		.amdhsa_next_free_vgpr 1
		.amdhsa_next_free_sgpr 1
		.amdhsa_reserve_vcc 0
		.amdhsa_float_round_mode_32 0
		.amdhsa_float_round_mode_16_64 0
		.amdhsa_float_denorm_mode_32 3
		.amdhsa_float_denorm_mode_16_64 3
		.amdhsa_dx10_clamp 1
		.amdhsa_ieee_mode 1
		.amdhsa_fp16_overflow 0
		.amdhsa_workgroup_processor_mode 1
		.amdhsa_memory_ordered 1
		.amdhsa_forward_progress 0
		.amdhsa_shared_vgpr_count 0
		.amdhsa_exception_fp_ieee_invalid_op 0
		.amdhsa_exception_fp_denorm_src 0
		.amdhsa_exception_fp_ieee_div_zero 0
		.amdhsa_exception_fp_ieee_overflow 0
		.amdhsa_exception_fp_ieee_underflow 0
		.amdhsa_exception_fp_ieee_inexact 0
		.amdhsa_exception_int_div_zero 0
	.end_amdhsa_kernel
	.section	.text._ZN7rocprim17ROCPRIM_400000_NS6detail17trampoline_kernelINS0_14default_configENS1_29reduce_by_key_config_selectorIssN6thrust23THRUST_200600_302600_NS4plusIsEEEEZZNS1_33reduce_by_key_impl_wrapped_configILNS1_25lookback_scan_determinismE0ES3_S9_NS6_6detail15normal_iteratorINS6_10device_ptrIsEEEESG_SG_SG_PmS8_22is_equal_div_10_reduceIsEEE10hipError_tPvRmT2_T3_mT4_T5_T6_T7_T8_P12ihipStream_tbENKUlT_T0_E_clISt17integral_constantIbLb1EES10_IbLb0EEEEDaSW_SX_EUlSW_E_NS1_11comp_targetILNS1_3genE4ELNS1_11target_archE910ELNS1_3gpuE8ELNS1_3repE0EEENS1_30default_config_static_selectorELNS0_4arch9wavefront6targetE0EEEvT1_,"axG",@progbits,_ZN7rocprim17ROCPRIM_400000_NS6detail17trampoline_kernelINS0_14default_configENS1_29reduce_by_key_config_selectorIssN6thrust23THRUST_200600_302600_NS4plusIsEEEEZZNS1_33reduce_by_key_impl_wrapped_configILNS1_25lookback_scan_determinismE0ES3_S9_NS6_6detail15normal_iteratorINS6_10device_ptrIsEEEESG_SG_SG_PmS8_22is_equal_div_10_reduceIsEEE10hipError_tPvRmT2_T3_mT4_T5_T6_T7_T8_P12ihipStream_tbENKUlT_T0_E_clISt17integral_constantIbLb1EES10_IbLb0EEEEDaSW_SX_EUlSW_E_NS1_11comp_targetILNS1_3genE4ELNS1_11target_archE910ELNS1_3gpuE8ELNS1_3repE0EEENS1_30default_config_static_selectorELNS0_4arch9wavefront6targetE0EEEvT1_,comdat
.Lfunc_end681:
	.size	_ZN7rocprim17ROCPRIM_400000_NS6detail17trampoline_kernelINS0_14default_configENS1_29reduce_by_key_config_selectorIssN6thrust23THRUST_200600_302600_NS4plusIsEEEEZZNS1_33reduce_by_key_impl_wrapped_configILNS1_25lookback_scan_determinismE0ES3_S9_NS6_6detail15normal_iteratorINS6_10device_ptrIsEEEESG_SG_SG_PmS8_22is_equal_div_10_reduceIsEEE10hipError_tPvRmT2_T3_mT4_T5_T6_T7_T8_P12ihipStream_tbENKUlT_T0_E_clISt17integral_constantIbLb1EES10_IbLb0EEEEDaSW_SX_EUlSW_E_NS1_11comp_targetILNS1_3genE4ELNS1_11target_archE910ELNS1_3gpuE8ELNS1_3repE0EEENS1_30default_config_static_selectorELNS0_4arch9wavefront6targetE0EEEvT1_, .Lfunc_end681-_ZN7rocprim17ROCPRIM_400000_NS6detail17trampoline_kernelINS0_14default_configENS1_29reduce_by_key_config_selectorIssN6thrust23THRUST_200600_302600_NS4plusIsEEEEZZNS1_33reduce_by_key_impl_wrapped_configILNS1_25lookback_scan_determinismE0ES3_S9_NS6_6detail15normal_iteratorINS6_10device_ptrIsEEEESG_SG_SG_PmS8_22is_equal_div_10_reduceIsEEE10hipError_tPvRmT2_T3_mT4_T5_T6_T7_T8_P12ihipStream_tbENKUlT_T0_E_clISt17integral_constantIbLb1EES10_IbLb0EEEEDaSW_SX_EUlSW_E_NS1_11comp_targetILNS1_3genE4ELNS1_11target_archE910ELNS1_3gpuE8ELNS1_3repE0EEENS1_30default_config_static_selectorELNS0_4arch9wavefront6targetE0EEEvT1_
                                        ; -- End function
	.section	.AMDGPU.csdata,"",@progbits
; Kernel info:
; codeLenInByte = 0
; NumSgprs: 0
; NumVgprs: 0
; ScratchSize: 0
; MemoryBound: 0
; FloatMode: 240
; IeeeMode: 1
; LDSByteSize: 0 bytes/workgroup (compile time only)
; SGPRBlocks: 0
; VGPRBlocks: 0
; NumSGPRsForWavesPerEU: 1
; NumVGPRsForWavesPerEU: 1
; Occupancy: 16
; WaveLimiterHint : 0
; COMPUTE_PGM_RSRC2:SCRATCH_EN: 0
; COMPUTE_PGM_RSRC2:USER_SGPR: 15
; COMPUTE_PGM_RSRC2:TRAP_HANDLER: 0
; COMPUTE_PGM_RSRC2:TGID_X_EN: 1
; COMPUTE_PGM_RSRC2:TGID_Y_EN: 0
; COMPUTE_PGM_RSRC2:TGID_Z_EN: 0
; COMPUTE_PGM_RSRC2:TIDIG_COMP_CNT: 0
	.section	.text._ZN7rocprim17ROCPRIM_400000_NS6detail17trampoline_kernelINS0_14default_configENS1_29reduce_by_key_config_selectorIssN6thrust23THRUST_200600_302600_NS4plusIsEEEEZZNS1_33reduce_by_key_impl_wrapped_configILNS1_25lookback_scan_determinismE0ES3_S9_NS6_6detail15normal_iteratorINS6_10device_ptrIsEEEESG_SG_SG_PmS8_22is_equal_div_10_reduceIsEEE10hipError_tPvRmT2_T3_mT4_T5_T6_T7_T8_P12ihipStream_tbENKUlT_T0_E_clISt17integral_constantIbLb1EES10_IbLb0EEEEDaSW_SX_EUlSW_E_NS1_11comp_targetILNS1_3genE3ELNS1_11target_archE908ELNS1_3gpuE7ELNS1_3repE0EEENS1_30default_config_static_selectorELNS0_4arch9wavefront6targetE0EEEvT1_,"axG",@progbits,_ZN7rocprim17ROCPRIM_400000_NS6detail17trampoline_kernelINS0_14default_configENS1_29reduce_by_key_config_selectorIssN6thrust23THRUST_200600_302600_NS4plusIsEEEEZZNS1_33reduce_by_key_impl_wrapped_configILNS1_25lookback_scan_determinismE0ES3_S9_NS6_6detail15normal_iteratorINS6_10device_ptrIsEEEESG_SG_SG_PmS8_22is_equal_div_10_reduceIsEEE10hipError_tPvRmT2_T3_mT4_T5_T6_T7_T8_P12ihipStream_tbENKUlT_T0_E_clISt17integral_constantIbLb1EES10_IbLb0EEEEDaSW_SX_EUlSW_E_NS1_11comp_targetILNS1_3genE3ELNS1_11target_archE908ELNS1_3gpuE7ELNS1_3repE0EEENS1_30default_config_static_selectorELNS0_4arch9wavefront6targetE0EEEvT1_,comdat
	.protected	_ZN7rocprim17ROCPRIM_400000_NS6detail17trampoline_kernelINS0_14default_configENS1_29reduce_by_key_config_selectorIssN6thrust23THRUST_200600_302600_NS4plusIsEEEEZZNS1_33reduce_by_key_impl_wrapped_configILNS1_25lookback_scan_determinismE0ES3_S9_NS6_6detail15normal_iteratorINS6_10device_ptrIsEEEESG_SG_SG_PmS8_22is_equal_div_10_reduceIsEEE10hipError_tPvRmT2_T3_mT4_T5_T6_T7_T8_P12ihipStream_tbENKUlT_T0_E_clISt17integral_constantIbLb1EES10_IbLb0EEEEDaSW_SX_EUlSW_E_NS1_11comp_targetILNS1_3genE3ELNS1_11target_archE908ELNS1_3gpuE7ELNS1_3repE0EEENS1_30default_config_static_selectorELNS0_4arch9wavefront6targetE0EEEvT1_ ; -- Begin function _ZN7rocprim17ROCPRIM_400000_NS6detail17trampoline_kernelINS0_14default_configENS1_29reduce_by_key_config_selectorIssN6thrust23THRUST_200600_302600_NS4plusIsEEEEZZNS1_33reduce_by_key_impl_wrapped_configILNS1_25lookback_scan_determinismE0ES3_S9_NS6_6detail15normal_iteratorINS6_10device_ptrIsEEEESG_SG_SG_PmS8_22is_equal_div_10_reduceIsEEE10hipError_tPvRmT2_T3_mT4_T5_T6_T7_T8_P12ihipStream_tbENKUlT_T0_E_clISt17integral_constantIbLb1EES10_IbLb0EEEEDaSW_SX_EUlSW_E_NS1_11comp_targetILNS1_3genE3ELNS1_11target_archE908ELNS1_3gpuE7ELNS1_3repE0EEENS1_30default_config_static_selectorELNS0_4arch9wavefront6targetE0EEEvT1_
	.globl	_ZN7rocprim17ROCPRIM_400000_NS6detail17trampoline_kernelINS0_14default_configENS1_29reduce_by_key_config_selectorIssN6thrust23THRUST_200600_302600_NS4plusIsEEEEZZNS1_33reduce_by_key_impl_wrapped_configILNS1_25lookback_scan_determinismE0ES3_S9_NS6_6detail15normal_iteratorINS6_10device_ptrIsEEEESG_SG_SG_PmS8_22is_equal_div_10_reduceIsEEE10hipError_tPvRmT2_T3_mT4_T5_T6_T7_T8_P12ihipStream_tbENKUlT_T0_E_clISt17integral_constantIbLb1EES10_IbLb0EEEEDaSW_SX_EUlSW_E_NS1_11comp_targetILNS1_3genE3ELNS1_11target_archE908ELNS1_3gpuE7ELNS1_3repE0EEENS1_30default_config_static_selectorELNS0_4arch9wavefront6targetE0EEEvT1_
	.p2align	8
	.type	_ZN7rocprim17ROCPRIM_400000_NS6detail17trampoline_kernelINS0_14default_configENS1_29reduce_by_key_config_selectorIssN6thrust23THRUST_200600_302600_NS4plusIsEEEEZZNS1_33reduce_by_key_impl_wrapped_configILNS1_25lookback_scan_determinismE0ES3_S9_NS6_6detail15normal_iteratorINS6_10device_ptrIsEEEESG_SG_SG_PmS8_22is_equal_div_10_reduceIsEEE10hipError_tPvRmT2_T3_mT4_T5_T6_T7_T8_P12ihipStream_tbENKUlT_T0_E_clISt17integral_constantIbLb1EES10_IbLb0EEEEDaSW_SX_EUlSW_E_NS1_11comp_targetILNS1_3genE3ELNS1_11target_archE908ELNS1_3gpuE7ELNS1_3repE0EEENS1_30default_config_static_selectorELNS0_4arch9wavefront6targetE0EEEvT1_,@function
_ZN7rocprim17ROCPRIM_400000_NS6detail17trampoline_kernelINS0_14default_configENS1_29reduce_by_key_config_selectorIssN6thrust23THRUST_200600_302600_NS4plusIsEEEEZZNS1_33reduce_by_key_impl_wrapped_configILNS1_25lookback_scan_determinismE0ES3_S9_NS6_6detail15normal_iteratorINS6_10device_ptrIsEEEESG_SG_SG_PmS8_22is_equal_div_10_reduceIsEEE10hipError_tPvRmT2_T3_mT4_T5_T6_T7_T8_P12ihipStream_tbENKUlT_T0_E_clISt17integral_constantIbLb1EES10_IbLb0EEEEDaSW_SX_EUlSW_E_NS1_11comp_targetILNS1_3genE3ELNS1_11target_archE908ELNS1_3gpuE7ELNS1_3repE0EEENS1_30default_config_static_selectorELNS0_4arch9wavefront6targetE0EEEvT1_: ; @_ZN7rocprim17ROCPRIM_400000_NS6detail17trampoline_kernelINS0_14default_configENS1_29reduce_by_key_config_selectorIssN6thrust23THRUST_200600_302600_NS4plusIsEEEEZZNS1_33reduce_by_key_impl_wrapped_configILNS1_25lookback_scan_determinismE0ES3_S9_NS6_6detail15normal_iteratorINS6_10device_ptrIsEEEESG_SG_SG_PmS8_22is_equal_div_10_reduceIsEEE10hipError_tPvRmT2_T3_mT4_T5_T6_T7_T8_P12ihipStream_tbENKUlT_T0_E_clISt17integral_constantIbLb1EES10_IbLb0EEEEDaSW_SX_EUlSW_E_NS1_11comp_targetILNS1_3genE3ELNS1_11target_archE908ELNS1_3gpuE7ELNS1_3repE0EEENS1_30default_config_static_selectorELNS0_4arch9wavefront6targetE0EEEvT1_
; %bb.0:
	.section	.rodata,"a",@progbits
	.p2align	6, 0x0
	.amdhsa_kernel _ZN7rocprim17ROCPRIM_400000_NS6detail17trampoline_kernelINS0_14default_configENS1_29reduce_by_key_config_selectorIssN6thrust23THRUST_200600_302600_NS4plusIsEEEEZZNS1_33reduce_by_key_impl_wrapped_configILNS1_25lookback_scan_determinismE0ES3_S9_NS6_6detail15normal_iteratorINS6_10device_ptrIsEEEESG_SG_SG_PmS8_22is_equal_div_10_reduceIsEEE10hipError_tPvRmT2_T3_mT4_T5_T6_T7_T8_P12ihipStream_tbENKUlT_T0_E_clISt17integral_constantIbLb1EES10_IbLb0EEEEDaSW_SX_EUlSW_E_NS1_11comp_targetILNS1_3genE3ELNS1_11target_archE908ELNS1_3gpuE7ELNS1_3repE0EEENS1_30default_config_static_selectorELNS0_4arch9wavefront6targetE0EEEvT1_
		.amdhsa_group_segment_fixed_size 0
		.amdhsa_private_segment_fixed_size 0
		.amdhsa_kernarg_size 120
		.amdhsa_user_sgpr_count 15
		.amdhsa_user_sgpr_dispatch_ptr 0
		.amdhsa_user_sgpr_queue_ptr 0
		.amdhsa_user_sgpr_kernarg_segment_ptr 1
		.amdhsa_user_sgpr_dispatch_id 0
		.amdhsa_user_sgpr_private_segment_size 0
		.amdhsa_wavefront_size32 1
		.amdhsa_uses_dynamic_stack 0
		.amdhsa_enable_private_segment 0
		.amdhsa_system_sgpr_workgroup_id_x 1
		.amdhsa_system_sgpr_workgroup_id_y 0
		.amdhsa_system_sgpr_workgroup_id_z 0
		.amdhsa_system_sgpr_workgroup_info 0
		.amdhsa_system_vgpr_workitem_id 0
		.amdhsa_next_free_vgpr 1
		.amdhsa_next_free_sgpr 1
		.amdhsa_reserve_vcc 0
		.amdhsa_float_round_mode_32 0
		.amdhsa_float_round_mode_16_64 0
		.amdhsa_float_denorm_mode_32 3
		.amdhsa_float_denorm_mode_16_64 3
		.amdhsa_dx10_clamp 1
		.amdhsa_ieee_mode 1
		.amdhsa_fp16_overflow 0
		.amdhsa_workgroup_processor_mode 1
		.amdhsa_memory_ordered 1
		.amdhsa_forward_progress 0
		.amdhsa_shared_vgpr_count 0
		.amdhsa_exception_fp_ieee_invalid_op 0
		.amdhsa_exception_fp_denorm_src 0
		.amdhsa_exception_fp_ieee_div_zero 0
		.amdhsa_exception_fp_ieee_overflow 0
		.amdhsa_exception_fp_ieee_underflow 0
		.amdhsa_exception_fp_ieee_inexact 0
		.amdhsa_exception_int_div_zero 0
	.end_amdhsa_kernel
	.section	.text._ZN7rocprim17ROCPRIM_400000_NS6detail17trampoline_kernelINS0_14default_configENS1_29reduce_by_key_config_selectorIssN6thrust23THRUST_200600_302600_NS4plusIsEEEEZZNS1_33reduce_by_key_impl_wrapped_configILNS1_25lookback_scan_determinismE0ES3_S9_NS6_6detail15normal_iteratorINS6_10device_ptrIsEEEESG_SG_SG_PmS8_22is_equal_div_10_reduceIsEEE10hipError_tPvRmT2_T3_mT4_T5_T6_T7_T8_P12ihipStream_tbENKUlT_T0_E_clISt17integral_constantIbLb1EES10_IbLb0EEEEDaSW_SX_EUlSW_E_NS1_11comp_targetILNS1_3genE3ELNS1_11target_archE908ELNS1_3gpuE7ELNS1_3repE0EEENS1_30default_config_static_selectorELNS0_4arch9wavefront6targetE0EEEvT1_,"axG",@progbits,_ZN7rocprim17ROCPRIM_400000_NS6detail17trampoline_kernelINS0_14default_configENS1_29reduce_by_key_config_selectorIssN6thrust23THRUST_200600_302600_NS4plusIsEEEEZZNS1_33reduce_by_key_impl_wrapped_configILNS1_25lookback_scan_determinismE0ES3_S9_NS6_6detail15normal_iteratorINS6_10device_ptrIsEEEESG_SG_SG_PmS8_22is_equal_div_10_reduceIsEEE10hipError_tPvRmT2_T3_mT4_T5_T6_T7_T8_P12ihipStream_tbENKUlT_T0_E_clISt17integral_constantIbLb1EES10_IbLb0EEEEDaSW_SX_EUlSW_E_NS1_11comp_targetILNS1_3genE3ELNS1_11target_archE908ELNS1_3gpuE7ELNS1_3repE0EEENS1_30default_config_static_selectorELNS0_4arch9wavefront6targetE0EEEvT1_,comdat
.Lfunc_end682:
	.size	_ZN7rocprim17ROCPRIM_400000_NS6detail17trampoline_kernelINS0_14default_configENS1_29reduce_by_key_config_selectorIssN6thrust23THRUST_200600_302600_NS4plusIsEEEEZZNS1_33reduce_by_key_impl_wrapped_configILNS1_25lookback_scan_determinismE0ES3_S9_NS6_6detail15normal_iteratorINS6_10device_ptrIsEEEESG_SG_SG_PmS8_22is_equal_div_10_reduceIsEEE10hipError_tPvRmT2_T3_mT4_T5_T6_T7_T8_P12ihipStream_tbENKUlT_T0_E_clISt17integral_constantIbLb1EES10_IbLb0EEEEDaSW_SX_EUlSW_E_NS1_11comp_targetILNS1_3genE3ELNS1_11target_archE908ELNS1_3gpuE7ELNS1_3repE0EEENS1_30default_config_static_selectorELNS0_4arch9wavefront6targetE0EEEvT1_, .Lfunc_end682-_ZN7rocprim17ROCPRIM_400000_NS6detail17trampoline_kernelINS0_14default_configENS1_29reduce_by_key_config_selectorIssN6thrust23THRUST_200600_302600_NS4plusIsEEEEZZNS1_33reduce_by_key_impl_wrapped_configILNS1_25lookback_scan_determinismE0ES3_S9_NS6_6detail15normal_iteratorINS6_10device_ptrIsEEEESG_SG_SG_PmS8_22is_equal_div_10_reduceIsEEE10hipError_tPvRmT2_T3_mT4_T5_T6_T7_T8_P12ihipStream_tbENKUlT_T0_E_clISt17integral_constantIbLb1EES10_IbLb0EEEEDaSW_SX_EUlSW_E_NS1_11comp_targetILNS1_3genE3ELNS1_11target_archE908ELNS1_3gpuE7ELNS1_3repE0EEENS1_30default_config_static_selectorELNS0_4arch9wavefront6targetE0EEEvT1_
                                        ; -- End function
	.section	.AMDGPU.csdata,"",@progbits
; Kernel info:
; codeLenInByte = 0
; NumSgprs: 0
; NumVgprs: 0
; ScratchSize: 0
; MemoryBound: 0
; FloatMode: 240
; IeeeMode: 1
; LDSByteSize: 0 bytes/workgroup (compile time only)
; SGPRBlocks: 0
; VGPRBlocks: 0
; NumSGPRsForWavesPerEU: 1
; NumVGPRsForWavesPerEU: 1
; Occupancy: 16
; WaveLimiterHint : 0
; COMPUTE_PGM_RSRC2:SCRATCH_EN: 0
; COMPUTE_PGM_RSRC2:USER_SGPR: 15
; COMPUTE_PGM_RSRC2:TRAP_HANDLER: 0
; COMPUTE_PGM_RSRC2:TGID_X_EN: 1
; COMPUTE_PGM_RSRC2:TGID_Y_EN: 0
; COMPUTE_PGM_RSRC2:TGID_Z_EN: 0
; COMPUTE_PGM_RSRC2:TIDIG_COMP_CNT: 0
	.section	.text._ZN7rocprim17ROCPRIM_400000_NS6detail17trampoline_kernelINS0_14default_configENS1_29reduce_by_key_config_selectorIssN6thrust23THRUST_200600_302600_NS4plusIsEEEEZZNS1_33reduce_by_key_impl_wrapped_configILNS1_25lookback_scan_determinismE0ES3_S9_NS6_6detail15normal_iteratorINS6_10device_ptrIsEEEESG_SG_SG_PmS8_22is_equal_div_10_reduceIsEEE10hipError_tPvRmT2_T3_mT4_T5_T6_T7_T8_P12ihipStream_tbENKUlT_T0_E_clISt17integral_constantIbLb1EES10_IbLb0EEEEDaSW_SX_EUlSW_E_NS1_11comp_targetILNS1_3genE2ELNS1_11target_archE906ELNS1_3gpuE6ELNS1_3repE0EEENS1_30default_config_static_selectorELNS0_4arch9wavefront6targetE0EEEvT1_,"axG",@progbits,_ZN7rocprim17ROCPRIM_400000_NS6detail17trampoline_kernelINS0_14default_configENS1_29reduce_by_key_config_selectorIssN6thrust23THRUST_200600_302600_NS4plusIsEEEEZZNS1_33reduce_by_key_impl_wrapped_configILNS1_25lookback_scan_determinismE0ES3_S9_NS6_6detail15normal_iteratorINS6_10device_ptrIsEEEESG_SG_SG_PmS8_22is_equal_div_10_reduceIsEEE10hipError_tPvRmT2_T3_mT4_T5_T6_T7_T8_P12ihipStream_tbENKUlT_T0_E_clISt17integral_constantIbLb1EES10_IbLb0EEEEDaSW_SX_EUlSW_E_NS1_11comp_targetILNS1_3genE2ELNS1_11target_archE906ELNS1_3gpuE6ELNS1_3repE0EEENS1_30default_config_static_selectorELNS0_4arch9wavefront6targetE0EEEvT1_,comdat
	.protected	_ZN7rocprim17ROCPRIM_400000_NS6detail17trampoline_kernelINS0_14default_configENS1_29reduce_by_key_config_selectorIssN6thrust23THRUST_200600_302600_NS4plusIsEEEEZZNS1_33reduce_by_key_impl_wrapped_configILNS1_25lookback_scan_determinismE0ES3_S9_NS6_6detail15normal_iteratorINS6_10device_ptrIsEEEESG_SG_SG_PmS8_22is_equal_div_10_reduceIsEEE10hipError_tPvRmT2_T3_mT4_T5_T6_T7_T8_P12ihipStream_tbENKUlT_T0_E_clISt17integral_constantIbLb1EES10_IbLb0EEEEDaSW_SX_EUlSW_E_NS1_11comp_targetILNS1_3genE2ELNS1_11target_archE906ELNS1_3gpuE6ELNS1_3repE0EEENS1_30default_config_static_selectorELNS0_4arch9wavefront6targetE0EEEvT1_ ; -- Begin function _ZN7rocprim17ROCPRIM_400000_NS6detail17trampoline_kernelINS0_14default_configENS1_29reduce_by_key_config_selectorIssN6thrust23THRUST_200600_302600_NS4plusIsEEEEZZNS1_33reduce_by_key_impl_wrapped_configILNS1_25lookback_scan_determinismE0ES3_S9_NS6_6detail15normal_iteratorINS6_10device_ptrIsEEEESG_SG_SG_PmS8_22is_equal_div_10_reduceIsEEE10hipError_tPvRmT2_T3_mT4_T5_T6_T7_T8_P12ihipStream_tbENKUlT_T0_E_clISt17integral_constantIbLb1EES10_IbLb0EEEEDaSW_SX_EUlSW_E_NS1_11comp_targetILNS1_3genE2ELNS1_11target_archE906ELNS1_3gpuE6ELNS1_3repE0EEENS1_30default_config_static_selectorELNS0_4arch9wavefront6targetE0EEEvT1_
	.globl	_ZN7rocprim17ROCPRIM_400000_NS6detail17trampoline_kernelINS0_14default_configENS1_29reduce_by_key_config_selectorIssN6thrust23THRUST_200600_302600_NS4plusIsEEEEZZNS1_33reduce_by_key_impl_wrapped_configILNS1_25lookback_scan_determinismE0ES3_S9_NS6_6detail15normal_iteratorINS6_10device_ptrIsEEEESG_SG_SG_PmS8_22is_equal_div_10_reduceIsEEE10hipError_tPvRmT2_T3_mT4_T5_T6_T7_T8_P12ihipStream_tbENKUlT_T0_E_clISt17integral_constantIbLb1EES10_IbLb0EEEEDaSW_SX_EUlSW_E_NS1_11comp_targetILNS1_3genE2ELNS1_11target_archE906ELNS1_3gpuE6ELNS1_3repE0EEENS1_30default_config_static_selectorELNS0_4arch9wavefront6targetE0EEEvT1_
	.p2align	8
	.type	_ZN7rocprim17ROCPRIM_400000_NS6detail17trampoline_kernelINS0_14default_configENS1_29reduce_by_key_config_selectorIssN6thrust23THRUST_200600_302600_NS4plusIsEEEEZZNS1_33reduce_by_key_impl_wrapped_configILNS1_25lookback_scan_determinismE0ES3_S9_NS6_6detail15normal_iteratorINS6_10device_ptrIsEEEESG_SG_SG_PmS8_22is_equal_div_10_reduceIsEEE10hipError_tPvRmT2_T3_mT4_T5_T6_T7_T8_P12ihipStream_tbENKUlT_T0_E_clISt17integral_constantIbLb1EES10_IbLb0EEEEDaSW_SX_EUlSW_E_NS1_11comp_targetILNS1_3genE2ELNS1_11target_archE906ELNS1_3gpuE6ELNS1_3repE0EEENS1_30default_config_static_selectorELNS0_4arch9wavefront6targetE0EEEvT1_,@function
_ZN7rocprim17ROCPRIM_400000_NS6detail17trampoline_kernelINS0_14default_configENS1_29reduce_by_key_config_selectorIssN6thrust23THRUST_200600_302600_NS4plusIsEEEEZZNS1_33reduce_by_key_impl_wrapped_configILNS1_25lookback_scan_determinismE0ES3_S9_NS6_6detail15normal_iteratorINS6_10device_ptrIsEEEESG_SG_SG_PmS8_22is_equal_div_10_reduceIsEEE10hipError_tPvRmT2_T3_mT4_T5_T6_T7_T8_P12ihipStream_tbENKUlT_T0_E_clISt17integral_constantIbLb1EES10_IbLb0EEEEDaSW_SX_EUlSW_E_NS1_11comp_targetILNS1_3genE2ELNS1_11target_archE906ELNS1_3gpuE6ELNS1_3repE0EEENS1_30default_config_static_selectorELNS0_4arch9wavefront6targetE0EEEvT1_: ; @_ZN7rocprim17ROCPRIM_400000_NS6detail17trampoline_kernelINS0_14default_configENS1_29reduce_by_key_config_selectorIssN6thrust23THRUST_200600_302600_NS4plusIsEEEEZZNS1_33reduce_by_key_impl_wrapped_configILNS1_25lookback_scan_determinismE0ES3_S9_NS6_6detail15normal_iteratorINS6_10device_ptrIsEEEESG_SG_SG_PmS8_22is_equal_div_10_reduceIsEEE10hipError_tPvRmT2_T3_mT4_T5_T6_T7_T8_P12ihipStream_tbENKUlT_T0_E_clISt17integral_constantIbLb1EES10_IbLb0EEEEDaSW_SX_EUlSW_E_NS1_11comp_targetILNS1_3genE2ELNS1_11target_archE906ELNS1_3gpuE6ELNS1_3repE0EEENS1_30default_config_static_selectorELNS0_4arch9wavefront6targetE0EEEvT1_
; %bb.0:
	.section	.rodata,"a",@progbits
	.p2align	6, 0x0
	.amdhsa_kernel _ZN7rocprim17ROCPRIM_400000_NS6detail17trampoline_kernelINS0_14default_configENS1_29reduce_by_key_config_selectorIssN6thrust23THRUST_200600_302600_NS4plusIsEEEEZZNS1_33reduce_by_key_impl_wrapped_configILNS1_25lookback_scan_determinismE0ES3_S9_NS6_6detail15normal_iteratorINS6_10device_ptrIsEEEESG_SG_SG_PmS8_22is_equal_div_10_reduceIsEEE10hipError_tPvRmT2_T3_mT4_T5_T6_T7_T8_P12ihipStream_tbENKUlT_T0_E_clISt17integral_constantIbLb1EES10_IbLb0EEEEDaSW_SX_EUlSW_E_NS1_11comp_targetILNS1_3genE2ELNS1_11target_archE906ELNS1_3gpuE6ELNS1_3repE0EEENS1_30default_config_static_selectorELNS0_4arch9wavefront6targetE0EEEvT1_
		.amdhsa_group_segment_fixed_size 0
		.amdhsa_private_segment_fixed_size 0
		.amdhsa_kernarg_size 120
		.amdhsa_user_sgpr_count 15
		.amdhsa_user_sgpr_dispatch_ptr 0
		.amdhsa_user_sgpr_queue_ptr 0
		.amdhsa_user_sgpr_kernarg_segment_ptr 1
		.amdhsa_user_sgpr_dispatch_id 0
		.amdhsa_user_sgpr_private_segment_size 0
		.amdhsa_wavefront_size32 1
		.amdhsa_uses_dynamic_stack 0
		.amdhsa_enable_private_segment 0
		.amdhsa_system_sgpr_workgroup_id_x 1
		.amdhsa_system_sgpr_workgroup_id_y 0
		.amdhsa_system_sgpr_workgroup_id_z 0
		.amdhsa_system_sgpr_workgroup_info 0
		.amdhsa_system_vgpr_workitem_id 0
		.amdhsa_next_free_vgpr 1
		.amdhsa_next_free_sgpr 1
		.amdhsa_reserve_vcc 0
		.amdhsa_float_round_mode_32 0
		.amdhsa_float_round_mode_16_64 0
		.amdhsa_float_denorm_mode_32 3
		.amdhsa_float_denorm_mode_16_64 3
		.amdhsa_dx10_clamp 1
		.amdhsa_ieee_mode 1
		.amdhsa_fp16_overflow 0
		.amdhsa_workgroup_processor_mode 1
		.amdhsa_memory_ordered 1
		.amdhsa_forward_progress 0
		.amdhsa_shared_vgpr_count 0
		.amdhsa_exception_fp_ieee_invalid_op 0
		.amdhsa_exception_fp_denorm_src 0
		.amdhsa_exception_fp_ieee_div_zero 0
		.amdhsa_exception_fp_ieee_overflow 0
		.amdhsa_exception_fp_ieee_underflow 0
		.amdhsa_exception_fp_ieee_inexact 0
		.amdhsa_exception_int_div_zero 0
	.end_amdhsa_kernel
	.section	.text._ZN7rocprim17ROCPRIM_400000_NS6detail17trampoline_kernelINS0_14default_configENS1_29reduce_by_key_config_selectorIssN6thrust23THRUST_200600_302600_NS4plusIsEEEEZZNS1_33reduce_by_key_impl_wrapped_configILNS1_25lookback_scan_determinismE0ES3_S9_NS6_6detail15normal_iteratorINS6_10device_ptrIsEEEESG_SG_SG_PmS8_22is_equal_div_10_reduceIsEEE10hipError_tPvRmT2_T3_mT4_T5_T6_T7_T8_P12ihipStream_tbENKUlT_T0_E_clISt17integral_constantIbLb1EES10_IbLb0EEEEDaSW_SX_EUlSW_E_NS1_11comp_targetILNS1_3genE2ELNS1_11target_archE906ELNS1_3gpuE6ELNS1_3repE0EEENS1_30default_config_static_selectorELNS0_4arch9wavefront6targetE0EEEvT1_,"axG",@progbits,_ZN7rocprim17ROCPRIM_400000_NS6detail17trampoline_kernelINS0_14default_configENS1_29reduce_by_key_config_selectorIssN6thrust23THRUST_200600_302600_NS4plusIsEEEEZZNS1_33reduce_by_key_impl_wrapped_configILNS1_25lookback_scan_determinismE0ES3_S9_NS6_6detail15normal_iteratorINS6_10device_ptrIsEEEESG_SG_SG_PmS8_22is_equal_div_10_reduceIsEEE10hipError_tPvRmT2_T3_mT4_T5_T6_T7_T8_P12ihipStream_tbENKUlT_T0_E_clISt17integral_constantIbLb1EES10_IbLb0EEEEDaSW_SX_EUlSW_E_NS1_11comp_targetILNS1_3genE2ELNS1_11target_archE906ELNS1_3gpuE6ELNS1_3repE0EEENS1_30default_config_static_selectorELNS0_4arch9wavefront6targetE0EEEvT1_,comdat
.Lfunc_end683:
	.size	_ZN7rocprim17ROCPRIM_400000_NS6detail17trampoline_kernelINS0_14default_configENS1_29reduce_by_key_config_selectorIssN6thrust23THRUST_200600_302600_NS4plusIsEEEEZZNS1_33reduce_by_key_impl_wrapped_configILNS1_25lookback_scan_determinismE0ES3_S9_NS6_6detail15normal_iteratorINS6_10device_ptrIsEEEESG_SG_SG_PmS8_22is_equal_div_10_reduceIsEEE10hipError_tPvRmT2_T3_mT4_T5_T6_T7_T8_P12ihipStream_tbENKUlT_T0_E_clISt17integral_constantIbLb1EES10_IbLb0EEEEDaSW_SX_EUlSW_E_NS1_11comp_targetILNS1_3genE2ELNS1_11target_archE906ELNS1_3gpuE6ELNS1_3repE0EEENS1_30default_config_static_selectorELNS0_4arch9wavefront6targetE0EEEvT1_, .Lfunc_end683-_ZN7rocprim17ROCPRIM_400000_NS6detail17trampoline_kernelINS0_14default_configENS1_29reduce_by_key_config_selectorIssN6thrust23THRUST_200600_302600_NS4plusIsEEEEZZNS1_33reduce_by_key_impl_wrapped_configILNS1_25lookback_scan_determinismE0ES3_S9_NS6_6detail15normal_iteratorINS6_10device_ptrIsEEEESG_SG_SG_PmS8_22is_equal_div_10_reduceIsEEE10hipError_tPvRmT2_T3_mT4_T5_T6_T7_T8_P12ihipStream_tbENKUlT_T0_E_clISt17integral_constantIbLb1EES10_IbLb0EEEEDaSW_SX_EUlSW_E_NS1_11comp_targetILNS1_3genE2ELNS1_11target_archE906ELNS1_3gpuE6ELNS1_3repE0EEENS1_30default_config_static_selectorELNS0_4arch9wavefront6targetE0EEEvT1_
                                        ; -- End function
	.section	.AMDGPU.csdata,"",@progbits
; Kernel info:
; codeLenInByte = 0
; NumSgprs: 0
; NumVgprs: 0
; ScratchSize: 0
; MemoryBound: 0
; FloatMode: 240
; IeeeMode: 1
; LDSByteSize: 0 bytes/workgroup (compile time only)
; SGPRBlocks: 0
; VGPRBlocks: 0
; NumSGPRsForWavesPerEU: 1
; NumVGPRsForWavesPerEU: 1
; Occupancy: 16
; WaveLimiterHint : 0
; COMPUTE_PGM_RSRC2:SCRATCH_EN: 0
; COMPUTE_PGM_RSRC2:USER_SGPR: 15
; COMPUTE_PGM_RSRC2:TRAP_HANDLER: 0
; COMPUTE_PGM_RSRC2:TGID_X_EN: 1
; COMPUTE_PGM_RSRC2:TGID_Y_EN: 0
; COMPUTE_PGM_RSRC2:TGID_Z_EN: 0
; COMPUTE_PGM_RSRC2:TIDIG_COMP_CNT: 0
	.section	.text._ZN7rocprim17ROCPRIM_400000_NS6detail17trampoline_kernelINS0_14default_configENS1_29reduce_by_key_config_selectorIssN6thrust23THRUST_200600_302600_NS4plusIsEEEEZZNS1_33reduce_by_key_impl_wrapped_configILNS1_25lookback_scan_determinismE0ES3_S9_NS6_6detail15normal_iteratorINS6_10device_ptrIsEEEESG_SG_SG_PmS8_22is_equal_div_10_reduceIsEEE10hipError_tPvRmT2_T3_mT4_T5_T6_T7_T8_P12ihipStream_tbENKUlT_T0_E_clISt17integral_constantIbLb1EES10_IbLb0EEEEDaSW_SX_EUlSW_E_NS1_11comp_targetILNS1_3genE10ELNS1_11target_archE1201ELNS1_3gpuE5ELNS1_3repE0EEENS1_30default_config_static_selectorELNS0_4arch9wavefront6targetE0EEEvT1_,"axG",@progbits,_ZN7rocprim17ROCPRIM_400000_NS6detail17trampoline_kernelINS0_14default_configENS1_29reduce_by_key_config_selectorIssN6thrust23THRUST_200600_302600_NS4plusIsEEEEZZNS1_33reduce_by_key_impl_wrapped_configILNS1_25lookback_scan_determinismE0ES3_S9_NS6_6detail15normal_iteratorINS6_10device_ptrIsEEEESG_SG_SG_PmS8_22is_equal_div_10_reduceIsEEE10hipError_tPvRmT2_T3_mT4_T5_T6_T7_T8_P12ihipStream_tbENKUlT_T0_E_clISt17integral_constantIbLb1EES10_IbLb0EEEEDaSW_SX_EUlSW_E_NS1_11comp_targetILNS1_3genE10ELNS1_11target_archE1201ELNS1_3gpuE5ELNS1_3repE0EEENS1_30default_config_static_selectorELNS0_4arch9wavefront6targetE0EEEvT1_,comdat
	.protected	_ZN7rocprim17ROCPRIM_400000_NS6detail17trampoline_kernelINS0_14default_configENS1_29reduce_by_key_config_selectorIssN6thrust23THRUST_200600_302600_NS4plusIsEEEEZZNS1_33reduce_by_key_impl_wrapped_configILNS1_25lookback_scan_determinismE0ES3_S9_NS6_6detail15normal_iteratorINS6_10device_ptrIsEEEESG_SG_SG_PmS8_22is_equal_div_10_reduceIsEEE10hipError_tPvRmT2_T3_mT4_T5_T6_T7_T8_P12ihipStream_tbENKUlT_T0_E_clISt17integral_constantIbLb1EES10_IbLb0EEEEDaSW_SX_EUlSW_E_NS1_11comp_targetILNS1_3genE10ELNS1_11target_archE1201ELNS1_3gpuE5ELNS1_3repE0EEENS1_30default_config_static_selectorELNS0_4arch9wavefront6targetE0EEEvT1_ ; -- Begin function _ZN7rocprim17ROCPRIM_400000_NS6detail17trampoline_kernelINS0_14default_configENS1_29reduce_by_key_config_selectorIssN6thrust23THRUST_200600_302600_NS4plusIsEEEEZZNS1_33reduce_by_key_impl_wrapped_configILNS1_25lookback_scan_determinismE0ES3_S9_NS6_6detail15normal_iteratorINS6_10device_ptrIsEEEESG_SG_SG_PmS8_22is_equal_div_10_reduceIsEEE10hipError_tPvRmT2_T3_mT4_T5_T6_T7_T8_P12ihipStream_tbENKUlT_T0_E_clISt17integral_constantIbLb1EES10_IbLb0EEEEDaSW_SX_EUlSW_E_NS1_11comp_targetILNS1_3genE10ELNS1_11target_archE1201ELNS1_3gpuE5ELNS1_3repE0EEENS1_30default_config_static_selectorELNS0_4arch9wavefront6targetE0EEEvT1_
	.globl	_ZN7rocprim17ROCPRIM_400000_NS6detail17trampoline_kernelINS0_14default_configENS1_29reduce_by_key_config_selectorIssN6thrust23THRUST_200600_302600_NS4plusIsEEEEZZNS1_33reduce_by_key_impl_wrapped_configILNS1_25lookback_scan_determinismE0ES3_S9_NS6_6detail15normal_iteratorINS6_10device_ptrIsEEEESG_SG_SG_PmS8_22is_equal_div_10_reduceIsEEE10hipError_tPvRmT2_T3_mT4_T5_T6_T7_T8_P12ihipStream_tbENKUlT_T0_E_clISt17integral_constantIbLb1EES10_IbLb0EEEEDaSW_SX_EUlSW_E_NS1_11comp_targetILNS1_3genE10ELNS1_11target_archE1201ELNS1_3gpuE5ELNS1_3repE0EEENS1_30default_config_static_selectorELNS0_4arch9wavefront6targetE0EEEvT1_
	.p2align	8
	.type	_ZN7rocprim17ROCPRIM_400000_NS6detail17trampoline_kernelINS0_14default_configENS1_29reduce_by_key_config_selectorIssN6thrust23THRUST_200600_302600_NS4plusIsEEEEZZNS1_33reduce_by_key_impl_wrapped_configILNS1_25lookback_scan_determinismE0ES3_S9_NS6_6detail15normal_iteratorINS6_10device_ptrIsEEEESG_SG_SG_PmS8_22is_equal_div_10_reduceIsEEE10hipError_tPvRmT2_T3_mT4_T5_T6_T7_T8_P12ihipStream_tbENKUlT_T0_E_clISt17integral_constantIbLb1EES10_IbLb0EEEEDaSW_SX_EUlSW_E_NS1_11comp_targetILNS1_3genE10ELNS1_11target_archE1201ELNS1_3gpuE5ELNS1_3repE0EEENS1_30default_config_static_selectorELNS0_4arch9wavefront6targetE0EEEvT1_,@function
_ZN7rocprim17ROCPRIM_400000_NS6detail17trampoline_kernelINS0_14default_configENS1_29reduce_by_key_config_selectorIssN6thrust23THRUST_200600_302600_NS4plusIsEEEEZZNS1_33reduce_by_key_impl_wrapped_configILNS1_25lookback_scan_determinismE0ES3_S9_NS6_6detail15normal_iteratorINS6_10device_ptrIsEEEESG_SG_SG_PmS8_22is_equal_div_10_reduceIsEEE10hipError_tPvRmT2_T3_mT4_T5_T6_T7_T8_P12ihipStream_tbENKUlT_T0_E_clISt17integral_constantIbLb1EES10_IbLb0EEEEDaSW_SX_EUlSW_E_NS1_11comp_targetILNS1_3genE10ELNS1_11target_archE1201ELNS1_3gpuE5ELNS1_3repE0EEENS1_30default_config_static_selectorELNS0_4arch9wavefront6targetE0EEEvT1_: ; @_ZN7rocprim17ROCPRIM_400000_NS6detail17trampoline_kernelINS0_14default_configENS1_29reduce_by_key_config_selectorIssN6thrust23THRUST_200600_302600_NS4plusIsEEEEZZNS1_33reduce_by_key_impl_wrapped_configILNS1_25lookback_scan_determinismE0ES3_S9_NS6_6detail15normal_iteratorINS6_10device_ptrIsEEEESG_SG_SG_PmS8_22is_equal_div_10_reduceIsEEE10hipError_tPvRmT2_T3_mT4_T5_T6_T7_T8_P12ihipStream_tbENKUlT_T0_E_clISt17integral_constantIbLb1EES10_IbLb0EEEEDaSW_SX_EUlSW_E_NS1_11comp_targetILNS1_3genE10ELNS1_11target_archE1201ELNS1_3gpuE5ELNS1_3repE0EEENS1_30default_config_static_selectorELNS0_4arch9wavefront6targetE0EEEvT1_
; %bb.0:
	.section	.rodata,"a",@progbits
	.p2align	6, 0x0
	.amdhsa_kernel _ZN7rocprim17ROCPRIM_400000_NS6detail17trampoline_kernelINS0_14default_configENS1_29reduce_by_key_config_selectorIssN6thrust23THRUST_200600_302600_NS4plusIsEEEEZZNS1_33reduce_by_key_impl_wrapped_configILNS1_25lookback_scan_determinismE0ES3_S9_NS6_6detail15normal_iteratorINS6_10device_ptrIsEEEESG_SG_SG_PmS8_22is_equal_div_10_reduceIsEEE10hipError_tPvRmT2_T3_mT4_T5_T6_T7_T8_P12ihipStream_tbENKUlT_T0_E_clISt17integral_constantIbLb1EES10_IbLb0EEEEDaSW_SX_EUlSW_E_NS1_11comp_targetILNS1_3genE10ELNS1_11target_archE1201ELNS1_3gpuE5ELNS1_3repE0EEENS1_30default_config_static_selectorELNS0_4arch9wavefront6targetE0EEEvT1_
		.amdhsa_group_segment_fixed_size 0
		.amdhsa_private_segment_fixed_size 0
		.amdhsa_kernarg_size 120
		.amdhsa_user_sgpr_count 15
		.amdhsa_user_sgpr_dispatch_ptr 0
		.amdhsa_user_sgpr_queue_ptr 0
		.amdhsa_user_sgpr_kernarg_segment_ptr 1
		.amdhsa_user_sgpr_dispatch_id 0
		.amdhsa_user_sgpr_private_segment_size 0
		.amdhsa_wavefront_size32 1
		.amdhsa_uses_dynamic_stack 0
		.amdhsa_enable_private_segment 0
		.amdhsa_system_sgpr_workgroup_id_x 1
		.amdhsa_system_sgpr_workgroup_id_y 0
		.amdhsa_system_sgpr_workgroup_id_z 0
		.amdhsa_system_sgpr_workgroup_info 0
		.amdhsa_system_vgpr_workitem_id 0
		.amdhsa_next_free_vgpr 1
		.amdhsa_next_free_sgpr 1
		.amdhsa_reserve_vcc 0
		.amdhsa_float_round_mode_32 0
		.amdhsa_float_round_mode_16_64 0
		.amdhsa_float_denorm_mode_32 3
		.amdhsa_float_denorm_mode_16_64 3
		.amdhsa_dx10_clamp 1
		.amdhsa_ieee_mode 1
		.amdhsa_fp16_overflow 0
		.amdhsa_workgroup_processor_mode 1
		.amdhsa_memory_ordered 1
		.amdhsa_forward_progress 0
		.amdhsa_shared_vgpr_count 0
		.amdhsa_exception_fp_ieee_invalid_op 0
		.amdhsa_exception_fp_denorm_src 0
		.amdhsa_exception_fp_ieee_div_zero 0
		.amdhsa_exception_fp_ieee_overflow 0
		.amdhsa_exception_fp_ieee_underflow 0
		.amdhsa_exception_fp_ieee_inexact 0
		.amdhsa_exception_int_div_zero 0
	.end_amdhsa_kernel
	.section	.text._ZN7rocprim17ROCPRIM_400000_NS6detail17trampoline_kernelINS0_14default_configENS1_29reduce_by_key_config_selectorIssN6thrust23THRUST_200600_302600_NS4plusIsEEEEZZNS1_33reduce_by_key_impl_wrapped_configILNS1_25lookback_scan_determinismE0ES3_S9_NS6_6detail15normal_iteratorINS6_10device_ptrIsEEEESG_SG_SG_PmS8_22is_equal_div_10_reduceIsEEE10hipError_tPvRmT2_T3_mT4_T5_T6_T7_T8_P12ihipStream_tbENKUlT_T0_E_clISt17integral_constantIbLb1EES10_IbLb0EEEEDaSW_SX_EUlSW_E_NS1_11comp_targetILNS1_3genE10ELNS1_11target_archE1201ELNS1_3gpuE5ELNS1_3repE0EEENS1_30default_config_static_selectorELNS0_4arch9wavefront6targetE0EEEvT1_,"axG",@progbits,_ZN7rocprim17ROCPRIM_400000_NS6detail17trampoline_kernelINS0_14default_configENS1_29reduce_by_key_config_selectorIssN6thrust23THRUST_200600_302600_NS4plusIsEEEEZZNS1_33reduce_by_key_impl_wrapped_configILNS1_25lookback_scan_determinismE0ES3_S9_NS6_6detail15normal_iteratorINS6_10device_ptrIsEEEESG_SG_SG_PmS8_22is_equal_div_10_reduceIsEEE10hipError_tPvRmT2_T3_mT4_T5_T6_T7_T8_P12ihipStream_tbENKUlT_T0_E_clISt17integral_constantIbLb1EES10_IbLb0EEEEDaSW_SX_EUlSW_E_NS1_11comp_targetILNS1_3genE10ELNS1_11target_archE1201ELNS1_3gpuE5ELNS1_3repE0EEENS1_30default_config_static_selectorELNS0_4arch9wavefront6targetE0EEEvT1_,comdat
.Lfunc_end684:
	.size	_ZN7rocprim17ROCPRIM_400000_NS6detail17trampoline_kernelINS0_14default_configENS1_29reduce_by_key_config_selectorIssN6thrust23THRUST_200600_302600_NS4plusIsEEEEZZNS1_33reduce_by_key_impl_wrapped_configILNS1_25lookback_scan_determinismE0ES3_S9_NS6_6detail15normal_iteratorINS6_10device_ptrIsEEEESG_SG_SG_PmS8_22is_equal_div_10_reduceIsEEE10hipError_tPvRmT2_T3_mT4_T5_T6_T7_T8_P12ihipStream_tbENKUlT_T0_E_clISt17integral_constantIbLb1EES10_IbLb0EEEEDaSW_SX_EUlSW_E_NS1_11comp_targetILNS1_3genE10ELNS1_11target_archE1201ELNS1_3gpuE5ELNS1_3repE0EEENS1_30default_config_static_selectorELNS0_4arch9wavefront6targetE0EEEvT1_, .Lfunc_end684-_ZN7rocprim17ROCPRIM_400000_NS6detail17trampoline_kernelINS0_14default_configENS1_29reduce_by_key_config_selectorIssN6thrust23THRUST_200600_302600_NS4plusIsEEEEZZNS1_33reduce_by_key_impl_wrapped_configILNS1_25lookback_scan_determinismE0ES3_S9_NS6_6detail15normal_iteratorINS6_10device_ptrIsEEEESG_SG_SG_PmS8_22is_equal_div_10_reduceIsEEE10hipError_tPvRmT2_T3_mT4_T5_T6_T7_T8_P12ihipStream_tbENKUlT_T0_E_clISt17integral_constantIbLb1EES10_IbLb0EEEEDaSW_SX_EUlSW_E_NS1_11comp_targetILNS1_3genE10ELNS1_11target_archE1201ELNS1_3gpuE5ELNS1_3repE0EEENS1_30default_config_static_selectorELNS0_4arch9wavefront6targetE0EEEvT1_
                                        ; -- End function
	.section	.AMDGPU.csdata,"",@progbits
; Kernel info:
; codeLenInByte = 0
; NumSgprs: 0
; NumVgprs: 0
; ScratchSize: 0
; MemoryBound: 0
; FloatMode: 240
; IeeeMode: 1
; LDSByteSize: 0 bytes/workgroup (compile time only)
; SGPRBlocks: 0
; VGPRBlocks: 0
; NumSGPRsForWavesPerEU: 1
; NumVGPRsForWavesPerEU: 1
; Occupancy: 16
; WaveLimiterHint : 0
; COMPUTE_PGM_RSRC2:SCRATCH_EN: 0
; COMPUTE_PGM_RSRC2:USER_SGPR: 15
; COMPUTE_PGM_RSRC2:TRAP_HANDLER: 0
; COMPUTE_PGM_RSRC2:TGID_X_EN: 1
; COMPUTE_PGM_RSRC2:TGID_Y_EN: 0
; COMPUTE_PGM_RSRC2:TGID_Z_EN: 0
; COMPUTE_PGM_RSRC2:TIDIG_COMP_CNT: 0
	.section	.text._ZN7rocprim17ROCPRIM_400000_NS6detail17trampoline_kernelINS0_14default_configENS1_29reduce_by_key_config_selectorIssN6thrust23THRUST_200600_302600_NS4plusIsEEEEZZNS1_33reduce_by_key_impl_wrapped_configILNS1_25lookback_scan_determinismE0ES3_S9_NS6_6detail15normal_iteratorINS6_10device_ptrIsEEEESG_SG_SG_PmS8_22is_equal_div_10_reduceIsEEE10hipError_tPvRmT2_T3_mT4_T5_T6_T7_T8_P12ihipStream_tbENKUlT_T0_E_clISt17integral_constantIbLb1EES10_IbLb0EEEEDaSW_SX_EUlSW_E_NS1_11comp_targetILNS1_3genE10ELNS1_11target_archE1200ELNS1_3gpuE4ELNS1_3repE0EEENS1_30default_config_static_selectorELNS0_4arch9wavefront6targetE0EEEvT1_,"axG",@progbits,_ZN7rocprim17ROCPRIM_400000_NS6detail17trampoline_kernelINS0_14default_configENS1_29reduce_by_key_config_selectorIssN6thrust23THRUST_200600_302600_NS4plusIsEEEEZZNS1_33reduce_by_key_impl_wrapped_configILNS1_25lookback_scan_determinismE0ES3_S9_NS6_6detail15normal_iteratorINS6_10device_ptrIsEEEESG_SG_SG_PmS8_22is_equal_div_10_reduceIsEEE10hipError_tPvRmT2_T3_mT4_T5_T6_T7_T8_P12ihipStream_tbENKUlT_T0_E_clISt17integral_constantIbLb1EES10_IbLb0EEEEDaSW_SX_EUlSW_E_NS1_11comp_targetILNS1_3genE10ELNS1_11target_archE1200ELNS1_3gpuE4ELNS1_3repE0EEENS1_30default_config_static_selectorELNS0_4arch9wavefront6targetE0EEEvT1_,comdat
	.protected	_ZN7rocprim17ROCPRIM_400000_NS6detail17trampoline_kernelINS0_14default_configENS1_29reduce_by_key_config_selectorIssN6thrust23THRUST_200600_302600_NS4plusIsEEEEZZNS1_33reduce_by_key_impl_wrapped_configILNS1_25lookback_scan_determinismE0ES3_S9_NS6_6detail15normal_iteratorINS6_10device_ptrIsEEEESG_SG_SG_PmS8_22is_equal_div_10_reduceIsEEE10hipError_tPvRmT2_T3_mT4_T5_T6_T7_T8_P12ihipStream_tbENKUlT_T0_E_clISt17integral_constantIbLb1EES10_IbLb0EEEEDaSW_SX_EUlSW_E_NS1_11comp_targetILNS1_3genE10ELNS1_11target_archE1200ELNS1_3gpuE4ELNS1_3repE0EEENS1_30default_config_static_selectorELNS0_4arch9wavefront6targetE0EEEvT1_ ; -- Begin function _ZN7rocprim17ROCPRIM_400000_NS6detail17trampoline_kernelINS0_14default_configENS1_29reduce_by_key_config_selectorIssN6thrust23THRUST_200600_302600_NS4plusIsEEEEZZNS1_33reduce_by_key_impl_wrapped_configILNS1_25lookback_scan_determinismE0ES3_S9_NS6_6detail15normal_iteratorINS6_10device_ptrIsEEEESG_SG_SG_PmS8_22is_equal_div_10_reduceIsEEE10hipError_tPvRmT2_T3_mT4_T5_T6_T7_T8_P12ihipStream_tbENKUlT_T0_E_clISt17integral_constantIbLb1EES10_IbLb0EEEEDaSW_SX_EUlSW_E_NS1_11comp_targetILNS1_3genE10ELNS1_11target_archE1200ELNS1_3gpuE4ELNS1_3repE0EEENS1_30default_config_static_selectorELNS0_4arch9wavefront6targetE0EEEvT1_
	.globl	_ZN7rocprim17ROCPRIM_400000_NS6detail17trampoline_kernelINS0_14default_configENS1_29reduce_by_key_config_selectorIssN6thrust23THRUST_200600_302600_NS4plusIsEEEEZZNS1_33reduce_by_key_impl_wrapped_configILNS1_25lookback_scan_determinismE0ES3_S9_NS6_6detail15normal_iteratorINS6_10device_ptrIsEEEESG_SG_SG_PmS8_22is_equal_div_10_reduceIsEEE10hipError_tPvRmT2_T3_mT4_T5_T6_T7_T8_P12ihipStream_tbENKUlT_T0_E_clISt17integral_constantIbLb1EES10_IbLb0EEEEDaSW_SX_EUlSW_E_NS1_11comp_targetILNS1_3genE10ELNS1_11target_archE1200ELNS1_3gpuE4ELNS1_3repE0EEENS1_30default_config_static_selectorELNS0_4arch9wavefront6targetE0EEEvT1_
	.p2align	8
	.type	_ZN7rocprim17ROCPRIM_400000_NS6detail17trampoline_kernelINS0_14default_configENS1_29reduce_by_key_config_selectorIssN6thrust23THRUST_200600_302600_NS4plusIsEEEEZZNS1_33reduce_by_key_impl_wrapped_configILNS1_25lookback_scan_determinismE0ES3_S9_NS6_6detail15normal_iteratorINS6_10device_ptrIsEEEESG_SG_SG_PmS8_22is_equal_div_10_reduceIsEEE10hipError_tPvRmT2_T3_mT4_T5_T6_T7_T8_P12ihipStream_tbENKUlT_T0_E_clISt17integral_constantIbLb1EES10_IbLb0EEEEDaSW_SX_EUlSW_E_NS1_11comp_targetILNS1_3genE10ELNS1_11target_archE1200ELNS1_3gpuE4ELNS1_3repE0EEENS1_30default_config_static_selectorELNS0_4arch9wavefront6targetE0EEEvT1_,@function
_ZN7rocprim17ROCPRIM_400000_NS6detail17trampoline_kernelINS0_14default_configENS1_29reduce_by_key_config_selectorIssN6thrust23THRUST_200600_302600_NS4plusIsEEEEZZNS1_33reduce_by_key_impl_wrapped_configILNS1_25lookback_scan_determinismE0ES3_S9_NS6_6detail15normal_iteratorINS6_10device_ptrIsEEEESG_SG_SG_PmS8_22is_equal_div_10_reduceIsEEE10hipError_tPvRmT2_T3_mT4_T5_T6_T7_T8_P12ihipStream_tbENKUlT_T0_E_clISt17integral_constantIbLb1EES10_IbLb0EEEEDaSW_SX_EUlSW_E_NS1_11comp_targetILNS1_3genE10ELNS1_11target_archE1200ELNS1_3gpuE4ELNS1_3repE0EEENS1_30default_config_static_selectorELNS0_4arch9wavefront6targetE0EEEvT1_: ; @_ZN7rocprim17ROCPRIM_400000_NS6detail17trampoline_kernelINS0_14default_configENS1_29reduce_by_key_config_selectorIssN6thrust23THRUST_200600_302600_NS4plusIsEEEEZZNS1_33reduce_by_key_impl_wrapped_configILNS1_25lookback_scan_determinismE0ES3_S9_NS6_6detail15normal_iteratorINS6_10device_ptrIsEEEESG_SG_SG_PmS8_22is_equal_div_10_reduceIsEEE10hipError_tPvRmT2_T3_mT4_T5_T6_T7_T8_P12ihipStream_tbENKUlT_T0_E_clISt17integral_constantIbLb1EES10_IbLb0EEEEDaSW_SX_EUlSW_E_NS1_11comp_targetILNS1_3genE10ELNS1_11target_archE1200ELNS1_3gpuE4ELNS1_3repE0EEENS1_30default_config_static_selectorELNS0_4arch9wavefront6targetE0EEEvT1_
; %bb.0:
	.section	.rodata,"a",@progbits
	.p2align	6, 0x0
	.amdhsa_kernel _ZN7rocprim17ROCPRIM_400000_NS6detail17trampoline_kernelINS0_14default_configENS1_29reduce_by_key_config_selectorIssN6thrust23THRUST_200600_302600_NS4plusIsEEEEZZNS1_33reduce_by_key_impl_wrapped_configILNS1_25lookback_scan_determinismE0ES3_S9_NS6_6detail15normal_iteratorINS6_10device_ptrIsEEEESG_SG_SG_PmS8_22is_equal_div_10_reduceIsEEE10hipError_tPvRmT2_T3_mT4_T5_T6_T7_T8_P12ihipStream_tbENKUlT_T0_E_clISt17integral_constantIbLb1EES10_IbLb0EEEEDaSW_SX_EUlSW_E_NS1_11comp_targetILNS1_3genE10ELNS1_11target_archE1200ELNS1_3gpuE4ELNS1_3repE0EEENS1_30default_config_static_selectorELNS0_4arch9wavefront6targetE0EEEvT1_
		.amdhsa_group_segment_fixed_size 0
		.amdhsa_private_segment_fixed_size 0
		.amdhsa_kernarg_size 120
		.amdhsa_user_sgpr_count 15
		.amdhsa_user_sgpr_dispatch_ptr 0
		.amdhsa_user_sgpr_queue_ptr 0
		.amdhsa_user_sgpr_kernarg_segment_ptr 1
		.amdhsa_user_sgpr_dispatch_id 0
		.amdhsa_user_sgpr_private_segment_size 0
		.amdhsa_wavefront_size32 1
		.amdhsa_uses_dynamic_stack 0
		.amdhsa_enable_private_segment 0
		.amdhsa_system_sgpr_workgroup_id_x 1
		.amdhsa_system_sgpr_workgroup_id_y 0
		.amdhsa_system_sgpr_workgroup_id_z 0
		.amdhsa_system_sgpr_workgroup_info 0
		.amdhsa_system_vgpr_workitem_id 0
		.amdhsa_next_free_vgpr 1
		.amdhsa_next_free_sgpr 1
		.amdhsa_reserve_vcc 0
		.amdhsa_float_round_mode_32 0
		.amdhsa_float_round_mode_16_64 0
		.amdhsa_float_denorm_mode_32 3
		.amdhsa_float_denorm_mode_16_64 3
		.amdhsa_dx10_clamp 1
		.amdhsa_ieee_mode 1
		.amdhsa_fp16_overflow 0
		.amdhsa_workgroup_processor_mode 1
		.amdhsa_memory_ordered 1
		.amdhsa_forward_progress 0
		.amdhsa_shared_vgpr_count 0
		.amdhsa_exception_fp_ieee_invalid_op 0
		.amdhsa_exception_fp_denorm_src 0
		.amdhsa_exception_fp_ieee_div_zero 0
		.amdhsa_exception_fp_ieee_overflow 0
		.amdhsa_exception_fp_ieee_underflow 0
		.amdhsa_exception_fp_ieee_inexact 0
		.amdhsa_exception_int_div_zero 0
	.end_amdhsa_kernel
	.section	.text._ZN7rocprim17ROCPRIM_400000_NS6detail17trampoline_kernelINS0_14default_configENS1_29reduce_by_key_config_selectorIssN6thrust23THRUST_200600_302600_NS4plusIsEEEEZZNS1_33reduce_by_key_impl_wrapped_configILNS1_25lookback_scan_determinismE0ES3_S9_NS6_6detail15normal_iteratorINS6_10device_ptrIsEEEESG_SG_SG_PmS8_22is_equal_div_10_reduceIsEEE10hipError_tPvRmT2_T3_mT4_T5_T6_T7_T8_P12ihipStream_tbENKUlT_T0_E_clISt17integral_constantIbLb1EES10_IbLb0EEEEDaSW_SX_EUlSW_E_NS1_11comp_targetILNS1_3genE10ELNS1_11target_archE1200ELNS1_3gpuE4ELNS1_3repE0EEENS1_30default_config_static_selectorELNS0_4arch9wavefront6targetE0EEEvT1_,"axG",@progbits,_ZN7rocprim17ROCPRIM_400000_NS6detail17trampoline_kernelINS0_14default_configENS1_29reduce_by_key_config_selectorIssN6thrust23THRUST_200600_302600_NS4plusIsEEEEZZNS1_33reduce_by_key_impl_wrapped_configILNS1_25lookback_scan_determinismE0ES3_S9_NS6_6detail15normal_iteratorINS6_10device_ptrIsEEEESG_SG_SG_PmS8_22is_equal_div_10_reduceIsEEE10hipError_tPvRmT2_T3_mT4_T5_T6_T7_T8_P12ihipStream_tbENKUlT_T0_E_clISt17integral_constantIbLb1EES10_IbLb0EEEEDaSW_SX_EUlSW_E_NS1_11comp_targetILNS1_3genE10ELNS1_11target_archE1200ELNS1_3gpuE4ELNS1_3repE0EEENS1_30default_config_static_selectorELNS0_4arch9wavefront6targetE0EEEvT1_,comdat
.Lfunc_end685:
	.size	_ZN7rocprim17ROCPRIM_400000_NS6detail17trampoline_kernelINS0_14default_configENS1_29reduce_by_key_config_selectorIssN6thrust23THRUST_200600_302600_NS4plusIsEEEEZZNS1_33reduce_by_key_impl_wrapped_configILNS1_25lookback_scan_determinismE0ES3_S9_NS6_6detail15normal_iteratorINS6_10device_ptrIsEEEESG_SG_SG_PmS8_22is_equal_div_10_reduceIsEEE10hipError_tPvRmT2_T3_mT4_T5_T6_T7_T8_P12ihipStream_tbENKUlT_T0_E_clISt17integral_constantIbLb1EES10_IbLb0EEEEDaSW_SX_EUlSW_E_NS1_11comp_targetILNS1_3genE10ELNS1_11target_archE1200ELNS1_3gpuE4ELNS1_3repE0EEENS1_30default_config_static_selectorELNS0_4arch9wavefront6targetE0EEEvT1_, .Lfunc_end685-_ZN7rocprim17ROCPRIM_400000_NS6detail17trampoline_kernelINS0_14default_configENS1_29reduce_by_key_config_selectorIssN6thrust23THRUST_200600_302600_NS4plusIsEEEEZZNS1_33reduce_by_key_impl_wrapped_configILNS1_25lookback_scan_determinismE0ES3_S9_NS6_6detail15normal_iteratorINS6_10device_ptrIsEEEESG_SG_SG_PmS8_22is_equal_div_10_reduceIsEEE10hipError_tPvRmT2_T3_mT4_T5_T6_T7_T8_P12ihipStream_tbENKUlT_T0_E_clISt17integral_constantIbLb1EES10_IbLb0EEEEDaSW_SX_EUlSW_E_NS1_11comp_targetILNS1_3genE10ELNS1_11target_archE1200ELNS1_3gpuE4ELNS1_3repE0EEENS1_30default_config_static_selectorELNS0_4arch9wavefront6targetE0EEEvT1_
                                        ; -- End function
	.section	.AMDGPU.csdata,"",@progbits
; Kernel info:
; codeLenInByte = 0
; NumSgprs: 0
; NumVgprs: 0
; ScratchSize: 0
; MemoryBound: 0
; FloatMode: 240
; IeeeMode: 1
; LDSByteSize: 0 bytes/workgroup (compile time only)
; SGPRBlocks: 0
; VGPRBlocks: 0
; NumSGPRsForWavesPerEU: 1
; NumVGPRsForWavesPerEU: 1
; Occupancy: 16
; WaveLimiterHint : 0
; COMPUTE_PGM_RSRC2:SCRATCH_EN: 0
; COMPUTE_PGM_RSRC2:USER_SGPR: 15
; COMPUTE_PGM_RSRC2:TRAP_HANDLER: 0
; COMPUTE_PGM_RSRC2:TGID_X_EN: 1
; COMPUTE_PGM_RSRC2:TGID_Y_EN: 0
; COMPUTE_PGM_RSRC2:TGID_Z_EN: 0
; COMPUTE_PGM_RSRC2:TIDIG_COMP_CNT: 0
	.section	.text._ZN7rocprim17ROCPRIM_400000_NS6detail17trampoline_kernelINS0_14default_configENS1_29reduce_by_key_config_selectorIssN6thrust23THRUST_200600_302600_NS4plusIsEEEEZZNS1_33reduce_by_key_impl_wrapped_configILNS1_25lookback_scan_determinismE0ES3_S9_NS6_6detail15normal_iteratorINS6_10device_ptrIsEEEESG_SG_SG_PmS8_22is_equal_div_10_reduceIsEEE10hipError_tPvRmT2_T3_mT4_T5_T6_T7_T8_P12ihipStream_tbENKUlT_T0_E_clISt17integral_constantIbLb1EES10_IbLb0EEEEDaSW_SX_EUlSW_E_NS1_11comp_targetILNS1_3genE9ELNS1_11target_archE1100ELNS1_3gpuE3ELNS1_3repE0EEENS1_30default_config_static_selectorELNS0_4arch9wavefront6targetE0EEEvT1_,"axG",@progbits,_ZN7rocprim17ROCPRIM_400000_NS6detail17trampoline_kernelINS0_14default_configENS1_29reduce_by_key_config_selectorIssN6thrust23THRUST_200600_302600_NS4plusIsEEEEZZNS1_33reduce_by_key_impl_wrapped_configILNS1_25lookback_scan_determinismE0ES3_S9_NS6_6detail15normal_iteratorINS6_10device_ptrIsEEEESG_SG_SG_PmS8_22is_equal_div_10_reduceIsEEE10hipError_tPvRmT2_T3_mT4_T5_T6_T7_T8_P12ihipStream_tbENKUlT_T0_E_clISt17integral_constantIbLb1EES10_IbLb0EEEEDaSW_SX_EUlSW_E_NS1_11comp_targetILNS1_3genE9ELNS1_11target_archE1100ELNS1_3gpuE3ELNS1_3repE0EEENS1_30default_config_static_selectorELNS0_4arch9wavefront6targetE0EEEvT1_,comdat
	.protected	_ZN7rocprim17ROCPRIM_400000_NS6detail17trampoline_kernelINS0_14default_configENS1_29reduce_by_key_config_selectorIssN6thrust23THRUST_200600_302600_NS4plusIsEEEEZZNS1_33reduce_by_key_impl_wrapped_configILNS1_25lookback_scan_determinismE0ES3_S9_NS6_6detail15normal_iteratorINS6_10device_ptrIsEEEESG_SG_SG_PmS8_22is_equal_div_10_reduceIsEEE10hipError_tPvRmT2_T3_mT4_T5_T6_T7_T8_P12ihipStream_tbENKUlT_T0_E_clISt17integral_constantIbLb1EES10_IbLb0EEEEDaSW_SX_EUlSW_E_NS1_11comp_targetILNS1_3genE9ELNS1_11target_archE1100ELNS1_3gpuE3ELNS1_3repE0EEENS1_30default_config_static_selectorELNS0_4arch9wavefront6targetE0EEEvT1_ ; -- Begin function _ZN7rocprim17ROCPRIM_400000_NS6detail17trampoline_kernelINS0_14default_configENS1_29reduce_by_key_config_selectorIssN6thrust23THRUST_200600_302600_NS4plusIsEEEEZZNS1_33reduce_by_key_impl_wrapped_configILNS1_25lookback_scan_determinismE0ES3_S9_NS6_6detail15normal_iteratorINS6_10device_ptrIsEEEESG_SG_SG_PmS8_22is_equal_div_10_reduceIsEEE10hipError_tPvRmT2_T3_mT4_T5_T6_T7_T8_P12ihipStream_tbENKUlT_T0_E_clISt17integral_constantIbLb1EES10_IbLb0EEEEDaSW_SX_EUlSW_E_NS1_11comp_targetILNS1_3genE9ELNS1_11target_archE1100ELNS1_3gpuE3ELNS1_3repE0EEENS1_30default_config_static_selectorELNS0_4arch9wavefront6targetE0EEEvT1_
	.globl	_ZN7rocprim17ROCPRIM_400000_NS6detail17trampoline_kernelINS0_14default_configENS1_29reduce_by_key_config_selectorIssN6thrust23THRUST_200600_302600_NS4plusIsEEEEZZNS1_33reduce_by_key_impl_wrapped_configILNS1_25lookback_scan_determinismE0ES3_S9_NS6_6detail15normal_iteratorINS6_10device_ptrIsEEEESG_SG_SG_PmS8_22is_equal_div_10_reduceIsEEE10hipError_tPvRmT2_T3_mT4_T5_T6_T7_T8_P12ihipStream_tbENKUlT_T0_E_clISt17integral_constantIbLb1EES10_IbLb0EEEEDaSW_SX_EUlSW_E_NS1_11comp_targetILNS1_3genE9ELNS1_11target_archE1100ELNS1_3gpuE3ELNS1_3repE0EEENS1_30default_config_static_selectorELNS0_4arch9wavefront6targetE0EEEvT1_
	.p2align	8
	.type	_ZN7rocprim17ROCPRIM_400000_NS6detail17trampoline_kernelINS0_14default_configENS1_29reduce_by_key_config_selectorIssN6thrust23THRUST_200600_302600_NS4plusIsEEEEZZNS1_33reduce_by_key_impl_wrapped_configILNS1_25lookback_scan_determinismE0ES3_S9_NS6_6detail15normal_iteratorINS6_10device_ptrIsEEEESG_SG_SG_PmS8_22is_equal_div_10_reduceIsEEE10hipError_tPvRmT2_T3_mT4_T5_T6_T7_T8_P12ihipStream_tbENKUlT_T0_E_clISt17integral_constantIbLb1EES10_IbLb0EEEEDaSW_SX_EUlSW_E_NS1_11comp_targetILNS1_3genE9ELNS1_11target_archE1100ELNS1_3gpuE3ELNS1_3repE0EEENS1_30default_config_static_selectorELNS0_4arch9wavefront6targetE0EEEvT1_,@function
_ZN7rocprim17ROCPRIM_400000_NS6detail17trampoline_kernelINS0_14default_configENS1_29reduce_by_key_config_selectorIssN6thrust23THRUST_200600_302600_NS4plusIsEEEEZZNS1_33reduce_by_key_impl_wrapped_configILNS1_25lookback_scan_determinismE0ES3_S9_NS6_6detail15normal_iteratorINS6_10device_ptrIsEEEESG_SG_SG_PmS8_22is_equal_div_10_reduceIsEEE10hipError_tPvRmT2_T3_mT4_T5_T6_T7_T8_P12ihipStream_tbENKUlT_T0_E_clISt17integral_constantIbLb1EES10_IbLb0EEEEDaSW_SX_EUlSW_E_NS1_11comp_targetILNS1_3genE9ELNS1_11target_archE1100ELNS1_3gpuE3ELNS1_3repE0EEENS1_30default_config_static_selectorELNS0_4arch9wavefront6targetE0EEEvT1_: ; @_ZN7rocprim17ROCPRIM_400000_NS6detail17trampoline_kernelINS0_14default_configENS1_29reduce_by_key_config_selectorIssN6thrust23THRUST_200600_302600_NS4plusIsEEEEZZNS1_33reduce_by_key_impl_wrapped_configILNS1_25lookback_scan_determinismE0ES3_S9_NS6_6detail15normal_iteratorINS6_10device_ptrIsEEEESG_SG_SG_PmS8_22is_equal_div_10_reduceIsEEE10hipError_tPvRmT2_T3_mT4_T5_T6_T7_T8_P12ihipStream_tbENKUlT_T0_E_clISt17integral_constantIbLb1EES10_IbLb0EEEEDaSW_SX_EUlSW_E_NS1_11comp_targetILNS1_3genE9ELNS1_11target_archE1100ELNS1_3gpuE3ELNS1_3repE0EEENS1_30default_config_static_selectorELNS0_4arch9wavefront6targetE0EEEvT1_
; %bb.0:
	s_clause 0x4
	s_load_b256 s[16:23], s[0:1], 0x0
	s_load_b256 s[24:31], s[0:1], 0x38
	s_load_b128 s[36:39], s[0:1], 0x20
	s_load_b64 s[34:35], s[0:1], 0x68
	s_load_b128 s[40:43], s[0:1], 0x58
	s_mov_b32 s3, 0
	s_mul_i32 s2, s15, 0xf00
	s_waitcnt lgkmcnt(0)
	s_lshl_b64 s[0:1], s[18:19], 1
	s_mul_i32 s4, s28, s27
	s_add_u32 s8, s16, s0
	s_mul_hi_u32 s5, s28, s26
	s_addc_u32 s9, s17, s1
	s_add_u32 s10, s20, s0
	s_mul_i32 s6, s29, s26
	s_addc_u32 s11, s21, s1
	s_add_i32 s4, s5, s4
	s_lshl_b64 s[0:1], s[2:3], 1
	s_add_i32 s4, s4, s6
	s_add_u32 s14, s8, s0
	s_addc_u32 s21, s9, s1
	s_mul_i32 s7, s28, s26
	s_add_u32 s20, s10, s0
	s_addc_u32 s29, s11, s1
	s_add_u32 s16, s7, s15
	s_addc_u32 s17, s4, 0
	s_add_u32 s0, s30, -1
	s_addc_u32 s1, s31, -1
	s_mul_i32 s19, s0, 0xfffff100
	s_cmp_eq_u64 s[16:17], s[0:1]
	s_cselect_b32 s18, -1, 0
	s_cmp_lg_u64 s[16:17], s[0:1]
	s_cselect_b32 s28, -1, 0
	s_and_b32 vcc_lo, exec_lo, s18
	s_cbranch_vccnz .LBB686_2
; %bb.1:
	v_lshlrev_b32_e32 v13, 1, v0
	s_delay_alu instid0(VALU_DEP_1) | instskip(NEXT) | instid1(VALU_DEP_1)
	v_add_co_u32 v1, s0, s14, v13
	v_add_co_ci_u32_e64 v2, null, s21, 0, s0
	v_add_co_u32 v6, s0, s20, v13
	s_delay_alu instid0(VALU_DEP_3) | instskip(NEXT) | instid1(VALU_DEP_3)
	v_add_co_u32 v3, vcc_lo, 0x1000, v1
	v_add_co_ci_u32_e32 v4, vcc_lo, 0, v2, vcc_lo
	s_clause 0xe
	flat_load_u16 v10, v[1:2]
	flat_load_u16 v11, v[1:2] offset:512
	flat_load_u16 v12, v[1:2] offset:1024
	flat_load_u16 v14, v[1:2] offset:1536
	flat_load_u16 v15, v[1:2] offset:2048
	flat_load_u16 v16, v[1:2] offset:2560
	flat_load_u16 v17, v[1:2] offset:3072
	flat_load_u16 v1, v[1:2] offset:3584
	flat_load_u16 v2, v[3:4]
	flat_load_u16 v18, v[3:4] offset:512
	flat_load_u16 v19, v[3:4] offset:1024
	;; [unrolled: 1-line block ×6, first 2 shown]
	v_add_co_ci_u32_e64 v7, null, s29, 0, s0
	v_mad_u32_u24 v5, v0, 28, v13
	v_add_co_u32 v8, vcc_lo, 0x1000, v6
	s_delay_alu instid0(VALU_DEP_3)
	v_add_co_ci_u32_e32 v9, vcc_lo, 0, v7, vcc_lo
	s_waitcnt vmcnt(14) lgkmcnt(14)
	ds_store_b16 v13, v10
	s_waitcnt vmcnt(13) lgkmcnt(14)
	ds_store_b16 v13, v11 offset:512
	s_waitcnt vmcnt(12) lgkmcnt(14)
	ds_store_b16 v13, v12 offset:1024
	;; [unrolled: 2-line block ×14, first 2 shown]
	s_waitcnt lgkmcnt(0)
	s_barrier
	buffer_gl0_inv
	ds_load_u16 v62, v5
	ds_load_b128 v[1:4], v5 offset:2
	ds_load_b96 v[10:12], v5 offset:18
	s_waitcnt lgkmcnt(0)
	s_barrier
	buffer_gl0_inv
	s_clause 0xe
	flat_load_u16 v14, v[6:7]
	flat_load_u16 v15, v[6:7] offset:512
	flat_load_u16 v16, v[6:7] offset:1024
	;; [unrolled: 1-line block ×7, first 2 shown]
	flat_load_u16 v21, v[8:9]
	flat_load_u16 v22, v[8:9] offset:512
	flat_load_u16 v23, v[8:9] offset:1024
	;; [unrolled: 1-line block ×6, first 2 shown]
	v_mul_u32_u24_e32 v7, 15, v0
	s_waitcnt vmcnt(14) lgkmcnt(14)
	ds_store_b16 v13, v14
	s_waitcnt vmcnt(13) lgkmcnt(14)
	ds_store_b16 v13, v15 offset:512
	s_waitcnt vmcnt(12) lgkmcnt(14)
	ds_store_b16 v13, v16 offset:1024
	s_waitcnt vmcnt(11) lgkmcnt(14)
	ds_store_b16 v13, v17 offset:1536
	s_waitcnt vmcnt(10) lgkmcnt(14)
	ds_store_b16 v13, v18 offset:2048
	s_waitcnt vmcnt(9) lgkmcnt(14)
	ds_store_b16 v13, v19 offset:2560
	s_waitcnt vmcnt(8) lgkmcnt(14)
	ds_store_b16 v13, v20 offset:3072
	s_waitcnt vmcnt(7) lgkmcnt(14)
	ds_store_b16 v13, v6 offset:3584
	s_waitcnt vmcnt(6) lgkmcnt(14)
	ds_store_b16 v13, v21 offset:4096
	s_waitcnt vmcnt(5) lgkmcnt(14)
	ds_store_b16 v13, v22 offset:4608
	s_waitcnt vmcnt(4) lgkmcnt(14)
	ds_store_b16 v13, v23 offset:5120
	s_waitcnt vmcnt(3) lgkmcnt(14)
	ds_store_b16 v13, v24 offset:5632
	s_waitcnt vmcnt(2) lgkmcnt(14)
	ds_store_b16 v13, v25 offset:6144
	s_waitcnt vmcnt(1) lgkmcnt(14)
	ds_store_b16 v13, v26 offset:6656
	s_waitcnt vmcnt(0) lgkmcnt(14)
	ds_store_b16 v13, v8 offset:7168
	s_waitcnt lgkmcnt(0)
	s_barrier
	s_and_not1_b32 vcc_lo, exec_lo, s3
	s_add_i32 s19, s19, s40
	s_cbranch_vccz .LBB686_3
	s_branch .LBB686_50
.LBB686_2:
                                        ; implicit-def: $vgpr1
                                        ; implicit-def: $vgpr10
                                        ; implicit-def: $vgpr7
                                        ; implicit-def: $vgpr5
                                        ; implicit-def: $vgpr62
	s_add_i32 s19, s19, s40
.LBB686_3:
	s_delay_alu instid0(SALU_CYCLE_1)
	v_cmp_gt_u32_e32 vcc_lo, s19, v0
                                        ; implicit-def: $vgpr1
	s_and_saveexec_b32 s0, vcc_lo
	s_cbranch_execz .LBB686_5
; %bb.4:
	v_lshlrev_b32_e32 v1, 1, v0
	s_delay_alu instid0(VALU_DEP_1) | instskip(NEXT) | instid1(VALU_DEP_1)
	v_add_co_u32 v1, s1, s14, v1
	v_add_co_ci_u32_e64 v2, null, s21, 0, s1
	flat_load_u16 v1, v[1:2]
.LBB686_5:
	s_or_b32 exec_lo, exec_lo, s0
	v_or_b32_e32 v2, 0x100, v0
	s_delay_alu instid0(VALU_DEP_1) | instskip(NEXT) | instid1(VALU_DEP_1)
	v_cmp_gt_u32_e64 s0, s19, v2
                                        ; implicit-def: $vgpr2
	s_and_saveexec_b32 s1, s0
	s_cbranch_execz .LBB686_7
; %bb.6:
	v_lshlrev_b32_e32 v2, 1, v0
	s_delay_alu instid0(VALU_DEP_1) | instskip(NEXT) | instid1(VALU_DEP_1)
	v_add_co_u32 v2, s2, s14, v2
	v_add_co_ci_u32_e64 v3, null, s21, 0, s2
	flat_load_u16 v2, v[2:3] offset:512
.LBB686_7:
	s_or_b32 exec_lo, exec_lo, s1
	v_or_b32_e32 v3, 0x200, v0
	s_delay_alu instid0(VALU_DEP_1) | instskip(NEXT) | instid1(VALU_DEP_1)
	v_cmp_gt_u32_e64 s1, s19, v3
                                        ; implicit-def: $vgpr3
	s_and_saveexec_b32 s2, s1
	s_cbranch_execz .LBB686_9
; %bb.8:
	v_lshlrev_b32_e32 v3, 1, v0
	s_delay_alu instid0(VALU_DEP_1) | instskip(NEXT) | instid1(VALU_DEP_1)
	v_add_co_u32 v3, s3, s14, v3
	v_add_co_ci_u32_e64 v4, null, s21, 0, s3
	flat_load_u16 v3, v[3:4] offset:1024
.LBB686_9:
	s_or_b32 exec_lo, exec_lo, s2
	v_or_b32_e32 v4, 0x300, v0
	s_delay_alu instid0(VALU_DEP_1) | instskip(NEXT) | instid1(VALU_DEP_1)
	v_cmp_gt_u32_e64 s2, s19, v4
                                        ; implicit-def: $vgpr4
	s_and_saveexec_b32 s3, s2
	s_cbranch_execz .LBB686_11
; %bb.10:
	v_lshlrev_b32_e32 v4, 1, v0
	s_delay_alu instid0(VALU_DEP_1) | instskip(NEXT) | instid1(VALU_DEP_1)
	v_add_co_u32 v4, s4, s14, v4
	v_add_co_ci_u32_e64 v5, null, s21, 0, s4
	flat_load_u16 v4, v[4:5] offset:1536
.LBB686_11:
	s_or_b32 exec_lo, exec_lo, s3
	v_or_b32_e32 v5, 0x400, v0
	s_delay_alu instid0(VALU_DEP_1) | instskip(NEXT) | instid1(VALU_DEP_1)
	v_cmp_gt_u32_e64 s3, s19, v5
                                        ; implicit-def: $vgpr5
	s_and_saveexec_b32 s4, s3
	s_cbranch_execz .LBB686_13
; %bb.12:
	v_lshlrev_b32_e32 v5, 1, v0
	s_delay_alu instid0(VALU_DEP_1) | instskip(NEXT) | instid1(VALU_DEP_1)
	v_add_co_u32 v5, s5, s14, v5
	v_add_co_ci_u32_e64 v6, null, s21, 0, s5
	flat_load_u16 v5, v[5:6] offset:2048
.LBB686_13:
	s_or_b32 exec_lo, exec_lo, s4
	v_or_b32_e32 v6, 0x500, v0
                                        ; implicit-def: $vgpr10
	s_delay_alu instid0(VALU_DEP_1) | instskip(NEXT) | instid1(VALU_DEP_1)
	v_cmp_gt_u32_e64 s4, s19, v6
	s_and_saveexec_b32 s5, s4
	s_cbranch_execz .LBB686_15
; %bb.14:
	v_lshlrev_b32_e32 v6, 1, v0
	s_delay_alu instid0(VALU_DEP_1) | instskip(NEXT) | instid1(VALU_DEP_1)
	v_add_co_u32 v6, s6, s14, v6
	v_add_co_ci_u32_e64 v7, null, s21, 0, s6
	flat_load_u16 v10, v[6:7] offset:2560
.LBB686_15:
	s_or_b32 exec_lo, exec_lo, s5
	v_or_b32_e32 v6, 0x600, v0
                                        ; implicit-def: $vgpr11
	s_delay_alu instid0(VALU_DEP_1) | instskip(NEXT) | instid1(VALU_DEP_1)
	v_cmp_gt_u32_e64 s5, s19, v6
	s_and_saveexec_b32 s6, s5
	s_cbranch_execz .LBB686_17
; %bb.16:
	v_lshlrev_b32_e32 v6, 1, v0
	s_delay_alu instid0(VALU_DEP_1) | instskip(NEXT) | instid1(VALU_DEP_1)
	v_add_co_u32 v6, s7, s14, v6
	v_add_co_ci_u32_e64 v7, null, s21, 0, s7
	flat_load_u16 v11, v[6:7] offset:3072
.LBB686_17:
	s_or_b32 exec_lo, exec_lo, s6
	v_or_b32_e32 v6, 0x700, v0
                                        ; implicit-def: $vgpr12
	s_delay_alu instid0(VALU_DEP_1) | instskip(NEXT) | instid1(VALU_DEP_1)
	v_cmp_gt_u32_e64 s6, s19, v6
	s_and_saveexec_b32 s7, s6
	s_cbranch_execz .LBB686_19
; %bb.18:
	v_lshlrev_b32_e32 v6, 1, v0
	s_delay_alu instid0(VALU_DEP_1) | instskip(NEXT) | instid1(VALU_DEP_1)
	v_add_co_u32 v6, s8, s14, v6
	v_add_co_ci_u32_e64 v7, null, s21, 0, s8
	flat_load_u16 v12, v[6:7] offset:3584
.LBB686_19:
	s_or_b32 exec_lo, exec_lo, s7
	v_or_b32_e32 v7, 0x800, v0
                                        ; implicit-def: $vgpr17
	s_delay_alu instid0(VALU_DEP_1) | instskip(NEXT) | instid1(VALU_DEP_1)
	v_cmp_gt_u32_e64 s7, s19, v7
	s_and_saveexec_b32 s8, s7
	s_cbranch_execz .LBB686_21
; %bb.20:
	v_lshlrev_b32_e32 v6, 1, v7
	s_delay_alu instid0(VALU_DEP_1) | instskip(NEXT) | instid1(VALU_DEP_1)
	v_add_co_u32 v8, s9, s14, v6
	v_add_co_ci_u32_e64 v9, null, s21, 0, s9
	flat_load_u16 v17, v[8:9]
.LBB686_21:
	s_or_b32 exec_lo, exec_lo, s8
	v_or_b32_e32 v8, 0x900, v0
                                        ; implicit-def: $vgpr18
	s_delay_alu instid0(VALU_DEP_1) | instskip(NEXT) | instid1(VALU_DEP_1)
	v_cmp_gt_u32_e64 s8, s19, v8
	s_and_saveexec_b32 s9, s8
	s_cbranch_execz .LBB686_23
; %bb.22:
	v_lshlrev_b32_e32 v6, 1, v8
	s_delay_alu instid0(VALU_DEP_1) | instskip(NEXT) | instid1(VALU_DEP_1)
	v_add_co_u32 v13, s10, s14, v6
	v_add_co_ci_u32_e64 v14, null, s21, 0, s10
	flat_load_u16 v18, v[13:14]
.LBB686_23:
	s_or_b32 exec_lo, exec_lo, s9
	v_or_b32_e32 v9, 0xa00, v0
                                        ; implicit-def: $vgpr19
	s_delay_alu instid0(VALU_DEP_1) | instskip(NEXT) | instid1(VALU_DEP_1)
	v_cmp_gt_u32_e64 s9, s19, v9
	s_and_saveexec_b32 s10, s9
	s_cbranch_execz .LBB686_25
; %bb.24:
	v_lshlrev_b32_e32 v6, 1, v9
	s_delay_alu instid0(VALU_DEP_1) | instskip(NEXT) | instid1(VALU_DEP_1)
	v_add_co_u32 v13, s11, s14, v6
	v_add_co_ci_u32_e64 v14, null, s21, 0, s11
	flat_load_u16 v19, v[13:14]
.LBB686_25:
	s_or_b32 exec_lo, exec_lo, s10
	v_or_b32_e32 v13, 0xb00, v0
                                        ; implicit-def: $vgpr20
	s_delay_alu instid0(VALU_DEP_1) | instskip(NEXT) | instid1(VALU_DEP_1)
	v_cmp_gt_u32_e64 s10, s19, v13
	s_and_saveexec_b32 s11, s10
	s_cbranch_execz .LBB686_27
; %bb.26:
	v_lshlrev_b32_e32 v6, 1, v13
	s_delay_alu instid0(VALU_DEP_1) | instskip(NEXT) | instid1(VALU_DEP_1)
	v_add_co_u32 v14, s12, s14, v6
	v_add_co_ci_u32_e64 v15, null, s21, 0, s12
	flat_load_u16 v20, v[14:15]
.LBB686_27:
	s_or_b32 exec_lo, exec_lo, s11
	v_or_b32_e32 v14, 0xc00, v0
                                        ; implicit-def: $vgpr21
	s_delay_alu instid0(VALU_DEP_1) | instskip(NEXT) | instid1(VALU_DEP_1)
	v_cmp_gt_u32_e64 s11, s19, v14
	s_and_saveexec_b32 s12, s11
	s_cbranch_execz .LBB686_29
; %bb.28:
	v_lshlrev_b32_e32 v6, 1, v14
	s_delay_alu instid0(VALU_DEP_1) | instskip(NEXT) | instid1(VALU_DEP_1)
	v_add_co_u32 v15, s13, s14, v6
	v_add_co_ci_u32_e64 v16, null, s21, 0, s13
	flat_load_u16 v21, v[15:16]
.LBB686_29:
	s_or_b32 exec_lo, exec_lo, s12
	v_or_b32_e32 v15, 0xd00, v0
                                        ; implicit-def: $vgpr22
	s_delay_alu instid0(VALU_DEP_1) | instskip(NEXT) | instid1(VALU_DEP_1)
	v_cmp_gt_u32_e64 s12, s19, v15
	s_and_saveexec_b32 s13, s12
	s_cbranch_execz .LBB686_31
; %bb.30:
	v_lshlrev_b32_e32 v6, 1, v15
	s_delay_alu instid0(VALU_DEP_1) | instskip(NEXT) | instid1(VALU_DEP_1)
	v_add_co_u32 v22, s30, s14, v6
	v_add_co_ci_u32_e64 v23, null, s21, 0, s30
	flat_load_u16 v22, v[22:23]
.LBB686_31:
	s_or_b32 exec_lo, exec_lo, s13
	v_or_b32_e32 v16, 0xe00, v0
                                        ; implicit-def: $vgpr23
	s_delay_alu instid0(VALU_DEP_1) | instskip(NEXT) | instid1(VALU_DEP_1)
	v_cmp_gt_u32_e64 s13, s19, v16
	s_and_saveexec_b32 s30, s13
	s_cbranch_execz .LBB686_33
; %bb.32:
	v_lshlrev_b32_e32 v6, 1, v16
	s_delay_alu instid0(VALU_DEP_1) | instskip(NEXT) | instid1(VALU_DEP_1)
	v_add_co_u32 v23, s31, s14, v6
	v_add_co_ci_u32_e64 v24, null, s21, 0, s31
	flat_load_u16 v23, v[23:24]
.LBB686_33:
	s_or_b32 exec_lo, exec_lo, s30
	v_lshlrev_b32_e32 v6, 1, v0
	s_waitcnt vmcnt(0) lgkmcnt(0)
	ds_store_b16 v6, v1
	ds_store_b16 v6, v2 offset:512
	ds_store_b16 v6, v3 offset:1024
	;; [unrolled: 1-line block ×7, first 2 shown]
	v_mad_u32_u24 v5, v0, 28, v6
	ds_store_b16 v6, v17 offset:4096
	ds_store_b16 v6, v18 offset:4608
	ds_store_b16 v6, v19 offset:5120
	ds_store_b16 v6, v20 offset:5632
	ds_store_b16 v6, v21 offset:6144
	ds_store_b16 v6, v22 offset:6656
	ds_store_b16 v6, v23 offset:7168
	s_waitcnt lgkmcnt(0)
	s_barrier
	buffer_gl0_inv
	ds_load_u16 v62, v5
	ds_load_b128 v[1:4], v5 offset:2
	ds_load_b96 v[10:12], v5 offset:18
	s_waitcnt lgkmcnt(0)
	s_barrier
	buffer_gl0_inv
                                        ; implicit-def: $vgpr17
	s_and_saveexec_b32 s30, vcc_lo
	s_cbranch_execnz .LBB686_57
; %bb.34:
	s_or_b32 exec_lo, exec_lo, s30
                                        ; implicit-def: $vgpr18
	s_and_saveexec_b32 s30, s0
	s_cbranch_execnz .LBB686_58
.LBB686_35:
	s_or_b32 exec_lo, exec_lo, s30
                                        ; implicit-def: $vgpr19
	s_and_saveexec_b32 s0, s1
	s_cbranch_execnz .LBB686_59
.LBB686_36:
	s_or_b32 exec_lo, exec_lo, s0
                                        ; implicit-def: $vgpr20
	s_and_saveexec_b32 s0, s2
	s_cbranch_execnz .LBB686_60
.LBB686_37:
	s_or_b32 exec_lo, exec_lo, s0
                                        ; implicit-def: $vgpr21
	s_and_saveexec_b32 s0, s3
	s_cbranch_execnz .LBB686_61
.LBB686_38:
	s_or_b32 exec_lo, exec_lo, s0
                                        ; implicit-def: $vgpr22
	s_and_saveexec_b32 s0, s4
	s_cbranch_execnz .LBB686_62
.LBB686_39:
	s_or_b32 exec_lo, exec_lo, s0
                                        ; implicit-def: $vgpr23
	s_and_saveexec_b32 s0, s5
	s_cbranch_execnz .LBB686_63
.LBB686_40:
	s_or_b32 exec_lo, exec_lo, s0
                                        ; implicit-def: $vgpr24
	s_and_saveexec_b32 s0, s6
	s_cbranch_execnz .LBB686_64
.LBB686_41:
	s_or_b32 exec_lo, exec_lo, s0
                                        ; implicit-def: $vgpr25
	s_and_saveexec_b32 s0, s7
	s_cbranch_execnz .LBB686_65
.LBB686_42:
	s_or_b32 exec_lo, exec_lo, s0
                                        ; implicit-def: $vgpr26
	s_and_saveexec_b32 s0, s8
	s_cbranch_execnz .LBB686_66
.LBB686_43:
	s_or_b32 exec_lo, exec_lo, s0
                                        ; implicit-def: $vgpr8
	s_and_saveexec_b32 s0, s9
	s_cbranch_execnz .LBB686_67
.LBB686_44:
	s_or_b32 exec_lo, exec_lo, s0
                                        ; implicit-def: $vgpr9
	s_and_saveexec_b32 s0, s10
	s_cbranch_execnz .LBB686_68
.LBB686_45:
	s_or_b32 exec_lo, exec_lo, s0
                                        ; implicit-def: $vgpr13
	s_and_saveexec_b32 s0, s11
	s_cbranch_execnz .LBB686_69
.LBB686_46:
	s_or_b32 exec_lo, exec_lo, s0
                                        ; implicit-def: $vgpr14
	s_and_saveexec_b32 s0, s12
	s_cbranch_execnz .LBB686_70
.LBB686_47:
	s_or_b32 exec_lo, exec_lo, s0
                                        ; implicit-def: $vgpr15
	s_and_saveexec_b32 s0, s13
	s_cbranch_execz .LBB686_49
.LBB686_48:
	v_lshlrev_b32_e32 v7, 1, v16
	s_delay_alu instid0(VALU_DEP_1) | instskip(NEXT) | instid1(VALU_DEP_1)
	v_add_co_u32 v15, s1, s20, v7
	v_add_co_ci_u32_e64 v16, null, s29, 0, s1
	flat_load_u16 v15, v[15:16]
.LBB686_49:
	s_or_b32 exec_lo, exec_lo, s0
	v_mul_u32_u24_e32 v7, 15, v0
	s_waitcnt vmcnt(0) lgkmcnt(0)
	ds_store_b16 v6, v17
	ds_store_b16 v6, v18 offset:512
	ds_store_b16 v6, v19 offset:1024
	;; [unrolled: 1-line block ×14, first 2 shown]
	s_waitcnt lgkmcnt(0)
	s_barrier
.LBB686_50:
	v_lshlrev_b32_e32 v6, 1, v7
	buffer_gl0_inv
	ds_load_u16 v73, v5
	ds_load_u16 v72, v5 offset:2
	ds_load_u16 v70, v5 offset:6
	;; [unrolled: 1-line block ×14, first 2 shown]
	s_cmp_eq_u64 s[16:17], 0
	s_waitcnt lgkmcnt(0)
	s_cselect_b32 s20, -1, 0
	s_cmp_lg_u64 s[16:17], 0
	s_barrier
	s_cselect_b32 s29, -1, 0
	s_and_b32 vcc_lo, exec_lo, s28
	buffer_gl0_inv
	s_cbranch_vccz .LBB686_56
; %bb.51:
	s_and_b32 vcc_lo, exec_lo, s29
	s_cbranch_vccz .LBB686_71
; %bb.52:
	v_add_co_u32 v5, s0, -2, s14
	s_delay_alu instid0(VALU_DEP_1)
	v_add_co_ci_u32_e64 v6, null, -1, s21, s0
	v_ashrrev_i32_e32 v7, 16, v12
	v_ashrrev_i32_e32 v14, 16, v11
	v_lshrrev_b32_e32 v15, 16, v12
	flat_load_u16 v5, v[5:6]
	v_bfe_i32 v6, v12, 0, 16
	v_mul_i32_i24_e32 v7, 0x6667, v7
	v_ashrrev_i32_e32 v18, 16, v2
	s_mov_b32 s28, -1
	s_mov_b32 s30, 0
	v_mul_i32_i24_e32 v6, 0x6667, v6
	v_lshrrev_b32_e32 v13, 31, v7
	v_ashrrev_i32_e32 v7, 18, v7
	s_mov_b32 s31, exec_lo
	s_delay_alu instid0(VALU_DEP_3)
	v_lshrrev_b32_e32 v8, 31, v6
	v_ashrrev_i32_e32 v9, 18, v6
	v_lshlrev_b32_e32 v6, 1, v0
	v_add_nc_u16 v7, v7, v13
	v_mul_i32_i24_e32 v13, 0x6667, v14
	v_ashrrev_i32_e32 v14, 16, v10
	v_add_nc_u16 v8, v9, v8
	v_bfe_i32 v9, v11, 0, 16
	ds_store_b16 v6, v15
	v_bfe_i32 v15, v10, 0, 16
	v_mul_i32_i24_e32 v14, 0x6667, v14
	v_cmp_ne_u16_e32 vcc_lo, v8, v7
	v_mul_i32_i24_e32 v7, 0x6667, v9
	v_lshrrev_b32_e32 v9, 31, v13
	v_ashrrev_i32_e32 v13, 18, v13
	v_lshrrev_b32_e32 v17, 31, v14
	v_ashrrev_i32_e32 v14, 18, v14
	;; [unrolled: 2-line block ×3, first 2 shown]
	v_mul_i32_i24_e32 v15, 0x6667, v15
	v_add_nc_u16 v9, v13, v9
	v_ashrrev_i32_e32 v13, 16, v4
	v_add_nc_u16 v14, v14, v17
	v_add_nc_u16 v7, v7, v16
	v_lshrrev_b32_e32 v16, 31, v15
	v_ashrrev_i32_e32 v15, 18, v15
	v_cmp_ne_u16_e64 s0, v9, v8
	v_mul_i32_i24_e32 v8, 0x6667, v13
	v_cmp_ne_u16_e64 s1, v7, v9
	v_cmp_ne_u16_e64 s2, v14, v7
	v_add_nc_u16 v7, v15, v16
	v_bfe_i32 v9, v4, 0, 16
	v_ashrrev_i32_e32 v15, 16, v3
	v_lshrrev_b32_e32 v13, 31, v8
	v_ashrrev_i32_e32 v8, 18, v8
	v_bfe_i32 v16, v3, 0, 16
	v_mul_i32_i24_e32 v9, 0x6667, v9
	v_cmp_ne_u16_e64 s3, v7, v14
	v_mul_i32_i24_e32 v14, 0x6667, v15
	v_add_nc_u16 v8, v8, v13
	v_mul_i32_i24_e32 v13, 0x6667, v16
	v_lshrrev_b32_e32 v15, 31, v9
	v_ashrrev_i32_e32 v9, 18, v9
	v_lshrrev_b32_e32 v16, 31, v14
	v_ashrrev_i32_e32 v14, 18, v14
	v_cmp_ne_u16_e64 s4, v8, v7
	v_lshrrev_b32_e32 v17, 31, v13
	v_add_nc_u16 v9, v9, v15
	v_ashrrev_i32_e32 v13, 18, v13
	v_add_nc_u16 v7, v14, v16
	v_bfe_i32 v15, v1, 0, 16
	v_bfe_i32 v16, v62, 0, 16
	v_cmp_ne_u16_e64 s5, v9, v8
	v_bfe_i32 v8, v2, 0, 16
	v_cmp_ne_u16_e64 s6, v7, v9
	v_ashrrev_i32_e32 v9, 16, v1
	v_add_nc_u16 v13, v13, v17
	v_mul_i32_i24_e32 v14, 0x6667, v18
	v_mul_i32_i24_e32 v8, 0x6667, v8
	;; [unrolled: 1-line block ×5, first 2 shown]
	v_cmp_ne_u16_e64 s7, v13, v7
	v_lshrrev_b32_e32 v7, 31, v14
	v_ashrrev_i32_e32 v14, 18, v14
	v_lshrrev_b32_e32 v17, 31, v8
	v_ashrrev_i32_e32 v8, 18, v8
	;; [unrolled: 2-line block ×5, first 2 shown]
	v_add_nc_u16 v14, v14, v7
	v_add_nc_u16 v8, v8, v17
	v_add_nc_u16 v9, v9, v18
	v_add_nc_u16 v15, v15, v19
	v_add_nc_u16 v7, v16, v20
	v_cmp_ne_u16_e64 s12, v14, v13
	v_cmp_ne_u16_e64 s8, v8, v14
	;; [unrolled: 1-line block ×5, first 2 shown]
	s_waitcnt vmcnt(0) lgkmcnt(0)
	s_barrier
	buffer_gl0_inv
	v_cmpx_ne_u32_e32 0, v0
	s_cbranch_execz .LBB686_54
; %bb.53:
	v_add_nc_u32_e32 v5, -2, v6
	ds_load_u16 v5, v5
.LBB686_54:
	s_or_b32 exec_lo, exec_lo, s31
	s_waitcnt lgkmcnt(0)
	v_bfe_i32 v5, v5, 0, 16
	v_cndmask_b32_e64 v61, 0, 1, vcc_lo
	v_cndmask_b32_e64 v14, 0, 1, s0
	v_cndmask_b32_e64 v13, 0, 1, s1
	;; [unrolled: 1-line block ×3, first 2 shown]
	v_mul_i32_i24_e32 v5, 0x6667, v5
	v_cndmask_b32_e64 v15, 0, 1, s3
	v_cndmask_b32_e64 v18, 0, 1, s4
	;; [unrolled: 1-line block ×4, first 2 shown]
	v_lshrrev_b32_e32 v6, 31, v5
	v_ashrrev_i32_e32 v5, 18, v5
	v_cndmask_b32_e64 v19, 0, 1, s7
	v_cndmask_b32_e64 v22, 0, 1, s12
	;; [unrolled: 1-line block ×4, first 2 shown]
	v_add_nc_u16 v5, v5, v6
	v_cndmask_b32_e64 v23, 0, 1, s10
	v_cndmask_b32_e64 v26, 0, 1, s11
	s_delay_alu instid0(VALU_DEP_3)
	v_cmp_ne_u16_e64 s2, v5, v7
	s_and_b32 vcc_lo, exec_lo, s30
	s_cbranch_vccnz .LBB686_72
.LBB686_55:
                                        ; implicit-def: $sgpr0
	s_branch .LBB686_110
.LBB686_56:
	s_mov_b32 s28, 0
                                        ; implicit-def: $sgpr2
                                        ; implicit-def: $vgpr61
                                        ; implicit-def: $vgpr14
                                        ; implicit-def: $vgpr13
                                        ; implicit-def: $vgpr16
                                        ; implicit-def: $vgpr15
                                        ; implicit-def: $vgpr18
                                        ; implicit-def: $vgpr17
                                        ; implicit-def: $vgpr20
                                        ; implicit-def: $vgpr19
                                        ; implicit-def: $vgpr22
                                        ; implicit-def: $vgpr21
                                        ; implicit-def: $vgpr24
                                        ; implicit-def: $vgpr23
                                        ; implicit-def: $vgpr26
                                        ; implicit-def: $sgpr0
	s_cbranch_execnz .LBB686_75
	s_branch .LBB686_110
.LBB686_57:
	v_add_co_u32 v17, s31, s20, v6
	s_delay_alu instid0(VALU_DEP_1)
	v_add_co_ci_u32_e64 v18, null, s29, 0, s31
	flat_load_u16 v17, v[17:18]
	s_or_b32 exec_lo, exec_lo, s30
                                        ; implicit-def: $vgpr18
	s_and_saveexec_b32 s30, s0
	s_cbranch_execz .LBB686_35
.LBB686_58:
	v_add_co_u32 v18, s0, s20, v6
	s_delay_alu instid0(VALU_DEP_1)
	v_add_co_ci_u32_e64 v19, null, s29, 0, s0
	flat_load_u16 v18, v[18:19] offset:512
	s_or_b32 exec_lo, exec_lo, s30
                                        ; implicit-def: $vgpr19
	s_and_saveexec_b32 s0, s1
	s_cbranch_execz .LBB686_36
.LBB686_59:
	v_add_co_u32 v19, s1, s20, v6
	s_delay_alu instid0(VALU_DEP_1)
	v_add_co_ci_u32_e64 v20, null, s29, 0, s1
	flat_load_u16 v19, v[19:20] offset:1024
	s_or_b32 exec_lo, exec_lo, s0
                                        ; implicit-def: $vgpr20
	s_and_saveexec_b32 s0, s2
	s_cbranch_execz .LBB686_37
.LBB686_60:
	v_add_co_u32 v20, s1, s20, v6
	s_delay_alu instid0(VALU_DEP_1)
	v_add_co_ci_u32_e64 v21, null, s29, 0, s1
	flat_load_u16 v20, v[20:21] offset:1536
	s_or_b32 exec_lo, exec_lo, s0
                                        ; implicit-def: $vgpr21
	s_and_saveexec_b32 s0, s3
	s_cbranch_execz .LBB686_38
.LBB686_61:
	v_add_co_u32 v21, s1, s20, v6
	s_delay_alu instid0(VALU_DEP_1)
	v_add_co_ci_u32_e64 v22, null, s29, 0, s1
	flat_load_u16 v21, v[21:22] offset:2048
	s_or_b32 exec_lo, exec_lo, s0
                                        ; implicit-def: $vgpr22
	s_and_saveexec_b32 s0, s4
	s_cbranch_execz .LBB686_39
.LBB686_62:
	v_add_co_u32 v22, s1, s20, v6
	s_delay_alu instid0(VALU_DEP_1)
	v_add_co_ci_u32_e64 v23, null, s29, 0, s1
	flat_load_u16 v22, v[22:23] offset:2560
	s_or_b32 exec_lo, exec_lo, s0
                                        ; implicit-def: $vgpr23
	s_and_saveexec_b32 s0, s5
	s_cbranch_execz .LBB686_40
.LBB686_63:
	v_add_co_u32 v23, s1, s20, v6
	s_delay_alu instid0(VALU_DEP_1)
	v_add_co_ci_u32_e64 v24, null, s29, 0, s1
	flat_load_u16 v23, v[23:24] offset:3072
	s_or_b32 exec_lo, exec_lo, s0
                                        ; implicit-def: $vgpr24
	s_and_saveexec_b32 s0, s6
	s_cbranch_execz .LBB686_41
.LBB686_64:
	v_add_co_u32 v24, s1, s20, v6
	s_delay_alu instid0(VALU_DEP_1)
	v_add_co_ci_u32_e64 v25, null, s29, 0, s1
	flat_load_u16 v24, v[24:25] offset:3584
	s_or_b32 exec_lo, exec_lo, s0
                                        ; implicit-def: $vgpr25
	s_and_saveexec_b32 s0, s7
	s_cbranch_execz .LBB686_42
.LBB686_65:
	v_lshlrev_b32_e32 v7, 1, v7
	s_delay_alu instid0(VALU_DEP_1) | instskip(NEXT) | instid1(VALU_DEP_1)
	v_add_co_u32 v25, s1, s20, v7
	v_add_co_ci_u32_e64 v26, null, s29, 0, s1
	flat_load_u16 v25, v[25:26]
	s_or_b32 exec_lo, exec_lo, s0
                                        ; implicit-def: $vgpr26
	s_and_saveexec_b32 s0, s8
	s_cbranch_execz .LBB686_43
.LBB686_66:
	v_lshlrev_b32_e32 v7, 1, v8
	s_delay_alu instid0(VALU_DEP_1) | instskip(NEXT) | instid1(VALU_DEP_1)
	v_add_co_u32 v7, s1, s20, v7
	v_add_co_ci_u32_e64 v8, null, s29, 0, s1
	flat_load_u16 v26, v[7:8]
	s_or_b32 exec_lo, exec_lo, s0
                                        ; implicit-def: $vgpr8
	s_and_saveexec_b32 s0, s9
	s_cbranch_execz .LBB686_44
.LBB686_67:
	v_lshlrev_b32_e32 v7, 1, v9
	s_delay_alu instid0(VALU_DEP_1) | instskip(NEXT) | instid1(VALU_DEP_1)
	v_add_co_u32 v7, s1, s20, v7
	v_add_co_ci_u32_e64 v8, null, s29, 0, s1
	flat_load_u16 v8, v[7:8]
	s_or_b32 exec_lo, exec_lo, s0
                                        ; implicit-def: $vgpr9
	s_and_saveexec_b32 s0, s10
	s_cbranch_execz .LBB686_45
.LBB686_68:
	v_lshlrev_b32_e32 v7, 1, v13
	s_delay_alu instid0(VALU_DEP_1) | instskip(NEXT) | instid1(VALU_DEP_1)
	v_add_co_u32 v27, s1, s20, v7
	v_add_co_ci_u32_e64 v28, null, s29, 0, s1
	flat_load_u16 v9, v[27:28]
	s_or_b32 exec_lo, exec_lo, s0
                                        ; implicit-def: $vgpr13
	s_and_saveexec_b32 s0, s11
	s_cbranch_execz .LBB686_46
.LBB686_69:
	v_lshlrev_b32_e32 v7, 1, v14
	s_delay_alu instid0(VALU_DEP_1) | instskip(NEXT) | instid1(VALU_DEP_1)
	v_add_co_u32 v13, s1, s20, v7
	v_add_co_ci_u32_e64 v14, null, s29, 0, s1
	flat_load_u16 v13, v[13:14]
	s_or_b32 exec_lo, exec_lo, s0
                                        ; implicit-def: $vgpr14
	s_and_saveexec_b32 s0, s12
	s_cbranch_execz .LBB686_47
.LBB686_70:
	v_lshlrev_b32_e32 v7, 1, v15
	s_delay_alu instid0(VALU_DEP_1) | instskip(NEXT) | instid1(VALU_DEP_1)
	v_add_co_u32 v14, s1, s20, v7
	v_add_co_ci_u32_e64 v15, null, s29, 0, s1
	flat_load_u16 v14, v[14:15]
	s_or_b32 exec_lo, exec_lo, s0
                                        ; implicit-def: $vgpr15
	s_and_saveexec_b32 s0, s13
	s_cbranch_execnz .LBB686_48
	s_branch .LBB686_49
.LBB686_71:
	s_mov_b32 s28, 0
                                        ; implicit-def: $sgpr2
                                        ; implicit-def: $vgpr61
                                        ; implicit-def: $vgpr14
                                        ; implicit-def: $vgpr13
                                        ; implicit-def: $vgpr16
                                        ; implicit-def: $vgpr15
                                        ; implicit-def: $vgpr18
                                        ; implicit-def: $vgpr17
                                        ; implicit-def: $vgpr20
                                        ; implicit-def: $vgpr19
                                        ; implicit-def: $vgpr22
                                        ; implicit-def: $vgpr21
                                        ; implicit-def: $vgpr24
                                        ; implicit-def: $vgpr23
                                        ; implicit-def: $vgpr26
	s_cbranch_execz .LBB686_55
.LBB686_72:
	v_bfe_i32 v5, v12, 0, 16
	v_ashrrev_i32_e32 v6, 16, v12
	v_ashrrev_i32_e32 v9, 16, v11
	v_bfe_i32 v15, v11, 0, 16
	v_ashrrev_i32_e32 v16, 16, v10
	v_mul_i32_i24_e32 v7, 0x6667, v5
	v_mul_i32_i24_e32 v6, 0x6667, v6
	;; [unrolled: 1-line block ×3, first 2 shown]
	v_ashrrev_i32_e32 v18, 16, v3
	v_ashrrev_i32_e32 v22, 16, v2
	v_lshrrev_b32_e32 v13, 31, v7
	v_ashrrev_i32_e32 v7, 18, v7
	v_lshrrev_b32_e32 v14, 31, v6
	v_ashrrev_i32_e32 v6, 18, v6
	v_mul_i32_i24_e32 v18, 0x6667, v18
	v_bfe_i32 v23, v1, 0, 16
	v_add_nc_u16 v7, v7, v13
	v_lshrrev_b32_e32 v13, 31, v9
	v_add_nc_u16 v6, v6, v14
	v_mul_i32_i24_e32 v14, 0x6667, v15
	v_ashrrev_i32_e32 v9, 18, v9
	v_mul_i32_i24_e32 v15, 0x6667, v16
	v_bfe_i32 v16, v10, 0, 16
	v_cmp_ne_u16_e32 vcc_lo, v7, v6
	v_lshrrev_b32_e32 v6, 31, v14
	v_ashrrev_i32_e32 v14, 18, v14
	v_add_nc_u16 v9, v9, v13
	v_lshrrev_b32_e32 v13, 31, v15
	v_cndmask_b32_e64 v61, 0, 1, vcc_lo
	v_ashrrev_i32_e32 v15, 18, v15
	v_add_nc_u16 v6, v14, v6
	v_cmp_ne_u16_e32 vcc_lo, v9, v7
	v_mul_i32_i24_e32 v7, 0x6667, v16
	v_ashrrev_i32_e32 v16, 16, v4
	v_add_nc_u16 v15, v15, v13
	v_lshrrev_b32_e32 v20, 31, v18
	v_cndmask_b32_e64 v14, 0, 1, vcc_lo
	v_cmp_ne_u16_e32 vcc_lo, v6, v9
	v_lshrrev_b32_e32 v9, 31, v7
	v_ashrrev_i32_e32 v7, 18, v7
	v_mul_i32_i24_e32 v17, 0x6667, v16
	v_ashrrev_i32_e32 v21, 18, v18
	v_cndmask_b32_e64 v13, 0, 1, vcc_lo
	v_cmp_ne_u16_e32 vcc_lo, v15, v6
	v_bfe_i32 v6, v4, 0, 16
	v_add_nc_u16 v7, v7, v9
	v_lshrrev_b32_e32 v9, 31, v17
	v_ashrrev_i32_e32 v17, 18, v17
	v_cndmask_b32_e64 v16, 0, 1, vcc_lo
	v_mul_i32_i24_e32 v6, 0x6667, v6
	v_cmp_ne_u16_e32 vcc_lo, v7, v15
	v_mul_i32_i24_e32 v23, 0x6667, v23
	v_add_nc_u16 v9, v17, v9
	v_bfe_i32 v17, v3, 0, 16
	v_lshrrev_b32_e32 v19, 31, v6
	v_ashrrev_i32_e32 v6, 18, v6
	v_cndmask_b32_e64 v15, 0, 1, vcc_lo
	v_cmp_ne_u16_e32 vcc_lo, v9, v7
	v_mul_i32_i24_e32 v17, 0x6667, v17
	v_add_nc_u16 v7, v21, v20
	v_add_nc_u16 v6, v6, v19
	v_mul_i32_i24_e32 v19, 0x6667, v22
	v_cndmask_b32_e64 v18, 0, 1, vcc_lo
	v_lshrrev_b32_e32 v20, 31, v17
	v_ashrrev_i32_e32 v21, 18, v17
	v_cmp_ne_u16_e32 vcc_lo, v6, v9
	v_lshrrev_b32_e32 v9, 31, v19
	v_ashrrev_i32_e32 v19, 18, v19
	v_lshrrev_b32_e32 v26, 31, v23
	v_add_nc_u16 v21, v21, v20
	v_cndmask_b32_e64 v17, 0, 1, vcc_lo
	v_cmp_ne_u16_e32 vcc_lo, v7, v6
	v_bfe_i32 v6, v2, 0, 16
	v_add_nc_u16 v9, v19, v9
	v_ashrrev_i32_e32 v23, 18, v23
	v_lshlrev_b32_e32 v5, 1, v0
	v_cndmask_b32_e64 v20, 0, 1, vcc_lo
	v_cmp_ne_u16_e32 vcc_lo, v21, v7
	v_ashrrev_i32_e32 v7, 16, v1
	v_mul_i32_i24_e32 v6, 0x6667, v6
	v_lshrrev_b32_e32 v8, 16, v12
	s_mov_b32 s0, 1
	v_cndmask_b32_e64 v19, 0, 1, vcc_lo
	v_mul_i32_i24_e32 v7, 0x6667, v7
	v_lshrrev_b32_e32 v24, 31, v6
	v_ashrrev_i32_e32 v6, 18, v6
	v_cmp_ne_u16_e32 vcc_lo, v9, v21
	v_bfe_i32 v21, v62, 0, 16
	v_lshrrev_b32_e32 v25, 31, v7
	v_ashrrev_i32_e32 v7, 18, v7
	v_add_nc_u16 v24, v6, v24
	v_cndmask_b32_e64 v22, 0, 1, vcc_lo
	v_mul_i32_i24_e32 v21, 0x6667, v21
	s_mov_b32 s1, exec_lo
	v_add_nc_u16 v7, v7, v25
	v_cmp_ne_u16_e32 vcc_lo, v24, v9
	v_add_nc_u16 v25, v23, v26
	v_lshrrev_b32_e32 v6, 31, v21
	v_ashrrev_i32_e32 v27, 18, v21
	ds_store_b16 v5, v8
	v_cndmask_b32_e64 v21, 0, 1, vcc_lo
	v_cmp_ne_u16_e32 vcc_lo, v7, v24
	s_waitcnt lgkmcnt(0)
	v_add_nc_u16 v6, v27, v6
	s_barrier
	buffer_gl0_inv
	v_cndmask_b32_e64 v24, 0, 1, vcc_lo
	v_cmp_ne_u16_e32 vcc_lo, v25, v7
                                        ; implicit-def: $sgpr2
	v_cndmask_b32_e64 v23, 0, 1, vcc_lo
	v_cmp_ne_u16_e32 vcc_lo, v6, v25
	v_cndmask_b32_e64 v26, 0, 1, vcc_lo
	v_cmpx_ne_u32_e32 0, v0
	s_xor_b32 s1, exec_lo, s1
	s_cbranch_execz .LBB686_74
; %bb.73:
	v_add_nc_u32_e32 v5, -2, v5
	s_or_b32 s28, s28, exec_lo
	ds_load_i16 v5, v5
	s_waitcnt lgkmcnt(0)
	v_mul_i32_i24_e32 v5, 0x6667, v5
	s_delay_alu instid0(VALU_DEP_1) | instskip(SKIP_1) | instid1(VALU_DEP_1)
	v_lshrrev_b32_e32 v7, 31, v5
	v_ashrrev_i32_e32 v5, 18, v5
	v_add_nc_u16 v5, v5, v7
	s_delay_alu instid0(VALU_DEP_1)
	v_cmp_ne_u16_e32 vcc_lo, v5, v6
	s_and_b32 s2, vcc_lo, exec_lo
.LBB686_74:
	s_or_b32 exec_lo, exec_lo, s1
	s_branch .LBB686_110
.LBB686_75:
	s_mul_hi_u32 s0, s16, 0xfffff100
	s_mul_i32 s1, s17, 0xfffff100
	s_sub_i32 s0, s0, s16
	s_mul_i32 s2, s16, 0xfffff100
	s_add_i32 s1, s0, s1
	s_add_u32 s0, s2, s40
	s_addc_u32 s1, s1, s41
	s_and_b32 vcc_lo, exec_lo, s29
	s_cbranch_vccz .LBB686_219
; %bb.76:
	v_add_co_u32 v5, s2, -2, s14
	s_delay_alu instid0(VALU_DEP_1)
	v_add_co_ci_u32_e64 v6, null, -1, s21, s2
	v_mad_u32_u24 v13, v0, 15, 14
	v_dual_mov_b32 v14, 0 :: v_dual_mov_b32 v61, 0
	flat_load_u16 v7, v[5:6]
	v_lshlrev_b32_e32 v6, 1, v0
	v_lshrrev_b32_e32 v8, 16, v12
	v_mul_u32_u24_e32 v5, 15, v0
	s_mov_b32 s2, exec_lo
	ds_store_b16 v6, v8
	v_cmpx_gt_u64_e64 s[0:1], v[13:14]
	s_cbranch_execz .LBB686_78
; %bb.77:
	v_bfe_i32 v9, v12, 0, 16
	v_bfe_i32 v8, v8, 0, 16
	s_delay_alu instid0(VALU_DEP_2) | instskip(NEXT) | instid1(VALU_DEP_2)
	v_mul_i32_i24_e32 v9, 0x6667, v9
	v_mul_i32_i24_e32 v8, 0x6667, v8
	s_delay_alu instid0(VALU_DEP_2) | instskip(SKIP_1) | instid1(VALU_DEP_3)
	v_lshrrev_b32_e32 v13, 31, v9
	v_ashrrev_i32_e32 v9, 18, v9
	v_lshrrev_b32_e32 v15, 31, v8
	v_ashrrev_i32_e32 v8, 18, v8
	s_delay_alu instid0(VALU_DEP_3) | instskip(NEXT) | instid1(VALU_DEP_2)
	v_add_nc_u16 v9, v9, v13
	v_add_nc_u16 v8, v8, v15
	s_delay_alu instid0(VALU_DEP_1)
	v_cmp_ne_u16_e32 vcc_lo, v9, v8
	v_cndmask_b32_e64 v61, 0, 1, vcc_lo
.LBB686_78:
	s_or_b32 exec_lo, exec_lo, s2
	v_add_nc_u32_e32 v13, 13, v5
	s_mov_b32 s2, exec_lo
	s_delay_alu instid0(VALU_DEP_1)
	v_cmpx_gt_u64_e64 s[0:1], v[13:14]
	s_cbranch_execz .LBB686_80
; %bb.79:
	v_ashrrev_i32_e32 v8, 16, v11
	v_bfe_i32 v9, v12, 0, 16
	s_delay_alu instid0(VALU_DEP_2) | instskip(NEXT) | instid1(VALU_DEP_2)
	v_mul_i32_i24_e32 v8, 0x6667, v8
	v_mul_i32_i24_e32 v9, 0x6667, v9
	s_delay_alu instid0(VALU_DEP_2) | instskip(SKIP_1) | instid1(VALU_DEP_3)
	v_lshrrev_b32_e32 v13, 31, v8
	v_ashrrev_i32_e32 v8, 18, v8
	v_lshrrev_b32_e32 v14, 31, v9
	v_ashrrev_i32_e32 v9, 18, v9
	s_delay_alu instid0(VALU_DEP_3) | instskip(NEXT) | instid1(VALU_DEP_2)
	v_add_nc_u16 v8, v8, v13
	v_add_nc_u16 v9, v9, v14
	s_delay_alu instid0(VALU_DEP_1)
	v_cmp_ne_u16_e32 vcc_lo, v8, v9
	v_cndmask_b32_e64 v14, 0, 1, vcc_lo
.LBB686_80:
	s_or_b32 exec_lo, exec_lo, s2
	v_dual_mov_b32 v16, 0 :: v_dual_add_nc_u32 v15, 12, v5
	v_mov_b32_e32 v13, 0
	s_mov_b32 s2, exec_lo
	s_delay_alu instid0(VALU_DEP_2)
	v_cmpx_gt_u64_e64 s[0:1], v[15:16]
	s_cbranch_execz .LBB686_82
; %bb.81:
	v_bfe_i32 v8, v11, 0, 16
	v_ashrrev_i32_e32 v9, 16, v11
	s_delay_alu instid0(VALU_DEP_2) | instskip(NEXT) | instid1(VALU_DEP_2)
	v_mul_i32_i24_e32 v8, 0x6667, v8
	v_mul_i32_i24_e32 v9, 0x6667, v9
	s_delay_alu instid0(VALU_DEP_2) | instskip(SKIP_1) | instid1(VALU_DEP_3)
	v_lshrrev_b32_e32 v13, 31, v8
	v_ashrrev_i32_e32 v8, 18, v8
	v_lshrrev_b32_e32 v15, 31, v9
	v_ashrrev_i32_e32 v9, 18, v9
	s_delay_alu instid0(VALU_DEP_3) | instskip(NEXT) | instid1(VALU_DEP_2)
	v_add_nc_u16 v8, v8, v13
	v_add_nc_u16 v9, v9, v15
	s_delay_alu instid0(VALU_DEP_1)
	v_cmp_ne_u16_e32 vcc_lo, v8, v9
	v_cndmask_b32_e64 v13, 0, 1, vcc_lo
.LBB686_82:
	s_or_b32 exec_lo, exec_lo, s2
	v_add_nc_u32_e32 v15, 11, v5
	s_mov_b32 s2, exec_lo
	s_delay_alu instid0(VALU_DEP_1)
	v_cmpx_gt_u64_e64 s[0:1], v[15:16]
	s_cbranch_execz .LBB686_84
; %bb.83:
	v_ashrrev_i32_e32 v8, 16, v10
	v_bfe_i32 v9, v11, 0, 16
	s_delay_alu instid0(VALU_DEP_2) | instskip(NEXT) | instid1(VALU_DEP_2)
	v_mul_i32_i24_e32 v8, 0x6667, v8
	v_mul_i32_i24_e32 v9, 0x6667, v9
	s_delay_alu instid0(VALU_DEP_2) | instskip(SKIP_1) | instid1(VALU_DEP_3)
	v_lshrrev_b32_e32 v15, 31, v8
	v_ashrrev_i32_e32 v8, 18, v8
	v_lshrrev_b32_e32 v16, 31, v9
	v_ashrrev_i32_e32 v9, 18, v9
	s_delay_alu instid0(VALU_DEP_3) | instskip(NEXT) | instid1(VALU_DEP_2)
	v_add_nc_u16 v8, v8, v15
	v_add_nc_u16 v9, v9, v16
	s_delay_alu instid0(VALU_DEP_1)
	v_cmp_ne_u16_e32 vcc_lo, v8, v9
	v_cndmask_b32_e64 v16, 0, 1, vcc_lo
.LBB686_84:
	s_or_b32 exec_lo, exec_lo, s2
	v_dual_mov_b32 v18, 0 :: v_dual_add_nc_u32 v17, 10, v5
	v_mov_b32_e32 v15, 0
	s_mov_b32 s2, exec_lo
	s_delay_alu instid0(VALU_DEP_2)
	v_cmpx_gt_u64_e64 s[0:1], v[17:18]
	s_cbranch_execz .LBB686_86
; %bb.85:
	v_bfe_i32 v8, v10, 0, 16
	v_ashrrev_i32_e32 v9, 16, v10
	s_delay_alu instid0(VALU_DEP_2) | instskip(NEXT) | instid1(VALU_DEP_2)
	v_mul_i32_i24_e32 v8, 0x6667, v8
	v_mul_i32_i24_e32 v9, 0x6667, v9
	s_delay_alu instid0(VALU_DEP_2) | instskip(SKIP_1) | instid1(VALU_DEP_3)
	v_lshrrev_b32_e32 v15, 31, v8
	v_ashrrev_i32_e32 v8, 18, v8
	v_lshrrev_b32_e32 v17, 31, v9
	v_ashrrev_i32_e32 v9, 18, v9
	s_delay_alu instid0(VALU_DEP_3) | instskip(NEXT) | instid1(VALU_DEP_2)
	v_add_nc_u16 v8, v8, v15
	v_add_nc_u16 v9, v9, v17
	s_delay_alu instid0(VALU_DEP_1)
	v_cmp_ne_u16_e32 vcc_lo, v8, v9
	v_cndmask_b32_e64 v15, 0, 1, vcc_lo
.LBB686_86:
	;; [unrolled: 49-line block ×6, first 2 shown]
	s_or_b32 exec_lo, exec_lo, s2
	v_add_nc_u32_e32 v25, 1, v5
	s_mov_b32 s2, exec_lo
	s_delay_alu instid0(VALU_DEP_1)
	v_cmpx_gt_u64_e64 s[0:1], v[25:26]
	s_cbranch_execz .LBB686_104
; %bb.103:
	v_bfe_i32 v8, v62, 0, 16
	v_bfe_i32 v9, v1, 0, 16
	s_delay_alu instid0(VALU_DEP_2) | instskip(NEXT) | instid1(VALU_DEP_2)
	v_mul_i32_i24_e32 v8, 0x6667, v8
	v_mul_i32_i24_e32 v9, 0x6667, v9
	s_delay_alu instid0(VALU_DEP_2) | instskip(SKIP_1) | instid1(VALU_DEP_3)
	v_lshrrev_b32_e32 v25, 31, v8
	v_ashrrev_i32_e32 v8, 18, v8
	v_lshrrev_b32_e32 v26, 31, v9
	v_ashrrev_i32_e32 v9, 18, v9
	s_delay_alu instid0(VALU_DEP_3) | instskip(NEXT) | instid1(VALU_DEP_2)
	v_add_nc_u16 v8, v8, v25
	v_add_nc_u16 v9, v9, v26
	s_delay_alu instid0(VALU_DEP_1)
	v_cmp_ne_u16_e32 vcc_lo, v8, v9
	v_cndmask_b32_e64 v26, 0, 1, vcc_lo
.LBB686_104:
	s_or_b32 exec_lo, exec_lo, s2
	s_mov_b32 s2, 0
	s_mov_b32 s3, exec_lo
	s_waitcnt vmcnt(0) lgkmcnt(0)
	s_barrier
	buffer_gl0_inv
	v_cmpx_ne_u32_e32 0, v0
	s_cbranch_execz .LBB686_106
; %bb.105:
	v_add_nc_u32_e32 v6, -2, v6
	ds_load_u16 v7, v6
.LBB686_106:
	s_or_b32 exec_lo, exec_lo, s3
	v_mov_b32_e32 v6, 0
	s_mov_b32 s3, exec_lo
	s_delay_alu instid0(VALU_DEP_1)
	v_cmpx_gt_u64_e64 s[0:1], v[5:6]
	s_cbranch_execz .LBB686_108
; %bb.107:
	s_waitcnt lgkmcnt(0)
	v_bfe_i32 v5, v7, 0, 16
	v_bfe_i32 v6, v62, 0, 16
	s_delay_alu instid0(VALU_DEP_2) | instskip(NEXT) | instid1(VALU_DEP_2)
	v_mul_i32_i24_e32 v5, 0x6667, v5
	v_mul_i32_i24_e32 v6, 0x6667, v6
	s_delay_alu instid0(VALU_DEP_2) | instskip(SKIP_1) | instid1(VALU_DEP_3)
	v_lshrrev_b32_e32 v7, 31, v5
	v_ashrrev_i32_e32 v5, 18, v5
	v_lshrrev_b32_e32 v8, 31, v6
	v_ashrrev_i32_e32 v6, 18, v6
	s_delay_alu instid0(VALU_DEP_3) | instskip(NEXT) | instid1(VALU_DEP_2)
	v_add_nc_u16 v5, v5, v7
	v_add_nc_u16 v6, v6, v8
	s_delay_alu instid0(VALU_DEP_1)
	v_cmp_ne_u16_e32 vcc_lo, v5, v6
	s_and_b32 s2, vcc_lo, exec_lo
.LBB686_108:
	s_or_b32 exec_lo, exec_lo, s3
	s_mov_b32 s28, -1
.LBB686_109:
                                        ; implicit-def: $sgpr0
.LBB686_110:
	v_mov_b32_e32 v76, s0
	s_and_saveexec_b32 s0, s28
.LBB686_111:
	v_cndmask_b32_e64 v76, 0, 1, s2
.LBB686_112:
	s_or_b32 exec_lo, exec_lo, s0
	s_delay_alu instid0(VALU_DEP_1)
	v_add3_u32 v5, v26, v76, v23
	v_cmp_eq_u32_e64 s12, 0, v26
	v_cmp_eq_u32_e64 s11, 0, v23
	;; [unrolled: 1-line block ×4, first 2 shown]
	v_add3_u32 v80, v5, v24, v21
	v_cmp_eq_u32_e64 s8, 0, v22
	v_cmp_eq_u32_e64 s7, 0, v19
	;; [unrolled: 1-line block ×9, first 2 shown]
	v_cmp_eq_u32_e32 vcc_lo, 0, v61
	v_mbcnt_lo_u32_b32 v77, -1, 0
	v_lshrrev_b32_e32 v78, 5, v0
	v_or_b32_e32 v79, 31, v0
	s_cmp_eq_u64 s[26:27], 0
	s_cselect_b32 s16, -1, 0
	s_cmp_lg_u32 s15, 0
	s_cbranch_scc0 .LBB686_143
; %bb.113:
	v_cndmask_b32_e64 v5, 0, v73, s12
	v_add3_u32 v6, v80, v22, v19
	v_and_b32_e32 v9, 15, v77
	s_delay_alu instid0(VALU_DEP_3) | instskip(NEXT) | instid1(VALU_DEP_3)
	v_add_nc_u16 v5, v5, v72
	v_add3_u32 v6, v6, v20, v17
	s_delay_alu instid0(VALU_DEP_2) | instskip(NEXT) | instid1(VALU_DEP_2)
	v_cndmask_b32_e64 v5, 0, v5, s11
	v_add3_u32 v6, v6, v18, v15
	s_delay_alu instid0(VALU_DEP_2) | instskip(NEXT) | instid1(VALU_DEP_2)
	v_add_nc_u16 v5, v5, v74
	v_add3_u32 v6, v6, v16, v13
	s_delay_alu instid0(VALU_DEP_2) | instskip(NEXT) | instid1(VALU_DEP_2)
	v_cndmask_b32_e64 v5, 0, v5, s10
	v_add3_u32 v6, v6, v14, v61
	s_delay_alu instid0(VALU_DEP_2) | instskip(NEXT) | instid1(VALU_DEP_2)
	v_add_nc_u16 v5, v5, v70
	v_mov_b32_dpp v25, v6 row_shr:1 row_mask:0xf bank_mask:0xf
	s_delay_alu instid0(VALU_DEP_2) | instskip(NEXT) | instid1(VALU_DEP_1)
	v_cndmask_b32_e64 v5, 0, v5, s9
	v_add_nc_u16 v5, v5, v71
	s_delay_alu instid0(VALU_DEP_1) | instskip(NEXT) | instid1(VALU_DEP_1)
	v_cndmask_b32_e64 v5, 0, v5, s8
	v_add_nc_u16 v5, v5, v68
	s_delay_alu instid0(VALU_DEP_1) | instskip(NEXT) | instid1(VALU_DEP_1)
	;; [unrolled: 3-line block ×9, first 2 shown]
	v_cndmask_b32_e64 v5, 0, v5, s0
	v_add_nc_u16 v5, v5, v59
	s_delay_alu instid0(VALU_DEP_1) | instskip(SKIP_1) | instid1(VALU_DEP_2)
	v_cndmask_b32_e32 v5, 0, v5, vcc_lo
	v_cmp_eq_u32_e32 vcc_lo, 0, v6
	v_add_nc_u16 v5, v5, v75
	s_waitcnt lgkmcnt(0)
	s_delay_alu instid0(VALU_DEP_1) | instskip(NEXT) | instid1(VALU_DEP_1)
	v_and_b32_e32 v7, 0xffff, v5
	v_mov_b32_dpp v8, v7 row_shr:1 row_mask:0xf bank_mask:0xf
	s_delay_alu instid0(VALU_DEP_1) | instskip(SKIP_1) | instid1(VALU_DEP_2)
	v_cndmask_b32_e32 v8, 0, v8, vcc_lo
	v_cmp_eq_u32_e32 vcc_lo, 0, v9
	v_add_nc_u16 v8, v8, v5
	v_cndmask_b32_e64 v25, v25, 0, vcc_lo
	s_delay_alu instid0(VALU_DEP_2) | instskip(NEXT) | instid1(VALU_DEP_2)
	v_and_b32_e32 v27, 0xffff, v8
	v_dual_cndmask_b32 v5, v8, v5 :: v_dual_add_nc_u32 v6, v25, v6
	s_delay_alu instid0(VALU_DEP_2) | instskip(NEXT) | instid1(VALU_DEP_2)
	v_cndmask_b32_e32 v7, v27, v7, vcc_lo
	v_cmp_eq_u32_e32 vcc_lo, 0, v6
	s_delay_alu instid0(VALU_DEP_2) | instskip(NEXT) | instid1(VALU_DEP_1)
	v_mov_b32_dpp v25, v7 row_shr:2 row_mask:0xf bank_mask:0xf
	v_cndmask_b32_e32 v8, 0, v25, vcc_lo
	v_mov_b32_dpp v25, v6 row_shr:2 row_mask:0xf bank_mask:0xf
	v_cmp_lt_u32_e32 vcc_lo, 1, v9
	s_delay_alu instid0(VALU_DEP_3) | instskip(NEXT) | instid1(VALU_DEP_1)
	v_add_nc_u16 v8, v8, v5
	v_and_b32_e32 v27, 0xffff, v8
	s_delay_alu instid0(VALU_DEP_4) | instskip(NEXT) | instid1(VALU_DEP_1)
	v_dual_cndmask_b32 v5, v5, v8 :: v_dual_cndmask_b32 v8, 0, v25
	v_dual_cndmask_b32 v7, v7, v27 :: v_dual_add_nc_u32 v6, v6, v8
	s_delay_alu instid0(VALU_DEP_1) | instskip(NEXT) | instid1(VALU_DEP_2)
	v_cmp_eq_u32_e32 vcc_lo, 0, v6
	v_mov_b32_dpp v8, v7 row_shr:4 row_mask:0xf bank_mask:0xf
	v_mov_b32_dpp v25, v6 row_shr:4 row_mask:0xf bank_mask:0xf
	s_delay_alu instid0(VALU_DEP_2) | instskip(SKIP_1) | instid1(VALU_DEP_2)
	v_cndmask_b32_e32 v8, 0, v8, vcc_lo
	v_cmp_lt_u32_e32 vcc_lo, 3, v9
	v_add_nc_u16 v8, v8, v5
	s_delay_alu instid0(VALU_DEP_1) | instskip(SKIP_1) | instid1(VALU_DEP_1)
	v_and_b32_e32 v27, 0xffff, v8
	v_dual_cndmask_b32 v5, v5, v8 :: v_dual_cndmask_b32 v8, 0, v25
	v_dual_cndmask_b32 v7, v7, v27 :: v_dual_add_nc_u32 v6, v8, v6
	s_delay_alu instid0(VALU_DEP_1) | instskip(NEXT) | instid1(VALU_DEP_2)
	v_cmp_eq_u32_e32 vcc_lo, 0, v6
	v_mov_b32_dpp v8, v7 row_shr:8 row_mask:0xf bank_mask:0xf
	v_mov_b32_dpp v25, v6 row_shr:8 row_mask:0xf bank_mask:0xf
	s_delay_alu instid0(VALU_DEP_2) | instskip(SKIP_1) | instid1(VALU_DEP_2)
	v_cndmask_b32_e32 v8, 0, v8, vcc_lo
	v_cmp_lt_u32_e32 vcc_lo, 7, v9
	v_add_nc_u16 v8, v8, v5
	s_delay_alu instid0(VALU_DEP_4) | instskip(SKIP_1) | instid1(VALU_DEP_3)
	v_cndmask_b32_e32 v9, 0, v25, vcc_lo
	v_bfe_i32 v25, v77, 4, 1
	v_cndmask_b32_e32 v5, v5, v8, vcc_lo
	v_and_b32_e32 v8, 0xffff, v8
	s_delay_alu instid0(VALU_DEP_4) | instskip(SKIP_1) | instid1(VALU_DEP_3)
	v_add_nc_u32_e32 v6, v9, v6
	v_and_b32_e32 v9, 16, v77
	v_cndmask_b32_e32 v7, v7, v8, vcc_lo
	ds_swizzle_b32 v8, v6 offset:swizzle(BROADCAST,32,15)
	v_cmp_ne_u32_e32 vcc_lo, 0, v9
	v_cmp_eq_u32_e64 s13, 0, v6
	ds_swizzle_b32 v7, v7 offset:swizzle(BROADCAST,32,15)
	s_and_b32 vcc_lo, vcc_lo, s13
	s_mov_b32 s13, exec_lo
	s_waitcnt lgkmcnt(0)
	v_dual_cndmask_b32 v7, 0, v7 :: v_dual_and_b32 v8, v25, v8
	s_delay_alu instid0(VALU_DEP_1) | instskip(NEXT) | instid1(VALU_DEP_2)
	v_add_nc_u32_e32 v6, v8, v6
	v_add_nc_u16 v5, v7, v5
	v_lshlrev_b32_e32 v7, 3, v78
	v_cmpx_eq_u32_e64 v79, v0
	s_cbranch_execz .LBB686_115
; %bb.114:
	ds_store_b32 v7, v6 offset:1040
	ds_store_b16 v7, v5 offset:1044
.LBB686_115:
	s_or_b32 exec_lo, exec_lo, s13
	s_delay_alu instid0(SALU_CYCLE_1)
	s_mov_b32 s14, exec_lo
	s_waitcnt lgkmcnt(0)
	s_barrier
	buffer_gl0_inv
	v_cmpx_gt_u32_e32 8, v0
	s_cbranch_execz .LBB686_117
; %bb.116:
	v_lshlrev_b32_e32 v25, 3, v0
	v_and_b32_e32 v30, 7, v77
	ds_load_b64 v[8:9], v25 offset:1040
	s_waitcnt lgkmcnt(0)
	v_mov_b32_dpp v27, v9 row_shr:1 row_mask:0xf bank_mask:0xf
	v_cmp_eq_u32_e32 vcc_lo, 0, v8
	v_mov_b32_dpp v31, v8 row_shr:1 row_mask:0xf bank_mask:0xf
	s_delay_alu instid0(VALU_DEP_3) | instskip(SKIP_1) | instid1(VALU_DEP_2)
	v_dual_cndmask_b32 v27, 0, v27 :: v_dual_and_b32 v28, 0xffff0000, v9
	v_cmp_eq_u32_e32 vcc_lo, 0, v30
	v_add_nc_u16 v27, v27, v9
	s_delay_alu instid0(VALU_DEP_4) | instskip(NEXT) | instid1(VALU_DEP_2)
	v_cndmask_b32_e64 v31, v31, 0, vcc_lo
	v_and_b32_e32 v29, 0xffff, v27
	s_delay_alu instid0(VALU_DEP_2) | instskip(NEXT) | instid1(VALU_DEP_2)
	v_add_nc_u32_e32 v8, v31, v8
	v_or_b32_e32 v29, v28, v29
	s_delay_alu instid0(VALU_DEP_1) | instskip(SKIP_1) | instid1(VALU_DEP_4)
	v_cndmask_b32_e32 v29, v29, v9, vcc_lo
	v_cndmask_b32_e32 v9, v27, v9, vcc_lo
	v_cmp_eq_u32_e32 vcc_lo, 0, v8
	s_delay_alu instid0(VALU_DEP_3) | instskip(NEXT) | instid1(VALU_DEP_1)
	v_mov_b32_dpp v31, v29 row_shr:2 row_mask:0xf bank_mask:0xf
	v_cndmask_b32_e32 v27, 0, v31, vcc_lo
	v_mov_b32_dpp v31, v8 row_shr:2 row_mask:0xf bank_mask:0xf
	v_cmp_lt_u32_e32 vcc_lo, 1, v30
	v_cmp_lt_u32_e64 s13, 3, v30
	s_delay_alu instid0(VALU_DEP_4) | instskip(NEXT) | instid1(VALU_DEP_1)
	v_add_nc_u16 v27, v27, v9
	v_and_b32_e32 v32, 0xffff, v27
	v_cndmask_b32_e32 v9, v9, v27, vcc_lo
	v_cndmask_b32_e32 v27, 0, v31, vcc_lo
	s_delay_alu instid0(VALU_DEP_3) | instskip(NEXT) | instid1(VALU_DEP_2)
	v_or_b32_e32 v28, v28, v32
	v_add_nc_u32_e32 v8, v27, v8
	s_delay_alu instid0(VALU_DEP_2) | instskip(NEXT) | instid1(VALU_DEP_2)
	v_cndmask_b32_e32 v27, v29, v28, vcc_lo
	v_cmp_eq_u32_e32 vcc_lo, 0, v8
	v_mov_b32_dpp v28, v8 row_shr:4 row_mask:0xf bank_mask:0xf
	s_delay_alu instid0(VALU_DEP_3) | instskip(SKIP_1) | instid1(VALU_DEP_2)
	v_mov_b32_dpp v27, v27 row_shr:4 row_mask:0xf bank_mask:0xf
	s_and_b32 vcc_lo, s13, vcc_lo
	v_cndmask_b32_e64 v28, 0, v28, s13
	s_delay_alu instid0(VALU_DEP_1) | instskip(NEXT) | instid1(VALU_DEP_1)
	v_dual_cndmask_b32 v27, 0, v27 :: v_dual_add_nc_u32 v8, v28, v8
	v_add_nc_u16 v9, v9, v27
	ds_store_b32 v25, v8 offset:1040
	ds_store_b16 v25, v9 offset:1044
.LBB686_117:
	s_or_b32 exec_lo, exec_lo, s14
	v_cmp_gt_u32_e32 vcc_lo, 32, v0
	v_mov_b32_e32 v31, 0
	v_mov_b32_e32 v25, 0
	s_mov_b32 s14, exec_lo
	s_waitcnt lgkmcnt(0)
	s_barrier
	buffer_gl0_inv
	v_cmpx_lt_u32_e32 31, v0
	s_cbranch_execz .LBB686_119
; %bb.118:
	ds_load_u16 v25, v7 offset:1036
	ds_load_b32 v31, v7 offset:1032
	v_cmp_eq_u32_e64 s13, 0, v6
	s_waitcnt lgkmcnt(1)
	s_delay_alu instid0(VALU_DEP_1) | instskip(SKIP_2) | instid1(VALU_DEP_2)
	v_cndmask_b32_e64 v7, 0, v25, s13
	s_waitcnt lgkmcnt(0)
	v_add_nc_u32_e32 v6, v31, v6
	v_add_nc_u16 v5, v7, v5
.LBB686_119:
	s_or_b32 exec_lo, exec_lo, s14
	v_add_nc_u32_e32 v7, -1, v77
	s_delay_alu instid0(VALU_DEP_2) | instskip(NEXT) | instid1(VALU_DEP_2)
	v_and_b32_e32 v5, 0xffff, v5
	v_cmp_gt_i32_e64 s13, 0, v7
	s_delay_alu instid0(VALU_DEP_1) | instskip(SKIP_1) | instid1(VALU_DEP_2)
	v_cndmask_b32_e64 v7, v7, v77, s13
	v_cmp_eq_u32_e64 s13, 0, v77
	v_lshlrev_b32_e32 v7, 2, v7
	ds_bpermute_b32 v32, v7, v6
	ds_bpermute_b32 v33, v7, v5
	s_and_saveexec_b32 s17, vcc_lo
	s_cbranch_execz .LBB686_142
; %bb.120:
	v_mov_b32_e32 v8, 0
	ds_load_b64 v[5:6], v8 offset:1096
	s_waitcnt lgkmcnt(0)
	v_readfirstlane_b32 s21, v6
	s_and_saveexec_b32 s14, s13
	s_cbranch_execz .LBB686_122
; %bb.121:
	s_add_i32 s26, s15, 32
	s_mov_b32 s27, 0
	v_mov_b32_e32 v7, 1
	s_lshl_b64 s[28:29], s[26:27], 4
	s_mov_b32 s30, s27
	s_add_u32 s28, s24, s28
	s_addc_u32 s29, s25, s29
	s_and_b32 s31, s21, 0xff000000
	s_and_b32 s41, s21, 0xff0000
	s_mov_b32 s40, s27
	v_dual_mov_b32 v27, s28 :: v_dual_mov_b32 v28, s29
	s_or_b64 s[30:31], s[40:41], s[30:31]
	s_and_b32 s41, s21, 0xff00
	s_delay_alu instid0(SALU_CYCLE_1) | instskip(SKIP_1) | instid1(SALU_CYCLE_1)
	s_or_b64 s[30:31], s[30:31], s[40:41]
	s_and_b32 s41, s21, 0xff
	s_or_b64 s[26:27], s[30:31], s[40:41]
	s_delay_alu instid0(SALU_CYCLE_1)
	v_mov_b32_e32 v6, s27
	;;#ASMSTART
	global_store_dwordx4 v[27:28], v[5:8] off	
s_waitcnt vmcnt(0)
	;;#ASMEND
.LBB686_122:
	s_or_b32 exec_lo, exec_lo, s14
	v_xad_u32 v27, v77, -1, s15
	s_mov_b32 s26, 0
	s_mov_b32 s14, exec_lo
	s_delay_alu instid0(VALU_DEP_1) | instskip(NEXT) | instid1(VALU_DEP_1)
	v_add_nc_u32_e32 v7, 32, v27
	v_lshlrev_b64 v[6:7], 4, v[7:8]
	s_delay_alu instid0(VALU_DEP_1) | instskip(NEXT) | instid1(VALU_DEP_2)
	v_add_co_u32 v28, vcc_lo, s24, v6
	v_add_co_ci_u32_e32 v29, vcc_lo, s25, v7, vcc_lo
	;;#ASMSTART
	global_load_dwordx4 v[6:9], v[28:29] off glc	
s_waitcnt vmcnt(0)
	;;#ASMEND
	v_and_b32_e32 v9, 0xffffff, v6
	v_and_b32_e32 v6, 0xff000000, v6
	;; [unrolled: 1-line block ×4, first 2 shown]
	s_delay_alu instid0(VALU_DEP_3) | instskip(SKIP_1) | instid1(VALU_DEP_3)
	v_or_b32_e32 v6, v9, v6
	v_and_b32_e32 v9, 0xff, v8
	v_or3_b32 v7, 0, v30, v7
	s_delay_alu instid0(VALU_DEP_3) | instskip(NEXT) | instid1(VALU_DEP_3)
	v_or3_b32 v6, v6, 0, 0
	v_cmpx_eq_u16_e32 0, v9
	s_cbranch_execz .LBB686_128
; %bb.123:
	s_mov_b32 s27, 1
	.p2align	6
.LBB686_124:                            ; =>This Loop Header: Depth=1
                                        ;     Child Loop BB686_125 Depth 2
	s_delay_alu instid0(SALU_CYCLE_1)
	s_max_u32 s28, s27, 1
.LBB686_125:                            ;   Parent Loop BB686_124 Depth=1
                                        ; =>  This Inner Loop Header: Depth=2
	s_delay_alu instid0(SALU_CYCLE_1)
	s_add_i32 s28, s28, -1
	s_sleep 1
	s_cmp_eq_u32 s28, 0
	s_cbranch_scc0 .LBB686_125
; %bb.126:                              ;   in Loop: Header=BB686_124 Depth=1
	;;#ASMSTART
	global_load_dwordx4 v[6:9], v[28:29] off glc	
s_waitcnt vmcnt(0)
	;;#ASMEND
	v_and_b32_e32 v9, 0xff, v8
	s_cmp_lt_u32 s27, 32
	s_cselect_b32 s28, -1, 0
	s_delay_alu instid0(SALU_CYCLE_1) | instskip(NEXT) | instid1(VALU_DEP_1)
	s_cmp_lg_u32 s28, 0
	v_cmp_ne_u16_e32 vcc_lo, 0, v9
	s_addc_u32 s27, s27, 0
	s_or_b32 s26, vcc_lo, s26
	s_delay_alu instid0(SALU_CYCLE_1)
	s_and_not1_b32 exec_lo, exec_lo, s26
	s_cbranch_execnz .LBB686_124
; %bb.127:
	s_or_b32 exec_lo, exec_lo, s26
	v_and_b32_e32 v7, 0xffff, v7
.LBB686_128:
	s_or_b32 exec_lo, exec_lo, s14
	v_cmp_ne_u32_e32 vcc_lo, 31, v77
	v_cmp_eq_u32_e64 s14, 0, v6
	v_lshlrev_b32_e64 v35, v77, -1
	v_add_nc_u32_e32 v43, 8, v77
	v_add_nc_u32_e32 v45, 16, v77
	v_add_co_ci_u32_e32 v9, vcc_lo, 0, v77, vcc_lo
	s_delay_alu instid0(VALU_DEP_1) | instskip(SKIP_4) | instid1(VALU_DEP_1)
	v_lshlrev_b32_e32 v34, 2, v9
	ds_bpermute_b32 v9, v34, v7
	ds_bpermute_b32 v30, v34, v6
	s_waitcnt lgkmcnt(1)
	v_cndmask_b32_e64 v9, 0, v9, s14
	v_add_nc_u16 v9, v9, v7
	v_and_b32_e32 v28, 0xff, v8
	s_delay_alu instid0(VALU_DEP_2) | instskip(NEXT) | instid1(VALU_DEP_2)
	v_and_b32_e32 v37, 0xffff, v9
	v_cmp_eq_u16_e32 vcc_lo, 2, v28
	v_and_or_b32 v28, vcc_lo, v35, 0x80000000
	v_cmp_gt_u32_e32 vcc_lo, 30, v77
	s_delay_alu instid0(VALU_DEP_2) | instskip(SKIP_1) | instid1(VALU_DEP_2)
	v_ctz_i32_b32_e32 v28, v28
	v_cndmask_b32_e64 v29, 0, 1, vcc_lo
	v_cmp_lt_u32_e32 vcc_lo, v77, v28
	s_waitcnt lgkmcnt(0)
	s_delay_alu instid0(VALU_DEP_2) | instskip(NEXT) | instid1(VALU_DEP_1)
	v_dual_cndmask_b32 v30, 0, v30 :: v_dual_lshlrev_b32 v29, 1, v29
	v_add_lshl_u32 v36, v29, v77, 2
	v_cndmask_b32_e32 v9, v7, v9, vcc_lo
	v_cndmask_b32_e32 v7, v7, v37, vcc_lo
	v_add_nc_u32_e32 v37, 2, v77
	v_add_nc_u32_e32 v6, v30, v6
	ds_bpermute_b32 v29, v36, v7
	v_cmp_eq_u32_e32 vcc_lo, 0, v6
	ds_bpermute_b32 v39, v36, v6
	s_waitcnt lgkmcnt(1)
	v_cndmask_b32_e32 v29, 0, v29, vcc_lo
	v_cmp_gt_u32_e32 vcc_lo, 28, v77
	v_cndmask_b32_e64 v30, 0, 1, vcc_lo
	v_cmp_gt_u32_e32 vcc_lo, v37, v28
	s_delay_alu instid0(VALU_DEP_2) | instskip(SKIP_1) | instid1(VALU_DEP_2)
	v_lshlrev_b32_e32 v30, 2, v30
	v_add_nc_u16 v29, v29, v9
	v_add_lshl_u32 v38, v30, v77, 2
	s_delay_alu instid0(VALU_DEP_2) | instskip(SKIP_4) | instid1(VALU_DEP_3)
	v_and_b32_e32 v40, 0xffff, v29
	s_waitcnt lgkmcnt(0)
	v_cndmask_b32_e64 v30, v39, 0, vcc_lo
	v_cndmask_b32_e32 v9, v29, v9, vcc_lo
	v_add_nc_u32_e32 v39, 4, v77
	v_dual_cndmask_b32 v7, v40, v7 :: v_dual_add_nc_u32 v6, v6, v30
	ds_bpermute_b32 v29, v38, v7
	v_cmp_eq_u32_e32 vcc_lo, 0, v6
	ds_bpermute_b32 v40, v38, v6
	s_waitcnt lgkmcnt(1)
	v_cndmask_b32_e32 v29, 0, v29, vcc_lo
	v_cmp_gt_u32_e32 vcc_lo, 24, v77
	v_cndmask_b32_e64 v30, 0, 1, vcc_lo
	v_cmp_gt_u32_e32 vcc_lo, v39, v28
	s_delay_alu instid0(VALU_DEP_2) | instskip(SKIP_1) | instid1(VALU_DEP_2)
	v_lshlrev_b32_e32 v30, 3, v30
	v_add_nc_u16 v29, v9, v29
	v_add_lshl_u32 v41, v30, v77, 2
	s_delay_alu instid0(VALU_DEP_2) | instskip(SKIP_3) | instid1(VALU_DEP_3)
	v_and_b32_e32 v42, 0xffff, v29
	s_waitcnt lgkmcnt(0)
	v_cndmask_b32_e64 v30, v40, 0, vcc_lo
	v_cndmask_b32_e32 v9, v29, v9, vcc_lo
	v_cndmask_b32_e32 v7, v42, v7, vcc_lo
	s_delay_alu instid0(VALU_DEP_3)
	v_add_nc_u32_e32 v6, v6, v30
	ds_bpermute_b32 v29, v41, v7
	v_cmp_eq_u32_e32 vcc_lo, 0, v6
	ds_bpermute_b32 v30, v41, v6
	s_waitcnt lgkmcnt(1)
	v_cndmask_b32_e32 v29, 0, v29, vcc_lo
	v_cmp_gt_u32_e32 vcc_lo, 16, v77
	v_cndmask_b32_e64 v40, 0, 1, vcc_lo
	v_cmp_gt_u32_e32 vcc_lo, v43, v28
	s_delay_alu instid0(VALU_DEP_2) | instskip(SKIP_1) | instid1(VALU_DEP_2)
	v_lshlrev_b32_e32 v40, 4, v40
	v_add_nc_u16 v29, v9, v29
	v_add_lshl_u32 v44, v40, v77, 2
	s_delay_alu instid0(VALU_DEP_2) | instskip(SKIP_3) | instid1(VALU_DEP_3)
	v_and_b32_e32 v42, 0xffff, v29
	v_cndmask_b32_e32 v9, v29, v9, vcc_lo
	s_waitcnt lgkmcnt(0)
	v_cndmask_b32_e64 v29, v30, 0, vcc_lo
	v_cndmask_b32_e32 v7, v42, v7, vcc_lo
	s_delay_alu instid0(VALU_DEP_2)
	v_add_nc_u32_e32 v6, v6, v29
	ds_bpermute_b32 v7, v44, v7
	ds_bpermute_b32 v29, v44, v6
	v_cmp_eq_u32_e32 vcc_lo, 0, v6
	s_waitcnt lgkmcnt(1)
	v_cndmask_b32_e32 v7, 0, v7, vcc_lo
	v_cmp_gt_u32_e32 vcc_lo, v45, v28
	s_delay_alu instid0(VALU_DEP_2) | instskip(SKIP_2) | instid1(VALU_DEP_1)
	v_cndmask_b32_e64 v7, v7, 0, vcc_lo
	s_waitcnt lgkmcnt(0)
	v_cndmask_b32_e64 v28, v29, 0, vcc_lo
	v_add_nc_u32_e32 v6, v28, v6
	s_delay_alu instid0(VALU_DEP_3)
	v_add_nc_u16 v7, v9, v7
	v_mov_b32_e32 v28, 0
	s_branch .LBB686_130
.LBB686_129:                            ;   in Loop: Header=BB686_130 Depth=1
	s_or_b32 exec_lo, exec_lo, s14
	ds_bpermute_b32 v9, v34, v7
	ds_bpermute_b32 v30, v34, v6
	v_and_b32_e32 v29, 0xff, v8
	v_cmp_eq_u32_e64 s14, 0, v6
	v_subrev_nc_u32_e32 v27, 32, v27
	s_delay_alu instid0(VALU_DEP_3) | instskip(SKIP_1) | instid1(VALU_DEP_1)
	v_cmp_eq_u16_e32 vcc_lo, 2, v29
	v_and_or_b32 v29, vcc_lo, v35, 0x80000000
	v_ctz_i32_b32_e32 v29, v29
	s_waitcnt lgkmcnt(1)
	v_cndmask_b32_e64 v9, 0, v9, s14
	s_delay_alu instid0(VALU_DEP_2) | instskip(NEXT) | instid1(VALU_DEP_2)
	v_cmp_lt_u32_e32 vcc_lo, v77, v29
	v_add_nc_u16 v9, v9, v7
	s_waitcnt lgkmcnt(0)
	v_cndmask_b32_e32 v30, 0, v30, vcc_lo
	s_delay_alu instid0(VALU_DEP_2) | instskip(NEXT) | instid1(VALU_DEP_2)
	v_and_b32_e32 v46, 0xffff, v9
	v_dual_cndmask_b32 v9, v7, v9 :: v_dual_add_nc_u32 v6, v30, v6
	s_delay_alu instid0(VALU_DEP_2) | instskip(NEXT) | instid1(VALU_DEP_2)
	v_cndmask_b32_e32 v7, v7, v46, vcc_lo
	v_cmp_eq_u32_e32 vcc_lo, 0, v6
	ds_bpermute_b32 v46, v36, v7
	s_waitcnt lgkmcnt(0)
	v_cndmask_b32_e32 v30, 0, v46, vcc_lo
	ds_bpermute_b32 v46, v36, v6
	v_cmp_gt_u32_e32 vcc_lo, v37, v29
	v_add_nc_u16 v30, v30, v9
	s_delay_alu instid0(VALU_DEP_1) | instskip(SKIP_1) | instid1(VALU_DEP_2)
	v_and_b32_e32 v47, 0xffff, v30
	v_cndmask_b32_e32 v9, v30, v9, vcc_lo
	v_cndmask_b32_e32 v7, v47, v7, vcc_lo
	ds_bpermute_b32 v30, v38, v7
	s_waitcnt lgkmcnt(1)
	v_cndmask_b32_e64 v46, v46, 0, vcc_lo
	s_delay_alu instid0(VALU_DEP_1) | instskip(NEXT) | instid1(VALU_DEP_1)
	v_add_nc_u32_e32 v6, v6, v46
	v_cmp_eq_u32_e32 vcc_lo, 0, v6
	ds_bpermute_b32 v46, v38, v6
	s_waitcnt lgkmcnt(1)
	v_cndmask_b32_e32 v30, 0, v30, vcc_lo
	v_cmp_gt_u32_e32 vcc_lo, v39, v29
	s_delay_alu instid0(VALU_DEP_2) | instskip(NEXT) | instid1(VALU_DEP_1)
	v_add_nc_u16 v30, v9, v30
	v_and_b32_e32 v47, 0xffff, v30
	v_cndmask_b32_e32 v9, v30, v9, vcc_lo
	s_waitcnt lgkmcnt(0)
	v_cndmask_b32_e64 v46, v46, 0, vcc_lo
	s_delay_alu instid0(VALU_DEP_1)
	v_dual_cndmask_b32 v7, v47, v7 :: v_dual_add_nc_u32 v6, v6, v46
	ds_bpermute_b32 v30, v41, v7
	v_cmp_eq_u32_e32 vcc_lo, 0, v6
	ds_bpermute_b32 v46, v41, v6
	s_waitcnt lgkmcnt(1)
	v_cndmask_b32_e32 v30, 0, v30, vcc_lo
	v_cmp_gt_u32_e32 vcc_lo, v43, v29
	s_delay_alu instid0(VALU_DEP_2) | instskip(NEXT) | instid1(VALU_DEP_1)
	v_add_nc_u16 v30, v9, v30
	v_and_b32_e32 v47, 0xffff, v30
	v_cndmask_b32_e32 v9, v30, v9, vcc_lo
	s_waitcnt lgkmcnt(0)
	v_cndmask_b32_e64 v30, v46, 0, vcc_lo
	s_delay_alu instid0(VALU_DEP_1)
	v_dual_cndmask_b32 v7, v47, v7 :: v_dual_add_nc_u32 v6, v6, v30
	ds_bpermute_b32 v7, v44, v7
	ds_bpermute_b32 v30, v44, v6
	v_cmp_eq_u32_e32 vcc_lo, 0, v6
	s_waitcnt lgkmcnt(1)
	v_cndmask_b32_e32 v7, 0, v7, vcc_lo
	v_cmp_gt_u32_e32 vcc_lo, v45, v29
	s_delay_alu instid0(VALU_DEP_2) | instskip(NEXT) | instid1(VALU_DEP_1)
	v_cndmask_b32_e64 v7, v7, 0, vcc_lo
	v_add_nc_u16 v7, v9, v7
	s_waitcnt lgkmcnt(0)
	v_cndmask_b32_e64 v9, v30, 0, vcc_lo
	v_cmp_eq_u32_e32 vcc_lo, 0, v42
	s_delay_alu instid0(VALU_DEP_3) | instskip(NEXT) | instid1(VALU_DEP_3)
	v_cndmask_b32_e32 v7, 0, v7, vcc_lo
	v_add3_u32 v6, v6, v42, v9
	s_delay_alu instid0(VALU_DEP_2)
	v_add_nc_u16 v7, v7, v40
.LBB686_130:                            ; =>This Loop Header: Depth=1
                                        ;     Child Loop BB686_133 Depth 2
                                        ;       Child Loop BB686_134 Depth 3
	v_and_b32_e32 v8, 0xff, v8
	s_delay_alu instid0(VALU_DEP_2) | instskip(NEXT) | instid1(VALU_DEP_4)
	v_mov_b32_e32 v40, v7
	v_mov_b32_e32 v42, v6
	s_delay_alu instid0(VALU_DEP_3) | instskip(SKIP_2) | instid1(VALU_DEP_1)
	v_cmp_ne_u16_e32 vcc_lo, 2, v8
	v_cndmask_b32_e64 v8, 0, 1, vcc_lo
	;;#ASMSTART
	;;#ASMEND
	v_cmp_ne_u32_e32 vcc_lo, 0, v8
	s_cmp_lg_u32 vcc_lo, exec_lo
	s_cbranch_scc1 .LBB686_137
; %bb.131:                              ;   in Loop: Header=BB686_130 Depth=1
	v_lshlrev_b64 v[6:7], 4, v[27:28]
	s_mov_b32 s14, exec_lo
	s_delay_alu instid0(VALU_DEP_1) | instskip(NEXT) | instid1(VALU_DEP_2)
	v_add_co_u32 v29, vcc_lo, s24, v6
	v_add_co_ci_u32_e32 v30, vcc_lo, s25, v7, vcc_lo
	;;#ASMSTART
	global_load_dwordx4 v[6:9], v[29:30] off glc	
s_waitcnt vmcnt(0)
	;;#ASMEND
	v_and_b32_e32 v9, 0xffffff, v6
	v_and_b32_e32 v6, 0xff000000, v6
	;; [unrolled: 1-line block ×4, first 2 shown]
	s_delay_alu instid0(VALU_DEP_3) | instskip(SKIP_1) | instid1(VALU_DEP_3)
	v_or_b32_e32 v6, v9, v6
	v_and_b32_e32 v9, 0xff, v8
	v_or3_b32 v7, 0, v46, v7
	s_delay_alu instid0(VALU_DEP_3) | instskip(NEXT) | instid1(VALU_DEP_3)
	v_or3_b32 v6, v6, 0, 0
	v_cmpx_eq_u16_e32 0, v9
	s_cbranch_execz .LBB686_129
; %bb.132:                              ;   in Loop: Header=BB686_130 Depth=1
	s_mov_b32 s27, 1
	s_mov_b32 s26, 0
	.p2align	6
.LBB686_133:                            ;   Parent Loop BB686_130 Depth=1
                                        ; =>  This Loop Header: Depth=2
                                        ;       Child Loop BB686_134 Depth 3
	s_max_u32 s28, s27, 1
.LBB686_134:                            ;   Parent Loop BB686_130 Depth=1
                                        ;     Parent Loop BB686_133 Depth=2
                                        ; =>    This Inner Loop Header: Depth=3
	s_delay_alu instid0(SALU_CYCLE_1)
	s_add_i32 s28, s28, -1
	s_sleep 1
	s_cmp_eq_u32 s28, 0
	s_cbranch_scc0 .LBB686_134
; %bb.135:                              ;   in Loop: Header=BB686_133 Depth=2
	;;#ASMSTART
	global_load_dwordx4 v[6:9], v[29:30] off glc	
s_waitcnt vmcnt(0)
	;;#ASMEND
	v_and_b32_e32 v9, 0xff, v8
	s_cmp_lt_u32 s27, 32
	s_cselect_b32 s28, -1, 0
	s_delay_alu instid0(SALU_CYCLE_1) | instskip(NEXT) | instid1(VALU_DEP_1)
	s_cmp_lg_u32 s28, 0
	v_cmp_ne_u16_e32 vcc_lo, 0, v9
	s_addc_u32 s27, s27, 0
	s_or_b32 s26, vcc_lo, s26
	s_delay_alu instid0(SALU_CYCLE_1)
	s_and_not1_b32 exec_lo, exec_lo, s26
	s_cbranch_execnz .LBB686_133
; %bb.136:                              ;   in Loop: Header=BB686_130 Depth=1
	s_or_b32 exec_lo, exec_lo, s26
	v_and_b32_e32 v7, 0xffff, v7
	s_branch .LBB686_129
.LBB686_137:                            ;   in Loop: Header=BB686_130 Depth=1
                                        ; implicit-def: $vgpr7
                                        ; implicit-def: $vgpr6
                                        ; implicit-def: $vgpr8
	s_cbranch_execz .LBB686_130
; %bb.138:
	s_and_saveexec_b32 s14, s13
	s_cbranch_execz .LBB686_140
; %bb.139:
	v_cmp_eq_u32_e32 vcc_lo, 0, v5
	s_mov_b32 s27, 0
	s_add_i32 s26, s15, 32
	v_add_nc_u32_e64 v29, 0x400, 0
	s_lshl_b64 s[26:27], s[26:27], 4
	v_dual_cndmask_b32 v6, 0, v40 :: v_dual_mov_b32 v9, 0
	s_add_u32 s26, s24, s26
	s_addc_u32 s27, s25, s27
	v_mov_b32_e32 v30, s21
	s_delay_alu instid0(VALU_DEP_2) | instskip(SKIP_1) | instid1(VALU_DEP_2)
	v_add_nc_u16 v7, v6, s21
	v_add_nc_u32_e32 v6, v42, v5
	v_dual_mov_b32 v8, 2 :: v_dual_and_b32 v27, 0xff00, v7
	v_and_b32_e32 v7, 0xff, v7
	s_delay_alu instid0(VALU_DEP_1)
	v_or_b32_e32 v7, v27, v7
	v_dual_mov_b32 v28, s27 :: v_dual_mov_b32 v27, s26
	;;#ASMSTART
	global_store_dwordx4 v[27:28], v[6:9] off	
s_waitcnt vmcnt(0)
	;;#ASMEND
	ds_store_2addr_b32 v29, v5, v42 offset1:2
	ds_store_b16 v9, v30 offset:1028
	ds_store_b16 v9, v40 offset:1036
.LBB686_140:
	s_or_b32 exec_lo, exec_lo, s14
	v_cmp_eq_u32_e32 vcc_lo, 0, v0
	s_and_b32 exec_lo, exec_lo, vcc_lo
	s_cbranch_execz .LBB686_142
; %bb.141:
	v_mov_b32_e32 v5, 0
	ds_store_b32 v5, v42 offset:1096
	ds_store_b16 v5, v40 offset:1100
.LBB686_142:
	s_or_b32 exec_lo, exec_lo, s17
	v_mov_b32_e32 v7, 0
	s_waitcnt lgkmcnt(0)
	s_barrier
	buffer_gl0_inv
	v_cndmask_b32_e64 v8, v32, v31, s13
	ds_load_b64 v[5:6], v7 offset:1096
	v_cndmask_b32_e64 v9, v33, v25, s13
	v_cmp_eq_u32_e64 s13, 0, v76
	s_waitcnt lgkmcnt(0)
	v_cmp_eq_u32_e32 vcc_lo, 0, v8
	s_barrier
	buffer_gl0_inv
	v_cndmask_b32_e32 v25, 0, v6, vcc_lo
	v_cmp_eq_u32_e32 vcc_lo, 0, v0
	s_delay_alu instid0(VALU_DEP_2) | instskip(NEXT) | instid1(VALU_DEP_1)
	v_add_nc_u16 v9, v25, v9
	v_cndmask_b32_e32 v9, v9, v6, vcc_lo
	s_delay_alu instid0(VALU_DEP_1) | instskip(NEXT) | instid1(VALU_DEP_1)
	v_cndmask_b32_e64 v6, 0, v9, s13
	v_add_nc_u16 v25, v6, v73
	s_delay_alu instid0(VALU_DEP_1) | instskip(SKIP_2) | instid1(VALU_DEP_2)
	v_and_b32_e32 v50, 0xffff, v25
	v_cndmask_b32_e64 v6, 0, v25, s12
	v_and_b32_e32 v56, 0xffff, v9
	v_add_nc_u16 v27, v6, v72
	s_delay_alu instid0(VALU_DEP_1) | instskip(SKIP_1) | instid1(VALU_DEP_2)
	v_cndmask_b32_e64 v6, 0, v27, s11
	v_and_b32_e32 v52, 0xffff, v27
	v_add_nc_u16 v28, v6, v74
	s_delay_alu instid0(VALU_DEP_1) | instskip(SKIP_1) | instid1(VALU_DEP_2)
	;; [unrolled: 4-line block ×3, first 2 shown]
	v_cndmask_b32_e64 v6, 0, v29, s9
	v_and_b32_e32 v36, 0xffff, v29
	v_add_nc_u16 v30, v6, v71
	s_delay_alu instid0(VALU_DEP_1) | instskip(NEXT) | instid1(VALU_DEP_1)
	v_cndmask_b32_e64 v6, 0, v30, s8
	v_add_nc_u16 v34, v6, v68
	v_cndmask_b32_e64 v6, v8, 0, vcc_lo
	s_delay_alu instid0(VALU_DEP_2) | instskip(NEXT) | instid1(VALU_DEP_2)
	v_cndmask_b32_e64 v8, 0, v34, s7
	v_add_nc_u32_e32 v55, v5, v6
	v_and_b32_e32 v34, 0xffff, v34
	s_delay_alu instid0(VALU_DEP_3) | instskip(NEXT) | instid1(VALU_DEP_3)
	v_add_nc_u16 v38, v8, v69
	v_add_nc_u32_e32 v49, v55, v76
	s_delay_alu instid0(VALU_DEP_2) | instskip(NEXT) | instid1(VALU_DEP_2)
	v_cndmask_b32_e64 v5, 0, v38, s6
	v_add_nc_u32_e32 v51, v49, v26
	v_and_b32_e32 v54, 0xffff, v38
	s_delay_alu instid0(VALU_DEP_3) | instskip(NEXT) | instid1(VALU_DEP_3)
	v_add_nc_u16 v40, v5, v66
	v_add_nc_u32_e32 v47, v51, v23
	;; [unrolled: 7-line block ×4, first 2 shown]
	ds_load_b128 v[5:8], v7 offset:1024
	v_cndmask_b32_e64 v32, 0, v44, s3
	v_add_nc_u32_e32 v57, v53, v20
	v_and_b32_e32 v44, 0xffff, v44
	s_delay_alu instid0(VALU_DEP_3) | instskip(NEXT) | instid1(VALU_DEP_3)
	v_add_nc_u16 v81, v32, v64
	v_add_nc_u32_e32 v45, v57, v17
	s_delay_alu instid0(VALU_DEP_2) | instskip(NEXT) | instid1(VALU_DEP_2)
	v_cndmask_b32_e64 v32, 0, v81, s2
	v_add_nc_u32_e32 v43, v45, v18
	v_and_b32_e32 v38, 0xffff, v81
	s_delay_alu instid0(VALU_DEP_3) | instskip(NEXT) | instid1(VALU_DEP_3)
	v_add_nc_u16 v82, v32, v63
	v_add_nc_u32_e32 v37, v43, v15
	s_waitcnt lgkmcnt(0)
	v_cmp_eq_u32_e32 vcc_lo, 0, v5
	v_and_b32_e32 v32, 0xffff, v30
	v_cndmask_b32_e64 v9, 0, v82, s1
	v_add_nc_u32_e32 v41, v37, v16
	v_cndmask_b32_e32 v8, 0, v8, vcc_lo
	v_and_b32_e32 v42, 0xffff, v82
	s_delay_alu instid0(VALU_DEP_4) | instskip(NEXT) | instid1(VALU_DEP_4)
	v_add_nc_u16 v9, v9, v60
	v_add_nc_u32_e32 v39, v41, v13
	s_delay_alu instid0(VALU_DEP_2) | instskip(NEXT) | instid1(VALU_DEP_2)
	v_cndmask_b32_e64 v25, 0, v9, s0
	v_add_nc_u32_e32 v29, v39, v14
	v_and_b32_e32 v40, 0xffff, v9
	s_delay_alu instid0(VALU_DEP_3) | instskip(NEXT) | instid1(VALU_DEP_1)
	v_add_nc_u16 v25, v25, v59
	v_and_b32_e32 v30, 0xffff, v25
	v_add_nc_u32_e32 v25, v8, v6
	s_branch .LBB686_155
.LBB686_143:
                                        ; implicit-def: $vgpr5
                                        ; implicit-def: $vgpr25
                                        ; implicit-def: $vgpr55_vgpr56
                                        ; implicit-def: $vgpr49_vgpr50
                                        ; implicit-def: $vgpr51_vgpr52
                                        ; implicit-def: $vgpr47_vgpr48
                                        ; implicit-def: $vgpr35_vgpr36
                                        ; implicit-def: $vgpr31_vgpr32
                                        ; implicit-def: $vgpr33_vgpr34
                                        ; implicit-def: $vgpr53_vgpr54
                                        ; implicit-def: $vgpr57_vgpr58
                                        ; implicit-def: $vgpr45_vgpr46
                                        ; implicit-def: $vgpr43_vgpr44
                                        ; implicit-def: $vgpr37_vgpr38
                                        ; implicit-def: $vgpr41_vgpr42
                                        ; implicit-def: $vgpr39_vgpr40
                                        ; implicit-def: $vgpr29_vgpr30
	s_cbranch_execz .LBB686_155
; %bb.144:
	s_and_b32 s0, s16, exec_lo
	v_mov_b32_e32 v6, v73
	s_cselect_b32 s1, 0, s35
	s_cselect_b32 s0, 0, s34
	s_delay_alu instid0(SALU_CYCLE_1)
	s_cmp_eq_u64 s[0:1], 0
	s_cbranch_scc1 .LBB686_146
; %bb.145:
	v_mov_b32_e32 v5, 0
	global_load_u16 v6, v5, s[0:1]
.LBB686_146:
	v_cmp_eq_u32_e64 s11, 0, v26
	v_cmp_eq_u32_e64 s10, 0, v23
	v_cmp_eq_u32_e64 s9, 0, v24
	v_cmp_eq_u32_e64 s8, 0, v21
	v_cmp_eq_u32_e64 s6, 0, v22
	v_cndmask_b32_e64 v5, 0, v73, s11
	v_cmp_eq_u32_e64 s7, 0, v19
	v_cmp_eq_u32_e64 s5, 0, v20
	;; [unrolled: 1-line block ×4, first 2 shown]
	v_add_nc_u16 v5, v5, v72
	v_cmp_eq_u32_e64 s2, 0, v15
	v_cmp_eq_u32_e64 s1, 0, v16
	;; [unrolled: 1-line block ×3, first 2 shown]
	v_cmp_eq_u32_e32 vcc_lo, 0, v14
	v_cndmask_b32_e64 v5, 0, v5, s10
	s_waitcnt lgkmcnt(0)
	v_add3_u32 v7, v80, v22, v19
	v_cmp_eq_u32_e64 s12, 0, v61
	v_and_b32_e32 v25, 15, v77
	v_add_nc_u16 v5, v5, v74
	s_delay_alu instid0(VALU_DEP_4) | instskip(NEXT) | instid1(VALU_DEP_2)
	v_add3_u32 v7, v7, v20, v17
	v_cndmask_b32_e64 v5, 0, v5, s9
	s_delay_alu instid0(VALU_DEP_2) | instskip(NEXT) | instid1(VALU_DEP_2)
	v_add3_u32 v7, v7, v18, v15
	v_add_nc_u16 v5, v5, v70
	s_delay_alu instid0(VALU_DEP_2) | instskip(NEXT) | instid1(VALU_DEP_2)
	v_add3_u32 v7, v7, v16, v13
	v_cndmask_b32_e64 v5, 0, v5, s8
	s_delay_alu instid0(VALU_DEP_2) | instskip(NEXT) | instid1(VALU_DEP_2)
	v_add3_u32 v7, v7, v14, v61
	v_add_nc_u16 v5, v5, v71
	s_delay_alu instid0(VALU_DEP_2) | instskip(NEXT) | instid1(VALU_DEP_2)
	v_mov_b32_dpp v27, v7 row_shr:1 row_mask:0xf bank_mask:0xf
	v_cndmask_b32_e64 v5, 0, v5, s6
	s_delay_alu instid0(VALU_DEP_1) | instskip(NEXT) | instid1(VALU_DEP_1)
	v_add_nc_u16 v5, v5, v68
	v_cndmask_b32_e64 v5, 0, v5, s7
	s_delay_alu instid0(VALU_DEP_1) | instskip(NEXT) | instid1(VALU_DEP_1)
	v_add_nc_u16 v5, v5, v69
	v_cndmask_b32_e64 v5, 0, v5, s5
	s_delay_alu instid0(VALU_DEP_1) | instskip(NEXT) | instid1(VALU_DEP_1)
	v_add_nc_u16 v5, v5, v66
	v_cndmask_b32_e64 v5, 0, v5, s4
	s_delay_alu instid0(VALU_DEP_1) | instskip(NEXT) | instid1(VALU_DEP_1)
	v_add_nc_u16 v5, v5, v67
	v_cndmask_b32_e64 v5, 0, v5, s3
	s_delay_alu instid0(VALU_DEP_1) | instskip(NEXT) | instid1(VALU_DEP_1)
	v_add_nc_u16 v5, v5, v65
	v_cndmask_b32_e64 v5, 0, v5, s2
	s_delay_alu instid0(VALU_DEP_1) | instskip(NEXT) | instid1(VALU_DEP_1)
	v_add_nc_u16 v5, v5, v64
	v_cndmask_b32_e64 v5, 0, v5, s1
	s_delay_alu instid0(VALU_DEP_1) | instskip(NEXT) | instid1(VALU_DEP_1)
	v_add_nc_u16 v5, v5, v63
	v_cndmask_b32_e64 v5, 0, v5, s0
	s_delay_alu instid0(VALU_DEP_1) | instskip(NEXT) | instid1(VALU_DEP_1)
	v_add_nc_u16 v5, v5, v60
	v_cndmask_b32_e32 v5, 0, v5, vcc_lo
	s_delay_alu instid0(VALU_DEP_1) | instskip(NEXT) | instid1(VALU_DEP_1)
	v_add_nc_u16 v5, v5, v59
	v_cndmask_b32_e64 v5, 0, v5, s12
	v_cmp_eq_u32_e64 s12, 0, v7
	s_delay_alu instid0(VALU_DEP_2) | instskip(NEXT) | instid1(VALU_DEP_1)
	v_add_nc_u16 v5, v5, v75
	v_and_b32_e32 v8, 0xffff, v5
	s_delay_alu instid0(VALU_DEP_1) | instskip(NEXT) | instid1(VALU_DEP_1)
	v_mov_b32_dpp v9, v8 row_shr:1 row_mask:0xf bank_mask:0xf
	v_cndmask_b32_e64 v9, 0, v9, s12
	v_cmp_eq_u32_e64 s12, 0, v25
	s_delay_alu instid0(VALU_DEP_2) | instskip(NEXT) | instid1(VALU_DEP_2)
	v_add_nc_u16 v9, v9, v5
	v_cndmask_b32_e64 v27, v27, 0, s12
	s_delay_alu instid0(VALU_DEP_2) | instskip(NEXT) | instid1(VALU_DEP_2)
	v_and_b32_e32 v28, 0xffff, v9
	v_add_nc_u32_e32 v7, v27, v7
	v_cndmask_b32_e64 v5, v9, v5, s12
	s_delay_alu instid0(VALU_DEP_3) | instskip(NEXT) | instid1(VALU_DEP_3)
	v_cndmask_b32_e64 v8, v28, v8, s12
	v_cmp_eq_u32_e64 s12, 0, v7
	s_delay_alu instid0(VALU_DEP_2) | instskip(NEXT) | instid1(VALU_DEP_1)
	v_mov_b32_dpp v27, v8 row_shr:2 row_mask:0xf bank_mask:0xf
	v_cndmask_b32_e64 v9, 0, v27, s12
	v_mov_b32_dpp v27, v7 row_shr:2 row_mask:0xf bank_mask:0xf
	v_cmp_lt_u32_e64 s12, 1, v25
	s_delay_alu instid0(VALU_DEP_3) | instskip(NEXT) | instid1(VALU_DEP_1)
	v_add_nc_u16 v9, v9, v5
	v_and_b32_e32 v28, 0xffff, v9
	s_delay_alu instid0(VALU_DEP_3) | instskip(SKIP_1) | instid1(VALU_DEP_3)
	v_cndmask_b32_e64 v5, v5, v9, s12
	v_cndmask_b32_e64 v9, 0, v27, s12
	;; [unrolled: 1-line block ×3, first 2 shown]
	s_delay_alu instid0(VALU_DEP_2) | instskip(NEXT) | instid1(VALU_DEP_2)
	v_add_nc_u32_e32 v7, v7, v9
	v_mov_b32_dpp v9, v8 row_shr:4 row_mask:0xf bank_mask:0xf
	s_delay_alu instid0(VALU_DEP_2) | instskip(SKIP_1) | instid1(VALU_DEP_2)
	v_cmp_eq_u32_e64 s12, 0, v7
	v_mov_b32_dpp v27, v7 row_shr:4 row_mask:0xf bank_mask:0xf
	v_cndmask_b32_e64 v9, 0, v9, s12
	v_cmp_lt_u32_e64 s12, 3, v25
	s_delay_alu instid0(VALU_DEP_2) | instskip(NEXT) | instid1(VALU_DEP_1)
	v_add_nc_u16 v9, v9, v5
	v_and_b32_e32 v28, 0xffff, v9
	s_delay_alu instid0(VALU_DEP_3) | instskip(SKIP_1) | instid1(VALU_DEP_3)
	v_cndmask_b32_e64 v5, v5, v9, s12
	v_cndmask_b32_e64 v9, 0, v27, s12
	;; [unrolled: 1-line block ×3, first 2 shown]
	s_delay_alu instid0(VALU_DEP_2) | instskip(NEXT) | instid1(VALU_DEP_2)
	v_add_nc_u32_e32 v7, v9, v7
	v_mov_b32_dpp v9, v8 row_shr:8 row_mask:0xf bank_mask:0xf
	s_delay_alu instid0(VALU_DEP_2) | instskip(SKIP_1) | instid1(VALU_DEP_2)
	v_cmp_eq_u32_e64 s12, 0, v7
	v_mov_b32_dpp v27, v7 row_shr:8 row_mask:0xf bank_mask:0xf
	v_cndmask_b32_e64 v9, 0, v9, s12
	v_cmp_lt_u32_e64 s12, 7, v25
	s_delay_alu instid0(VALU_DEP_2) | instskip(NEXT) | instid1(VALU_DEP_1)
	v_add_nc_u16 v9, v9, v5
	v_cndmask_b32_e64 v25, v5, v9, s12
	v_cndmask_b32_e64 v5, 0, v27, s12
	v_and_b32_e32 v9, 0xffff, v9
	v_bfe_i32 v27, v77, 4, 1
	s_delay_alu instid0(VALU_DEP_3) | instskip(NEXT) | instid1(VALU_DEP_3)
	v_add_nc_u32_e32 v5, v5, v7
	v_cndmask_b32_e64 v7, v8, v9, s12
	v_and_b32_e32 v9, 16, v77
	ds_swizzle_b32 v8, v5 offset:swizzle(BROADCAST,32,15)
	ds_swizzle_b32 v7, v7 offset:swizzle(BROADCAST,32,15)
	v_cmp_ne_u32_e64 s12, 0, v9
	v_cmp_eq_u32_e64 s13, 0, v5
	s_delay_alu instid0(VALU_DEP_1)
	s_and_b32 s12, s12, s13
	s_mov_b32 s13, exec_lo
	s_waitcnt lgkmcnt(1)
	v_and_b32_e32 v8, v27, v8
	s_waitcnt lgkmcnt(0)
	v_cndmask_b32_e64 v7, 0, v7, s12
	s_delay_alu instid0(VALU_DEP_2) | instskip(NEXT) | instid1(VALU_DEP_2)
	v_add_nc_u32_e32 v5, v8, v5
	v_add_nc_u16 v8, v7, v25
	v_cmpx_eq_u32_e64 v79, v0
	s_cbranch_execz .LBB686_148
; %bb.147:
	v_lshlrev_b32_e32 v7, 3, v78
	ds_store_b32 v7, v5 offset:1040
	ds_store_b16 v7, v8 offset:1044
.LBB686_148:
	s_or_b32 exec_lo, exec_lo, s13
	s_delay_alu instid0(SALU_CYCLE_1)
	s_mov_b32 s14, exec_lo
	s_waitcnt vmcnt(0) lgkmcnt(0)
	s_barrier
	buffer_gl0_inv
	v_cmpx_gt_u32_e32 8, v0
	s_cbranch_execz .LBB686_150
; %bb.149:
	v_lshlrev_b32_e32 v7, 3, v0
	v_and_b32_e32 v30, 7, v77
	ds_load_b64 v[27:28], v7 offset:1040
	v_cmp_lt_u32_e64 s13, 3, v30
	s_waitcnt lgkmcnt(0)
	v_mov_b32_dpp v9, v28 row_shr:1 row_mask:0xf bank_mask:0xf
	v_cmp_eq_u32_e64 s12, 0, v27
	v_and_b32_e32 v25, 0xffff0000, v28
	v_mov_b32_dpp v31, v27 row_shr:1 row_mask:0xf bank_mask:0xf
	s_delay_alu instid0(VALU_DEP_3) | instskip(SKIP_1) | instid1(VALU_DEP_2)
	v_cndmask_b32_e64 v9, 0, v9, s12
	v_cmp_eq_u32_e64 s12, 0, v30
	v_add_nc_u16 v9, v9, v28
	s_delay_alu instid0(VALU_DEP_2) | instskip(NEXT) | instid1(VALU_DEP_2)
	v_cndmask_b32_e64 v31, v31, 0, s12
	v_and_b32_e32 v29, 0xffff, v9
	s_delay_alu instid0(VALU_DEP_2) | instskip(SKIP_1) | instid1(VALU_DEP_3)
	v_add_nc_u32_e32 v27, v31, v27
	v_cndmask_b32_e64 v9, v9, v28, s12
	v_or_b32_e32 v29, v25, v29
	s_delay_alu instid0(VALU_DEP_1) | instskip(NEXT) | instid1(VALU_DEP_4)
	v_cndmask_b32_e64 v29, v29, v28, s12
	v_cmp_eq_u32_e64 s12, 0, v27
	s_delay_alu instid0(VALU_DEP_2) | instskip(NEXT) | instid1(VALU_DEP_1)
	v_mov_b32_dpp v31, v29 row_shr:2 row_mask:0xf bank_mask:0xf
	v_cndmask_b32_e64 v28, 0, v31, s12
	v_mov_b32_dpp v31, v27 row_shr:2 row_mask:0xf bank_mask:0xf
	v_cmp_lt_u32_e64 s12, 1, v30
	s_delay_alu instid0(VALU_DEP_3) | instskip(NEXT) | instid1(VALU_DEP_1)
	v_add_nc_u16 v28, v28, v9
	v_and_b32_e32 v32, 0xffff, v28
	s_delay_alu instid0(VALU_DEP_3) | instskip(SKIP_1) | instid1(VALU_DEP_3)
	v_cndmask_b32_e64 v9, v9, v28, s12
	v_cndmask_b32_e64 v28, 0, v31, s12
	v_or_b32_e32 v25, v25, v32
	s_delay_alu instid0(VALU_DEP_2) | instskip(NEXT) | instid1(VALU_DEP_2)
	v_add_nc_u32_e32 v27, v28, v27
	v_cndmask_b32_e64 v25, v29, v25, s12
	s_delay_alu instid0(VALU_DEP_2) | instskip(SKIP_1) | instid1(VALU_DEP_3)
	v_cmp_eq_u32_e64 s12, 0, v27
	v_mov_b32_dpp v28, v27 row_shr:4 row_mask:0xf bank_mask:0xf
	v_mov_b32_dpp v25, v25 row_shr:4 row_mask:0xf bank_mask:0xf
	s_delay_alu instid0(VALU_DEP_3) | instskip(NEXT) | instid1(VALU_DEP_2)
	s_and_b32 s12, s13, s12
	v_cndmask_b32_e64 v28, 0, v28, s13
	s_delay_alu instid0(VALU_DEP_2) | instskip(NEXT) | instid1(VALU_DEP_2)
	v_cndmask_b32_e64 v25, 0, v25, s12
	v_add_nc_u32_e32 v27, v28, v27
	s_delay_alu instid0(VALU_DEP_2)
	v_add_nc_u16 v9, v9, v25
	ds_store_b32 v7, v27 offset:1040
	ds_store_b16 v7, v9 offset:1044
.LBB686_150:
	s_or_b32 exec_lo, exec_lo, s14
	v_mov_b32_e32 v7, 0
	v_mov_b32_e32 v9, 0
	;; [unrolled: 1-line block ×3, first 2 shown]
	s_mov_b32 s13, exec_lo
	s_waitcnt lgkmcnt(0)
	s_barrier
	buffer_gl0_inv
	v_cmpx_lt_u32_e32 31, v0
	s_cbranch_execz .LBB686_152
; %bb.151:
	v_lshlrev_b32_e32 v25, 3, v78
	ds_load_b32 v9, v25 offset:1032
	ds_load_u16 v25, v25 offset:1036
	s_waitcnt lgkmcnt(1)
	v_cmp_eq_u32_e64 s12, 0, v9
	s_delay_alu instid0(VALU_DEP_1) | instskip(SKIP_1) | instid1(VALU_DEP_1)
	v_cndmask_b32_e64 v27, 0, v6, s12
	s_waitcnt lgkmcnt(0)
	v_add_nc_u16 v25, v27, v25
.LBB686_152:
	s_or_b32 exec_lo, exec_lo, s13
	v_add_nc_u32_e32 v27, -1, v77
	v_cmp_eq_u32_e64 s12, 0, v5
	v_add_nc_u32_e32 v5, v9, v5
	v_cmp_eq_u32_e64 s13, 0, v76
	s_delay_alu instid0(VALU_DEP_3) | instskip(SKIP_1) | instid1(VALU_DEP_2)
	v_cndmask_b32_e64 v28, 0, v25, s12
	v_cmp_gt_i32_e64 s12, 0, v27
	v_add_nc_u16 v8, v28, v8
	s_delay_alu instid0(VALU_DEP_2) | instskip(SKIP_1) | instid1(VALU_DEP_3)
	v_cndmask_b32_e64 v27, v27, v77, s12
	v_cmp_eq_u32_e64 s12, 0, v77
	v_and_b32_e32 v8, 0xffff, v8
	s_delay_alu instid0(VALU_DEP_3)
	v_lshlrev_b32_e32 v27, 2, v27
	ds_bpermute_b32 v5, v27, v5
	ds_bpermute_b32 v8, v27, v8
	s_waitcnt lgkmcnt(1)
	v_cndmask_b32_e64 v5, v5, v9, s12
	s_waitcnt lgkmcnt(0)
	v_cndmask_b32_e64 v8, v8, v25, s12
	v_cmp_eq_u32_e64 s12, 0, v0
	s_delay_alu instid0(VALU_DEP_1) | instskip(SKIP_1) | instid1(VALU_DEP_2)
	v_cndmask_b32_e64 v8, v8, v6, s12
	v_cndmask_b32_e64 v55, v5, 0, s12
	;; [unrolled: 1-line block ×3, first 2 shown]
	s_delay_alu instid0(VALU_DEP_2) | instskip(SKIP_1) | instid1(VALU_DEP_3)
	v_add_nc_u32_e32 v49, v55, v76
	v_and_b32_e32 v56, 0xffff, v8
	v_add_nc_u16 v9, v9, v73
	s_delay_alu instid0(VALU_DEP_3) | instskip(NEXT) | instid1(VALU_DEP_2)
	v_add_nc_u32_e32 v51, v49, v26
	v_cndmask_b32_e64 v25, 0, v9, s11
	s_delay_alu instid0(VALU_DEP_2) | instskip(NEXT) | instid1(VALU_DEP_2)
	v_add_nc_u32_e32 v47, v51, v23
	v_add_nc_u16 v25, v25, v72
	s_delay_alu instid0(VALU_DEP_2) | instskip(NEXT) | instid1(VALU_DEP_2)
	v_add_nc_u32_e32 v35, v47, v24
	v_cndmask_b32_e64 v27, 0, v25, s10
	v_and_b32_e32 v52, 0xffff, v25
	s_delay_alu instid0(VALU_DEP_2) | instskip(NEXT) | instid1(VALU_DEP_1)
	v_add_nc_u16 v27, v27, v74
	v_cndmask_b32_e64 v28, 0, v27, s9
	v_and_b32_e32 v48, 0xffff, v27
	s_delay_alu instid0(VALU_DEP_2) | instskip(NEXT) | instid1(VALU_DEP_1)
	v_add_nc_u16 v28, v28, v70
	;; [unrolled: 4-line block ×3, first 2 shown]
	v_cndmask_b32_e64 v30, 0, v29, s6
	s_delay_alu instid0(VALU_DEP_1) | instskip(NEXT) | instid1(VALU_DEP_1)
	v_add_nc_u16 v30, v30, v68
	v_cndmask_b32_e64 v31, 0, v30, s7
	v_and_b32_e32 v34, 0xffff, v30
	s_delay_alu instid0(VALU_DEP_2) | instskip(SKIP_1) | instid1(VALU_DEP_2)
	v_add_nc_u16 v38, v31, v69
	v_add_nc_u32_e32 v31, v35, v21
	v_cndmask_b32_e64 v5, 0, v38, s5
	s_delay_alu instid0(VALU_DEP_2) | instskip(SKIP_1) | instid1(VALU_DEP_3)
	v_add_nc_u32_e32 v33, v31, v22
	v_and_b32_e32 v54, 0xffff, v38
	v_add_nc_u16 v40, v5, v66
	s_delay_alu instid0(VALU_DEP_3) | instskip(NEXT) | instid1(VALU_DEP_2)
	v_add_nc_u32_e32 v53, v33, v19
	v_cndmask_b32_e64 v5, 0, v40, s4
	s_delay_alu instid0(VALU_DEP_2) | instskip(SKIP_1) | instid1(VALU_DEP_3)
	v_add_nc_u32_e32 v57, v53, v20
	v_and_b32_e32 v58, 0xffff, v40
	v_add_nc_u16 v42, v5, v67
	s_delay_alu instid0(VALU_DEP_3) | instskip(NEXT) | instid1(VALU_DEP_2)
	v_add_nc_u32_e32 v45, v57, v17
	v_cndmask_b32_e64 v5, 0, v42, s3
	s_delay_alu instid0(VALU_DEP_2) | instskip(SKIP_1) | instid1(VALU_DEP_3)
	v_add_nc_u32_e32 v43, v45, v18
	v_and_b32_e32 v46, 0xffff, v42
	v_add_nc_u16 v44, v5, v65
	ds_load_b32 v5, v7 offset:1096
	ds_load_u16 v7, v7 offset:1100
	v_add_nc_u32_e32 v37, v43, v15
	v_cndmask_b32_e64 v32, 0, v44, s2
	v_and_b32_e32 v44, 0xffff, v44
	s_delay_alu instid0(VALU_DEP_3) | instskip(NEXT) | instid1(VALU_DEP_3)
	v_add_nc_u32_e32 v41, v37, v16
	v_add_nc_u16 v64, v32, v64
	s_delay_alu instid0(VALU_DEP_2) | instskip(NEXT) | instid1(VALU_DEP_2)
	v_add_nc_u32_e32 v39, v41, v13
	v_cndmask_b32_e64 v32, 0, v64, s1
	v_and_b32_e32 v38, 0xffff, v64
	s_delay_alu instid0(VALU_DEP_2)
	v_add_nc_u16 v63, v32, v63
	s_waitcnt lgkmcnt(1)
	v_cmp_eq_u32_e64 s1, 0, v5
	v_and_b32_e32 v32, 0xffff, v29
	v_add_nc_u32_e32 v29, v39, v14
	v_cndmask_b32_e64 v8, 0, v63, s0
	s_delay_alu instid0(VALU_DEP_4) | instskip(SKIP_1) | instid1(VALU_DEP_3)
	v_cndmask_b32_e64 v6, 0, v6, s1
	v_and_b32_e32 v42, 0xffff, v63
	v_add_nc_u16 v8, v8, v60
	v_and_b32_e32 v50, 0xffff, v9
	s_waitcnt lgkmcnt(0)
	v_add_nc_u16 v25, v6, v7
	s_delay_alu instid0(VALU_DEP_3) | instskip(SKIP_1) | instid1(VALU_DEP_2)
	v_cndmask_b32_e32 v9, 0, v8, vcc_lo
	v_and_b32_e32 v40, 0xffff, v8
	v_add_nc_u16 v9, v9, v59
	s_delay_alu instid0(VALU_DEP_1)
	v_and_b32_e32 v30, 0xffff, v9
	s_and_saveexec_b32 s0, s12
	s_cbranch_execz .LBB686_154
; %bb.153:
	v_and_b32_e32 v6, 0xff00, v25
	v_dual_mov_b32 v8, 0 :: v_dual_and_b32 v7, 0xff, v25
	s_add_u32 s2, s24, 0x200
	s_addc_u32 s3, s25, 0
	s_delay_alu instid0(VALU_DEP_1)
	v_or_b32_e32 v6, v6, v7
	v_dual_mov_b32 v7, 2 :: v_dual_mov_b32 v28, s3
	v_mov_b32_e32 v27, s2
	;;#ASMSTART
	global_store_dwordx4 v[27:28], v[5:8] off	
s_waitcnt vmcnt(0)
	;;#ASMEND
.LBB686_154:
	s_or_b32 exec_lo, exec_lo, s0
	v_mov_b32_e32 v7, 0
.LBB686_155:
	v_mov_b32_e32 v27, 0
	s_and_b32 s0, s16, exec_lo
	v_mov_b32_e32 v28, 0
	s_cselect_b32 s1, 0, s43
	s_cselect_b32 s0, 0, s42
	s_waitcnt lgkmcnt(0)
	s_cmp_eq_u64 s[0:1], 0
	s_barrier
	buffer_gl0_inv
	s_cbranch_scc1 .LBB686_157
; %bb.156:
	v_mov_b32_e32 v6, 0
	global_load_b64 v[27:28], v6, s[0:1]
.LBB686_157:
	v_cmp_eq_u32_e32 vcc_lo, 0, v76
	s_waitcnt vmcnt(0)
	v_lshlrev_b64 v[59:60], 1, v[27:28]
	v_cmp_ne_u32_e64 s14, 0, v76
	v_cmp_ne_u32_e64 s13, 0, v26
	;; [unrolled: 1-line block ×3, first 2 shown]
	v_cndmask_b32_e64 v6, 1, 2, vcc_lo
	v_cmp_eq_u32_e32 vcc_lo, 0, v26
	v_cmp_ne_u32_e64 s11, 0, v24
	v_cmp_ne_u32_e64 s10, 0, v21
	;; [unrolled: 1-line block ×4, first 2 shown]
	v_cndmask_b32_e64 v8, 1, 2, vcc_lo
	v_cmp_eq_u32_e32 vcc_lo, 0, v23
	v_cmp_ne_u32_e64 s5, 0, v20
	v_cmp_ne_u32_e64 s8, 0, v17
	;; [unrolled: 1-line block ×3, first 2 shown]
	v_and_b32_e32 v6, v8, v6
	v_cndmask_b32_e64 v9, 1, 2, vcc_lo
	v_cmp_eq_u32_e32 vcc_lo, 0, v24
	v_cmp_ne_u32_e64 s4, 0, v15
	v_cmp_ne_u32_e64 s3, 0, v16
	;; [unrolled: 1-line block ×3, first 2 shown]
	v_and_b32_e32 v6, v6, v9
	v_cndmask_b32_e64 v8, 1, 2, vcc_lo
	v_cmp_eq_u32_e32 vcc_lo, 0, v21
	v_cmp_ne_u32_e64 s1, 0, v14
	v_cmp_ne_u32_e64 s0, 0, v61
	s_mov_b32 s16, -1
	v_and_b32_e32 v6, v6, v8
	v_cndmask_b32_e64 v9, 1, 2, vcc_lo
	v_cmp_eq_u32_e32 vcc_lo, 0, v22
	s_delay_alu instid0(VALU_DEP_2) | instskip(SKIP_2) | instid1(VALU_DEP_2)
	v_and_b32_e32 v6, v6, v9
	v_cndmask_b32_e64 v8, 1, 2, vcc_lo
	v_cmp_eq_u32_e32 vcc_lo, 0, v19
	v_and_b32_e32 v6, v6, v8
	v_cndmask_b32_e64 v9, 1, 2, vcc_lo
	v_cmp_eq_u32_e32 vcc_lo, 0, v20
	v_mov_b32_e32 v8, 0
	s_delay_alu instid0(VALU_DEP_3) | instskip(SKIP_2) | instid1(VALU_DEP_2)
	v_and_b32_e32 v6, v6, v9
	v_cndmask_b32_e64 v63, 1, 2, vcc_lo
	v_cmp_eq_u32_e32 vcc_lo, 0, v17
	v_and_b32_e32 v6, v6, v63
	v_cndmask_b32_e64 v9, 1, 2, vcc_lo
	v_cmp_eq_u32_e32 vcc_lo, 0, v18
	s_delay_alu instid0(VALU_DEP_2) | instskip(SKIP_2) | instid1(VALU_DEP_2)
	v_and_b32_e32 v6, v6, v9
	v_cndmask_b32_e64 v63, 1, 2, vcc_lo
	v_cmp_eq_u32_e32 vcc_lo, 0, v15
	v_and_b32_e32 v6, v6, v63
	v_cndmask_b32_e64 v9, 1, 2, vcc_lo
	v_cmp_eq_u32_e32 vcc_lo, 0, v16
	s_delay_alu instid0(VALU_DEP_2) | instskip(SKIP_3) | instid1(VALU_DEP_3)
	v_and_b32_e32 v6, v6, v9
	v_cndmask_b32_e64 v63, 1, 2, vcc_lo
	v_cmp_eq_u32_e32 vcc_lo, 0, v13
	v_lshlrev_b64 v[8:9], 1, v[7:8]
	v_and_b32_e32 v6, v6, v63
	v_cndmask_b32_e64 v64, 1, 2, vcc_lo
	v_cmp_eq_u32_e32 vcc_lo, 0, v14
	s_delay_alu instid0(VALU_DEP_2) | instskip(SKIP_3) | instid1(VALU_DEP_3)
	v_and_b32_e32 v64, v6, v64
	v_cndmask_b32_e64 v65, 1, 2, vcc_lo
	v_add_co_u32 v63, vcc_lo, s22, v59
	v_add_co_ci_u32_e32 v66, vcc_lo, s23, v60, vcc_lo
	v_and_b32_e32 v64, v64, v65
	s_delay_alu instid0(VALU_DEP_3) | instskip(NEXT) | instid1(VALU_DEP_3)
	v_add_co_u32 v6, vcc_lo, v63, v8
	v_add_co_ci_u32_e32 v63, vcc_lo, v66, v9, vcc_lo
	v_cmp_eq_u32_e32 vcc_lo, 0, v61
	v_cndmask_b32_e64 v65, 1, 2, vcc_lo
	v_cmp_gt_u32_e32 vcc_lo, 0x100, v5
	s_delay_alu instid0(VALU_DEP_2) | instskip(NEXT) | instid1(VALU_DEP_1)
	v_and_b32_e32 v64, v64, v65
	v_cmp_gt_i16_e64 s15, 2, v64
	s_cbranch_vccz .LBB686_164
; %bb.158:
	s_delay_alu instid0(VALU_DEP_1)
	s_and_saveexec_b32 s16, s15
	s_cbranch_execz .LBB686_163
; %bb.159:
	s_mov_b32 s17, 0
	s_mov_b32 s15, exec_lo
	v_cmpx_ne_u16_e32 1, v64
	s_xor_b32 s15, exec_lo, s15
	s_cbranch_execnz .LBB686_253
; %bb.160:
	s_and_not1_saveexec_b32 s15, s15
	s_cbranch_execnz .LBB686_269
.LBB686_161:
	s_or_b32 exec_lo, exec_lo, s15
	s_delay_alu instid0(SALU_CYCLE_1)
	s_and_b32 exec_lo, exec_lo, s17
	s_cbranch_execz .LBB686_163
.LBB686_162:
	v_sub_nc_u32_e32 v65, v29, v7
	v_mov_b32_e32 v66, 0
	s_delay_alu instid0(VALU_DEP_1) | instskip(NEXT) | instid1(VALU_DEP_1)
	v_lshlrev_b64 v[65:66], 1, v[65:66]
	v_add_co_u32 v65, vcc_lo, v6, v65
	s_delay_alu instid0(VALU_DEP_2)
	v_add_co_ci_u32_e32 v66, vcc_lo, v63, v66, vcc_lo
	global_store_d16_hi_b16 v[65:66], v12, off
.LBB686_163:
	s_or_b32 exec_lo, exec_lo, s16
	s_mov_b32 s16, 0
.LBB686_164:
	s_delay_alu instid0(SALU_CYCLE_1)
	s_and_b32 vcc_lo, exec_lo, s16
	s_cbranch_vccz .LBB686_186
; %bb.165:
	s_mov_b32 s15, exec_lo
	v_cmpx_gt_i16_e32 2, v64
	s_cbranch_execz .LBB686_170
; %bb.166:
	s_mov_b32 s17, 0
	s_mov_b32 s16, exec_lo
	v_cmpx_ne_u16_e32 1, v64
	s_xor_b32 s16, exec_lo, s16
	s_cbranch_execnz .LBB686_270
; %bb.167:
	s_and_not1_saveexec_b32 s0, s16
	s_cbranch_execnz .LBB686_286
.LBB686_168:
	s_or_b32 exec_lo, exec_lo, s0
	s_delay_alu instid0(SALU_CYCLE_1)
	s_and_b32 exec_lo, exec_lo, s17
	s_cbranch_execz .LBB686_170
.LBB686_169:
	v_sub_nc_u32_e32 v1, v29, v7
	s_delay_alu instid0(VALU_DEP_1)
	v_lshlrev_b32_e32 v1, 1, v1
	ds_store_b16_d16_hi v1, v12
.LBB686_170:
	s_or_b32 exec_lo, exec_lo, s15
	s_delay_alu instid0(SALU_CYCLE_1)
	s_mov_b32 s1, exec_lo
	s_waitcnt lgkmcnt(0)
	s_waitcnt_vscnt null, 0x0
	s_barrier
	buffer_gl0_inv
	v_cmpx_lt_u32_e64 v0, v5
	s_cbranch_execz .LBB686_185
; %bb.171:
	v_xad_u32 v2, v0, -1, v5
	v_mov_b32_e32 v1, v0
	s_mov_b32 s0, -1
	s_mov_b32 s3, exec_lo
	s_delay_alu instid0(VALU_DEP_2)
	v_cmp_gt_u32_e64 s2, 0x1900, v2
	v_cmpx_lt_u32_e32 0x18ff, v2
	s_cbranch_execz .LBB686_182
; %bb.172:
	v_sub_nc_u32_e32 v1, v0, v5
	s_delay_alu instid0(VALU_DEP_1) | instskip(NEXT) | instid1(VALU_DEP_1)
	v_or_b32_e32 v1, 0xff, v1
	v_cmp_ge_u32_e32 vcc_lo, v1, v0
	v_mov_b32_e32 v1, v0
	s_and_saveexec_b32 s4, vcc_lo
	s_cbranch_execz .LBB686_181
; %bb.173:
	v_lshrrev_b32_e32 v4, 8, v2
	v_or_b32_e32 v1, 0x100, v0
	s_delay_alu instid0(VALU_DEP_2) | instskip(NEXT) | instid1(VALU_DEP_1)
	v_dual_mov_b32 v65, 0 :: v_dual_add_nc_u32 v2, -1, v4
	v_lshrrev_b32_e32 v3, 1, v2
	v_cmp_lt_u32_e32 vcc_lo, 13, v2
	s_delay_alu instid0(VALU_DEP_2)
	v_dual_mov_b32 v3, v1 :: v_dual_add_nc_u32 v12, 1, v3
	v_mov_b32_e32 v2, v0
	s_and_saveexec_b32 s0, vcc_lo
	s_cbranch_execz .LBB686_177
; %bb.174:
	v_dual_mov_b32 v3, v1 :: v_dual_lshlrev_b32 v64, 1, v0
	v_dual_mov_b32 v11, 0 :: v_dual_and_b32 v62, -8, v12
	v_mov_b32_e32 v2, v0
	s_mov_b32 s5, 0
	s_mov_b32 s6, 0
.LBB686_175:                            ; =>This Inner Loop Header: Depth=1
	s_delay_alu instid0(VALU_DEP_1) | instskip(SKIP_2) | instid1(VALU_DEP_3)
	v_dual_mov_b32 v10, v2 :: v_dual_mov_b32 v67, v11
	v_add_nc_u32_e32 v62, -8, v62
	v_dual_mov_b32 v69, v11 :: v_dual_add_nc_u32 v66, 0x200, v3
	v_lshlrev_b64 v[81:82], 1, v[10:11]
	v_dual_mov_b32 v71, v11 :: v_dual_add_nc_u32 v68, 0x400, v3
	s_delay_alu instid0(VALU_DEP_4) | instskip(NEXT) | instid1(VALU_DEP_4)
	v_cmp_eq_u32_e32 vcc_lo, 0, v62
	v_lshlrev_b64 v[66:67], 1, v[66:67]
	v_dual_mov_b32 v73, v11 :: v_dual_add_nc_u32 v70, 0x600, v3
	s_add_i32 s6, s6, 16
	v_lshlrev_b64 v[68:69], 1, v[68:69]
	s_or_b32 s5, vcc_lo, s5
	v_add_co_u32 v81, vcc_lo, v6, v81
	v_dual_mov_b32 v75, v11 :: v_dual_add_nc_u32 v72, 0x800, v3
	v_add_co_ci_u32_e32 v82, vcc_lo, v63, v82, vcc_lo
	v_lshlrev_b64 v[70:71], 1, v[70:71]
	v_add_co_u32 v66, vcc_lo, v6, v66
	v_dual_mov_b32 v65, s6 :: v_dual_add_nc_u32 v74, 0xa00, v3
	v_add_co_ci_u32_e32 v67, vcc_lo, v63, v67, vcc_lo
	v_lshlrev_b64 v[72:73], 1, v[72:73]
	;; [unrolled: 4-line block ×3, first 2 shown]
	v_add_co_u32 v70, vcc_lo, v6, v70
	v_dual_mov_b32 v80, v11 :: v_dual_add_nc_u32 v79, 0xe00, v3
	v_dual_mov_b32 v10, v3 :: v_dual_add_nc_u32 v3, 0x1000, v3
	v_add_co_ci_u32_e32 v71, vcc_lo, v63, v71, vcc_lo
	v_lshlrev_b64 v[77:78], 1, v[77:78]
	v_add_co_u32 v72, vcc_lo, v6, v72
	ds_load_u16 v1, v64
	ds_load_u16 v87, v64 offset:512
	ds_load_u16 v88, v64 offset:1024
	;; [unrolled: 1-line block ×7, first 2 shown]
	v_add_co_ci_u32_e32 v73, vcc_lo, v63, v73, vcc_lo
	v_lshlrev_b64 v[79:80], 1, v[79:80]
	v_add_co_u32 v74, vcc_lo, v6, v74
	v_lshlrev_b64 v[83:84], 1, v[10:11]
	v_add_nc_u32_e32 v10, 0x200, v2
	v_add_co_ci_u32_e32 v75, vcc_lo, v63, v75, vcc_lo
	v_add_co_u32 v77, vcc_lo, v6, v77
	v_add_co_ci_u32_e32 v78, vcc_lo, v63, v78, vcc_lo
	v_add_co_u32 v79, vcc_lo, v6, v79
	v_lshlrev_b64 v[85:86], 1, v[10:11]
	v_add_nc_u32_e32 v10, 0x400, v2
	v_add_co_ci_u32_e32 v80, vcc_lo, v63, v80, vcc_lo
	v_add_co_u32 v83, vcc_lo, v6, v83
	ds_load_u16 v94, v64 offset:4096
	ds_load_u16 v95, v64 offset:4608
	;; [unrolled: 1-line block ×8, first 2 shown]
	v_add_co_ci_u32_e32 v84, vcc_lo, v63, v84, vcc_lo
	s_waitcnt lgkmcnt(15)
	global_store_b16 v[81:82], v1, off
	v_lshlrev_b64 v[81:82], 1, v[10:11]
	v_add_nc_u32_e32 v10, 0x600, v2
	v_add_co_u32 v85, vcc_lo, v6, v85
	v_add_co_ci_u32_e32 v86, vcc_lo, v63, v86, vcc_lo
	s_waitcnt lgkmcnt(14)
	global_store_b16 v[83:84], v87, off
	v_lshlrev_b64 v[83:84], 1, v[10:11]
	v_add_nc_u32_e32 v10, 0x800, v2
	s_waitcnt lgkmcnt(13)
	global_store_b16 v[85:86], v88, off
	s_waitcnt lgkmcnt(12)
	global_store_b16 v[66:67], v89, off
	v_add_co_u32 v66, vcc_lo, v6, v81
	v_add_co_ci_u32_e32 v67, vcc_lo, v63, v82, vcc_lo
	v_lshlrev_b64 v[81:82], 1, v[10:11]
	v_add_nc_u32_e32 v10, 0xa00, v2
	v_add_co_u32 v83, vcc_lo, v6, v83
	v_add_co_ci_u32_e32 v84, vcc_lo, v63, v84, vcc_lo
	s_waitcnt lgkmcnt(11)
	global_store_b16 v[66:67], v90, off
	s_waitcnt lgkmcnt(10)
	global_store_b16 v[68:69], v91, off
	v_lshlrev_b64 v[66:67], 1, v[10:11]
	v_add_nc_u32_e32 v10, 0xc00, v2
	v_add_co_u32 v68, vcc_lo, v6, v81
	s_waitcnt lgkmcnt(9)
	global_store_b16 v[83:84], v92, off
	s_waitcnt lgkmcnt(8)
	global_store_b16 v[70:71], v93, off
	v_add_co_ci_u32_e32 v69, vcc_lo, v63, v82, vcc_lo
	v_lshlrev_b64 v[70:71], 1, v[10:11]
	v_add_nc_u32_e32 v10, 0xe00, v2
	v_add_co_u32 v66, vcc_lo, v6, v66
	v_add_co_ci_u32_e32 v67, vcc_lo, v63, v67, vcc_lo
	s_waitcnt lgkmcnt(7)
	global_store_b16 v[68:69], v94, off
	s_waitcnt lgkmcnt(6)
	global_store_b16 v[72:73], v95, off
	v_lshlrev_b64 v[68:69], 1, v[10:11]
	v_add_nc_u32_e32 v64, 0x2000, v64
	s_waitcnt lgkmcnt(5)
	global_store_b16 v[66:67], v96, off
	v_add_co_u32 v66, vcc_lo, v6, v70
	v_add_nc_u32_e32 v2, 0x1000, v2
	v_add_co_ci_u32_e32 v67, vcc_lo, v63, v71, vcc_lo
	v_add_co_u32 v68, vcc_lo, v6, v68
	v_add_co_ci_u32_e32 v69, vcc_lo, v63, v69, vcc_lo
	s_waitcnt lgkmcnt(4)
	global_store_b16 v[74:75], v97, off
	s_waitcnt lgkmcnt(3)
	global_store_b16 v[66:67], v98, off
	;; [unrolled: 2-line block ×5, first 2 shown]
	s_and_not1_b32 exec_lo, exec_lo, s5
	s_cbranch_execnz .LBB686_175
; %bb.176:
	s_or_b32 exec_lo, exec_lo, s5
.LBB686_177:
	s_delay_alu instid0(SALU_CYCLE_1) | instskip(SKIP_3) | instid1(VALU_DEP_1)
	s_or_b32 exec_lo, exec_lo, s0
	v_and_b32_e32 v1, 7, v12
	s_mov_b32 s6, 0
	s_mov_b32 s5, exec_lo
	v_cmpx_ne_u32_e32 0, v1
	s_cbranch_execz .LBB686_180
; %bb.178:
	v_dual_mov_b32 v11, 0 :: v_dual_lshlrev_b32 v10, 1, v0
	s_delay_alu instid0(VALU_DEP_1)
	v_lshl_or_b32 v12, v65, 9, v10
	s_set_inst_prefetch_distance 0x1
	.p2align	6
.LBB686_179:                            ; =>This Inner Loop Header: Depth=1
	v_dual_mov_b32 v10, v2 :: v_dual_add_nc_u32 v1, -1, v1
	ds_load_u16 v62, v12
	ds_load_u16 v68, v12 offset:512
	v_add_nc_u32_e32 v2, 0x200, v2
	v_add_nc_u32_e32 v12, 0x400, v12
	v_lshlrev_b64 v[64:65], 1, v[10:11]
	v_dual_mov_b32 v10, v3 :: v_dual_add_nc_u32 v3, 0x200, v3
	v_cmp_eq_u32_e32 vcc_lo, 0, v1
	s_delay_alu instid0(VALU_DEP_2) | instskip(NEXT) | instid1(VALU_DEP_4)
	v_lshlrev_b64 v[66:67], 1, v[10:11]
	v_add_co_u32 v64, s0, v6, v64
	s_delay_alu instid0(VALU_DEP_1) | instskip(SKIP_1) | instid1(VALU_DEP_3)
	v_add_co_ci_u32_e64 v65, s0, v63, v65, s0
	s_or_b32 s6, vcc_lo, s6
	v_add_co_u32 v66, s0, v6, v66
	s_delay_alu instid0(VALU_DEP_1)
	v_add_co_ci_u32_e64 v67, s0, v63, v67, s0
	s_waitcnt lgkmcnt(1)
	global_store_b16 v[64:65], v62, off
	s_waitcnt lgkmcnt(0)
	global_store_b16 v[66:67], v68, off
	s_and_not1_b32 exec_lo, exec_lo, s6
	s_cbranch_execnz .LBB686_179
.LBB686_180:
	s_set_inst_prefetch_distance 0x2
	s_or_b32 exec_lo, exec_lo, s5
	v_add_nc_u32_e32 v1, 1, v4
	s_delay_alu instid0(VALU_DEP_1) | instskip(NEXT) | instid1(VALU_DEP_1)
	v_and_b32_e32 v2, 0x1fffffe, v1
	v_cmp_ne_u32_e32 vcc_lo, v1, v2
	v_lshl_or_b32 v1, v2, 8, v0
	s_or_not1_b32 s0, vcc_lo, exec_lo
.LBB686_181:
	s_or_b32 exec_lo, exec_lo, s4
	s_delay_alu instid0(SALU_CYCLE_1) | instskip(SKIP_1) | instid1(SALU_CYCLE_1)
	s_and_not1_b32 s2, s2, exec_lo
	s_and_b32 s0, s0, exec_lo
	s_or_b32 s2, s2, s0
.LBB686_182:
	s_or_b32 exec_lo, exec_lo, s3
	s_delay_alu instid0(VALU_DEP_2) | instid1(SALU_CYCLE_1)
	s_and_b32 exec_lo, exec_lo, s2
	s_cbranch_execz .LBB686_185
; %bb.183:
	v_dual_mov_b32 v2, 0 :: v_dual_lshlrev_b32 v3, 1, v1
	s_mov_b32 s2, 0
	.p2align	6
.LBB686_184:                            ; =>This Inner Loop Header: Depth=1
	ds_load_u16 v4, v3
	v_lshlrev_b64 v[10:11], 1, v[1:2]
	v_add_nc_u32_e32 v1, 0x100, v1
	v_add_nc_u32_e32 v3, 0x200, v3
	s_delay_alu instid0(VALU_DEP_2) | instskip(NEXT) | instid1(VALU_DEP_4)
	v_cmp_ge_u32_e32 vcc_lo, v1, v5
	v_add_co_u32 v10, s0, v6, v10
	s_delay_alu instid0(VALU_DEP_1)
	v_add_co_ci_u32_e64 v11, s0, v63, v11, s0
	s_or_b32 s2, vcc_lo, s2
	s_waitcnt lgkmcnt(0)
	global_store_b16 v[10:11], v4, off
	s_and_not1_b32 exec_lo, exec_lo, s2
	s_cbranch_execnz .LBB686_184
.LBB686_185:
	s_or_b32 exec_lo, exec_lo, s1
.LBB686_186:
	s_cmpk_lg_i32 s19, 0xf00
	v_cmp_eq_u32_e32 vcc_lo, 0, v0
	s_cselect_b32 s0, -1, 0
	v_cndmask_b32_e64 v2, 0, 1, s20
	s_and_b32 s0, s18, s0
	v_mad_i32_i24 v6, v0, -15, s19
	v_cndmask_b32_e64 v1, 0, 1, s0
	s_mul_hi_u32 s0, s19, 0x88888889
	s_and_b32 s1, vcc_lo, s20
	s_lshr_b32 s0, s0, 3
	v_sub_nc_u32_e32 v3, v5, v2
	v_cndmask_b32_e64 v10, v76, 0, s1
	v_cmp_eq_u32_e32 vcc_lo, s0, v0
	v_cmp_ne_u32_e64 s0, 0, v6
	s_mov_b32 s16, -1
	s_waitcnt_vscnt null, 0x0
	s_barrier
	s_and_b32 vcc_lo, s18, vcc_lo
	v_add_nc_u32_e32 v4, v3, v1
	v_cndmask_b32_e64 v3, 1, v10, s0
	v_cmp_ne_u32_e64 s0, 1, v6
	buffer_gl0_inv
	v_cndmask_b32_e64 v11, 1, v26, s0
	v_cmp_ne_u32_e64 s0, 14, v6
	s_delay_alu instid0(VALU_DEP_2) | instskip(NEXT) | instid1(VALU_DEP_2)
	v_cndmask_b32_e32 v26, v26, v11, vcc_lo
	v_cndmask_b32_e64 v12, 1, v61, s0
	v_cmp_ne_u32_e64 s0, 2, v6
	s_delay_alu instid0(VALU_DEP_2) | instskip(NEXT) | instid1(VALU_DEP_2)
	v_cndmask_b32_e32 v61, v61, v12, vcc_lo
	v_cndmask_b32_e64 v62, 1, v23, s0
	v_cmp_ne_u32_e64 s0, 3, v6
	s_delay_alu instid0(VALU_DEP_2) | instskip(NEXT) | instid1(VALU_DEP_2)
	v_dual_cndmask_b32 v64, v10, v3 :: v_dual_cndmask_b32 v23, v23, v62
	v_cndmask_b32_e64 v63, 1, v24, s0
	v_cmp_ne_u32_e64 s0, 4, v6
	s_delay_alu instid0(VALU_DEP_3) | instskip(NEXT) | instid1(VALU_DEP_4)
	v_cmp_ne_u32_e64 s14, 0, v64
	v_cmp_ne_u32_e64 s12, 0, v23
	s_delay_alu instid0(VALU_DEP_3) | instskip(SKIP_1) | instid1(VALU_DEP_1)
	v_cndmask_b32_e64 v3, 1, v21, s0
	v_cmp_ne_u32_e64 s0, 5, v6
	v_cndmask_b32_e64 v10, 1, v22, s0
	v_cmp_eq_u32_e64 s0, 0, v64
	s_delay_alu instid0(VALU_DEP_2) | instskip(NEXT) | instid1(VALU_DEP_2)
	v_cndmask_b32_e32 v22, v22, v10, vcc_lo
	v_cndmask_b32_e64 v11, 1, 2, s0
	v_cmp_eq_u32_e64 s0, 0, v26
	s_delay_alu instid0(VALU_DEP_3) | instskip(NEXT) | instid1(VALU_DEP_2)
	v_cmp_ne_u32_e64 s9, 0, v22
	v_cndmask_b32_e64 v12, 1, 2, s0
	v_cmp_ne_u32_e64 s0, 6, v6
	s_delay_alu instid0(VALU_DEP_2) | instskip(NEXT) | instid1(VALU_DEP_2)
	v_and_b32_e32 v11, v12, v11
	v_cndmask_b32_e64 v62, 1, v19, s0
	v_cmp_eq_u32_e64 s0, 0, v23
	s_delay_alu instid0(VALU_DEP_2) | instskip(NEXT) | instid1(VALU_DEP_2)
	v_dual_cndmask_b32 v24, v24, v63 :: v_dual_cndmask_b32 v19, v19, v62
	v_cndmask_b32_e64 v12, 1, 2, s0
	v_cmp_ne_u32_e64 s0, 7, v6
	s_delay_alu instid0(VALU_DEP_3) | instskip(NEXT) | instid1(VALU_DEP_4)
	v_cmp_ne_u32_e64 s11, 0, v24
	v_cmp_ne_u32_e64 s8, 0, v19
	s_delay_alu instid0(VALU_DEP_4) | instskip(NEXT) | instid1(VALU_DEP_4)
	v_and_b32_e32 v11, v11, v12
	v_cndmask_b32_e64 v63, 1, v20, s0
	v_cmp_ne_u32_e64 s0, 8, v6
	v_cmp_ne_u32_e64 s13, 0, v26
	s_delay_alu instid0(VALU_DEP_2) | instskip(SKIP_1) | instid1(VALU_DEP_2)
	v_cndmask_b32_e64 v65, 1, v17, s0
	v_cmp_eq_u32_e64 s0, 0, v24
	v_dual_cndmask_b32 v20, v20, v63 :: v_dual_cndmask_b32 v17, v17, v65
	s_delay_alu instid0(VALU_DEP_2) | instskip(SKIP_2) | instid1(VALU_DEP_4)
	v_cndmask_b32_e64 v12, 1, 2, s0
	v_cndmask_b32_e32 v21, v21, v3, vcc_lo
	v_cmp_ne_u32_e64 s0, 9, v6
	v_cmp_ne_u32_e64 s7, 0, v20
	;; [unrolled: 1-line block ×3, first 2 shown]
	v_and_b32_e32 v10, v11, v12
	v_cmp_ne_u32_e64 s10, 0, v21
	v_cndmask_b32_e64 v3, 1, v18, s0
	v_cmp_eq_u32_e64 s0, 0, v21
	s_delay_alu instid0(VALU_DEP_2) | instskip(NEXT) | instid1(VALU_DEP_2)
	v_cndmask_b32_e32 v18, v18, v3, vcc_lo
	v_cndmask_b32_e64 v11, 1, 2, s0
	v_cmp_ne_u32_e64 s0, 10, v6
	s_delay_alu instid0(VALU_DEP_1) | instskip(SKIP_1) | instid1(VALU_DEP_2)
	v_cndmask_b32_e64 v12, 1, v15, s0
	v_cmp_ne_u32_e64 s0, 12, v6
	v_cndmask_b32_e32 v15, v15, v12, vcc_lo
	s_delay_alu instid0(VALU_DEP_2) | instskip(SKIP_2) | instid1(VALU_DEP_4)
	v_cndmask_b32_e64 v66, 1, v13, s0
	v_cmp_eq_u32_e64 s0, 0, v22
	v_and_b32_e32 v10, v10, v11
	v_cmp_ne_u32_e64 s4, 0, v15
	s_delay_alu instid0(VALU_DEP_4) | instskip(NEXT) | instid1(VALU_DEP_4)
	v_cndmask_b32_e32 v13, v13, v66, vcc_lo
	v_cndmask_b32_e64 v11, 1, 2, s0
	v_cmp_ne_u32_e64 s0, 13, v6
	s_delay_alu instid0(VALU_DEP_3) | instskip(NEXT) | instid1(VALU_DEP_3)
	v_cmp_ne_u32_e64 s2, 0, v13
	v_and_b32_e32 v10, v10, v11
	s_delay_alu instid0(VALU_DEP_3) | instskip(SKIP_1) | instid1(VALU_DEP_2)
	v_cndmask_b32_e64 v62, 1, v14, s0
	v_cmp_eq_u32_e64 s0, 0, v19
	v_cndmask_b32_e32 v14, v14, v62, vcc_lo
	s_delay_alu instid0(VALU_DEP_2) | instskip(SKIP_1) | instid1(VALU_DEP_3)
	v_cndmask_b32_e64 v11, 1, 2, s0
	v_cmp_ne_u32_e64 s0, 11, v6
	v_cmp_ne_u32_e64 s1, 0, v14
	s_delay_alu instid0(VALU_DEP_3) | instskip(NEXT) | instid1(VALU_DEP_3)
	v_and_b32_e32 v10, v10, v11
	v_cndmask_b32_e64 v6, 1, v16, s0
	v_cmp_eq_u32_e64 s0, 0, v20
	s_delay_alu instid0(VALU_DEP_1) | instskip(NEXT) | instid1(VALU_DEP_3)
	v_cndmask_b32_e64 v11, 1, 2, s0
	v_cndmask_b32_e32 v16, v16, v6, vcc_lo
	v_cmp_eq_u32_e32 vcc_lo, 0, v17
	v_cmp_ne_u32_e64 s0, 0, v61
	s_delay_alu instid0(VALU_DEP_4) | instskip(NEXT) | instid1(VALU_DEP_4)
	v_and_b32_e32 v3, v10, v11
	v_cmp_ne_u32_e64 s3, 0, v16
	v_cndmask_b32_e64 v6, 1, 2, vcc_lo
	v_add_co_u32 v10, vcc_lo, s36, v59
	v_add_co_ci_u32_e32 v11, vcc_lo, s37, v60, vcc_lo
	s_delay_alu instid0(VALU_DEP_3)
	v_and_b32_e32 v3, v3, v6
	v_cmp_eq_u32_e32 vcc_lo, 0, v18
	v_cmp_ne_u32_e64 s5, 0, v18
	v_cndmask_b32_e64 v6, 1, 2, vcc_lo
	v_add_co_u32 v10, vcc_lo, v10, v8
	v_add_co_ci_u32_e32 v11, vcc_lo, v11, v9, vcc_lo
	v_lshlrev_b32_e32 v8, 1, v2
	v_cmp_eq_u32_e32 vcc_lo, 0, v15
	v_and_b32_e32 v3, v3, v6
	v_cndmask_b32_e64 v6, 1, 2, vcc_lo
	s_delay_alu instid0(VALU_DEP_4) | instskip(SKIP_2) | instid1(VALU_DEP_4)
	v_add_co_u32 v8, vcc_lo, v8, v10
	v_add_co_ci_u32_e32 v9, vcc_lo, 0, v11, vcc_lo
	v_cmp_eq_u32_e32 vcc_lo, 0, v16
	v_and_b32_e32 v59, v3, v6
	v_add_nc_u32_e32 v3, v7, v2
	v_cndmask_b32_e64 v60, 1, 2, vcc_lo
	v_add_co_u32 v6, vcc_lo, v8, -2
	v_add_co_ci_u32_e32 v12, vcc_lo, -1, v9, vcc_lo
	v_cmp_eq_u32_e32 vcc_lo, 0, v13
	s_delay_alu instid0(VALU_DEP_4) | instskip(SKIP_2) | instid1(VALU_DEP_2)
	v_and_b32_e32 v8, v59, v60
	v_cndmask_b32_e64 v9, 1, 2, vcc_lo
	v_cmp_eq_u32_e32 vcc_lo, 0, v14
	v_and_b32_e32 v8, v8, v9
	v_cndmask_b32_e64 v9, 1, 2, vcc_lo
	v_cmp_eq_u32_e32 vcc_lo, 0, v61
	s_delay_alu instid0(VALU_DEP_2) | instskip(SKIP_2) | instid1(VALU_DEP_2)
	v_and_b32_e32 v8, v8, v9
	v_cndmask_b32_e64 v9, 1, 2, vcc_lo
	v_cmp_gt_u32_e32 vcc_lo, 0x100, v4
	v_and_b32_e32 v8, v8, v9
	s_delay_alu instid0(VALU_DEP_1)
	v_cmp_gt_i16_e64 s15, 2, v8
	s_cbranch_vccnz .LBB686_190
; %bb.187:
	s_and_b32 vcc_lo, exec_lo, s16
	s_cbranch_vccnz .LBB686_196
.LBB686_188:
	v_cmp_eq_u32_e32 vcc_lo, 0xff, v0
	s_and_b32 s0, vcc_lo, s18
	s_delay_alu instid0(SALU_CYCLE_1)
	s_and_saveexec_b32 s1, s0
	s_cbranch_execnz .LBB686_217
.LBB686_189:
	s_nop 0
	s_sendmsg sendmsg(MSG_DEALLOC_VGPRS)
	s_endpgm
.LBB686_190:
	s_delay_alu instid0(VALU_DEP_1)
	s_and_saveexec_b32 s16, s15
	s_cbranch_execz .LBB686_195
; %bb.191:
	s_mov_b32 s17, 0
	s_mov_b32 s15, exec_lo
	v_cmpx_ne_u16_e32 1, v8
	s_xor_b32 s15, exec_lo, s15
	s_cbranch_execnz .LBB686_287
; %bb.192:
	s_and_not1_saveexec_b32 s15, s15
	s_cbranch_execnz .LBB686_303
.LBB686_193:
	s_or_b32 exec_lo, exec_lo, s15
	s_delay_alu instid0(SALU_CYCLE_1)
	s_and_b32 exec_lo, exec_lo, s17
	s_cbranch_execz .LBB686_195
.LBB686_194:
	v_sub_nc_u32_e32 v13, v29, v3
	v_mov_b32_e32 v14, 0
	s_delay_alu instid0(VALU_DEP_1) | instskip(NEXT) | instid1(VALU_DEP_1)
	v_lshlrev_b64 v[13:14], 1, v[13:14]
	v_add_co_u32 v13, vcc_lo, v6, v13
	s_delay_alu instid0(VALU_DEP_2)
	v_add_co_ci_u32_e32 v14, vcc_lo, v12, v14, vcc_lo
	global_store_b16 v[13:14], v30, off
.LBB686_195:
	s_or_b32 exec_lo, exec_lo, s16
	s_branch .LBB686_188
.LBB686_196:
	s_mov_b32 s15, exec_lo
	v_cmpx_gt_i16_e32 2, v8
	s_cbranch_execz .LBB686_201
; %bb.197:
	s_mov_b32 s17, 0
	s_mov_b32 s16, exec_lo
	v_cmpx_ne_u16_e32 1, v8
	s_xor_b32 s16, exec_lo, s16
	s_cbranch_execnz .LBB686_304
; %bb.198:
	s_and_not1_saveexec_b32 s0, s16
	s_cbranch_execnz .LBB686_320
.LBB686_199:
	s_or_b32 exec_lo, exec_lo, s0
	s_delay_alu instid0(SALU_CYCLE_1)
	s_and_b32 exec_lo, exec_lo, s17
	s_cbranch_execz .LBB686_201
.LBB686_200:
	v_sub_nc_u32_e32 v3, v29, v3
	s_delay_alu instid0(VALU_DEP_1)
	v_lshlrev_b32_e32 v3, 1, v3
	ds_store_b16 v3, v30
.LBB686_201:
	s_or_b32 exec_lo, exec_lo, s15
	s_delay_alu instid0(SALU_CYCLE_1)
	s_mov_b32 s1, exec_lo
	s_waitcnt lgkmcnt(0)
	s_waitcnt_vscnt null, 0x0
	s_barrier
	buffer_gl0_inv
	v_cmpx_lt_u32_e64 v0, v4
	s_cbranch_execz .LBB686_216
; %bb.202:
	v_add_nc_u32_e32 v8, v5, v1
	s_mov_b32 s0, -1
	s_mov_b32 s3, exec_lo
	s_delay_alu instid0(VALU_DEP_1) | instskip(NEXT) | instid1(VALU_DEP_1)
	v_xad_u32 v1, v0, -1, v8
	v_sub_nc_u32_e32 v3, v1, v2
	v_mov_b32_e32 v1, v0
	s_delay_alu instid0(VALU_DEP_2)
	v_cmp_gt_u32_e64 s2, 0x1b00, v3
	v_cmpx_lt_u32_e32 0x1aff, v3
	s_cbranch_execz .LBB686_213
; %bb.203:
	v_sub_nc_u32_e32 v1, v0, v8
	s_delay_alu instid0(VALU_DEP_1) | instskip(NEXT) | instid1(VALU_DEP_1)
	v_add_nc_u32_e32 v1, v1, v2
	v_or_b32_e32 v1, 0xff, v1
	s_delay_alu instid0(VALU_DEP_1)
	v_cmp_ge_u32_e32 vcc_lo, v1, v0
	v_mov_b32_e32 v1, v0
	s_and_saveexec_b32 s4, vcc_lo
	s_cbranch_execz .LBB686_212
; %bb.204:
	v_lshrrev_b32_e32 v13, 8, v3
	v_or_b32_e32 v1, 0x100, v0
	v_lshlrev_b32_e32 v14, 1, v0
	s_delay_alu instid0(VALU_DEP_3) | instskip(NEXT) | instid1(VALU_DEP_1)
	v_add_nc_u32_e32 v2, -1, v13
	v_lshrrev_b32_e32 v3, 1, v2
	v_mov_b32_e32 v18, 0
	v_cmp_lt_u32_e32 vcc_lo, 13, v2
	s_delay_alu instid0(VALU_DEP_3)
	v_add_nc_u32_e32 v15, 1, v3
	v_dual_mov_b32 v3, v1 :: v_dual_mov_b32 v2, v0
	s_and_saveexec_b32 s0, vcc_lo
	s_cbranch_execz .LBB686_208
; %bb.205:
	s_delay_alu instid0(VALU_DEP_2)
	v_dual_mov_b32 v3, v1 :: v_dual_and_b32 v16, -8, v15
	v_mov_b32_e32 v9, 0
	v_dual_mov_b32 v17, v14 :: v_dual_mov_b32 v2, v0
	s_mov_b32 s5, 0
	s_mov_b32 s6, 0
.LBB686_206:                            ; =>This Inner Loop Header: Depth=1
	s_delay_alu instid0(VALU_DEP_1) | instskip(SKIP_2) | instid1(VALU_DEP_3)
	v_dual_mov_b32 v8, v2 :: v_dual_add_nc_u32 v19, 0x200, v3
	v_add_nc_u32_e32 v16, -8, v16
	v_dual_mov_b32 v20, v9 :: v_dual_add_nc_u32 v21, 0x400, v3
	v_lshlrev_b64 v[37:38], 1, v[8:9]
	v_dual_mov_b32 v22, v9 :: v_dual_add_nc_u32 v23, 0x600, v3
	s_delay_alu instid0(VALU_DEP_4) | instskip(NEXT) | instid1(VALU_DEP_4)
	v_cmp_eq_u32_e32 vcc_lo, 0, v16
	v_lshlrev_b64 v[19:20], 1, v[19:20]
	v_dual_mov_b32 v24, v9 :: v_dual_add_nc_u32 v29, 0x800, v3
	s_add_i32 s6, s6, 16
	v_lshlrev_b64 v[21:22], 1, v[21:22]
	s_or_b32 s5, vcc_lo, s5
	v_add_co_u32 v37, vcc_lo, v6, v37
	v_dual_mov_b32 v30, v9 :: v_dual_add_nc_u32 v31, 0xa00, v3
	v_add_co_ci_u32_e32 v38, vcc_lo, v12, v38, vcc_lo
	v_lshlrev_b64 v[23:24], 1, v[23:24]
	v_add_co_u32 v19, vcc_lo, v6, v19
	v_dual_mov_b32 v32, v9 :: v_dual_add_nc_u32 v33, 0xc00, v3
	v_add_co_ci_u32_e32 v20, vcc_lo, v12, v20, vcc_lo
	v_lshlrev_b64 v[29:30], 1, v[29:30]
	;; [unrolled: 4-line block ×3, first 2 shown]
	v_add_co_u32 v23, vcc_lo, v6, v23
	v_mov_b32_e32 v36, v9
	v_mov_b32_e32 v8, v3
	v_add_co_ci_u32_e32 v24, vcc_lo, v12, v24, vcc_lo
	v_lshlrev_b64 v[33:34], 1, v[33:34]
	v_add_co_u32 v29, vcc_lo, v6, v29
	ds_load_u16 v1, v17
	ds_load_u16 v26, v17 offset:512
	ds_load_u16 v43, v17 offset:1024
	;; [unrolled: 1-line block ×7, first 2 shown]
	v_add_co_ci_u32_e32 v30, vcc_lo, v12, v30, vcc_lo
	ds_load_u16 v49, v17 offset:4096
	ds_load_u16 v50, v17 offset:4608
	;; [unrolled: 1-line block ×8, first 2 shown]
	v_add_nc_u32_e32 v17, 0x2000, v17
	v_lshlrev_b64 v[35:36], 1, v[35:36]
	v_add_co_u32 v31, vcc_lo, v6, v31
	v_lshlrev_b64 v[39:40], 1, v[8:9]
	v_add_nc_u32_e32 v8, 0x200, v2
	v_add_co_ci_u32_e32 v32, vcc_lo, v12, v32, vcc_lo
	v_add_co_u32 v33, vcc_lo, v6, v33
	v_add_co_ci_u32_e32 v34, vcc_lo, v12, v34, vcc_lo
	v_add_co_u32 v35, vcc_lo, v6, v35
	v_lshlrev_b64 v[41:42], 1, v[8:9]
	v_add_nc_u32_e32 v8, 0x400, v2
	v_add_co_ci_u32_e32 v36, vcc_lo, v12, v36, vcc_lo
	v_add_co_u32 v39, vcc_lo, v6, v39
	v_add_co_ci_u32_e32 v40, vcc_lo, v12, v40, vcc_lo
	s_waitcnt lgkmcnt(15)
	global_store_b16 v[37:38], v1, off
	v_lshlrev_b64 v[37:38], 1, v[8:9]
	v_add_nc_u32_e32 v8, 0x600, v2
	v_add_co_u32 v41, vcc_lo, v6, v41
	v_add_co_ci_u32_e32 v42, vcc_lo, v12, v42, vcc_lo
	s_waitcnt lgkmcnt(14)
	global_store_b16 v[39:40], v26, off
	v_lshlrev_b64 v[39:40], 1, v[8:9]
	v_add_nc_u32_e32 v8, 0x800, v2
	s_waitcnt lgkmcnt(13)
	global_store_b16 v[41:42], v43, off
	s_waitcnt lgkmcnt(12)
	global_store_b16 v[19:20], v44, off
	v_add_co_u32 v19, vcc_lo, v6, v37
	v_add_co_ci_u32_e32 v20, vcc_lo, v12, v38, vcc_lo
	v_lshlrev_b64 v[37:38], 1, v[8:9]
	v_add_nc_u32_e32 v8, 0xa00, v2
	v_add_co_u32 v39, vcc_lo, v6, v39
	v_add_co_ci_u32_e32 v40, vcc_lo, v12, v40, vcc_lo
	s_waitcnt lgkmcnt(11)
	global_store_b16 v[19:20], v45, off
	s_waitcnt lgkmcnt(10)
	global_store_b16 v[21:22], v46, off
	v_lshlrev_b64 v[19:20], 1, v[8:9]
	v_add_nc_u32_e32 v8, 0xc00, v2
	v_add_co_u32 v21, vcc_lo, v6, v37
	s_waitcnt lgkmcnt(9)
	global_store_b16 v[39:40], v47, off
	s_waitcnt lgkmcnt(8)
	global_store_b16 v[23:24], v48, off
	v_add_co_ci_u32_e32 v22, vcc_lo, v12, v38, vcc_lo
	v_lshlrev_b64 v[23:24], 1, v[8:9]
	v_add_nc_u32_e32 v8, 0xe00, v2
	v_add_co_u32 v19, vcc_lo, v6, v19
	v_add_co_ci_u32_e32 v20, vcc_lo, v12, v20, vcc_lo
	s_waitcnt lgkmcnt(7)
	global_store_b16 v[21:22], v49, off
	s_waitcnt lgkmcnt(6)
	global_store_b16 v[29:30], v50, off
	v_lshlrev_b64 v[21:22], 1, v[8:9]
	v_dual_mov_b32 v18, s6 :: v_dual_add_nc_u32 v3, 0x1000, v3
	s_waitcnt lgkmcnt(5)
	global_store_b16 v[19:20], v51, off
	v_add_co_u32 v19, vcc_lo, v6, v23
	v_add_nc_u32_e32 v2, 0x1000, v2
	v_add_co_ci_u32_e32 v20, vcc_lo, v12, v24, vcc_lo
	v_add_co_u32 v21, vcc_lo, v6, v21
	v_add_co_ci_u32_e32 v22, vcc_lo, v12, v22, vcc_lo
	s_waitcnt lgkmcnt(4)
	global_store_b16 v[31:32], v52, off
	s_waitcnt lgkmcnt(3)
	global_store_b16 v[19:20], v53, off
	;; [unrolled: 2-line block ×5, first 2 shown]
	s_and_not1_b32 exec_lo, exec_lo, s5
	s_cbranch_execnz .LBB686_206
; %bb.207:
	s_or_b32 exec_lo, exec_lo, s5
.LBB686_208:
	s_delay_alu instid0(SALU_CYCLE_1) | instskip(SKIP_3) | instid1(VALU_DEP_1)
	s_or_b32 exec_lo, exec_lo, s0
	v_and_b32_e32 v1, 7, v15
	s_mov_b32 s6, 0
	s_mov_b32 s5, exec_lo
	v_cmpx_ne_u32_e32 0, v1
	s_cbranch_execz .LBB686_211
; %bb.209:
	v_lshl_or_b32 v14, v18, 9, v14
	v_mov_b32_e32 v9, 0
	s_set_inst_prefetch_distance 0x1
	.p2align	6
.LBB686_210:                            ; =>This Inner Loop Header: Depth=1
	v_dual_mov_b32 v8, v2 :: v_dual_add_nc_u32 v1, -1, v1
	ds_load_u16 v19, v14
	ds_load_u16 v20, v14 offset:512
	v_add_nc_u32_e32 v2, 0x200, v2
	v_add_nc_u32_e32 v14, 0x400, v14
	v_lshlrev_b64 v[15:16], 1, v[8:9]
	v_dual_mov_b32 v8, v3 :: v_dual_add_nc_u32 v3, 0x200, v3
	v_cmp_eq_u32_e32 vcc_lo, 0, v1
	s_delay_alu instid0(VALU_DEP_2) | instskip(NEXT) | instid1(VALU_DEP_4)
	v_lshlrev_b64 v[17:18], 1, v[8:9]
	v_add_co_u32 v15, s0, v6, v15
	s_delay_alu instid0(VALU_DEP_1) | instskip(SKIP_1) | instid1(VALU_DEP_3)
	v_add_co_ci_u32_e64 v16, s0, v12, v16, s0
	s_or_b32 s6, vcc_lo, s6
	v_add_co_u32 v17, s0, v6, v17
	s_delay_alu instid0(VALU_DEP_1)
	v_add_co_ci_u32_e64 v18, s0, v12, v18, s0
	s_waitcnt lgkmcnt(1)
	global_store_b16 v[15:16], v19, off
	s_waitcnt lgkmcnt(0)
	global_store_b16 v[17:18], v20, off
	s_and_not1_b32 exec_lo, exec_lo, s6
	s_cbranch_execnz .LBB686_210
.LBB686_211:
	s_set_inst_prefetch_distance 0x2
	s_or_b32 exec_lo, exec_lo, s5
	v_add_nc_u32_e32 v1, 1, v13
	s_delay_alu instid0(VALU_DEP_1) | instskip(NEXT) | instid1(VALU_DEP_1)
	v_and_b32_e32 v2, 0x1fffffe, v1
	v_cmp_ne_u32_e32 vcc_lo, v1, v2
	v_lshl_or_b32 v1, v2, 8, v0
	s_or_not1_b32 s0, vcc_lo, exec_lo
.LBB686_212:
	s_or_b32 exec_lo, exec_lo, s4
	s_delay_alu instid0(SALU_CYCLE_1) | instskip(SKIP_1) | instid1(SALU_CYCLE_1)
	s_and_not1_b32 s2, s2, exec_lo
	s_and_b32 s0, s0, exec_lo
	s_or_b32 s2, s2, s0
.LBB686_213:
	s_or_b32 exec_lo, exec_lo, s3
	s_delay_alu instid0(VALU_DEP_2) | instid1(SALU_CYCLE_1)
	s_and_b32 exec_lo, exec_lo, s2
	s_cbranch_execz .LBB686_216
; %bb.214:
	v_dual_mov_b32 v2, 0 :: v_dual_lshlrev_b32 v3, 1, v1
	s_mov_b32 s2, 0
	.p2align	6
.LBB686_215:                            ; =>This Inner Loop Header: Depth=1
	ds_load_u16 v13, v3
	v_lshlrev_b64 v[8:9], 1, v[1:2]
	v_add_nc_u32_e32 v1, 0x100, v1
	v_add_nc_u32_e32 v3, 0x200, v3
	s_delay_alu instid0(VALU_DEP_2) | instskip(NEXT) | instid1(VALU_DEP_4)
	v_cmp_ge_u32_e32 vcc_lo, v1, v4
	v_add_co_u32 v8, s0, v6, v8
	s_delay_alu instid0(VALU_DEP_1)
	v_add_co_ci_u32_e64 v9, s0, v12, v9, s0
	s_or_b32 s2, vcc_lo, s2
	s_waitcnt lgkmcnt(0)
	global_store_b16 v[8:9], v13, off
	s_and_not1_b32 exec_lo, exec_lo, s2
	s_cbranch_execnz .LBB686_215
.LBB686_216:
	s_or_b32 exec_lo, exec_lo, s1
	v_cmp_eq_u32_e32 vcc_lo, 0xff, v0
	s_and_b32 s0, vcc_lo, s18
	s_delay_alu instid0(SALU_CYCLE_1)
	s_and_saveexec_b32 s1, s0
	s_cbranch_execz .LBB686_189
.LBB686_217:
	v_add_co_u32 v0, s0, v5, v7
	s_delay_alu instid0(VALU_DEP_1) | instskip(SKIP_1) | instid1(VALU_DEP_3)
	v_add_co_ci_u32_e64 v1, null, 0, 0, s0
	v_mov_b32_e32 v6, 0
	v_add_co_u32 v0, vcc_lo, v0, v27
	s_delay_alu instid0(VALU_DEP_3)
	v_add_co_ci_u32_e32 v1, vcc_lo, v1, v28, vcc_lo
	s_cmpk_lg_i32 s19, 0xf00
	global_store_b64 v6, v[0:1], s[38:39]
	s_cbranch_scc1 .LBB686_189
; %bb.218:
	v_lshlrev_b64 v[0:1], 1, v[5:6]
	s_delay_alu instid0(VALU_DEP_1) | instskip(NEXT) | instid1(VALU_DEP_2)
	v_add_co_u32 v0, vcc_lo, v10, v0
	v_add_co_ci_u32_e32 v1, vcc_lo, v11, v1, vcc_lo
	global_store_b16 v[0:1], v25, off offset:-2
	s_nop 0
	s_sendmsg sendmsg(MSG_DEALLOC_VGPRS)
	s_endpgm
.LBB686_219:
                                        ; implicit-def: $sgpr2
                                        ; implicit-def: $vgpr61
                                        ; implicit-def: $vgpr14
                                        ; implicit-def: $vgpr13
                                        ; implicit-def: $vgpr16
                                        ; implicit-def: $vgpr15
                                        ; implicit-def: $vgpr18
                                        ; implicit-def: $vgpr17
                                        ; implicit-def: $vgpr20
                                        ; implicit-def: $vgpr19
                                        ; implicit-def: $vgpr22
                                        ; implicit-def: $vgpr21
                                        ; implicit-def: $vgpr24
                                        ; implicit-def: $vgpr23
                                        ; implicit-def: $vgpr26
	s_cbranch_execz .LBB686_109
; %bb.220:
	v_mad_u32_u24 v13, v0, 15, 14
	s_waitcnt lgkmcnt(0)
	v_dual_mov_b32 v14, 0 :: v_dual_lshlrev_b32 v7, 1, v0
	v_lshrrev_b32_e32 v6, 16, v12
	v_mul_u32_u24_e32 v5, 15, v0
	v_mov_b32_e32 v61, 0
	s_mov_b32 s2, exec_lo
	ds_store_b16 v7, v6
	v_cmpx_gt_u64_e64 s[0:1], v[13:14]
	s_cbranch_execz .LBB686_222
; %bb.221:
	v_bfe_i32 v8, v12, 0, 16
	v_bfe_i32 v6, v6, 0, 16
	s_delay_alu instid0(VALU_DEP_2) | instskip(NEXT) | instid1(VALU_DEP_2)
	v_mul_i32_i24_e32 v8, 0x6667, v8
	v_mul_i32_i24_e32 v6, 0x6667, v6
	s_delay_alu instid0(VALU_DEP_2) | instskip(SKIP_1) | instid1(VALU_DEP_3)
	v_lshrrev_b32_e32 v9, 31, v8
	v_ashrrev_i32_e32 v8, 18, v8
	v_lshrrev_b32_e32 v13, 31, v6
	v_ashrrev_i32_e32 v6, 18, v6
	s_delay_alu instid0(VALU_DEP_3) | instskip(NEXT) | instid1(VALU_DEP_2)
	v_add_nc_u16 v8, v8, v9
	v_add_nc_u16 v6, v6, v13
	s_delay_alu instid0(VALU_DEP_1)
	v_cmp_ne_u16_e32 vcc_lo, v8, v6
	v_cndmask_b32_e64 v61, 0, 1, vcc_lo
.LBB686_222:
	s_or_b32 exec_lo, exec_lo, s2
	v_add_nc_u32_e32 v13, 13, v5
	s_mov_b32 s2, exec_lo
	s_delay_alu instid0(VALU_DEP_1)
	v_cmpx_gt_u64_e64 s[0:1], v[13:14]
	s_cbranch_execz .LBB686_224
; %bb.223:
	v_ashrrev_i32_e32 v6, 16, v11
	v_bfe_i32 v8, v12, 0, 16
	s_delay_alu instid0(VALU_DEP_2) | instskip(NEXT) | instid1(VALU_DEP_2)
	v_mul_i32_i24_e32 v6, 0x6667, v6
	v_mul_i32_i24_e32 v8, 0x6667, v8
	s_delay_alu instid0(VALU_DEP_2) | instskip(SKIP_1) | instid1(VALU_DEP_3)
	v_lshrrev_b32_e32 v9, 31, v6
	v_ashrrev_i32_e32 v6, 18, v6
	v_lshrrev_b32_e32 v13, 31, v8
	v_ashrrev_i32_e32 v8, 18, v8
	s_delay_alu instid0(VALU_DEP_3) | instskip(NEXT) | instid1(VALU_DEP_2)
	v_add_nc_u16 v6, v6, v9
	v_add_nc_u16 v8, v8, v13
	s_delay_alu instid0(VALU_DEP_1)
	v_cmp_ne_u16_e32 vcc_lo, v6, v8
	v_cndmask_b32_e64 v14, 0, 1, vcc_lo
.LBB686_224:
	s_or_b32 exec_lo, exec_lo, s2
	v_dual_mov_b32 v16, 0 :: v_dual_add_nc_u32 v15, 12, v5
	v_mov_b32_e32 v13, 0
	s_mov_b32 s2, exec_lo
	s_delay_alu instid0(VALU_DEP_2)
	v_cmpx_gt_u64_e64 s[0:1], v[15:16]
	s_cbranch_execz .LBB686_226
; %bb.225:
	v_bfe_i32 v6, v11, 0, 16
	v_ashrrev_i32_e32 v8, 16, v11
	s_delay_alu instid0(VALU_DEP_2) | instskip(NEXT) | instid1(VALU_DEP_2)
	v_mul_i32_i24_e32 v6, 0x6667, v6
	v_mul_i32_i24_e32 v8, 0x6667, v8
	s_delay_alu instid0(VALU_DEP_2) | instskip(SKIP_1) | instid1(VALU_DEP_3)
	v_lshrrev_b32_e32 v9, 31, v6
	v_ashrrev_i32_e32 v6, 18, v6
	v_lshrrev_b32_e32 v13, 31, v8
	v_ashrrev_i32_e32 v8, 18, v8
	s_delay_alu instid0(VALU_DEP_3) | instskip(NEXT) | instid1(VALU_DEP_2)
	v_add_nc_u16 v6, v6, v9
	v_add_nc_u16 v8, v8, v13
	s_delay_alu instid0(VALU_DEP_1)
	v_cmp_ne_u16_e32 vcc_lo, v6, v8
	v_cndmask_b32_e64 v13, 0, 1, vcc_lo
.LBB686_226:
	s_or_b32 exec_lo, exec_lo, s2
	v_add_nc_u32_e32 v15, 11, v5
	s_mov_b32 s2, exec_lo
	s_delay_alu instid0(VALU_DEP_1)
	v_cmpx_gt_u64_e64 s[0:1], v[15:16]
	s_cbranch_execz .LBB686_228
; %bb.227:
	v_ashrrev_i32_e32 v6, 16, v10
	v_bfe_i32 v8, v11, 0, 16
	s_delay_alu instid0(VALU_DEP_2) | instskip(NEXT) | instid1(VALU_DEP_2)
	v_mul_i32_i24_e32 v6, 0x6667, v6
	v_mul_i32_i24_e32 v8, 0x6667, v8
	s_delay_alu instid0(VALU_DEP_2) | instskip(SKIP_1) | instid1(VALU_DEP_3)
	v_lshrrev_b32_e32 v9, 31, v6
	v_ashrrev_i32_e32 v6, 18, v6
	v_lshrrev_b32_e32 v15, 31, v8
	v_ashrrev_i32_e32 v8, 18, v8
	s_delay_alu instid0(VALU_DEP_3) | instskip(NEXT) | instid1(VALU_DEP_2)
	v_add_nc_u16 v6, v6, v9
	v_add_nc_u16 v8, v8, v15
	s_delay_alu instid0(VALU_DEP_1)
	v_cmp_ne_u16_e32 vcc_lo, v6, v8
	v_cndmask_b32_e64 v16, 0, 1, vcc_lo
.LBB686_228:
	s_or_b32 exec_lo, exec_lo, s2
	v_dual_mov_b32 v18, 0 :: v_dual_add_nc_u32 v17, 10, v5
	v_mov_b32_e32 v15, 0
	s_mov_b32 s2, exec_lo
	s_delay_alu instid0(VALU_DEP_2)
	v_cmpx_gt_u64_e64 s[0:1], v[17:18]
	s_cbranch_execz .LBB686_230
; %bb.229:
	v_bfe_i32 v6, v10, 0, 16
	v_ashrrev_i32_e32 v8, 16, v10
	s_delay_alu instid0(VALU_DEP_2) | instskip(NEXT) | instid1(VALU_DEP_2)
	v_mul_i32_i24_e32 v6, 0x6667, v6
	v_mul_i32_i24_e32 v8, 0x6667, v8
	s_delay_alu instid0(VALU_DEP_2) | instskip(SKIP_1) | instid1(VALU_DEP_3)
	v_lshrrev_b32_e32 v9, 31, v6
	v_ashrrev_i32_e32 v6, 18, v6
	v_lshrrev_b32_e32 v15, 31, v8
	v_ashrrev_i32_e32 v8, 18, v8
	s_delay_alu instid0(VALU_DEP_3) | instskip(NEXT) | instid1(VALU_DEP_2)
	v_add_nc_u16 v6, v6, v9
	v_add_nc_u16 v8, v8, v15
	s_delay_alu instid0(VALU_DEP_1)
	v_cmp_ne_u16_e32 vcc_lo, v6, v8
	v_cndmask_b32_e64 v15, 0, 1, vcc_lo
.LBB686_230:
	;; [unrolled: 49-line block ×6, first 2 shown]
	s_or_b32 exec_lo, exec_lo, s2
	v_add_nc_u32_e32 v25, 1, v5
	s_mov_b32 s2, exec_lo
	s_delay_alu instid0(VALU_DEP_1)
	v_cmpx_gt_u64_e64 s[0:1], v[25:26]
	s_cbranch_execz .LBB686_248
; %bb.247:
	v_bfe_i32 v6, v62, 0, 16
	v_bfe_i32 v8, v1, 0, 16
	s_delay_alu instid0(VALU_DEP_2) | instskip(NEXT) | instid1(VALU_DEP_2)
	v_mul_i32_i24_e32 v6, 0x6667, v6
	v_mul_i32_i24_e32 v8, 0x6667, v8
	s_delay_alu instid0(VALU_DEP_2) | instskip(SKIP_1) | instid1(VALU_DEP_3)
	v_lshrrev_b32_e32 v9, 31, v6
	v_ashrrev_i32_e32 v6, 18, v6
	v_lshrrev_b32_e32 v25, 31, v8
	v_ashrrev_i32_e32 v8, 18, v8
	s_delay_alu instid0(VALU_DEP_3) | instskip(NEXT) | instid1(VALU_DEP_2)
	v_add_nc_u16 v6, v6, v9
	v_add_nc_u16 v8, v8, v25
	s_delay_alu instid0(VALU_DEP_1)
	v_cmp_ne_u16_e32 vcc_lo, v6, v8
	v_cndmask_b32_e64 v26, 0, 1, vcc_lo
.LBB686_248:
	s_or_b32 exec_lo, exec_lo, s2
	s_mov_b32 s4, 0
	s_mov_b32 s3, exec_lo
	s_waitcnt lgkmcnt(0)
	s_barrier
	buffer_gl0_inv
                                        ; implicit-def: $sgpr2
	v_cmpx_ne_u32_e32 0, v0
	s_cbranch_execz .LBB686_252
; %bb.249:
	v_mov_b32_e32 v6, 0
	s_delay_alu instid0(VALU_DEP_1)
	v_cmp_gt_u64_e32 vcc_lo, s[0:1], v[5:6]
	s_and_saveexec_b32 s0, vcc_lo
	s_cbranch_execz .LBB686_251
; %bb.250:
	v_add_nc_u32_e32 v5, -2, v7
	v_bfe_i32 v6, v62, 0, 16
	ds_load_i16 v5, v5
	v_mul_i32_i24_e32 v6, 0x6667, v6
	s_delay_alu instid0(VALU_DEP_1) | instskip(SKIP_1) | instid1(VALU_DEP_1)
	v_lshrrev_b32_e32 v7, 31, v6
	v_ashrrev_i32_e32 v6, 18, v6
	v_add_nc_u16 v6, v6, v7
	s_waitcnt lgkmcnt(0)
	v_mul_i32_i24_e32 v5, 0x6667, v5
	s_delay_alu instid0(VALU_DEP_1) | instskip(SKIP_1) | instid1(VALU_DEP_1)
	v_lshrrev_b32_e32 v8, 31, v5
	v_ashrrev_i32_e32 v5, 18, v5
	v_add_nc_u16 v5, v5, v8
	s_delay_alu instid0(VALU_DEP_1)
	v_cmp_ne_u16_e32 vcc_lo, v5, v6
	s_and_b32 s4, vcc_lo, exec_lo
.LBB686_251:
	s_or_b32 exec_lo, exec_lo, s0
	s_delay_alu instid0(SALU_CYCLE_1)
	s_and_b32 s2, s4, exec_lo
	s_or_b32 s28, s28, exec_lo
.LBB686_252:
	s_or_b32 exec_lo, exec_lo, s3
	s_mov_b32 s0, 1
	s_delay_alu instid0(SALU_CYCLE_1)
	v_mov_b32_e32 v76, s0
	s_and_saveexec_b32 s0, s28
	s_cbranch_execnz .LBB686_111
	s_branch .LBB686_112
.LBB686_253:
	s_and_saveexec_b32 s17, s14
	s_cbranch_execnz .LBB686_321
; %bb.254:
	s_or_b32 exec_lo, exec_lo, s17
	s_and_saveexec_b32 s17, s13
	s_cbranch_execnz .LBB686_322
.LBB686_255:
	s_or_b32 exec_lo, exec_lo, s17
	s_and_saveexec_b32 s17, s12
	s_cbranch_execnz .LBB686_323
.LBB686_256:
	s_or_b32 exec_lo, exec_lo, s17
	s_and_saveexec_b32 s17, s11
	s_cbranch_execnz .LBB686_324
.LBB686_257:
	s_or_b32 exec_lo, exec_lo, s17
	s_and_saveexec_b32 s17, s10
	s_cbranch_execnz .LBB686_325
.LBB686_258:
	s_or_b32 exec_lo, exec_lo, s17
	s_and_saveexec_b32 s17, s9
	s_cbranch_execnz .LBB686_326
.LBB686_259:
	s_or_b32 exec_lo, exec_lo, s17
	s_and_saveexec_b32 s17, s7
	s_cbranch_execnz .LBB686_327
.LBB686_260:
	s_or_b32 exec_lo, exec_lo, s17
	s_and_saveexec_b32 s17, s5
	s_cbranch_execnz .LBB686_328
.LBB686_261:
	s_or_b32 exec_lo, exec_lo, s17
	s_and_saveexec_b32 s17, s8
	s_cbranch_execnz .LBB686_329
.LBB686_262:
	s_or_b32 exec_lo, exec_lo, s17
	s_and_saveexec_b32 s17, s6
	s_cbranch_execnz .LBB686_330
.LBB686_263:
	s_or_b32 exec_lo, exec_lo, s17
	s_and_saveexec_b32 s17, s4
	s_cbranch_execnz .LBB686_331
.LBB686_264:
	s_or_b32 exec_lo, exec_lo, s17
	s_and_saveexec_b32 s17, s3
	s_cbranch_execnz .LBB686_332
.LBB686_265:
	s_or_b32 exec_lo, exec_lo, s17
	s_and_saveexec_b32 s17, s2
	s_cbranch_execnz .LBB686_333
.LBB686_266:
	s_or_b32 exec_lo, exec_lo, s17
	s_and_saveexec_b32 s17, s1
	s_cbranch_execz .LBB686_268
.LBB686_267:
	v_sub_nc_u32_e32 v65, v39, v7
	v_mov_b32_e32 v66, 0
	s_delay_alu instid0(VALU_DEP_1) | instskip(NEXT) | instid1(VALU_DEP_1)
	v_lshlrev_b64 v[65:66], 1, v[65:66]
	v_add_co_u32 v65, vcc_lo, v6, v65
	s_delay_alu instid0(VALU_DEP_2)
	v_add_co_ci_u32_e32 v66, vcc_lo, v63, v66, vcc_lo
	global_store_b16 v[65:66], v12, off
.LBB686_268:
	s_or_b32 exec_lo, exec_lo, s17
	s_delay_alu instid0(SALU_CYCLE_1)
	s_and_b32 s17, s0, exec_lo
	s_and_not1_saveexec_b32 s15, s15
	s_cbranch_execz .LBB686_161
.LBB686_269:
	v_sub_nc_u32_e32 v65, v55, v7
	v_mov_b32_e32 v66, 0
	s_or_b32 s17, s17, exec_lo
	s_delay_alu instid0(VALU_DEP_1) | instskip(SKIP_1) | instid1(VALU_DEP_1)
	v_lshlrev_b64 v[67:68], 1, v[65:66]
	v_sub_nc_u32_e32 v65, v49, v7
	v_lshlrev_b64 v[69:70], 1, v[65:66]
	v_sub_nc_u32_e32 v65, v51, v7
	s_delay_alu instid0(VALU_DEP_4) | instskip(SKIP_1) | instid1(VALU_DEP_3)
	v_add_co_u32 v67, vcc_lo, v6, v67
	v_add_co_ci_u32_e32 v68, vcc_lo, v63, v68, vcc_lo
	v_lshlrev_b64 v[71:72], 1, v[65:66]
	v_sub_nc_u32_e32 v65, v47, v7
	v_add_co_u32 v69, vcc_lo, v6, v69
	v_add_co_ci_u32_e32 v70, vcc_lo, v63, v70, vcc_lo
	global_store_b16 v[67:68], v62, off
	v_lshlrev_b64 v[67:68], 1, v[65:66]
	v_sub_nc_u32_e32 v65, v35, v7
	global_store_b16 v[69:70], v1, off
	v_add_co_u32 v69, vcc_lo, v6, v71
	v_add_co_ci_u32_e32 v70, vcc_lo, v63, v72, vcc_lo
	v_lshlrev_b64 v[71:72], 1, v[65:66]
	v_sub_nc_u32_e32 v65, v31, v7
	v_add_co_u32 v67, vcc_lo, v6, v67
	v_add_co_ci_u32_e32 v68, vcc_lo, v63, v68, vcc_lo
	s_delay_alu instid0(VALU_DEP_3) | instskip(SKIP_3) | instid1(VALU_DEP_3)
	v_lshlrev_b64 v[73:74], 1, v[65:66]
	v_sub_nc_u32_e32 v65, v33, v7
	v_add_co_u32 v71, vcc_lo, v6, v71
	v_add_co_ci_u32_e32 v72, vcc_lo, v63, v72, vcc_lo
	v_lshlrev_b64 v[77:78], 1, v[65:66]
	v_sub_nc_u32_e32 v65, v53, v7
	v_add_co_u32 v73, vcc_lo, v6, v73
	v_add_co_ci_u32_e32 v74, vcc_lo, v63, v74, vcc_lo
	s_clause 0x3
	global_store_d16_hi_b16 v[69:70], v1, off
	global_store_b16 v[67:68], v2, off
	global_store_d16_hi_b16 v[71:72], v2, off
	global_store_b16 v[73:74], v3, off
	v_lshlrev_b64 v[67:68], 1, v[65:66]
	v_sub_nc_u32_e32 v65, v57, v7
	v_add_co_u32 v69, vcc_lo, v6, v77
	v_add_co_ci_u32_e32 v70, vcc_lo, v63, v78, vcc_lo
	s_delay_alu instid0(VALU_DEP_3) | instskip(SKIP_3) | instid1(VALU_DEP_3)
	v_lshlrev_b64 v[71:72], 1, v[65:66]
	v_sub_nc_u32_e32 v65, v45, v7
	v_add_co_u32 v67, vcc_lo, v6, v67
	v_add_co_ci_u32_e32 v68, vcc_lo, v63, v68, vcc_lo
	v_lshlrev_b64 v[73:74], 1, v[65:66]
	v_sub_nc_u32_e32 v65, v43, v7
	v_add_co_u32 v71, vcc_lo, v6, v71
	v_add_co_ci_u32_e32 v72, vcc_lo, v63, v72, vcc_lo
	s_delay_alu instid0(VALU_DEP_3)
	v_lshlrev_b64 v[77:78], 1, v[65:66]
	v_sub_nc_u32_e32 v65, v37, v7
	v_add_co_u32 v73, vcc_lo, v6, v73
	v_add_co_ci_u32_e32 v74, vcc_lo, v63, v74, vcc_lo
	s_clause 0x3
	global_store_d16_hi_b16 v[69:70], v3, off
	global_store_b16 v[67:68], v4, off
	global_store_d16_hi_b16 v[71:72], v4, off
	global_store_b16 v[73:74], v10, off
	v_lshlrev_b64 v[67:68], 1, v[65:66]
	v_sub_nc_u32_e32 v65, v41, v7
	v_add_co_u32 v69, vcc_lo, v6, v77
	v_add_co_ci_u32_e32 v70, vcc_lo, v63, v78, vcc_lo
	s_delay_alu instid0(VALU_DEP_3) | instskip(SKIP_3) | instid1(VALU_DEP_3)
	v_lshlrev_b64 v[71:72], 1, v[65:66]
	v_sub_nc_u32_e32 v65, v39, v7
	v_add_co_u32 v67, vcc_lo, v6, v67
	v_add_co_ci_u32_e32 v68, vcc_lo, v63, v68, vcc_lo
	v_lshlrev_b64 v[65:66], 1, v[65:66]
	v_add_co_u32 v71, vcc_lo, v6, v71
	v_add_co_ci_u32_e32 v72, vcc_lo, v63, v72, vcc_lo
	s_clause 0x2
	global_store_d16_hi_b16 v[69:70], v10, off
	global_store_b16 v[67:68], v11, off
	global_store_d16_hi_b16 v[71:72], v11, off
	v_add_co_u32 v65, vcc_lo, v6, v65
	v_add_co_ci_u32_e32 v66, vcc_lo, v63, v66, vcc_lo
	global_store_b16 v[65:66], v12, off
	s_or_b32 exec_lo, exec_lo, s15
	s_delay_alu instid0(SALU_CYCLE_1)
	s_and_b32 exec_lo, exec_lo, s17
	s_cbranch_execnz .LBB686_162
	s_branch .LBB686_163
.LBB686_270:
	s_and_saveexec_b32 s17, s14
	s_cbranch_execnz .LBB686_334
; %bb.271:
	s_or_b32 exec_lo, exec_lo, s17
	s_and_saveexec_b32 s14, s13
	s_cbranch_execnz .LBB686_335
.LBB686_272:
	s_or_b32 exec_lo, exec_lo, s14
	s_and_saveexec_b32 s13, s12
	s_cbranch_execnz .LBB686_336
.LBB686_273:
	s_or_b32 exec_lo, exec_lo, s13
	s_and_saveexec_b32 s12, s11
	s_cbranch_execnz .LBB686_337
.LBB686_274:
	s_or_b32 exec_lo, exec_lo, s12
	s_and_saveexec_b32 s11, s10
	s_cbranch_execnz .LBB686_338
.LBB686_275:
	s_or_b32 exec_lo, exec_lo, s11
	s_and_saveexec_b32 s10, s9
	s_cbranch_execnz .LBB686_339
.LBB686_276:
	s_or_b32 exec_lo, exec_lo, s10
	s_and_saveexec_b32 s9, s7
	s_cbranch_execnz .LBB686_340
.LBB686_277:
	s_or_b32 exec_lo, exec_lo, s9
	s_and_saveexec_b32 s7, s5
	s_cbranch_execnz .LBB686_341
.LBB686_278:
	s_or_b32 exec_lo, exec_lo, s7
	s_and_saveexec_b32 s5, s8
	s_cbranch_execnz .LBB686_342
.LBB686_279:
	s_or_b32 exec_lo, exec_lo, s5
	s_and_saveexec_b32 s5, s6
	s_cbranch_execnz .LBB686_343
.LBB686_280:
	s_or_b32 exec_lo, exec_lo, s5
	s_and_saveexec_b32 s5, s4
	s_cbranch_execnz .LBB686_344
.LBB686_281:
	s_or_b32 exec_lo, exec_lo, s5
	s_and_saveexec_b32 s4, s3
	s_cbranch_execnz .LBB686_345
.LBB686_282:
	s_or_b32 exec_lo, exec_lo, s4
	s_and_saveexec_b32 s3, s2
	s_cbranch_execnz .LBB686_346
.LBB686_283:
	s_or_b32 exec_lo, exec_lo, s3
	s_and_saveexec_b32 s2, s1
	s_cbranch_execz .LBB686_285
.LBB686_284:
	v_sub_nc_u32_e32 v1, v39, v7
	s_delay_alu instid0(VALU_DEP_1)
	v_lshlrev_b32_e32 v1, 1, v1
	ds_store_b16 v1, v12
.LBB686_285:
	s_or_b32 exec_lo, exec_lo, s2
	s_delay_alu instid0(SALU_CYCLE_1)
	s_and_b32 s17, s0, exec_lo
                                        ; implicit-def: $vgpr62
                                        ; implicit-def: $vgpr1
	s_and_not1_saveexec_b32 s0, s16
	s_cbranch_execz .LBB686_168
.LBB686_286:
	v_sub_nc_u32_e32 v64, v55, v7
	v_sub_nc_u32_e32 v65, v49, v7
	;; [unrolled: 1-line block ×4, first 2 shown]
	s_or_b32 s17, s17, exec_lo
	v_lshlrev_b32_e32 v64, 1, v64
	v_lshlrev_b32_e32 v65, 1, v65
	;; [unrolled: 1-line block ×4, first 2 shown]
	ds_store_b16 v64, v62
	ds_store_b16 v65, v1
	ds_store_b16_d16_hi v66, v1
	v_sub_nc_u32_e32 v1, v35, v7
	v_sub_nc_u32_e32 v62, v31, v7
	;; [unrolled: 1-line block ×5, first 2 shown]
	v_lshlrev_b32_e32 v1, 1, v1
	ds_store_b16 v67, v2
	v_lshlrev_b32_e32 v62, 1, v62
	v_lshlrev_b32_e32 v64, 1, v64
	;; [unrolled: 1-line block ×3, first 2 shown]
	ds_store_b16_d16_hi v1, v2
	v_lshlrev_b32_e32 v1, 1, v66
	v_sub_nc_u32_e32 v2, v45, v7
	ds_store_b16 v62, v3
	ds_store_b16_d16_hi v64, v3
	ds_store_b16 v65, v4
	v_sub_nc_u32_e32 v62, v39, v7
	v_sub_nc_u32_e32 v3, v37, v7
	ds_store_b16_d16_hi v1, v4
	v_sub_nc_u32_e32 v1, v43, v7
	v_lshlrev_b32_e32 v2, 1, v2
	v_sub_nc_u32_e32 v4, v41, v7
	v_lshlrev_b32_e32 v3, 1, v3
	s_delay_alu instid0(VALU_DEP_4)
	v_lshlrev_b32_e32 v1, 1, v1
	ds_store_b16 v2, v10
	v_lshlrev_b32_e32 v2, 1, v62
	v_lshlrev_b32_e32 v4, 1, v4
	ds_store_b16_d16_hi v1, v10
	ds_store_b16 v3, v11
	ds_store_b16_d16_hi v4, v11
	ds_store_b16 v2, v12
	s_or_b32 exec_lo, exec_lo, s0
	s_delay_alu instid0(SALU_CYCLE_1)
	s_and_b32 exec_lo, exec_lo, s17
	s_cbranch_execnz .LBB686_169
	s_branch .LBB686_170
.LBB686_287:
	s_and_saveexec_b32 s17, s14
	s_cbranch_execnz .LBB686_347
; %bb.288:
	s_or_b32 exec_lo, exec_lo, s17
	s_and_saveexec_b32 s17, s13
	s_cbranch_execnz .LBB686_348
.LBB686_289:
	s_or_b32 exec_lo, exec_lo, s17
	s_and_saveexec_b32 s17, s12
	s_cbranch_execnz .LBB686_349
.LBB686_290:
	s_or_b32 exec_lo, exec_lo, s17
	s_and_saveexec_b32 s17, s11
	s_cbranch_execnz .LBB686_350
.LBB686_291:
	s_or_b32 exec_lo, exec_lo, s17
	s_and_saveexec_b32 s17, s10
	s_cbranch_execnz .LBB686_351
.LBB686_292:
	s_or_b32 exec_lo, exec_lo, s17
	s_and_saveexec_b32 s17, s9
	s_cbranch_execnz .LBB686_352
.LBB686_293:
	s_or_b32 exec_lo, exec_lo, s17
	s_and_saveexec_b32 s17, s8
	s_cbranch_execnz .LBB686_353
.LBB686_294:
	s_or_b32 exec_lo, exec_lo, s17
	s_and_saveexec_b32 s17, s7
	s_cbranch_execnz .LBB686_354
.LBB686_295:
	s_or_b32 exec_lo, exec_lo, s17
	s_and_saveexec_b32 s17, s6
	s_cbranch_execnz .LBB686_355
.LBB686_296:
	s_or_b32 exec_lo, exec_lo, s17
	s_and_saveexec_b32 s17, s5
	s_cbranch_execnz .LBB686_356
.LBB686_297:
	s_or_b32 exec_lo, exec_lo, s17
	s_and_saveexec_b32 s17, s4
	s_cbranch_execnz .LBB686_357
.LBB686_298:
	s_or_b32 exec_lo, exec_lo, s17
	s_and_saveexec_b32 s17, s3
	s_cbranch_execnz .LBB686_358
.LBB686_299:
	s_or_b32 exec_lo, exec_lo, s17
	s_and_saveexec_b32 s17, s2
	s_cbranch_execnz .LBB686_359
.LBB686_300:
	s_or_b32 exec_lo, exec_lo, s17
	s_and_saveexec_b32 s17, s1
	s_cbranch_execz .LBB686_302
.LBB686_301:
	v_sub_nc_u32_e32 v13, v39, v3
	v_mov_b32_e32 v14, 0
	s_delay_alu instid0(VALU_DEP_1) | instskip(NEXT) | instid1(VALU_DEP_1)
	v_lshlrev_b64 v[13:14], 1, v[13:14]
	v_add_co_u32 v13, vcc_lo, v6, v13
	s_delay_alu instid0(VALU_DEP_2)
	v_add_co_ci_u32_e32 v14, vcc_lo, v12, v14, vcc_lo
	global_store_b16 v[13:14], v40, off
.LBB686_302:
	s_or_b32 exec_lo, exec_lo, s17
	s_delay_alu instid0(SALU_CYCLE_1)
	s_and_b32 s17, s0, exec_lo
	s_and_not1_saveexec_b32 s15, s15
	s_cbranch_execz .LBB686_193
.LBB686_303:
	v_sub_nc_u32_e32 v13, v55, v3
	v_mov_b32_e32 v14, 0
	s_or_b32 s17, s17, exec_lo
	s_delay_alu instid0(VALU_DEP_1) | instskip(SKIP_1) | instid1(VALU_DEP_1)
	v_lshlrev_b64 v[15:16], 1, v[13:14]
	v_sub_nc_u32_e32 v13, v49, v3
	v_lshlrev_b64 v[17:18], 1, v[13:14]
	v_sub_nc_u32_e32 v13, v51, v3
	s_delay_alu instid0(VALU_DEP_4) | instskip(SKIP_1) | instid1(VALU_DEP_3)
	v_add_co_u32 v15, vcc_lo, v6, v15
	v_add_co_ci_u32_e32 v16, vcc_lo, v12, v16, vcc_lo
	v_lshlrev_b64 v[19:20], 1, v[13:14]
	v_sub_nc_u32_e32 v13, v47, v3
	v_add_co_u32 v17, vcc_lo, v6, v17
	v_add_co_ci_u32_e32 v18, vcc_lo, v12, v18, vcc_lo
	global_store_b16 v[15:16], v56, off
	v_lshlrev_b64 v[15:16], 1, v[13:14]
	v_sub_nc_u32_e32 v13, v35, v3
	global_store_b16 v[17:18], v50, off
	v_add_co_u32 v17, vcc_lo, v6, v19
	v_add_co_ci_u32_e32 v18, vcc_lo, v12, v20, vcc_lo
	v_lshlrev_b64 v[19:20], 1, v[13:14]
	v_sub_nc_u32_e32 v13, v31, v3
	v_add_co_u32 v15, vcc_lo, v6, v15
	v_add_co_ci_u32_e32 v16, vcc_lo, v12, v16, vcc_lo
	s_delay_alu instid0(VALU_DEP_3) | instskip(SKIP_3) | instid1(VALU_DEP_3)
	v_lshlrev_b64 v[21:22], 1, v[13:14]
	v_sub_nc_u32_e32 v13, v33, v3
	v_add_co_u32 v19, vcc_lo, v6, v19
	v_add_co_ci_u32_e32 v20, vcc_lo, v12, v20, vcc_lo
	v_lshlrev_b64 v[23:24], 1, v[13:14]
	v_sub_nc_u32_e32 v13, v53, v3
	v_add_co_u32 v21, vcc_lo, v6, v21
	v_add_co_ci_u32_e32 v22, vcc_lo, v12, v22, vcc_lo
	s_clause 0x3
	global_store_b16 v[17:18], v52, off
	global_store_b16 v[15:16], v48, off
	;; [unrolled: 1-line block ×4, first 2 shown]
	v_lshlrev_b64 v[15:16], 1, v[13:14]
	v_sub_nc_u32_e32 v13, v57, v3
	v_add_co_u32 v17, vcc_lo, v6, v23
	v_add_co_ci_u32_e32 v18, vcc_lo, v12, v24, vcc_lo
	s_delay_alu instid0(VALU_DEP_3) | instskip(SKIP_3) | instid1(VALU_DEP_3)
	v_lshlrev_b64 v[19:20], 1, v[13:14]
	v_sub_nc_u32_e32 v13, v45, v3
	v_add_co_u32 v15, vcc_lo, v6, v15
	v_add_co_ci_u32_e32 v16, vcc_lo, v12, v16, vcc_lo
	v_lshlrev_b64 v[21:22], 1, v[13:14]
	v_sub_nc_u32_e32 v13, v43, v3
	v_add_co_u32 v19, vcc_lo, v6, v19
	v_add_co_ci_u32_e32 v20, vcc_lo, v12, v20, vcc_lo
	s_delay_alu instid0(VALU_DEP_3)
	v_lshlrev_b64 v[23:24], 1, v[13:14]
	v_sub_nc_u32_e32 v13, v37, v3
	v_add_co_u32 v21, vcc_lo, v6, v21
	v_add_co_ci_u32_e32 v22, vcc_lo, v12, v22, vcc_lo
	s_clause 0x3
	global_store_b16 v[17:18], v34, off
	global_store_b16 v[15:16], v54, off
	global_store_b16 v[19:20], v58, off
	global_store_b16 v[21:22], v46, off
	v_lshlrev_b64 v[15:16], 1, v[13:14]
	v_sub_nc_u32_e32 v13, v41, v3
	v_add_co_u32 v17, vcc_lo, v6, v23
	v_add_co_ci_u32_e32 v18, vcc_lo, v12, v24, vcc_lo
	s_delay_alu instid0(VALU_DEP_3) | instskip(SKIP_3) | instid1(VALU_DEP_3)
	v_lshlrev_b64 v[19:20], 1, v[13:14]
	v_sub_nc_u32_e32 v13, v39, v3
	v_add_co_u32 v15, vcc_lo, v6, v15
	v_add_co_ci_u32_e32 v16, vcc_lo, v12, v16, vcc_lo
	v_lshlrev_b64 v[13:14], 1, v[13:14]
	v_add_co_u32 v19, vcc_lo, v6, v19
	v_add_co_ci_u32_e32 v20, vcc_lo, v12, v20, vcc_lo
	s_clause 0x2
	global_store_b16 v[17:18], v44, off
	global_store_b16 v[15:16], v38, off
	;; [unrolled: 1-line block ×3, first 2 shown]
	v_add_co_u32 v13, vcc_lo, v6, v13
	v_add_co_ci_u32_e32 v14, vcc_lo, v12, v14, vcc_lo
	global_store_b16 v[13:14], v40, off
	s_or_b32 exec_lo, exec_lo, s15
	s_delay_alu instid0(SALU_CYCLE_1)
	s_and_b32 exec_lo, exec_lo, s17
	s_cbranch_execnz .LBB686_194
	s_branch .LBB686_195
.LBB686_304:
	s_and_saveexec_b32 s17, s14
	s_cbranch_execnz .LBB686_360
; %bb.305:
	s_or_b32 exec_lo, exec_lo, s17
	s_and_saveexec_b32 s14, s13
	s_cbranch_execnz .LBB686_361
.LBB686_306:
	s_or_b32 exec_lo, exec_lo, s14
	s_and_saveexec_b32 s13, s12
	s_cbranch_execnz .LBB686_362
.LBB686_307:
	s_or_b32 exec_lo, exec_lo, s13
	s_and_saveexec_b32 s12, s11
	s_cbranch_execnz .LBB686_363
.LBB686_308:
	s_or_b32 exec_lo, exec_lo, s12
	s_and_saveexec_b32 s11, s10
	s_cbranch_execnz .LBB686_364
.LBB686_309:
	s_or_b32 exec_lo, exec_lo, s11
	s_and_saveexec_b32 s10, s9
	s_cbranch_execnz .LBB686_365
.LBB686_310:
	s_or_b32 exec_lo, exec_lo, s10
	s_and_saveexec_b32 s9, s8
	s_cbranch_execnz .LBB686_366
.LBB686_311:
	s_or_b32 exec_lo, exec_lo, s9
	s_and_saveexec_b32 s8, s7
	s_cbranch_execnz .LBB686_367
.LBB686_312:
	s_or_b32 exec_lo, exec_lo, s8
	s_and_saveexec_b32 s7, s6
	s_cbranch_execnz .LBB686_368
.LBB686_313:
	s_or_b32 exec_lo, exec_lo, s7
	s_and_saveexec_b32 s6, s5
	s_cbranch_execnz .LBB686_369
.LBB686_314:
	s_or_b32 exec_lo, exec_lo, s6
	s_and_saveexec_b32 s5, s4
	s_cbranch_execnz .LBB686_370
.LBB686_315:
	s_or_b32 exec_lo, exec_lo, s5
	s_and_saveexec_b32 s4, s3
	s_cbranch_execnz .LBB686_371
.LBB686_316:
	s_or_b32 exec_lo, exec_lo, s4
	s_and_saveexec_b32 s3, s2
	s_cbranch_execnz .LBB686_372
.LBB686_317:
	s_or_b32 exec_lo, exec_lo, s3
	s_and_saveexec_b32 s2, s1
	s_cbranch_execz .LBB686_319
.LBB686_318:
	v_sub_nc_u32_e32 v8, v39, v3
	s_delay_alu instid0(VALU_DEP_1)
	v_lshlrev_b32_e32 v8, 1, v8
	ds_store_b16 v8, v40
.LBB686_319:
	s_or_b32 exec_lo, exec_lo, s2
	s_delay_alu instid0(SALU_CYCLE_1)
	s_and_b32 s17, s0, exec_lo
                                        ; implicit-def: $vgpr55_vgpr56
                                        ; implicit-def: $vgpr49_vgpr50
                                        ; implicit-def: $vgpr51_vgpr52
                                        ; implicit-def: $vgpr47_vgpr48
                                        ; implicit-def: $vgpr35_vgpr36
                                        ; implicit-def: $vgpr31_vgpr32
                                        ; implicit-def: $vgpr33_vgpr34
                                        ; implicit-def: $vgpr53_vgpr54
                                        ; implicit-def: $vgpr57_vgpr58
                                        ; implicit-def: $vgpr45_vgpr46
                                        ; implicit-def: $vgpr43_vgpr44
                                        ; implicit-def: $vgpr37_vgpr38
                                        ; implicit-def: $vgpr41_vgpr42
                                        ; implicit-def: $vgpr39_vgpr40
	s_and_not1_saveexec_b32 s0, s16
	s_cbranch_execz .LBB686_199
.LBB686_320:
	v_sub_nc_u32_e32 v8, v55, v3
	v_sub_nc_u32_e32 v9, v49, v3
	;; [unrolled: 1-line block ×5, first 2 shown]
	v_lshlrev_b32_e32 v8, 1, v8
	v_lshlrev_b32_e32 v9, 1, v9
	;; [unrolled: 1-line block ×4, first 2 shown]
	s_or_b32 s17, s17, exec_lo
	ds_store_b16 v8, v56
	ds_store_b16 v9, v50
	;; [unrolled: 1-line block ×3, first 2 shown]
	v_sub_nc_u32_e32 v8, v35, v3
	v_sub_nc_u32_e32 v9, v31, v3
	;; [unrolled: 1-line block ×3, first 2 shown]
	ds_store_b16 v14, v48
	v_sub_nc_u32_e32 v14, v53, v3
	v_lshlrev_b32_e32 v8, 1, v8
	v_lshlrev_b32_e32 v9, 1, v9
	;; [unrolled: 1-line block ×3, first 2 shown]
	s_delay_alu instid0(VALU_DEP_4)
	v_lshlrev_b32_e32 v14, 1, v14
	ds_store_b16 v8, v36
	v_lshlrev_b32_e32 v8, 1, v15
	ds_store_b16 v9, v32
	ds_store_b16 v13, v34
	;; [unrolled: 1-line block ×3, first 2 shown]
	v_sub_nc_u32_e32 v9, v45, v3
	v_sub_nc_u32_e32 v15, v39, v3
	;; [unrolled: 1-line block ×3, first 2 shown]
	ds_store_b16 v8, v58
	v_sub_nc_u32_e32 v8, v43, v3
	v_lshlrev_b32_e32 v9, 1, v9
	v_sub_nc_u32_e32 v14, v41, v3
	v_lshlrev_b32_e32 v13, 1, v13
	s_delay_alu instid0(VALU_DEP_4)
	v_lshlrev_b32_e32 v8, 1, v8
	ds_store_b16 v9, v46
	v_lshlrev_b32_e32 v9, 1, v15
	v_lshlrev_b32_e32 v14, 1, v14
	ds_store_b16 v8, v44
	ds_store_b16 v13, v38
	;; [unrolled: 1-line block ×4, first 2 shown]
	s_or_b32 exec_lo, exec_lo, s0
	s_delay_alu instid0(SALU_CYCLE_1)
	s_and_b32 exec_lo, exec_lo, s17
	s_cbranch_execnz .LBB686_200
	s_branch .LBB686_201
.LBB686_321:
	v_sub_nc_u32_e32 v65, v55, v7
	v_mov_b32_e32 v66, 0
	s_delay_alu instid0(VALU_DEP_1) | instskip(NEXT) | instid1(VALU_DEP_1)
	v_lshlrev_b64 v[65:66], 1, v[65:66]
	v_add_co_u32 v65, vcc_lo, v6, v65
	s_delay_alu instid0(VALU_DEP_2)
	v_add_co_ci_u32_e32 v66, vcc_lo, v63, v66, vcc_lo
	global_store_b16 v[65:66], v62, off
	s_or_b32 exec_lo, exec_lo, s17
	s_and_saveexec_b32 s17, s13
	s_cbranch_execz .LBB686_255
.LBB686_322:
	v_sub_nc_u32_e32 v65, v49, v7
	v_mov_b32_e32 v66, 0
	s_delay_alu instid0(VALU_DEP_1) | instskip(NEXT) | instid1(VALU_DEP_1)
	v_lshlrev_b64 v[65:66], 1, v[65:66]
	v_add_co_u32 v65, vcc_lo, v6, v65
	s_delay_alu instid0(VALU_DEP_2)
	v_add_co_ci_u32_e32 v66, vcc_lo, v63, v66, vcc_lo
	global_store_b16 v[65:66], v1, off
	s_or_b32 exec_lo, exec_lo, s17
	s_and_saveexec_b32 s17, s12
	s_cbranch_execz .LBB686_256
.LBB686_323:
	v_sub_nc_u32_e32 v65, v51, v7
	v_mov_b32_e32 v66, 0
	s_delay_alu instid0(VALU_DEP_1) | instskip(NEXT) | instid1(VALU_DEP_1)
	v_lshlrev_b64 v[65:66], 1, v[65:66]
	v_add_co_u32 v65, vcc_lo, v6, v65
	s_delay_alu instid0(VALU_DEP_2)
	v_add_co_ci_u32_e32 v66, vcc_lo, v63, v66, vcc_lo
	global_store_d16_hi_b16 v[65:66], v1, off
	s_or_b32 exec_lo, exec_lo, s17
	s_and_saveexec_b32 s17, s11
	s_cbranch_execz .LBB686_257
.LBB686_324:
	v_sub_nc_u32_e32 v65, v47, v7
	v_mov_b32_e32 v66, 0
	s_delay_alu instid0(VALU_DEP_1) | instskip(NEXT) | instid1(VALU_DEP_1)
	v_lshlrev_b64 v[65:66], 1, v[65:66]
	v_add_co_u32 v65, vcc_lo, v6, v65
	s_delay_alu instid0(VALU_DEP_2)
	v_add_co_ci_u32_e32 v66, vcc_lo, v63, v66, vcc_lo
	global_store_b16 v[65:66], v2, off
	s_or_b32 exec_lo, exec_lo, s17
	s_and_saveexec_b32 s17, s10
	s_cbranch_execz .LBB686_258
.LBB686_325:
	v_sub_nc_u32_e32 v65, v35, v7
	v_mov_b32_e32 v66, 0
	s_delay_alu instid0(VALU_DEP_1) | instskip(NEXT) | instid1(VALU_DEP_1)
	v_lshlrev_b64 v[65:66], 1, v[65:66]
	v_add_co_u32 v65, vcc_lo, v6, v65
	s_delay_alu instid0(VALU_DEP_2)
	v_add_co_ci_u32_e32 v66, vcc_lo, v63, v66, vcc_lo
	global_store_d16_hi_b16 v[65:66], v2, off
	s_or_b32 exec_lo, exec_lo, s17
	s_and_saveexec_b32 s17, s9
	s_cbranch_execz .LBB686_259
.LBB686_326:
	v_sub_nc_u32_e32 v65, v31, v7
	v_mov_b32_e32 v66, 0
	s_delay_alu instid0(VALU_DEP_1) | instskip(NEXT) | instid1(VALU_DEP_1)
	v_lshlrev_b64 v[65:66], 1, v[65:66]
	v_add_co_u32 v65, vcc_lo, v6, v65
	s_delay_alu instid0(VALU_DEP_2)
	v_add_co_ci_u32_e32 v66, vcc_lo, v63, v66, vcc_lo
	global_store_b16 v[65:66], v3, off
	s_or_b32 exec_lo, exec_lo, s17
	s_and_saveexec_b32 s17, s7
	s_cbranch_execz .LBB686_260
.LBB686_327:
	v_sub_nc_u32_e32 v65, v33, v7
	v_mov_b32_e32 v66, 0
	s_delay_alu instid0(VALU_DEP_1) | instskip(NEXT) | instid1(VALU_DEP_1)
	v_lshlrev_b64 v[65:66], 1, v[65:66]
	v_add_co_u32 v65, vcc_lo, v6, v65
	s_delay_alu instid0(VALU_DEP_2)
	v_add_co_ci_u32_e32 v66, vcc_lo, v63, v66, vcc_lo
	global_store_d16_hi_b16 v[65:66], v3, off
	s_or_b32 exec_lo, exec_lo, s17
	s_and_saveexec_b32 s17, s5
	s_cbranch_execz .LBB686_261
.LBB686_328:
	v_sub_nc_u32_e32 v65, v53, v7
	v_mov_b32_e32 v66, 0
	s_delay_alu instid0(VALU_DEP_1) | instskip(NEXT) | instid1(VALU_DEP_1)
	v_lshlrev_b64 v[65:66], 1, v[65:66]
	v_add_co_u32 v65, vcc_lo, v6, v65
	s_delay_alu instid0(VALU_DEP_2)
	v_add_co_ci_u32_e32 v66, vcc_lo, v63, v66, vcc_lo
	global_store_b16 v[65:66], v4, off
	s_or_b32 exec_lo, exec_lo, s17
	s_and_saveexec_b32 s17, s8
	s_cbranch_execz .LBB686_262
.LBB686_329:
	v_sub_nc_u32_e32 v65, v57, v7
	v_mov_b32_e32 v66, 0
	s_delay_alu instid0(VALU_DEP_1) | instskip(NEXT) | instid1(VALU_DEP_1)
	v_lshlrev_b64 v[65:66], 1, v[65:66]
	v_add_co_u32 v65, vcc_lo, v6, v65
	s_delay_alu instid0(VALU_DEP_2)
	v_add_co_ci_u32_e32 v66, vcc_lo, v63, v66, vcc_lo
	global_store_d16_hi_b16 v[65:66], v4, off
	s_or_b32 exec_lo, exec_lo, s17
	s_and_saveexec_b32 s17, s6
	s_cbranch_execz .LBB686_263
.LBB686_330:
	v_sub_nc_u32_e32 v65, v45, v7
	v_mov_b32_e32 v66, 0
	s_delay_alu instid0(VALU_DEP_1) | instskip(NEXT) | instid1(VALU_DEP_1)
	v_lshlrev_b64 v[65:66], 1, v[65:66]
	v_add_co_u32 v65, vcc_lo, v6, v65
	s_delay_alu instid0(VALU_DEP_2)
	v_add_co_ci_u32_e32 v66, vcc_lo, v63, v66, vcc_lo
	global_store_b16 v[65:66], v10, off
	s_or_b32 exec_lo, exec_lo, s17
	s_and_saveexec_b32 s17, s4
	s_cbranch_execz .LBB686_264
.LBB686_331:
	v_sub_nc_u32_e32 v65, v43, v7
	v_mov_b32_e32 v66, 0
	s_delay_alu instid0(VALU_DEP_1) | instskip(NEXT) | instid1(VALU_DEP_1)
	v_lshlrev_b64 v[65:66], 1, v[65:66]
	v_add_co_u32 v65, vcc_lo, v6, v65
	s_delay_alu instid0(VALU_DEP_2)
	v_add_co_ci_u32_e32 v66, vcc_lo, v63, v66, vcc_lo
	global_store_d16_hi_b16 v[65:66], v10, off
	s_or_b32 exec_lo, exec_lo, s17
	s_and_saveexec_b32 s17, s3
	s_cbranch_execz .LBB686_265
.LBB686_332:
	v_sub_nc_u32_e32 v65, v37, v7
	v_mov_b32_e32 v66, 0
	s_delay_alu instid0(VALU_DEP_1) | instskip(NEXT) | instid1(VALU_DEP_1)
	v_lshlrev_b64 v[65:66], 1, v[65:66]
	v_add_co_u32 v65, vcc_lo, v6, v65
	s_delay_alu instid0(VALU_DEP_2)
	v_add_co_ci_u32_e32 v66, vcc_lo, v63, v66, vcc_lo
	global_store_b16 v[65:66], v11, off
	s_or_b32 exec_lo, exec_lo, s17
	s_and_saveexec_b32 s17, s2
	s_cbranch_execz .LBB686_266
.LBB686_333:
	v_sub_nc_u32_e32 v65, v41, v7
	v_mov_b32_e32 v66, 0
	s_delay_alu instid0(VALU_DEP_1) | instskip(NEXT) | instid1(VALU_DEP_1)
	v_lshlrev_b64 v[65:66], 1, v[65:66]
	v_add_co_u32 v65, vcc_lo, v6, v65
	s_delay_alu instid0(VALU_DEP_2)
	v_add_co_ci_u32_e32 v66, vcc_lo, v63, v66, vcc_lo
	global_store_d16_hi_b16 v[65:66], v11, off
	s_or_b32 exec_lo, exec_lo, s17
	s_and_saveexec_b32 s17, s1
	s_cbranch_execnz .LBB686_267
	s_branch .LBB686_268
.LBB686_334:
	v_sub_nc_u32_e32 v64, v55, v7
	s_delay_alu instid0(VALU_DEP_1)
	v_lshlrev_b32_e32 v64, 1, v64
	ds_store_b16 v64, v62
	s_or_b32 exec_lo, exec_lo, s17
	s_and_saveexec_b32 s14, s13
	s_cbranch_execz .LBB686_272
.LBB686_335:
	v_sub_nc_u32_e32 v62, v49, v7
	s_delay_alu instid0(VALU_DEP_1)
	v_lshlrev_b32_e32 v62, 1, v62
	ds_store_b16 v62, v1
	s_or_b32 exec_lo, exec_lo, s14
	s_and_saveexec_b32 s13, s12
	s_cbranch_execz .LBB686_273
.LBB686_336:
	v_sub_nc_u32_e32 v62, v51, v7
	s_delay_alu instid0(VALU_DEP_1)
	v_lshlrev_b32_e32 v62, 1, v62
	ds_store_b16_d16_hi v62, v1
	s_or_b32 exec_lo, exec_lo, s13
	s_and_saveexec_b32 s12, s11
	s_cbranch_execz .LBB686_274
.LBB686_337:
	v_sub_nc_u32_e32 v1, v47, v7
	s_delay_alu instid0(VALU_DEP_1)
	v_lshlrev_b32_e32 v1, 1, v1
	ds_store_b16 v1, v2
	s_or_b32 exec_lo, exec_lo, s12
	s_and_saveexec_b32 s11, s10
	s_cbranch_execz .LBB686_275
.LBB686_338:
	v_sub_nc_u32_e32 v1, v35, v7
	s_delay_alu instid0(VALU_DEP_1)
	v_lshlrev_b32_e32 v1, 1, v1
	ds_store_b16_d16_hi v1, v2
	s_or_b32 exec_lo, exec_lo, s11
	s_and_saveexec_b32 s10, s9
	s_cbranch_execz .LBB686_276
.LBB686_339:
	v_sub_nc_u32_e32 v1, v31, v7
	s_delay_alu instid0(VALU_DEP_1)
	v_lshlrev_b32_e32 v1, 1, v1
	ds_store_b16 v1, v3
	s_or_b32 exec_lo, exec_lo, s10
	s_and_saveexec_b32 s9, s7
	s_cbranch_execz .LBB686_277
.LBB686_340:
	v_sub_nc_u32_e32 v1, v33, v7
	s_delay_alu instid0(VALU_DEP_1)
	v_lshlrev_b32_e32 v1, 1, v1
	ds_store_b16_d16_hi v1, v3
	s_or_b32 exec_lo, exec_lo, s9
	s_and_saveexec_b32 s7, s5
	s_cbranch_execz .LBB686_278
.LBB686_341:
	v_sub_nc_u32_e32 v1, v53, v7
	s_delay_alu instid0(VALU_DEP_1)
	v_lshlrev_b32_e32 v1, 1, v1
	ds_store_b16 v1, v4
	s_or_b32 exec_lo, exec_lo, s7
	s_and_saveexec_b32 s5, s8
	s_cbranch_execz .LBB686_279
.LBB686_342:
	v_sub_nc_u32_e32 v1, v57, v7
	s_delay_alu instid0(VALU_DEP_1)
	v_lshlrev_b32_e32 v1, 1, v1
	ds_store_b16_d16_hi v1, v4
	s_or_b32 exec_lo, exec_lo, s5
	s_and_saveexec_b32 s5, s6
	s_cbranch_execz .LBB686_280
.LBB686_343:
	v_sub_nc_u32_e32 v1, v45, v7
	s_delay_alu instid0(VALU_DEP_1)
	v_lshlrev_b32_e32 v1, 1, v1
	ds_store_b16 v1, v10
	s_or_b32 exec_lo, exec_lo, s5
	s_and_saveexec_b32 s5, s4
	s_cbranch_execz .LBB686_281
.LBB686_344:
	v_sub_nc_u32_e32 v1, v43, v7
	s_delay_alu instid0(VALU_DEP_1)
	v_lshlrev_b32_e32 v1, 1, v1
	ds_store_b16_d16_hi v1, v10
	s_or_b32 exec_lo, exec_lo, s5
	s_and_saveexec_b32 s4, s3
	s_cbranch_execz .LBB686_282
.LBB686_345:
	v_sub_nc_u32_e32 v1, v37, v7
	s_delay_alu instid0(VALU_DEP_1)
	v_lshlrev_b32_e32 v1, 1, v1
	ds_store_b16 v1, v11
	s_or_b32 exec_lo, exec_lo, s4
	s_and_saveexec_b32 s3, s2
	s_cbranch_execz .LBB686_283
.LBB686_346:
	v_sub_nc_u32_e32 v1, v41, v7
	s_delay_alu instid0(VALU_DEP_1)
	v_lshlrev_b32_e32 v1, 1, v1
	ds_store_b16_d16_hi v1, v11
	s_or_b32 exec_lo, exec_lo, s3
	s_and_saveexec_b32 s2, s1
	s_cbranch_execnz .LBB686_284
	s_branch .LBB686_285
.LBB686_347:
	v_sub_nc_u32_e32 v13, v55, v3
	v_mov_b32_e32 v14, 0
	s_delay_alu instid0(VALU_DEP_1) | instskip(NEXT) | instid1(VALU_DEP_1)
	v_lshlrev_b64 v[13:14], 1, v[13:14]
	v_add_co_u32 v13, vcc_lo, v6, v13
	s_delay_alu instid0(VALU_DEP_2)
	v_add_co_ci_u32_e32 v14, vcc_lo, v12, v14, vcc_lo
	global_store_b16 v[13:14], v56, off
	s_or_b32 exec_lo, exec_lo, s17
	s_and_saveexec_b32 s17, s13
	s_cbranch_execz .LBB686_289
.LBB686_348:
	v_sub_nc_u32_e32 v13, v49, v3
	v_mov_b32_e32 v14, 0
	s_delay_alu instid0(VALU_DEP_1) | instskip(NEXT) | instid1(VALU_DEP_1)
	v_lshlrev_b64 v[13:14], 1, v[13:14]
	v_add_co_u32 v13, vcc_lo, v6, v13
	s_delay_alu instid0(VALU_DEP_2)
	v_add_co_ci_u32_e32 v14, vcc_lo, v12, v14, vcc_lo
	global_store_b16 v[13:14], v50, off
	s_or_b32 exec_lo, exec_lo, s17
	s_and_saveexec_b32 s17, s12
	s_cbranch_execz .LBB686_290
.LBB686_349:
	v_sub_nc_u32_e32 v13, v51, v3
	v_mov_b32_e32 v14, 0
	s_delay_alu instid0(VALU_DEP_1) | instskip(NEXT) | instid1(VALU_DEP_1)
	v_lshlrev_b64 v[13:14], 1, v[13:14]
	v_add_co_u32 v13, vcc_lo, v6, v13
	s_delay_alu instid0(VALU_DEP_2)
	v_add_co_ci_u32_e32 v14, vcc_lo, v12, v14, vcc_lo
	global_store_b16 v[13:14], v52, off
	s_or_b32 exec_lo, exec_lo, s17
	s_and_saveexec_b32 s17, s11
	s_cbranch_execz .LBB686_291
.LBB686_350:
	v_sub_nc_u32_e32 v13, v47, v3
	v_mov_b32_e32 v14, 0
	s_delay_alu instid0(VALU_DEP_1) | instskip(NEXT) | instid1(VALU_DEP_1)
	v_lshlrev_b64 v[13:14], 1, v[13:14]
	v_add_co_u32 v13, vcc_lo, v6, v13
	s_delay_alu instid0(VALU_DEP_2)
	v_add_co_ci_u32_e32 v14, vcc_lo, v12, v14, vcc_lo
	global_store_b16 v[13:14], v48, off
	s_or_b32 exec_lo, exec_lo, s17
	s_and_saveexec_b32 s17, s10
	s_cbranch_execz .LBB686_292
.LBB686_351:
	v_sub_nc_u32_e32 v13, v35, v3
	v_mov_b32_e32 v14, 0
	s_delay_alu instid0(VALU_DEP_1) | instskip(NEXT) | instid1(VALU_DEP_1)
	v_lshlrev_b64 v[13:14], 1, v[13:14]
	v_add_co_u32 v13, vcc_lo, v6, v13
	s_delay_alu instid0(VALU_DEP_2)
	v_add_co_ci_u32_e32 v14, vcc_lo, v12, v14, vcc_lo
	global_store_b16 v[13:14], v36, off
	s_or_b32 exec_lo, exec_lo, s17
	s_and_saveexec_b32 s17, s9
	s_cbranch_execz .LBB686_293
.LBB686_352:
	v_sub_nc_u32_e32 v13, v31, v3
	v_mov_b32_e32 v14, 0
	s_delay_alu instid0(VALU_DEP_1) | instskip(NEXT) | instid1(VALU_DEP_1)
	v_lshlrev_b64 v[13:14], 1, v[13:14]
	v_add_co_u32 v13, vcc_lo, v6, v13
	s_delay_alu instid0(VALU_DEP_2)
	v_add_co_ci_u32_e32 v14, vcc_lo, v12, v14, vcc_lo
	global_store_b16 v[13:14], v32, off
	s_or_b32 exec_lo, exec_lo, s17
	s_and_saveexec_b32 s17, s8
	s_cbranch_execz .LBB686_294
.LBB686_353:
	v_sub_nc_u32_e32 v13, v33, v3
	v_mov_b32_e32 v14, 0
	s_delay_alu instid0(VALU_DEP_1) | instskip(NEXT) | instid1(VALU_DEP_1)
	v_lshlrev_b64 v[13:14], 1, v[13:14]
	v_add_co_u32 v13, vcc_lo, v6, v13
	s_delay_alu instid0(VALU_DEP_2)
	v_add_co_ci_u32_e32 v14, vcc_lo, v12, v14, vcc_lo
	global_store_b16 v[13:14], v34, off
	s_or_b32 exec_lo, exec_lo, s17
	s_and_saveexec_b32 s17, s7
	s_cbranch_execz .LBB686_295
.LBB686_354:
	v_sub_nc_u32_e32 v13, v53, v3
	v_mov_b32_e32 v14, 0
	s_delay_alu instid0(VALU_DEP_1) | instskip(NEXT) | instid1(VALU_DEP_1)
	v_lshlrev_b64 v[13:14], 1, v[13:14]
	v_add_co_u32 v13, vcc_lo, v6, v13
	s_delay_alu instid0(VALU_DEP_2)
	v_add_co_ci_u32_e32 v14, vcc_lo, v12, v14, vcc_lo
	global_store_b16 v[13:14], v54, off
	s_or_b32 exec_lo, exec_lo, s17
	s_and_saveexec_b32 s17, s6
	s_cbranch_execz .LBB686_296
.LBB686_355:
	v_sub_nc_u32_e32 v13, v57, v3
	v_mov_b32_e32 v14, 0
	s_delay_alu instid0(VALU_DEP_1) | instskip(NEXT) | instid1(VALU_DEP_1)
	v_lshlrev_b64 v[13:14], 1, v[13:14]
	v_add_co_u32 v13, vcc_lo, v6, v13
	s_delay_alu instid0(VALU_DEP_2)
	v_add_co_ci_u32_e32 v14, vcc_lo, v12, v14, vcc_lo
	global_store_b16 v[13:14], v58, off
	s_or_b32 exec_lo, exec_lo, s17
	s_and_saveexec_b32 s17, s5
	s_cbranch_execz .LBB686_297
.LBB686_356:
	v_sub_nc_u32_e32 v13, v45, v3
	v_mov_b32_e32 v14, 0
	s_delay_alu instid0(VALU_DEP_1) | instskip(NEXT) | instid1(VALU_DEP_1)
	v_lshlrev_b64 v[13:14], 1, v[13:14]
	v_add_co_u32 v13, vcc_lo, v6, v13
	s_delay_alu instid0(VALU_DEP_2)
	v_add_co_ci_u32_e32 v14, vcc_lo, v12, v14, vcc_lo
	global_store_b16 v[13:14], v46, off
	s_or_b32 exec_lo, exec_lo, s17
	s_and_saveexec_b32 s17, s4
	s_cbranch_execz .LBB686_298
.LBB686_357:
	v_sub_nc_u32_e32 v13, v43, v3
	v_mov_b32_e32 v14, 0
	s_delay_alu instid0(VALU_DEP_1) | instskip(NEXT) | instid1(VALU_DEP_1)
	v_lshlrev_b64 v[13:14], 1, v[13:14]
	v_add_co_u32 v13, vcc_lo, v6, v13
	s_delay_alu instid0(VALU_DEP_2)
	v_add_co_ci_u32_e32 v14, vcc_lo, v12, v14, vcc_lo
	global_store_b16 v[13:14], v44, off
	s_or_b32 exec_lo, exec_lo, s17
	s_and_saveexec_b32 s17, s3
	s_cbranch_execz .LBB686_299
.LBB686_358:
	v_sub_nc_u32_e32 v13, v37, v3
	v_mov_b32_e32 v14, 0
	s_delay_alu instid0(VALU_DEP_1) | instskip(NEXT) | instid1(VALU_DEP_1)
	v_lshlrev_b64 v[13:14], 1, v[13:14]
	v_add_co_u32 v13, vcc_lo, v6, v13
	s_delay_alu instid0(VALU_DEP_2)
	v_add_co_ci_u32_e32 v14, vcc_lo, v12, v14, vcc_lo
	global_store_b16 v[13:14], v38, off
	s_or_b32 exec_lo, exec_lo, s17
	s_and_saveexec_b32 s17, s2
	s_cbranch_execz .LBB686_300
.LBB686_359:
	v_sub_nc_u32_e32 v13, v41, v3
	v_mov_b32_e32 v14, 0
	s_delay_alu instid0(VALU_DEP_1) | instskip(NEXT) | instid1(VALU_DEP_1)
	v_lshlrev_b64 v[13:14], 1, v[13:14]
	v_add_co_u32 v13, vcc_lo, v6, v13
	s_delay_alu instid0(VALU_DEP_2)
	v_add_co_ci_u32_e32 v14, vcc_lo, v12, v14, vcc_lo
	global_store_b16 v[13:14], v42, off
	s_or_b32 exec_lo, exec_lo, s17
	s_and_saveexec_b32 s17, s1
	s_cbranch_execnz .LBB686_301
	s_branch .LBB686_302
.LBB686_360:
	v_sub_nc_u32_e32 v8, v55, v3
	s_delay_alu instid0(VALU_DEP_1)
	v_lshlrev_b32_e32 v8, 1, v8
	ds_store_b16 v8, v56
	s_or_b32 exec_lo, exec_lo, s17
	s_and_saveexec_b32 s14, s13
	s_cbranch_execz .LBB686_306
.LBB686_361:
	v_sub_nc_u32_e32 v8, v49, v3
	s_delay_alu instid0(VALU_DEP_1)
	v_lshlrev_b32_e32 v8, 1, v8
	ds_store_b16 v8, v50
	s_or_b32 exec_lo, exec_lo, s14
	s_and_saveexec_b32 s13, s12
	s_cbranch_execz .LBB686_307
.LBB686_362:
	v_sub_nc_u32_e32 v8, v51, v3
	s_delay_alu instid0(VALU_DEP_1)
	v_lshlrev_b32_e32 v8, 1, v8
	ds_store_b16 v8, v52
	s_or_b32 exec_lo, exec_lo, s13
	s_and_saveexec_b32 s12, s11
	s_cbranch_execz .LBB686_308
.LBB686_363:
	v_sub_nc_u32_e32 v8, v47, v3
	s_delay_alu instid0(VALU_DEP_1)
	v_lshlrev_b32_e32 v8, 1, v8
	ds_store_b16 v8, v48
	s_or_b32 exec_lo, exec_lo, s12
	s_and_saveexec_b32 s11, s10
	s_cbranch_execz .LBB686_309
.LBB686_364:
	v_sub_nc_u32_e32 v8, v35, v3
	s_delay_alu instid0(VALU_DEP_1)
	v_lshlrev_b32_e32 v8, 1, v8
	ds_store_b16 v8, v36
	s_or_b32 exec_lo, exec_lo, s11
	s_and_saveexec_b32 s10, s9
	s_cbranch_execz .LBB686_310
.LBB686_365:
	v_sub_nc_u32_e32 v8, v31, v3
	s_delay_alu instid0(VALU_DEP_1)
	v_lshlrev_b32_e32 v8, 1, v8
	ds_store_b16 v8, v32
	s_or_b32 exec_lo, exec_lo, s10
	s_and_saveexec_b32 s9, s8
	s_cbranch_execz .LBB686_311
.LBB686_366:
	v_sub_nc_u32_e32 v8, v33, v3
	s_delay_alu instid0(VALU_DEP_1)
	v_lshlrev_b32_e32 v8, 1, v8
	ds_store_b16 v8, v34
	s_or_b32 exec_lo, exec_lo, s9
	s_and_saveexec_b32 s8, s7
	s_cbranch_execz .LBB686_312
.LBB686_367:
	v_sub_nc_u32_e32 v8, v53, v3
	s_delay_alu instid0(VALU_DEP_1)
	v_lshlrev_b32_e32 v8, 1, v8
	ds_store_b16 v8, v54
	s_or_b32 exec_lo, exec_lo, s8
	s_and_saveexec_b32 s7, s6
	s_cbranch_execz .LBB686_313
.LBB686_368:
	v_sub_nc_u32_e32 v8, v57, v3
	s_delay_alu instid0(VALU_DEP_1)
	v_lshlrev_b32_e32 v8, 1, v8
	ds_store_b16 v8, v58
	s_or_b32 exec_lo, exec_lo, s7
	s_and_saveexec_b32 s6, s5
	s_cbranch_execz .LBB686_314
.LBB686_369:
	v_sub_nc_u32_e32 v8, v45, v3
	s_delay_alu instid0(VALU_DEP_1)
	v_lshlrev_b32_e32 v8, 1, v8
	ds_store_b16 v8, v46
	s_or_b32 exec_lo, exec_lo, s6
	s_and_saveexec_b32 s5, s4
	s_cbranch_execz .LBB686_315
.LBB686_370:
	v_sub_nc_u32_e32 v8, v43, v3
	s_delay_alu instid0(VALU_DEP_1)
	v_lshlrev_b32_e32 v8, 1, v8
	ds_store_b16 v8, v44
	s_or_b32 exec_lo, exec_lo, s5
	s_and_saveexec_b32 s4, s3
	s_cbranch_execz .LBB686_316
.LBB686_371:
	v_sub_nc_u32_e32 v8, v37, v3
	s_delay_alu instid0(VALU_DEP_1)
	v_lshlrev_b32_e32 v8, 1, v8
	ds_store_b16 v8, v38
	s_or_b32 exec_lo, exec_lo, s4
	s_and_saveexec_b32 s3, s2
	s_cbranch_execz .LBB686_317
.LBB686_372:
	v_sub_nc_u32_e32 v8, v41, v3
	s_delay_alu instid0(VALU_DEP_1)
	v_lshlrev_b32_e32 v8, 1, v8
	ds_store_b16 v8, v42
	s_or_b32 exec_lo, exec_lo, s3
	s_and_saveexec_b32 s2, s1
	s_cbranch_execnz .LBB686_318
	s_branch .LBB686_319
	.section	.rodata,"a",@progbits
	.p2align	6, 0x0
	.amdhsa_kernel _ZN7rocprim17ROCPRIM_400000_NS6detail17trampoline_kernelINS0_14default_configENS1_29reduce_by_key_config_selectorIssN6thrust23THRUST_200600_302600_NS4plusIsEEEEZZNS1_33reduce_by_key_impl_wrapped_configILNS1_25lookback_scan_determinismE0ES3_S9_NS6_6detail15normal_iteratorINS6_10device_ptrIsEEEESG_SG_SG_PmS8_22is_equal_div_10_reduceIsEEE10hipError_tPvRmT2_T3_mT4_T5_T6_T7_T8_P12ihipStream_tbENKUlT_T0_E_clISt17integral_constantIbLb1EES10_IbLb0EEEEDaSW_SX_EUlSW_E_NS1_11comp_targetILNS1_3genE9ELNS1_11target_archE1100ELNS1_3gpuE3ELNS1_3repE0EEENS1_30default_config_static_selectorELNS0_4arch9wavefront6targetE0EEEvT1_
		.amdhsa_group_segment_fixed_size 7680
		.amdhsa_private_segment_fixed_size 0
		.amdhsa_kernarg_size 120
		.amdhsa_user_sgpr_count 15
		.amdhsa_user_sgpr_dispatch_ptr 0
		.amdhsa_user_sgpr_queue_ptr 0
		.amdhsa_user_sgpr_kernarg_segment_ptr 1
		.amdhsa_user_sgpr_dispatch_id 0
		.amdhsa_user_sgpr_private_segment_size 0
		.amdhsa_wavefront_size32 1
		.amdhsa_uses_dynamic_stack 0
		.amdhsa_enable_private_segment 0
		.amdhsa_system_sgpr_workgroup_id_x 1
		.amdhsa_system_sgpr_workgroup_id_y 0
		.amdhsa_system_sgpr_workgroup_id_z 0
		.amdhsa_system_sgpr_workgroup_info 0
		.amdhsa_system_vgpr_workitem_id 0
		.amdhsa_next_free_vgpr 102
		.amdhsa_next_free_sgpr 44
		.amdhsa_reserve_vcc 1
		.amdhsa_float_round_mode_32 0
		.amdhsa_float_round_mode_16_64 0
		.amdhsa_float_denorm_mode_32 3
		.amdhsa_float_denorm_mode_16_64 3
		.amdhsa_dx10_clamp 1
		.amdhsa_ieee_mode 1
		.amdhsa_fp16_overflow 0
		.amdhsa_workgroup_processor_mode 1
		.amdhsa_memory_ordered 1
		.amdhsa_forward_progress 0
		.amdhsa_shared_vgpr_count 0
		.amdhsa_exception_fp_ieee_invalid_op 0
		.amdhsa_exception_fp_denorm_src 0
		.amdhsa_exception_fp_ieee_div_zero 0
		.amdhsa_exception_fp_ieee_overflow 0
		.amdhsa_exception_fp_ieee_underflow 0
		.amdhsa_exception_fp_ieee_inexact 0
		.amdhsa_exception_int_div_zero 0
	.end_amdhsa_kernel
	.section	.text._ZN7rocprim17ROCPRIM_400000_NS6detail17trampoline_kernelINS0_14default_configENS1_29reduce_by_key_config_selectorIssN6thrust23THRUST_200600_302600_NS4plusIsEEEEZZNS1_33reduce_by_key_impl_wrapped_configILNS1_25lookback_scan_determinismE0ES3_S9_NS6_6detail15normal_iteratorINS6_10device_ptrIsEEEESG_SG_SG_PmS8_22is_equal_div_10_reduceIsEEE10hipError_tPvRmT2_T3_mT4_T5_T6_T7_T8_P12ihipStream_tbENKUlT_T0_E_clISt17integral_constantIbLb1EES10_IbLb0EEEEDaSW_SX_EUlSW_E_NS1_11comp_targetILNS1_3genE9ELNS1_11target_archE1100ELNS1_3gpuE3ELNS1_3repE0EEENS1_30default_config_static_selectorELNS0_4arch9wavefront6targetE0EEEvT1_,"axG",@progbits,_ZN7rocprim17ROCPRIM_400000_NS6detail17trampoline_kernelINS0_14default_configENS1_29reduce_by_key_config_selectorIssN6thrust23THRUST_200600_302600_NS4plusIsEEEEZZNS1_33reduce_by_key_impl_wrapped_configILNS1_25lookback_scan_determinismE0ES3_S9_NS6_6detail15normal_iteratorINS6_10device_ptrIsEEEESG_SG_SG_PmS8_22is_equal_div_10_reduceIsEEE10hipError_tPvRmT2_T3_mT4_T5_T6_T7_T8_P12ihipStream_tbENKUlT_T0_E_clISt17integral_constantIbLb1EES10_IbLb0EEEEDaSW_SX_EUlSW_E_NS1_11comp_targetILNS1_3genE9ELNS1_11target_archE1100ELNS1_3gpuE3ELNS1_3repE0EEENS1_30default_config_static_selectorELNS0_4arch9wavefront6targetE0EEEvT1_,comdat
.Lfunc_end686:
	.size	_ZN7rocprim17ROCPRIM_400000_NS6detail17trampoline_kernelINS0_14default_configENS1_29reduce_by_key_config_selectorIssN6thrust23THRUST_200600_302600_NS4plusIsEEEEZZNS1_33reduce_by_key_impl_wrapped_configILNS1_25lookback_scan_determinismE0ES3_S9_NS6_6detail15normal_iteratorINS6_10device_ptrIsEEEESG_SG_SG_PmS8_22is_equal_div_10_reduceIsEEE10hipError_tPvRmT2_T3_mT4_T5_T6_T7_T8_P12ihipStream_tbENKUlT_T0_E_clISt17integral_constantIbLb1EES10_IbLb0EEEEDaSW_SX_EUlSW_E_NS1_11comp_targetILNS1_3genE9ELNS1_11target_archE1100ELNS1_3gpuE3ELNS1_3repE0EEENS1_30default_config_static_selectorELNS0_4arch9wavefront6targetE0EEEvT1_, .Lfunc_end686-_ZN7rocprim17ROCPRIM_400000_NS6detail17trampoline_kernelINS0_14default_configENS1_29reduce_by_key_config_selectorIssN6thrust23THRUST_200600_302600_NS4plusIsEEEEZZNS1_33reduce_by_key_impl_wrapped_configILNS1_25lookback_scan_determinismE0ES3_S9_NS6_6detail15normal_iteratorINS6_10device_ptrIsEEEESG_SG_SG_PmS8_22is_equal_div_10_reduceIsEEE10hipError_tPvRmT2_T3_mT4_T5_T6_T7_T8_P12ihipStream_tbENKUlT_T0_E_clISt17integral_constantIbLb1EES10_IbLb0EEEEDaSW_SX_EUlSW_E_NS1_11comp_targetILNS1_3genE9ELNS1_11target_archE1100ELNS1_3gpuE3ELNS1_3repE0EEENS1_30default_config_static_selectorELNS0_4arch9wavefront6targetE0EEEvT1_
                                        ; -- End function
	.section	.AMDGPU.csdata,"",@progbits
; Kernel info:
; codeLenInByte = 24652
; NumSgprs: 46
; NumVgprs: 102
; ScratchSize: 0
; MemoryBound: 0
; FloatMode: 240
; IeeeMode: 1
; LDSByteSize: 7680 bytes/workgroup (compile time only)
; SGPRBlocks: 5
; VGPRBlocks: 12
; NumSGPRsForWavesPerEU: 46
; NumVGPRsForWavesPerEU: 102
; Occupancy: 12
; WaveLimiterHint : 1
; COMPUTE_PGM_RSRC2:SCRATCH_EN: 0
; COMPUTE_PGM_RSRC2:USER_SGPR: 15
; COMPUTE_PGM_RSRC2:TRAP_HANDLER: 0
; COMPUTE_PGM_RSRC2:TGID_X_EN: 1
; COMPUTE_PGM_RSRC2:TGID_Y_EN: 0
; COMPUTE_PGM_RSRC2:TGID_Z_EN: 0
; COMPUTE_PGM_RSRC2:TIDIG_COMP_CNT: 0
	.section	.text._ZN7rocprim17ROCPRIM_400000_NS6detail17trampoline_kernelINS0_14default_configENS1_29reduce_by_key_config_selectorIssN6thrust23THRUST_200600_302600_NS4plusIsEEEEZZNS1_33reduce_by_key_impl_wrapped_configILNS1_25lookback_scan_determinismE0ES3_S9_NS6_6detail15normal_iteratorINS6_10device_ptrIsEEEESG_SG_SG_PmS8_22is_equal_div_10_reduceIsEEE10hipError_tPvRmT2_T3_mT4_T5_T6_T7_T8_P12ihipStream_tbENKUlT_T0_E_clISt17integral_constantIbLb1EES10_IbLb0EEEEDaSW_SX_EUlSW_E_NS1_11comp_targetILNS1_3genE8ELNS1_11target_archE1030ELNS1_3gpuE2ELNS1_3repE0EEENS1_30default_config_static_selectorELNS0_4arch9wavefront6targetE0EEEvT1_,"axG",@progbits,_ZN7rocprim17ROCPRIM_400000_NS6detail17trampoline_kernelINS0_14default_configENS1_29reduce_by_key_config_selectorIssN6thrust23THRUST_200600_302600_NS4plusIsEEEEZZNS1_33reduce_by_key_impl_wrapped_configILNS1_25lookback_scan_determinismE0ES3_S9_NS6_6detail15normal_iteratorINS6_10device_ptrIsEEEESG_SG_SG_PmS8_22is_equal_div_10_reduceIsEEE10hipError_tPvRmT2_T3_mT4_T5_T6_T7_T8_P12ihipStream_tbENKUlT_T0_E_clISt17integral_constantIbLb1EES10_IbLb0EEEEDaSW_SX_EUlSW_E_NS1_11comp_targetILNS1_3genE8ELNS1_11target_archE1030ELNS1_3gpuE2ELNS1_3repE0EEENS1_30default_config_static_selectorELNS0_4arch9wavefront6targetE0EEEvT1_,comdat
	.protected	_ZN7rocprim17ROCPRIM_400000_NS6detail17trampoline_kernelINS0_14default_configENS1_29reduce_by_key_config_selectorIssN6thrust23THRUST_200600_302600_NS4plusIsEEEEZZNS1_33reduce_by_key_impl_wrapped_configILNS1_25lookback_scan_determinismE0ES3_S9_NS6_6detail15normal_iteratorINS6_10device_ptrIsEEEESG_SG_SG_PmS8_22is_equal_div_10_reduceIsEEE10hipError_tPvRmT2_T3_mT4_T5_T6_T7_T8_P12ihipStream_tbENKUlT_T0_E_clISt17integral_constantIbLb1EES10_IbLb0EEEEDaSW_SX_EUlSW_E_NS1_11comp_targetILNS1_3genE8ELNS1_11target_archE1030ELNS1_3gpuE2ELNS1_3repE0EEENS1_30default_config_static_selectorELNS0_4arch9wavefront6targetE0EEEvT1_ ; -- Begin function _ZN7rocprim17ROCPRIM_400000_NS6detail17trampoline_kernelINS0_14default_configENS1_29reduce_by_key_config_selectorIssN6thrust23THRUST_200600_302600_NS4plusIsEEEEZZNS1_33reduce_by_key_impl_wrapped_configILNS1_25lookback_scan_determinismE0ES3_S9_NS6_6detail15normal_iteratorINS6_10device_ptrIsEEEESG_SG_SG_PmS8_22is_equal_div_10_reduceIsEEE10hipError_tPvRmT2_T3_mT4_T5_T6_T7_T8_P12ihipStream_tbENKUlT_T0_E_clISt17integral_constantIbLb1EES10_IbLb0EEEEDaSW_SX_EUlSW_E_NS1_11comp_targetILNS1_3genE8ELNS1_11target_archE1030ELNS1_3gpuE2ELNS1_3repE0EEENS1_30default_config_static_selectorELNS0_4arch9wavefront6targetE0EEEvT1_
	.globl	_ZN7rocprim17ROCPRIM_400000_NS6detail17trampoline_kernelINS0_14default_configENS1_29reduce_by_key_config_selectorIssN6thrust23THRUST_200600_302600_NS4plusIsEEEEZZNS1_33reduce_by_key_impl_wrapped_configILNS1_25lookback_scan_determinismE0ES3_S9_NS6_6detail15normal_iteratorINS6_10device_ptrIsEEEESG_SG_SG_PmS8_22is_equal_div_10_reduceIsEEE10hipError_tPvRmT2_T3_mT4_T5_T6_T7_T8_P12ihipStream_tbENKUlT_T0_E_clISt17integral_constantIbLb1EES10_IbLb0EEEEDaSW_SX_EUlSW_E_NS1_11comp_targetILNS1_3genE8ELNS1_11target_archE1030ELNS1_3gpuE2ELNS1_3repE0EEENS1_30default_config_static_selectorELNS0_4arch9wavefront6targetE0EEEvT1_
	.p2align	8
	.type	_ZN7rocprim17ROCPRIM_400000_NS6detail17trampoline_kernelINS0_14default_configENS1_29reduce_by_key_config_selectorIssN6thrust23THRUST_200600_302600_NS4plusIsEEEEZZNS1_33reduce_by_key_impl_wrapped_configILNS1_25lookback_scan_determinismE0ES3_S9_NS6_6detail15normal_iteratorINS6_10device_ptrIsEEEESG_SG_SG_PmS8_22is_equal_div_10_reduceIsEEE10hipError_tPvRmT2_T3_mT4_T5_T6_T7_T8_P12ihipStream_tbENKUlT_T0_E_clISt17integral_constantIbLb1EES10_IbLb0EEEEDaSW_SX_EUlSW_E_NS1_11comp_targetILNS1_3genE8ELNS1_11target_archE1030ELNS1_3gpuE2ELNS1_3repE0EEENS1_30default_config_static_selectorELNS0_4arch9wavefront6targetE0EEEvT1_,@function
_ZN7rocprim17ROCPRIM_400000_NS6detail17trampoline_kernelINS0_14default_configENS1_29reduce_by_key_config_selectorIssN6thrust23THRUST_200600_302600_NS4plusIsEEEEZZNS1_33reduce_by_key_impl_wrapped_configILNS1_25lookback_scan_determinismE0ES3_S9_NS6_6detail15normal_iteratorINS6_10device_ptrIsEEEESG_SG_SG_PmS8_22is_equal_div_10_reduceIsEEE10hipError_tPvRmT2_T3_mT4_T5_T6_T7_T8_P12ihipStream_tbENKUlT_T0_E_clISt17integral_constantIbLb1EES10_IbLb0EEEEDaSW_SX_EUlSW_E_NS1_11comp_targetILNS1_3genE8ELNS1_11target_archE1030ELNS1_3gpuE2ELNS1_3repE0EEENS1_30default_config_static_selectorELNS0_4arch9wavefront6targetE0EEEvT1_: ; @_ZN7rocprim17ROCPRIM_400000_NS6detail17trampoline_kernelINS0_14default_configENS1_29reduce_by_key_config_selectorIssN6thrust23THRUST_200600_302600_NS4plusIsEEEEZZNS1_33reduce_by_key_impl_wrapped_configILNS1_25lookback_scan_determinismE0ES3_S9_NS6_6detail15normal_iteratorINS6_10device_ptrIsEEEESG_SG_SG_PmS8_22is_equal_div_10_reduceIsEEE10hipError_tPvRmT2_T3_mT4_T5_T6_T7_T8_P12ihipStream_tbENKUlT_T0_E_clISt17integral_constantIbLb1EES10_IbLb0EEEEDaSW_SX_EUlSW_E_NS1_11comp_targetILNS1_3genE8ELNS1_11target_archE1030ELNS1_3gpuE2ELNS1_3repE0EEENS1_30default_config_static_selectorELNS0_4arch9wavefront6targetE0EEEvT1_
; %bb.0:
	.section	.rodata,"a",@progbits
	.p2align	6, 0x0
	.amdhsa_kernel _ZN7rocprim17ROCPRIM_400000_NS6detail17trampoline_kernelINS0_14default_configENS1_29reduce_by_key_config_selectorIssN6thrust23THRUST_200600_302600_NS4plusIsEEEEZZNS1_33reduce_by_key_impl_wrapped_configILNS1_25lookback_scan_determinismE0ES3_S9_NS6_6detail15normal_iteratorINS6_10device_ptrIsEEEESG_SG_SG_PmS8_22is_equal_div_10_reduceIsEEE10hipError_tPvRmT2_T3_mT4_T5_T6_T7_T8_P12ihipStream_tbENKUlT_T0_E_clISt17integral_constantIbLb1EES10_IbLb0EEEEDaSW_SX_EUlSW_E_NS1_11comp_targetILNS1_3genE8ELNS1_11target_archE1030ELNS1_3gpuE2ELNS1_3repE0EEENS1_30default_config_static_selectorELNS0_4arch9wavefront6targetE0EEEvT1_
		.amdhsa_group_segment_fixed_size 0
		.amdhsa_private_segment_fixed_size 0
		.amdhsa_kernarg_size 120
		.amdhsa_user_sgpr_count 15
		.amdhsa_user_sgpr_dispatch_ptr 0
		.amdhsa_user_sgpr_queue_ptr 0
		.amdhsa_user_sgpr_kernarg_segment_ptr 1
		.amdhsa_user_sgpr_dispatch_id 0
		.amdhsa_user_sgpr_private_segment_size 0
		.amdhsa_wavefront_size32 1
		.amdhsa_uses_dynamic_stack 0
		.amdhsa_enable_private_segment 0
		.amdhsa_system_sgpr_workgroup_id_x 1
		.amdhsa_system_sgpr_workgroup_id_y 0
		.amdhsa_system_sgpr_workgroup_id_z 0
		.amdhsa_system_sgpr_workgroup_info 0
		.amdhsa_system_vgpr_workitem_id 0
		.amdhsa_next_free_vgpr 1
		.amdhsa_next_free_sgpr 1
		.amdhsa_reserve_vcc 0
		.amdhsa_float_round_mode_32 0
		.amdhsa_float_round_mode_16_64 0
		.amdhsa_float_denorm_mode_32 3
		.amdhsa_float_denorm_mode_16_64 3
		.amdhsa_dx10_clamp 1
		.amdhsa_ieee_mode 1
		.amdhsa_fp16_overflow 0
		.amdhsa_workgroup_processor_mode 1
		.amdhsa_memory_ordered 1
		.amdhsa_forward_progress 0
		.amdhsa_shared_vgpr_count 0
		.amdhsa_exception_fp_ieee_invalid_op 0
		.amdhsa_exception_fp_denorm_src 0
		.amdhsa_exception_fp_ieee_div_zero 0
		.amdhsa_exception_fp_ieee_overflow 0
		.amdhsa_exception_fp_ieee_underflow 0
		.amdhsa_exception_fp_ieee_inexact 0
		.amdhsa_exception_int_div_zero 0
	.end_amdhsa_kernel
	.section	.text._ZN7rocprim17ROCPRIM_400000_NS6detail17trampoline_kernelINS0_14default_configENS1_29reduce_by_key_config_selectorIssN6thrust23THRUST_200600_302600_NS4plusIsEEEEZZNS1_33reduce_by_key_impl_wrapped_configILNS1_25lookback_scan_determinismE0ES3_S9_NS6_6detail15normal_iteratorINS6_10device_ptrIsEEEESG_SG_SG_PmS8_22is_equal_div_10_reduceIsEEE10hipError_tPvRmT2_T3_mT4_T5_T6_T7_T8_P12ihipStream_tbENKUlT_T0_E_clISt17integral_constantIbLb1EES10_IbLb0EEEEDaSW_SX_EUlSW_E_NS1_11comp_targetILNS1_3genE8ELNS1_11target_archE1030ELNS1_3gpuE2ELNS1_3repE0EEENS1_30default_config_static_selectorELNS0_4arch9wavefront6targetE0EEEvT1_,"axG",@progbits,_ZN7rocprim17ROCPRIM_400000_NS6detail17trampoline_kernelINS0_14default_configENS1_29reduce_by_key_config_selectorIssN6thrust23THRUST_200600_302600_NS4plusIsEEEEZZNS1_33reduce_by_key_impl_wrapped_configILNS1_25lookback_scan_determinismE0ES3_S9_NS6_6detail15normal_iteratorINS6_10device_ptrIsEEEESG_SG_SG_PmS8_22is_equal_div_10_reduceIsEEE10hipError_tPvRmT2_T3_mT4_T5_T6_T7_T8_P12ihipStream_tbENKUlT_T0_E_clISt17integral_constantIbLb1EES10_IbLb0EEEEDaSW_SX_EUlSW_E_NS1_11comp_targetILNS1_3genE8ELNS1_11target_archE1030ELNS1_3gpuE2ELNS1_3repE0EEENS1_30default_config_static_selectorELNS0_4arch9wavefront6targetE0EEEvT1_,comdat
.Lfunc_end687:
	.size	_ZN7rocprim17ROCPRIM_400000_NS6detail17trampoline_kernelINS0_14default_configENS1_29reduce_by_key_config_selectorIssN6thrust23THRUST_200600_302600_NS4plusIsEEEEZZNS1_33reduce_by_key_impl_wrapped_configILNS1_25lookback_scan_determinismE0ES3_S9_NS6_6detail15normal_iteratorINS6_10device_ptrIsEEEESG_SG_SG_PmS8_22is_equal_div_10_reduceIsEEE10hipError_tPvRmT2_T3_mT4_T5_T6_T7_T8_P12ihipStream_tbENKUlT_T0_E_clISt17integral_constantIbLb1EES10_IbLb0EEEEDaSW_SX_EUlSW_E_NS1_11comp_targetILNS1_3genE8ELNS1_11target_archE1030ELNS1_3gpuE2ELNS1_3repE0EEENS1_30default_config_static_selectorELNS0_4arch9wavefront6targetE0EEEvT1_, .Lfunc_end687-_ZN7rocprim17ROCPRIM_400000_NS6detail17trampoline_kernelINS0_14default_configENS1_29reduce_by_key_config_selectorIssN6thrust23THRUST_200600_302600_NS4plusIsEEEEZZNS1_33reduce_by_key_impl_wrapped_configILNS1_25lookback_scan_determinismE0ES3_S9_NS6_6detail15normal_iteratorINS6_10device_ptrIsEEEESG_SG_SG_PmS8_22is_equal_div_10_reduceIsEEE10hipError_tPvRmT2_T3_mT4_T5_T6_T7_T8_P12ihipStream_tbENKUlT_T0_E_clISt17integral_constantIbLb1EES10_IbLb0EEEEDaSW_SX_EUlSW_E_NS1_11comp_targetILNS1_3genE8ELNS1_11target_archE1030ELNS1_3gpuE2ELNS1_3repE0EEENS1_30default_config_static_selectorELNS0_4arch9wavefront6targetE0EEEvT1_
                                        ; -- End function
	.section	.AMDGPU.csdata,"",@progbits
; Kernel info:
; codeLenInByte = 0
; NumSgprs: 0
; NumVgprs: 0
; ScratchSize: 0
; MemoryBound: 0
; FloatMode: 240
; IeeeMode: 1
; LDSByteSize: 0 bytes/workgroup (compile time only)
; SGPRBlocks: 0
; VGPRBlocks: 0
; NumSGPRsForWavesPerEU: 1
; NumVGPRsForWavesPerEU: 1
; Occupancy: 16
; WaveLimiterHint : 0
; COMPUTE_PGM_RSRC2:SCRATCH_EN: 0
; COMPUTE_PGM_RSRC2:USER_SGPR: 15
; COMPUTE_PGM_RSRC2:TRAP_HANDLER: 0
; COMPUTE_PGM_RSRC2:TGID_X_EN: 1
; COMPUTE_PGM_RSRC2:TGID_Y_EN: 0
; COMPUTE_PGM_RSRC2:TGID_Z_EN: 0
; COMPUTE_PGM_RSRC2:TIDIG_COMP_CNT: 0
	.section	.text._ZN7rocprim17ROCPRIM_400000_NS6detail17trampoline_kernelINS0_14default_configENS1_29reduce_by_key_config_selectorIssN6thrust23THRUST_200600_302600_NS4plusIsEEEEZZNS1_33reduce_by_key_impl_wrapped_configILNS1_25lookback_scan_determinismE0ES3_S9_NS6_6detail15normal_iteratorINS6_10device_ptrIsEEEESG_SG_SG_PmS8_22is_equal_div_10_reduceIsEEE10hipError_tPvRmT2_T3_mT4_T5_T6_T7_T8_P12ihipStream_tbENKUlT_T0_E_clISt17integral_constantIbLb0EES10_IbLb1EEEEDaSW_SX_EUlSW_E_NS1_11comp_targetILNS1_3genE0ELNS1_11target_archE4294967295ELNS1_3gpuE0ELNS1_3repE0EEENS1_30default_config_static_selectorELNS0_4arch9wavefront6targetE0EEEvT1_,"axG",@progbits,_ZN7rocprim17ROCPRIM_400000_NS6detail17trampoline_kernelINS0_14default_configENS1_29reduce_by_key_config_selectorIssN6thrust23THRUST_200600_302600_NS4plusIsEEEEZZNS1_33reduce_by_key_impl_wrapped_configILNS1_25lookback_scan_determinismE0ES3_S9_NS6_6detail15normal_iteratorINS6_10device_ptrIsEEEESG_SG_SG_PmS8_22is_equal_div_10_reduceIsEEE10hipError_tPvRmT2_T3_mT4_T5_T6_T7_T8_P12ihipStream_tbENKUlT_T0_E_clISt17integral_constantIbLb0EES10_IbLb1EEEEDaSW_SX_EUlSW_E_NS1_11comp_targetILNS1_3genE0ELNS1_11target_archE4294967295ELNS1_3gpuE0ELNS1_3repE0EEENS1_30default_config_static_selectorELNS0_4arch9wavefront6targetE0EEEvT1_,comdat
	.protected	_ZN7rocprim17ROCPRIM_400000_NS6detail17trampoline_kernelINS0_14default_configENS1_29reduce_by_key_config_selectorIssN6thrust23THRUST_200600_302600_NS4plusIsEEEEZZNS1_33reduce_by_key_impl_wrapped_configILNS1_25lookback_scan_determinismE0ES3_S9_NS6_6detail15normal_iteratorINS6_10device_ptrIsEEEESG_SG_SG_PmS8_22is_equal_div_10_reduceIsEEE10hipError_tPvRmT2_T3_mT4_T5_T6_T7_T8_P12ihipStream_tbENKUlT_T0_E_clISt17integral_constantIbLb0EES10_IbLb1EEEEDaSW_SX_EUlSW_E_NS1_11comp_targetILNS1_3genE0ELNS1_11target_archE4294967295ELNS1_3gpuE0ELNS1_3repE0EEENS1_30default_config_static_selectorELNS0_4arch9wavefront6targetE0EEEvT1_ ; -- Begin function _ZN7rocprim17ROCPRIM_400000_NS6detail17trampoline_kernelINS0_14default_configENS1_29reduce_by_key_config_selectorIssN6thrust23THRUST_200600_302600_NS4plusIsEEEEZZNS1_33reduce_by_key_impl_wrapped_configILNS1_25lookback_scan_determinismE0ES3_S9_NS6_6detail15normal_iteratorINS6_10device_ptrIsEEEESG_SG_SG_PmS8_22is_equal_div_10_reduceIsEEE10hipError_tPvRmT2_T3_mT4_T5_T6_T7_T8_P12ihipStream_tbENKUlT_T0_E_clISt17integral_constantIbLb0EES10_IbLb1EEEEDaSW_SX_EUlSW_E_NS1_11comp_targetILNS1_3genE0ELNS1_11target_archE4294967295ELNS1_3gpuE0ELNS1_3repE0EEENS1_30default_config_static_selectorELNS0_4arch9wavefront6targetE0EEEvT1_
	.globl	_ZN7rocprim17ROCPRIM_400000_NS6detail17trampoline_kernelINS0_14default_configENS1_29reduce_by_key_config_selectorIssN6thrust23THRUST_200600_302600_NS4plusIsEEEEZZNS1_33reduce_by_key_impl_wrapped_configILNS1_25lookback_scan_determinismE0ES3_S9_NS6_6detail15normal_iteratorINS6_10device_ptrIsEEEESG_SG_SG_PmS8_22is_equal_div_10_reduceIsEEE10hipError_tPvRmT2_T3_mT4_T5_T6_T7_T8_P12ihipStream_tbENKUlT_T0_E_clISt17integral_constantIbLb0EES10_IbLb1EEEEDaSW_SX_EUlSW_E_NS1_11comp_targetILNS1_3genE0ELNS1_11target_archE4294967295ELNS1_3gpuE0ELNS1_3repE0EEENS1_30default_config_static_selectorELNS0_4arch9wavefront6targetE0EEEvT1_
	.p2align	8
	.type	_ZN7rocprim17ROCPRIM_400000_NS6detail17trampoline_kernelINS0_14default_configENS1_29reduce_by_key_config_selectorIssN6thrust23THRUST_200600_302600_NS4plusIsEEEEZZNS1_33reduce_by_key_impl_wrapped_configILNS1_25lookback_scan_determinismE0ES3_S9_NS6_6detail15normal_iteratorINS6_10device_ptrIsEEEESG_SG_SG_PmS8_22is_equal_div_10_reduceIsEEE10hipError_tPvRmT2_T3_mT4_T5_T6_T7_T8_P12ihipStream_tbENKUlT_T0_E_clISt17integral_constantIbLb0EES10_IbLb1EEEEDaSW_SX_EUlSW_E_NS1_11comp_targetILNS1_3genE0ELNS1_11target_archE4294967295ELNS1_3gpuE0ELNS1_3repE0EEENS1_30default_config_static_selectorELNS0_4arch9wavefront6targetE0EEEvT1_,@function
_ZN7rocprim17ROCPRIM_400000_NS6detail17trampoline_kernelINS0_14default_configENS1_29reduce_by_key_config_selectorIssN6thrust23THRUST_200600_302600_NS4plusIsEEEEZZNS1_33reduce_by_key_impl_wrapped_configILNS1_25lookback_scan_determinismE0ES3_S9_NS6_6detail15normal_iteratorINS6_10device_ptrIsEEEESG_SG_SG_PmS8_22is_equal_div_10_reduceIsEEE10hipError_tPvRmT2_T3_mT4_T5_T6_T7_T8_P12ihipStream_tbENKUlT_T0_E_clISt17integral_constantIbLb0EES10_IbLb1EEEEDaSW_SX_EUlSW_E_NS1_11comp_targetILNS1_3genE0ELNS1_11target_archE4294967295ELNS1_3gpuE0ELNS1_3repE0EEENS1_30default_config_static_selectorELNS0_4arch9wavefront6targetE0EEEvT1_: ; @_ZN7rocprim17ROCPRIM_400000_NS6detail17trampoline_kernelINS0_14default_configENS1_29reduce_by_key_config_selectorIssN6thrust23THRUST_200600_302600_NS4plusIsEEEEZZNS1_33reduce_by_key_impl_wrapped_configILNS1_25lookback_scan_determinismE0ES3_S9_NS6_6detail15normal_iteratorINS6_10device_ptrIsEEEESG_SG_SG_PmS8_22is_equal_div_10_reduceIsEEE10hipError_tPvRmT2_T3_mT4_T5_T6_T7_T8_P12ihipStream_tbENKUlT_T0_E_clISt17integral_constantIbLb0EES10_IbLb1EEEEDaSW_SX_EUlSW_E_NS1_11comp_targetILNS1_3genE0ELNS1_11target_archE4294967295ELNS1_3gpuE0ELNS1_3repE0EEENS1_30default_config_static_selectorELNS0_4arch9wavefront6targetE0EEEvT1_
; %bb.0:
	.section	.rodata,"a",@progbits
	.p2align	6, 0x0
	.amdhsa_kernel _ZN7rocprim17ROCPRIM_400000_NS6detail17trampoline_kernelINS0_14default_configENS1_29reduce_by_key_config_selectorIssN6thrust23THRUST_200600_302600_NS4plusIsEEEEZZNS1_33reduce_by_key_impl_wrapped_configILNS1_25lookback_scan_determinismE0ES3_S9_NS6_6detail15normal_iteratorINS6_10device_ptrIsEEEESG_SG_SG_PmS8_22is_equal_div_10_reduceIsEEE10hipError_tPvRmT2_T3_mT4_T5_T6_T7_T8_P12ihipStream_tbENKUlT_T0_E_clISt17integral_constantIbLb0EES10_IbLb1EEEEDaSW_SX_EUlSW_E_NS1_11comp_targetILNS1_3genE0ELNS1_11target_archE4294967295ELNS1_3gpuE0ELNS1_3repE0EEENS1_30default_config_static_selectorELNS0_4arch9wavefront6targetE0EEEvT1_
		.amdhsa_group_segment_fixed_size 0
		.amdhsa_private_segment_fixed_size 0
		.amdhsa_kernarg_size 120
		.amdhsa_user_sgpr_count 15
		.amdhsa_user_sgpr_dispatch_ptr 0
		.amdhsa_user_sgpr_queue_ptr 0
		.amdhsa_user_sgpr_kernarg_segment_ptr 1
		.amdhsa_user_sgpr_dispatch_id 0
		.amdhsa_user_sgpr_private_segment_size 0
		.amdhsa_wavefront_size32 1
		.amdhsa_uses_dynamic_stack 0
		.amdhsa_enable_private_segment 0
		.amdhsa_system_sgpr_workgroup_id_x 1
		.amdhsa_system_sgpr_workgroup_id_y 0
		.amdhsa_system_sgpr_workgroup_id_z 0
		.amdhsa_system_sgpr_workgroup_info 0
		.amdhsa_system_vgpr_workitem_id 0
		.amdhsa_next_free_vgpr 1
		.amdhsa_next_free_sgpr 1
		.amdhsa_reserve_vcc 0
		.amdhsa_float_round_mode_32 0
		.amdhsa_float_round_mode_16_64 0
		.amdhsa_float_denorm_mode_32 3
		.amdhsa_float_denorm_mode_16_64 3
		.amdhsa_dx10_clamp 1
		.amdhsa_ieee_mode 1
		.amdhsa_fp16_overflow 0
		.amdhsa_workgroup_processor_mode 1
		.amdhsa_memory_ordered 1
		.amdhsa_forward_progress 0
		.amdhsa_shared_vgpr_count 0
		.amdhsa_exception_fp_ieee_invalid_op 0
		.amdhsa_exception_fp_denorm_src 0
		.amdhsa_exception_fp_ieee_div_zero 0
		.amdhsa_exception_fp_ieee_overflow 0
		.amdhsa_exception_fp_ieee_underflow 0
		.amdhsa_exception_fp_ieee_inexact 0
		.amdhsa_exception_int_div_zero 0
	.end_amdhsa_kernel
	.section	.text._ZN7rocprim17ROCPRIM_400000_NS6detail17trampoline_kernelINS0_14default_configENS1_29reduce_by_key_config_selectorIssN6thrust23THRUST_200600_302600_NS4plusIsEEEEZZNS1_33reduce_by_key_impl_wrapped_configILNS1_25lookback_scan_determinismE0ES3_S9_NS6_6detail15normal_iteratorINS6_10device_ptrIsEEEESG_SG_SG_PmS8_22is_equal_div_10_reduceIsEEE10hipError_tPvRmT2_T3_mT4_T5_T6_T7_T8_P12ihipStream_tbENKUlT_T0_E_clISt17integral_constantIbLb0EES10_IbLb1EEEEDaSW_SX_EUlSW_E_NS1_11comp_targetILNS1_3genE0ELNS1_11target_archE4294967295ELNS1_3gpuE0ELNS1_3repE0EEENS1_30default_config_static_selectorELNS0_4arch9wavefront6targetE0EEEvT1_,"axG",@progbits,_ZN7rocprim17ROCPRIM_400000_NS6detail17trampoline_kernelINS0_14default_configENS1_29reduce_by_key_config_selectorIssN6thrust23THRUST_200600_302600_NS4plusIsEEEEZZNS1_33reduce_by_key_impl_wrapped_configILNS1_25lookback_scan_determinismE0ES3_S9_NS6_6detail15normal_iteratorINS6_10device_ptrIsEEEESG_SG_SG_PmS8_22is_equal_div_10_reduceIsEEE10hipError_tPvRmT2_T3_mT4_T5_T6_T7_T8_P12ihipStream_tbENKUlT_T0_E_clISt17integral_constantIbLb0EES10_IbLb1EEEEDaSW_SX_EUlSW_E_NS1_11comp_targetILNS1_3genE0ELNS1_11target_archE4294967295ELNS1_3gpuE0ELNS1_3repE0EEENS1_30default_config_static_selectorELNS0_4arch9wavefront6targetE0EEEvT1_,comdat
.Lfunc_end688:
	.size	_ZN7rocprim17ROCPRIM_400000_NS6detail17trampoline_kernelINS0_14default_configENS1_29reduce_by_key_config_selectorIssN6thrust23THRUST_200600_302600_NS4plusIsEEEEZZNS1_33reduce_by_key_impl_wrapped_configILNS1_25lookback_scan_determinismE0ES3_S9_NS6_6detail15normal_iteratorINS6_10device_ptrIsEEEESG_SG_SG_PmS8_22is_equal_div_10_reduceIsEEE10hipError_tPvRmT2_T3_mT4_T5_T6_T7_T8_P12ihipStream_tbENKUlT_T0_E_clISt17integral_constantIbLb0EES10_IbLb1EEEEDaSW_SX_EUlSW_E_NS1_11comp_targetILNS1_3genE0ELNS1_11target_archE4294967295ELNS1_3gpuE0ELNS1_3repE0EEENS1_30default_config_static_selectorELNS0_4arch9wavefront6targetE0EEEvT1_, .Lfunc_end688-_ZN7rocprim17ROCPRIM_400000_NS6detail17trampoline_kernelINS0_14default_configENS1_29reduce_by_key_config_selectorIssN6thrust23THRUST_200600_302600_NS4plusIsEEEEZZNS1_33reduce_by_key_impl_wrapped_configILNS1_25lookback_scan_determinismE0ES3_S9_NS6_6detail15normal_iteratorINS6_10device_ptrIsEEEESG_SG_SG_PmS8_22is_equal_div_10_reduceIsEEE10hipError_tPvRmT2_T3_mT4_T5_T6_T7_T8_P12ihipStream_tbENKUlT_T0_E_clISt17integral_constantIbLb0EES10_IbLb1EEEEDaSW_SX_EUlSW_E_NS1_11comp_targetILNS1_3genE0ELNS1_11target_archE4294967295ELNS1_3gpuE0ELNS1_3repE0EEENS1_30default_config_static_selectorELNS0_4arch9wavefront6targetE0EEEvT1_
                                        ; -- End function
	.section	.AMDGPU.csdata,"",@progbits
; Kernel info:
; codeLenInByte = 0
; NumSgprs: 0
; NumVgprs: 0
; ScratchSize: 0
; MemoryBound: 0
; FloatMode: 240
; IeeeMode: 1
; LDSByteSize: 0 bytes/workgroup (compile time only)
; SGPRBlocks: 0
; VGPRBlocks: 0
; NumSGPRsForWavesPerEU: 1
; NumVGPRsForWavesPerEU: 1
; Occupancy: 16
; WaveLimiterHint : 0
; COMPUTE_PGM_RSRC2:SCRATCH_EN: 0
; COMPUTE_PGM_RSRC2:USER_SGPR: 15
; COMPUTE_PGM_RSRC2:TRAP_HANDLER: 0
; COMPUTE_PGM_RSRC2:TGID_X_EN: 1
; COMPUTE_PGM_RSRC2:TGID_Y_EN: 0
; COMPUTE_PGM_RSRC2:TGID_Z_EN: 0
; COMPUTE_PGM_RSRC2:TIDIG_COMP_CNT: 0
	.section	.text._ZN7rocprim17ROCPRIM_400000_NS6detail17trampoline_kernelINS0_14default_configENS1_29reduce_by_key_config_selectorIssN6thrust23THRUST_200600_302600_NS4plusIsEEEEZZNS1_33reduce_by_key_impl_wrapped_configILNS1_25lookback_scan_determinismE0ES3_S9_NS6_6detail15normal_iteratorINS6_10device_ptrIsEEEESG_SG_SG_PmS8_22is_equal_div_10_reduceIsEEE10hipError_tPvRmT2_T3_mT4_T5_T6_T7_T8_P12ihipStream_tbENKUlT_T0_E_clISt17integral_constantIbLb0EES10_IbLb1EEEEDaSW_SX_EUlSW_E_NS1_11comp_targetILNS1_3genE5ELNS1_11target_archE942ELNS1_3gpuE9ELNS1_3repE0EEENS1_30default_config_static_selectorELNS0_4arch9wavefront6targetE0EEEvT1_,"axG",@progbits,_ZN7rocprim17ROCPRIM_400000_NS6detail17trampoline_kernelINS0_14default_configENS1_29reduce_by_key_config_selectorIssN6thrust23THRUST_200600_302600_NS4plusIsEEEEZZNS1_33reduce_by_key_impl_wrapped_configILNS1_25lookback_scan_determinismE0ES3_S9_NS6_6detail15normal_iteratorINS6_10device_ptrIsEEEESG_SG_SG_PmS8_22is_equal_div_10_reduceIsEEE10hipError_tPvRmT2_T3_mT4_T5_T6_T7_T8_P12ihipStream_tbENKUlT_T0_E_clISt17integral_constantIbLb0EES10_IbLb1EEEEDaSW_SX_EUlSW_E_NS1_11comp_targetILNS1_3genE5ELNS1_11target_archE942ELNS1_3gpuE9ELNS1_3repE0EEENS1_30default_config_static_selectorELNS0_4arch9wavefront6targetE0EEEvT1_,comdat
	.protected	_ZN7rocprim17ROCPRIM_400000_NS6detail17trampoline_kernelINS0_14default_configENS1_29reduce_by_key_config_selectorIssN6thrust23THRUST_200600_302600_NS4plusIsEEEEZZNS1_33reduce_by_key_impl_wrapped_configILNS1_25lookback_scan_determinismE0ES3_S9_NS6_6detail15normal_iteratorINS6_10device_ptrIsEEEESG_SG_SG_PmS8_22is_equal_div_10_reduceIsEEE10hipError_tPvRmT2_T3_mT4_T5_T6_T7_T8_P12ihipStream_tbENKUlT_T0_E_clISt17integral_constantIbLb0EES10_IbLb1EEEEDaSW_SX_EUlSW_E_NS1_11comp_targetILNS1_3genE5ELNS1_11target_archE942ELNS1_3gpuE9ELNS1_3repE0EEENS1_30default_config_static_selectorELNS0_4arch9wavefront6targetE0EEEvT1_ ; -- Begin function _ZN7rocprim17ROCPRIM_400000_NS6detail17trampoline_kernelINS0_14default_configENS1_29reduce_by_key_config_selectorIssN6thrust23THRUST_200600_302600_NS4plusIsEEEEZZNS1_33reduce_by_key_impl_wrapped_configILNS1_25lookback_scan_determinismE0ES3_S9_NS6_6detail15normal_iteratorINS6_10device_ptrIsEEEESG_SG_SG_PmS8_22is_equal_div_10_reduceIsEEE10hipError_tPvRmT2_T3_mT4_T5_T6_T7_T8_P12ihipStream_tbENKUlT_T0_E_clISt17integral_constantIbLb0EES10_IbLb1EEEEDaSW_SX_EUlSW_E_NS1_11comp_targetILNS1_3genE5ELNS1_11target_archE942ELNS1_3gpuE9ELNS1_3repE0EEENS1_30default_config_static_selectorELNS0_4arch9wavefront6targetE0EEEvT1_
	.globl	_ZN7rocprim17ROCPRIM_400000_NS6detail17trampoline_kernelINS0_14default_configENS1_29reduce_by_key_config_selectorIssN6thrust23THRUST_200600_302600_NS4plusIsEEEEZZNS1_33reduce_by_key_impl_wrapped_configILNS1_25lookback_scan_determinismE0ES3_S9_NS6_6detail15normal_iteratorINS6_10device_ptrIsEEEESG_SG_SG_PmS8_22is_equal_div_10_reduceIsEEE10hipError_tPvRmT2_T3_mT4_T5_T6_T7_T8_P12ihipStream_tbENKUlT_T0_E_clISt17integral_constantIbLb0EES10_IbLb1EEEEDaSW_SX_EUlSW_E_NS1_11comp_targetILNS1_3genE5ELNS1_11target_archE942ELNS1_3gpuE9ELNS1_3repE0EEENS1_30default_config_static_selectorELNS0_4arch9wavefront6targetE0EEEvT1_
	.p2align	8
	.type	_ZN7rocprim17ROCPRIM_400000_NS6detail17trampoline_kernelINS0_14default_configENS1_29reduce_by_key_config_selectorIssN6thrust23THRUST_200600_302600_NS4plusIsEEEEZZNS1_33reduce_by_key_impl_wrapped_configILNS1_25lookback_scan_determinismE0ES3_S9_NS6_6detail15normal_iteratorINS6_10device_ptrIsEEEESG_SG_SG_PmS8_22is_equal_div_10_reduceIsEEE10hipError_tPvRmT2_T3_mT4_T5_T6_T7_T8_P12ihipStream_tbENKUlT_T0_E_clISt17integral_constantIbLb0EES10_IbLb1EEEEDaSW_SX_EUlSW_E_NS1_11comp_targetILNS1_3genE5ELNS1_11target_archE942ELNS1_3gpuE9ELNS1_3repE0EEENS1_30default_config_static_selectorELNS0_4arch9wavefront6targetE0EEEvT1_,@function
_ZN7rocprim17ROCPRIM_400000_NS6detail17trampoline_kernelINS0_14default_configENS1_29reduce_by_key_config_selectorIssN6thrust23THRUST_200600_302600_NS4plusIsEEEEZZNS1_33reduce_by_key_impl_wrapped_configILNS1_25lookback_scan_determinismE0ES3_S9_NS6_6detail15normal_iteratorINS6_10device_ptrIsEEEESG_SG_SG_PmS8_22is_equal_div_10_reduceIsEEE10hipError_tPvRmT2_T3_mT4_T5_T6_T7_T8_P12ihipStream_tbENKUlT_T0_E_clISt17integral_constantIbLb0EES10_IbLb1EEEEDaSW_SX_EUlSW_E_NS1_11comp_targetILNS1_3genE5ELNS1_11target_archE942ELNS1_3gpuE9ELNS1_3repE0EEENS1_30default_config_static_selectorELNS0_4arch9wavefront6targetE0EEEvT1_: ; @_ZN7rocprim17ROCPRIM_400000_NS6detail17trampoline_kernelINS0_14default_configENS1_29reduce_by_key_config_selectorIssN6thrust23THRUST_200600_302600_NS4plusIsEEEEZZNS1_33reduce_by_key_impl_wrapped_configILNS1_25lookback_scan_determinismE0ES3_S9_NS6_6detail15normal_iteratorINS6_10device_ptrIsEEEESG_SG_SG_PmS8_22is_equal_div_10_reduceIsEEE10hipError_tPvRmT2_T3_mT4_T5_T6_T7_T8_P12ihipStream_tbENKUlT_T0_E_clISt17integral_constantIbLb0EES10_IbLb1EEEEDaSW_SX_EUlSW_E_NS1_11comp_targetILNS1_3genE5ELNS1_11target_archE942ELNS1_3gpuE9ELNS1_3repE0EEENS1_30default_config_static_selectorELNS0_4arch9wavefront6targetE0EEEvT1_
; %bb.0:
	.section	.rodata,"a",@progbits
	.p2align	6, 0x0
	.amdhsa_kernel _ZN7rocprim17ROCPRIM_400000_NS6detail17trampoline_kernelINS0_14default_configENS1_29reduce_by_key_config_selectorIssN6thrust23THRUST_200600_302600_NS4plusIsEEEEZZNS1_33reduce_by_key_impl_wrapped_configILNS1_25lookback_scan_determinismE0ES3_S9_NS6_6detail15normal_iteratorINS6_10device_ptrIsEEEESG_SG_SG_PmS8_22is_equal_div_10_reduceIsEEE10hipError_tPvRmT2_T3_mT4_T5_T6_T7_T8_P12ihipStream_tbENKUlT_T0_E_clISt17integral_constantIbLb0EES10_IbLb1EEEEDaSW_SX_EUlSW_E_NS1_11comp_targetILNS1_3genE5ELNS1_11target_archE942ELNS1_3gpuE9ELNS1_3repE0EEENS1_30default_config_static_selectorELNS0_4arch9wavefront6targetE0EEEvT1_
		.amdhsa_group_segment_fixed_size 0
		.amdhsa_private_segment_fixed_size 0
		.amdhsa_kernarg_size 120
		.amdhsa_user_sgpr_count 15
		.amdhsa_user_sgpr_dispatch_ptr 0
		.amdhsa_user_sgpr_queue_ptr 0
		.amdhsa_user_sgpr_kernarg_segment_ptr 1
		.amdhsa_user_sgpr_dispatch_id 0
		.amdhsa_user_sgpr_private_segment_size 0
		.amdhsa_wavefront_size32 1
		.amdhsa_uses_dynamic_stack 0
		.amdhsa_enable_private_segment 0
		.amdhsa_system_sgpr_workgroup_id_x 1
		.amdhsa_system_sgpr_workgroup_id_y 0
		.amdhsa_system_sgpr_workgroup_id_z 0
		.amdhsa_system_sgpr_workgroup_info 0
		.amdhsa_system_vgpr_workitem_id 0
		.amdhsa_next_free_vgpr 1
		.amdhsa_next_free_sgpr 1
		.amdhsa_reserve_vcc 0
		.amdhsa_float_round_mode_32 0
		.amdhsa_float_round_mode_16_64 0
		.amdhsa_float_denorm_mode_32 3
		.amdhsa_float_denorm_mode_16_64 3
		.amdhsa_dx10_clamp 1
		.amdhsa_ieee_mode 1
		.amdhsa_fp16_overflow 0
		.amdhsa_workgroup_processor_mode 1
		.amdhsa_memory_ordered 1
		.amdhsa_forward_progress 0
		.amdhsa_shared_vgpr_count 0
		.amdhsa_exception_fp_ieee_invalid_op 0
		.amdhsa_exception_fp_denorm_src 0
		.amdhsa_exception_fp_ieee_div_zero 0
		.amdhsa_exception_fp_ieee_overflow 0
		.amdhsa_exception_fp_ieee_underflow 0
		.amdhsa_exception_fp_ieee_inexact 0
		.amdhsa_exception_int_div_zero 0
	.end_amdhsa_kernel
	.section	.text._ZN7rocprim17ROCPRIM_400000_NS6detail17trampoline_kernelINS0_14default_configENS1_29reduce_by_key_config_selectorIssN6thrust23THRUST_200600_302600_NS4plusIsEEEEZZNS1_33reduce_by_key_impl_wrapped_configILNS1_25lookback_scan_determinismE0ES3_S9_NS6_6detail15normal_iteratorINS6_10device_ptrIsEEEESG_SG_SG_PmS8_22is_equal_div_10_reduceIsEEE10hipError_tPvRmT2_T3_mT4_T5_T6_T7_T8_P12ihipStream_tbENKUlT_T0_E_clISt17integral_constantIbLb0EES10_IbLb1EEEEDaSW_SX_EUlSW_E_NS1_11comp_targetILNS1_3genE5ELNS1_11target_archE942ELNS1_3gpuE9ELNS1_3repE0EEENS1_30default_config_static_selectorELNS0_4arch9wavefront6targetE0EEEvT1_,"axG",@progbits,_ZN7rocprim17ROCPRIM_400000_NS6detail17trampoline_kernelINS0_14default_configENS1_29reduce_by_key_config_selectorIssN6thrust23THRUST_200600_302600_NS4plusIsEEEEZZNS1_33reduce_by_key_impl_wrapped_configILNS1_25lookback_scan_determinismE0ES3_S9_NS6_6detail15normal_iteratorINS6_10device_ptrIsEEEESG_SG_SG_PmS8_22is_equal_div_10_reduceIsEEE10hipError_tPvRmT2_T3_mT4_T5_T6_T7_T8_P12ihipStream_tbENKUlT_T0_E_clISt17integral_constantIbLb0EES10_IbLb1EEEEDaSW_SX_EUlSW_E_NS1_11comp_targetILNS1_3genE5ELNS1_11target_archE942ELNS1_3gpuE9ELNS1_3repE0EEENS1_30default_config_static_selectorELNS0_4arch9wavefront6targetE0EEEvT1_,comdat
.Lfunc_end689:
	.size	_ZN7rocprim17ROCPRIM_400000_NS6detail17trampoline_kernelINS0_14default_configENS1_29reduce_by_key_config_selectorIssN6thrust23THRUST_200600_302600_NS4plusIsEEEEZZNS1_33reduce_by_key_impl_wrapped_configILNS1_25lookback_scan_determinismE0ES3_S9_NS6_6detail15normal_iteratorINS6_10device_ptrIsEEEESG_SG_SG_PmS8_22is_equal_div_10_reduceIsEEE10hipError_tPvRmT2_T3_mT4_T5_T6_T7_T8_P12ihipStream_tbENKUlT_T0_E_clISt17integral_constantIbLb0EES10_IbLb1EEEEDaSW_SX_EUlSW_E_NS1_11comp_targetILNS1_3genE5ELNS1_11target_archE942ELNS1_3gpuE9ELNS1_3repE0EEENS1_30default_config_static_selectorELNS0_4arch9wavefront6targetE0EEEvT1_, .Lfunc_end689-_ZN7rocprim17ROCPRIM_400000_NS6detail17trampoline_kernelINS0_14default_configENS1_29reduce_by_key_config_selectorIssN6thrust23THRUST_200600_302600_NS4plusIsEEEEZZNS1_33reduce_by_key_impl_wrapped_configILNS1_25lookback_scan_determinismE0ES3_S9_NS6_6detail15normal_iteratorINS6_10device_ptrIsEEEESG_SG_SG_PmS8_22is_equal_div_10_reduceIsEEE10hipError_tPvRmT2_T3_mT4_T5_T6_T7_T8_P12ihipStream_tbENKUlT_T0_E_clISt17integral_constantIbLb0EES10_IbLb1EEEEDaSW_SX_EUlSW_E_NS1_11comp_targetILNS1_3genE5ELNS1_11target_archE942ELNS1_3gpuE9ELNS1_3repE0EEENS1_30default_config_static_selectorELNS0_4arch9wavefront6targetE0EEEvT1_
                                        ; -- End function
	.section	.AMDGPU.csdata,"",@progbits
; Kernel info:
; codeLenInByte = 0
; NumSgprs: 0
; NumVgprs: 0
; ScratchSize: 0
; MemoryBound: 0
; FloatMode: 240
; IeeeMode: 1
; LDSByteSize: 0 bytes/workgroup (compile time only)
; SGPRBlocks: 0
; VGPRBlocks: 0
; NumSGPRsForWavesPerEU: 1
; NumVGPRsForWavesPerEU: 1
; Occupancy: 16
; WaveLimiterHint : 0
; COMPUTE_PGM_RSRC2:SCRATCH_EN: 0
; COMPUTE_PGM_RSRC2:USER_SGPR: 15
; COMPUTE_PGM_RSRC2:TRAP_HANDLER: 0
; COMPUTE_PGM_RSRC2:TGID_X_EN: 1
; COMPUTE_PGM_RSRC2:TGID_Y_EN: 0
; COMPUTE_PGM_RSRC2:TGID_Z_EN: 0
; COMPUTE_PGM_RSRC2:TIDIG_COMP_CNT: 0
	.section	.text._ZN7rocprim17ROCPRIM_400000_NS6detail17trampoline_kernelINS0_14default_configENS1_29reduce_by_key_config_selectorIssN6thrust23THRUST_200600_302600_NS4plusIsEEEEZZNS1_33reduce_by_key_impl_wrapped_configILNS1_25lookback_scan_determinismE0ES3_S9_NS6_6detail15normal_iteratorINS6_10device_ptrIsEEEESG_SG_SG_PmS8_22is_equal_div_10_reduceIsEEE10hipError_tPvRmT2_T3_mT4_T5_T6_T7_T8_P12ihipStream_tbENKUlT_T0_E_clISt17integral_constantIbLb0EES10_IbLb1EEEEDaSW_SX_EUlSW_E_NS1_11comp_targetILNS1_3genE4ELNS1_11target_archE910ELNS1_3gpuE8ELNS1_3repE0EEENS1_30default_config_static_selectorELNS0_4arch9wavefront6targetE0EEEvT1_,"axG",@progbits,_ZN7rocprim17ROCPRIM_400000_NS6detail17trampoline_kernelINS0_14default_configENS1_29reduce_by_key_config_selectorIssN6thrust23THRUST_200600_302600_NS4plusIsEEEEZZNS1_33reduce_by_key_impl_wrapped_configILNS1_25lookback_scan_determinismE0ES3_S9_NS6_6detail15normal_iteratorINS6_10device_ptrIsEEEESG_SG_SG_PmS8_22is_equal_div_10_reduceIsEEE10hipError_tPvRmT2_T3_mT4_T5_T6_T7_T8_P12ihipStream_tbENKUlT_T0_E_clISt17integral_constantIbLb0EES10_IbLb1EEEEDaSW_SX_EUlSW_E_NS1_11comp_targetILNS1_3genE4ELNS1_11target_archE910ELNS1_3gpuE8ELNS1_3repE0EEENS1_30default_config_static_selectorELNS0_4arch9wavefront6targetE0EEEvT1_,comdat
	.protected	_ZN7rocprim17ROCPRIM_400000_NS6detail17trampoline_kernelINS0_14default_configENS1_29reduce_by_key_config_selectorIssN6thrust23THRUST_200600_302600_NS4plusIsEEEEZZNS1_33reduce_by_key_impl_wrapped_configILNS1_25lookback_scan_determinismE0ES3_S9_NS6_6detail15normal_iteratorINS6_10device_ptrIsEEEESG_SG_SG_PmS8_22is_equal_div_10_reduceIsEEE10hipError_tPvRmT2_T3_mT4_T5_T6_T7_T8_P12ihipStream_tbENKUlT_T0_E_clISt17integral_constantIbLb0EES10_IbLb1EEEEDaSW_SX_EUlSW_E_NS1_11comp_targetILNS1_3genE4ELNS1_11target_archE910ELNS1_3gpuE8ELNS1_3repE0EEENS1_30default_config_static_selectorELNS0_4arch9wavefront6targetE0EEEvT1_ ; -- Begin function _ZN7rocprim17ROCPRIM_400000_NS6detail17trampoline_kernelINS0_14default_configENS1_29reduce_by_key_config_selectorIssN6thrust23THRUST_200600_302600_NS4plusIsEEEEZZNS1_33reduce_by_key_impl_wrapped_configILNS1_25lookback_scan_determinismE0ES3_S9_NS6_6detail15normal_iteratorINS6_10device_ptrIsEEEESG_SG_SG_PmS8_22is_equal_div_10_reduceIsEEE10hipError_tPvRmT2_T3_mT4_T5_T6_T7_T8_P12ihipStream_tbENKUlT_T0_E_clISt17integral_constantIbLb0EES10_IbLb1EEEEDaSW_SX_EUlSW_E_NS1_11comp_targetILNS1_3genE4ELNS1_11target_archE910ELNS1_3gpuE8ELNS1_3repE0EEENS1_30default_config_static_selectorELNS0_4arch9wavefront6targetE0EEEvT1_
	.globl	_ZN7rocprim17ROCPRIM_400000_NS6detail17trampoline_kernelINS0_14default_configENS1_29reduce_by_key_config_selectorIssN6thrust23THRUST_200600_302600_NS4plusIsEEEEZZNS1_33reduce_by_key_impl_wrapped_configILNS1_25lookback_scan_determinismE0ES3_S9_NS6_6detail15normal_iteratorINS6_10device_ptrIsEEEESG_SG_SG_PmS8_22is_equal_div_10_reduceIsEEE10hipError_tPvRmT2_T3_mT4_T5_T6_T7_T8_P12ihipStream_tbENKUlT_T0_E_clISt17integral_constantIbLb0EES10_IbLb1EEEEDaSW_SX_EUlSW_E_NS1_11comp_targetILNS1_3genE4ELNS1_11target_archE910ELNS1_3gpuE8ELNS1_3repE0EEENS1_30default_config_static_selectorELNS0_4arch9wavefront6targetE0EEEvT1_
	.p2align	8
	.type	_ZN7rocprim17ROCPRIM_400000_NS6detail17trampoline_kernelINS0_14default_configENS1_29reduce_by_key_config_selectorIssN6thrust23THRUST_200600_302600_NS4plusIsEEEEZZNS1_33reduce_by_key_impl_wrapped_configILNS1_25lookback_scan_determinismE0ES3_S9_NS6_6detail15normal_iteratorINS6_10device_ptrIsEEEESG_SG_SG_PmS8_22is_equal_div_10_reduceIsEEE10hipError_tPvRmT2_T3_mT4_T5_T6_T7_T8_P12ihipStream_tbENKUlT_T0_E_clISt17integral_constantIbLb0EES10_IbLb1EEEEDaSW_SX_EUlSW_E_NS1_11comp_targetILNS1_3genE4ELNS1_11target_archE910ELNS1_3gpuE8ELNS1_3repE0EEENS1_30default_config_static_selectorELNS0_4arch9wavefront6targetE0EEEvT1_,@function
_ZN7rocprim17ROCPRIM_400000_NS6detail17trampoline_kernelINS0_14default_configENS1_29reduce_by_key_config_selectorIssN6thrust23THRUST_200600_302600_NS4plusIsEEEEZZNS1_33reduce_by_key_impl_wrapped_configILNS1_25lookback_scan_determinismE0ES3_S9_NS6_6detail15normal_iteratorINS6_10device_ptrIsEEEESG_SG_SG_PmS8_22is_equal_div_10_reduceIsEEE10hipError_tPvRmT2_T3_mT4_T5_T6_T7_T8_P12ihipStream_tbENKUlT_T0_E_clISt17integral_constantIbLb0EES10_IbLb1EEEEDaSW_SX_EUlSW_E_NS1_11comp_targetILNS1_3genE4ELNS1_11target_archE910ELNS1_3gpuE8ELNS1_3repE0EEENS1_30default_config_static_selectorELNS0_4arch9wavefront6targetE0EEEvT1_: ; @_ZN7rocprim17ROCPRIM_400000_NS6detail17trampoline_kernelINS0_14default_configENS1_29reduce_by_key_config_selectorIssN6thrust23THRUST_200600_302600_NS4plusIsEEEEZZNS1_33reduce_by_key_impl_wrapped_configILNS1_25lookback_scan_determinismE0ES3_S9_NS6_6detail15normal_iteratorINS6_10device_ptrIsEEEESG_SG_SG_PmS8_22is_equal_div_10_reduceIsEEE10hipError_tPvRmT2_T3_mT4_T5_T6_T7_T8_P12ihipStream_tbENKUlT_T0_E_clISt17integral_constantIbLb0EES10_IbLb1EEEEDaSW_SX_EUlSW_E_NS1_11comp_targetILNS1_3genE4ELNS1_11target_archE910ELNS1_3gpuE8ELNS1_3repE0EEENS1_30default_config_static_selectorELNS0_4arch9wavefront6targetE0EEEvT1_
; %bb.0:
	.section	.rodata,"a",@progbits
	.p2align	6, 0x0
	.amdhsa_kernel _ZN7rocprim17ROCPRIM_400000_NS6detail17trampoline_kernelINS0_14default_configENS1_29reduce_by_key_config_selectorIssN6thrust23THRUST_200600_302600_NS4plusIsEEEEZZNS1_33reduce_by_key_impl_wrapped_configILNS1_25lookback_scan_determinismE0ES3_S9_NS6_6detail15normal_iteratorINS6_10device_ptrIsEEEESG_SG_SG_PmS8_22is_equal_div_10_reduceIsEEE10hipError_tPvRmT2_T3_mT4_T5_T6_T7_T8_P12ihipStream_tbENKUlT_T0_E_clISt17integral_constantIbLb0EES10_IbLb1EEEEDaSW_SX_EUlSW_E_NS1_11comp_targetILNS1_3genE4ELNS1_11target_archE910ELNS1_3gpuE8ELNS1_3repE0EEENS1_30default_config_static_selectorELNS0_4arch9wavefront6targetE0EEEvT1_
		.amdhsa_group_segment_fixed_size 0
		.amdhsa_private_segment_fixed_size 0
		.amdhsa_kernarg_size 120
		.amdhsa_user_sgpr_count 15
		.amdhsa_user_sgpr_dispatch_ptr 0
		.amdhsa_user_sgpr_queue_ptr 0
		.amdhsa_user_sgpr_kernarg_segment_ptr 1
		.amdhsa_user_sgpr_dispatch_id 0
		.amdhsa_user_sgpr_private_segment_size 0
		.amdhsa_wavefront_size32 1
		.amdhsa_uses_dynamic_stack 0
		.amdhsa_enable_private_segment 0
		.amdhsa_system_sgpr_workgroup_id_x 1
		.amdhsa_system_sgpr_workgroup_id_y 0
		.amdhsa_system_sgpr_workgroup_id_z 0
		.amdhsa_system_sgpr_workgroup_info 0
		.amdhsa_system_vgpr_workitem_id 0
		.amdhsa_next_free_vgpr 1
		.amdhsa_next_free_sgpr 1
		.amdhsa_reserve_vcc 0
		.amdhsa_float_round_mode_32 0
		.amdhsa_float_round_mode_16_64 0
		.amdhsa_float_denorm_mode_32 3
		.amdhsa_float_denorm_mode_16_64 3
		.amdhsa_dx10_clamp 1
		.amdhsa_ieee_mode 1
		.amdhsa_fp16_overflow 0
		.amdhsa_workgroup_processor_mode 1
		.amdhsa_memory_ordered 1
		.amdhsa_forward_progress 0
		.amdhsa_shared_vgpr_count 0
		.amdhsa_exception_fp_ieee_invalid_op 0
		.amdhsa_exception_fp_denorm_src 0
		.amdhsa_exception_fp_ieee_div_zero 0
		.amdhsa_exception_fp_ieee_overflow 0
		.amdhsa_exception_fp_ieee_underflow 0
		.amdhsa_exception_fp_ieee_inexact 0
		.amdhsa_exception_int_div_zero 0
	.end_amdhsa_kernel
	.section	.text._ZN7rocprim17ROCPRIM_400000_NS6detail17trampoline_kernelINS0_14default_configENS1_29reduce_by_key_config_selectorIssN6thrust23THRUST_200600_302600_NS4plusIsEEEEZZNS1_33reduce_by_key_impl_wrapped_configILNS1_25lookback_scan_determinismE0ES3_S9_NS6_6detail15normal_iteratorINS6_10device_ptrIsEEEESG_SG_SG_PmS8_22is_equal_div_10_reduceIsEEE10hipError_tPvRmT2_T3_mT4_T5_T6_T7_T8_P12ihipStream_tbENKUlT_T0_E_clISt17integral_constantIbLb0EES10_IbLb1EEEEDaSW_SX_EUlSW_E_NS1_11comp_targetILNS1_3genE4ELNS1_11target_archE910ELNS1_3gpuE8ELNS1_3repE0EEENS1_30default_config_static_selectorELNS0_4arch9wavefront6targetE0EEEvT1_,"axG",@progbits,_ZN7rocprim17ROCPRIM_400000_NS6detail17trampoline_kernelINS0_14default_configENS1_29reduce_by_key_config_selectorIssN6thrust23THRUST_200600_302600_NS4plusIsEEEEZZNS1_33reduce_by_key_impl_wrapped_configILNS1_25lookback_scan_determinismE0ES3_S9_NS6_6detail15normal_iteratorINS6_10device_ptrIsEEEESG_SG_SG_PmS8_22is_equal_div_10_reduceIsEEE10hipError_tPvRmT2_T3_mT4_T5_T6_T7_T8_P12ihipStream_tbENKUlT_T0_E_clISt17integral_constantIbLb0EES10_IbLb1EEEEDaSW_SX_EUlSW_E_NS1_11comp_targetILNS1_3genE4ELNS1_11target_archE910ELNS1_3gpuE8ELNS1_3repE0EEENS1_30default_config_static_selectorELNS0_4arch9wavefront6targetE0EEEvT1_,comdat
.Lfunc_end690:
	.size	_ZN7rocprim17ROCPRIM_400000_NS6detail17trampoline_kernelINS0_14default_configENS1_29reduce_by_key_config_selectorIssN6thrust23THRUST_200600_302600_NS4plusIsEEEEZZNS1_33reduce_by_key_impl_wrapped_configILNS1_25lookback_scan_determinismE0ES3_S9_NS6_6detail15normal_iteratorINS6_10device_ptrIsEEEESG_SG_SG_PmS8_22is_equal_div_10_reduceIsEEE10hipError_tPvRmT2_T3_mT4_T5_T6_T7_T8_P12ihipStream_tbENKUlT_T0_E_clISt17integral_constantIbLb0EES10_IbLb1EEEEDaSW_SX_EUlSW_E_NS1_11comp_targetILNS1_3genE4ELNS1_11target_archE910ELNS1_3gpuE8ELNS1_3repE0EEENS1_30default_config_static_selectorELNS0_4arch9wavefront6targetE0EEEvT1_, .Lfunc_end690-_ZN7rocprim17ROCPRIM_400000_NS6detail17trampoline_kernelINS0_14default_configENS1_29reduce_by_key_config_selectorIssN6thrust23THRUST_200600_302600_NS4plusIsEEEEZZNS1_33reduce_by_key_impl_wrapped_configILNS1_25lookback_scan_determinismE0ES3_S9_NS6_6detail15normal_iteratorINS6_10device_ptrIsEEEESG_SG_SG_PmS8_22is_equal_div_10_reduceIsEEE10hipError_tPvRmT2_T3_mT4_T5_T6_T7_T8_P12ihipStream_tbENKUlT_T0_E_clISt17integral_constantIbLb0EES10_IbLb1EEEEDaSW_SX_EUlSW_E_NS1_11comp_targetILNS1_3genE4ELNS1_11target_archE910ELNS1_3gpuE8ELNS1_3repE0EEENS1_30default_config_static_selectorELNS0_4arch9wavefront6targetE0EEEvT1_
                                        ; -- End function
	.section	.AMDGPU.csdata,"",@progbits
; Kernel info:
; codeLenInByte = 0
; NumSgprs: 0
; NumVgprs: 0
; ScratchSize: 0
; MemoryBound: 0
; FloatMode: 240
; IeeeMode: 1
; LDSByteSize: 0 bytes/workgroup (compile time only)
; SGPRBlocks: 0
; VGPRBlocks: 0
; NumSGPRsForWavesPerEU: 1
; NumVGPRsForWavesPerEU: 1
; Occupancy: 16
; WaveLimiterHint : 0
; COMPUTE_PGM_RSRC2:SCRATCH_EN: 0
; COMPUTE_PGM_RSRC2:USER_SGPR: 15
; COMPUTE_PGM_RSRC2:TRAP_HANDLER: 0
; COMPUTE_PGM_RSRC2:TGID_X_EN: 1
; COMPUTE_PGM_RSRC2:TGID_Y_EN: 0
; COMPUTE_PGM_RSRC2:TGID_Z_EN: 0
; COMPUTE_PGM_RSRC2:TIDIG_COMP_CNT: 0
	.section	.text._ZN7rocprim17ROCPRIM_400000_NS6detail17trampoline_kernelINS0_14default_configENS1_29reduce_by_key_config_selectorIssN6thrust23THRUST_200600_302600_NS4plusIsEEEEZZNS1_33reduce_by_key_impl_wrapped_configILNS1_25lookback_scan_determinismE0ES3_S9_NS6_6detail15normal_iteratorINS6_10device_ptrIsEEEESG_SG_SG_PmS8_22is_equal_div_10_reduceIsEEE10hipError_tPvRmT2_T3_mT4_T5_T6_T7_T8_P12ihipStream_tbENKUlT_T0_E_clISt17integral_constantIbLb0EES10_IbLb1EEEEDaSW_SX_EUlSW_E_NS1_11comp_targetILNS1_3genE3ELNS1_11target_archE908ELNS1_3gpuE7ELNS1_3repE0EEENS1_30default_config_static_selectorELNS0_4arch9wavefront6targetE0EEEvT1_,"axG",@progbits,_ZN7rocprim17ROCPRIM_400000_NS6detail17trampoline_kernelINS0_14default_configENS1_29reduce_by_key_config_selectorIssN6thrust23THRUST_200600_302600_NS4plusIsEEEEZZNS1_33reduce_by_key_impl_wrapped_configILNS1_25lookback_scan_determinismE0ES3_S9_NS6_6detail15normal_iteratorINS6_10device_ptrIsEEEESG_SG_SG_PmS8_22is_equal_div_10_reduceIsEEE10hipError_tPvRmT2_T3_mT4_T5_T6_T7_T8_P12ihipStream_tbENKUlT_T0_E_clISt17integral_constantIbLb0EES10_IbLb1EEEEDaSW_SX_EUlSW_E_NS1_11comp_targetILNS1_3genE3ELNS1_11target_archE908ELNS1_3gpuE7ELNS1_3repE0EEENS1_30default_config_static_selectorELNS0_4arch9wavefront6targetE0EEEvT1_,comdat
	.protected	_ZN7rocprim17ROCPRIM_400000_NS6detail17trampoline_kernelINS0_14default_configENS1_29reduce_by_key_config_selectorIssN6thrust23THRUST_200600_302600_NS4plusIsEEEEZZNS1_33reduce_by_key_impl_wrapped_configILNS1_25lookback_scan_determinismE0ES3_S9_NS6_6detail15normal_iteratorINS6_10device_ptrIsEEEESG_SG_SG_PmS8_22is_equal_div_10_reduceIsEEE10hipError_tPvRmT2_T3_mT4_T5_T6_T7_T8_P12ihipStream_tbENKUlT_T0_E_clISt17integral_constantIbLb0EES10_IbLb1EEEEDaSW_SX_EUlSW_E_NS1_11comp_targetILNS1_3genE3ELNS1_11target_archE908ELNS1_3gpuE7ELNS1_3repE0EEENS1_30default_config_static_selectorELNS0_4arch9wavefront6targetE0EEEvT1_ ; -- Begin function _ZN7rocprim17ROCPRIM_400000_NS6detail17trampoline_kernelINS0_14default_configENS1_29reduce_by_key_config_selectorIssN6thrust23THRUST_200600_302600_NS4plusIsEEEEZZNS1_33reduce_by_key_impl_wrapped_configILNS1_25lookback_scan_determinismE0ES3_S9_NS6_6detail15normal_iteratorINS6_10device_ptrIsEEEESG_SG_SG_PmS8_22is_equal_div_10_reduceIsEEE10hipError_tPvRmT2_T3_mT4_T5_T6_T7_T8_P12ihipStream_tbENKUlT_T0_E_clISt17integral_constantIbLb0EES10_IbLb1EEEEDaSW_SX_EUlSW_E_NS1_11comp_targetILNS1_3genE3ELNS1_11target_archE908ELNS1_3gpuE7ELNS1_3repE0EEENS1_30default_config_static_selectorELNS0_4arch9wavefront6targetE0EEEvT1_
	.globl	_ZN7rocprim17ROCPRIM_400000_NS6detail17trampoline_kernelINS0_14default_configENS1_29reduce_by_key_config_selectorIssN6thrust23THRUST_200600_302600_NS4plusIsEEEEZZNS1_33reduce_by_key_impl_wrapped_configILNS1_25lookback_scan_determinismE0ES3_S9_NS6_6detail15normal_iteratorINS6_10device_ptrIsEEEESG_SG_SG_PmS8_22is_equal_div_10_reduceIsEEE10hipError_tPvRmT2_T3_mT4_T5_T6_T7_T8_P12ihipStream_tbENKUlT_T0_E_clISt17integral_constantIbLb0EES10_IbLb1EEEEDaSW_SX_EUlSW_E_NS1_11comp_targetILNS1_3genE3ELNS1_11target_archE908ELNS1_3gpuE7ELNS1_3repE0EEENS1_30default_config_static_selectorELNS0_4arch9wavefront6targetE0EEEvT1_
	.p2align	8
	.type	_ZN7rocprim17ROCPRIM_400000_NS6detail17trampoline_kernelINS0_14default_configENS1_29reduce_by_key_config_selectorIssN6thrust23THRUST_200600_302600_NS4plusIsEEEEZZNS1_33reduce_by_key_impl_wrapped_configILNS1_25lookback_scan_determinismE0ES3_S9_NS6_6detail15normal_iteratorINS6_10device_ptrIsEEEESG_SG_SG_PmS8_22is_equal_div_10_reduceIsEEE10hipError_tPvRmT2_T3_mT4_T5_T6_T7_T8_P12ihipStream_tbENKUlT_T0_E_clISt17integral_constantIbLb0EES10_IbLb1EEEEDaSW_SX_EUlSW_E_NS1_11comp_targetILNS1_3genE3ELNS1_11target_archE908ELNS1_3gpuE7ELNS1_3repE0EEENS1_30default_config_static_selectorELNS0_4arch9wavefront6targetE0EEEvT1_,@function
_ZN7rocprim17ROCPRIM_400000_NS6detail17trampoline_kernelINS0_14default_configENS1_29reduce_by_key_config_selectorIssN6thrust23THRUST_200600_302600_NS4plusIsEEEEZZNS1_33reduce_by_key_impl_wrapped_configILNS1_25lookback_scan_determinismE0ES3_S9_NS6_6detail15normal_iteratorINS6_10device_ptrIsEEEESG_SG_SG_PmS8_22is_equal_div_10_reduceIsEEE10hipError_tPvRmT2_T3_mT4_T5_T6_T7_T8_P12ihipStream_tbENKUlT_T0_E_clISt17integral_constantIbLb0EES10_IbLb1EEEEDaSW_SX_EUlSW_E_NS1_11comp_targetILNS1_3genE3ELNS1_11target_archE908ELNS1_3gpuE7ELNS1_3repE0EEENS1_30default_config_static_selectorELNS0_4arch9wavefront6targetE0EEEvT1_: ; @_ZN7rocprim17ROCPRIM_400000_NS6detail17trampoline_kernelINS0_14default_configENS1_29reduce_by_key_config_selectorIssN6thrust23THRUST_200600_302600_NS4plusIsEEEEZZNS1_33reduce_by_key_impl_wrapped_configILNS1_25lookback_scan_determinismE0ES3_S9_NS6_6detail15normal_iteratorINS6_10device_ptrIsEEEESG_SG_SG_PmS8_22is_equal_div_10_reduceIsEEE10hipError_tPvRmT2_T3_mT4_T5_T6_T7_T8_P12ihipStream_tbENKUlT_T0_E_clISt17integral_constantIbLb0EES10_IbLb1EEEEDaSW_SX_EUlSW_E_NS1_11comp_targetILNS1_3genE3ELNS1_11target_archE908ELNS1_3gpuE7ELNS1_3repE0EEENS1_30default_config_static_selectorELNS0_4arch9wavefront6targetE0EEEvT1_
; %bb.0:
	.section	.rodata,"a",@progbits
	.p2align	6, 0x0
	.amdhsa_kernel _ZN7rocprim17ROCPRIM_400000_NS6detail17trampoline_kernelINS0_14default_configENS1_29reduce_by_key_config_selectorIssN6thrust23THRUST_200600_302600_NS4plusIsEEEEZZNS1_33reduce_by_key_impl_wrapped_configILNS1_25lookback_scan_determinismE0ES3_S9_NS6_6detail15normal_iteratorINS6_10device_ptrIsEEEESG_SG_SG_PmS8_22is_equal_div_10_reduceIsEEE10hipError_tPvRmT2_T3_mT4_T5_T6_T7_T8_P12ihipStream_tbENKUlT_T0_E_clISt17integral_constantIbLb0EES10_IbLb1EEEEDaSW_SX_EUlSW_E_NS1_11comp_targetILNS1_3genE3ELNS1_11target_archE908ELNS1_3gpuE7ELNS1_3repE0EEENS1_30default_config_static_selectorELNS0_4arch9wavefront6targetE0EEEvT1_
		.amdhsa_group_segment_fixed_size 0
		.amdhsa_private_segment_fixed_size 0
		.amdhsa_kernarg_size 120
		.amdhsa_user_sgpr_count 15
		.amdhsa_user_sgpr_dispatch_ptr 0
		.amdhsa_user_sgpr_queue_ptr 0
		.amdhsa_user_sgpr_kernarg_segment_ptr 1
		.amdhsa_user_sgpr_dispatch_id 0
		.amdhsa_user_sgpr_private_segment_size 0
		.amdhsa_wavefront_size32 1
		.amdhsa_uses_dynamic_stack 0
		.amdhsa_enable_private_segment 0
		.amdhsa_system_sgpr_workgroup_id_x 1
		.amdhsa_system_sgpr_workgroup_id_y 0
		.amdhsa_system_sgpr_workgroup_id_z 0
		.amdhsa_system_sgpr_workgroup_info 0
		.amdhsa_system_vgpr_workitem_id 0
		.amdhsa_next_free_vgpr 1
		.amdhsa_next_free_sgpr 1
		.amdhsa_reserve_vcc 0
		.amdhsa_float_round_mode_32 0
		.amdhsa_float_round_mode_16_64 0
		.amdhsa_float_denorm_mode_32 3
		.amdhsa_float_denorm_mode_16_64 3
		.amdhsa_dx10_clamp 1
		.amdhsa_ieee_mode 1
		.amdhsa_fp16_overflow 0
		.amdhsa_workgroup_processor_mode 1
		.amdhsa_memory_ordered 1
		.amdhsa_forward_progress 0
		.amdhsa_shared_vgpr_count 0
		.amdhsa_exception_fp_ieee_invalid_op 0
		.amdhsa_exception_fp_denorm_src 0
		.amdhsa_exception_fp_ieee_div_zero 0
		.amdhsa_exception_fp_ieee_overflow 0
		.amdhsa_exception_fp_ieee_underflow 0
		.amdhsa_exception_fp_ieee_inexact 0
		.amdhsa_exception_int_div_zero 0
	.end_amdhsa_kernel
	.section	.text._ZN7rocprim17ROCPRIM_400000_NS6detail17trampoline_kernelINS0_14default_configENS1_29reduce_by_key_config_selectorIssN6thrust23THRUST_200600_302600_NS4plusIsEEEEZZNS1_33reduce_by_key_impl_wrapped_configILNS1_25lookback_scan_determinismE0ES3_S9_NS6_6detail15normal_iteratorINS6_10device_ptrIsEEEESG_SG_SG_PmS8_22is_equal_div_10_reduceIsEEE10hipError_tPvRmT2_T3_mT4_T5_T6_T7_T8_P12ihipStream_tbENKUlT_T0_E_clISt17integral_constantIbLb0EES10_IbLb1EEEEDaSW_SX_EUlSW_E_NS1_11comp_targetILNS1_3genE3ELNS1_11target_archE908ELNS1_3gpuE7ELNS1_3repE0EEENS1_30default_config_static_selectorELNS0_4arch9wavefront6targetE0EEEvT1_,"axG",@progbits,_ZN7rocprim17ROCPRIM_400000_NS6detail17trampoline_kernelINS0_14default_configENS1_29reduce_by_key_config_selectorIssN6thrust23THRUST_200600_302600_NS4plusIsEEEEZZNS1_33reduce_by_key_impl_wrapped_configILNS1_25lookback_scan_determinismE0ES3_S9_NS6_6detail15normal_iteratorINS6_10device_ptrIsEEEESG_SG_SG_PmS8_22is_equal_div_10_reduceIsEEE10hipError_tPvRmT2_T3_mT4_T5_T6_T7_T8_P12ihipStream_tbENKUlT_T0_E_clISt17integral_constantIbLb0EES10_IbLb1EEEEDaSW_SX_EUlSW_E_NS1_11comp_targetILNS1_3genE3ELNS1_11target_archE908ELNS1_3gpuE7ELNS1_3repE0EEENS1_30default_config_static_selectorELNS0_4arch9wavefront6targetE0EEEvT1_,comdat
.Lfunc_end691:
	.size	_ZN7rocprim17ROCPRIM_400000_NS6detail17trampoline_kernelINS0_14default_configENS1_29reduce_by_key_config_selectorIssN6thrust23THRUST_200600_302600_NS4plusIsEEEEZZNS1_33reduce_by_key_impl_wrapped_configILNS1_25lookback_scan_determinismE0ES3_S9_NS6_6detail15normal_iteratorINS6_10device_ptrIsEEEESG_SG_SG_PmS8_22is_equal_div_10_reduceIsEEE10hipError_tPvRmT2_T3_mT4_T5_T6_T7_T8_P12ihipStream_tbENKUlT_T0_E_clISt17integral_constantIbLb0EES10_IbLb1EEEEDaSW_SX_EUlSW_E_NS1_11comp_targetILNS1_3genE3ELNS1_11target_archE908ELNS1_3gpuE7ELNS1_3repE0EEENS1_30default_config_static_selectorELNS0_4arch9wavefront6targetE0EEEvT1_, .Lfunc_end691-_ZN7rocprim17ROCPRIM_400000_NS6detail17trampoline_kernelINS0_14default_configENS1_29reduce_by_key_config_selectorIssN6thrust23THRUST_200600_302600_NS4plusIsEEEEZZNS1_33reduce_by_key_impl_wrapped_configILNS1_25lookback_scan_determinismE0ES3_S9_NS6_6detail15normal_iteratorINS6_10device_ptrIsEEEESG_SG_SG_PmS8_22is_equal_div_10_reduceIsEEE10hipError_tPvRmT2_T3_mT4_T5_T6_T7_T8_P12ihipStream_tbENKUlT_T0_E_clISt17integral_constantIbLb0EES10_IbLb1EEEEDaSW_SX_EUlSW_E_NS1_11comp_targetILNS1_3genE3ELNS1_11target_archE908ELNS1_3gpuE7ELNS1_3repE0EEENS1_30default_config_static_selectorELNS0_4arch9wavefront6targetE0EEEvT1_
                                        ; -- End function
	.section	.AMDGPU.csdata,"",@progbits
; Kernel info:
; codeLenInByte = 0
; NumSgprs: 0
; NumVgprs: 0
; ScratchSize: 0
; MemoryBound: 0
; FloatMode: 240
; IeeeMode: 1
; LDSByteSize: 0 bytes/workgroup (compile time only)
; SGPRBlocks: 0
; VGPRBlocks: 0
; NumSGPRsForWavesPerEU: 1
; NumVGPRsForWavesPerEU: 1
; Occupancy: 16
; WaveLimiterHint : 0
; COMPUTE_PGM_RSRC2:SCRATCH_EN: 0
; COMPUTE_PGM_RSRC2:USER_SGPR: 15
; COMPUTE_PGM_RSRC2:TRAP_HANDLER: 0
; COMPUTE_PGM_RSRC2:TGID_X_EN: 1
; COMPUTE_PGM_RSRC2:TGID_Y_EN: 0
; COMPUTE_PGM_RSRC2:TGID_Z_EN: 0
; COMPUTE_PGM_RSRC2:TIDIG_COMP_CNT: 0
	.section	.text._ZN7rocprim17ROCPRIM_400000_NS6detail17trampoline_kernelINS0_14default_configENS1_29reduce_by_key_config_selectorIssN6thrust23THRUST_200600_302600_NS4plusIsEEEEZZNS1_33reduce_by_key_impl_wrapped_configILNS1_25lookback_scan_determinismE0ES3_S9_NS6_6detail15normal_iteratorINS6_10device_ptrIsEEEESG_SG_SG_PmS8_22is_equal_div_10_reduceIsEEE10hipError_tPvRmT2_T3_mT4_T5_T6_T7_T8_P12ihipStream_tbENKUlT_T0_E_clISt17integral_constantIbLb0EES10_IbLb1EEEEDaSW_SX_EUlSW_E_NS1_11comp_targetILNS1_3genE2ELNS1_11target_archE906ELNS1_3gpuE6ELNS1_3repE0EEENS1_30default_config_static_selectorELNS0_4arch9wavefront6targetE0EEEvT1_,"axG",@progbits,_ZN7rocprim17ROCPRIM_400000_NS6detail17trampoline_kernelINS0_14default_configENS1_29reduce_by_key_config_selectorIssN6thrust23THRUST_200600_302600_NS4plusIsEEEEZZNS1_33reduce_by_key_impl_wrapped_configILNS1_25lookback_scan_determinismE0ES3_S9_NS6_6detail15normal_iteratorINS6_10device_ptrIsEEEESG_SG_SG_PmS8_22is_equal_div_10_reduceIsEEE10hipError_tPvRmT2_T3_mT4_T5_T6_T7_T8_P12ihipStream_tbENKUlT_T0_E_clISt17integral_constantIbLb0EES10_IbLb1EEEEDaSW_SX_EUlSW_E_NS1_11comp_targetILNS1_3genE2ELNS1_11target_archE906ELNS1_3gpuE6ELNS1_3repE0EEENS1_30default_config_static_selectorELNS0_4arch9wavefront6targetE0EEEvT1_,comdat
	.protected	_ZN7rocprim17ROCPRIM_400000_NS6detail17trampoline_kernelINS0_14default_configENS1_29reduce_by_key_config_selectorIssN6thrust23THRUST_200600_302600_NS4plusIsEEEEZZNS1_33reduce_by_key_impl_wrapped_configILNS1_25lookback_scan_determinismE0ES3_S9_NS6_6detail15normal_iteratorINS6_10device_ptrIsEEEESG_SG_SG_PmS8_22is_equal_div_10_reduceIsEEE10hipError_tPvRmT2_T3_mT4_T5_T6_T7_T8_P12ihipStream_tbENKUlT_T0_E_clISt17integral_constantIbLb0EES10_IbLb1EEEEDaSW_SX_EUlSW_E_NS1_11comp_targetILNS1_3genE2ELNS1_11target_archE906ELNS1_3gpuE6ELNS1_3repE0EEENS1_30default_config_static_selectorELNS0_4arch9wavefront6targetE0EEEvT1_ ; -- Begin function _ZN7rocprim17ROCPRIM_400000_NS6detail17trampoline_kernelINS0_14default_configENS1_29reduce_by_key_config_selectorIssN6thrust23THRUST_200600_302600_NS4plusIsEEEEZZNS1_33reduce_by_key_impl_wrapped_configILNS1_25lookback_scan_determinismE0ES3_S9_NS6_6detail15normal_iteratorINS6_10device_ptrIsEEEESG_SG_SG_PmS8_22is_equal_div_10_reduceIsEEE10hipError_tPvRmT2_T3_mT4_T5_T6_T7_T8_P12ihipStream_tbENKUlT_T0_E_clISt17integral_constantIbLb0EES10_IbLb1EEEEDaSW_SX_EUlSW_E_NS1_11comp_targetILNS1_3genE2ELNS1_11target_archE906ELNS1_3gpuE6ELNS1_3repE0EEENS1_30default_config_static_selectorELNS0_4arch9wavefront6targetE0EEEvT1_
	.globl	_ZN7rocprim17ROCPRIM_400000_NS6detail17trampoline_kernelINS0_14default_configENS1_29reduce_by_key_config_selectorIssN6thrust23THRUST_200600_302600_NS4plusIsEEEEZZNS1_33reduce_by_key_impl_wrapped_configILNS1_25lookback_scan_determinismE0ES3_S9_NS6_6detail15normal_iteratorINS6_10device_ptrIsEEEESG_SG_SG_PmS8_22is_equal_div_10_reduceIsEEE10hipError_tPvRmT2_T3_mT4_T5_T6_T7_T8_P12ihipStream_tbENKUlT_T0_E_clISt17integral_constantIbLb0EES10_IbLb1EEEEDaSW_SX_EUlSW_E_NS1_11comp_targetILNS1_3genE2ELNS1_11target_archE906ELNS1_3gpuE6ELNS1_3repE0EEENS1_30default_config_static_selectorELNS0_4arch9wavefront6targetE0EEEvT1_
	.p2align	8
	.type	_ZN7rocprim17ROCPRIM_400000_NS6detail17trampoline_kernelINS0_14default_configENS1_29reduce_by_key_config_selectorIssN6thrust23THRUST_200600_302600_NS4plusIsEEEEZZNS1_33reduce_by_key_impl_wrapped_configILNS1_25lookback_scan_determinismE0ES3_S9_NS6_6detail15normal_iteratorINS6_10device_ptrIsEEEESG_SG_SG_PmS8_22is_equal_div_10_reduceIsEEE10hipError_tPvRmT2_T3_mT4_T5_T6_T7_T8_P12ihipStream_tbENKUlT_T0_E_clISt17integral_constantIbLb0EES10_IbLb1EEEEDaSW_SX_EUlSW_E_NS1_11comp_targetILNS1_3genE2ELNS1_11target_archE906ELNS1_3gpuE6ELNS1_3repE0EEENS1_30default_config_static_selectorELNS0_4arch9wavefront6targetE0EEEvT1_,@function
_ZN7rocprim17ROCPRIM_400000_NS6detail17trampoline_kernelINS0_14default_configENS1_29reduce_by_key_config_selectorIssN6thrust23THRUST_200600_302600_NS4plusIsEEEEZZNS1_33reduce_by_key_impl_wrapped_configILNS1_25lookback_scan_determinismE0ES3_S9_NS6_6detail15normal_iteratorINS6_10device_ptrIsEEEESG_SG_SG_PmS8_22is_equal_div_10_reduceIsEEE10hipError_tPvRmT2_T3_mT4_T5_T6_T7_T8_P12ihipStream_tbENKUlT_T0_E_clISt17integral_constantIbLb0EES10_IbLb1EEEEDaSW_SX_EUlSW_E_NS1_11comp_targetILNS1_3genE2ELNS1_11target_archE906ELNS1_3gpuE6ELNS1_3repE0EEENS1_30default_config_static_selectorELNS0_4arch9wavefront6targetE0EEEvT1_: ; @_ZN7rocprim17ROCPRIM_400000_NS6detail17trampoline_kernelINS0_14default_configENS1_29reduce_by_key_config_selectorIssN6thrust23THRUST_200600_302600_NS4plusIsEEEEZZNS1_33reduce_by_key_impl_wrapped_configILNS1_25lookback_scan_determinismE0ES3_S9_NS6_6detail15normal_iteratorINS6_10device_ptrIsEEEESG_SG_SG_PmS8_22is_equal_div_10_reduceIsEEE10hipError_tPvRmT2_T3_mT4_T5_T6_T7_T8_P12ihipStream_tbENKUlT_T0_E_clISt17integral_constantIbLb0EES10_IbLb1EEEEDaSW_SX_EUlSW_E_NS1_11comp_targetILNS1_3genE2ELNS1_11target_archE906ELNS1_3gpuE6ELNS1_3repE0EEENS1_30default_config_static_selectorELNS0_4arch9wavefront6targetE0EEEvT1_
; %bb.0:
	.section	.rodata,"a",@progbits
	.p2align	6, 0x0
	.amdhsa_kernel _ZN7rocprim17ROCPRIM_400000_NS6detail17trampoline_kernelINS0_14default_configENS1_29reduce_by_key_config_selectorIssN6thrust23THRUST_200600_302600_NS4plusIsEEEEZZNS1_33reduce_by_key_impl_wrapped_configILNS1_25lookback_scan_determinismE0ES3_S9_NS6_6detail15normal_iteratorINS6_10device_ptrIsEEEESG_SG_SG_PmS8_22is_equal_div_10_reduceIsEEE10hipError_tPvRmT2_T3_mT4_T5_T6_T7_T8_P12ihipStream_tbENKUlT_T0_E_clISt17integral_constantIbLb0EES10_IbLb1EEEEDaSW_SX_EUlSW_E_NS1_11comp_targetILNS1_3genE2ELNS1_11target_archE906ELNS1_3gpuE6ELNS1_3repE0EEENS1_30default_config_static_selectorELNS0_4arch9wavefront6targetE0EEEvT1_
		.amdhsa_group_segment_fixed_size 0
		.amdhsa_private_segment_fixed_size 0
		.amdhsa_kernarg_size 120
		.amdhsa_user_sgpr_count 15
		.amdhsa_user_sgpr_dispatch_ptr 0
		.amdhsa_user_sgpr_queue_ptr 0
		.amdhsa_user_sgpr_kernarg_segment_ptr 1
		.amdhsa_user_sgpr_dispatch_id 0
		.amdhsa_user_sgpr_private_segment_size 0
		.amdhsa_wavefront_size32 1
		.amdhsa_uses_dynamic_stack 0
		.amdhsa_enable_private_segment 0
		.amdhsa_system_sgpr_workgroup_id_x 1
		.amdhsa_system_sgpr_workgroup_id_y 0
		.amdhsa_system_sgpr_workgroup_id_z 0
		.amdhsa_system_sgpr_workgroup_info 0
		.amdhsa_system_vgpr_workitem_id 0
		.amdhsa_next_free_vgpr 1
		.amdhsa_next_free_sgpr 1
		.amdhsa_reserve_vcc 0
		.amdhsa_float_round_mode_32 0
		.amdhsa_float_round_mode_16_64 0
		.amdhsa_float_denorm_mode_32 3
		.amdhsa_float_denorm_mode_16_64 3
		.amdhsa_dx10_clamp 1
		.amdhsa_ieee_mode 1
		.amdhsa_fp16_overflow 0
		.amdhsa_workgroup_processor_mode 1
		.amdhsa_memory_ordered 1
		.amdhsa_forward_progress 0
		.amdhsa_shared_vgpr_count 0
		.amdhsa_exception_fp_ieee_invalid_op 0
		.amdhsa_exception_fp_denorm_src 0
		.amdhsa_exception_fp_ieee_div_zero 0
		.amdhsa_exception_fp_ieee_overflow 0
		.amdhsa_exception_fp_ieee_underflow 0
		.amdhsa_exception_fp_ieee_inexact 0
		.amdhsa_exception_int_div_zero 0
	.end_amdhsa_kernel
	.section	.text._ZN7rocprim17ROCPRIM_400000_NS6detail17trampoline_kernelINS0_14default_configENS1_29reduce_by_key_config_selectorIssN6thrust23THRUST_200600_302600_NS4plusIsEEEEZZNS1_33reduce_by_key_impl_wrapped_configILNS1_25lookback_scan_determinismE0ES3_S9_NS6_6detail15normal_iteratorINS6_10device_ptrIsEEEESG_SG_SG_PmS8_22is_equal_div_10_reduceIsEEE10hipError_tPvRmT2_T3_mT4_T5_T6_T7_T8_P12ihipStream_tbENKUlT_T0_E_clISt17integral_constantIbLb0EES10_IbLb1EEEEDaSW_SX_EUlSW_E_NS1_11comp_targetILNS1_3genE2ELNS1_11target_archE906ELNS1_3gpuE6ELNS1_3repE0EEENS1_30default_config_static_selectorELNS0_4arch9wavefront6targetE0EEEvT1_,"axG",@progbits,_ZN7rocprim17ROCPRIM_400000_NS6detail17trampoline_kernelINS0_14default_configENS1_29reduce_by_key_config_selectorIssN6thrust23THRUST_200600_302600_NS4plusIsEEEEZZNS1_33reduce_by_key_impl_wrapped_configILNS1_25lookback_scan_determinismE0ES3_S9_NS6_6detail15normal_iteratorINS6_10device_ptrIsEEEESG_SG_SG_PmS8_22is_equal_div_10_reduceIsEEE10hipError_tPvRmT2_T3_mT4_T5_T6_T7_T8_P12ihipStream_tbENKUlT_T0_E_clISt17integral_constantIbLb0EES10_IbLb1EEEEDaSW_SX_EUlSW_E_NS1_11comp_targetILNS1_3genE2ELNS1_11target_archE906ELNS1_3gpuE6ELNS1_3repE0EEENS1_30default_config_static_selectorELNS0_4arch9wavefront6targetE0EEEvT1_,comdat
.Lfunc_end692:
	.size	_ZN7rocprim17ROCPRIM_400000_NS6detail17trampoline_kernelINS0_14default_configENS1_29reduce_by_key_config_selectorIssN6thrust23THRUST_200600_302600_NS4plusIsEEEEZZNS1_33reduce_by_key_impl_wrapped_configILNS1_25lookback_scan_determinismE0ES3_S9_NS6_6detail15normal_iteratorINS6_10device_ptrIsEEEESG_SG_SG_PmS8_22is_equal_div_10_reduceIsEEE10hipError_tPvRmT2_T3_mT4_T5_T6_T7_T8_P12ihipStream_tbENKUlT_T0_E_clISt17integral_constantIbLb0EES10_IbLb1EEEEDaSW_SX_EUlSW_E_NS1_11comp_targetILNS1_3genE2ELNS1_11target_archE906ELNS1_3gpuE6ELNS1_3repE0EEENS1_30default_config_static_selectorELNS0_4arch9wavefront6targetE0EEEvT1_, .Lfunc_end692-_ZN7rocprim17ROCPRIM_400000_NS6detail17trampoline_kernelINS0_14default_configENS1_29reduce_by_key_config_selectorIssN6thrust23THRUST_200600_302600_NS4plusIsEEEEZZNS1_33reduce_by_key_impl_wrapped_configILNS1_25lookback_scan_determinismE0ES3_S9_NS6_6detail15normal_iteratorINS6_10device_ptrIsEEEESG_SG_SG_PmS8_22is_equal_div_10_reduceIsEEE10hipError_tPvRmT2_T3_mT4_T5_T6_T7_T8_P12ihipStream_tbENKUlT_T0_E_clISt17integral_constantIbLb0EES10_IbLb1EEEEDaSW_SX_EUlSW_E_NS1_11comp_targetILNS1_3genE2ELNS1_11target_archE906ELNS1_3gpuE6ELNS1_3repE0EEENS1_30default_config_static_selectorELNS0_4arch9wavefront6targetE0EEEvT1_
                                        ; -- End function
	.section	.AMDGPU.csdata,"",@progbits
; Kernel info:
; codeLenInByte = 0
; NumSgprs: 0
; NumVgprs: 0
; ScratchSize: 0
; MemoryBound: 0
; FloatMode: 240
; IeeeMode: 1
; LDSByteSize: 0 bytes/workgroup (compile time only)
; SGPRBlocks: 0
; VGPRBlocks: 0
; NumSGPRsForWavesPerEU: 1
; NumVGPRsForWavesPerEU: 1
; Occupancy: 16
; WaveLimiterHint : 0
; COMPUTE_PGM_RSRC2:SCRATCH_EN: 0
; COMPUTE_PGM_RSRC2:USER_SGPR: 15
; COMPUTE_PGM_RSRC2:TRAP_HANDLER: 0
; COMPUTE_PGM_RSRC2:TGID_X_EN: 1
; COMPUTE_PGM_RSRC2:TGID_Y_EN: 0
; COMPUTE_PGM_RSRC2:TGID_Z_EN: 0
; COMPUTE_PGM_RSRC2:TIDIG_COMP_CNT: 0
	.section	.text._ZN7rocprim17ROCPRIM_400000_NS6detail17trampoline_kernelINS0_14default_configENS1_29reduce_by_key_config_selectorIssN6thrust23THRUST_200600_302600_NS4plusIsEEEEZZNS1_33reduce_by_key_impl_wrapped_configILNS1_25lookback_scan_determinismE0ES3_S9_NS6_6detail15normal_iteratorINS6_10device_ptrIsEEEESG_SG_SG_PmS8_22is_equal_div_10_reduceIsEEE10hipError_tPvRmT2_T3_mT4_T5_T6_T7_T8_P12ihipStream_tbENKUlT_T0_E_clISt17integral_constantIbLb0EES10_IbLb1EEEEDaSW_SX_EUlSW_E_NS1_11comp_targetILNS1_3genE10ELNS1_11target_archE1201ELNS1_3gpuE5ELNS1_3repE0EEENS1_30default_config_static_selectorELNS0_4arch9wavefront6targetE0EEEvT1_,"axG",@progbits,_ZN7rocprim17ROCPRIM_400000_NS6detail17trampoline_kernelINS0_14default_configENS1_29reduce_by_key_config_selectorIssN6thrust23THRUST_200600_302600_NS4plusIsEEEEZZNS1_33reduce_by_key_impl_wrapped_configILNS1_25lookback_scan_determinismE0ES3_S9_NS6_6detail15normal_iteratorINS6_10device_ptrIsEEEESG_SG_SG_PmS8_22is_equal_div_10_reduceIsEEE10hipError_tPvRmT2_T3_mT4_T5_T6_T7_T8_P12ihipStream_tbENKUlT_T0_E_clISt17integral_constantIbLb0EES10_IbLb1EEEEDaSW_SX_EUlSW_E_NS1_11comp_targetILNS1_3genE10ELNS1_11target_archE1201ELNS1_3gpuE5ELNS1_3repE0EEENS1_30default_config_static_selectorELNS0_4arch9wavefront6targetE0EEEvT1_,comdat
	.protected	_ZN7rocprim17ROCPRIM_400000_NS6detail17trampoline_kernelINS0_14default_configENS1_29reduce_by_key_config_selectorIssN6thrust23THRUST_200600_302600_NS4plusIsEEEEZZNS1_33reduce_by_key_impl_wrapped_configILNS1_25lookback_scan_determinismE0ES3_S9_NS6_6detail15normal_iteratorINS6_10device_ptrIsEEEESG_SG_SG_PmS8_22is_equal_div_10_reduceIsEEE10hipError_tPvRmT2_T3_mT4_T5_T6_T7_T8_P12ihipStream_tbENKUlT_T0_E_clISt17integral_constantIbLb0EES10_IbLb1EEEEDaSW_SX_EUlSW_E_NS1_11comp_targetILNS1_3genE10ELNS1_11target_archE1201ELNS1_3gpuE5ELNS1_3repE0EEENS1_30default_config_static_selectorELNS0_4arch9wavefront6targetE0EEEvT1_ ; -- Begin function _ZN7rocprim17ROCPRIM_400000_NS6detail17trampoline_kernelINS0_14default_configENS1_29reduce_by_key_config_selectorIssN6thrust23THRUST_200600_302600_NS4plusIsEEEEZZNS1_33reduce_by_key_impl_wrapped_configILNS1_25lookback_scan_determinismE0ES3_S9_NS6_6detail15normal_iteratorINS6_10device_ptrIsEEEESG_SG_SG_PmS8_22is_equal_div_10_reduceIsEEE10hipError_tPvRmT2_T3_mT4_T5_T6_T7_T8_P12ihipStream_tbENKUlT_T0_E_clISt17integral_constantIbLb0EES10_IbLb1EEEEDaSW_SX_EUlSW_E_NS1_11comp_targetILNS1_3genE10ELNS1_11target_archE1201ELNS1_3gpuE5ELNS1_3repE0EEENS1_30default_config_static_selectorELNS0_4arch9wavefront6targetE0EEEvT1_
	.globl	_ZN7rocprim17ROCPRIM_400000_NS6detail17trampoline_kernelINS0_14default_configENS1_29reduce_by_key_config_selectorIssN6thrust23THRUST_200600_302600_NS4plusIsEEEEZZNS1_33reduce_by_key_impl_wrapped_configILNS1_25lookback_scan_determinismE0ES3_S9_NS6_6detail15normal_iteratorINS6_10device_ptrIsEEEESG_SG_SG_PmS8_22is_equal_div_10_reduceIsEEE10hipError_tPvRmT2_T3_mT4_T5_T6_T7_T8_P12ihipStream_tbENKUlT_T0_E_clISt17integral_constantIbLb0EES10_IbLb1EEEEDaSW_SX_EUlSW_E_NS1_11comp_targetILNS1_3genE10ELNS1_11target_archE1201ELNS1_3gpuE5ELNS1_3repE0EEENS1_30default_config_static_selectorELNS0_4arch9wavefront6targetE0EEEvT1_
	.p2align	8
	.type	_ZN7rocprim17ROCPRIM_400000_NS6detail17trampoline_kernelINS0_14default_configENS1_29reduce_by_key_config_selectorIssN6thrust23THRUST_200600_302600_NS4plusIsEEEEZZNS1_33reduce_by_key_impl_wrapped_configILNS1_25lookback_scan_determinismE0ES3_S9_NS6_6detail15normal_iteratorINS6_10device_ptrIsEEEESG_SG_SG_PmS8_22is_equal_div_10_reduceIsEEE10hipError_tPvRmT2_T3_mT4_T5_T6_T7_T8_P12ihipStream_tbENKUlT_T0_E_clISt17integral_constantIbLb0EES10_IbLb1EEEEDaSW_SX_EUlSW_E_NS1_11comp_targetILNS1_3genE10ELNS1_11target_archE1201ELNS1_3gpuE5ELNS1_3repE0EEENS1_30default_config_static_selectorELNS0_4arch9wavefront6targetE0EEEvT1_,@function
_ZN7rocprim17ROCPRIM_400000_NS6detail17trampoline_kernelINS0_14default_configENS1_29reduce_by_key_config_selectorIssN6thrust23THRUST_200600_302600_NS4plusIsEEEEZZNS1_33reduce_by_key_impl_wrapped_configILNS1_25lookback_scan_determinismE0ES3_S9_NS6_6detail15normal_iteratorINS6_10device_ptrIsEEEESG_SG_SG_PmS8_22is_equal_div_10_reduceIsEEE10hipError_tPvRmT2_T3_mT4_T5_T6_T7_T8_P12ihipStream_tbENKUlT_T0_E_clISt17integral_constantIbLb0EES10_IbLb1EEEEDaSW_SX_EUlSW_E_NS1_11comp_targetILNS1_3genE10ELNS1_11target_archE1201ELNS1_3gpuE5ELNS1_3repE0EEENS1_30default_config_static_selectorELNS0_4arch9wavefront6targetE0EEEvT1_: ; @_ZN7rocprim17ROCPRIM_400000_NS6detail17trampoline_kernelINS0_14default_configENS1_29reduce_by_key_config_selectorIssN6thrust23THRUST_200600_302600_NS4plusIsEEEEZZNS1_33reduce_by_key_impl_wrapped_configILNS1_25lookback_scan_determinismE0ES3_S9_NS6_6detail15normal_iteratorINS6_10device_ptrIsEEEESG_SG_SG_PmS8_22is_equal_div_10_reduceIsEEE10hipError_tPvRmT2_T3_mT4_T5_T6_T7_T8_P12ihipStream_tbENKUlT_T0_E_clISt17integral_constantIbLb0EES10_IbLb1EEEEDaSW_SX_EUlSW_E_NS1_11comp_targetILNS1_3genE10ELNS1_11target_archE1201ELNS1_3gpuE5ELNS1_3repE0EEENS1_30default_config_static_selectorELNS0_4arch9wavefront6targetE0EEEvT1_
; %bb.0:
	.section	.rodata,"a",@progbits
	.p2align	6, 0x0
	.amdhsa_kernel _ZN7rocprim17ROCPRIM_400000_NS6detail17trampoline_kernelINS0_14default_configENS1_29reduce_by_key_config_selectorIssN6thrust23THRUST_200600_302600_NS4plusIsEEEEZZNS1_33reduce_by_key_impl_wrapped_configILNS1_25lookback_scan_determinismE0ES3_S9_NS6_6detail15normal_iteratorINS6_10device_ptrIsEEEESG_SG_SG_PmS8_22is_equal_div_10_reduceIsEEE10hipError_tPvRmT2_T3_mT4_T5_T6_T7_T8_P12ihipStream_tbENKUlT_T0_E_clISt17integral_constantIbLb0EES10_IbLb1EEEEDaSW_SX_EUlSW_E_NS1_11comp_targetILNS1_3genE10ELNS1_11target_archE1201ELNS1_3gpuE5ELNS1_3repE0EEENS1_30default_config_static_selectorELNS0_4arch9wavefront6targetE0EEEvT1_
		.amdhsa_group_segment_fixed_size 0
		.amdhsa_private_segment_fixed_size 0
		.amdhsa_kernarg_size 120
		.amdhsa_user_sgpr_count 15
		.amdhsa_user_sgpr_dispatch_ptr 0
		.amdhsa_user_sgpr_queue_ptr 0
		.amdhsa_user_sgpr_kernarg_segment_ptr 1
		.amdhsa_user_sgpr_dispatch_id 0
		.amdhsa_user_sgpr_private_segment_size 0
		.amdhsa_wavefront_size32 1
		.amdhsa_uses_dynamic_stack 0
		.amdhsa_enable_private_segment 0
		.amdhsa_system_sgpr_workgroup_id_x 1
		.amdhsa_system_sgpr_workgroup_id_y 0
		.amdhsa_system_sgpr_workgroup_id_z 0
		.amdhsa_system_sgpr_workgroup_info 0
		.amdhsa_system_vgpr_workitem_id 0
		.amdhsa_next_free_vgpr 1
		.amdhsa_next_free_sgpr 1
		.amdhsa_reserve_vcc 0
		.amdhsa_float_round_mode_32 0
		.amdhsa_float_round_mode_16_64 0
		.amdhsa_float_denorm_mode_32 3
		.amdhsa_float_denorm_mode_16_64 3
		.amdhsa_dx10_clamp 1
		.amdhsa_ieee_mode 1
		.amdhsa_fp16_overflow 0
		.amdhsa_workgroup_processor_mode 1
		.amdhsa_memory_ordered 1
		.amdhsa_forward_progress 0
		.amdhsa_shared_vgpr_count 0
		.amdhsa_exception_fp_ieee_invalid_op 0
		.amdhsa_exception_fp_denorm_src 0
		.amdhsa_exception_fp_ieee_div_zero 0
		.amdhsa_exception_fp_ieee_overflow 0
		.amdhsa_exception_fp_ieee_underflow 0
		.amdhsa_exception_fp_ieee_inexact 0
		.amdhsa_exception_int_div_zero 0
	.end_amdhsa_kernel
	.section	.text._ZN7rocprim17ROCPRIM_400000_NS6detail17trampoline_kernelINS0_14default_configENS1_29reduce_by_key_config_selectorIssN6thrust23THRUST_200600_302600_NS4plusIsEEEEZZNS1_33reduce_by_key_impl_wrapped_configILNS1_25lookback_scan_determinismE0ES3_S9_NS6_6detail15normal_iteratorINS6_10device_ptrIsEEEESG_SG_SG_PmS8_22is_equal_div_10_reduceIsEEE10hipError_tPvRmT2_T3_mT4_T5_T6_T7_T8_P12ihipStream_tbENKUlT_T0_E_clISt17integral_constantIbLb0EES10_IbLb1EEEEDaSW_SX_EUlSW_E_NS1_11comp_targetILNS1_3genE10ELNS1_11target_archE1201ELNS1_3gpuE5ELNS1_3repE0EEENS1_30default_config_static_selectorELNS0_4arch9wavefront6targetE0EEEvT1_,"axG",@progbits,_ZN7rocprim17ROCPRIM_400000_NS6detail17trampoline_kernelINS0_14default_configENS1_29reduce_by_key_config_selectorIssN6thrust23THRUST_200600_302600_NS4plusIsEEEEZZNS1_33reduce_by_key_impl_wrapped_configILNS1_25lookback_scan_determinismE0ES3_S9_NS6_6detail15normal_iteratorINS6_10device_ptrIsEEEESG_SG_SG_PmS8_22is_equal_div_10_reduceIsEEE10hipError_tPvRmT2_T3_mT4_T5_T6_T7_T8_P12ihipStream_tbENKUlT_T0_E_clISt17integral_constantIbLb0EES10_IbLb1EEEEDaSW_SX_EUlSW_E_NS1_11comp_targetILNS1_3genE10ELNS1_11target_archE1201ELNS1_3gpuE5ELNS1_3repE0EEENS1_30default_config_static_selectorELNS0_4arch9wavefront6targetE0EEEvT1_,comdat
.Lfunc_end693:
	.size	_ZN7rocprim17ROCPRIM_400000_NS6detail17trampoline_kernelINS0_14default_configENS1_29reduce_by_key_config_selectorIssN6thrust23THRUST_200600_302600_NS4plusIsEEEEZZNS1_33reduce_by_key_impl_wrapped_configILNS1_25lookback_scan_determinismE0ES3_S9_NS6_6detail15normal_iteratorINS6_10device_ptrIsEEEESG_SG_SG_PmS8_22is_equal_div_10_reduceIsEEE10hipError_tPvRmT2_T3_mT4_T5_T6_T7_T8_P12ihipStream_tbENKUlT_T0_E_clISt17integral_constantIbLb0EES10_IbLb1EEEEDaSW_SX_EUlSW_E_NS1_11comp_targetILNS1_3genE10ELNS1_11target_archE1201ELNS1_3gpuE5ELNS1_3repE0EEENS1_30default_config_static_selectorELNS0_4arch9wavefront6targetE0EEEvT1_, .Lfunc_end693-_ZN7rocprim17ROCPRIM_400000_NS6detail17trampoline_kernelINS0_14default_configENS1_29reduce_by_key_config_selectorIssN6thrust23THRUST_200600_302600_NS4plusIsEEEEZZNS1_33reduce_by_key_impl_wrapped_configILNS1_25lookback_scan_determinismE0ES3_S9_NS6_6detail15normal_iteratorINS6_10device_ptrIsEEEESG_SG_SG_PmS8_22is_equal_div_10_reduceIsEEE10hipError_tPvRmT2_T3_mT4_T5_T6_T7_T8_P12ihipStream_tbENKUlT_T0_E_clISt17integral_constantIbLb0EES10_IbLb1EEEEDaSW_SX_EUlSW_E_NS1_11comp_targetILNS1_3genE10ELNS1_11target_archE1201ELNS1_3gpuE5ELNS1_3repE0EEENS1_30default_config_static_selectorELNS0_4arch9wavefront6targetE0EEEvT1_
                                        ; -- End function
	.section	.AMDGPU.csdata,"",@progbits
; Kernel info:
; codeLenInByte = 0
; NumSgprs: 0
; NumVgprs: 0
; ScratchSize: 0
; MemoryBound: 0
; FloatMode: 240
; IeeeMode: 1
; LDSByteSize: 0 bytes/workgroup (compile time only)
; SGPRBlocks: 0
; VGPRBlocks: 0
; NumSGPRsForWavesPerEU: 1
; NumVGPRsForWavesPerEU: 1
; Occupancy: 16
; WaveLimiterHint : 0
; COMPUTE_PGM_RSRC2:SCRATCH_EN: 0
; COMPUTE_PGM_RSRC2:USER_SGPR: 15
; COMPUTE_PGM_RSRC2:TRAP_HANDLER: 0
; COMPUTE_PGM_RSRC2:TGID_X_EN: 1
; COMPUTE_PGM_RSRC2:TGID_Y_EN: 0
; COMPUTE_PGM_RSRC2:TGID_Z_EN: 0
; COMPUTE_PGM_RSRC2:TIDIG_COMP_CNT: 0
	.section	.text._ZN7rocprim17ROCPRIM_400000_NS6detail17trampoline_kernelINS0_14default_configENS1_29reduce_by_key_config_selectorIssN6thrust23THRUST_200600_302600_NS4plusIsEEEEZZNS1_33reduce_by_key_impl_wrapped_configILNS1_25lookback_scan_determinismE0ES3_S9_NS6_6detail15normal_iteratorINS6_10device_ptrIsEEEESG_SG_SG_PmS8_22is_equal_div_10_reduceIsEEE10hipError_tPvRmT2_T3_mT4_T5_T6_T7_T8_P12ihipStream_tbENKUlT_T0_E_clISt17integral_constantIbLb0EES10_IbLb1EEEEDaSW_SX_EUlSW_E_NS1_11comp_targetILNS1_3genE10ELNS1_11target_archE1200ELNS1_3gpuE4ELNS1_3repE0EEENS1_30default_config_static_selectorELNS0_4arch9wavefront6targetE0EEEvT1_,"axG",@progbits,_ZN7rocprim17ROCPRIM_400000_NS6detail17trampoline_kernelINS0_14default_configENS1_29reduce_by_key_config_selectorIssN6thrust23THRUST_200600_302600_NS4plusIsEEEEZZNS1_33reduce_by_key_impl_wrapped_configILNS1_25lookback_scan_determinismE0ES3_S9_NS6_6detail15normal_iteratorINS6_10device_ptrIsEEEESG_SG_SG_PmS8_22is_equal_div_10_reduceIsEEE10hipError_tPvRmT2_T3_mT4_T5_T6_T7_T8_P12ihipStream_tbENKUlT_T0_E_clISt17integral_constantIbLb0EES10_IbLb1EEEEDaSW_SX_EUlSW_E_NS1_11comp_targetILNS1_3genE10ELNS1_11target_archE1200ELNS1_3gpuE4ELNS1_3repE0EEENS1_30default_config_static_selectorELNS0_4arch9wavefront6targetE0EEEvT1_,comdat
	.protected	_ZN7rocprim17ROCPRIM_400000_NS6detail17trampoline_kernelINS0_14default_configENS1_29reduce_by_key_config_selectorIssN6thrust23THRUST_200600_302600_NS4plusIsEEEEZZNS1_33reduce_by_key_impl_wrapped_configILNS1_25lookback_scan_determinismE0ES3_S9_NS6_6detail15normal_iteratorINS6_10device_ptrIsEEEESG_SG_SG_PmS8_22is_equal_div_10_reduceIsEEE10hipError_tPvRmT2_T3_mT4_T5_T6_T7_T8_P12ihipStream_tbENKUlT_T0_E_clISt17integral_constantIbLb0EES10_IbLb1EEEEDaSW_SX_EUlSW_E_NS1_11comp_targetILNS1_3genE10ELNS1_11target_archE1200ELNS1_3gpuE4ELNS1_3repE0EEENS1_30default_config_static_selectorELNS0_4arch9wavefront6targetE0EEEvT1_ ; -- Begin function _ZN7rocprim17ROCPRIM_400000_NS6detail17trampoline_kernelINS0_14default_configENS1_29reduce_by_key_config_selectorIssN6thrust23THRUST_200600_302600_NS4plusIsEEEEZZNS1_33reduce_by_key_impl_wrapped_configILNS1_25lookback_scan_determinismE0ES3_S9_NS6_6detail15normal_iteratorINS6_10device_ptrIsEEEESG_SG_SG_PmS8_22is_equal_div_10_reduceIsEEE10hipError_tPvRmT2_T3_mT4_T5_T6_T7_T8_P12ihipStream_tbENKUlT_T0_E_clISt17integral_constantIbLb0EES10_IbLb1EEEEDaSW_SX_EUlSW_E_NS1_11comp_targetILNS1_3genE10ELNS1_11target_archE1200ELNS1_3gpuE4ELNS1_3repE0EEENS1_30default_config_static_selectorELNS0_4arch9wavefront6targetE0EEEvT1_
	.globl	_ZN7rocprim17ROCPRIM_400000_NS6detail17trampoline_kernelINS0_14default_configENS1_29reduce_by_key_config_selectorIssN6thrust23THRUST_200600_302600_NS4plusIsEEEEZZNS1_33reduce_by_key_impl_wrapped_configILNS1_25lookback_scan_determinismE0ES3_S9_NS6_6detail15normal_iteratorINS6_10device_ptrIsEEEESG_SG_SG_PmS8_22is_equal_div_10_reduceIsEEE10hipError_tPvRmT2_T3_mT4_T5_T6_T7_T8_P12ihipStream_tbENKUlT_T0_E_clISt17integral_constantIbLb0EES10_IbLb1EEEEDaSW_SX_EUlSW_E_NS1_11comp_targetILNS1_3genE10ELNS1_11target_archE1200ELNS1_3gpuE4ELNS1_3repE0EEENS1_30default_config_static_selectorELNS0_4arch9wavefront6targetE0EEEvT1_
	.p2align	8
	.type	_ZN7rocprim17ROCPRIM_400000_NS6detail17trampoline_kernelINS0_14default_configENS1_29reduce_by_key_config_selectorIssN6thrust23THRUST_200600_302600_NS4plusIsEEEEZZNS1_33reduce_by_key_impl_wrapped_configILNS1_25lookback_scan_determinismE0ES3_S9_NS6_6detail15normal_iteratorINS6_10device_ptrIsEEEESG_SG_SG_PmS8_22is_equal_div_10_reduceIsEEE10hipError_tPvRmT2_T3_mT4_T5_T6_T7_T8_P12ihipStream_tbENKUlT_T0_E_clISt17integral_constantIbLb0EES10_IbLb1EEEEDaSW_SX_EUlSW_E_NS1_11comp_targetILNS1_3genE10ELNS1_11target_archE1200ELNS1_3gpuE4ELNS1_3repE0EEENS1_30default_config_static_selectorELNS0_4arch9wavefront6targetE0EEEvT1_,@function
_ZN7rocprim17ROCPRIM_400000_NS6detail17trampoline_kernelINS0_14default_configENS1_29reduce_by_key_config_selectorIssN6thrust23THRUST_200600_302600_NS4plusIsEEEEZZNS1_33reduce_by_key_impl_wrapped_configILNS1_25lookback_scan_determinismE0ES3_S9_NS6_6detail15normal_iteratorINS6_10device_ptrIsEEEESG_SG_SG_PmS8_22is_equal_div_10_reduceIsEEE10hipError_tPvRmT2_T3_mT4_T5_T6_T7_T8_P12ihipStream_tbENKUlT_T0_E_clISt17integral_constantIbLb0EES10_IbLb1EEEEDaSW_SX_EUlSW_E_NS1_11comp_targetILNS1_3genE10ELNS1_11target_archE1200ELNS1_3gpuE4ELNS1_3repE0EEENS1_30default_config_static_selectorELNS0_4arch9wavefront6targetE0EEEvT1_: ; @_ZN7rocprim17ROCPRIM_400000_NS6detail17trampoline_kernelINS0_14default_configENS1_29reduce_by_key_config_selectorIssN6thrust23THRUST_200600_302600_NS4plusIsEEEEZZNS1_33reduce_by_key_impl_wrapped_configILNS1_25lookback_scan_determinismE0ES3_S9_NS6_6detail15normal_iteratorINS6_10device_ptrIsEEEESG_SG_SG_PmS8_22is_equal_div_10_reduceIsEEE10hipError_tPvRmT2_T3_mT4_T5_T6_T7_T8_P12ihipStream_tbENKUlT_T0_E_clISt17integral_constantIbLb0EES10_IbLb1EEEEDaSW_SX_EUlSW_E_NS1_11comp_targetILNS1_3genE10ELNS1_11target_archE1200ELNS1_3gpuE4ELNS1_3repE0EEENS1_30default_config_static_selectorELNS0_4arch9wavefront6targetE0EEEvT1_
; %bb.0:
	.section	.rodata,"a",@progbits
	.p2align	6, 0x0
	.amdhsa_kernel _ZN7rocprim17ROCPRIM_400000_NS6detail17trampoline_kernelINS0_14default_configENS1_29reduce_by_key_config_selectorIssN6thrust23THRUST_200600_302600_NS4plusIsEEEEZZNS1_33reduce_by_key_impl_wrapped_configILNS1_25lookback_scan_determinismE0ES3_S9_NS6_6detail15normal_iteratorINS6_10device_ptrIsEEEESG_SG_SG_PmS8_22is_equal_div_10_reduceIsEEE10hipError_tPvRmT2_T3_mT4_T5_T6_T7_T8_P12ihipStream_tbENKUlT_T0_E_clISt17integral_constantIbLb0EES10_IbLb1EEEEDaSW_SX_EUlSW_E_NS1_11comp_targetILNS1_3genE10ELNS1_11target_archE1200ELNS1_3gpuE4ELNS1_3repE0EEENS1_30default_config_static_selectorELNS0_4arch9wavefront6targetE0EEEvT1_
		.amdhsa_group_segment_fixed_size 0
		.amdhsa_private_segment_fixed_size 0
		.amdhsa_kernarg_size 120
		.amdhsa_user_sgpr_count 15
		.amdhsa_user_sgpr_dispatch_ptr 0
		.amdhsa_user_sgpr_queue_ptr 0
		.amdhsa_user_sgpr_kernarg_segment_ptr 1
		.amdhsa_user_sgpr_dispatch_id 0
		.amdhsa_user_sgpr_private_segment_size 0
		.amdhsa_wavefront_size32 1
		.amdhsa_uses_dynamic_stack 0
		.amdhsa_enable_private_segment 0
		.amdhsa_system_sgpr_workgroup_id_x 1
		.amdhsa_system_sgpr_workgroup_id_y 0
		.amdhsa_system_sgpr_workgroup_id_z 0
		.amdhsa_system_sgpr_workgroup_info 0
		.amdhsa_system_vgpr_workitem_id 0
		.amdhsa_next_free_vgpr 1
		.amdhsa_next_free_sgpr 1
		.amdhsa_reserve_vcc 0
		.amdhsa_float_round_mode_32 0
		.amdhsa_float_round_mode_16_64 0
		.amdhsa_float_denorm_mode_32 3
		.amdhsa_float_denorm_mode_16_64 3
		.amdhsa_dx10_clamp 1
		.amdhsa_ieee_mode 1
		.amdhsa_fp16_overflow 0
		.amdhsa_workgroup_processor_mode 1
		.amdhsa_memory_ordered 1
		.amdhsa_forward_progress 0
		.amdhsa_shared_vgpr_count 0
		.amdhsa_exception_fp_ieee_invalid_op 0
		.amdhsa_exception_fp_denorm_src 0
		.amdhsa_exception_fp_ieee_div_zero 0
		.amdhsa_exception_fp_ieee_overflow 0
		.amdhsa_exception_fp_ieee_underflow 0
		.amdhsa_exception_fp_ieee_inexact 0
		.amdhsa_exception_int_div_zero 0
	.end_amdhsa_kernel
	.section	.text._ZN7rocprim17ROCPRIM_400000_NS6detail17trampoline_kernelINS0_14default_configENS1_29reduce_by_key_config_selectorIssN6thrust23THRUST_200600_302600_NS4plusIsEEEEZZNS1_33reduce_by_key_impl_wrapped_configILNS1_25lookback_scan_determinismE0ES3_S9_NS6_6detail15normal_iteratorINS6_10device_ptrIsEEEESG_SG_SG_PmS8_22is_equal_div_10_reduceIsEEE10hipError_tPvRmT2_T3_mT4_T5_T6_T7_T8_P12ihipStream_tbENKUlT_T0_E_clISt17integral_constantIbLb0EES10_IbLb1EEEEDaSW_SX_EUlSW_E_NS1_11comp_targetILNS1_3genE10ELNS1_11target_archE1200ELNS1_3gpuE4ELNS1_3repE0EEENS1_30default_config_static_selectorELNS0_4arch9wavefront6targetE0EEEvT1_,"axG",@progbits,_ZN7rocprim17ROCPRIM_400000_NS6detail17trampoline_kernelINS0_14default_configENS1_29reduce_by_key_config_selectorIssN6thrust23THRUST_200600_302600_NS4plusIsEEEEZZNS1_33reduce_by_key_impl_wrapped_configILNS1_25lookback_scan_determinismE0ES3_S9_NS6_6detail15normal_iteratorINS6_10device_ptrIsEEEESG_SG_SG_PmS8_22is_equal_div_10_reduceIsEEE10hipError_tPvRmT2_T3_mT4_T5_T6_T7_T8_P12ihipStream_tbENKUlT_T0_E_clISt17integral_constantIbLb0EES10_IbLb1EEEEDaSW_SX_EUlSW_E_NS1_11comp_targetILNS1_3genE10ELNS1_11target_archE1200ELNS1_3gpuE4ELNS1_3repE0EEENS1_30default_config_static_selectorELNS0_4arch9wavefront6targetE0EEEvT1_,comdat
.Lfunc_end694:
	.size	_ZN7rocprim17ROCPRIM_400000_NS6detail17trampoline_kernelINS0_14default_configENS1_29reduce_by_key_config_selectorIssN6thrust23THRUST_200600_302600_NS4plusIsEEEEZZNS1_33reduce_by_key_impl_wrapped_configILNS1_25lookback_scan_determinismE0ES3_S9_NS6_6detail15normal_iteratorINS6_10device_ptrIsEEEESG_SG_SG_PmS8_22is_equal_div_10_reduceIsEEE10hipError_tPvRmT2_T3_mT4_T5_T6_T7_T8_P12ihipStream_tbENKUlT_T0_E_clISt17integral_constantIbLb0EES10_IbLb1EEEEDaSW_SX_EUlSW_E_NS1_11comp_targetILNS1_3genE10ELNS1_11target_archE1200ELNS1_3gpuE4ELNS1_3repE0EEENS1_30default_config_static_selectorELNS0_4arch9wavefront6targetE0EEEvT1_, .Lfunc_end694-_ZN7rocprim17ROCPRIM_400000_NS6detail17trampoline_kernelINS0_14default_configENS1_29reduce_by_key_config_selectorIssN6thrust23THRUST_200600_302600_NS4plusIsEEEEZZNS1_33reduce_by_key_impl_wrapped_configILNS1_25lookback_scan_determinismE0ES3_S9_NS6_6detail15normal_iteratorINS6_10device_ptrIsEEEESG_SG_SG_PmS8_22is_equal_div_10_reduceIsEEE10hipError_tPvRmT2_T3_mT4_T5_T6_T7_T8_P12ihipStream_tbENKUlT_T0_E_clISt17integral_constantIbLb0EES10_IbLb1EEEEDaSW_SX_EUlSW_E_NS1_11comp_targetILNS1_3genE10ELNS1_11target_archE1200ELNS1_3gpuE4ELNS1_3repE0EEENS1_30default_config_static_selectorELNS0_4arch9wavefront6targetE0EEEvT1_
                                        ; -- End function
	.section	.AMDGPU.csdata,"",@progbits
; Kernel info:
; codeLenInByte = 0
; NumSgprs: 0
; NumVgprs: 0
; ScratchSize: 0
; MemoryBound: 0
; FloatMode: 240
; IeeeMode: 1
; LDSByteSize: 0 bytes/workgroup (compile time only)
; SGPRBlocks: 0
; VGPRBlocks: 0
; NumSGPRsForWavesPerEU: 1
; NumVGPRsForWavesPerEU: 1
; Occupancy: 16
; WaveLimiterHint : 0
; COMPUTE_PGM_RSRC2:SCRATCH_EN: 0
; COMPUTE_PGM_RSRC2:USER_SGPR: 15
; COMPUTE_PGM_RSRC2:TRAP_HANDLER: 0
; COMPUTE_PGM_RSRC2:TGID_X_EN: 1
; COMPUTE_PGM_RSRC2:TGID_Y_EN: 0
; COMPUTE_PGM_RSRC2:TGID_Z_EN: 0
; COMPUTE_PGM_RSRC2:TIDIG_COMP_CNT: 0
	.section	.text._ZN7rocprim17ROCPRIM_400000_NS6detail17trampoline_kernelINS0_14default_configENS1_29reduce_by_key_config_selectorIssN6thrust23THRUST_200600_302600_NS4plusIsEEEEZZNS1_33reduce_by_key_impl_wrapped_configILNS1_25lookback_scan_determinismE0ES3_S9_NS6_6detail15normal_iteratorINS6_10device_ptrIsEEEESG_SG_SG_PmS8_22is_equal_div_10_reduceIsEEE10hipError_tPvRmT2_T3_mT4_T5_T6_T7_T8_P12ihipStream_tbENKUlT_T0_E_clISt17integral_constantIbLb0EES10_IbLb1EEEEDaSW_SX_EUlSW_E_NS1_11comp_targetILNS1_3genE9ELNS1_11target_archE1100ELNS1_3gpuE3ELNS1_3repE0EEENS1_30default_config_static_selectorELNS0_4arch9wavefront6targetE0EEEvT1_,"axG",@progbits,_ZN7rocprim17ROCPRIM_400000_NS6detail17trampoline_kernelINS0_14default_configENS1_29reduce_by_key_config_selectorIssN6thrust23THRUST_200600_302600_NS4plusIsEEEEZZNS1_33reduce_by_key_impl_wrapped_configILNS1_25lookback_scan_determinismE0ES3_S9_NS6_6detail15normal_iteratorINS6_10device_ptrIsEEEESG_SG_SG_PmS8_22is_equal_div_10_reduceIsEEE10hipError_tPvRmT2_T3_mT4_T5_T6_T7_T8_P12ihipStream_tbENKUlT_T0_E_clISt17integral_constantIbLb0EES10_IbLb1EEEEDaSW_SX_EUlSW_E_NS1_11comp_targetILNS1_3genE9ELNS1_11target_archE1100ELNS1_3gpuE3ELNS1_3repE0EEENS1_30default_config_static_selectorELNS0_4arch9wavefront6targetE0EEEvT1_,comdat
	.protected	_ZN7rocprim17ROCPRIM_400000_NS6detail17trampoline_kernelINS0_14default_configENS1_29reduce_by_key_config_selectorIssN6thrust23THRUST_200600_302600_NS4plusIsEEEEZZNS1_33reduce_by_key_impl_wrapped_configILNS1_25lookback_scan_determinismE0ES3_S9_NS6_6detail15normal_iteratorINS6_10device_ptrIsEEEESG_SG_SG_PmS8_22is_equal_div_10_reduceIsEEE10hipError_tPvRmT2_T3_mT4_T5_T6_T7_T8_P12ihipStream_tbENKUlT_T0_E_clISt17integral_constantIbLb0EES10_IbLb1EEEEDaSW_SX_EUlSW_E_NS1_11comp_targetILNS1_3genE9ELNS1_11target_archE1100ELNS1_3gpuE3ELNS1_3repE0EEENS1_30default_config_static_selectorELNS0_4arch9wavefront6targetE0EEEvT1_ ; -- Begin function _ZN7rocprim17ROCPRIM_400000_NS6detail17trampoline_kernelINS0_14default_configENS1_29reduce_by_key_config_selectorIssN6thrust23THRUST_200600_302600_NS4plusIsEEEEZZNS1_33reduce_by_key_impl_wrapped_configILNS1_25lookback_scan_determinismE0ES3_S9_NS6_6detail15normal_iteratorINS6_10device_ptrIsEEEESG_SG_SG_PmS8_22is_equal_div_10_reduceIsEEE10hipError_tPvRmT2_T3_mT4_T5_T6_T7_T8_P12ihipStream_tbENKUlT_T0_E_clISt17integral_constantIbLb0EES10_IbLb1EEEEDaSW_SX_EUlSW_E_NS1_11comp_targetILNS1_3genE9ELNS1_11target_archE1100ELNS1_3gpuE3ELNS1_3repE0EEENS1_30default_config_static_selectorELNS0_4arch9wavefront6targetE0EEEvT1_
	.globl	_ZN7rocprim17ROCPRIM_400000_NS6detail17trampoline_kernelINS0_14default_configENS1_29reduce_by_key_config_selectorIssN6thrust23THRUST_200600_302600_NS4plusIsEEEEZZNS1_33reduce_by_key_impl_wrapped_configILNS1_25lookback_scan_determinismE0ES3_S9_NS6_6detail15normal_iteratorINS6_10device_ptrIsEEEESG_SG_SG_PmS8_22is_equal_div_10_reduceIsEEE10hipError_tPvRmT2_T3_mT4_T5_T6_T7_T8_P12ihipStream_tbENKUlT_T0_E_clISt17integral_constantIbLb0EES10_IbLb1EEEEDaSW_SX_EUlSW_E_NS1_11comp_targetILNS1_3genE9ELNS1_11target_archE1100ELNS1_3gpuE3ELNS1_3repE0EEENS1_30default_config_static_selectorELNS0_4arch9wavefront6targetE0EEEvT1_
	.p2align	8
	.type	_ZN7rocprim17ROCPRIM_400000_NS6detail17trampoline_kernelINS0_14default_configENS1_29reduce_by_key_config_selectorIssN6thrust23THRUST_200600_302600_NS4plusIsEEEEZZNS1_33reduce_by_key_impl_wrapped_configILNS1_25lookback_scan_determinismE0ES3_S9_NS6_6detail15normal_iteratorINS6_10device_ptrIsEEEESG_SG_SG_PmS8_22is_equal_div_10_reduceIsEEE10hipError_tPvRmT2_T3_mT4_T5_T6_T7_T8_P12ihipStream_tbENKUlT_T0_E_clISt17integral_constantIbLb0EES10_IbLb1EEEEDaSW_SX_EUlSW_E_NS1_11comp_targetILNS1_3genE9ELNS1_11target_archE1100ELNS1_3gpuE3ELNS1_3repE0EEENS1_30default_config_static_selectorELNS0_4arch9wavefront6targetE0EEEvT1_,@function
_ZN7rocprim17ROCPRIM_400000_NS6detail17trampoline_kernelINS0_14default_configENS1_29reduce_by_key_config_selectorIssN6thrust23THRUST_200600_302600_NS4plusIsEEEEZZNS1_33reduce_by_key_impl_wrapped_configILNS1_25lookback_scan_determinismE0ES3_S9_NS6_6detail15normal_iteratorINS6_10device_ptrIsEEEESG_SG_SG_PmS8_22is_equal_div_10_reduceIsEEE10hipError_tPvRmT2_T3_mT4_T5_T6_T7_T8_P12ihipStream_tbENKUlT_T0_E_clISt17integral_constantIbLb0EES10_IbLb1EEEEDaSW_SX_EUlSW_E_NS1_11comp_targetILNS1_3genE9ELNS1_11target_archE1100ELNS1_3gpuE3ELNS1_3repE0EEENS1_30default_config_static_selectorELNS0_4arch9wavefront6targetE0EEEvT1_: ; @_ZN7rocprim17ROCPRIM_400000_NS6detail17trampoline_kernelINS0_14default_configENS1_29reduce_by_key_config_selectorIssN6thrust23THRUST_200600_302600_NS4plusIsEEEEZZNS1_33reduce_by_key_impl_wrapped_configILNS1_25lookback_scan_determinismE0ES3_S9_NS6_6detail15normal_iteratorINS6_10device_ptrIsEEEESG_SG_SG_PmS8_22is_equal_div_10_reduceIsEEE10hipError_tPvRmT2_T3_mT4_T5_T6_T7_T8_P12ihipStream_tbENKUlT_T0_E_clISt17integral_constantIbLb0EES10_IbLb1EEEEDaSW_SX_EUlSW_E_NS1_11comp_targetILNS1_3genE9ELNS1_11target_archE1100ELNS1_3gpuE3ELNS1_3repE0EEENS1_30default_config_static_selectorELNS0_4arch9wavefront6targetE0EEEvT1_
; %bb.0:
	s_clause 0x4
	s_load_b256 s[12:19], s[0:1], 0x0
	s_load_b128 s[28:31], s[0:1], 0x20
	s_load_b256 s[20:27], s[0:1], 0x38
	s_load_b64 s[34:35], s[0:1], 0x68
	s_load_b128 s[36:39], s[0:1], 0x58
	v_cmp_ne_u32_e64 s3, 0, v0
	v_cmp_eq_u32_e64 s2, 0, v0
	s_delay_alu instid0(VALU_DEP_1)
	s_and_saveexec_b32 s4, s2
	s_cbranch_execz .LBB695_4
; %bb.1:
	s_mov_b32 s6, exec_lo
	s_mov_b32 s5, exec_lo
	v_mbcnt_lo_u32_b32 v1, s6, 0
                                        ; implicit-def: $vgpr2
	s_delay_alu instid0(VALU_DEP_1)
	v_cmpx_eq_u32_e32 0, v1
	s_cbranch_execz .LBB695_3
; %bb.2:
	s_load_b64 s[0:1], s[0:1], 0x70
	s_bcnt1_i32_b32 s6, s6
	s_delay_alu instid0(SALU_CYCLE_1)
	v_dual_mov_b32 v2, 0 :: v_dual_mov_b32 v3, s6
	s_waitcnt lgkmcnt(0)
	global_atomic_add_u32 v2, v2, v3, s[0:1] glc
.LBB695_3:
	s_or_b32 exec_lo, exec_lo, s5
	s_waitcnt vmcnt(0)
	v_readfirstlane_b32 s0, v2
	s_delay_alu instid0(VALU_DEP_1)
	v_dual_mov_b32 v2, 0 :: v_dual_add_nc_u32 v1, s0, v1
	ds_store_b32 v2, v1
.LBB695_4:
	s_or_b32 exec_lo, exec_lo, s4
	v_mov_b32_e32 v2, 0
	s_waitcnt lgkmcnt(0)
	s_barrier
	buffer_gl0_inv
	s_lshl_b64 s[4:5], s[14:15], 1
	ds_load_b32 v1, v2
	s_add_u32 s9, s12, s4
	s_mul_i32 s1, s24, s23
	s_mul_hi_u32 s6, s24, s22
	s_addc_u32 s10, s13, s5
	s_add_u32 s11, s16, s4
	s_mul_i32 s7, s25, s22
	s_addc_u32 s12, s17, s5
	s_add_i32 s1, s6, s1
	s_mul_i32 s8, s24, s22
	s_add_i32 s1, s1, s7
	v_mul_u32_u24_e32 v5, 15, v0
	s_mov_b32 s0, 0
	s_waitcnt lgkmcnt(0)
	s_barrier
	buffer_gl0_inv
	v_readfirstlane_b32 s33, v1
	v_mul_lo_u32 v1, 0xf00, v1
	s_delay_alu instid0(VALU_DEP_2) | instskip(SKIP_3) | instid1(VALU_DEP_1)
	s_add_u32 s24, s8, s33
	s_addc_u32 s25, s1, 0
	s_add_u32 s4, s26, -1
	s_addc_u32 s5, s27, -1
	v_lshlrev_b64 v[1:2], 1, v[1:2]
	s_cmp_eq_u64 s[24:25], s[4:5]
	s_mul_i32 s26, s4, 0xfffff100
	s_cselect_b32 s17, -1, 0
	s_cmp_lg_u64 s[24:25], s[4:5]
	s_delay_alu instid0(VALU_DEP_1)
	v_add_co_u32 v6, vcc_lo, s9, v1
	v_add_co_ci_u32_e32 v8, vcc_lo, s10, v2, vcc_lo
	v_add_co_u32 v7, vcc_lo, s11, v1
	v_add_co_ci_u32_e32 v9, vcc_lo, s12, v2, vcc_lo
	s_cselect_b32 s40, -1, 0
	s_and_b32 vcc_lo, exec_lo, s17
	s_cbranch_vccnz .LBB695_6
; %bb.5:
	v_lshlrev_b32_e32 v18, 1, v0
	s_delay_alu instid0(VALU_DEP_1) | instskip(SKIP_2) | instid1(VALU_DEP_3)
	v_add_co_u32 v1, vcc_lo, v6, v18
	v_add_co_ci_u32_e32 v2, vcc_lo, 0, v8, vcc_lo
	v_mad_u32_u24 v13, v0, 28, v18
	v_add_co_u32 v3, vcc_lo, 0x1000, v1
	s_delay_alu instid0(VALU_DEP_3)
	v_add_co_ci_u32_e32 v4, vcc_lo, 0, v2, vcc_lo
	s_clause 0xe
	flat_load_u16 v10, v[1:2]
	flat_load_u16 v11, v[1:2] offset:512
	flat_load_u16 v12, v[1:2] offset:1024
	;; [unrolled: 1-line block ×7, first 2 shown]
	flat_load_u16 v2, v[3:4]
	flat_load_u16 v23, v[3:4] offset:512
	flat_load_u16 v24, v[3:4] offset:1024
	;; [unrolled: 1-line block ×6, first 2 shown]
	v_add_co_u32 v14, vcc_lo, v7, v18
	v_add_co_ci_u32_e32 v15, vcc_lo, 0, v9, vcc_lo
	s_waitcnt vmcnt(14) lgkmcnt(14)
	ds_store_b16 v18, v10
	s_waitcnt vmcnt(13) lgkmcnt(14)
	ds_store_b16 v18, v11 offset:512
	s_waitcnt vmcnt(12) lgkmcnt(14)
	ds_store_b16 v18, v12 offset:1024
	;; [unrolled: 2-line block ×14, first 2 shown]
	v_add_co_u32 v16, vcc_lo, 0x1000, v14
	v_add_co_ci_u32_e32 v17, vcc_lo, 0, v15, vcc_lo
	s_waitcnt lgkmcnt(0)
	s_barrier
	buffer_gl0_inv
	ds_load_u16 v62, v13
	ds_load_b128 v[1:4], v13 offset:2
	ds_load_b96 v[10:12], v13 offset:18
	s_waitcnt lgkmcnt(0)
	s_barrier
	buffer_gl0_inv
	s_clause 0xe
	flat_load_u16 v19, v[14:15]
	flat_load_u16 v20, v[14:15] offset:512
	flat_load_u16 v21, v[14:15] offset:1024
	;; [unrolled: 1-line block ×7, first 2 shown]
	flat_load_u16 v15, v[16:17]
	flat_load_u16 v26, v[16:17] offset:512
	flat_load_u16 v27, v[16:17] offset:1024
	;; [unrolled: 1-line block ×6, first 2 shown]
	v_mul_u32_u24_e32 v17, 15, v0
	s_waitcnt vmcnt(14) lgkmcnt(14)
	ds_store_b16 v18, v19
	s_waitcnt vmcnt(13) lgkmcnt(14)
	ds_store_b16 v18, v20 offset:512
	s_waitcnt vmcnt(12) lgkmcnt(14)
	ds_store_b16 v18, v21 offset:1024
	;; [unrolled: 2-line block ×14, first 2 shown]
	s_waitcnt lgkmcnt(0)
	s_barrier
	s_and_not1_b32 vcc_lo, exec_lo, s0
	s_add_i32 s26, s26, s36
	s_cbranch_vccz .LBB695_7
	s_branch .LBB695_54
.LBB695_6:
                                        ; implicit-def: $vgpr1
                                        ; implicit-def: $vgpr10
                                        ; implicit-def: $vgpr17
                                        ; implicit-def: $vgpr13
                                        ; implicit-def: $vgpr62
	s_add_i32 s26, s26, s36
.LBB695_7:
	s_delay_alu instid0(SALU_CYCLE_1)
	v_cmp_gt_u32_e32 vcc_lo, s26, v0
                                        ; implicit-def: $vgpr1
	s_and_saveexec_b32 s1, vcc_lo
	s_cbranch_execz .LBB695_9
; %bb.8:
	v_lshlrev_b32_e32 v1, 1, v0
	s_delay_alu instid0(VALU_DEP_1) | instskip(NEXT) | instid1(VALU_DEP_1)
	v_add_co_u32 v1, s0, v6, v1
	v_add_co_ci_u32_e64 v2, s0, 0, v8, s0
	flat_load_u16 v1, v[1:2]
.LBB695_9:
	s_or_b32 exec_lo, exec_lo, s1
	v_or_b32_e32 v2, 0x100, v0
	s_delay_alu instid0(VALU_DEP_1) | instskip(NEXT) | instid1(VALU_DEP_1)
	v_cmp_gt_u32_e64 s0, s26, v2
                                        ; implicit-def: $vgpr2
	s_and_saveexec_b32 s4, s0
	s_cbranch_execz .LBB695_11
; %bb.10:
	v_lshlrev_b32_e32 v2, 1, v0
	s_delay_alu instid0(VALU_DEP_1) | instskip(NEXT) | instid1(VALU_DEP_1)
	v_add_co_u32 v2, s1, v6, v2
	v_add_co_ci_u32_e64 v3, s1, 0, v8, s1
	flat_load_u16 v2, v[2:3] offset:512
.LBB695_11:
	s_or_b32 exec_lo, exec_lo, s4
	v_or_b32_e32 v3, 0x200, v0
	s_delay_alu instid0(VALU_DEP_1) | instskip(NEXT) | instid1(VALU_DEP_1)
	v_cmp_gt_u32_e64 s1, s26, v3
                                        ; implicit-def: $vgpr3
	s_and_saveexec_b32 s5, s1
	s_cbranch_execz .LBB695_13
; %bb.12:
	v_lshlrev_b32_e32 v3, 1, v0
	s_delay_alu instid0(VALU_DEP_1) | instskip(NEXT) | instid1(VALU_DEP_1)
	v_add_co_u32 v3, s4, v6, v3
	v_add_co_ci_u32_e64 v4, s4, 0, v8, s4
	flat_load_u16 v3, v[3:4] offset:1024
.LBB695_13:
	s_or_b32 exec_lo, exec_lo, s5
	v_or_b32_e32 v4, 0x300, v0
	s_delay_alu instid0(VALU_DEP_1) | instskip(NEXT) | instid1(VALU_DEP_1)
	v_cmp_gt_u32_e64 s4, s26, v4
                                        ; implicit-def: $vgpr4
	s_and_saveexec_b32 s6, s4
	s_cbranch_execz .LBB695_15
; %bb.14:
	v_lshlrev_b32_e32 v4, 1, v0
	s_delay_alu instid0(VALU_DEP_1) | instskip(NEXT) | instid1(VALU_DEP_1)
	v_add_co_u32 v10, s5, v6, v4
	v_add_co_ci_u32_e64 v11, s5, 0, v8, s5
	flat_load_u16 v4, v[10:11] offset:1536
.LBB695_15:
	s_or_b32 exec_lo, exec_lo, s6
	v_or_b32_e32 v10, 0x400, v0
	s_delay_alu instid0(VALU_DEP_1) | instskip(NEXT) | instid1(VALU_DEP_1)
	v_cmp_gt_u32_e64 s5, s26, v10
                                        ; implicit-def: $vgpr10
	s_and_saveexec_b32 s7, s5
	s_cbranch_execz .LBB695_17
; %bb.16:
	v_lshlrev_b32_e32 v10, 1, v0
	s_delay_alu instid0(VALU_DEP_1) | instskip(NEXT) | instid1(VALU_DEP_1)
	v_add_co_u32 v10, s6, v6, v10
	v_add_co_ci_u32_e64 v11, s6, 0, v8, s6
	flat_load_u16 v10, v[10:11] offset:2048
.LBB695_17:
	s_or_b32 exec_lo, exec_lo, s7
	v_or_b32_e32 v11, 0x500, v0
	s_delay_alu instid0(VALU_DEP_1) | instskip(NEXT) | instid1(VALU_DEP_1)
	v_cmp_gt_u32_e64 s6, s26, v11
                                        ; implicit-def: $vgpr11
	s_and_saveexec_b32 s8, s6
	s_cbranch_execz .LBB695_19
; %bb.18:
	v_lshlrev_b32_e32 v11, 1, v0
	s_delay_alu instid0(VALU_DEP_1) | instskip(NEXT) | instid1(VALU_DEP_1)
	v_add_co_u32 v11, s7, v6, v11
	v_add_co_ci_u32_e64 v12, s7, 0, v8, s7
	flat_load_u16 v11, v[11:12] offset:2560
.LBB695_19:
	s_or_b32 exec_lo, exec_lo, s8
	v_or_b32_e32 v12, 0x600, v0
	s_delay_alu instid0(VALU_DEP_1) | instskip(NEXT) | instid1(VALU_DEP_1)
	v_cmp_gt_u32_e64 s7, s26, v12
                                        ; implicit-def: $vgpr12
	s_and_saveexec_b32 s9, s7
	s_cbranch_execz .LBB695_21
; %bb.20:
	v_lshlrev_b32_e32 v12, 1, v0
	s_delay_alu instid0(VALU_DEP_1) | instskip(NEXT) | instid1(VALU_DEP_1)
	v_add_co_u32 v12, s8, v6, v12
	v_add_co_ci_u32_e64 v13, s8, 0, v8, s8
	flat_load_u16 v12, v[12:13] offset:3072
.LBB695_21:
	s_or_b32 exec_lo, exec_lo, s9
	v_or_b32_e32 v13, 0x700, v0
	s_delay_alu instid0(VALU_DEP_1) | instskip(NEXT) | instid1(VALU_DEP_1)
	v_cmp_gt_u32_e64 s8, s26, v13
                                        ; implicit-def: $vgpr13
	s_and_saveexec_b32 s10, s8
	s_cbranch_execz .LBB695_23
; %bb.22:
	v_lshlrev_b32_e32 v13, 1, v0
	s_delay_alu instid0(VALU_DEP_1) | instskip(NEXT) | instid1(VALU_DEP_1)
	v_add_co_u32 v13, s9, v6, v13
	v_add_co_ci_u32_e64 v14, s9, 0, v8, s9
	flat_load_u16 v13, v[13:14] offset:3584
.LBB695_23:
	s_or_b32 exec_lo, exec_lo, s10
	v_or_b32_e32 v14, 0x800, v0
                                        ; implicit-def: $vgpr22
	s_delay_alu instid0(VALU_DEP_1) | instskip(SKIP_1) | instid1(VALU_DEP_2)
	v_cmp_gt_u32_e64 s9, s26, v14
	v_lshlrev_b32_e32 v15, 1, v14
	s_and_saveexec_b32 s11, s9
	s_cbranch_execz .LBB695_25
; %bb.24:
	s_delay_alu instid0(VALU_DEP_1) | instskip(NEXT) | instid1(VALU_DEP_1)
	v_add_co_u32 v16, s10, v6, v15
	v_add_co_ci_u32_e64 v17, s10, 0, v8, s10
	flat_load_u16 v22, v[16:17]
.LBB695_25:
	s_or_b32 exec_lo, exec_lo, s11
	v_or_b32_e32 v14, 0x900, v0
                                        ; implicit-def: $vgpr23
	s_delay_alu instid0(VALU_DEP_1) | instskip(SKIP_1) | instid1(VALU_DEP_2)
	v_cmp_gt_u32_e64 s10, s26, v14
	v_lshlrev_b32_e32 v16, 1, v14
	s_and_saveexec_b32 s12, s10
	s_cbranch_execz .LBB695_27
; %bb.26:
	s_delay_alu instid0(VALU_DEP_1) | instskip(NEXT) | instid1(VALU_DEP_1)
	v_add_co_u32 v17, s11, v6, v16
	v_add_co_ci_u32_e64 v18, s11, 0, v8, s11
	flat_load_u16 v23, v[17:18]
.LBB695_27:
	s_or_b32 exec_lo, exec_lo, s12
	v_or_b32_e32 v14, 0xa00, v0
                                        ; implicit-def: $vgpr24
	s_delay_alu instid0(VALU_DEP_1) | instskip(SKIP_1) | instid1(VALU_DEP_2)
	v_cmp_gt_u32_e64 s11, s26, v14
	v_lshlrev_b32_e32 v17, 1, v14
	s_and_saveexec_b32 s13, s11
	s_cbranch_execz .LBB695_29
; %bb.28:
	s_delay_alu instid0(VALU_DEP_1) | instskip(NEXT) | instid1(VALU_DEP_1)
	v_add_co_u32 v18, s12, v6, v17
	v_add_co_ci_u32_e64 v19, s12, 0, v8, s12
	flat_load_u16 v24, v[18:19]
.LBB695_29:
	s_or_b32 exec_lo, exec_lo, s13
	v_or_b32_e32 v14, 0xb00, v0
                                        ; implicit-def: $vgpr25
	s_delay_alu instid0(VALU_DEP_1) | instskip(SKIP_1) | instid1(VALU_DEP_2)
	v_cmp_gt_u32_e64 s12, s26, v14
	v_lshlrev_b32_e32 v18, 1, v14
	s_and_saveexec_b32 s14, s12
	s_cbranch_execz .LBB695_31
; %bb.30:
	s_delay_alu instid0(VALU_DEP_1) | instskip(NEXT) | instid1(VALU_DEP_1)
	v_add_co_u32 v19, s13, v6, v18
	v_add_co_ci_u32_e64 v20, s13, 0, v8, s13
	flat_load_u16 v25, v[19:20]
.LBB695_31:
	s_or_b32 exec_lo, exec_lo, s14
	v_or_b32_e32 v14, 0xc00, v0
                                        ; implicit-def: $vgpr26
	s_delay_alu instid0(VALU_DEP_1) | instskip(SKIP_1) | instid1(VALU_DEP_2)
	v_cmp_gt_u32_e64 s13, s26, v14
	v_lshlrev_b32_e32 v19, 1, v14
	s_and_saveexec_b32 s15, s13
	s_cbranch_execz .LBB695_33
; %bb.32:
	s_delay_alu instid0(VALU_DEP_1) | instskip(NEXT) | instid1(VALU_DEP_1)
	v_add_co_u32 v20, s14, v6, v19
	v_add_co_ci_u32_e64 v21, s14, 0, v8, s14
	flat_load_u16 v26, v[20:21]
.LBB695_33:
	s_or_b32 exec_lo, exec_lo, s15
	v_or_b32_e32 v14, 0xd00, v0
                                        ; implicit-def: $vgpr27
	s_delay_alu instid0(VALU_DEP_1) | instskip(SKIP_1) | instid1(VALU_DEP_2)
	v_cmp_gt_u32_e64 s14, s26, v14
	v_lshlrev_b32_e32 v20, 1, v14
	s_and_saveexec_b32 s16, s14
	s_cbranch_execz .LBB695_35
; %bb.34:
	s_delay_alu instid0(VALU_DEP_1) | instskip(NEXT) | instid1(VALU_DEP_1)
	v_add_co_u32 v27, s15, v6, v20
	v_add_co_ci_u32_e64 v28, s15, 0, v8, s15
	flat_load_u16 v27, v[27:28]
.LBB695_35:
	s_or_b32 exec_lo, exec_lo, s16
	v_or_b32_e32 v14, 0xe00, v0
                                        ; implicit-def: $vgpr28
	s_delay_alu instid0(VALU_DEP_1) | instskip(SKIP_1) | instid1(VALU_DEP_2)
	v_cmp_gt_u32_e64 s15, s26, v14
	v_lshlrev_b32_e32 v21, 1, v14
	s_and_saveexec_b32 s27, s15
	s_cbranch_execz .LBB695_37
; %bb.36:
	s_delay_alu instid0(VALU_DEP_1) | instskip(NEXT) | instid1(VALU_DEP_1)
	v_add_co_u32 v28, s16, v6, v21
	v_add_co_ci_u32_e64 v29, s16, 0, v8, s16
	flat_load_u16 v28, v[28:29]
.LBB695_37:
	s_or_b32 exec_lo, exec_lo, s27
	v_lshlrev_b32_e32 v14, 1, v0
	s_waitcnt vmcnt(0) lgkmcnt(0)
	ds_store_b16 v14, v1
	ds_store_b16 v14, v2 offset:512
	ds_store_b16 v14, v3 offset:1024
	ds_store_b16 v14, v4 offset:1536
	ds_store_b16 v14, v10 offset:2048
	ds_store_b16 v14, v11 offset:2560
	ds_store_b16 v14, v12 offset:3072
	ds_store_b16 v14, v13 offset:3584
	v_mad_u32_u24 v13, v0, 28, v14
	ds_store_b16 v14, v22 offset:4096
	ds_store_b16 v14, v23 offset:4608
	;; [unrolled: 1-line block ×7, first 2 shown]
	s_waitcnt lgkmcnt(0)
	s_barrier
	buffer_gl0_inv
	ds_load_u16 v62, v13
	ds_load_b128 v[1:4], v13 offset:2
	ds_load_b96 v[10:12], v13 offset:18
	s_waitcnt lgkmcnt(0)
	s_barrier
	buffer_gl0_inv
                                        ; implicit-def: $vgpr22
	s_and_saveexec_b32 s16, vcc_lo
	s_cbranch_execnz .LBB695_61
; %bb.38:
	s_or_b32 exec_lo, exec_lo, s16
                                        ; implicit-def: $vgpr23
	s_and_saveexec_b32 s16, s0
	s_cbranch_execnz .LBB695_62
.LBB695_39:
	s_or_b32 exec_lo, exec_lo, s16
                                        ; implicit-def: $vgpr24
	s_and_saveexec_b32 s0, s1
	s_cbranch_execnz .LBB695_63
.LBB695_40:
	s_or_b32 exec_lo, exec_lo, s0
                                        ; implicit-def: $vgpr25
	s_and_saveexec_b32 s0, s4
	s_cbranch_execnz .LBB695_64
.LBB695_41:
	s_or_b32 exec_lo, exec_lo, s0
                                        ; implicit-def: $vgpr26
	s_and_saveexec_b32 s0, s5
	s_cbranch_execnz .LBB695_65
.LBB695_42:
	s_or_b32 exec_lo, exec_lo, s0
                                        ; implicit-def: $vgpr27
	s_and_saveexec_b32 s0, s6
	s_cbranch_execnz .LBB695_66
.LBB695_43:
	s_or_b32 exec_lo, exec_lo, s0
                                        ; implicit-def: $vgpr28
	s_and_saveexec_b32 s0, s7
	s_cbranch_execnz .LBB695_67
.LBB695_44:
	s_or_b32 exec_lo, exec_lo, s0
                                        ; implicit-def: $vgpr30
	s_and_saveexec_b32 s0, s8
	s_cbranch_execnz .LBB695_68
.LBB695_45:
	s_or_b32 exec_lo, exec_lo, s0
                                        ; implicit-def: $vgpr29
	s_and_saveexec_b32 s0, s9
	s_cbranch_execnz .LBB695_69
.LBB695_46:
	s_or_b32 exec_lo, exec_lo, s0
                                        ; implicit-def: $vgpr15
	s_and_saveexec_b32 s0, s10
	s_cbranch_execnz .LBB695_70
.LBB695_47:
	s_or_b32 exec_lo, exec_lo, s0
                                        ; implicit-def: $vgpr16
	s_and_saveexec_b32 s0, s11
	s_cbranch_execnz .LBB695_71
.LBB695_48:
	s_or_b32 exec_lo, exec_lo, s0
                                        ; implicit-def: $vgpr31
	s_and_saveexec_b32 s0, s12
	s_cbranch_execnz .LBB695_72
.LBB695_49:
	s_or_b32 exec_lo, exec_lo, s0
                                        ; implicit-def: $vgpr18
	s_and_saveexec_b32 s0, s13
	s_cbranch_execnz .LBB695_73
.LBB695_50:
	s_or_b32 exec_lo, exec_lo, s0
                                        ; implicit-def: $vgpr19
	s_and_saveexec_b32 s0, s14
	s_cbranch_execnz .LBB695_74
.LBB695_51:
	s_or_b32 exec_lo, exec_lo, s0
                                        ; implicit-def: $vgpr20
	s_and_saveexec_b32 s0, s15
	s_cbranch_execz .LBB695_53
.LBB695_52:
	v_add_co_u32 v20, vcc_lo, v7, v21
	v_add_co_ci_u32_e32 v21, vcc_lo, 0, v9, vcc_lo
	flat_load_u16 v20, v[20:21]
.LBB695_53:
	s_or_b32 exec_lo, exec_lo, s0
	v_mov_b32_e32 v17, v5
	s_waitcnt vmcnt(0) lgkmcnt(0)
	ds_store_b16 v14, v22
	ds_store_b16 v14, v23 offset:512
	ds_store_b16 v14, v24 offset:1024
	;; [unrolled: 1-line block ×14, first 2 shown]
	s_waitcnt lgkmcnt(0)
	s_barrier
.LBB695_54:
	v_lshlrev_b32_e32 v7, 1, v17
	buffer_gl0_inv
	ds_load_u16 v74, v13
	ds_load_u16 v73, v13 offset:2
	ds_load_u16 v71, v13 offset:6
	;; [unrolled: 1-line block ×14, first 2 shown]
	s_cmp_eq_u64 s[24:25], 0
	s_waitcnt lgkmcnt(0)
	s_cselect_b32 s27, -1, 0
	s_cmp_lg_u64 s[24:25], 0
	s_barrier
	s_cselect_b32 s16, -1, 0
	s_and_b32 vcc_lo, exec_lo, s40
	buffer_gl0_inv
	s_cbranch_vccz .LBB695_60
; %bb.55:
	v_ashrrev_i32_e32 v9, 16, v12
	s_and_b32 vcc_lo, exec_lo, s16
	s_cbranch_vccz .LBB695_75
; %bb.56:
	v_add_co_u32 v13, vcc_lo, -2, v6
	v_add_co_ci_u32_e32 v14, vcc_lo, -1, v8, vcc_lo
	v_ashrrev_i32_e32 v18, 16, v11
	v_bfe_i32 v20, v10, 0, 16
	v_ashrrev_i32_e32 v23, 16, v2
	flat_load_u16 v7, v[13:14]
	v_bfe_i32 v13, v12, 0, 16
	v_mul_i32_i24_e32 v14, 0x6667, v9
	v_mul_i32_i24_e32 v20, 0x6667, v20
	v_lshrrev_b32_e32 v19, 16, v12
	s_mov_b32 s15, -1
	v_mul_i32_i24_e32 v13, 0x6667, v13
	v_lshrrev_b32_e32 v17, 31, v14
	v_ashrrev_i32_e32 v14, 18, v14
	s_delay_alu instid0(VALU_DEP_3) | instskip(SKIP_1) | instid1(VALU_DEP_3)
	v_lshrrev_b32_e32 v15, 31, v13
	v_ashrrev_i32_e32 v16, 18, v13
	v_add_nc_u16 v14, v14, v17
	v_mul_i32_i24_e32 v17, 0x6667, v18
	v_ashrrev_i32_e32 v18, 16, v10
	v_lshlrev_b32_e32 v13, 1, v0
	v_add_nc_u16 v15, v16, v15
	v_bfe_i32 v16, v11, 0, 16
	s_delay_alu instid0(VALU_DEP_4)
	v_mul_i32_i24_e32 v18, 0x6667, v18
	ds_store_b16 v13, v19
	v_cmp_ne_u16_e32 vcc_lo, v15, v14
	v_mul_i32_i24_e32 v14, 0x6667, v16
	v_lshrrev_b32_e32 v16, 31, v17
	v_ashrrev_i32_e32 v17, 18, v17
	v_lshrrev_b32_e32 v22, 31, v18
	v_ashrrev_i32_e32 v18, 18, v18
	v_lshrrev_b32_e32 v21, 31, v14
	v_ashrrev_i32_e32 v14, 18, v14
	v_add_nc_u16 v16, v17, v16
	v_ashrrev_i32_e32 v17, 16, v4
	v_add_nc_u16 v18, v18, v22
	s_waitcnt vmcnt(0) lgkmcnt(0)
	v_add_nc_u16 v14, v14, v21
	v_lshrrev_b32_e32 v21, 31, v20
	v_ashrrev_i32_e32 v20, 18, v20
	v_cmp_ne_u16_e64 s0, v16, v15
	v_mul_i32_i24_e32 v15, 0x6667, v17
	v_cmp_ne_u16_e64 s1, v14, v16
	v_cmp_ne_u16_e64 s4, v18, v14
	v_add_nc_u16 v14, v20, v21
	v_bfe_i32 v16, v4, 0, 16
	v_ashrrev_i32_e32 v20, 16, v3
	v_lshrrev_b32_e32 v17, 31, v15
	v_ashrrev_i32_e32 v15, 18, v15
	v_bfe_i32 v21, v3, 0, 16
	v_mul_i32_i24_e32 v16, 0x6667, v16
	v_cmp_ne_u16_e64 s5, v14, v18
	v_mul_i32_i24_e32 v18, 0x6667, v20
	v_add_nc_u16 v15, v15, v17
	v_mul_i32_i24_e32 v17, 0x6667, v21
	v_lshrrev_b32_e32 v20, 31, v16
	v_ashrrev_i32_e32 v16, 18, v16
	v_lshrrev_b32_e32 v21, 31, v18
	v_ashrrev_i32_e32 v18, 18, v18
	v_cmp_ne_u16_e64 s6, v15, v14
	v_lshrrev_b32_e32 v22, 31, v17
	v_add_nc_u16 v16, v16, v20
	v_ashrrev_i32_e32 v17, 18, v17
	v_add_nc_u16 v14, v18, v21
	v_bfe_i32 v20, v1, 0, 16
	v_bfe_i32 v21, v62, 0, 16
	v_cmp_ne_u16_e64 s7, v16, v15
	v_bfe_i32 v15, v2, 0, 16
	v_cmp_ne_u16_e64 s8, v14, v16
	v_ashrrev_i32_e32 v16, 16, v1
	v_add_nc_u16 v18, v17, v22
	v_mul_i32_i24_e32 v17, 0x6667, v23
	v_mul_i32_i24_e32 v15, 0x6667, v15
	;; [unrolled: 1-line block ×5, first 2 shown]
	v_cmp_ne_u16_e64 s9, v18, v14
	v_lshrrev_b32_e32 v14, 31, v17
	v_ashrrev_i32_e32 v17, 18, v17
	v_lshrrev_b32_e32 v22, 31, v15
	v_ashrrev_i32_e32 v15, 18, v15
	;; [unrolled: 2-line block ×5, first 2 shown]
	v_add_nc_u16 v14, v17, v14
	v_add_nc_u16 v15, v15, v22
	;; [unrolled: 1-line block ×5, first 2 shown]
	v_cmp_ne_u16_e64 s14, v14, v18
	v_cmp_ne_u16_e64 s10, v15, v14
	;; [unrolled: 1-line block ×5, first 2 shown]
	s_barrier
	buffer_gl0_inv
	s_and_saveexec_b32 s40, s3
	s_cbranch_execz .LBB695_58
; %bb.57:
	v_add_nc_u32_e32 v7, -2, v13
	ds_load_u16 v7, v7
.LBB695_58:
	s_or_b32 exec_lo, exec_lo, s40
	s_waitcnt lgkmcnt(0)
	v_bfe_i32 v13, v7, 0, 16
	v_cndmask_b32_e64 v61, 0, 1, vcc_lo
	v_cndmask_b32_e64 v7, 0, 1, s0
	v_cndmask_b32_e64 v63, 0, 1, s1
	;; [unrolled: 1-line block ×3, first 2 shown]
	v_mul_i32_i24_e32 v15, 0x6667, v13
	v_cndmask_b32_e64 v13, 0, 1, s5
	v_cndmask_b32_e64 v16, 0, 1, s6
	;; [unrolled: 1-line block ×4, first 2 shown]
	v_lshrrev_b32_e32 v18, 31, v15
	v_ashrrev_i32_e32 v21, 18, v15
	v_cndmask_b32_e64 v15, 0, 1, s7
	v_cndmask_b32_e64 v22, 0, 1, s14
	;; [unrolled: 1-line block ×4, first 2 shown]
	v_add_nc_u16 v18, v21, v18
	v_cndmask_b32_e64 v21, 0, 1, s10
	v_cndmask_b32_e64 v26, 0, 1, s13
	s_delay_alu instid0(VALU_DEP_3)
	v_cmp_ne_u16_e64 s4, v18, v17
.LBB695_59:
                                        ; implicit-def: $sgpr0
	s_branch .LBB695_79
.LBB695_60:
	s_mov_b32 s15, 0
                                        ; implicit-def: $sgpr4
                                        ; implicit-def: $vgpr61
                                        ; implicit-def: $vgpr7
                                        ; implicit-def: $vgpr63
                                        ; implicit-def: $vgpr14
                                        ; implicit-def: $vgpr13
                                        ; implicit-def: $vgpr16
                                        ; implicit-def: $vgpr15
                                        ; implicit-def: $vgpr20
                                        ; implicit-def: $vgpr19
                                        ; implicit-def: $vgpr22
                                        ; implicit-def: $vgpr21
                                        ; implicit-def: $vgpr24
                                        ; implicit-def: $vgpr23
                                        ; implicit-def: $vgpr26
                                        ; implicit-def: $vgpr18
                                        ; implicit-def: $sgpr0
	s_cbranch_execnz .LBB695_80
	s_branch .LBB695_115
.LBB695_61:
	v_add_co_u32 v22, vcc_lo, v7, v14
	v_add_co_ci_u32_e32 v23, vcc_lo, 0, v9, vcc_lo
	flat_load_u16 v22, v[22:23]
	s_or_b32 exec_lo, exec_lo, s16
                                        ; implicit-def: $vgpr23
	s_and_saveexec_b32 s16, s0
	s_cbranch_execz .LBB695_39
.LBB695_62:
	v_add_co_u32 v23, vcc_lo, v7, v14
	v_add_co_ci_u32_e32 v24, vcc_lo, 0, v9, vcc_lo
	flat_load_u16 v23, v[23:24] offset:512
	s_or_b32 exec_lo, exec_lo, s16
                                        ; implicit-def: $vgpr24
	s_and_saveexec_b32 s0, s1
	s_cbranch_execz .LBB695_40
.LBB695_63:
	v_add_co_u32 v24, vcc_lo, v7, v14
	v_add_co_ci_u32_e32 v25, vcc_lo, 0, v9, vcc_lo
	flat_load_u16 v24, v[24:25] offset:1024
	s_or_b32 exec_lo, exec_lo, s0
                                        ; implicit-def: $vgpr25
	s_and_saveexec_b32 s0, s4
	s_cbranch_execz .LBB695_41
.LBB695_64:
	v_add_co_u32 v25, vcc_lo, v7, v14
	v_add_co_ci_u32_e32 v26, vcc_lo, 0, v9, vcc_lo
	flat_load_u16 v25, v[25:26] offset:1536
	s_or_b32 exec_lo, exec_lo, s0
                                        ; implicit-def: $vgpr26
	s_and_saveexec_b32 s0, s5
	s_cbranch_execz .LBB695_42
.LBB695_65:
	v_add_co_u32 v26, vcc_lo, v7, v14
	v_add_co_ci_u32_e32 v27, vcc_lo, 0, v9, vcc_lo
	flat_load_u16 v26, v[26:27] offset:2048
	s_or_b32 exec_lo, exec_lo, s0
                                        ; implicit-def: $vgpr27
	s_and_saveexec_b32 s0, s6
	s_cbranch_execz .LBB695_43
.LBB695_66:
	v_add_co_u32 v27, vcc_lo, v7, v14
	v_add_co_ci_u32_e32 v28, vcc_lo, 0, v9, vcc_lo
	flat_load_u16 v27, v[27:28] offset:2560
	s_or_b32 exec_lo, exec_lo, s0
                                        ; implicit-def: $vgpr28
	s_and_saveexec_b32 s0, s7
	s_cbranch_execz .LBB695_44
.LBB695_67:
	v_add_co_u32 v28, vcc_lo, v7, v14
	v_add_co_ci_u32_e32 v29, vcc_lo, 0, v9, vcc_lo
	flat_load_u16 v28, v[28:29] offset:3072
	s_or_b32 exec_lo, exec_lo, s0
                                        ; implicit-def: $vgpr30
	s_and_saveexec_b32 s0, s8
	s_cbranch_execz .LBB695_45
.LBB695_68:
	v_add_co_u32 v29, vcc_lo, v7, v14
	v_add_co_ci_u32_e32 v30, vcc_lo, 0, v9, vcc_lo
	flat_load_u16 v30, v[29:30] offset:3584
	s_or_b32 exec_lo, exec_lo, s0
                                        ; implicit-def: $vgpr29
	s_and_saveexec_b32 s0, s9
	s_cbranch_execz .LBB695_46
.LBB695_69:
	v_add_co_u32 v31, vcc_lo, v7, v15
	v_add_co_ci_u32_e32 v32, vcc_lo, 0, v9, vcc_lo
	flat_load_u16 v29, v[31:32]
	s_or_b32 exec_lo, exec_lo, s0
                                        ; implicit-def: $vgpr15
	s_and_saveexec_b32 s0, s10
	s_cbranch_execz .LBB695_47
.LBB695_70:
	v_add_co_u32 v15, vcc_lo, v7, v16
	v_add_co_ci_u32_e32 v16, vcc_lo, 0, v9, vcc_lo
	flat_load_u16 v15, v[15:16]
	s_or_b32 exec_lo, exec_lo, s0
                                        ; implicit-def: $vgpr16
	s_and_saveexec_b32 s0, s11
	s_cbranch_execz .LBB695_48
.LBB695_71:
	v_add_co_u32 v16, vcc_lo, v7, v17
	v_add_co_ci_u32_e32 v17, vcc_lo, 0, v9, vcc_lo
	flat_load_u16 v16, v[16:17]
	s_or_b32 exec_lo, exec_lo, s0
                                        ; implicit-def: $vgpr31
	s_and_saveexec_b32 s0, s12
	s_cbranch_execz .LBB695_49
.LBB695_72:
	v_add_co_u32 v17, vcc_lo, v7, v18
	v_add_co_ci_u32_e32 v18, vcc_lo, 0, v9, vcc_lo
	flat_load_u16 v31, v[17:18]
	s_or_b32 exec_lo, exec_lo, s0
                                        ; implicit-def: $vgpr18
	s_and_saveexec_b32 s0, s13
	s_cbranch_execz .LBB695_50
.LBB695_73:
	v_add_co_u32 v17, vcc_lo, v7, v19
	v_add_co_ci_u32_e32 v18, vcc_lo, 0, v9, vcc_lo
	flat_load_u16 v18, v[17:18]
	s_or_b32 exec_lo, exec_lo, s0
                                        ; implicit-def: $vgpr19
	s_and_saveexec_b32 s0, s14
	s_cbranch_execz .LBB695_51
.LBB695_74:
	v_add_co_u32 v19, vcc_lo, v7, v20
	v_add_co_ci_u32_e32 v20, vcc_lo, 0, v9, vcc_lo
	flat_load_u16 v19, v[19:20]
	s_or_b32 exec_lo, exec_lo, s0
                                        ; implicit-def: $vgpr20
	s_and_saveexec_b32 s0, s15
	s_cbranch_execnz .LBB695_52
	s_branch .LBB695_53
.LBB695_75:
	s_mov_b32 s15, 0
                                        ; implicit-def: $sgpr4
                                        ; implicit-def: $vgpr61
                                        ; implicit-def: $vgpr7
                                        ; implicit-def: $vgpr63
                                        ; implicit-def: $vgpr14
                                        ; implicit-def: $vgpr13
                                        ; implicit-def: $vgpr16
                                        ; implicit-def: $vgpr15
                                        ; implicit-def: $vgpr20
                                        ; implicit-def: $vgpr19
                                        ; implicit-def: $vgpr22
                                        ; implicit-def: $vgpr21
                                        ; implicit-def: $vgpr24
                                        ; implicit-def: $vgpr23
                                        ; implicit-def: $vgpr26
	s_cbranch_execz .LBB695_59
; %bb.76:
	v_bfe_i32 v7, v12, 0, 16
	v_mul_i32_i24_e32 v13, 0x6667, v9
	v_ashrrev_i32_e32 v14, 16, v11
	v_bfe_i32 v17, v11, 0, 16
	v_ashrrev_i32_e32 v19, 16, v10
	v_mul_i32_i24_e32 v7, 0x6667, v7
	v_lshrrev_b32_e32 v15, 31, v13
	v_ashrrev_i32_e32 v13, 18, v13
	v_mul_i32_i24_e32 v14, 0x6667, v14
	v_ashrrev_i32_e32 v20, 16, v3
	v_lshrrev_b32_e32 v16, 31, v7
	v_ashrrev_i32_e32 v7, 18, v7
	v_add_nc_u16 v13, v13, v15
	v_mul_i32_i24_e32 v15, 0x6667, v17
	v_lshrrev_b32_e32 v17, 31, v14
	v_ashrrev_i32_e32 v14, 18, v14
	v_add_nc_u16 v7, v7, v16
	v_mul_i32_i24_e32 v16, 0x6667, v19
	v_bfe_i32 v19, v10, 0, 16
	v_ashrrev_i32_e32 v24, 16, v2
	v_add_nc_u16 v14, v14, v17
	v_cmp_ne_u16_e32 vcc_lo, v7, v13
	v_lshrrev_b32_e32 v13, 31, v15
	v_ashrrev_i32_e32 v15, 18, v15
	v_lshrrev_b32_e32 v17, 31, v16
	v_ashrrev_i32_e32 v16, 18, v16
	v_cndmask_b32_e64 v61, 0, 1, vcc_lo
	v_cmp_ne_u16_e32 vcc_lo, v14, v7
	v_add_nc_u16 v13, v15, v13
	v_mul_i32_i24_e32 v15, 0x6667, v19
	v_add_nc_u16 v16, v16, v17
	v_ashrrev_i32_e32 v17, 16, v4
	v_cndmask_b32_e64 v7, 0, 1, vcc_lo
	v_cmp_ne_u16_e32 vcc_lo, v13, v14
	v_lshrrev_b32_e32 v19, 31, v15
	v_ashrrev_i32_e32 v15, 18, v15
	v_mul_i32_i24_e32 v17, 0x6667, v17
	v_bfe_i32 v25, v1, 0, 16
	v_cndmask_b32_e64 v63, 0, 1, vcc_lo
	v_cmp_ne_u16_e32 vcc_lo, v16, v13
	v_bfe_i32 v13, v4, 0, 16
	v_add_nc_u16 v15, v15, v19
	v_lshrrev_b32_e32 v19, 31, v17
	v_ashrrev_i32_e32 v17, 18, v17
	v_cndmask_b32_e64 v14, 0, 1, vcc_lo
	v_mul_i32_i24_e32 v21, 0x6667, v13
	v_cmp_ne_u16_e32 vcc_lo, v15, v16
	v_mul_i32_i24_e32 v16, 0x6667, v20
	v_add_nc_u16 v17, v17, v19
	v_bfe_i32 v19, v3, 0, 16
	v_lshrrev_b32_e32 v20, 31, v21
	v_ashrrev_i32_e32 v21, 18, v21
	v_cndmask_b32_e64 v13, 0, 1, vcc_lo
	v_lshrrev_b32_e32 v22, 31, v16
	v_ashrrev_i32_e32 v23, 18, v16
	v_mul_i32_i24_e32 v19, 0x6667, v19
	v_cmp_ne_u16_e32 vcc_lo, v17, v15
	v_add_nc_u16 v20, v21, v20
	v_mul_i32_i24_e32 v25, 0x6667, v25
	v_add_nc_u16 v21, v23, v22
	v_lshrrev_b32_e32 v23, 31, v19
	v_cndmask_b32_e64 v16, 0, 1, vcc_lo
	v_ashrrev_i32_e32 v19, 18, v19
	v_cmp_ne_u16_e32 vcc_lo, v20, v17
	v_mul_i32_i24_e32 v22, 0x6667, v24
	v_bfe_i32 v24, v2, 0, 16
	v_lshrrev_b32_e32 v28, 31, v25
	v_add_nc_u16 v23, v19, v23
	v_cndmask_b32_e64 v15, 0, 1, vcc_lo
	v_cmp_ne_u16_e32 vcc_lo, v21, v20
	v_lshrrev_b32_e32 v17, 31, v22
	v_ashrrev_i32_e32 v22, 18, v22
	v_mul_i32_i24_e32 v24, 0x6667, v24
	v_ashrrev_i32_e32 v25, 18, v25
	v_cndmask_b32_e64 v20, 0, 1, vcc_lo
	v_cmp_ne_u16_e32 vcc_lo, v23, v21
	v_ashrrev_i32_e32 v21, 16, v1
	v_add_nc_u16 v17, v22, v17
	v_lshrrev_b32_e32 v26, 31, v24
	v_ashrrev_i32_e32 v24, 18, v24
	v_cndmask_b32_e64 v19, 0, 1, vcc_lo
	v_mul_i32_i24_e32 v21, 0x6667, v21
	v_cmp_ne_u16_e32 vcc_lo, v17, v23
	v_bfe_i32 v23, v62, 0, 16
	v_add_nc_u16 v24, v24, v26
	v_add_nc_u16 v25, v25, v28
	v_lshrrev_b32_e32 v27, 31, v21
	v_ashrrev_i32_e32 v21, 18, v21
	v_cndmask_b32_e64 v22, 0, 1, vcc_lo
	v_mul_i32_i24_e32 v23, 0x6667, v23
	v_cmp_ne_u16_e32 vcc_lo, v24, v17
	v_lshlrev_b32_e32 v9, 1, v0
	v_add_nc_u16 v27, v21, v27
	v_lshrrev_b32_e32 v18, 16, v12
	v_lshrrev_b32_e32 v26, 31, v23
	v_ashrrev_i32_e32 v23, 18, v23
	v_cndmask_b32_e64 v21, 0, 1, vcc_lo
	v_cmp_ne_u16_e32 vcc_lo, v27, v24
	s_mov_b32 s0, 1
	ds_store_b16 v9, v18
	v_add_nc_u16 v17, v23, v26
	s_waitcnt lgkmcnt(0)
	v_cndmask_b32_e64 v24, 0, 1, vcc_lo
	v_cmp_ne_u16_e32 vcc_lo, v25, v27
	s_barrier
	buffer_gl0_inv
                                        ; implicit-def: $sgpr4
	v_cndmask_b32_e64 v23, 0, 1, vcc_lo
	v_cmp_ne_u16_e32 vcc_lo, v17, v25
	v_cndmask_b32_e64 v26, 0, 1, vcc_lo
	s_and_saveexec_b32 s1, s3
	s_delay_alu instid0(SALU_CYCLE_1)
	s_xor_b32 s1, exec_lo, s1
	s_cbranch_execz .LBB695_78
; %bb.77:
	v_add_nc_u32_e32 v9, -2, v9
	s_or_b32 s15, s15, exec_lo
	ds_load_i16 v9, v9
	s_waitcnt lgkmcnt(0)
	v_mul_i32_i24_e32 v9, 0x6667, v9
	s_delay_alu instid0(VALU_DEP_1) | instskip(SKIP_1) | instid1(VALU_DEP_1)
	v_lshrrev_b32_e32 v18, 31, v9
	v_ashrrev_i32_e32 v9, 18, v9
	v_add_nc_u16 v9, v9, v18
	s_delay_alu instid0(VALU_DEP_1)
	v_cmp_ne_u16_e32 vcc_lo, v9, v17
	s_and_b32 s4, vcc_lo, exec_lo
.LBB695_78:
	s_or_b32 exec_lo, exec_lo, s1
.LBB695_79:
	v_mov_b32_e32 v18, v7
	s_branch .LBB695_115
.LBB695_80:
	s_mul_hi_u32 s0, s24, 0xfffff100
	s_mul_i32 s1, s25, 0xfffff100
	s_sub_i32 s0, s0, s24
	s_mul_i32 s4, s24, 0xfffff100
	v_lshrrev_b32_e32 v9, 16, v12
	v_mad_u32_u24 v17, v0, 15, 14
	s_add_i32 s1, s0, s1
	s_add_u32 s0, s4, s36
	s_addc_u32 s1, s1, s37
	s_and_b32 vcc_lo, exec_lo, s16
	s_cbranch_vccz .LBB695_219
; %bb.81:
	v_add_co_u32 v6, vcc_lo, -2, v6
	v_add_co_ci_u32_e32 v7, vcc_lo, -1, v8, vcc_lo
	v_mov_b32_e32 v61, 0
	s_mov_b32 s4, exec_lo
	v_lshlrev_b32_e32 v27, 1, v0
	flat_load_u16 v8, v[6:7]
	v_mov_b32_e32 v7, 0
	ds_store_b16 v27, v9
	v_mov_b32_e32 v18, v7
	s_delay_alu instid0(VALU_DEP_1)
	v_cmpx_gt_u64_e64 s[0:1], v[17:18]
	s_cbranch_execz .LBB695_83
; %bb.82:
	v_bfe_i32 v6, v12, 0, 16
	v_bfe_i32 v13, v9, 0, 16
	s_delay_alu instid0(VALU_DEP_2) | instskip(NEXT) | instid1(VALU_DEP_2)
	v_mul_i32_i24_e32 v6, 0x6667, v6
	v_mul_i32_i24_e32 v13, 0x6667, v13
	s_delay_alu instid0(VALU_DEP_2) | instskip(SKIP_1) | instid1(VALU_DEP_3)
	v_lshrrev_b32_e32 v14, 31, v6
	v_ashrrev_i32_e32 v6, 18, v6
	v_lshrrev_b32_e32 v15, 31, v13
	v_ashrrev_i32_e32 v13, 18, v13
	s_delay_alu instid0(VALU_DEP_3) | instskip(NEXT) | instid1(VALU_DEP_2)
	v_add_nc_u16 v6, v6, v14
	v_add_nc_u16 v13, v13, v15
	s_delay_alu instid0(VALU_DEP_1)
	v_cmp_ne_u16_e32 vcc_lo, v6, v13
	v_cndmask_b32_e64 v61, 0, 1, vcc_lo
.LBB695_83:
	s_or_b32 exec_lo, exec_lo, s4
	v_add_nc_u32_e32 v6, 13, v5
	s_mov_b32 s4, exec_lo
	s_delay_alu instid0(VALU_DEP_1)
	v_cmpx_gt_u64_e64 s[0:1], v[6:7]
	s_cbranch_execz .LBB695_85
; %bb.84:
	v_ashrrev_i32_e32 v6, 16, v11
	v_bfe_i32 v7, v12, 0, 16
	s_delay_alu instid0(VALU_DEP_2) | instskip(NEXT) | instid1(VALU_DEP_2)
	v_mul_i32_i24_e32 v6, 0x6667, v6
	v_mul_i32_i24_e32 v7, 0x6667, v7
	s_delay_alu instid0(VALU_DEP_2) | instskip(SKIP_1) | instid1(VALU_DEP_3)
	v_lshrrev_b32_e32 v13, 31, v6
	v_ashrrev_i32_e32 v6, 18, v6
	v_lshrrev_b32_e32 v14, 31, v7
	v_ashrrev_i32_e32 v7, 18, v7
	s_delay_alu instid0(VALU_DEP_3) | instskip(NEXT) | instid1(VALU_DEP_2)
	v_add_nc_u16 v6, v6, v13
	v_add_nc_u16 v7, v7, v14
	s_delay_alu instid0(VALU_DEP_1)
	v_cmp_ne_u16_e32 vcc_lo, v6, v7
	v_cndmask_b32_e64 v7, 0, 1, vcc_lo
.LBB695_85:
	s_or_b32 exec_lo, exec_lo, s4
	v_dual_mov_b32 v14, 0 :: v_dual_add_nc_u32 v13, 12, v5
	v_mov_b32_e32 v63, 0
	s_mov_b32 s4, exec_lo
	s_delay_alu instid0(VALU_DEP_2)
	v_cmpx_gt_u64_e64 s[0:1], v[13:14]
	s_cbranch_execz .LBB695_87
; %bb.86:
	v_bfe_i32 v6, v11, 0, 16
	v_ashrrev_i32_e32 v13, 16, v11
	s_delay_alu instid0(VALU_DEP_2) | instskip(NEXT) | instid1(VALU_DEP_2)
	v_mul_i32_i24_e32 v6, 0x6667, v6
	v_mul_i32_i24_e32 v13, 0x6667, v13
	s_delay_alu instid0(VALU_DEP_2) | instskip(SKIP_1) | instid1(VALU_DEP_3)
	v_lshrrev_b32_e32 v15, 31, v6
	v_ashrrev_i32_e32 v6, 18, v6
	v_lshrrev_b32_e32 v16, 31, v13
	v_ashrrev_i32_e32 v13, 18, v13
	s_delay_alu instid0(VALU_DEP_3) | instskip(NEXT) | instid1(VALU_DEP_2)
	v_add_nc_u16 v6, v6, v15
	v_add_nc_u16 v13, v13, v16
	s_delay_alu instid0(VALU_DEP_1)
	v_cmp_ne_u16_e32 vcc_lo, v6, v13
	v_cndmask_b32_e64 v63, 0, 1, vcc_lo
.LBB695_87:
	s_or_b32 exec_lo, exec_lo, s4
	v_add_nc_u32_e32 v13, 11, v5
	s_mov_b32 s4, exec_lo
	s_delay_alu instid0(VALU_DEP_1)
	v_cmpx_gt_u64_e64 s[0:1], v[13:14]
	s_cbranch_execz .LBB695_89
; %bb.88:
	v_ashrrev_i32_e32 v6, 16, v10
	v_bfe_i32 v13, v11, 0, 16
	s_delay_alu instid0(VALU_DEP_2) | instskip(NEXT) | instid1(VALU_DEP_2)
	v_mul_i32_i24_e32 v6, 0x6667, v6
	v_mul_i32_i24_e32 v13, 0x6667, v13
	s_delay_alu instid0(VALU_DEP_2) | instskip(SKIP_1) | instid1(VALU_DEP_3)
	v_lshrrev_b32_e32 v14, 31, v6
	v_ashrrev_i32_e32 v6, 18, v6
	v_lshrrev_b32_e32 v15, 31, v13
	v_ashrrev_i32_e32 v13, 18, v13
	s_delay_alu instid0(VALU_DEP_3) | instskip(NEXT) | instid1(VALU_DEP_2)
	v_add_nc_u16 v6, v6, v14
	v_add_nc_u16 v13, v13, v15
	s_delay_alu instid0(VALU_DEP_1)
	v_cmp_ne_u16_e32 vcc_lo, v6, v13
	v_cndmask_b32_e64 v14, 0, 1, vcc_lo
.LBB695_89:
	s_or_b32 exec_lo, exec_lo, s4
	v_dual_mov_b32 v16, 0 :: v_dual_add_nc_u32 v15, 10, v5
	v_mov_b32_e32 v13, 0
	s_mov_b32 s4, exec_lo
	s_delay_alu instid0(VALU_DEP_2)
	v_cmpx_gt_u64_e64 s[0:1], v[15:16]
	s_cbranch_execz .LBB695_91
; %bb.90:
	v_bfe_i32 v6, v10, 0, 16
	v_ashrrev_i32_e32 v13, 16, v10
	s_delay_alu instid0(VALU_DEP_2) | instskip(NEXT) | instid1(VALU_DEP_2)
	v_mul_i32_i24_e32 v6, 0x6667, v6
	v_mul_i32_i24_e32 v13, 0x6667, v13
	s_delay_alu instid0(VALU_DEP_2) | instskip(SKIP_1) | instid1(VALU_DEP_3)
	v_lshrrev_b32_e32 v15, 31, v6
	v_ashrrev_i32_e32 v6, 18, v6
	v_lshrrev_b32_e32 v18, 31, v13
	v_ashrrev_i32_e32 v13, 18, v13
	s_delay_alu instid0(VALU_DEP_3) | instskip(NEXT) | instid1(VALU_DEP_2)
	v_add_nc_u16 v6, v6, v15
	v_add_nc_u16 v13, v13, v18
	s_delay_alu instid0(VALU_DEP_1)
	v_cmp_ne_u16_e32 vcc_lo, v6, v13
	v_cndmask_b32_e64 v13, 0, 1, vcc_lo
.LBB695_91:
	;; [unrolled: 49-line block ×6, first 2 shown]
	s_or_b32 exec_lo, exec_lo, s4
	v_add_nc_u32_e32 v25, 1, v5
	s_mov_b32 s4, exec_lo
	s_delay_alu instid0(VALU_DEP_1)
	v_cmpx_gt_u64_e64 s[0:1], v[25:26]
	s_cbranch_execz .LBB695_109
; %bb.108:
	v_bfe_i32 v6, v62, 0, 16
	v_bfe_i32 v18, v1, 0, 16
	s_delay_alu instid0(VALU_DEP_2) | instskip(NEXT) | instid1(VALU_DEP_2)
	v_mul_i32_i24_e32 v6, 0x6667, v6
	v_mul_i32_i24_e32 v18, 0x6667, v18
	s_delay_alu instid0(VALU_DEP_2) | instskip(SKIP_1) | instid1(VALU_DEP_3)
	v_lshrrev_b32_e32 v25, 31, v6
	v_ashrrev_i32_e32 v6, 18, v6
	v_lshrrev_b32_e32 v26, 31, v18
	v_ashrrev_i32_e32 v18, 18, v18
	s_delay_alu instid0(VALU_DEP_3) | instskip(NEXT) | instid1(VALU_DEP_2)
	v_add_nc_u16 v6, v6, v25
	v_add_nc_u16 v18, v18, v26
	s_delay_alu instid0(VALU_DEP_1)
	v_cmp_ne_u16_e32 vcc_lo, v6, v18
	v_cndmask_b32_e64 v26, 0, 1, vcc_lo
.LBB695_109:
	s_or_b32 exec_lo, exec_lo, s4
	s_waitcnt vmcnt(0) lgkmcnt(0)
	s_barrier
	buffer_gl0_inv
	s_and_saveexec_b32 s4, s3
	s_cbranch_execz .LBB695_111
; %bb.110:
	v_add_nc_u32_e32 v6, -2, v27
	ds_load_u16 v8, v6
.LBB695_111:
	s_or_b32 exec_lo, exec_lo, s4
	v_mov_b32_e32 v6, 0
	s_mov_b32 s5, 0
	s_mov_b32 s4, 0
	s_mov_b32 s6, exec_lo
	s_delay_alu instid0(VALU_DEP_1)
	v_cmpx_gt_u64_e64 s[0:1], v[5:6]
	s_cbranch_execz .LBB695_113
; %bb.112:
	s_waitcnt lgkmcnt(0)
	v_bfe_i32 v6, v8, 0, 16
	v_bfe_i32 v8, v62, 0, 16
	s_delay_alu instid0(VALU_DEP_2) | instskip(NEXT) | instid1(VALU_DEP_2)
	v_mul_i32_i24_e32 v6, 0x6667, v6
	v_mul_i32_i24_e32 v8, 0x6667, v8
	s_delay_alu instid0(VALU_DEP_2) | instskip(SKIP_1) | instid1(VALU_DEP_3)
	v_lshrrev_b32_e32 v18, 31, v6
	v_ashrrev_i32_e32 v6, 18, v6
	v_lshrrev_b32_e32 v25, 31, v8
	v_ashrrev_i32_e32 v8, 18, v8
	s_delay_alu instid0(VALU_DEP_3) | instskip(NEXT) | instid1(VALU_DEP_2)
	v_add_nc_u16 v6, v6, v18
	v_add_nc_u16 v8, v8, v25
	s_delay_alu instid0(VALU_DEP_1)
	v_cmp_ne_u16_e32 vcc_lo, v6, v8
	s_and_b32 s4, vcc_lo, exec_lo
.LBB695_113:
	s_or_b32 exec_lo, exec_lo, s6
	s_mov_b32 s15, -1
	s_and_b32 vcc_lo, exec_lo, s5
	s_cbranch_vccnz .LBB695_220
.LBB695_114:
                                        ; implicit-def: $vgpr18
                                        ; implicit-def: $sgpr0
.LBB695_115:
	v_mov_b32_e32 v25, s0
	s_and_saveexec_b32 s0, s15
.LBB695_116:
	v_cndmask_b32_e64 v25, 0, 1, s4
	v_mov_b32_e32 v18, v7
.LBB695_117:
	s_or_b32 exec_lo, exec_lo, s0
	s_delay_alu instid0(VALU_DEP_1)
	v_add3_u32 v5, v26, v25, v23
	v_cmp_eq_u32_e64 s13, 0, v26
	v_cmp_eq_u32_e64 s12, 0, v23
	;; [unrolled: 1-line block ×4, first 2 shown]
	v_add3_u32 v80, v5, v24, v21
	v_cmp_eq_u32_e64 s9, 0, v22
	v_cmp_eq_u32_e64 s8, 0, v19
	v_cmp_eq_u32_e64 s7, 0, v20
	v_cmp_eq_u32_e64 s6, 0, v15
	v_cmp_eq_u32_e64 s5, 0, v16
	v_cmp_eq_u32_e64 s4, 0, v13
	v_cmp_eq_u32_e64 s3, 0, v14
	v_cmp_eq_u32_e64 s1, 0, v63
	v_cmp_eq_u32_e64 s0, 0, v18
	v_cmp_eq_u32_e32 vcc_lo, 0, v61
	v_mbcnt_lo_u32_b32 v77, -1, 0
	v_lshrrev_b32_e32 v78, 5, v0
	v_or_b32_e32 v79, 31, v0
	s_cmp_eq_u64 s[22:23], 0
	s_cselect_b32 s16, -1, 0
	s_cmp_lg_u32 s33, 0
	s_cbranch_scc0 .LBB695_143
; %bb.118:
	v_cndmask_b32_e64 v5, 0, v74, s13
	v_add3_u32 v6, v80, v22, v19
	v_and_b32_e32 v9, 15, v77
	s_delay_alu instid0(VALU_DEP_3) | instskip(NEXT) | instid1(VALU_DEP_3)
	v_add_nc_u16 v5, v5, v73
	v_add3_u32 v6, v6, v20, v15
	s_delay_alu instid0(VALU_DEP_2) | instskip(NEXT) | instid1(VALU_DEP_2)
	v_cndmask_b32_e64 v5, 0, v5, s12
	v_add3_u32 v6, v6, v16, v13
	s_delay_alu instid0(VALU_DEP_2) | instskip(NEXT) | instid1(VALU_DEP_2)
	v_add_nc_u16 v5, v5, v75
	v_add3_u32 v6, v6, v14, v63
	s_delay_alu instid0(VALU_DEP_2) | instskip(NEXT) | instid1(VALU_DEP_2)
	v_cndmask_b32_e64 v5, 0, v5, s11
	v_add3_u32 v6, v6, v18, v61
	s_delay_alu instid0(VALU_DEP_2) | instskip(NEXT) | instid1(VALU_DEP_2)
	v_add_nc_u16 v5, v5, v71
	v_mov_b32_dpp v17, v6 row_shr:1 row_mask:0xf bank_mask:0xf
	s_delay_alu instid0(VALU_DEP_2) | instskip(NEXT) | instid1(VALU_DEP_1)
	v_cndmask_b32_e64 v5, 0, v5, s10
	v_add_nc_u16 v5, v5, v72
	s_delay_alu instid0(VALU_DEP_1) | instskip(NEXT) | instid1(VALU_DEP_1)
	v_cndmask_b32_e64 v5, 0, v5, s9
	v_add_nc_u16 v5, v5, v69
	s_delay_alu instid0(VALU_DEP_1) | instskip(NEXT) | instid1(VALU_DEP_1)
	;; [unrolled: 3-line block ×9, first 2 shown]
	v_cndmask_b32_e64 v5, 0, v5, s0
	v_add_nc_u16 v5, v5, v59
	s_delay_alu instid0(VALU_DEP_1) | instskip(SKIP_1) | instid1(VALU_DEP_2)
	v_cndmask_b32_e32 v5, 0, v5, vcc_lo
	v_cmp_eq_u32_e32 vcc_lo, 0, v6
	v_add_nc_u16 v5, v5, v76
	s_delay_alu instid0(VALU_DEP_1) | instskip(SKIP_1) | instid1(VALU_DEP_1)
	v_and_b32_e32 v7, 0xffff, v5
	s_waitcnt lgkmcnt(0)
	v_mov_b32_dpp v8, v7 row_shr:1 row_mask:0xf bank_mask:0xf
	s_delay_alu instid0(VALU_DEP_1) | instskip(SKIP_1) | instid1(VALU_DEP_2)
	v_cndmask_b32_e32 v8, 0, v8, vcc_lo
	v_cmp_eq_u32_e32 vcc_lo, 0, v9
	v_add_nc_u16 v8, v8, v5
	v_cndmask_b32_e64 v17, v17, 0, vcc_lo
	s_delay_alu instid0(VALU_DEP_2) | instskip(NEXT) | instid1(VALU_DEP_2)
	v_and_b32_e32 v27, 0xffff, v8
	v_dual_cndmask_b32 v5, v8, v5 :: v_dual_add_nc_u32 v6, v17, v6
	s_delay_alu instid0(VALU_DEP_2) | instskip(NEXT) | instid1(VALU_DEP_2)
	v_cndmask_b32_e32 v7, v27, v7, vcc_lo
	v_cmp_eq_u32_e32 vcc_lo, 0, v6
	s_delay_alu instid0(VALU_DEP_2) | instskip(NEXT) | instid1(VALU_DEP_1)
	v_mov_b32_dpp v17, v7 row_shr:2 row_mask:0xf bank_mask:0xf
	v_cndmask_b32_e32 v8, 0, v17, vcc_lo
	v_mov_b32_dpp v17, v6 row_shr:2 row_mask:0xf bank_mask:0xf
	v_cmp_lt_u32_e32 vcc_lo, 1, v9
	s_delay_alu instid0(VALU_DEP_3) | instskip(NEXT) | instid1(VALU_DEP_1)
	v_add_nc_u16 v8, v8, v5
	v_and_b32_e32 v27, 0xffff, v8
	s_delay_alu instid0(VALU_DEP_4) | instskip(NEXT) | instid1(VALU_DEP_1)
	v_dual_cndmask_b32 v5, v5, v8 :: v_dual_cndmask_b32 v8, 0, v17
	v_dual_cndmask_b32 v7, v7, v27 :: v_dual_add_nc_u32 v6, v6, v8
	s_delay_alu instid0(VALU_DEP_1) | instskip(NEXT) | instid1(VALU_DEP_2)
	v_cmp_eq_u32_e32 vcc_lo, 0, v6
	v_mov_b32_dpp v8, v7 row_shr:4 row_mask:0xf bank_mask:0xf
	v_mov_b32_dpp v17, v6 row_shr:4 row_mask:0xf bank_mask:0xf
	s_delay_alu instid0(VALU_DEP_2) | instskip(SKIP_1) | instid1(VALU_DEP_2)
	v_cndmask_b32_e32 v8, 0, v8, vcc_lo
	v_cmp_lt_u32_e32 vcc_lo, 3, v9
	v_add_nc_u16 v8, v8, v5
	s_delay_alu instid0(VALU_DEP_1) | instskip(SKIP_1) | instid1(VALU_DEP_1)
	v_and_b32_e32 v27, 0xffff, v8
	v_dual_cndmask_b32 v5, v5, v8 :: v_dual_cndmask_b32 v8, 0, v17
	v_dual_cndmask_b32 v7, v7, v27 :: v_dual_add_nc_u32 v6, v8, v6
	s_delay_alu instid0(VALU_DEP_1) | instskip(NEXT) | instid1(VALU_DEP_2)
	v_cmp_eq_u32_e32 vcc_lo, 0, v6
	v_mov_b32_dpp v8, v7 row_shr:8 row_mask:0xf bank_mask:0xf
	v_mov_b32_dpp v17, v6 row_shr:8 row_mask:0xf bank_mask:0xf
	s_delay_alu instid0(VALU_DEP_2) | instskip(SKIP_1) | instid1(VALU_DEP_2)
	v_cndmask_b32_e32 v8, 0, v8, vcc_lo
	v_cmp_lt_u32_e32 vcc_lo, 7, v9
	v_add_nc_u16 v8, v8, v5
	s_delay_alu instid0(VALU_DEP_4) | instskip(SKIP_1) | instid1(VALU_DEP_3)
	v_cndmask_b32_e32 v9, 0, v17, vcc_lo
	v_bfe_i32 v17, v77, 4, 1
	v_cndmask_b32_e32 v5, v5, v8, vcc_lo
	v_and_b32_e32 v8, 0xffff, v8
	s_delay_alu instid0(VALU_DEP_4) | instskip(SKIP_1) | instid1(VALU_DEP_3)
	v_add_nc_u32_e32 v6, v9, v6
	v_and_b32_e32 v9, 16, v77
	v_cndmask_b32_e32 v7, v7, v8, vcc_lo
	ds_swizzle_b32 v8, v6 offset:swizzle(BROADCAST,32,15)
	v_cmp_ne_u32_e32 vcc_lo, 0, v9
	v_cmp_eq_u32_e64 s14, 0, v6
	ds_swizzle_b32 v7, v7 offset:swizzle(BROADCAST,32,15)
	s_and_b32 vcc_lo, vcc_lo, s14
	s_mov_b32 s14, exec_lo
	s_waitcnt lgkmcnt(0)
	v_dual_cndmask_b32 v7, 0, v7 :: v_dual_and_b32 v8, v17, v8
	s_delay_alu instid0(VALU_DEP_1) | instskip(NEXT) | instid1(VALU_DEP_2)
	v_add_nc_u32_e32 v6, v8, v6
	v_add_nc_u16 v5, v7, v5
	v_lshlrev_b32_e32 v7, 3, v78
	v_cmpx_eq_u32_e64 v79, v0
	s_cbranch_execz .LBB695_120
; %bb.119:
	ds_store_b32 v7, v6 offset:1040
	ds_store_b16 v7, v5 offset:1044
.LBB695_120:
	s_or_b32 exec_lo, exec_lo, s14
	s_delay_alu instid0(SALU_CYCLE_1)
	s_mov_b32 s15, exec_lo
	s_waitcnt lgkmcnt(0)
	s_barrier
	buffer_gl0_inv
	v_cmpx_gt_u32_e32 8, v0
	s_cbranch_execz .LBB695_122
; %bb.121:
	v_lshlrev_b32_e32 v17, 3, v0
	v_and_b32_e32 v30, 7, v77
	ds_load_b64 v[8:9], v17 offset:1040
	s_waitcnt lgkmcnt(0)
	v_mov_b32_dpp v27, v9 row_shr:1 row_mask:0xf bank_mask:0xf
	v_cmp_eq_u32_e32 vcc_lo, 0, v8
	v_mov_b32_dpp v31, v8 row_shr:1 row_mask:0xf bank_mask:0xf
	s_delay_alu instid0(VALU_DEP_3) | instskip(SKIP_1) | instid1(VALU_DEP_2)
	v_dual_cndmask_b32 v27, 0, v27 :: v_dual_and_b32 v28, 0xffff0000, v9
	v_cmp_eq_u32_e32 vcc_lo, 0, v30
	v_add_nc_u16 v27, v27, v9
	s_delay_alu instid0(VALU_DEP_4) | instskip(NEXT) | instid1(VALU_DEP_2)
	v_cndmask_b32_e64 v31, v31, 0, vcc_lo
	v_and_b32_e32 v29, 0xffff, v27
	s_delay_alu instid0(VALU_DEP_2) | instskip(NEXT) | instid1(VALU_DEP_2)
	v_add_nc_u32_e32 v8, v31, v8
	v_or_b32_e32 v29, v28, v29
	s_delay_alu instid0(VALU_DEP_1) | instskip(SKIP_1) | instid1(VALU_DEP_4)
	v_cndmask_b32_e32 v29, v29, v9, vcc_lo
	v_cndmask_b32_e32 v9, v27, v9, vcc_lo
	v_cmp_eq_u32_e32 vcc_lo, 0, v8
	s_delay_alu instid0(VALU_DEP_3) | instskip(NEXT) | instid1(VALU_DEP_1)
	v_mov_b32_dpp v31, v29 row_shr:2 row_mask:0xf bank_mask:0xf
	v_cndmask_b32_e32 v27, 0, v31, vcc_lo
	v_mov_b32_dpp v31, v8 row_shr:2 row_mask:0xf bank_mask:0xf
	v_cmp_lt_u32_e32 vcc_lo, 1, v30
	v_cmp_lt_u32_e64 s14, 3, v30
	s_delay_alu instid0(VALU_DEP_4) | instskip(NEXT) | instid1(VALU_DEP_1)
	v_add_nc_u16 v27, v27, v9
	v_and_b32_e32 v32, 0xffff, v27
	v_cndmask_b32_e32 v9, v9, v27, vcc_lo
	v_cndmask_b32_e32 v27, 0, v31, vcc_lo
	s_delay_alu instid0(VALU_DEP_3) | instskip(NEXT) | instid1(VALU_DEP_2)
	v_or_b32_e32 v28, v28, v32
	v_add_nc_u32_e32 v8, v27, v8
	s_delay_alu instid0(VALU_DEP_2) | instskip(NEXT) | instid1(VALU_DEP_2)
	v_cndmask_b32_e32 v27, v29, v28, vcc_lo
	v_cmp_eq_u32_e32 vcc_lo, 0, v8
	v_mov_b32_dpp v28, v8 row_shr:4 row_mask:0xf bank_mask:0xf
	s_delay_alu instid0(VALU_DEP_3) | instskip(SKIP_1) | instid1(VALU_DEP_2)
	v_mov_b32_dpp v27, v27 row_shr:4 row_mask:0xf bank_mask:0xf
	s_and_b32 vcc_lo, s14, vcc_lo
	v_cndmask_b32_e64 v28, 0, v28, s14
	s_delay_alu instid0(VALU_DEP_1) | instskip(NEXT) | instid1(VALU_DEP_1)
	v_dual_cndmask_b32 v27, 0, v27 :: v_dual_add_nc_u32 v8, v28, v8
	v_add_nc_u16 v9, v9, v27
	ds_store_b32 v17, v8 offset:1040
	ds_store_b16 v17, v9 offset:1044
.LBB695_122:
	s_or_b32 exec_lo, exec_lo, s15
	v_cmp_gt_u32_e32 vcc_lo, 32, v0
	v_mov_b32_e32 v31, 0
	v_mov_b32_e32 v17, 0
	s_mov_b32 s15, exec_lo
	s_waitcnt lgkmcnt(0)
	s_barrier
	buffer_gl0_inv
	v_cmpx_lt_u32_e32 31, v0
	s_cbranch_execz .LBB695_124
; %bb.123:
	ds_load_u16 v17, v7 offset:1036
	ds_load_b32 v31, v7 offset:1032
	v_cmp_eq_u32_e64 s14, 0, v6
	s_waitcnt lgkmcnt(1)
	s_delay_alu instid0(VALU_DEP_1) | instskip(SKIP_2) | instid1(VALU_DEP_2)
	v_cndmask_b32_e64 v7, 0, v17, s14
	s_waitcnt lgkmcnt(0)
	v_add_nc_u32_e32 v6, v31, v6
	v_add_nc_u16 v5, v7, v5
.LBB695_124:
	s_or_b32 exec_lo, exec_lo, s15
	v_add_nc_u32_e32 v7, -1, v77
	s_delay_alu instid0(VALU_DEP_2) | instskip(NEXT) | instid1(VALU_DEP_2)
	v_and_b32_e32 v5, 0xffff, v5
	v_cmp_gt_i32_e64 s14, 0, v7
	s_delay_alu instid0(VALU_DEP_1) | instskip(SKIP_1) | instid1(VALU_DEP_2)
	v_cndmask_b32_e64 v7, v7, v77, s14
	v_cmp_eq_u32_e64 s14, 0, v77
	v_lshlrev_b32_e32 v7, 2, v7
	ds_bpermute_b32 v32, v7, v6
	ds_bpermute_b32 v33, v7, v5
	s_and_saveexec_b32 s22, vcc_lo
	s_cbranch_execz .LBB695_142
; %bb.125:
	v_mov_b32_e32 v8, 0
	ds_load_b64 v[5:6], v8 offset:1096
	s_waitcnt lgkmcnt(0)
	v_readfirstlane_b32 s23, v6
	s_and_saveexec_b32 s15, s14
	s_cbranch_execz .LBB695_127
; %bb.126:
	s_add_i32 s24, s33, 32
	s_mov_b32 s25, 0
	v_mov_b32_e32 v7, 1
	s_lshl_b64 s[36:37], s[24:25], 4
	s_mov_b32 s40, s25
	s_add_u32 s36, s20, s36
	s_addc_u32 s37, s21, s37
	s_and_b32 s41, s23, 0xff000000
	s_and_b32 s43, s23, 0xff0000
	s_mov_b32 s42, s25
	v_dual_mov_b32 v27, s36 :: v_dual_mov_b32 v28, s37
	s_or_b64 s[40:41], s[42:43], s[40:41]
	s_and_b32 s43, s23, 0xff00
	s_delay_alu instid0(SALU_CYCLE_1) | instskip(SKIP_1) | instid1(SALU_CYCLE_1)
	s_or_b64 s[40:41], s[40:41], s[42:43]
	s_and_b32 s43, s23, 0xff
	s_or_b64 s[24:25], s[40:41], s[42:43]
	s_delay_alu instid0(SALU_CYCLE_1)
	v_mov_b32_e32 v6, s25
	;;#ASMSTART
	global_store_dwordx4 v[27:28], v[5:8] off	
s_waitcnt vmcnt(0)
	;;#ASMEND
.LBB695_127:
	s_or_b32 exec_lo, exec_lo, s15
	v_xad_u32 v27, v77, -1, s33
	s_mov_b32 s24, 0
	s_mov_b32 s15, exec_lo
	s_delay_alu instid0(VALU_DEP_1) | instskip(NEXT) | instid1(VALU_DEP_1)
	v_add_nc_u32_e32 v7, 32, v27
	v_lshlrev_b64 v[6:7], 4, v[7:8]
	s_delay_alu instid0(VALU_DEP_1) | instskip(NEXT) | instid1(VALU_DEP_2)
	v_add_co_u32 v28, vcc_lo, s20, v6
	v_add_co_ci_u32_e32 v29, vcc_lo, s21, v7, vcc_lo
	;;#ASMSTART
	global_load_dwordx4 v[6:9], v[28:29] off glc	
s_waitcnt vmcnt(0)
	;;#ASMEND
	v_and_b32_e32 v9, 0xffffff, v6
	v_and_b32_e32 v6, 0xff000000, v6
	;; [unrolled: 1-line block ×4, first 2 shown]
	s_delay_alu instid0(VALU_DEP_3) | instskip(SKIP_1) | instid1(VALU_DEP_3)
	v_or_b32_e32 v6, v9, v6
	v_and_b32_e32 v9, 0xff, v8
	v_or3_b32 v7, 0, v30, v7
	s_delay_alu instid0(VALU_DEP_3) | instskip(NEXT) | instid1(VALU_DEP_3)
	v_or3_b32 v6, v6, 0, 0
	v_cmpx_eq_u16_e32 0, v9
	s_cbranch_execz .LBB695_130
.LBB695_128:                            ; =>This Inner Loop Header: Depth=1
	;;#ASMSTART
	global_load_dwordx4 v[6:9], v[28:29] off glc	
s_waitcnt vmcnt(0)
	;;#ASMEND
	v_and_b32_e32 v9, 0xff, v8
	s_delay_alu instid0(VALU_DEP_1) | instskip(SKIP_1) | instid1(SALU_CYCLE_1)
	v_cmp_ne_u16_e32 vcc_lo, 0, v9
	s_or_b32 s24, vcc_lo, s24
	s_and_not1_b32 exec_lo, exec_lo, s24
	s_cbranch_execnz .LBB695_128
; %bb.129:
	s_or_b32 exec_lo, exec_lo, s24
	v_and_b32_e32 v7, 0xffff, v7
.LBB695_130:
	s_or_b32 exec_lo, exec_lo, s15
	v_cmp_ne_u32_e32 vcc_lo, 31, v77
	v_cmp_eq_u32_e64 s15, 0, v6
	v_lshlrev_b32_e64 v35, v77, -1
	v_add_nc_u32_e32 v43, 8, v77
	v_add_nc_u32_e32 v45, 16, v77
	v_add_co_ci_u32_e32 v9, vcc_lo, 0, v77, vcc_lo
	s_delay_alu instid0(VALU_DEP_1) | instskip(SKIP_4) | instid1(VALU_DEP_1)
	v_lshlrev_b32_e32 v34, 2, v9
	ds_bpermute_b32 v9, v34, v7
	ds_bpermute_b32 v30, v34, v6
	s_waitcnt lgkmcnt(1)
	v_cndmask_b32_e64 v9, 0, v9, s15
	v_add_nc_u16 v9, v9, v7
	v_and_b32_e32 v28, 0xff, v8
	s_delay_alu instid0(VALU_DEP_2) | instskip(NEXT) | instid1(VALU_DEP_2)
	v_and_b32_e32 v37, 0xffff, v9
	v_cmp_eq_u16_e32 vcc_lo, 2, v28
	v_and_or_b32 v28, vcc_lo, v35, 0x80000000
	v_cmp_gt_u32_e32 vcc_lo, 30, v77
	s_delay_alu instid0(VALU_DEP_2) | instskip(SKIP_1) | instid1(VALU_DEP_2)
	v_ctz_i32_b32_e32 v28, v28
	v_cndmask_b32_e64 v29, 0, 1, vcc_lo
	v_cmp_lt_u32_e32 vcc_lo, v77, v28
	s_waitcnt lgkmcnt(0)
	s_delay_alu instid0(VALU_DEP_2) | instskip(NEXT) | instid1(VALU_DEP_1)
	v_dual_cndmask_b32 v30, 0, v30 :: v_dual_lshlrev_b32 v29, 1, v29
	v_add_lshl_u32 v36, v29, v77, 2
	v_cndmask_b32_e32 v9, v7, v9, vcc_lo
	v_cndmask_b32_e32 v7, v7, v37, vcc_lo
	v_add_nc_u32_e32 v37, 2, v77
	v_add_nc_u32_e32 v6, v30, v6
	ds_bpermute_b32 v29, v36, v7
	v_cmp_eq_u32_e32 vcc_lo, 0, v6
	ds_bpermute_b32 v39, v36, v6
	s_waitcnt lgkmcnt(1)
	v_cndmask_b32_e32 v29, 0, v29, vcc_lo
	v_cmp_gt_u32_e32 vcc_lo, 28, v77
	v_cndmask_b32_e64 v30, 0, 1, vcc_lo
	v_cmp_gt_u32_e32 vcc_lo, v37, v28
	s_delay_alu instid0(VALU_DEP_2) | instskip(SKIP_1) | instid1(VALU_DEP_2)
	v_lshlrev_b32_e32 v30, 2, v30
	v_add_nc_u16 v29, v29, v9
	v_add_lshl_u32 v38, v30, v77, 2
	s_delay_alu instid0(VALU_DEP_2) | instskip(SKIP_4) | instid1(VALU_DEP_3)
	v_and_b32_e32 v40, 0xffff, v29
	s_waitcnt lgkmcnt(0)
	v_cndmask_b32_e64 v30, v39, 0, vcc_lo
	v_cndmask_b32_e32 v9, v29, v9, vcc_lo
	v_add_nc_u32_e32 v39, 4, v77
	v_dual_cndmask_b32 v7, v40, v7 :: v_dual_add_nc_u32 v6, v6, v30
	ds_bpermute_b32 v29, v38, v7
	v_cmp_eq_u32_e32 vcc_lo, 0, v6
	ds_bpermute_b32 v41, v38, v6
	s_waitcnt lgkmcnt(1)
	v_cndmask_b32_e32 v29, 0, v29, vcc_lo
	v_cmp_gt_u32_e32 vcc_lo, 24, v77
	v_cndmask_b32_e64 v30, 0, 1, vcc_lo
	v_cmp_gt_u32_e32 vcc_lo, v39, v28
	s_delay_alu instid0(VALU_DEP_2) | instskip(SKIP_1) | instid1(VALU_DEP_2)
	v_lshlrev_b32_e32 v30, 3, v30
	v_add_nc_u16 v29, v9, v29
	v_add_lshl_u32 v40, v30, v77, 2
	s_delay_alu instid0(VALU_DEP_2) | instskip(SKIP_3) | instid1(VALU_DEP_3)
	v_and_b32_e32 v42, 0xffff, v29
	s_waitcnt lgkmcnt(0)
	v_cndmask_b32_e64 v30, v41, 0, vcc_lo
	v_cndmask_b32_e32 v9, v29, v9, vcc_lo
	v_cndmask_b32_e32 v7, v42, v7, vcc_lo
	s_delay_alu instid0(VALU_DEP_3)
	v_add_nc_u32_e32 v6, v6, v30
	ds_bpermute_b32 v29, v40, v7
	ds_bpermute_b32 v30, v40, v6
	v_cmp_eq_u32_e32 vcc_lo, 0, v6
	s_waitcnt lgkmcnt(1)
	v_cndmask_b32_e32 v29, 0, v29, vcc_lo
	v_cmp_gt_u32_e32 vcc_lo, 16, v77
	s_delay_alu instid0(VALU_DEP_2) | instskip(SKIP_2) | instid1(VALU_DEP_3)
	v_add_nc_u16 v29, v9, v29
	v_cndmask_b32_e64 v41, 0, 1, vcc_lo
	v_cmp_gt_u32_e32 vcc_lo, v43, v28
	v_and_b32_e32 v42, 0xffff, v29
	s_delay_alu instid0(VALU_DEP_3)
	v_lshlrev_b32_e32 v41, 4, v41
	v_cndmask_b32_e32 v9, v29, v9, vcc_lo
	s_waitcnt lgkmcnt(0)
	v_cndmask_b32_e64 v29, v30, 0, vcc_lo
	v_cndmask_b32_e32 v7, v42, v7, vcc_lo
	v_add_lshl_u32 v44, v41, v77, 2
	s_delay_alu instid0(VALU_DEP_3)
	v_add_nc_u32_e32 v6, v6, v29
	ds_bpermute_b32 v7, v44, v7
	ds_bpermute_b32 v29, v44, v6
	v_cmp_eq_u32_e32 vcc_lo, 0, v6
	s_waitcnt lgkmcnt(1)
	v_cndmask_b32_e32 v7, 0, v7, vcc_lo
	v_cmp_gt_u32_e32 vcc_lo, v45, v28
	s_delay_alu instid0(VALU_DEP_2) | instskip(SKIP_2) | instid1(VALU_DEP_2)
	v_cndmask_b32_e64 v7, v7, 0, vcc_lo
	s_waitcnt lgkmcnt(0)
	v_cndmask_b32_e64 v28, v29, 0, vcc_lo
	v_add_nc_u16 v7, v9, v7
	s_delay_alu instid0(VALU_DEP_2)
	v_add_nc_u32_e32 v6, v28, v6
	v_mov_b32_e32 v28, 0
	s_branch .LBB695_132
.LBB695_131:                            ;   in Loop: Header=BB695_132 Depth=1
	s_or_b32 exec_lo, exec_lo, s15
	ds_bpermute_b32 v9, v34, v7
	ds_bpermute_b32 v30, v34, v6
	v_and_b32_e32 v29, 0xff, v8
	v_cmp_eq_u32_e64 s15, 0, v6
	v_subrev_nc_u32_e32 v27, 32, v27
	s_delay_alu instid0(VALU_DEP_3) | instskip(SKIP_1) | instid1(VALU_DEP_1)
	v_cmp_eq_u16_e32 vcc_lo, 2, v29
	v_and_or_b32 v29, vcc_lo, v35, 0x80000000
	v_ctz_i32_b32_e32 v29, v29
	s_waitcnt lgkmcnt(1)
	v_cndmask_b32_e64 v9, 0, v9, s15
	s_delay_alu instid0(VALU_DEP_2) | instskip(NEXT) | instid1(VALU_DEP_2)
	v_cmp_lt_u32_e32 vcc_lo, v77, v29
	v_add_nc_u16 v9, v9, v7
	s_waitcnt lgkmcnt(0)
	v_cndmask_b32_e32 v30, 0, v30, vcc_lo
	s_delay_alu instid0(VALU_DEP_2) | instskip(NEXT) | instid1(VALU_DEP_2)
	v_and_b32_e32 v46, 0xffff, v9
	v_dual_cndmask_b32 v9, v7, v9 :: v_dual_add_nc_u32 v6, v30, v6
	s_delay_alu instid0(VALU_DEP_2) | instskip(NEXT) | instid1(VALU_DEP_2)
	v_cndmask_b32_e32 v7, v7, v46, vcc_lo
	v_cmp_eq_u32_e32 vcc_lo, 0, v6
	ds_bpermute_b32 v46, v36, v7
	s_waitcnt lgkmcnt(0)
	v_cndmask_b32_e32 v30, 0, v46, vcc_lo
	ds_bpermute_b32 v46, v36, v6
	v_cmp_gt_u32_e32 vcc_lo, v37, v29
	v_add_nc_u16 v30, v30, v9
	s_delay_alu instid0(VALU_DEP_1) | instskip(SKIP_1) | instid1(VALU_DEP_2)
	v_and_b32_e32 v47, 0xffff, v30
	v_cndmask_b32_e32 v9, v30, v9, vcc_lo
	v_cndmask_b32_e32 v7, v47, v7, vcc_lo
	ds_bpermute_b32 v30, v38, v7
	s_waitcnt lgkmcnt(1)
	v_cndmask_b32_e64 v46, v46, 0, vcc_lo
	s_delay_alu instid0(VALU_DEP_1) | instskip(NEXT) | instid1(VALU_DEP_1)
	v_add_nc_u32_e32 v6, v6, v46
	v_cmp_eq_u32_e32 vcc_lo, 0, v6
	ds_bpermute_b32 v46, v38, v6
	s_waitcnt lgkmcnt(1)
	v_cndmask_b32_e32 v30, 0, v30, vcc_lo
	v_cmp_gt_u32_e32 vcc_lo, v39, v29
	s_delay_alu instid0(VALU_DEP_2) | instskip(NEXT) | instid1(VALU_DEP_1)
	v_add_nc_u16 v30, v9, v30
	v_and_b32_e32 v47, 0xffff, v30
	v_cndmask_b32_e32 v9, v30, v9, vcc_lo
	s_waitcnt lgkmcnt(0)
	v_cndmask_b32_e64 v46, v46, 0, vcc_lo
	s_delay_alu instid0(VALU_DEP_1)
	v_dual_cndmask_b32 v7, v47, v7 :: v_dual_add_nc_u32 v6, v6, v46
	ds_bpermute_b32 v30, v40, v7
	v_cmp_eq_u32_e32 vcc_lo, 0, v6
	ds_bpermute_b32 v46, v40, v6
	s_waitcnt lgkmcnt(1)
	v_cndmask_b32_e32 v30, 0, v30, vcc_lo
	v_cmp_gt_u32_e32 vcc_lo, v43, v29
	s_delay_alu instid0(VALU_DEP_2) | instskip(NEXT) | instid1(VALU_DEP_1)
	v_add_nc_u16 v30, v9, v30
	v_and_b32_e32 v47, 0xffff, v30
	v_cndmask_b32_e32 v9, v30, v9, vcc_lo
	s_waitcnt lgkmcnt(0)
	v_cndmask_b32_e64 v30, v46, 0, vcc_lo
	s_delay_alu instid0(VALU_DEP_1)
	v_dual_cndmask_b32 v7, v47, v7 :: v_dual_add_nc_u32 v6, v6, v30
	ds_bpermute_b32 v7, v44, v7
	ds_bpermute_b32 v30, v44, v6
	v_cmp_eq_u32_e32 vcc_lo, 0, v6
	s_waitcnt lgkmcnt(1)
	v_cndmask_b32_e32 v7, 0, v7, vcc_lo
	v_cmp_gt_u32_e32 vcc_lo, v45, v29
	s_delay_alu instid0(VALU_DEP_2) | instskip(NEXT) | instid1(VALU_DEP_1)
	v_cndmask_b32_e64 v7, v7, 0, vcc_lo
	v_add_nc_u16 v7, v9, v7
	s_waitcnt lgkmcnt(0)
	v_cndmask_b32_e64 v9, v30, 0, vcc_lo
	v_cmp_eq_u32_e32 vcc_lo, 0, v42
	s_delay_alu instid0(VALU_DEP_3) | instskip(NEXT) | instid1(VALU_DEP_3)
	v_cndmask_b32_e32 v7, 0, v7, vcc_lo
	v_add3_u32 v6, v6, v42, v9
	s_delay_alu instid0(VALU_DEP_2)
	v_add_nc_u16 v7, v7, v41
.LBB695_132:                            ; =>This Loop Header: Depth=1
                                        ;     Child Loop BB695_135 Depth 2
	s_delay_alu instid0(VALU_DEP_1) | instskip(NEXT) | instid1(VALU_DEP_3)
	v_dual_mov_b32 v41, v7 :: v_dual_and_b32 v8, 0xff, v8
	v_mov_b32_e32 v42, v6
	s_delay_alu instid0(VALU_DEP_2) | instskip(SKIP_2) | instid1(VALU_DEP_1)
	v_cmp_ne_u16_e32 vcc_lo, 2, v8
	v_cndmask_b32_e64 v8, 0, 1, vcc_lo
	;;#ASMSTART
	;;#ASMEND
	v_cmp_ne_u32_e32 vcc_lo, 0, v8
	s_cmp_lg_u32 vcc_lo, exec_lo
	s_cbranch_scc1 .LBB695_137
; %bb.133:                              ;   in Loop: Header=BB695_132 Depth=1
	v_lshlrev_b64 v[6:7], 4, v[27:28]
	s_mov_b32 s15, exec_lo
	s_delay_alu instid0(VALU_DEP_1) | instskip(NEXT) | instid1(VALU_DEP_2)
	v_add_co_u32 v29, vcc_lo, s20, v6
	v_add_co_ci_u32_e32 v30, vcc_lo, s21, v7, vcc_lo
	;;#ASMSTART
	global_load_dwordx4 v[6:9], v[29:30] off glc	
s_waitcnt vmcnt(0)
	;;#ASMEND
	v_and_b32_e32 v9, 0xffffff, v6
	v_and_b32_e32 v6, 0xff000000, v6
	;; [unrolled: 1-line block ×4, first 2 shown]
	s_delay_alu instid0(VALU_DEP_3) | instskip(SKIP_1) | instid1(VALU_DEP_3)
	v_or_b32_e32 v6, v9, v6
	v_and_b32_e32 v9, 0xff, v8
	v_or3_b32 v7, 0, v46, v7
	s_delay_alu instid0(VALU_DEP_3) | instskip(NEXT) | instid1(VALU_DEP_3)
	v_or3_b32 v6, v6, 0, 0
	v_cmpx_eq_u16_e32 0, v9
	s_cbranch_execz .LBB695_131
; %bb.134:                              ;   in Loop: Header=BB695_132 Depth=1
	s_mov_b32 s24, 0
.LBB695_135:                            ;   Parent Loop BB695_132 Depth=1
                                        ; =>  This Inner Loop Header: Depth=2
	;;#ASMSTART
	global_load_dwordx4 v[6:9], v[29:30] off glc	
s_waitcnt vmcnt(0)
	;;#ASMEND
	v_and_b32_e32 v9, 0xff, v8
	s_delay_alu instid0(VALU_DEP_1) | instskip(SKIP_1) | instid1(SALU_CYCLE_1)
	v_cmp_ne_u16_e32 vcc_lo, 0, v9
	s_or_b32 s24, vcc_lo, s24
	s_and_not1_b32 exec_lo, exec_lo, s24
	s_cbranch_execnz .LBB695_135
; %bb.136:                              ;   in Loop: Header=BB695_132 Depth=1
	s_or_b32 exec_lo, exec_lo, s24
	v_and_b32_e32 v7, 0xffff, v7
	s_branch .LBB695_131
.LBB695_137:                            ;   in Loop: Header=BB695_132 Depth=1
                                        ; implicit-def: $vgpr7
                                        ; implicit-def: $vgpr6
                                        ; implicit-def: $vgpr8
	s_cbranch_execz .LBB695_132
; %bb.138:
	s_and_saveexec_b32 s15, s14
	s_cbranch_execz .LBB695_140
; %bb.139:
	v_cmp_eq_u32_e32 vcc_lo, 0, v5
	s_mov_b32 s25, 0
	s_add_i32 s24, s33, 32
	v_add_nc_u32_e64 v29, 0x400, 0
	s_lshl_b64 s[24:25], s[24:25], 4
	v_dual_cndmask_b32 v6, 0, v41 :: v_dual_mov_b32 v9, 0
	s_add_u32 s24, s20, s24
	s_addc_u32 s25, s21, s25
	v_mov_b32_e32 v30, s23
	s_delay_alu instid0(VALU_DEP_2) | instskip(SKIP_1) | instid1(VALU_DEP_2)
	v_add_nc_u16 v7, v6, s23
	v_add_nc_u32_e32 v6, v42, v5
	v_dual_mov_b32 v8, 2 :: v_dual_and_b32 v27, 0xff00, v7
	v_and_b32_e32 v7, 0xff, v7
	s_delay_alu instid0(VALU_DEP_1)
	v_or_b32_e32 v7, v27, v7
	v_dual_mov_b32 v28, s25 :: v_dual_mov_b32 v27, s24
	;;#ASMSTART
	global_store_dwordx4 v[27:28], v[6:9] off	
s_waitcnt vmcnt(0)
	;;#ASMEND
	ds_store_2addr_b32 v29, v5, v42 offset1:2
	ds_store_b16 v9, v30 offset:1028
	ds_store_b16 v9, v41 offset:1036
.LBB695_140:
	s_or_b32 exec_lo, exec_lo, s15
	s_delay_alu instid0(SALU_CYCLE_1)
	s_and_b32 exec_lo, exec_lo, s2
	s_cbranch_execz .LBB695_142
; %bb.141:
	v_mov_b32_e32 v5, 0
	ds_store_b32 v5, v42 offset:1096
	ds_store_b16 v5, v41 offset:1100
.LBB695_142:
	s_or_b32 exec_lo, exec_lo, s22
	v_mov_b32_e32 v7, 0
	s_waitcnt lgkmcnt(0)
	s_barrier
	buffer_gl0_inv
	v_cndmask_b32_e64 v8, v32, v31, s14
	ds_load_b64 v[5:6], v7 offset:1096
	v_cndmask_b32_e64 v9, v33, v17, s14
	s_waitcnt lgkmcnt(0)
	s_barrier
	v_cmp_eq_u32_e32 vcc_lo, 0, v8
	v_cndmask_b32_e64 v8, v8, 0, s2
	buffer_gl0_inv
	v_cndmask_b32_e32 v17, 0, v6, vcc_lo
	v_cmp_eq_u32_e32 vcc_lo, 0, v25
	v_add_nc_u32_e32 v55, v5, v8
	s_delay_alu instid0(VALU_DEP_3) | instskip(NEXT) | instid1(VALU_DEP_2)
	v_add_nc_u16 v9, v17, v9
	v_add_nc_u32_e32 v51, v55, v25
	s_delay_alu instid0(VALU_DEP_2) | instskip(NEXT) | instid1(VALU_DEP_1)
	v_cndmask_b32_e64 v9, v9, v6, s2
	v_dual_cndmask_b32 v6, 0, v9 :: v_dual_add_nc_u32 v49, v51, v26
	v_and_b32_e32 v56, 0xffff, v9
	s_delay_alu instid0(VALU_DEP_2) | instskip(NEXT) | instid1(VALU_DEP_3)
	v_add_nc_u32_e32 v47, v49, v23
	v_add_nc_u16 v17, v6, v74
	s_delay_alu instid0(VALU_DEP_2) | instskip(NEXT) | instid1(VALU_DEP_2)
	v_add_nc_u32_e32 v35, v47, v24
	v_cndmask_b32_e64 v6, 0, v17, s13
	v_and_b32_e32 v52, 0xffff, v17
	s_delay_alu instid0(VALU_DEP_3) | instskip(NEXT) | instid1(VALU_DEP_3)
	v_add_nc_u32_e32 v33, v35, v21
	v_add_nc_u16 v27, v6, v73
	s_delay_alu instid0(VALU_DEP_2) | instskip(NEXT) | instid1(VALU_DEP_2)
	v_add_nc_u32_e32 v31, v33, v22
	v_cndmask_b32_e64 v6, 0, v27, s12
	v_and_b32_e32 v50, 0xffff, v27
	s_delay_alu instid0(VALU_DEP_3) | instskip(NEXT) | instid1(VALU_DEP_3)
	;; [unrolled: 7-line block ×4, first 2 shown]
	v_add_nc_u32_e32 v39, v43, v13
	v_add_nc_u16 v30, v6, v72
	s_delay_alu instid0(VALU_DEP_2) | instskip(NEXT) | instid1(VALU_DEP_2)
	v_add_nc_u32_e32 v41, v39, v14
	v_cndmask_b32_e64 v6, 0, v30, s9
	s_delay_alu instid0(VALU_DEP_2) | instskip(NEXT) | instid1(VALU_DEP_2)
	v_add_nc_u32_e32 v37, v41, v63
	v_add_nc_u16 v32, v6, v69
	s_delay_alu instid0(VALU_DEP_2) | instskip(NEXT) | instid1(VALU_DEP_2)
	v_add_nc_u32_e32 v29, v37, v18
	v_cndmask_b32_e64 v5, 0, v32, s8
	v_and_b32_e32 v32, 0xffff, v32
	s_delay_alu instid0(VALU_DEP_2) | instskip(NEXT) | instid1(VALU_DEP_1)
	v_add_nc_u16 v38, v5, v70
	v_cndmask_b32_e64 v5, 0, v38, s7
	v_and_b32_e32 v54, 0xffff, v38
	s_delay_alu instid0(VALU_DEP_2) | instskip(NEXT) | instid1(VALU_DEP_1)
	v_add_nc_u16 v40, v5, v67
	;; [unrolled: 4-line block ×3, first 2 shown]
	v_cndmask_b32_e64 v5, 0, v42, s5
	v_and_b32_e32 v46, 0xffff, v42
	s_delay_alu instid0(VALU_DEP_2) | instskip(SKIP_3) | instid1(VALU_DEP_2)
	v_add_nc_u16 v44, v5, v66
	ds_load_b128 v[5:8], v7 offset:1024
	v_cndmask_b32_e64 v34, 0, v44, s4
	v_and_b32_e32 v44, 0xffff, v44
	v_add_nc_u16 v81, v34, v65
	s_delay_alu instid0(VALU_DEP_1) | instskip(SKIP_1) | instid1(VALU_DEP_2)
	v_cndmask_b32_e64 v34, 0, v81, s3
	v_and_b32_e32 v40, 0xffff, v81
	v_add_nc_u16 v82, v34, v64
	s_waitcnt lgkmcnt(0)
	v_cmp_eq_u32_e32 vcc_lo, 0, v5
	s_delay_alu instid0(VALU_DEP_2) | instskip(SKIP_2) | instid1(VALU_DEP_3)
	v_cndmask_b32_e64 v34, 0, v82, s1
	v_cndmask_b32_e32 v8, 0, v8, vcc_lo
	v_and_b32_e32 v42, 0xffff, v82
	v_add_nc_u16 v9, v34, v60
	v_and_b32_e32 v34, 0xffff, v30
	s_delay_alu instid0(VALU_DEP_2) | instskip(SKIP_1) | instid1(VALU_DEP_2)
	v_cndmask_b32_e64 v17, 0, v9, s0
	v_and_b32_e32 v38, 0xffff, v9
	v_add_nc_u16 v17, v17, v59
	s_delay_alu instid0(VALU_DEP_1)
	v_and_b32_e32 v30, 0xffff, v17
	v_add_nc_u32_e32 v17, v8, v6
	s_branch .LBB695_155
.LBB695_143:
                                        ; implicit-def: $vgpr5
                                        ; implicit-def: $vgpr17
                                        ; implicit-def: $vgpr55_vgpr56
                                        ; implicit-def: $vgpr51_vgpr52
                                        ; implicit-def: $vgpr49_vgpr50
                                        ; implicit-def: $vgpr47_vgpr48
                                        ; implicit-def: $vgpr35_vgpr36
                                        ; implicit-def: $vgpr33_vgpr34
                                        ; implicit-def: $vgpr31_vgpr32
                                        ; implicit-def: $vgpr53_vgpr54
                                        ; implicit-def: $vgpr57_vgpr58
                                        ; implicit-def: $vgpr45_vgpr46
                                        ; implicit-def: $vgpr43_vgpr44
                                        ; implicit-def: $vgpr39_vgpr40
                                        ; implicit-def: $vgpr41_vgpr42
                                        ; implicit-def: $vgpr37_vgpr38
                                        ; implicit-def: $vgpr29_vgpr30
	s_cbranch_execz .LBB695_155
; %bb.144:
	s_and_b32 s0, s16, exec_lo
	v_mov_b32_e32 v6, v74
	s_cselect_b32 s1, 0, s35
	s_cselect_b32 s0, 0, s34
	s_delay_alu instid0(SALU_CYCLE_1)
	s_cmp_eq_u64 s[0:1], 0
	s_cbranch_scc1 .LBB695_146
; %bb.145:
	v_mov_b32_e32 v5, 0
	global_load_u16 v6, v5, s[0:1]
.LBB695_146:
	v_cmp_eq_u32_e64 s12, 0, v26
	v_cmp_eq_u32_e64 s11, 0, v23
	;; [unrolled: 1-line block ×5, first 2 shown]
	v_cndmask_b32_e64 v5, 0, v74, s12
	v_cmp_eq_u32_e64 s8, 0, v19
	v_cmp_eq_u32_e64 s6, 0, v20
	v_cmp_eq_u32_e64 s5, 0, v15
	v_cmp_eq_u32_e64 s4, 0, v16
	v_add_nc_u16 v5, v5, v73
	v_cmp_eq_u32_e64 s3, 0, v13
	v_cmp_eq_u32_e64 s1, 0, v14
	v_cmp_eq_u32_e64 s0, 0, v63
	v_cmp_eq_u32_e32 vcc_lo, 0, v18
	v_cndmask_b32_e64 v5, 0, v5, s11
	v_add3_u32 v7, v80, v22, v19
	v_cmp_eq_u32_e64 s13, 0, v61
	v_and_b32_e32 v17, 15, v77
	s_delay_alu instid0(VALU_DEP_4) | instskip(NEXT) | instid1(VALU_DEP_4)
	v_add_nc_u16 v5, v5, v75
	v_add3_u32 v7, v7, v20, v15
	s_delay_alu instid0(VALU_DEP_2) | instskip(NEXT) | instid1(VALU_DEP_2)
	v_cndmask_b32_e64 v5, 0, v5, s10
	v_add3_u32 v7, v7, v16, v13
	s_delay_alu instid0(VALU_DEP_2) | instskip(NEXT) | instid1(VALU_DEP_2)
	v_add_nc_u16 v5, v5, v71
	v_add3_u32 v7, v7, v14, v63
	s_delay_alu instid0(VALU_DEP_2) | instskip(NEXT) | instid1(VALU_DEP_2)
	v_cndmask_b32_e64 v5, 0, v5, s9
	v_add3_u32 v7, v7, v18, v61
	s_delay_alu instid0(VALU_DEP_2) | instskip(NEXT) | instid1(VALU_DEP_2)
	v_add_nc_u16 v5, v5, v72
	v_mov_b32_dpp v27, v7 row_shr:1 row_mask:0xf bank_mask:0xf
	s_delay_alu instid0(VALU_DEP_2) | instskip(NEXT) | instid1(VALU_DEP_1)
	v_cndmask_b32_e64 v5, 0, v5, s7
	v_add_nc_u16 v5, v5, v69
	s_delay_alu instid0(VALU_DEP_1) | instskip(NEXT) | instid1(VALU_DEP_1)
	v_cndmask_b32_e64 v5, 0, v5, s8
	v_add_nc_u16 v5, v5, v70
	s_delay_alu instid0(VALU_DEP_1) | instskip(NEXT) | instid1(VALU_DEP_1)
	;; [unrolled: 3-line block ×8, first 2 shown]
	v_cndmask_b32_e32 v5, 0, v5, vcc_lo
	v_add_nc_u16 v5, v5, v59
	s_delay_alu instid0(VALU_DEP_1) | instskip(SKIP_1) | instid1(VALU_DEP_2)
	v_cndmask_b32_e64 v5, 0, v5, s13
	v_cmp_eq_u32_e64 s13, 0, v7
	v_add_nc_u16 v5, v5, v76
	s_waitcnt lgkmcnt(0)
	s_delay_alu instid0(VALU_DEP_1) | instskip(NEXT) | instid1(VALU_DEP_1)
	v_and_b32_e32 v8, 0xffff, v5
	v_mov_b32_dpp v9, v8 row_shr:1 row_mask:0xf bank_mask:0xf
	s_delay_alu instid0(VALU_DEP_1) | instskip(SKIP_1) | instid1(VALU_DEP_2)
	v_cndmask_b32_e64 v9, 0, v9, s13
	v_cmp_eq_u32_e64 s13, 0, v17
	v_add_nc_u16 v9, v9, v5
	s_delay_alu instid0(VALU_DEP_2) | instskip(NEXT) | instid1(VALU_DEP_2)
	v_cndmask_b32_e64 v27, v27, 0, s13
	v_and_b32_e32 v28, 0xffff, v9
	s_delay_alu instid0(VALU_DEP_2) | instskip(SKIP_1) | instid1(VALU_DEP_3)
	v_add_nc_u32_e32 v7, v27, v7
	v_cndmask_b32_e64 v5, v9, v5, s13
	v_cndmask_b32_e64 v8, v28, v8, s13
	s_delay_alu instid0(VALU_DEP_3) | instskip(NEXT) | instid1(VALU_DEP_2)
	v_cmp_eq_u32_e64 s13, 0, v7
	v_mov_b32_dpp v27, v8 row_shr:2 row_mask:0xf bank_mask:0xf
	s_delay_alu instid0(VALU_DEP_1) | instskip(SKIP_2) | instid1(VALU_DEP_3)
	v_cndmask_b32_e64 v9, 0, v27, s13
	v_mov_b32_dpp v27, v7 row_shr:2 row_mask:0xf bank_mask:0xf
	v_cmp_lt_u32_e64 s13, 1, v17
	v_add_nc_u16 v9, v9, v5
	s_delay_alu instid0(VALU_DEP_1) | instskip(NEXT) | instid1(VALU_DEP_3)
	v_and_b32_e32 v28, 0xffff, v9
	v_cndmask_b32_e64 v5, v5, v9, s13
	v_cndmask_b32_e64 v9, 0, v27, s13
	s_delay_alu instid0(VALU_DEP_3) | instskip(NEXT) | instid1(VALU_DEP_2)
	v_cndmask_b32_e64 v8, v8, v28, s13
	v_add_nc_u32_e32 v7, v7, v9
	s_delay_alu instid0(VALU_DEP_2) | instskip(NEXT) | instid1(VALU_DEP_2)
	v_mov_b32_dpp v9, v8 row_shr:4 row_mask:0xf bank_mask:0xf
	v_cmp_eq_u32_e64 s13, 0, v7
	v_mov_b32_dpp v27, v7 row_shr:4 row_mask:0xf bank_mask:0xf
	s_delay_alu instid0(VALU_DEP_2) | instskip(SKIP_1) | instid1(VALU_DEP_2)
	v_cndmask_b32_e64 v9, 0, v9, s13
	v_cmp_lt_u32_e64 s13, 3, v17
	v_add_nc_u16 v9, v9, v5
	s_delay_alu instid0(VALU_DEP_1) | instskip(NEXT) | instid1(VALU_DEP_3)
	v_and_b32_e32 v28, 0xffff, v9
	v_cndmask_b32_e64 v5, v5, v9, s13
	v_cndmask_b32_e64 v9, 0, v27, s13
	s_delay_alu instid0(VALU_DEP_3) | instskip(NEXT) | instid1(VALU_DEP_2)
	v_cndmask_b32_e64 v8, v8, v28, s13
	v_add_nc_u32_e32 v7, v9, v7
	s_delay_alu instid0(VALU_DEP_2) | instskip(NEXT) | instid1(VALU_DEP_2)
	v_mov_b32_dpp v9, v8 row_shr:8 row_mask:0xf bank_mask:0xf
	v_cmp_eq_u32_e64 s13, 0, v7
	v_mov_b32_dpp v27, v7 row_shr:8 row_mask:0xf bank_mask:0xf
	s_delay_alu instid0(VALU_DEP_2) | instskip(SKIP_1) | instid1(VALU_DEP_2)
	v_cndmask_b32_e64 v9, 0, v9, s13
	v_cmp_lt_u32_e64 s13, 7, v17
	v_add_nc_u16 v9, v9, v5
	s_delay_alu instid0(VALU_DEP_1) | instskip(SKIP_3) | instid1(VALU_DEP_3)
	v_cndmask_b32_e64 v17, v5, v9, s13
	v_cndmask_b32_e64 v5, 0, v27, s13
	v_and_b32_e32 v9, 0xffff, v9
	v_bfe_i32 v27, v77, 4, 1
	v_add_nc_u32_e32 v5, v5, v7
	s_delay_alu instid0(VALU_DEP_3)
	v_cndmask_b32_e64 v7, v8, v9, s13
	v_and_b32_e32 v9, 16, v77
	ds_swizzle_b32 v8, v5 offset:swizzle(BROADCAST,32,15)
	ds_swizzle_b32 v7, v7 offset:swizzle(BROADCAST,32,15)
	v_cmp_ne_u32_e64 s13, 0, v9
	v_cmp_eq_u32_e64 s14, 0, v5
	v_lshlrev_b32_e32 v9, 3, v78
	s_delay_alu instid0(VALU_DEP_2)
	s_and_b32 s13, s13, s14
	s_mov_b32 s14, exec_lo
	s_waitcnt lgkmcnt(1)
	v_and_b32_e32 v8, v27, v8
	s_waitcnt lgkmcnt(0)
	v_cndmask_b32_e64 v7, 0, v7, s13
	s_delay_alu instid0(VALU_DEP_2) | instskip(NEXT) | instid1(VALU_DEP_2)
	v_add_nc_u32_e32 v5, v8, v5
	v_add_nc_u16 v8, v7, v17
	v_cmpx_eq_u32_e64 v79, v0
	s_cbranch_execz .LBB695_148
; %bb.147:
	ds_store_b32 v9, v5 offset:1040
	ds_store_b16 v9, v8 offset:1044
.LBB695_148:
	s_or_b32 exec_lo, exec_lo, s14
	s_delay_alu instid0(SALU_CYCLE_1)
	s_mov_b32 s15, exec_lo
	s_waitcnt vmcnt(0) lgkmcnt(0)
	s_barrier
	buffer_gl0_inv
	v_cmpx_gt_u32_e32 8, v0
	s_cbranch_execz .LBB695_150
; %bb.149:
	v_lshlrev_b32_e32 v7, 3, v0
	v_and_b32_e32 v31, 7, v77
	ds_load_b64 v[27:28], v7 offset:1040
	v_cmp_lt_u32_e64 s14, 3, v31
	s_waitcnt lgkmcnt(0)
	v_mov_b32_dpp v17, v28 row_shr:1 row_mask:0xf bank_mask:0xf
	v_cmp_eq_u32_e64 s13, 0, v27
	v_and_b32_e32 v29, 0xffff0000, v28
	v_mov_b32_dpp v32, v27 row_shr:1 row_mask:0xf bank_mask:0xf
	s_delay_alu instid0(VALU_DEP_3) | instskip(SKIP_1) | instid1(VALU_DEP_2)
	v_cndmask_b32_e64 v17, 0, v17, s13
	v_cmp_eq_u32_e64 s13, 0, v31
	v_add_nc_u16 v17, v17, v28
	s_delay_alu instid0(VALU_DEP_2) | instskip(NEXT) | instid1(VALU_DEP_2)
	v_cndmask_b32_e64 v32, v32, 0, s13
	v_and_b32_e32 v30, 0xffff, v17
	s_delay_alu instid0(VALU_DEP_2) | instskip(SKIP_1) | instid1(VALU_DEP_3)
	v_add_nc_u32_e32 v27, v32, v27
	v_cndmask_b32_e64 v17, v17, v28, s13
	v_or_b32_e32 v30, v29, v30
	s_delay_alu instid0(VALU_DEP_1) | instskip(NEXT) | instid1(VALU_DEP_4)
	v_cndmask_b32_e64 v30, v30, v28, s13
	v_cmp_eq_u32_e64 s13, 0, v27
	s_delay_alu instid0(VALU_DEP_2) | instskip(NEXT) | instid1(VALU_DEP_1)
	v_mov_b32_dpp v32, v30 row_shr:2 row_mask:0xf bank_mask:0xf
	v_cndmask_b32_e64 v28, 0, v32, s13
	v_mov_b32_dpp v32, v27 row_shr:2 row_mask:0xf bank_mask:0xf
	v_cmp_lt_u32_e64 s13, 1, v31
	s_delay_alu instid0(VALU_DEP_3) | instskip(NEXT) | instid1(VALU_DEP_1)
	v_add_nc_u16 v28, v28, v17
	v_and_b32_e32 v33, 0xffff, v28
	s_delay_alu instid0(VALU_DEP_3) | instskip(SKIP_1) | instid1(VALU_DEP_3)
	v_cndmask_b32_e64 v17, v17, v28, s13
	v_cndmask_b32_e64 v28, 0, v32, s13
	v_or_b32_e32 v29, v29, v33
	s_delay_alu instid0(VALU_DEP_2) | instskip(NEXT) | instid1(VALU_DEP_2)
	v_add_nc_u32_e32 v27, v28, v27
	v_cndmask_b32_e64 v28, v30, v29, s13
	s_delay_alu instid0(VALU_DEP_2) | instskip(SKIP_1) | instid1(VALU_DEP_3)
	v_cmp_eq_u32_e64 s13, 0, v27
	v_mov_b32_dpp v29, v27 row_shr:4 row_mask:0xf bank_mask:0xf
	v_mov_b32_dpp v28, v28 row_shr:4 row_mask:0xf bank_mask:0xf
	s_delay_alu instid0(VALU_DEP_3) | instskip(NEXT) | instid1(VALU_DEP_2)
	s_and_b32 s13, s14, s13
	v_cndmask_b32_e64 v29, 0, v29, s14
	s_delay_alu instid0(VALU_DEP_2) | instskip(NEXT) | instid1(VALU_DEP_2)
	v_cndmask_b32_e64 v28, 0, v28, s13
	v_add_nc_u32_e32 v27, v29, v27
	s_delay_alu instid0(VALU_DEP_2)
	v_add_nc_u16 v17, v17, v28
	ds_store_b32 v7, v27 offset:1040
	ds_store_b16 v7, v17 offset:1044
.LBB695_150:
	s_or_b32 exec_lo, exec_lo, s15
	v_mov_b32_e32 v7, 0
	v_mov_b32_e32 v17, 0
	;; [unrolled: 1-line block ×3, first 2 shown]
	s_mov_b32 s14, exec_lo
	s_waitcnt lgkmcnt(0)
	s_barrier
	buffer_gl0_inv
	v_cmpx_lt_u32_e32 31, v0
	s_cbranch_execz .LBB695_152
; %bb.151:
	ds_load_b32 v17, v9 offset:1032
	ds_load_u16 v9, v9 offset:1036
	s_waitcnt lgkmcnt(1)
	v_cmp_eq_u32_e64 s13, 0, v17
	s_delay_alu instid0(VALU_DEP_1) | instskip(SKIP_1) | instid1(VALU_DEP_1)
	v_cndmask_b32_e64 v27, 0, v6, s13
	s_waitcnt lgkmcnt(0)
	v_add_nc_u16 v27, v27, v9
.LBB695_152:
	s_or_b32 exec_lo, exec_lo, s14
	v_add_nc_u32_e32 v9, -1, v77
	v_cmp_eq_u32_e64 s13, 0, v5
	v_add_nc_u32_e32 v5, v17, v5
	s_delay_alu instid0(VALU_DEP_2) | instskip(NEXT) | instid1(VALU_DEP_4)
	v_cndmask_b32_e64 v28, 0, v27, s13
	v_cmp_gt_i32_e64 s13, 0, v9
	s_delay_alu instid0(VALU_DEP_2) | instskip(NEXT) | instid1(VALU_DEP_2)
	v_add_nc_u16 v8, v28, v8
	v_cndmask_b32_e64 v9, v9, v77, s13
	v_cmp_eq_u32_e64 s13, 0, v77
	s_delay_alu instid0(VALU_DEP_3) | instskip(NEXT) | instid1(VALU_DEP_3)
	v_and_b32_e32 v8, 0xffff, v8
	v_lshlrev_b32_e32 v9, 2, v9
	ds_bpermute_b32 v8, v9, v8
	ds_bpermute_b32 v5, v9, v5
	s_waitcnt lgkmcnt(1)
	v_cndmask_b32_e64 v8, v8, v27, s13
	s_waitcnt lgkmcnt(0)
	v_cndmask_b32_e64 v5, v5, v17, s13
	v_cmp_eq_u32_e64 s13, 0, v25
	s_delay_alu instid0(VALU_DEP_3) | instskip(NEXT) | instid1(VALU_DEP_3)
	v_cndmask_b32_e64 v8, v8, v6, s2
	v_cndmask_b32_e64 v55, v5, 0, s2
	s_delay_alu instid0(VALU_DEP_2) | instskip(NEXT) | instid1(VALU_DEP_2)
	v_cndmask_b32_e64 v9, 0, v8, s13
	v_add_nc_u32_e32 v51, v55, v25
	v_and_b32_e32 v56, 0xffff, v8
	s_delay_alu instid0(VALU_DEP_3) | instskip(NEXT) | instid1(VALU_DEP_3)
	v_add_nc_u16 v9, v9, v74
	v_add_nc_u32_e32 v49, v51, v26
	s_delay_alu instid0(VALU_DEP_2) | instskip(NEXT) | instid1(VALU_DEP_2)
	v_cndmask_b32_e64 v17, 0, v9, s12
	v_add_nc_u32_e32 v47, v49, v23
	s_delay_alu instid0(VALU_DEP_2) | instskip(NEXT) | instid1(VALU_DEP_2)
	v_add_nc_u16 v17, v17, v73
	v_add_nc_u32_e32 v35, v47, v24
	s_delay_alu instid0(VALU_DEP_2) | instskip(NEXT) | instid1(VALU_DEP_2)
	v_cndmask_b32_e64 v27, 0, v17, s11
	v_add_nc_u32_e32 v33, v35, v21
	v_and_b32_e32 v50, 0xffff, v17
	s_delay_alu instid0(VALU_DEP_3) | instskip(NEXT) | instid1(VALU_DEP_1)
	v_add_nc_u16 v27, v27, v75
	v_cndmask_b32_e64 v28, 0, v27, s10
	v_and_b32_e32 v48, 0xffff, v27
	s_delay_alu instid0(VALU_DEP_2) | instskip(NEXT) | instid1(VALU_DEP_1)
	v_add_nc_u16 v28, v28, v71
	v_cndmask_b32_e64 v29, 0, v28, s9
	v_and_b32_e32 v36, 0xffff, v28
	s_delay_alu instid0(VALU_DEP_2) | instskip(NEXT) | instid1(VALU_DEP_1)
	;; [unrolled: 4-line block ×3, first 2 shown]
	v_add_nc_u16 v30, v30, v69
	v_cndmask_b32_e64 v31, 0, v30, s8
	s_delay_alu instid0(VALU_DEP_1) | instskip(SKIP_1) | instid1(VALU_DEP_2)
	v_add_nc_u16 v38, v31, v70
	v_add_nc_u32_e32 v31, v33, v22
	v_cndmask_b32_e64 v5, 0, v38, s6
	s_delay_alu instid0(VALU_DEP_2) | instskip(SKIP_1) | instid1(VALU_DEP_3)
	v_add_nc_u32_e32 v53, v31, v19
	v_and_b32_e32 v54, 0xffff, v38
	v_add_nc_u16 v40, v5, v67
	s_delay_alu instid0(VALU_DEP_3) | instskip(NEXT) | instid1(VALU_DEP_2)
	v_add_nc_u32_e32 v57, v53, v20
	v_cndmask_b32_e64 v5, 0, v40, s5
	s_delay_alu instid0(VALU_DEP_2) | instskip(SKIP_1) | instid1(VALU_DEP_3)
	v_add_nc_u32_e32 v45, v57, v15
	v_and_b32_e32 v58, 0xffff, v40
	v_add_nc_u16 v42, v5, v68
	s_delay_alu instid0(VALU_DEP_3) | instskip(NEXT) | instid1(VALU_DEP_2)
	v_add_nc_u32_e32 v43, v45, v16
	v_cndmask_b32_e64 v5, 0, v42, s4
	s_delay_alu instid0(VALU_DEP_2) | instskip(SKIP_1) | instid1(VALU_DEP_3)
	v_add_nc_u32_e32 v39, v43, v13
	v_and_b32_e32 v46, 0xffff, v42
	v_add_nc_u16 v44, v5, v66
	ds_load_b32 v5, v7 offset:1096
	ds_load_u16 v7, v7 offset:1100
	v_add_nc_u32_e32 v41, v39, v14
	v_cndmask_b32_e64 v32, 0, v44, s3
	v_and_b32_e32 v44, 0xffff, v44
	s_delay_alu instid0(VALU_DEP_3) | instskip(NEXT) | instid1(VALU_DEP_3)
	v_add_nc_u32_e32 v37, v41, v63
	v_add_nc_u16 v65, v32, v65
	s_delay_alu instid0(VALU_DEP_2) | instskip(NEXT) | instid1(VALU_DEP_2)
	v_add_nc_u32_e32 v29, v37, v18
	v_cndmask_b32_e64 v32, 0, v65, s1
	v_and_b32_e32 v40, 0xffff, v65
	s_delay_alu instid0(VALU_DEP_2) | instskip(SKIP_3) | instid1(VALU_DEP_3)
	v_add_nc_u16 v64, v32, v64
	s_waitcnt lgkmcnt(1)
	v_cmp_eq_u32_e64 s1, 0, v5
	v_and_b32_e32 v32, 0xffff, v30
	v_cndmask_b32_e64 v8, 0, v64, s0
	s_delay_alu instid0(VALU_DEP_3) | instskip(SKIP_1) | instid1(VALU_DEP_3)
	v_cndmask_b32_e64 v6, 0, v6, s1
	v_and_b32_e32 v42, 0xffff, v64
	v_add_nc_u16 v8, v8, v60
	v_and_b32_e32 v52, 0xffff, v9
	s_waitcnt lgkmcnt(0)
	v_add_nc_u16 v17, v6, v7
	s_delay_alu instid0(VALU_DEP_3) | instskip(SKIP_1) | instid1(VALU_DEP_2)
	v_cndmask_b32_e32 v9, 0, v8, vcc_lo
	v_and_b32_e32 v38, 0xffff, v8
	v_add_nc_u16 v9, v9, v59
	s_delay_alu instid0(VALU_DEP_1)
	v_and_b32_e32 v30, 0xffff, v9
	s_and_saveexec_b32 s0, s2
	s_cbranch_execz .LBB695_154
; %bb.153:
	v_and_b32_e32 v6, 0xff00, v17
	v_dual_mov_b32 v8, 0 :: v_dual_and_b32 v7, 0xff, v17
	s_add_u32 s4, s20, 0x200
	s_addc_u32 s5, s21, 0
	s_delay_alu instid0(VALU_DEP_1)
	v_or_b32_e32 v6, v6, v7
	v_dual_mov_b32 v7, 2 :: v_dual_mov_b32 v28, s5
	v_mov_b32_e32 v27, s4
	;;#ASMSTART
	global_store_dwordx4 v[27:28], v[5:8] off	
s_waitcnt vmcnt(0)
	;;#ASMEND
.LBB695_154:
	s_or_b32 exec_lo, exec_lo, s0
	v_mov_b32_e32 v7, 0
.LBB695_155:
	v_mov_b32_e32 v27, 0
	s_and_b32 s0, s16, exec_lo
	v_mov_b32_e32 v28, 0
	s_cselect_b32 s1, 0, s39
	s_cselect_b32 s0, 0, s38
	s_waitcnt lgkmcnt(0)
	s_cmp_eq_u64 s[0:1], 0
	s_barrier
	buffer_gl0_inv
	s_cbranch_scc1 .LBB695_157
; %bb.156:
	v_mov_b32_e32 v6, 0
	global_load_b64 v[27:28], v6, s[0:1]
.LBB695_157:
	v_cmp_eq_u32_e32 vcc_lo, 0, v25
	s_waitcnt vmcnt(0)
	v_lshlrev_b64 v[59:60], 1, v[27:28]
	v_cmp_ne_u32_e64 s15, 0, v25
	v_cmp_ne_u32_e64 s14, 0, v26
	;; [unrolled: 1-line block ×3, first 2 shown]
	v_cndmask_b32_e64 v6, 1, 2, vcc_lo
	v_cmp_eq_u32_e32 vcc_lo, 0, v26
	v_cmp_ne_u32_e64 s12, 0, v24
	v_cmp_ne_u32_e64 s11, 0, v21
	v_cmp_ne_u32_e64 s10, 0, v22
	v_cmp_ne_u32_e64 s8, 0, v19
	v_cndmask_b32_e64 v8, 1, 2, vcc_lo
	v_cmp_eq_u32_e32 vcc_lo, 0, v23
	v_cmp_ne_u32_e64 s6, 0, v20
	v_cmp_ne_u32_e64 s9, 0, v15
	;; [unrolled: 1-line block ×3, first 2 shown]
	v_and_b32_e32 v6, v8, v6
	v_cndmask_b32_e64 v9, 1, 2, vcc_lo
	v_cmp_eq_u32_e32 vcc_lo, 0, v24
	v_cmp_ne_u32_e64 s5, 0, v13
	v_cmp_ne_u32_e64 s4, 0, v14
	;; [unrolled: 1-line block ×3, first 2 shown]
	v_and_b32_e32 v6, v6, v9
	v_cndmask_b32_e64 v8, 1, 2, vcc_lo
	v_cmp_eq_u32_e32 vcc_lo, 0, v21
	v_cmp_ne_u32_e64 s1, 0, v18
	v_cmp_ne_u32_e64 s0, 0, v61
	s_delay_alu instid0(VALU_DEP_4) | instskip(SKIP_2) | instid1(VALU_DEP_2)
	v_and_b32_e32 v6, v6, v8
	v_cndmask_b32_e64 v9, 1, 2, vcc_lo
	v_cmp_eq_u32_e32 vcc_lo, 0, v22
	v_and_b32_e32 v6, v6, v9
	v_cndmask_b32_e64 v8, 1, 2, vcc_lo
	v_cmp_eq_u32_e32 vcc_lo, 0, v19
	s_delay_alu instid0(VALU_DEP_2) | instskip(SKIP_2) | instid1(VALU_DEP_2)
	v_and_b32_e32 v6, v6, v8
	v_cndmask_b32_e64 v9, 1, 2, vcc_lo
	v_cmp_eq_u32_e32 vcc_lo, 0, v20
	v_and_b32_e32 v6, v6, v9
	v_cndmask_b32_e64 v64, 1, 2, vcc_lo
	v_cmp_eq_u32_e32 vcc_lo, 0, v15
	s_delay_alu instid0(VALU_DEP_2) | instskip(SKIP_2) | instid1(VALU_DEP_2)
	;; [unrolled: 7-line block ×3, first 2 shown]
	v_and_b32_e32 v6, v6, v64
	v_cndmask_b32_e64 v9, 1, 2, vcc_lo
	v_cmp_eq_u32_e32 vcc_lo, 0, v14
	v_and_b32_e32 v6, v6, v9
	v_cndmask_b32_e64 v64, 1, 2, vcc_lo
	v_cmp_eq_u32_e32 vcc_lo, 0, v63
	s_delay_alu instid0(VALU_DEP_2) | instskip(SKIP_3) | instid1(VALU_DEP_3)
	v_and_b32_e32 v6, v6, v64
	v_cndmask_b32_e64 v65, 1, 2, vcc_lo
	v_mov_b32_e32 v8, 0
	v_cmp_eq_u32_e32 vcc_lo, 0, v18
	v_and_b32_e32 v65, v6, v65
	s_delay_alu instid0(VALU_DEP_3) | instskip(SKIP_3) | instid1(VALU_DEP_3)
	v_lshlrev_b64 v[8:9], 1, v[7:8]
	v_cndmask_b32_e64 v66, 1, 2, vcc_lo
	v_add_co_u32 v64, vcc_lo, s18, v59
	v_add_co_ci_u32_e32 v67, vcc_lo, s19, v60, vcc_lo
	v_and_b32_e32 v65, v65, v66
	s_delay_alu instid0(VALU_DEP_3) | instskip(NEXT) | instid1(VALU_DEP_3)
	v_add_co_u32 v6, vcc_lo, v64, v8
	v_add_co_ci_u32_e32 v64, vcc_lo, v67, v9, vcc_lo
	v_cmp_eq_u32_e32 vcc_lo, 0, v61
	s_mov_b32 s18, -1
	v_cndmask_b32_e64 v66, 1, 2, vcc_lo
	v_cmp_gt_u32_e32 vcc_lo, 0x100, v5
	s_delay_alu instid0(VALU_DEP_2) | instskip(NEXT) | instid1(VALU_DEP_1)
	v_and_b32_e32 v65, v65, v66
	v_cmp_gt_i16_e64 s16, 2, v65
	s_cbranch_vccz .LBB695_164
; %bb.158:
	s_delay_alu instid0(VALU_DEP_1)
	s_and_saveexec_b32 s18, s16
	s_cbranch_execz .LBB695_163
; %bb.159:
	s_mov_b32 s19, 0
	s_mov_b32 s16, exec_lo
	v_cmpx_ne_u16_e32 1, v65
	s_xor_b32 s16, exec_lo, s16
	s_cbranch_execnz .LBB695_253
; %bb.160:
	s_and_not1_saveexec_b32 s16, s16
	s_cbranch_execnz .LBB695_269
.LBB695_161:
	s_or_b32 exec_lo, exec_lo, s16
	s_delay_alu instid0(SALU_CYCLE_1)
	s_and_b32 exec_lo, exec_lo, s19
	s_cbranch_execz .LBB695_163
.LBB695_162:
	v_sub_nc_u32_e32 v66, v29, v7
	v_mov_b32_e32 v67, 0
	s_delay_alu instid0(VALU_DEP_1) | instskip(NEXT) | instid1(VALU_DEP_1)
	v_lshlrev_b64 v[66:67], 1, v[66:67]
	v_add_co_u32 v66, vcc_lo, v6, v66
	s_delay_alu instid0(VALU_DEP_2)
	v_add_co_ci_u32_e32 v67, vcc_lo, v64, v67, vcc_lo
	global_store_d16_hi_b16 v[66:67], v12, off
.LBB695_163:
	s_or_b32 exec_lo, exec_lo, s18
	s_mov_b32 s18, 0
.LBB695_164:
	s_delay_alu instid0(SALU_CYCLE_1)
	s_and_b32 vcc_lo, exec_lo, s18
	s_cbranch_vccz .LBB695_186
; %bb.165:
	s_mov_b32 s16, exec_lo
	v_cmpx_gt_i16_e32 2, v65
	s_cbranch_execz .LBB695_170
; %bb.166:
	s_mov_b32 s19, 0
	s_mov_b32 s18, exec_lo
	v_cmpx_ne_u16_e32 1, v65
	s_xor_b32 s18, exec_lo, s18
	s_cbranch_execnz .LBB695_270
; %bb.167:
	s_and_not1_saveexec_b32 s0, s18
	s_cbranch_execnz .LBB695_286
.LBB695_168:
	s_or_b32 exec_lo, exec_lo, s0
	s_delay_alu instid0(SALU_CYCLE_1)
	s_and_b32 exec_lo, exec_lo, s19
	s_cbranch_execz .LBB695_170
.LBB695_169:
	v_sub_nc_u32_e32 v1, v29, v7
	s_delay_alu instid0(VALU_DEP_1)
	v_lshlrev_b32_e32 v1, 1, v1
	ds_store_b16_d16_hi v1, v12
.LBB695_170:
	s_or_b32 exec_lo, exec_lo, s16
	s_delay_alu instid0(SALU_CYCLE_1)
	s_mov_b32 s1, exec_lo
	s_waitcnt lgkmcnt(0)
	s_waitcnt_vscnt null, 0x0
	s_barrier
	buffer_gl0_inv
	v_cmpx_lt_u32_e64 v0, v5
	s_cbranch_execz .LBB695_185
; %bb.171:
	v_xad_u32 v2, v0, -1, v5
	v_mov_b32_e32 v1, v0
	s_mov_b32 s0, -1
	s_mov_b32 s4, exec_lo
	s_delay_alu instid0(VALU_DEP_2)
	v_cmp_gt_u32_e64 s3, 0x1900, v2
	v_cmpx_lt_u32_e32 0x18ff, v2
	s_cbranch_execz .LBB695_182
; %bb.172:
	v_sub_nc_u32_e32 v1, v0, v5
	s_delay_alu instid0(VALU_DEP_1) | instskip(NEXT) | instid1(VALU_DEP_1)
	v_or_b32_e32 v1, 0xff, v1
	v_cmp_ge_u32_e32 vcc_lo, v1, v0
	v_mov_b32_e32 v1, v0
	s_and_saveexec_b32 s5, vcc_lo
	s_cbranch_execz .LBB695_181
; %bb.173:
	v_lshrrev_b32_e32 v4, 8, v2
	v_or_b32_e32 v1, 0x100, v0
	v_mov_b32_e32 v66, 0
	s_delay_alu instid0(VALU_DEP_3) | instskip(NEXT) | instid1(VALU_DEP_1)
	v_add_nc_u32_e32 v2, -1, v4
	v_lshrrev_b32_e32 v3, 1, v2
	v_cmp_lt_u32_e32 vcc_lo, 13, v2
	s_delay_alu instid0(VALU_DEP_2)
	v_dual_mov_b32 v3, v1 :: v_dual_add_nc_u32 v12, 1, v3
	v_mov_b32_e32 v2, v0
	s_and_saveexec_b32 s0, vcc_lo
	s_cbranch_execz .LBB695_177
; %bb.174:
	s_delay_alu instid0(VALU_DEP_2)
	v_dual_mov_b32 v3, v1 :: v_dual_and_b32 v62, -8, v12
	v_mov_b32_e32 v11, 0
	v_dual_mov_b32 v2, v0 :: v_dual_lshlrev_b32 v65, 1, v0
	s_mov_b32 s6, 0
	s_mov_b32 s7, 0
.LBB695_175:                            ; =>This Inner Loop Header: Depth=1
	s_delay_alu instid0(VALU_DEP_1) | instskip(SKIP_2) | instid1(VALU_DEP_3)
	v_dual_mov_b32 v10, v2 :: v_dual_add_nc_u32 v67, 0x200, v3
	v_add_nc_u32_e32 v62, -8, v62
	v_dual_mov_b32 v68, v11 :: v_dual_add_nc_u32 v69, 0x400, v3
	v_lshlrev_b64 v[81:82], 1, v[10:11]
	v_dual_mov_b32 v70, v11 :: v_dual_add_nc_u32 v71, 0x600, v3
	s_delay_alu instid0(VALU_DEP_4) | instskip(NEXT) | instid1(VALU_DEP_4)
	v_cmp_eq_u32_e32 vcc_lo, 0, v62
	v_lshlrev_b64 v[67:68], 1, v[67:68]
	v_dual_mov_b32 v72, v11 :: v_dual_add_nc_u32 v73, 0x800, v3
	s_add_i32 s7, s7, 16
	v_lshlrev_b64 v[69:70], 1, v[69:70]
	s_or_b32 s6, vcc_lo, s6
	v_add_co_u32 v81, vcc_lo, v6, v81
	v_dual_mov_b32 v74, v11 :: v_dual_add_nc_u32 v75, 0xa00, v3
	v_add_co_ci_u32_e32 v82, vcc_lo, v64, v82, vcc_lo
	v_lshlrev_b64 v[71:72], 1, v[71:72]
	v_add_co_u32 v67, vcc_lo, v6, v67
	v_dual_mov_b32 v76, v11 :: v_dual_add_nc_u32 v77, 0xc00, v3
	v_add_co_ci_u32_e32 v68, vcc_lo, v64, v68, vcc_lo
	v_lshlrev_b64 v[73:74], 1, v[73:74]
	;; [unrolled: 4-line block ×3, first 2 shown]
	v_add_co_u32 v71, vcc_lo, v6, v71
	v_mov_b32_e32 v80, v11
	v_mov_b32_e32 v10, v3
	v_add_co_ci_u32_e32 v72, vcc_lo, v64, v72, vcc_lo
	v_lshlrev_b64 v[77:78], 1, v[77:78]
	v_add_co_u32 v73, vcc_lo, v6, v73
	ds_load_u16 v1, v65
	ds_load_u16 v87, v65 offset:512
	ds_load_u16 v88, v65 offset:1024
	;; [unrolled: 1-line block ×7, first 2 shown]
	v_add_co_ci_u32_e32 v74, vcc_lo, v64, v74, vcc_lo
	ds_load_u16 v94, v65 offset:4096
	ds_load_u16 v95, v65 offset:4608
	;; [unrolled: 1-line block ×8, first 2 shown]
	v_add_nc_u32_e32 v65, 0x2000, v65
	v_lshlrev_b64 v[79:80], 1, v[79:80]
	v_add_co_u32 v75, vcc_lo, v6, v75
	v_lshlrev_b64 v[83:84], 1, v[10:11]
	v_add_nc_u32_e32 v10, 0x200, v2
	v_add_co_ci_u32_e32 v76, vcc_lo, v64, v76, vcc_lo
	v_add_co_u32 v77, vcc_lo, v6, v77
	v_add_co_ci_u32_e32 v78, vcc_lo, v64, v78, vcc_lo
	v_add_co_u32 v79, vcc_lo, v6, v79
	v_lshlrev_b64 v[85:86], 1, v[10:11]
	v_add_nc_u32_e32 v10, 0x400, v2
	v_add_co_ci_u32_e32 v80, vcc_lo, v64, v80, vcc_lo
	v_add_co_u32 v83, vcc_lo, v6, v83
	v_add_co_ci_u32_e32 v84, vcc_lo, v64, v84, vcc_lo
	s_waitcnt lgkmcnt(15)
	global_store_b16 v[81:82], v1, off
	v_lshlrev_b64 v[81:82], 1, v[10:11]
	v_add_nc_u32_e32 v10, 0x600, v2
	v_add_co_u32 v85, vcc_lo, v6, v85
	v_add_co_ci_u32_e32 v86, vcc_lo, v64, v86, vcc_lo
	s_waitcnt lgkmcnt(14)
	global_store_b16 v[83:84], v87, off
	v_lshlrev_b64 v[83:84], 1, v[10:11]
	v_add_nc_u32_e32 v10, 0x800, v2
	s_waitcnt lgkmcnt(13)
	global_store_b16 v[85:86], v88, off
	s_waitcnt lgkmcnt(12)
	global_store_b16 v[67:68], v89, off
	v_add_co_u32 v67, vcc_lo, v6, v81
	v_add_co_ci_u32_e32 v68, vcc_lo, v64, v82, vcc_lo
	v_lshlrev_b64 v[81:82], 1, v[10:11]
	v_add_nc_u32_e32 v10, 0xa00, v2
	v_add_co_u32 v83, vcc_lo, v6, v83
	v_add_co_ci_u32_e32 v84, vcc_lo, v64, v84, vcc_lo
	s_waitcnt lgkmcnt(11)
	global_store_b16 v[67:68], v90, off
	s_waitcnt lgkmcnt(10)
	global_store_b16 v[69:70], v91, off
	v_lshlrev_b64 v[67:68], 1, v[10:11]
	v_add_nc_u32_e32 v10, 0xc00, v2
	v_add_co_u32 v69, vcc_lo, v6, v81
	s_waitcnt lgkmcnt(9)
	global_store_b16 v[83:84], v92, off
	s_waitcnt lgkmcnt(8)
	global_store_b16 v[71:72], v93, off
	v_add_co_ci_u32_e32 v70, vcc_lo, v64, v82, vcc_lo
	v_lshlrev_b64 v[71:72], 1, v[10:11]
	v_add_nc_u32_e32 v10, 0xe00, v2
	v_add_co_u32 v67, vcc_lo, v6, v67
	v_add_co_ci_u32_e32 v68, vcc_lo, v64, v68, vcc_lo
	s_waitcnt lgkmcnt(7)
	global_store_b16 v[69:70], v94, off
	s_waitcnt lgkmcnt(6)
	global_store_b16 v[73:74], v95, off
	v_lshlrev_b64 v[69:70], 1, v[10:11]
	v_dual_mov_b32 v66, s7 :: v_dual_add_nc_u32 v3, 0x1000, v3
	s_waitcnt lgkmcnt(5)
	global_store_b16 v[67:68], v96, off
	v_add_co_u32 v67, vcc_lo, v6, v71
	v_add_nc_u32_e32 v2, 0x1000, v2
	v_add_co_ci_u32_e32 v68, vcc_lo, v64, v72, vcc_lo
	v_add_co_u32 v69, vcc_lo, v6, v69
	v_add_co_ci_u32_e32 v70, vcc_lo, v64, v70, vcc_lo
	s_waitcnt lgkmcnt(4)
	global_store_b16 v[75:76], v97, off
	s_waitcnt lgkmcnt(3)
	global_store_b16 v[67:68], v98, off
	;; [unrolled: 2-line block ×5, first 2 shown]
	s_and_not1_b32 exec_lo, exec_lo, s6
	s_cbranch_execnz .LBB695_175
; %bb.176:
	s_or_b32 exec_lo, exec_lo, s6
.LBB695_177:
	s_delay_alu instid0(SALU_CYCLE_1) | instskip(SKIP_3) | instid1(VALU_DEP_1)
	s_or_b32 exec_lo, exec_lo, s0
	v_and_b32_e32 v1, 7, v12
	s_mov_b32 s7, 0
	s_mov_b32 s6, exec_lo
	v_cmpx_ne_u32_e32 0, v1
	s_cbranch_execz .LBB695_180
; %bb.178:
	v_dual_mov_b32 v11, 0 :: v_dual_lshlrev_b32 v10, 1, v0
	s_delay_alu instid0(VALU_DEP_1)
	v_lshl_or_b32 v12, v66, 9, v10
	s_set_inst_prefetch_distance 0x1
	.p2align	6
.LBB695_179:                            ; =>This Inner Loop Header: Depth=1
	v_dual_mov_b32 v10, v2 :: v_dual_add_nc_u32 v1, -1, v1
	ds_load_u16 v62, v12
	ds_load_u16 v69, v12 offset:512
	v_add_nc_u32_e32 v2, 0x200, v2
	v_add_nc_u32_e32 v12, 0x400, v12
	v_lshlrev_b64 v[65:66], 1, v[10:11]
	v_dual_mov_b32 v10, v3 :: v_dual_add_nc_u32 v3, 0x200, v3
	v_cmp_eq_u32_e32 vcc_lo, 0, v1
	s_delay_alu instid0(VALU_DEP_2) | instskip(NEXT) | instid1(VALU_DEP_4)
	v_lshlrev_b64 v[67:68], 1, v[10:11]
	v_add_co_u32 v65, s0, v6, v65
	s_delay_alu instid0(VALU_DEP_1) | instskip(SKIP_1) | instid1(VALU_DEP_3)
	v_add_co_ci_u32_e64 v66, s0, v64, v66, s0
	s_or_b32 s7, vcc_lo, s7
	v_add_co_u32 v67, s0, v6, v67
	s_delay_alu instid0(VALU_DEP_1)
	v_add_co_ci_u32_e64 v68, s0, v64, v68, s0
	s_waitcnt lgkmcnt(1)
	global_store_b16 v[65:66], v62, off
	s_waitcnt lgkmcnt(0)
	global_store_b16 v[67:68], v69, off
	s_and_not1_b32 exec_lo, exec_lo, s7
	s_cbranch_execnz .LBB695_179
.LBB695_180:
	s_set_inst_prefetch_distance 0x2
	s_or_b32 exec_lo, exec_lo, s6
	v_add_nc_u32_e32 v1, 1, v4
	s_delay_alu instid0(VALU_DEP_1) | instskip(NEXT) | instid1(VALU_DEP_1)
	v_and_b32_e32 v2, 0x1fffffe, v1
	v_cmp_ne_u32_e32 vcc_lo, v1, v2
	v_lshl_or_b32 v1, v2, 8, v0
	s_or_not1_b32 s0, vcc_lo, exec_lo
.LBB695_181:
	s_or_b32 exec_lo, exec_lo, s5
	s_delay_alu instid0(SALU_CYCLE_1) | instskip(SKIP_1) | instid1(SALU_CYCLE_1)
	s_and_not1_b32 s3, s3, exec_lo
	s_and_b32 s0, s0, exec_lo
	s_or_b32 s3, s3, s0
.LBB695_182:
	s_or_b32 exec_lo, exec_lo, s4
	s_delay_alu instid0(VALU_DEP_2) | instid1(SALU_CYCLE_1)
	s_and_b32 exec_lo, exec_lo, s3
	s_cbranch_execz .LBB695_185
; %bb.183:
	v_dual_mov_b32 v2, 0 :: v_dual_lshlrev_b32 v3, 1, v1
	s_mov_b32 s3, 0
	.p2align	6
.LBB695_184:                            ; =>This Inner Loop Header: Depth=1
	ds_load_u16 v4, v3
	v_lshlrev_b64 v[10:11], 1, v[1:2]
	v_add_nc_u32_e32 v1, 0x100, v1
	v_add_nc_u32_e32 v3, 0x200, v3
	s_delay_alu instid0(VALU_DEP_2) | instskip(NEXT) | instid1(VALU_DEP_4)
	v_cmp_ge_u32_e32 vcc_lo, v1, v5
	v_add_co_u32 v10, s0, v6, v10
	s_delay_alu instid0(VALU_DEP_1)
	v_add_co_ci_u32_e64 v11, s0, v64, v11, s0
	s_or_b32 s3, vcc_lo, s3
	s_waitcnt lgkmcnt(0)
	global_store_b16 v[10:11], v4, off
	s_and_not1_b32 exec_lo, exec_lo, s3
	s_cbranch_execnz .LBB695_184
.LBB695_185:
	s_or_b32 exec_lo, exec_lo, s1
.LBB695_186:
	s_cmpk_lg_i32 s26, 0xf00
	v_cndmask_b32_e64 v2, 0, 1, s27
	s_cselect_b32 s0, -1, 0
	v_mad_i32_i24 v6, v0, -15, s26
	s_and_b32 s0, s0, s17
	s_and_b32 s1, s2, s27
	v_cndmask_b32_e64 v1, 0, 1, s0
	s_mul_hi_u32 s0, s26, 0x88888889
	v_sub_nc_u32_e32 v3, v5, v2
	s_lshr_b32 s0, s0, 3
	v_cndmask_b32_e64 v10, v25, 0, s1
	v_cmp_eq_u32_e32 vcc_lo, s0, v0
	v_cmp_ne_u32_e64 s0, 0, v6
	s_mov_b32 s16, -1
	s_waitcnt_vscnt null, 0x0
	s_barrier
	s_and_b32 vcc_lo, vcc_lo, s17
	v_add_nc_u32_e32 v4, v3, v1
	v_cndmask_b32_e64 v3, 1, v10, s0
	v_cmp_ne_u32_e64 s0, 1, v6
	buffer_gl0_inv
	v_cndmask_b32_e64 v11, 1, v26, s0
	v_cmp_ne_u32_e64 s0, 14, v6
	s_delay_alu instid0(VALU_DEP_2) | instskip(NEXT) | instid1(VALU_DEP_2)
	v_cndmask_b32_e32 v26, v26, v11, vcc_lo
	v_cndmask_b32_e64 v12, 1, v61, s0
	v_cmp_ne_u32_e64 s0, 2, v6
	s_delay_alu instid0(VALU_DEP_2) | instskip(NEXT) | instid1(VALU_DEP_2)
	v_cndmask_b32_e32 v61, v61, v12, vcc_lo
	v_cndmask_b32_e64 v25, 1, v23, s0
	v_cmp_ne_u32_e64 s0, 3, v6
	s_delay_alu instid0(VALU_DEP_2) | instskip(NEXT) | instid1(VALU_DEP_2)
	v_dual_cndmask_b32 v64, v10, v3 :: v_dual_cndmask_b32 v23, v23, v25
	v_cndmask_b32_e64 v62, 1, v24, s0
	v_cmp_ne_u32_e64 s0, 4, v6
	s_delay_alu instid0(VALU_DEP_3) | instskip(NEXT) | instid1(VALU_DEP_4)
	v_cmp_ne_u32_e64 s14, 0, v64
	v_cmp_ne_u32_e64 s12, 0, v23
	s_delay_alu instid0(VALU_DEP_3) | instskip(SKIP_1) | instid1(VALU_DEP_2)
	v_cndmask_b32_e64 v3, 1, v21, s0
	v_cmp_ne_u32_e64 s0, 5, v6
	v_dual_cndmask_b32 v24, v24, v62 :: v_dual_cndmask_b32 v21, v21, v3
	s_delay_alu instid0(VALU_DEP_2) | instskip(SKIP_1) | instid1(VALU_DEP_3)
	v_cndmask_b32_e64 v10, 1, v22, s0
	v_cmp_eq_u32_e64 s0, 0, v64
	v_cmp_ne_u32_e64 s11, 0, v24
	s_delay_alu instid0(VALU_DEP_4) | instskip(NEXT) | instid1(VALU_DEP_4)
	v_cmp_ne_u32_e64 s10, 0, v21
	v_cndmask_b32_e32 v22, v22, v10, vcc_lo
	s_delay_alu instid0(VALU_DEP_4) | instskip(SKIP_1) | instid1(VALU_DEP_3)
	v_cndmask_b32_e64 v11, 1, 2, s0
	v_cmp_eq_u32_e64 s0, 0, v26
	v_cmp_ne_u32_e64 s9, 0, v22
	s_delay_alu instid0(VALU_DEP_2) | instskip(SKIP_1) | instid1(VALU_DEP_2)
	v_cndmask_b32_e64 v12, 1, 2, s0
	v_cmp_ne_u32_e64 s0, 6, v6
	v_and_b32_e32 v11, v12, v11
	s_delay_alu instid0(VALU_DEP_2) | instskip(SKIP_1) | instid1(VALU_DEP_2)
	v_cndmask_b32_e64 v25, 1, v19, s0
	v_cmp_eq_u32_e64 s0, 0, v23
	v_cndmask_b32_e32 v19, v19, v25, vcc_lo
	s_delay_alu instid0(VALU_DEP_2) | instskip(SKIP_1) | instid1(VALU_DEP_3)
	v_cndmask_b32_e64 v12, 1, 2, s0
	v_cmp_ne_u32_e64 s0, 7, v6
	v_cmp_ne_u32_e64 s8, 0, v19
	s_delay_alu instid0(VALU_DEP_3) | instskip(NEXT) | instid1(VALU_DEP_3)
	v_and_b32_e32 v11, v11, v12
	v_cndmask_b32_e64 v62, 1, v20, s0
	v_cmp_ne_u32_e64 s0, 8, v6
	v_cmp_ne_u32_e64 s13, 0, v26
	s_delay_alu instid0(VALU_DEP_2) | instskip(SKIP_1) | instid1(VALU_DEP_2)
	v_cndmask_b32_e64 v65, 1, v15, s0
	v_cmp_eq_u32_e64 s0, 0, v24
	v_dual_cndmask_b32 v20, v20, v62 :: v_dual_cndmask_b32 v15, v15, v65
	s_delay_alu instid0(VALU_DEP_2) | instskip(SKIP_1) | instid1(VALU_DEP_3)
	v_cndmask_b32_e64 v12, 1, 2, s0
	v_cmp_ne_u32_e64 s0, 9, v6
	v_cmp_ne_u32_e64 s7, 0, v20
	s_delay_alu instid0(VALU_DEP_4) | instskip(NEXT) | instid1(VALU_DEP_4)
	v_cmp_ne_u32_e64 s6, 0, v15
	v_and_b32_e32 v10, v11, v12
	s_delay_alu instid0(VALU_DEP_4) | instskip(SKIP_1) | instid1(VALU_DEP_2)
	v_cndmask_b32_e64 v3, 1, v16, s0
	v_cmp_eq_u32_e64 s0, 0, v21
	v_cndmask_b32_e32 v16, v16, v3, vcc_lo
	s_delay_alu instid0(VALU_DEP_2) | instskip(SKIP_1) | instid1(VALU_DEP_2)
	v_cndmask_b32_e64 v11, 1, 2, s0
	v_cmp_ne_u32_e64 s0, 10, v6
	v_and_b32_e32 v10, v10, v11
	s_delay_alu instid0(VALU_DEP_2) | instskip(SKIP_1) | instid1(VALU_DEP_2)
	v_cndmask_b32_e64 v12, 1, v13, s0
	v_cmp_ne_u32_e64 s0, 12, v6
	v_cndmask_b32_e32 v13, v13, v12, vcc_lo
	s_delay_alu instid0(VALU_DEP_2) | instskip(SKIP_1) | instid1(VALU_DEP_3)
	v_cndmask_b32_e64 v66, 1, v63, s0
	v_cmp_eq_u32_e64 s0, 0, v22
	v_cmp_ne_u32_e64 s4, 0, v13
	s_delay_alu instid0(VALU_DEP_2) | instskip(SKIP_1) | instid1(VALU_DEP_2)
	v_cndmask_b32_e64 v11, 1, 2, s0
	v_cmp_ne_u32_e64 s0, 13, v6
	v_and_b32_e32 v10, v10, v11
	s_delay_alu instid0(VALU_DEP_2) | instskip(SKIP_1) | instid1(VALU_DEP_2)
	v_cndmask_b32_e64 v25, 1, v18, s0
	v_cmp_eq_u32_e64 s0, 0, v19
	v_cndmask_b32_e32 v18, v18, v25, vcc_lo
	s_delay_alu instid0(VALU_DEP_2) | instskip(SKIP_2) | instid1(VALU_DEP_4)
	v_cndmask_b32_e64 v11, 1, 2, s0
	v_cmp_ne_u32_e64 s0, 11, v6
	v_cndmask_b32_e32 v25, v63, v66, vcc_lo
	v_cmp_ne_u32_e64 s1, 0, v18
	s_delay_alu instid0(VALU_DEP_4) | instskip(NEXT) | instid1(VALU_DEP_4)
	v_and_b32_e32 v10, v10, v11
	v_cndmask_b32_e64 v6, 1, v14, s0
	v_cmp_eq_u32_e64 s0, 0, v20
	v_cmp_ne_u32_e64 s2, 0, v25
	s_delay_alu instid0(VALU_DEP_3) | instskip(NEXT) | instid1(VALU_DEP_3)
	v_cndmask_b32_e32 v14, v14, v6, vcc_lo
	v_cndmask_b32_e64 v11, 1, 2, s0
	v_cmp_eq_u32_e32 vcc_lo, 0, v15
	v_cmp_ne_u32_e64 s0, 0, v61
	s_delay_alu instid0(VALU_DEP_4) | instskip(NEXT) | instid1(VALU_DEP_4)
	v_cmp_ne_u32_e64 s3, 0, v14
	v_and_b32_e32 v3, v10, v11
	v_cndmask_b32_e64 v6, 1, 2, vcc_lo
	v_add_co_u32 v10, vcc_lo, s28, v59
	v_add_co_ci_u32_e32 v11, vcc_lo, s29, v60, vcc_lo
	s_delay_alu instid0(VALU_DEP_3)
	v_and_b32_e32 v3, v3, v6
	v_cmp_eq_u32_e32 vcc_lo, 0, v16
	v_cmp_ne_u32_e64 s5, 0, v16
	v_cndmask_b32_e64 v6, 1, 2, vcc_lo
	v_add_co_u32 v10, vcc_lo, v10, v8
	v_add_co_ci_u32_e32 v11, vcc_lo, v11, v9, vcc_lo
	v_lshlrev_b32_e32 v8, 1, v2
	v_cmp_eq_u32_e32 vcc_lo, 0, v13
	v_and_b32_e32 v3, v3, v6
	v_cndmask_b32_e64 v6, 1, 2, vcc_lo
	s_delay_alu instid0(VALU_DEP_4) | instskip(SKIP_2) | instid1(VALU_DEP_4)
	v_add_co_u32 v8, vcc_lo, v8, v10
	v_add_co_ci_u32_e32 v9, vcc_lo, 0, v11, vcc_lo
	v_cmp_eq_u32_e32 vcc_lo, 0, v14
	v_and_b32_e32 v59, v3, v6
	v_add_nc_u32_e32 v3, v7, v2
	v_cndmask_b32_e64 v60, 1, 2, vcc_lo
	v_add_co_u32 v6, vcc_lo, v8, -2
	v_add_co_ci_u32_e32 v12, vcc_lo, -1, v9, vcc_lo
	v_cmp_eq_u32_e32 vcc_lo, 0, v25
	s_delay_alu instid0(VALU_DEP_4) | instskip(SKIP_2) | instid1(VALU_DEP_2)
	v_and_b32_e32 v8, v59, v60
	v_cndmask_b32_e64 v9, 1, 2, vcc_lo
	v_cmp_eq_u32_e32 vcc_lo, 0, v18
	v_and_b32_e32 v8, v8, v9
	v_cndmask_b32_e64 v9, 1, 2, vcc_lo
	v_cmp_eq_u32_e32 vcc_lo, 0, v61
	s_delay_alu instid0(VALU_DEP_2) | instskip(SKIP_2) | instid1(VALU_DEP_2)
	v_and_b32_e32 v8, v8, v9
	v_cndmask_b32_e64 v9, 1, 2, vcc_lo
	v_cmp_gt_u32_e32 vcc_lo, 0x100, v4
	v_and_b32_e32 v8, v8, v9
	s_delay_alu instid0(VALU_DEP_1)
	v_cmp_gt_i16_e64 s15, 2, v8
	s_cbranch_vccnz .LBB695_190
; %bb.187:
	s_and_b32 vcc_lo, exec_lo, s16
	s_cbranch_vccnz .LBB695_196
.LBB695_188:
	v_cmp_eq_u32_e32 vcc_lo, 0xff, v0
	s_and_b32 s0, vcc_lo, s17
	s_delay_alu instid0(SALU_CYCLE_1)
	s_and_saveexec_b32 s1, s0
	s_cbranch_execnz .LBB695_217
.LBB695_189:
	s_nop 0
	s_sendmsg sendmsg(MSG_DEALLOC_VGPRS)
	s_endpgm
.LBB695_190:
	s_delay_alu instid0(VALU_DEP_1)
	s_and_saveexec_b32 s16, s15
	s_cbranch_execz .LBB695_195
; %bb.191:
	s_mov_b32 s18, 0
	s_mov_b32 s15, exec_lo
	v_cmpx_ne_u16_e32 1, v8
	s_xor_b32 s15, exec_lo, s15
	s_cbranch_execnz .LBB695_287
; %bb.192:
	s_and_not1_saveexec_b32 s15, s15
	s_cbranch_execnz .LBB695_303
.LBB695_193:
	s_or_b32 exec_lo, exec_lo, s15
	s_delay_alu instid0(SALU_CYCLE_1)
	s_and_b32 exec_lo, exec_lo, s18
	s_cbranch_execz .LBB695_195
.LBB695_194:
	v_sub_nc_u32_e32 v13, v29, v3
	v_mov_b32_e32 v14, 0
	s_delay_alu instid0(VALU_DEP_1) | instskip(NEXT) | instid1(VALU_DEP_1)
	v_lshlrev_b64 v[13:14], 1, v[13:14]
	v_add_co_u32 v13, vcc_lo, v6, v13
	s_delay_alu instid0(VALU_DEP_2)
	v_add_co_ci_u32_e32 v14, vcc_lo, v12, v14, vcc_lo
	global_store_b16 v[13:14], v30, off
.LBB695_195:
	s_or_b32 exec_lo, exec_lo, s16
	s_branch .LBB695_188
.LBB695_196:
	s_mov_b32 s15, exec_lo
	v_cmpx_gt_i16_e32 2, v8
	s_cbranch_execz .LBB695_201
; %bb.197:
	s_mov_b32 s18, 0
	s_mov_b32 s16, exec_lo
	v_cmpx_ne_u16_e32 1, v8
	s_xor_b32 s16, exec_lo, s16
	s_cbranch_execnz .LBB695_304
; %bb.198:
	s_and_not1_saveexec_b32 s0, s16
	s_cbranch_execnz .LBB695_320
.LBB695_199:
	s_or_b32 exec_lo, exec_lo, s0
	s_delay_alu instid0(SALU_CYCLE_1)
	s_and_b32 exec_lo, exec_lo, s18
	s_cbranch_execz .LBB695_201
.LBB695_200:
	v_sub_nc_u32_e32 v3, v29, v3
	s_delay_alu instid0(VALU_DEP_1)
	v_lshlrev_b32_e32 v3, 1, v3
	ds_store_b16 v3, v30
.LBB695_201:
	s_or_b32 exec_lo, exec_lo, s15
	s_delay_alu instid0(SALU_CYCLE_1)
	s_mov_b32 s1, exec_lo
	s_waitcnt lgkmcnt(0)
	s_waitcnt_vscnt null, 0x0
	s_barrier
	buffer_gl0_inv
	v_cmpx_lt_u32_e64 v0, v4
	s_cbranch_execz .LBB695_216
; %bb.202:
	v_add_nc_u32_e32 v8, v5, v1
	s_mov_b32 s0, -1
	s_mov_b32 s3, exec_lo
	s_delay_alu instid0(VALU_DEP_1) | instskip(NEXT) | instid1(VALU_DEP_1)
	v_xad_u32 v1, v0, -1, v8
	v_sub_nc_u32_e32 v3, v1, v2
	v_mov_b32_e32 v1, v0
	s_delay_alu instid0(VALU_DEP_2)
	v_cmp_gt_u32_e64 s2, 0x1b00, v3
	v_cmpx_lt_u32_e32 0x1aff, v3
	s_cbranch_execz .LBB695_213
; %bb.203:
	v_sub_nc_u32_e32 v1, v0, v8
	s_delay_alu instid0(VALU_DEP_1) | instskip(NEXT) | instid1(VALU_DEP_1)
	v_add_nc_u32_e32 v1, v1, v2
	v_or_b32_e32 v1, 0xff, v1
	s_delay_alu instid0(VALU_DEP_1)
	v_cmp_ge_u32_e32 vcc_lo, v1, v0
	v_mov_b32_e32 v1, v0
	s_and_saveexec_b32 s4, vcc_lo
	s_cbranch_execz .LBB695_212
; %bb.204:
	v_lshrrev_b32_e32 v13, 8, v3
	v_or_b32_e32 v1, 0x100, v0
	v_dual_mov_b32 v19, 0 :: v_dual_lshlrev_b32 v14, 1, v0
	s_delay_alu instid0(VALU_DEP_3) | instskip(NEXT) | instid1(VALU_DEP_1)
	v_add_nc_u32_e32 v2, -1, v13
	v_lshrrev_b32_e32 v3, 1, v2
	v_cmp_lt_u32_e32 vcc_lo, 13, v2
	s_delay_alu instid0(VALU_DEP_2)
	v_add_nc_u32_e32 v15, 1, v3
	v_dual_mov_b32 v3, v1 :: v_dual_mov_b32 v2, v0
	s_and_saveexec_b32 s0, vcc_lo
	s_cbranch_execz .LBB695_208
; %bb.205:
	v_dual_mov_b32 v18, v14 :: v_dual_mov_b32 v3, v1
	v_dual_mov_b32 v9, 0 :: v_dual_and_b32 v16, -8, v15
	v_mov_b32_e32 v2, v0
	s_mov_b32 s5, 0
	s_mov_b32 s6, 0
.LBB695_206:                            ; =>This Inner Loop Header: Depth=1
	s_delay_alu instid0(VALU_DEP_1) | instskip(SKIP_2) | instid1(VALU_DEP_3)
	v_dual_mov_b32 v8, v2 :: v_dual_mov_b32 v21, v9
	v_add_nc_u32_e32 v16, -8, v16
	v_dual_mov_b32 v23, v9 :: v_dual_add_nc_u32 v20, 0x200, v3
	v_lshlrev_b64 v[37:38], 1, v[8:9]
	v_dual_mov_b32 v25, v9 :: v_dual_add_nc_u32 v22, 0x400, v3
	s_delay_alu instid0(VALU_DEP_4) | instskip(NEXT) | instid1(VALU_DEP_4)
	v_cmp_eq_u32_e32 vcc_lo, 0, v16
	v_lshlrev_b64 v[20:21], 1, v[20:21]
	s_add_i32 s6, s6, 16
	s_delay_alu instid0(SALU_CYCLE_1)
	v_dual_mov_b32 v19, s6 :: v_dual_add_nc_u32 v24, 0x600, v3
	v_lshlrev_b64 v[22:23], 1, v[22:23]
	s_or_b32 s5, vcc_lo, s5
	v_add_co_u32 v37, vcc_lo, v6, v37
	v_dual_mov_b32 v30, v9 :: v_dual_add_nc_u32 v29, 0x800, v3
	v_add_co_ci_u32_e32 v38, vcc_lo, v12, v38, vcc_lo
	v_lshlrev_b64 v[24:25], 1, v[24:25]
	v_add_co_u32 v20, vcc_lo, v6, v20
	v_dual_mov_b32 v32, v9 :: v_dual_add_nc_u32 v31, 0xa00, v3
	v_add_co_ci_u32_e32 v21, vcc_lo, v12, v21, vcc_lo
	v_lshlrev_b64 v[29:30], 1, v[29:30]
	;; [unrolled: 4-line block ×3, first 2 shown]
	v_add_co_u32 v24, vcc_lo, v6, v24
	v_dual_mov_b32 v36, v9 :: v_dual_add_nc_u32 v35, 0xe00, v3
	v_dual_mov_b32 v8, v3 :: v_dual_add_nc_u32 v3, 0x1000, v3
	v_add_co_ci_u32_e32 v25, vcc_lo, v12, v25, vcc_lo
	v_lshlrev_b64 v[33:34], 1, v[33:34]
	v_add_co_u32 v29, vcc_lo, v6, v29
	ds_load_u16 v1, v18
	ds_load_u16 v26, v18 offset:512
	ds_load_u16 v43, v18 offset:1024
	;; [unrolled: 1-line block ×7, first 2 shown]
	v_add_co_ci_u32_e32 v30, vcc_lo, v12, v30, vcc_lo
	v_lshlrev_b64 v[35:36], 1, v[35:36]
	v_add_co_u32 v31, vcc_lo, v6, v31
	v_lshlrev_b64 v[39:40], 1, v[8:9]
	v_add_nc_u32_e32 v8, 0x200, v2
	v_add_co_ci_u32_e32 v32, vcc_lo, v12, v32, vcc_lo
	v_add_co_u32 v33, vcc_lo, v6, v33
	v_add_co_ci_u32_e32 v34, vcc_lo, v12, v34, vcc_lo
	v_add_co_u32 v35, vcc_lo, v6, v35
	v_lshlrev_b64 v[41:42], 1, v[8:9]
	v_add_nc_u32_e32 v8, 0x400, v2
	v_add_co_ci_u32_e32 v36, vcc_lo, v12, v36, vcc_lo
	v_add_co_u32 v39, vcc_lo, v6, v39
	ds_load_u16 v49, v18 offset:4096
	ds_load_u16 v50, v18 offset:4608
	;; [unrolled: 1-line block ×8, first 2 shown]
	v_add_co_ci_u32_e32 v40, vcc_lo, v12, v40, vcc_lo
	s_waitcnt lgkmcnt(15)
	global_store_b16 v[37:38], v1, off
	v_lshlrev_b64 v[37:38], 1, v[8:9]
	v_add_nc_u32_e32 v8, 0x600, v2
	v_add_co_u32 v41, vcc_lo, v6, v41
	v_add_co_ci_u32_e32 v42, vcc_lo, v12, v42, vcc_lo
	s_waitcnt lgkmcnt(14)
	global_store_b16 v[39:40], v26, off
	v_lshlrev_b64 v[39:40], 1, v[8:9]
	v_add_nc_u32_e32 v8, 0x800, v2
	s_waitcnt lgkmcnt(13)
	global_store_b16 v[41:42], v43, off
	s_waitcnt lgkmcnt(12)
	global_store_b16 v[20:21], v44, off
	v_add_co_u32 v20, vcc_lo, v6, v37
	v_add_co_ci_u32_e32 v21, vcc_lo, v12, v38, vcc_lo
	v_lshlrev_b64 v[37:38], 1, v[8:9]
	v_add_nc_u32_e32 v8, 0xa00, v2
	v_add_co_u32 v39, vcc_lo, v6, v39
	v_add_co_ci_u32_e32 v40, vcc_lo, v12, v40, vcc_lo
	s_waitcnt lgkmcnt(11)
	global_store_b16 v[20:21], v45, off
	s_waitcnt lgkmcnt(10)
	global_store_b16 v[22:23], v46, off
	v_lshlrev_b64 v[20:21], 1, v[8:9]
	v_add_nc_u32_e32 v8, 0xc00, v2
	v_add_co_u32 v22, vcc_lo, v6, v37
	s_waitcnt lgkmcnt(9)
	global_store_b16 v[39:40], v47, off
	s_waitcnt lgkmcnt(8)
	global_store_b16 v[24:25], v48, off
	v_add_co_ci_u32_e32 v23, vcc_lo, v12, v38, vcc_lo
	v_lshlrev_b64 v[24:25], 1, v[8:9]
	v_add_nc_u32_e32 v8, 0xe00, v2
	v_add_co_u32 v20, vcc_lo, v6, v20
	v_add_co_ci_u32_e32 v21, vcc_lo, v12, v21, vcc_lo
	s_waitcnt lgkmcnt(7)
	global_store_b16 v[22:23], v49, off
	s_waitcnt lgkmcnt(6)
	global_store_b16 v[29:30], v50, off
	v_lshlrev_b64 v[22:23], 1, v[8:9]
	v_add_nc_u32_e32 v18, 0x2000, v18
	s_waitcnt lgkmcnt(5)
	global_store_b16 v[20:21], v51, off
	v_add_co_u32 v20, vcc_lo, v6, v24
	v_add_nc_u32_e32 v2, 0x1000, v2
	v_add_co_ci_u32_e32 v21, vcc_lo, v12, v25, vcc_lo
	v_add_co_u32 v22, vcc_lo, v6, v22
	v_add_co_ci_u32_e32 v23, vcc_lo, v12, v23, vcc_lo
	s_waitcnt lgkmcnt(4)
	global_store_b16 v[31:32], v52, off
	s_waitcnt lgkmcnt(3)
	global_store_b16 v[20:21], v53, off
	s_waitcnt lgkmcnt(2)
	global_store_b16 v[33:34], v54, off
	s_waitcnt lgkmcnt(1)
	global_store_b16 v[22:23], v55, off
	s_waitcnt lgkmcnt(0)
	global_store_b16 v[35:36], v56, off
	s_and_not1_b32 exec_lo, exec_lo, s5
	s_cbranch_execnz .LBB695_206
; %bb.207:
	s_or_b32 exec_lo, exec_lo, s5
.LBB695_208:
	s_delay_alu instid0(SALU_CYCLE_1) | instskip(SKIP_3) | instid1(VALU_DEP_1)
	s_or_b32 exec_lo, exec_lo, s0
	v_and_b32_e32 v1, 7, v15
	s_mov_b32 s6, 0
	s_mov_b32 s5, exec_lo
	v_cmpx_ne_u32_e32 0, v1
	s_cbranch_execz .LBB695_211
; %bb.209:
	v_lshl_or_b32 v14, v19, 9, v14
	v_mov_b32_e32 v9, 0
	s_set_inst_prefetch_distance 0x1
	.p2align	6
.LBB695_210:                            ; =>This Inner Loop Header: Depth=1
	v_dual_mov_b32 v8, v2 :: v_dual_add_nc_u32 v1, -1, v1
	ds_load_u16 v20, v14
	ds_load_u16 v21, v14 offset:512
	v_add_nc_u32_e32 v2, 0x200, v2
	v_add_nc_u32_e32 v14, 0x400, v14
	v_lshlrev_b64 v[15:16], 1, v[8:9]
	v_dual_mov_b32 v8, v3 :: v_dual_add_nc_u32 v3, 0x200, v3
	v_cmp_eq_u32_e32 vcc_lo, 0, v1
	s_delay_alu instid0(VALU_DEP_2) | instskip(NEXT) | instid1(VALU_DEP_4)
	v_lshlrev_b64 v[18:19], 1, v[8:9]
	v_add_co_u32 v15, s0, v6, v15
	s_delay_alu instid0(VALU_DEP_1) | instskip(SKIP_1) | instid1(VALU_DEP_3)
	v_add_co_ci_u32_e64 v16, s0, v12, v16, s0
	s_or_b32 s6, vcc_lo, s6
	v_add_co_u32 v18, s0, v6, v18
	s_delay_alu instid0(VALU_DEP_1)
	v_add_co_ci_u32_e64 v19, s0, v12, v19, s0
	s_waitcnt lgkmcnt(1)
	global_store_b16 v[15:16], v20, off
	s_waitcnt lgkmcnt(0)
	global_store_b16 v[18:19], v21, off
	s_and_not1_b32 exec_lo, exec_lo, s6
	s_cbranch_execnz .LBB695_210
.LBB695_211:
	s_set_inst_prefetch_distance 0x2
	s_or_b32 exec_lo, exec_lo, s5
	v_add_nc_u32_e32 v1, 1, v13
	s_delay_alu instid0(VALU_DEP_1) | instskip(NEXT) | instid1(VALU_DEP_1)
	v_and_b32_e32 v2, 0x1fffffe, v1
	v_cmp_ne_u32_e32 vcc_lo, v1, v2
	v_lshl_or_b32 v1, v2, 8, v0
	s_or_not1_b32 s0, vcc_lo, exec_lo
.LBB695_212:
	s_or_b32 exec_lo, exec_lo, s4
	s_delay_alu instid0(SALU_CYCLE_1) | instskip(SKIP_1) | instid1(SALU_CYCLE_1)
	s_and_not1_b32 s2, s2, exec_lo
	s_and_b32 s0, s0, exec_lo
	s_or_b32 s2, s2, s0
.LBB695_213:
	s_or_b32 exec_lo, exec_lo, s3
	s_delay_alu instid0(VALU_DEP_2) | instid1(SALU_CYCLE_1)
	s_and_b32 exec_lo, exec_lo, s2
	s_cbranch_execz .LBB695_216
; %bb.214:
	v_dual_mov_b32 v2, 0 :: v_dual_lshlrev_b32 v3, 1, v1
	s_mov_b32 s2, 0
	.p2align	6
.LBB695_215:                            ; =>This Inner Loop Header: Depth=1
	ds_load_u16 v13, v3
	v_lshlrev_b64 v[8:9], 1, v[1:2]
	v_add_nc_u32_e32 v1, 0x100, v1
	v_add_nc_u32_e32 v3, 0x200, v3
	s_delay_alu instid0(VALU_DEP_2) | instskip(NEXT) | instid1(VALU_DEP_4)
	v_cmp_ge_u32_e32 vcc_lo, v1, v4
	v_add_co_u32 v8, s0, v6, v8
	s_delay_alu instid0(VALU_DEP_1)
	v_add_co_ci_u32_e64 v9, s0, v12, v9, s0
	s_or_b32 s2, vcc_lo, s2
	s_waitcnt lgkmcnt(0)
	global_store_b16 v[8:9], v13, off
	s_and_not1_b32 exec_lo, exec_lo, s2
	s_cbranch_execnz .LBB695_215
.LBB695_216:
	s_or_b32 exec_lo, exec_lo, s1
	v_cmp_eq_u32_e32 vcc_lo, 0xff, v0
	s_and_b32 s0, vcc_lo, s17
	s_delay_alu instid0(SALU_CYCLE_1)
	s_and_saveexec_b32 s1, s0
	s_cbranch_execz .LBB695_189
.LBB695_217:
	v_add_co_u32 v0, s0, v5, v7
	s_delay_alu instid0(VALU_DEP_1) | instskip(SKIP_1) | instid1(VALU_DEP_3)
	v_add_co_ci_u32_e64 v1, null, 0, 0, s0
	v_mov_b32_e32 v6, 0
	v_add_co_u32 v0, vcc_lo, v0, v27
	s_delay_alu instid0(VALU_DEP_3)
	v_add_co_ci_u32_e32 v1, vcc_lo, v1, v28, vcc_lo
	s_cmpk_lg_i32 s26, 0xf00
	global_store_b64 v6, v[0:1], s[30:31]
	s_cbranch_scc1 .LBB695_189
; %bb.218:
	v_lshlrev_b64 v[0:1], 1, v[5:6]
	s_delay_alu instid0(VALU_DEP_1) | instskip(NEXT) | instid1(VALU_DEP_2)
	v_add_co_u32 v0, vcc_lo, v10, v0
	v_add_co_ci_u32_e32 v1, vcc_lo, v11, v1, vcc_lo
	global_store_b16 v[0:1], v17, off offset:-2
	s_nop 0
	s_sendmsg sendmsg(MSG_DEALLOC_VGPRS)
	s_endpgm
.LBB695_219:
                                        ; implicit-def: $sgpr4
                                        ; implicit-def: $vgpr61
                                        ; implicit-def: $vgpr7
                                        ; implicit-def: $vgpr63
                                        ; implicit-def: $vgpr14
                                        ; implicit-def: $vgpr13
                                        ; implicit-def: $vgpr16
                                        ; implicit-def: $vgpr15
                                        ; implicit-def: $vgpr20
                                        ; implicit-def: $vgpr19
                                        ; implicit-def: $vgpr22
                                        ; implicit-def: $vgpr21
                                        ; implicit-def: $vgpr24
                                        ; implicit-def: $vgpr23
                                        ; implicit-def: $vgpr26
	s_cbranch_execz .LBB695_114
.LBB695_220:
	v_dual_mov_b32 v18, 0 :: v_dual_lshlrev_b32 v7, 1, v0
	v_mov_b32_e32 v61, 0
	s_mov_b32 s4, exec_lo
	ds_store_b16 v7, v9
	v_cmpx_gt_u64_e64 s[0:1], v[17:18]
	s_cbranch_execz .LBB695_222
; %bb.221:
	v_bfe_i32 v6, v12, 0, 16
	s_waitcnt lgkmcnt(1)
	v_bfe_i32 v8, v9, 0, 16
	s_delay_alu instid0(VALU_DEP_2) | instskip(NEXT) | instid1(VALU_DEP_2)
	v_mul_i32_i24_e32 v6, 0x6667, v6
	v_mul_i32_i24_e32 v8, 0x6667, v8
	s_delay_alu instid0(VALU_DEP_2) | instskip(SKIP_1) | instid1(VALU_DEP_3)
	v_lshrrev_b32_e32 v9, 31, v6
	v_ashrrev_i32_e32 v6, 18, v6
	v_lshrrev_b32_e32 v13, 31, v8
	v_ashrrev_i32_e32 v8, 18, v8
	s_delay_alu instid0(VALU_DEP_3) | instskip(NEXT) | instid1(VALU_DEP_2)
	v_add_nc_u16 v6, v6, v9
	v_add_nc_u16 v8, v8, v13
	s_delay_alu instid0(VALU_DEP_1)
	v_cmp_ne_u16_e32 vcc_lo, v6, v8
	v_cndmask_b32_e64 v61, 0, 1, vcc_lo
.LBB695_222:
	s_or_b32 exec_lo, exec_lo, s4
	v_add_nc_u32_e32 v17, 13, v5
	s_mov_b32 s4, exec_lo
	s_delay_alu instid0(VALU_DEP_1)
	v_cmpx_gt_u64_e64 s[0:1], v[17:18]
	s_cbranch_execz .LBB695_224
; %bb.223:
	v_ashrrev_i32_e32 v6, 16, v11
	s_waitcnt lgkmcnt(1)
	v_bfe_i32 v8, v12, 0, 16
	s_delay_alu instid0(VALU_DEP_2) | instskip(NEXT) | instid1(VALU_DEP_2)
	v_mul_i32_i24_e32 v6, 0x6667, v6
	v_mul_i32_i24_e32 v8, 0x6667, v8
	s_delay_alu instid0(VALU_DEP_2) | instskip(SKIP_1) | instid1(VALU_DEP_3)
	v_lshrrev_b32_e32 v9, 31, v6
	v_ashrrev_i32_e32 v6, 18, v6
	v_lshrrev_b32_e32 v13, 31, v8
	v_ashrrev_i32_e32 v8, 18, v8
	s_delay_alu instid0(VALU_DEP_3) | instskip(NEXT) | instid1(VALU_DEP_2)
	v_add_nc_u16 v6, v6, v9
	v_add_nc_u16 v8, v8, v13
	s_delay_alu instid0(VALU_DEP_1)
	v_cmp_ne_u16_e32 vcc_lo, v6, v8
	v_cndmask_b32_e64 v18, 0, 1, vcc_lo
.LBB695_224:
	s_or_b32 exec_lo, exec_lo, s4
	v_dual_mov_b32 v14, 0 :: v_dual_add_nc_u32 v13, 12, v5
	v_mov_b32_e32 v63, 0
	s_mov_b32 s4, exec_lo
	s_delay_alu instid0(VALU_DEP_2)
	v_cmpx_gt_u64_e64 s[0:1], v[13:14]
	s_cbranch_execz .LBB695_226
; %bb.225:
	v_bfe_i32 v6, v11, 0, 16
	s_waitcnt lgkmcnt(1)
	v_ashrrev_i32_e32 v8, 16, v11
	s_delay_alu instid0(VALU_DEP_2) | instskip(NEXT) | instid1(VALU_DEP_2)
	v_mul_i32_i24_e32 v6, 0x6667, v6
	v_mul_i32_i24_e32 v8, 0x6667, v8
	s_delay_alu instid0(VALU_DEP_2) | instskip(SKIP_1) | instid1(VALU_DEP_3)
	v_lshrrev_b32_e32 v9, 31, v6
	v_ashrrev_i32_e32 v6, 18, v6
	v_lshrrev_b32_e32 v13, 31, v8
	v_ashrrev_i32_e32 v8, 18, v8
	s_delay_alu instid0(VALU_DEP_3) | instskip(NEXT) | instid1(VALU_DEP_2)
	v_add_nc_u16 v6, v6, v9
	v_add_nc_u16 v8, v8, v13
	s_delay_alu instid0(VALU_DEP_1)
	v_cmp_ne_u16_e32 vcc_lo, v6, v8
	v_cndmask_b32_e64 v63, 0, 1, vcc_lo
.LBB695_226:
	s_or_b32 exec_lo, exec_lo, s4
	v_add_nc_u32_e32 v13, 11, v5
	s_mov_b32 s4, exec_lo
	s_delay_alu instid0(VALU_DEP_1)
	v_cmpx_gt_u64_e64 s[0:1], v[13:14]
	s_cbranch_execz .LBB695_228
; %bb.227:
	v_ashrrev_i32_e32 v6, 16, v10
	s_waitcnt lgkmcnt(1)
	v_bfe_i32 v8, v11, 0, 16
	s_delay_alu instid0(VALU_DEP_2) | instskip(NEXT) | instid1(VALU_DEP_2)
	v_mul_i32_i24_e32 v6, 0x6667, v6
	v_mul_i32_i24_e32 v8, 0x6667, v8
	s_delay_alu instid0(VALU_DEP_2) | instskip(SKIP_1) | instid1(VALU_DEP_3)
	v_lshrrev_b32_e32 v9, 31, v6
	v_ashrrev_i32_e32 v6, 18, v6
	v_lshrrev_b32_e32 v13, 31, v8
	v_ashrrev_i32_e32 v8, 18, v8
	s_delay_alu instid0(VALU_DEP_3) | instskip(NEXT) | instid1(VALU_DEP_2)
	v_add_nc_u16 v6, v6, v9
	v_add_nc_u16 v8, v8, v13
	s_delay_alu instid0(VALU_DEP_1)
	v_cmp_ne_u16_e32 vcc_lo, v6, v8
	v_cndmask_b32_e64 v14, 0, 1, vcc_lo
.LBB695_228:
	s_or_b32 exec_lo, exec_lo, s4
	v_dual_mov_b32 v16, 0 :: v_dual_add_nc_u32 v15, 10, v5
	v_mov_b32_e32 v13, 0
	s_mov_b32 s4, exec_lo
	s_delay_alu instid0(VALU_DEP_2)
	v_cmpx_gt_u64_e64 s[0:1], v[15:16]
	s_cbranch_execz .LBB695_230
; %bb.229:
	v_bfe_i32 v6, v10, 0, 16
	s_waitcnt lgkmcnt(1)
	v_ashrrev_i32_e32 v8, 16, v10
	s_delay_alu instid0(VALU_DEP_2) | instskip(NEXT) | instid1(VALU_DEP_2)
	v_mul_i32_i24_e32 v6, 0x6667, v6
	v_mul_i32_i24_e32 v8, 0x6667, v8
	s_delay_alu instid0(VALU_DEP_2) | instskip(SKIP_1) | instid1(VALU_DEP_3)
	v_lshrrev_b32_e32 v9, 31, v6
	v_ashrrev_i32_e32 v6, 18, v6
	v_lshrrev_b32_e32 v13, 31, v8
	v_ashrrev_i32_e32 v8, 18, v8
	s_delay_alu instid0(VALU_DEP_3) | instskip(NEXT) | instid1(VALU_DEP_2)
	v_add_nc_u16 v6, v6, v9
	v_add_nc_u16 v8, v8, v13
	s_delay_alu instid0(VALU_DEP_1)
	v_cmp_ne_u16_e32 vcc_lo, v6, v8
	v_cndmask_b32_e64 v13, 0, 1, vcc_lo
.LBB695_230:
	s_or_b32 exec_lo, exec_lo, s4
	v_add_nc_u32_e32 v15, 9, v5
	s_mov_b32 s4, exec_lo
	s_delay_alu instid0(VALU_DEP_1)
	v_cmpx_gt_u64_e64 s[0:1], v[15:16]
	s_cbranch_execz .LBB695_232
; %bb.231:
	v_ashrrev_i32_e32 v6, 16, v4
	s_waitcnt lgkmcnt(1)
	v_bfe_i32 v8, v10, 0, 16
	s_delay_alu instid0(VALU_DEP_2) | instskip(NEXT) | instid1(VALU_DEP_2)
	v_mul_i32_i24_e32 v6, 0x6667, v6
	v_mul_i32_i24_e32 v8, 0x6667, v8
	s_delay_alu instid0(VALU_DEP_2) | instskip(SKIP_1) | instid1(VALU_DEP_3)
	v_lshrrev_b32_e32 v9, 31, v6
	v_ashrrev_i32_e32 v6, 18, v6
	v_lshrrev_b32_e32 v15, 31, v8
	v_ashrrev_i32_e32 v8, 18, v8
	s_delay_alu instid0(VALU_DEP_3) | instskip(NEXT) | instid1(VALU_DEP_2)
	v_add_nc_u16 v6, v6, v9
	v_add_nc_u16 v8, v8, v15
	s_delay_alu instid0(VALU_DEP_1)
	v_cmp_ne_u16_e32 vcc_lo, v6, v8
	v_cndmask_b32_e64 v16, 0, 1, vcc_lo
.LBB695_232:
	s_or_b32 exec_lo, exec_lo, s4
	v_dual_mov_b32 v20, 0 :: v_dual_add_nc_u32 v19, 8, v5
	v_mov_b32_e32 v15, 0
	s_mov_b32 s4, exec_lo
	s_delay_alu instid0(VALU_DEP_2)
	v_cmpx_gt_u64_e64 s[0:1], v[19:20]
	s_cbranch_execz .LBB695_234
; %bb.233:
	v_bfe_i32 v6, v4, 0, 16
	s_waitcnt lgkmcnt(1)
	v_ashrrev_i32_e32 v8, 16, v4
	s_delay_alu instid0(VALU_DEP_2) | instskip(NEXT) | instid1(VALU_DEP_2)
	v_mul_i32_i24_e32 v6, 0x6667, v6
	v_mul_i32_i24_e32 v8, 0x6667, v8
	s_delay_alu instid0(VALU_DEP_2) | instskip(SKIP_1) | instid1(VALU_DEP_3)
	v_lshrrev_b32_e32 v9, 31, v6
	v_ashrrev_i32_e32 v6, 18, v6
	v_lshrrev_b32_e32 v15, 31, v8
	v_ashrrev_i32_e32 v8, 18, v8
	s_delay_alu instid0(VALU_DEP_3) | instskip(NEXT) | instid1(VALU_DEP_2)
	v_add_nc_u16 v6, v6, v9
	v_add_nc_u16 v8, v8, v15
	s_delay_alu instid0(VALU_DEP_1)
	v_cmp_ne_u16_e32 vcc_lo, v6, v8
	v_cndmask_b32_e64 v15, 0, 1, vcc_lo
.LBB695_234:
	s_or_b32 exec_lo, exec_lo, s4
	v_add_nc_u32_e32 v19, 7, v5
	s_mov_b32 s4, exec_lo
	s_delay_alu instid0(VALU_DEP_1)
	v_cmpx_gt_u64_e64 s[0:1], v[19:20]
	s_cbranch_execz .LBB695_236
; %bb.235:
	v_ashrrev_i32_e32 v6, 16, v3
	s_waitcnt lgkmcnt(1)
	v_bfe_i32 v8, v4, 0, 16
	s_delay_alu instid0(VALU_DEP_2) | instskip(NEXT) | instid1(VALU_DEP_2)
	v_mul_i32_i24_e32 v6, 0x6667, v6
	v_mul_i32_i24_e32 v8, 0x6667, v8
	s_delay_alu instid0(VALU_DEP_2) | instskip(SKIP_1) | instid1(VALU_DEP_3)
	v_lshrrev_b32_e32 v9, 31, v6
	v_ashrrev_i32_e32 v6, 18, v6
	v_lshrrev_b32_e32 v17, 31, v8
	v_ashrrev_i32_e32 v8, 18, v8
	s_delay_alu instid0(VALU_DEP_3) | instskip(NEXT) | instid1(VALU_DEP_2)
	v_add_nc_u16 v6, v6, v9
	v_add_nc_u16 v8, v8, v17
	s_delay_alu instid0(VALU_DEP_1)
	v_cmp_ne_u16_e32 vcc_lo, v6, v8
	v_cndmask_b32_e64 v20, 0, 1, vcc_lo
.LBB695_236:
	s_or_b32 exec_lo, exec_lo, s4
	v_dual_mov_b32 v22, 0 :: v_dual_add_nc_u32 v21, 6, v5
	v_mov_b32_e32 v19, 0
	s_mov_b32 s4, exec_lo
	s_delay_alu instid0(VALU_DEP_2)
	v_cmpx_gt_u64_e64 s[0:1], v[21:22]
	s_cbranch_execz .LBB695_238
; %bb.237:
	v_bfe_i32 v6, v3, 0, 16
	s_waitcnt lgkmcnt(1)
	v_ashrrev_i32_e32 v8, 16, v3
	s_delay_alu instid0(VALU_DEP_2) | instskip(NEXT) | instid1(VALU_DEP_2)
	v_mul_i32_i24_e32 v6, 0x6667, v6
	v_mul_i32_i24_e32 v8, 0x6667, v8
	s_delay_alu instid0(VALU_DEP_2) | instskip(SKIP_1) | instid1(VALU_DEP_3)
	v_lshrrev_b32_e32 v9, 31, v6
	v_ashrrev_i32_e32 v6, 18, v6
	v_lshrrev_b32_e32 v17, 31, v8
	v_ashrrev_i32_e32 v8, 18, v8
	s_delay_alu instid0(VALU_DEP_3) | instskip(NEXT) | instid1(VALU_DEP_2)
	v_add_nc_u16 v6, v6, v9
	v_add_nc_u16 v8, v8, v17
	s_delay_alu instid0(VALU_DEP_1)
	v_cmp_ne_u16_e32 vcc_lo, v6, v8
	v_cndmask_b32_e64 v19, 0, 1, vcc_lo
.LBB695_238:
	s_or_b32 exec_lo, exec_lo, s4
	v_add_nc_u32_e32 v21, 5, v5
	s_mov_b32 s4, exec_lo
	s_delay_alu instid0(VALU_DEP_1)
	v_cmpx_gt_u64_e64 s[0:1], v[21:22]
	s_cbranch_execz .LBB695_240
; %bb.239:
	v_ashrrev_i32_e32 v6, 16, v2
	s_waitcnt lgkmcnt(1)
	v_bfe_i32 v8, v3, 0, 16
	s_delay_alu instid0(VALU_DEP_2) | instskip(NEXT) | instid1(VALU_DEP_2)
	v_mul_i32_i24_e32 v6, 0x6667, v6
	v_mul_i32_i24_e32 v8, 0x6667, v8
	s_delay_alu instid0(VALU_DEP_2) | instskip(SKIP_1) | instid1(VALU_DEP_3)
	v_lshrrev_b32_e32 v9, 31, v6
	v_ashrrev_i32_e32 v6, 18, v6
	v_lshrrev_b32_e32 v17, 31, v8
	v_ashrrev_i32_e32 v8, 18, v8
	s_delay_alu instid0(VALU_DEP_3) | instskip(NEXT) | instid1(VALU_DEP_2)
	v_add_nc_u16 v6, v6, v9
	v_add_nc_u16 v8, v8, v17
	s_delay_alu instid0(VALU_DEP_1)
	v_cmp_ne_u16_e32 vcc_lo, v6, v8
	v_cndmask_b32_e64 v22, 0, 1, vcc_lo
.LBB695_240:
	s_or_b32 exec_lo, exec_lo, s4
	v_dual_mov_b32 v24, 0 :: v_dual_add_nc_u32 v23, 4, v5
	v_mov_b32_e32 v21, 0
	s_mov_b32 s4, exec_lo
	s_delay_alu instid0(VALU_DEP_2)
	v_cmpx_gt_u64_e64 s[0:1], v[23:24]
	s_cbranch_execz .LBB695_242
; %bb.241:
	v_bfe_i32 v6, v2, 0, 16
	s_waitcnt lgkmcnt(1)
	v_ashrrev_i32_e32 v8, 16, v2
	s_delay_alu instid0(VALU_DEP_2) | instskip(NEXT) | instid1(VALU_DEP_2)
	v_mul_i32_i24_e32 v6, 0x6667, v6
	v_mul_i32_i24_e32 v8, 0x6667, v8
	s_delay_alu instid0(VALU_DEP_2) | instskip(SKIP_1) | instid1(VALU_DEP_3)
	v_lshrrev_b32_e32 v9, 31, v6
	v_ashrrev_i32_e32 v6, 18, v6
	v_lshrrev_b32_e32 v17, 31, v8
	v_ashrrev_i32_e32 v8, 18, v8
	s_delay_alu instid0(VALU_DEP_3) | instskip(NEXT) | instid1(VALU_DEP_2)
	v_add_nc_u16 v6, v6, v9
	v_add_nc_u16 v8, v8, v17
	s_delay_alu instid0(VALU_DEP_1)
	v_cmp_ne_u16_e32 vcc_lo, v6, v8
	v_cndmask_b32_e64 v21, 0, 1, vcc_lo
.LBB695_242:
	s_or_b32 exec_lo, exec_lo, s4
	v_add_nc_u32_e32 v23, 3, v5
	s_mov_b32 s4, exec_lo
	s_delay_alu instid0(VALU_DEP_1)
	v_cmpx_gt_u64_e64 s[0:1], v[23:24]
	s_cbranch_execz .LBB695_244
; %bb.243:
	v_ashrrev_i32_e32 v6, 16, v1
	s_waitcnt lgkmcnt(1)
	v_bfe_i32 v8, v2, 0, 16
	s_delay_alu instid0(VALU_DEP_2) | instskip(NEXT) | instid1(VALU_DEP_2)
	v_mul_i32_i24_e32 v6, 0x6667, v6
	v_mul_i32_i24_e32 v8, 0x6667, v8
	s_delay_alu instid0(VALU_DEP_2) | instskip(SKIP_1) | instid1(VALU_DEP_3)
	v_lshrrev_b32_e32 v9, 31, v6
	v_ashrrev_i32_e32 v6, 18, v6
	v_lshrrev_b32_e32 v17, 31, v8
	v_ashrrev_i32_e32 v8, 18, v8
	s_delay_alu instid0(VALU_DEP_3) | instskip(NEXT) | instid1(VALU_DEP_2)
	v_add_nc_u16 v6, v6, v9
	v_add_nc_u16 v8, v8, v17
	s_delay_alu instid0(VALU_DEP_1)
	v_cmp_ne_u16_e32 vcc_lo, v6, v8
	v_cndmask_b32_e64 v24, 0, 1, vcc_lo
.LBB695_244:
	s_or_b32 exec_lo, exec_lo, s4
	v_dual_mov_b32 v26, 0 :: v_dual_add_nc_u32 v25, 2, v5
	v_mov_b32_e32 v23, 0
	s_mov_b32 s4, exec_lo
	s_delay_alu instid0(VALU_DEP_2)
	v_cmpx_gt_u64_e64 s[0:1], v[25:26]
	s_cbranch_execz .LBB695_246
; %bb.245:
	v_bfe_i32 v6, v1, 0, 16
	s_waitcnt lgkmcnt(1)
	v_ashrrev_i32_e32 v8, 16, v1
	s_delay_alu instid0(VALU_DEP_2) | instskip(NEXT) | instid1(VALU_DEP_2)
	v_mul_i32_i24_e32 v6, 0x6667, v6
	v_mul_i32_i24_e32 v8, 0x6667, v8
	s_delay_alu instid0(VALU_DEP_2) | instskip(SKIP_1) | instid1(VALU_DEP_3)
	v_lshrrev_b32_e32 v9, 31, v6
	v_ashrrev_i32_e32 v6, 18, v6
	v_lshrrev_b32_e32 v17, 31, v8
	v_ashrrev_i32_e32 v8, 18, v8
	s_delay_alu instid0(VALU_DEP_3) | instskip(NEXT) | instid1(VALU_DEP_2)
	v_add_nc_u16 v6, v6, v9
	v_add_nc_u16 v8, v8, v17
	s_delay_alu instid0(VALU_DEP_1)
	v_cmp_ne_u16_e32 vcc_lo, v6, v8
	v_cndmask_b32_e64 v23, 0, 1, vcc_lo
.LBB695_246:
	s_or_b32 exec_lo, exec_lo, s4
	v_add_nc_u32_e32 v25, 1, v5
	s_mov_b32 s4, exec_lo
	s_delay_alu instid0(VALU_DEP_1)
	v_cmpx_gt_u64_e64 s[0:1], v[25:26]
	s_cbranch_execz .LBB695_248
; %bb.247:
	v_bfe_i32 v6, v62, 0, 16
	s_waitcnt lgkmcnt(1)
	v_bfe_i32 v8, v1, 0, 16
	s_delay_alu instid0(VALU_DEP_2) | instskip(NEXT) | instid1(VALU_DEP_2)
	v_mul_i32_i24_e32 v6, 0x6667, v6
	v_mul_i32_i24_e32 v8, 0x6667, v8
	s_delay_alu instid0(VALU_DEP_2) | instskip(SKIP_1) | instid1(VALU_DEP_3)
	v_lshrrev_b32_e32 v9, 31, v6
	v_ashrrev_i32_e32 v6, 18, v6
	v_lshrrev_b32_e32 v17, 31, v8
	v_ashrrev_i32_e32 v8, 18, v8
	s_delay_alu instid0(VALU_DEP_3) | instskip(NEXT) | instid1(VALU_DEP_2)
	v_add_nc_u16 v6, v6, v9
	v_add_nc_u16 v8, v8, v17
	s_delay_alu instid0(VALU_DEP_1)
	v_cmp_ne_u16_e32 vcc_lo, v6, v8
	v_cndmask_b32_e64 v26, 0, 1, vcc_lo
.LBB695_248:
	s_or_b32 exec_lo, exec_lo, s4
	s_waitcnt lgkmcnt(0)
	s_barrier
	buffer_gl0_inv
                                        ; implicit-def: $sgpr4
	s_and_saveexec_b32 s5, s3
	s_cbranch_execz .LBB695_252
; %bb.249:
	v_mov_b32_e32 v6, 0
	s_delay_alu instid0(VALU_DEP_1)
	v_cmp_gt_u64_e32 vcc_lo, s[0:1], v[5:6]
	s_mov_b32 s1, 0
	s_and_saveexec_b32 s0, vcc_lo
	s_cbranch_execz .LBB695_251
; %bb.250:
	v_add_nc_u32_e32 v5, -2, v7
	v_bfe_i32 v6, v62, 0, 16
	ds_load_i16 v5, v5
	v_mul_i32_i24_e32 v6, 0x6667, v6
	s_delay_alu instid0(VALU_DEP_1) | instskip(SKIP_1) | instid1(VALU_DEP_1)
	v_lshrrev_b32_e32 v7, 31, v6
	v_ashrrev_i32_e32 v6, 18, v6
	v_add_nc_u16 v6, v6, v7
	s_waitcnt lgkmcnt(0)
	v_mul_i32_i24_e32 v5, 0x6667, v5
	s_delay_alu instid0(VALU_DEP_1) | instskip(SKIP_1) | instid1(VALU_DEP_1)
	v_lshrrev_b32_e32 v8, 31, v5
	v_ashrrev_i32_e32 v5, 18, v5
	v_add_nc_u16 v5, v5, v8
	s_delay_alu instid0(VALU_DEP_1)
	v_cmp_ne_u16_e32 vcc_lo, v5, v6
	s_and_b32 s1, vcc_lo, exec_lo
.LBB695_251:
	s_or_b32 exec_lo, exec_lo, s0
	s_delay_alu instid0(SALU_CYCLE_1)
	s_and_b32 s4, s1, exec_lo
	s_or_b32 s15, s15, exec_lo
.LBB695_252:
	s_or_b32 exec_lo, exec_lo, s5
	v_mov_b32_e32 v7, v18
	s_mov_b32 s0, 1
	s_delay_alu instid0(SALU_CYCLE_1)
	v_mov_b32_e32 v25, s0
	s_and_saveexec_b32 s0, s15
	s_cbranch_execnz .LBB695_116
	s_branch .LBB695_117
.LBB695_253:
	s_and_saveexec_b32 s19, s15
	s_cbranch_execnz .LBB695_321
; %bb.254:
	s_or_b32 exec_lo, exec_lo, s19
	s_and_saveexec_b32 s19, s14
	s_cbranch_execnz .LBB695_322
.LBB695_255:
	s_or_b32 exec_lo, exec_lo, s19
	s_and_saveexec_b32 s19, s13
	s_cbranch_execnz .LBB695_323
.LBB695_256:
	s_or_b32 exec_lo, exec_lo, s19
	s_and_saveexec_b32 s19, s12
	s_cbranch_execnz .LBB695_324
.LBB695_257:
	s_or_b32 exec_lo, exec_lo, s19
	s_and_saveexec_b32 s19, s11
	s_cbranch_execnz .LBB695_325
.LBB695_258:
	s_or_b32 exec_lo, exec_lo, s19
	s_and_saveexec_b32 s19, s10
	s_cbranch_execnz .LBB695_326
.LBB695_259:
	s_or_b32 exec_lo, exec_lo, s19
	s_and_saveexec_b32 s19, s8
	s_cbranch_execnz .LBB695_327
.LBB695_260:
	s_or_b32 exec_lo, exec_lo, s19
	s_and_saveexec_b32 s19, s6
	s_cbranch_execnz .LBB695_328
.LBB695_261:
	s_or_b32 exec_lo, exec_lo, s19
	s_and_saveexec_b32 s19, s9
	s_cbranch_execnz .LBB695_329
.LBB695_262:
	s_or_b32 exec_lo, exec_lo, s19
	s_and_saveexec_b32 s19, s7
	s_cbranch_execnz .LBB695_330
.LBB695_263:
	s_or_b32 exec_lo, exec_lo, s19
	s_and_saveexec_b32 s19, s5
	s_cbranch_execnz .LBB695_331
.LBB695_264:
	s_or_b32 exec_lo, exec_lo, s19
	s_and_saveexec_b32 s19, s4
	s_cbranch_execnz .LBB695_332
.LBB695_265:
	s_or_b32 exec_lo, exec_lo, s19
	s_and_saveexec_b32 s19, s3
	s_cbranch_execnz .LBB695_333
.LBB695_266:
	s_or_b32 exec_lo, exec_lo, s19
	s_and_saveexec_b32 s19, s1
	s_cbranch_execz .LBB695_268
.LBB695_267:
	v_sub_nc_u32_e32 v66, v37, v7
	v_mov_b32_e32 v67, 0
	s_delay_alu instid0(VALU_DEP_1) | instskip(NEXT) | instid1(VALU_DEP_1)
	v_lshlrev_b64 v[66:67], 1, v[66:67]
	v_add_co_u32 v66, vcc_lo, v6, v66
	s_delay_alu instid0(VALU_DEP_2)
	v_add_co_ci_u32_e32 v67, vcc_lo, v64, v67, vcc_lo
	global_store_b16 v[66:67], v12, off
.LBB695_268:
	s_or_b32 exec_lo, exec_lo, s19
	s_delay_alu instid0(SALU_CYCLE_1)
	s_and_b32 s19, s0, exec_lo
	s_and_not1_saveexec_b32 s16, s16
	s_cbranch_execz .LBB695_161
.LBB695_269:
	v_sub_nc_u32_e32 v66, v55, v7
	v_mov_b32_e32 v67, 0
	s_or_b32 s19, s19, exec_lo
	s_delay_alu instid0(VALU_DEP_1) | instskip(SKIP_1) | instid1(VALU_DEP_1)
	v_lshlrev_b64 v[68:69], 1, v[66:67]
	v_sub_nc_u32_e32 v66, v51, v7
	v_lshlrev_b64 v[70:71], 1, v[66:67]
	v_sub_nc_u32_e32 v66, v49, v7
	s_delay_alu instid0(VALU_DEP_4) | instskip(SKIP_1) | instid1(VALU_DEP_3)
	v_add_co_u32 v68, vcc_lo, v6, v68
	v_add_co_ci_u32_e32 v69, vcc_lo, v64, v69, vcc_lo
	v_lshlrev_b64 v[72:73], 1, v[66:67]
	v_sub_nc_u32_e32 v66, v47, v7
	v_add_co_u32 v70, vcc_lo, v6, v70
	v_add_co_ci_u32_e32 v71, vcc_lo, v64, v71, vcc_lo
	global_store_b16 v[68:69], v62, off
	v_lshlrev_b64 v[68:69], 1, v[66:67]
	v_sub_nc_u32_e32 v66, v35, v7
	global_store_b16 v[70:71], v1, off
	v_add_co_u32 v70, vcc_lo, v6, v72
	v_add_co_ci_u32_e32 v71, vcc_lo, v64, v73, vcc_lo
	v_lshlrev_b64 v[72:73], 1, v[66:67]
	v_sub_nc_u32_e32 v66, v33, v7
	v_add_co_u32 v68, vcc_lo, v6, v68
	v_add_co_ci_u32_e32 v69, vcc_lo, v64, v69, vcc_lo
	s_delay_alu instid0(VALU_DEP_3) | instskip(SKIP_3) | instid1(VALU_DEP_3)
	v_lshlrev_b64 v[74:75], 1, v[66:67]
	v_sub_nc_u32_e32 v66, v31, v7
	v_add_co_u32 v72, vcc_lo, v6, v72
	v_add_co_ci_u32_e32 v73, vcc_lo, v64, v73, vcc_lo
	v_lshlrev_b64 v[76:77], 1, v[66:67]
	v_sub_nc_u32_e32 v66, v53, v7
	v_add_co_u32 v74, vcc_lo, v6, v74
	v_add_co_ci_u32_e32 v75, vcc_lo, v64, v75, vcc_lo
	s_clause 0x3
	global_store_d16_hi_b16 v[70:71], v1, off
	global_store_b16 v[68:69], v2, off
	global_store_d16_hi_b16 v[72:73], v2, off
	global_store_b16 v[74:75], v3, off
	v_lshlrev_b64 v[68:69], 1, v[66:67]
	v_sub_nc_u32_e32 v66, v57, v7
	v_add_co_u32 v70, vcc_lo, v6, v76
	v_add_co_ci_u32_e32 v71, vcc_lo, v64, v77, vcc_lo
	s_delay_alu instid0(VALU_DEP_3) | instskip(SKIP_3) | instid1(VALU_DEP_3)
	v_lshlrev_b64 v[72:73], 1, v[66:67]
	v_sub_nc_u32_e32 v66, v45, v7
	v_add_co_u32 v68, vcc_lo, v6, v68
	v_add_co_ci_u32_e32 v69, vcc_lo, v64, v69, vcc_lo
	v_lshlrev_b64 v[74:75], 1, v[66:67]
	v_sub_nc_u32_e32 v66, v43, v7
	v_add_co_u32 v72, vcc_lo, v6, v72
	v_add_co_ci_u32_e32 v73, vcc_lo, v64, v73, vcc_lo
	s_delay_alu instid0(VALU_DEP_3)
	v_lshlrev_b64 v[76:77], 1, v[66:67]
	v_sub_nc_u32_e32 v66, v39, v7
	v_add_co_u32 v74, vcc_lo, v6, v74
	v_add_co_ci_u32_e32 v75, vcc_lo, v64, v75, vcc_lo
	s_clause 0x3
	global_store_d16_hi_b16 v[70:71], v3, off
	global_store_b16 v[68:69], v4, off
	global_store_d16_hi_b16 v[72:73], v4, off
	global_store_b16 v[74:75], v10, off
	v_lshlrev_b64 v[68:69], 1, v[66:67]
	v_sub_nc_u32_e32 v66, v41, v7
	v_add_co_u32 v70, vcc_lo, v6, v76
	v_add_co_ci_u32_e32 v71, vcc_lo, v64, v77, vcc_lo
	s_delay_alu instid0(VALU_DEP_3) | instskip(SKIP_3) | instid1(VALU_DEP_3)
	v_lshlrev_b64 v[72:73], 1, v[66:67]
	v_sub_nc_u32_e32 v66, v37, v7
	v_add_co_u32 v68, vcc_lo, v6, v68
	v_add_co_ci_u32_e32 v69, vcc_lo, v64, v69, vcc_lo
	v_lshlrev_b64 v[66:67], 1, v[66:67]
	v_add_co_u32 v72, vcc_lo, v6, v72
	v_add_co_ci_u32_e32 v73, vcc_lo, v64, v73, vcc_lo
	s_clause 0x2
	global_store_d16_hi_b16 v[70:71], v10, off
	global_store_b16 v[68:69], v11, off
	global_store_d16_hi_b16 v[72:73], v11, off
	v_add_co_u32 v66, vcc_lo, v6, v66
	v_add_co_ci_u32_e32 v67, vcc_lo, v64, v67, vcc_lo
	global_store_b16 v[66:67], v12, off
	s_or_b32 exec_lo, exec_lo, s16
	s_delay_alu instid0(SALU_CYCLE_1)
	s_and_b32 exec_lo, exec_lo, s19
	s_cbranch_execnz .LBB695_162
	s_branch .LBB695_163
.LBB695_270:
	s_and_saveexec_b32 s19, s15
	s_cbranch_execnz .LBB695_334
; %bb.271:
	s_or_b32 exec_lo, exec_lo, s19
	s_and_saveexec_b32 s15, s14
	s_cbranch_execnz .LBB695_335
.LBB695_272:
	s_or_b32 exec_lo, exec_lo, s15
	s_and_saveexec_b32 s14, s13
	s_cbranch_execnz .LBB695_336
.LBB695_273:
	s_or_b32 exec_lo, exec_lo, s14
	s_and_saveexec_b32 s13, s12
	s_cbranch_execnz .LBB695_337
.LBB695_274:
	s_or_b32 exec_lo, exec_lo, s13
	s_and_saveexec_b32 s12, s11
	s_cbranch_execnz .LBB695_338
.LBB695_275:
	s_or_b32 exec_lo, exec_lo, s12
	s_and_saveexec_b32 s11, s10
	s_cbranch_execnz .LBB695_339
.LBB695_276:
	s_or_b32 exec_lo, exec_lo, s11
	s_and_saveexec_b32 s10, s8
	s_cbranch_execnz .LBB695_340
.LBB695_277:
	s_or_b32 exec_lo, exec_lo, s10
	s_and_saveexec_b32 s8, s6
	s_cbranch_execnz .LBB695_341
.LBB695_278:
	s_or_b32 exec_lo, exec_lo, s8
	s_and_saveexec_b32 s6, s9
	s_cbranch_execnz .LBB695_342
.LBB695_279:
	s_or_b32 exec_lo, exec_lo, s6
	s_and_saveexec_b32 s6, s7
	s_cbranch_execnz .LBB695_343
.LBB695_280:
	s_or_b32 exec_lo, exec_lo, s6
	s_and_saveexec_b32 s6, s5
	s_cbranch_execnz .LBB695_344
.LBB695_281:
	s_or_b32 exec_lo, exec_lo, s6
	s_and_saveexec_b32 s5, s4
	s_cbranch_execnz .LBB695_345
.LBB695_282:
	s_or_b32 exec_lo, exec_lo, s5
	s_and_saveexec_b32 s4, s3
	s_cbranch_execnz .LBB695_346
.LBB695_283:
	s_or_b32 exec_lo, exec_lo, s4
	s_and_saveexec_b32 s3, s1
	s_cbranch_execz .LBB695_285
.LBB695_284:
	v_sub_nc_u32_e32 v1, v37, v7
	s_delay_alu instid0(VALU_DEP_1)
	v_lshlrev_b32_e32 v1, 1, v1
	ds_store_b16 v1, v12
.LBB695_285:
	s_or_b32 exec_lo, exec_lo, s3
	s_delay_alu instid0(SALU_CYCLE_1)
	s_and_b32 s19, s0, exec_lo
                                        ; implicit-def: $vgpr62
                                        ; implicit-def: $vgpr1
	s_and_not1_saveexec_b32 s0, s18
	s_cbranch_execz .LBB695_168
.LBB695_286:
	v_sub_nc_u32_e32 v65, v55, v7
	v_sub_nc_u32_e32 v66, v51, v7
	;; [unrolled: 1-line block ×4, first 2 shown]
	s_or_b32 s19, s19, exec_lo
	v_lshlrev_b32_e32 v65, 1, v65
	v_lshlrev_b32_e32 v66, 1, v66
	;; [unrolled: 1-line block ×4, first 2 shown]
	ds_store_b16 v65, v62
	ds_store_b16 v66, v1
	ds_store_b16_d16_hi v67, v1
	v_sub_nc_u32_e32 v1, v35, v7
	v_sub_nc_u32_e32 v62, v33, v7
	;; [unrolled: 1-line block ×5, first 2 shown]
	v_lshlrev_b32_e32 v1, 1, v1
	ds_store_b16 v68, v2
	v_lshlrev_b32_e32 v62, 1, v62
	v_lshlrev_b32_e32 v65, 1, v65
	;; [unrolled: 1-line block ×3, first 2 shown]
	ds_store_b16_d16_hi v1, v2
	v_lshlrev_b32_e32 v1, 1, v67
	v_sub_nc_u32_e32 v2, v45, v7
	ds_store_b16 v62, v3
	ds_store_b16_d16_hi v65, v3
	ds_store_b16 v66, v4
	v_sub_nc_u32_e32 v62, v37, v7
	v_sub_nc_u32_e32 v3, v39, v7
	ds_store_b16_d16_hi v1, v4
	v_sub_nc_u32_e32 v1, v43, v7
	v_lshlrev_b32_e32 v2, 1, v2
	v_sub_nc_u32_e32 v4, v41, v7
	v_lshlrev_b32_e32 v3, 1, v3
	s_delay_alu instid0(VALU_DEP_4)
	v_lshlrev_b32_e32 v1, 1, v1
	ds_store_b16 v2, v10
	v_lshlrev_b32_e32 v2, 1, v62
	v_lshlrev_b32_e32 v4, 1, v4
	ds_store_b16_d16_hi v1, v10
	ds_store_b16 v3, v11
	ds_store_b16_d16_hi v4, v11
	ds_store_b16 v2, v12
	s_or_b32 exec_lo, exec_lo, s0
	s_delay_alu instid0(SALU_CYCLE_1)
	s_and_b32 exec_lo, exec_lo, s19
	s_cbranch_execnz .LBB695_169
	s_branch .LBB695_170
.LBB695_287:
	s_and_saveexec_b32 s18, s14
	s_cbranch_execnz .LBB695_347
; %bb.288:
	s_or_b32 exec_lo, exec_lo, s18
	s_and_saveexec_b32 s18, s13
	s_cbranch_execnz .LBB695_348
.LBB695_289:
	s_or_b32 exec_lo, exec_lo, s18
	s_and_saveexec_b32 s18, s12
	s_cbranch_execnz .LBB695_349
.LBB695_290:
	s_or_b32 exec_lo, exec_lo, s18
	s_and_saveexec_b32 s18, s11
	s_cbranch_execnz .LBB695_350
.LBB695_291:
	s_or_b32 exec_lo, exec_lo, s18
	s_and_saveexec_b32 s18, s10
	s_cbranch_execnz .LBB695_351
.LBB695_292:
	s_or_b32 exec_lo, exec_lo, s18
	s_and_saveexec_b32 s18, s9
	s_cbranch_execnz .LBB695_352
.LBB695_293:
	s_or_b32 exec_lo, exec_lo, s18
	s_and_saveexec_b32 s18, s8
	s_cbranch_execnz .LBB695_353
.LBB695_294:
	s_or_b32 exec_lo, exec_lo, s18
	s_and_saveexec_b32 s18, s7
	s_cbranch_execnz .LBB695_354
.LBB695_295:
	s_or_b32 exec_lo, exec_lo, s18
	s_and_saveexec_b32 s18, s6
	s_cbranch_execnz .LBB695_355
.LBB695_296:
	s_or_b32 exec_lo, exec_lo, s18
	s_and_saveexec_b32 s18, s5
	s_cbranch_execnz .LBB695_356
.LBB695_297:
	s_or_b32 exec_lo, exec_lo, s18
	s_and_saveexec_b32 s18, s4
	s_cbranch_execnz .LBB695_357
.LBB695_298:
	s_or_b32 exec_lo, exec_lo, s18
	s_and_saveexec_b32 s18, s3
	s_cbranch_execnz .LBB695_358
.LBB695_299:
	s_or_b32 exec_lo, exec_lo, s18
	s_and_saveexec_b32 s18, s2
	s_cbranch_execnz .LBB695_359
.LBB695_300:
	s_or_b32 exec_lo, exec_lo, s18
	s_and_saveexec_b32 s18, s1
	s_cbranch_execz .LBB695_302
.LBB695_301:
	v_sub_nc_u32_e32 v13, v37, v3
	v_mov_b32_e32 v14, 0
	s_delay_alu instid0(VALU_DEP_1) | instskip(NEXT) | instid1(VALU_DEP_1)
	v_lshlrev_b64 v[13:14], 1, v[13:14]
	v_add_co_u32 v13, vcc_lo, v6, v13
	s_delay_alu instid0(VALU_DEP_2)
	v_add_co_ci_u32_e32 v14, vcc_lo, v12, v14, vcc_lo
	global_store_b16 v[13:14], v38, off
.LBB695_302:
	s_or_b32 exec_lo, exec_lo, s18
	s_delay_alu instid0(SALU_CYCLE_1)
	s_and_b32 s18, s0, exec_lo
	s_and_not1_saveexec_b32 s15, s15
	s_cbranch_execz .LBB695_193
.LBB695_303:
	v_sub_nc_u32_e32 v13, v55, v3
	v_mov_b32_e32 v14, 0
	s_or_b32 s18, s18, exec_lo
	s_delay_alu instid0(VALU_DEP_1) | instskip(SKIP_1) | instid1(VALU_DEP_1)
	v_lshlrev_b64 v[15:16], 1, v[13:14]
	v_sub_nc_u32_e32 v13, v51, v3
	v_lshlrev_b64 v[18:19], 1, v[13:14]
	v_sub_nc_u32_e32 v13, v49, v3
	s_delay_alu instid0(VALU_DEP_4) | instskip(SKIP_1) | instid1(VALU_DEP_3)
	v_add_co_u32 v15, vcc_lo, v6, v15
	v_add_co_ci_u32_e32 v16, vcc_lo, v12, v16, vcc_lo
	v_lshlrev_b64 v[20:21], 1, v[13:14]
	v_sub_nc_u32_e32 v13, v47, v3
	v_add_co_u32 v18, vcc_lo, v6, v18
	v_add_co_ci_u32_e32 v19, vcc_lo, v12, v19, vcc_lo
	global_store_b16 v[15:16], v56, off
	v_lshlrev_b64 v[15:16], 1, v[13:14]
	v_sub_nc_u32_e32 v13, v35, v3
	global_store_b16 v[18:19], v52, off
	v_add_co_u32 v18, vcc_lo, v6, v20
	v_add_co_ci_u32_e32 v19, vcc_lo, v12, v21, vcc_lo
	v_lshlrev_b64 v[20:21], 1, v[13:14]
	v_sub_nc_u32_e32 v13, v33, v3
	v_add_co_u32 v15, vcc_lo, v6, v15
	v_add_co_ci_u32_e32 v16, vcc_lo, v12, v16, vcc_lo
	s_delay_alu instid0(VALU_DEP_3) | instskip(SKIP_3) | instid1(VALU_DEP_3)
	v_lshlrev_b64 v[22:23], 1, v[13:14]
	v_sub_nc_u32_e32 v13, v31, v3
	v_add_co_u32 v20, vcc_lo, v6, v20
	v_add_co_ci_u32_e32 v21, vcc_lo, v12, v21, vcc_lo
	v_lshlrev_b64 v[24:25], 1, v[13:14]
	v_sub_nc_u32_e32 v13, v53, v3
	v_add_co_u32 v22, vcc_lo, v6, v22
	v_add_co_ci_u32_e32 v23, vcc_lo, v12, v23, vcc_lo
	s_clause 0x3
	global_store_b16 v[18:19], v50, off
	global_store_b16 v[15:16], v48, off
	;; [unrolled: 1-line block ×4, first 2 shown]
	v_lshlrev_b64 v[15:16], 1, v[13:14]
	v_sub_nc_u32_e32 v13, v57, v3
	v_add_co_u32 v18, vcc_lo, v6, v24
	v_add_co_ci_u32_e32 v19, vcc_lo, v12, v25, vcc_lo
	s_delay_alu instid0(VALU_DEP_3) | instskip(SKIP_3) | instid1(VALU_DEP_3)
	v_lshlrev_b64 v[20:21], 1, v[13:14]
	v_sub_nc_u32_e32 v13, v45, v3
	v_add_co_u32 v15, vcc_lo, v6, v15
	v_add_co_ci_u32_e32 v16, vcc_lo, v12, v16, vcc_lo
	v_lshlrev_b64 v[22:23], 1, v[13:14]
	v_sub_nc_u32_e32 v13, v43, v3
	v_add_co_u32 v20, vcc_lo, v6, v20
	v_add_co_ci_u32_e32 v21, vcc_lo, v12, v21, vcc_lo
	s_delay_alu instid0(VALU_DEP_3)
	v_lshlrev_b64 v[24:25], 1, v[13:14]
	v_sub_nc_u32_e32 v13, v39, v3
	v_add_co_u32 v22, vcc_lo, v6, v22
	v_add_co_ci_u32_e32 v23, vcc_lo, v12, v23, vcc_lo
	s_clause 0x3
	global_store_b16 v[18:19], v32, off
	global_store_b16 v[15:16], v54, off
	;; [unrolled: 1-line block ×4, first 2 shown]
	v_lshlrev_b64 v[15:16], 1, v[13:14]
	v_sub_nc_u32_e32 v13, v41, v3
	v_add_co_u32 v18, vcc_lo, v6, v24
	v_add_co_ci_u32_e32 v19, vcc_lo, v12, v25, vcc_lo
	s_delay_alu instid0(VALU_DEP_3) | instskip(SKIP_3) | instid1(VALU_DEP_3)
	v_lshlrev_b64 v[20:21], 1, v[13:14]
	v_sub_nc_u32_e32 v13, v37, v3
	v_add_co_u32 v15, vcc_lo, v6, v15
	v_add_co_ci_u32_e32 v16, vcc_lo, v12, v16, vcc_lo
	v_lshlrev_b64 v[13:14], 1, v[13:14]
	v_add_co_u32 v20, vcc_lo, v6, v20
	v_add_co_ci_u32_e32 v21, vcc_lo, v12, v21, vcc_lo
	s_clause 0x2
	global_store_b16 v[18:19], v44, off
	global_store_b16 v[15:16], v40, off
	;; [unrolled: 1-line block ×3, first 2 shown]
	v_add_co_u32 v13, vcc_lo, v6, v13
	v_add_co_ci_u32_e32 v14, vcc_lo, v12, v14, vcc_lo
	global_store_b16 v[13:14], v38, off
	s_or_b32 exec_lo, exec_lo, s15
	s_delay_alu instid0(SALU_CYCLE_1)
	s_and_b32 exec_lo, exec_lo, s18
	s_cbranch_execnz .LBB695_194
	s_branch .LBB695_195
.LBB695_304:
	s_and_saveexec_b32 s18, s14
	s_cbranch_execnz .LBB695_360
; %bb.305:
	s_or_b32 exec_lo, exec_lo, s18
	s_and_saveexec_b32 s14, s13
	s_cbranch_execnz .LBB695_361
.LBB695_306:
	s_or_b32 exec_lo, exec_lo, s14
	s_and_saveexec_b32 s13, s12
	s_cbranch_execnz .LBB695_362
.LBB695_307:
	s_or_b32 exec_lo, exec_lo, s13
	s_and_saveexec_b32 s12, s11
	s_cbranch_execnz .LBB695_363
.LBB695_308:
	s_or_b32 exec_lo, exec_lo, s12
	s_and_saveexec_b32 s11, s10
	s_cbranch_execnz .LBB695_364
.LBB695_309:
	s_or_b32 exec_lo, exec_lo, s11
	s_and_saveexec_b32 s10, s9
	s_cbranch_execnz .LBB695_365
.LBB695_310:
	s_or_b32 exec_lo, exec_lo, s10
	s_and_saveexec_b32 s9, s8
	s_cbranch_execnz .LBB695_366
.LBB695_311:
	s_or_b32 exec_lo, exec_lo, s9
	s_and_saveexec_b32 s8, s7
	s_cbranch_execnz .LBB695_367
.LBB695_312:
	s_or_b32 exec_lo, exec_lo, s8
	s_and_saveexec_b32 s7, s6
	s_cbranch_execnz .LBB695_368
.LBB695_313:
	s_or_b32 exec_lo, exec_lo, s7
	s_and_saveexec_b32 s6, s5
	s_cbranch_execnz .LBB695_369
.LBB695_314:
	s_or_b32 exec_lo, exec_lo, s6
	s_and_saveexec_b32 s5, s4
	s_cbranch_execnz .LBB695_370
.LBB695_315:
	s_or_b32 exec_lo, exec_lo, s5
	s_and_saveexec_b32 s4, s3
	s_cbranch_execnz .LBB695_371
.LBB695_316:
	s_or_b32 exec_lo, exec_lo, s4
	s_and_saveexec_b32 s3, s2
	s_cbranch_execnz .LBB695_372
.LBB695_317:
	s_or_b32 exec_lo, exec_lo, s3
	s_and_saveexec_b32 s2, s1
	s_cbranch_execz .LBB695_319
.LBB695_318:
	v_sub_nc_u32_e32 v8, v37, v3
	s_delay_alu instid0(VALU_DEP_1)
	v_lshlrev_b32_e32 v8, 1, v8
	ds_store_b16 v8, v38
.LBB695_319:
	s_or_b32 exec_lo, exec_lo, s2
	s_delay_alu instid0(SALU_CYCLE_1)
	s_and_b32 s18, s0, exec_lo
                                        ; implicit-def: $vgpr55_vgpr56
                                        ; implicit-def: $vgpr51_vgpr52
                                        ; implicit-def: $vgpr49_vgpr50
                                        ; implicit-def: $vgpr47_vgpr48
                                        ; implicit-def: $vgpr35_vgpr36
                                        ; implicit-def: $vgpr33_vgpr34
                                        ; implicit-def: $vgpr31_vgpr32
                                        ; implicit-def: $vgpr53_vgpr54
                                        ; implicit-def: $vgpr57_vgpr58
                                        ; implicit-def: $vgpr45_vgpr46
                                        ; implicit-def: $vgpr43_vgpr44
                                        ; implicit-def: $vgpr39_vgpr40
                                        ; implicit-def: $vgpr41_vgpr42
                                        ; implicit-def: $vgpr37_vgpr38
	s_and_not1_saveexec_b32 s0, s16
	s_cbranch_execz .LBB695_199
.LBB695_320:
	v_sub_nc_u32_e32 v8, v55, v3
	v_sub_nc_u32_e32 v9, v51, v3
	;; [unrolled: 1-line block ×5, first 2 shown]
	v_lshlrev_b32_e32 v8, 1, v8
	v_lshlrev_b32_e32 v9, 1, v9
	;; [unrolled: 1-line block ×4, first 2 shown]
	s_or_b32 s18, s18, exec_lo
	ds_store_b16 v8, v56
	ds_store_b16 v9, v52
	;; [unrolled: 1-line block ×3, first 2 shown]
	v_sub_nc_u32_e32 v8, v35, v3
	v_sub_nc_u32_e32 v9, v33, v3
	;; [unrolled: 1-line block ×3, first 2 shown]
	ds_store_b16 v14, v48
	v_sub_nc_u32_e32 v14, v53, v3
	v_lshlrev_b32_e32 v8, 1, v8
	v_lshlrev_b32_e32 v9, 1, v9
	;; [unrolled: 1-line block ×3, first 2 shown]
	s_delay_alu instid0(VALU_DEP_4)
	v_lshlrev_b32_e32 v14, 1, v14
	ds_store_b16 v8, v36
	v_lshlrev_b32_e32 v8, 1, v15
	ds_store_b16 v9, v34
	ds_store_b16 v13, v32
	ds_store_b16 v14, v54
	v_sub_nc_u32_e32 v9, v45, v3
	v_sub_nc_u32_e32 v15, v37, v3
	;; [unrolled: 1-line block ×3, first 2 shown]
	ds_store_b16 v8, v58
	v_sub_nc_u32_e32 v8, v43, v3
	v_lshlrev_b32_e32 v9, 1, v9
	v_sub_nc_u32_e32 v14, v41, v3
	v_lshlrev_b32_e32 v13, 1, v13
	s_delay_alu instid0(VALU_DEP_4)
	v_lshlrev_b32_e32 v8, 1, v8
	ds_store_b16 v9, v46
	v_lshlrev_b32_e32 v9, 1, v15
	v_lshlrev_b32_e32 v14, 1, v14
	ds_store_b16 v8, v44
	ds_store_b16 v13, v40
	;; [unrolled: 1-line block ×4, first 2 shown]
	s_or_b32 exec_lo, exec_lo, s0
	s_delay_alu instid0(SALU_CYCLE_1)
	s_and_b32 exec_lo, exec_lo, s18
	s_cbranch_execnz .LBB695_200
	s_branch .LBB695_201
.LBB695_321:
	v_sub_nc_u32_e32 v66, v55, v7
	v_mov_b32_e32 v67, 0
	s_delay_alu instid0(VALU_DEP_1) | instskip(NEXT) | instid1(VALU_DEP_1)
	v_lshlrev_b64 v[66:67], 1, v[66:67]
	v_add_co_u32 v66, vcc_lo, v6, v66
	s_delay_alu instid0(VALU_DEP_2)
	v_add_co_ci_u32_e32 v67, vcc_lo, v64, v67, vcc_lo
	global_store_b16 v[66:67], v62, off
	s_or_b32 exec_lo, exec_lo, s19
	s_and_saveexec_b32 s19, s14
	s_cbranch_execz .LBB695_255
.LBB695_322:
	v_sub_nc_u32_e32 v66, v51, v7
	v_mov_b32_e32 v67, 0
	s_delay_alu instid0(VALU_DEP_1) | instskip(NEXT) | instid1(VALU_DEP_1)
	v_lshlrev_b64 v[66:67], 1, v[66:67]
	v_add_co_u32 v66, vcc_lo, v6, v66
	s_delay_alu instid0(VALU_DEP_2)
	v_add_co_ci_u32_e32 v67, vcc_lo, v64, v67, vcc_lo
	global_store_b16 v[66:67], v1, off
	s_or_b32 exec_lo, exec_lo, s19
	s_and_saveexec_b32 s19, s13
	s_cbranch_execz .LBB695_256
.LBB695_323:
	v_sub_nc_u32_e32 v66, v49, v7
	v_mov_b32_e32 v67, 0
	s_delay_alu instid0(VALU_DEP_1) | instskip(NEXT) | instid1(VALU_DEP_1)
	v_lshlrev_b64 v[66:67], 1, v[66:67]
	v_add_co_u32 v66, vcc_lo, v6, v66
	s_delay_alu instid0(VALU_DEP_2)
	v_add_co_ci_u32_e32 v67, vcc_lo, v64, v67, vcc_lo
	global_store_d16_hi_b16 v[66:67], v1, off
	s_or_b32 exec_lo, exec_lo, s19
	s_and_saveexec_b32 s19, s12
	s_cbranch_execz .LBB695_257
.LBB695_324:
	v_sub_nc_u32_e32 v66, v47, v7
	v_mov_b32_e32 v67, 0
	s_delay_alu instid0(VALU_DEP_1) | instskip(NEXT) | instid1(VALU_DEP_1)
	v_lshlrev_b64 v[66:67], 1, v[66:67]
	v_add_co_u32 v66, vcc_lo, v6, v66
	s_delay_alu instid0(VALU_DEP_2)
	v_add_co_ci_u32_e32 v67, vcc_lo, v64, v67, vcc_lo
	global_store_b16 v[66:67], v2, off
	s_or_b32 exec_lo, exec_lo, s19
	s_and_saveexec_b32 s19, s11
	s_cbranch_execz .LBB695_258
.LBB695_325:
	v_sub_nc_u32_e32 v66, v35, v7
	v_mov_b32_e32 v67, 0
	s_delay_alu instid0(VALU_DEP_1) | instskip(NEXT) | instid1(VALU_DEP_1)
	v_lshlrev_b64 v[66:67], 1, v[66:67]
	v_add_co_u32 v66, vcc_lo, v6, v66
	s_delay_alu instid0(VALU_DEP_2)
	v_add_co_ci_u32_e32 v67, vcc_lo, v64, v67, vcc_lo
	global_store_d16_hi_b16 v[66:67], v2, off
	s_or_b32 exec_lo, exec_lo, s19
	s_and_saveexec_b32 s19, s10
	s_cbranch_execz .LBB695_259
.LBB695_326:
	v_sub_nc_u32_e32 v66, v33, v7
	v_mov_b32_e32 v67, 0
	s_delay_alu instid0(VALU_DEP_1) | instskip(NEXT) | instid1(VALU_DEP_1)
	v_lshlrev_b64 v[66:67], 1, v[66:67]
	v_add_co_u32 v66, vcc_lo, v6, v66
	s_delay_alu instid0(VALU_DEP_2)
	v_add_co_ci_u32_e32 v67, vcc_lo, v64, v67, vcc_lo
	global_store_b16 v[66:67], v3, off
	s_or_b32 exec_lo, exec_lo, s19
	s_and_saveexec_b32 s19, s8
	s_cbranch_execz .LBB695_260
.LBB695_327:
	v_sub_nc_u32_e32 v66, v31, v7
	v_mov_b32_e32 v67, 0
	s_delay_alu instid0(VALU_DEP_1) | instskip(NEXT) | instid1(VALU_DEP_1)
	v_lshlrev_b64 v[66:67], 1, v[66:67]
	v_add_co_u32 v66, vcc_lo, v6, v66
	s_delay_alu instid0(VALU_DEP_2)
	v_add_co_ci_u32_e32 v67, vcc_lo, v64, v67, vcc_lo
	global_store_d16_hi_b16 v[66:67], v3, off
	s_or_b32 exec_lo, exec_lo, s19
	s_and_saveexec_b32 s19, s6
	s_cbranch_execz .LBB695_261
.LBB695_328:
	v_sub_nc_u32_e32 v66, v53, v7
	v_mov_b32_e32 v67, 0
	s_delay_alu instid0(VALU_DEP_1) | instskip(NEXT) | instid1(VALU_DEP_1)
	v_lshlrev_b64 v[66:67], 1, v[66:67]
	v_add_co_u32 v66, vcc_lo, v6, v66
	s_delay_alu instid0(VALU_DEP_2)
	v_add_co_ci_u32_e32 v67, vcc_lo, v64, v67, vcc_lo
	global_store_b16 v[66:67], v4, off
	s_or_b32 exec_lo, exec_lo, s19
	s_and_saveexec_b32 s19, s9
	s_cbranch_execz .LBB695_262
.LBB695_329:
	v_sub_nc_u32_e32 v66, v57, v7
	v_mov_b32_e32 v67, 0
	s_delay_alu instid0(VALU_DEP_1) | instskip(NEXT) | instid1(VALU_DEP_1)
	v_lshlrev_b64 v[66:67], 1, v[66:67]
	v_add_co_u32 v66, vcc_lo, v6, v66
	s_delay_alu instid0(VALU_DEP_2)
	v_add_co_ci_u32_e32 v67, vcc_lo, v64, v67, vcc_lo
	global_store_d16_hi_b16 v[66:67], v4, off
	s_or_b32 exec_lo, exec_lo, s19
	s_and_saveexec_b32 s19, s7
	s_cbranch_execz .LBB695_263
.LBB695_330:
	v_sub_nc_u32_e32 v66, v45, v7
	v_mov_b32_e32 v67, 0
	s_delay_alu instid0(VALU_DEP_1) | instskip(NEXT) | instid1(VALU_DEP_1)
	v_lshlrev_b64 v[66:67], 1, v[66:67]
	v_add_co_u32 v66, vcc_lo, v6, v66
	s_delay_alu instid0(VALU_DEP_2)
	v_add_co_ci_u32_e32 v67, vcc_lo, v64, v67, vcc_lo
	global_store_b16 v[66:67], v10, off
	s_or_b32 exec_lo, exec_lo, s19
	s_and_saveexec_b32 s19, s5
	s_cbranch_execz .LBB695_264
.LBB695_331:
	v_sub_nc_u32_e32 v66, v43, v7
	v_mov_b32_e32 v67, 0
	s_delay_alu instid0(VALU_DEP_1) | instskip(NEXT) | instid1(VALU_DEP_1)
	v_lshlrev_b64 v[66:67], 1, v[66:67]
	v_add_co_u32 v66, vcc_lo, v6, v66
	s_delay_alu instid0(VALU_DEP_2)
	v_add_co_ci_u32_e32 v67, vcc_lo, v64, v67, vcc_lo
	global_store_d16_hi_b16 v[66:67], v10, off
	s_or_b32 exec_lo, exec_lo, s19
	s_and_saveexec_b32 s19, s4
	s_cbranch_execz .LBB695_265
.LBB695_332:
	v_sub_nc_u32_e32 v66, v39, v7
	v_mov_b32_e32 v67, 0
	s_delay_alu instid0(VALU_DEP_1) | instskip(NEXT) | instid1(VALU_DEP_1)
	v_lshlrev_b64 v[66:67], 1, v[66:67]
	v_add_co_u32 v66, vcc_lo, v6, v66
	s_delay_alu instid0(VALU_DEP_2)
	v_add_co_ci_u32_e32 v67, vcc_lo, v64, v67, vcc_lo
	global_store_b16 v[66:67], v11, off
	s_or_b32 exec_lo, exec_lo, s19
	s_and_saveexec_b32 s19, s3
	s_cbranch_execz .LBB695_266
.LBB695_333:
	v_sub_nc_u32_e32 v66, v41, v7
	v_mov_b32_e32 v67, 0
	s_delay_alu instid0(VALU_DEP_1) | instskip(NEXT) | instid1(VALU_DEP_1)
	v_lshlrev_b64 v[66:67], 1, v[66:67]
	v_add_co_u32 v66, vcc_lo, v6, v66
	s_delay_alu instid0(VALU_DEP_2)
	v_add_co_ci_u32_e32 v67, vcc_lo, v64, v67, vcc_lo
	global_store_d16_hi_b16 v[66:67], v11, off
	s_or_b32 exec_lo, exec_lo, s19
	s_and_saveexec_b32 s19, s1
	s_cbranch_execnz .LBB695_267
	s_branch .LBB695_268
.LBB695_334:
	v_sub_nc_u32_e32 v65, v55, v7
	s_delay_alu instid0(VALU_DEP_1)
	v_lshlrev_b32_e32 v65, 1, v65
	ds_store_b16 v65, v62
	s_or_b32 exec_lo, exec_lo, s19
	s_and_saveexec_b32 s15, s14
	s_cbranch_execz .LBB695_272
.LBB695_335:
	v_sub_nc_u32_e32 v62, v51, v7
	s_delay_alu instid0(VALU_DEP_1)
	v_lshlrev_b32_e32 v62, 1, v62
	ds_store_b16 v62, v1
	s_or_b32 exec_lo, exec_lo, s15
	s_and_saveexec_b32 s14, s13
	s_cbranch_execz .LBB695_273
.LBB695_336:
	v_sub_nc_u32_e32 v62, v49, v7
	s_delay_alu instid0(VALU_DEP_1)
	v_lshlrev_b32_e32 v62, 1, v62
	ds_store_b16_d16_hi v62, v1
	s_or_b32 exec_lo, exec_lo, s14
	s_and_saveexec_b32 s13, s12
	s_cbranch_execz .LBB695_274
.LBB695_337:
	v_sub_nc_u32_e32 v1, v47, v7
	s_delay_alu instid0(VALU_DEP_1)
	v_lshlrev_b32_e32 v1, 1, v1
	ds_store_b16 v1, v2
	s_or_b32 exec_lo, exec_lo, s13
	s_and_saveexec_b32 s12, s11
	s_cbranch_execz .LBB695_275
.LBB695_338:
	v_sub_nc_u32_e32 v1, v35, v7
	s_delay_alu instid0(VALU_DEP_1)
	v_lshlrev_b32_e32 v1, 1, v1
	ds_store_b16_d16_hi v1, v2
	s_or_b32 exec_lo, exec_lo, s12
	s_and_saveexec_b32 s11, s10
	s_cbranch_execz .LBB695_276
.LBB695_339:
	v_sub_nc_u32_e32 v1, v33, v7
	s_delay_alu instid0(VALU_DEP_1)
	v_lshlrev_b32_e32 v1, 1, v1
	ds_store_b16 v1, v3
	s_or_b32 exec_lo, exec_lo, s11
	s_and_saveexec_b32 s10, s8
	s_cbranch_execz .LBB695_277
.LBB695_340:
	v_sub_nc_u32_e32 v1, v31, v7
	s_delay_alu instid0(VALU_DEP_1)
	v_lshlrev_b32_e32 v1, 1, v1
	ds_store_b16_d16_hi v1, v3
	s_or_b32 exec_lo, exec_lo, s10
	s_and_saveexec_b32 s8, s6
	s_cbranch_execz .LBB695_278
.LBB695_341:
	v_sub_nc_u32_e32 v1, v53, v7
	s_delay_alu instid0(VALU_DEP_1)
	v_lshlrev_b32_e32 v1, 1, v1
	ds_store_b16 v1, v4
	s_or_b32 exec_lo, exec_lo, s8
	s_and_saveexec_b32 s6, s9
	s_cbranch_execz .LBB695_279
.LBB695_342:
	v_sub_nc_u32_e32 v1, v57, v7
	s_delay_alu instid0(VALU_DEP_1)
	v_lshlrev_b32_e32 v1, 1, v1
	ds_store_b16_d16_hi v1, v4
	s_or_b32 exec_lo, exec_lo, s6
	s_and_saveexec_b32 s6, s7
	s_cbranch_execz .LBB695_280
.LBB695_343:
	v_sub_nc_u32_e32 v1, v45, v7
	s_delay_alu instid0(VALU_DEP_1)
	v_lshlrev_b32_e32 v1, 1, v1
	ds_store_b16 v1, v10
	s_or_b32 exec_lo, exec_lo, s6
	s_and_saveexec_b32 s6, s5
	s_cbranch_execz .LBB695_281
.LBB695_344:
	v_sub_nc_u32_e32 v1, v43, v7
	s_delay_alu instid0(VALU_DEP_1)
	v_lshlrev_b32_e32 v1, 1, v1
	ds_store_b16_d16_hi v1, v10
	s_or_b32 exec_lo, exec_lo, s6
	s_and_saveexec_b32 s5, s4
	s_cbranch_execz .LBB695_282
.LBB695_345:
	v_sub_nc_u32_e32 v1, v39, v7
	s_delay_alu instid0(VALU_DEP_1)
	v_lshlrev_b32_e32 v1, 1, v1
	ds_store_b16 v1, v11
	s_or_b32 exec_lo, exec_lo, s5
	s_and_saveexec_b32 s4, s3
	s_cbranch_execz .LBB695_283
.LBB695_346:
	v_sub_nc_u32_e32 v1, v41, v7
	s_delay_alu instid0(VALU_DEP_1)
	v_lshlrev_b32_e32 v1, 1, v1
	ds_store_b16_d16_hi v1, v11
	s_or_b32 exec_lo, exec_lo, s4
	s_and_saveexec_b32 s3, s1
	s_cbranch_execnz .LBB695_284
	s_branch .LBB695_285
.LBB695_347:
	v_sub_nc_u32_e32 v13, v55, v3
	v_mov_b32_e32 v14, 0
	s_delay_alu instid0(VALU_DEP_1) | instskip(NEXT) | instid1(VALU_DEP_1)
	v_lshlrev_b64 v[13:14], 1, v[13:14]
	v_add_co_u32 v13, vcc_lo, v6, v13
	s_delay_alu instid0(VALU_DEP_2)
	v_add_co_ci_u32_e32 v14, vcc_lo, v12, v14, vcc_lo
	global_store_b16 v[13:14], v56, off
	s_or_b32 exec_lo, exec_lo, s18
	s_and_saveexec_b32 s18, s13
	s_cbranch_execz .LBB695_289
.LBB695_348:
	v_sub_nc_u32_e32 v13, v51, v3
	v_mov_b32_e32 v14, 0
	s_delay_alu instid0(VALU_DEP_1) | instskip(NEXT) | instid1(VALU_DEP_1)
	v_lshlrev_b64 v[13:14], 1, v[13:14]
	v_add_co_u32 v13, vcc_lo, v6, v13
	s_delay_alu instid0(VALU_DEP_2)
	v_add_co_ci_u32_e32 v14, vcc_lo, v12, v14, vcc_lo
	global_store_b16 v[13:14], v52, off
	s_or_b32 exec_lo, exec_lo, s18
	s_and_saveexec_b32 s18, s12
	s_cbranch_execz .LBB695_290
.LBB695_349:
	v_sub_nc_u32_e32 v13, v49, v3
	v_mov_b32_e32 v14, 0
	s_delay_alu instid0(VALU_DEP_1) | instskip(NEXT) | instid1(VALU_DEP_1)
	v_lshlrev_b64 v[13:14], 1, v[13:14]
	v_add_co_u32 v13, vcc_lo, v6, v13
	s_delay_alu instid0(VALU_DEP_2)
	v_add_co_ci_u32_e32 v14, vcc_lo, v12, v14, vcc_lo
	global_store_b16 v[13:14], v50, off
	s_or_b32 exec_lo, exec_lo, s18
	s_and_saveexec_b32 s18, s11
	s_cbranch_execz .LBB695_291
.LBB695_350:
	v_sub_nc_u32_e32 v13, v47, v3
	v_mov_b32_e32 v14, 0
	s_delay_alu instid0(VALU_DEP_1) | instskip(NEXT) | instid1(VALU_DEP_1)
	v_lshlrev_b64 v[13:14], 1, v[13:14]
	v_add_co_u32 v13, vcc_lo, v6, v13
	s_delay_alu instid0(VALU_DEP_2)
	v_add_co_ci_u32_e32 v14, vcc_lo, v12, v14, vcc_lo
	global_store_b16 v[13:14], v48, off
	s_or_b32 exec_lo, exec_lo, s18
	s_and_saveexec_b32 s18, s10
	s_cbranch_execz .LBB695_292
.LBB695_351:
	v_sub_nc_u32_e32 v13, v35, v3
	v_mov_b32_e32 v14, 0
	s_delay_alu instid0(VALU_DEP_1) | instskip(NEXT) | instid1(VALU_DEP_1)
	v_lshlrev_b64 v[13:14], 1, v[13:14]
	v_add_co_u32 v13, vcc_lo, v6, v13
	s_delay_alu instid0(VALU_DEP_2)
	v_add_co_ci_u32_e32 v14, vcc_lo, v12, v14, vcc_lo
	global_store_b16 v[13:14], v36, off
	s_or_b32 exec_lo, exec_lo, s18
	s_and_saveexec_b32 s18, s9
	s_cbranch_execz .LBB695_293
.LBB695_352:
	v_sub_nc_u32_e32 v13, v33, v3
	v_mov_b32_e32 v14, 0
	s_delay_alu instid0(VALU_DEP_1) | instskip(NEXT) | instid1(VALU_DEP_1)
	v_lshlrev_b64 v[13:14], 1, v[13:14]
	v_add_co_u32 v13, vcc_lo, v6, v13
	s_delay_alu instid0(VALU_DEP_2)
	v_add_co_ci_u32_e32 v14, vcc_lo, v12, v14, vcc_lo
	global_store_b16 v[13:14], v34, off
	s_or_b32 exec_lo, exec_lo, s18
	s_and_saveexec_b32 s18, s8
	s_cbranch_execz .LBB695_294
.LBB695_353:
	v_sub_nc_u32_e32 v13, v31, v3
	v_mov_b32_e32 v14, 0
	s_delay_alu instid0(VALU_DEP_1) | instskip(NEXT) | instid1(VALU_DEP_1)
	v_lshlrev_b64 v[13:14], 1, v[13:14]
	v_add_co_u32 v13, vcc_lo, v6, v13
	s_delay_alu instid0(VALU_DEP_2)
	v_add_co_ci_u32_e32 v14, vcc_lo, v12, v14, vcc_lo
	global_store_b16 v[13:14], v32, off
	s_or_b32 exec_lo, exec_lo, s18
	s_and_saveexec_b32 s18, s7
	s_cbranch_execz .LBB695_295
.LBB695_354:
	v_sub_nc_u32_e32 v13, v53, v3
	v_mov_b32_e32 v14, 0
	s_delay_alu instid0(VALU_DEP_1) | instskip(NEXT) | instid1(VALU_DEP_1)
	v_lshlrev_b64 v[13:14], 1, v[13:14]
	v_add_co_u32 v13, vcc_lo, v6, v13
	s_delay_alu instid0(VALU_DEP_2)
	v_add_co_ci_u32_e32 v14, vcc_lo, v12, v14, vcc_lo
	global_store_b16 v[13:14], v54, off
	s_or_b32 exec_lo, exec_lo, s18
	s_and_saveexec_b32 s18, s6
	s_cbranch_execz .LBB695_296
.LBB695_355:
	v_sub_nc_u32_e32 v13, v57, v3
	v_mov_b32_e32 v14, 0
	s_delay_alu instid0(VALU_DEP_1) | instskip(NEXT) | instid1(VALU_DEP_1)
	v_lshlrev_b64 v[13:14], 1, v[13:14]
	v_add_co_u32 v13, vcc_lo, v6, v13
	s_delay_alu instid0(VALU_DEP_2)
	v_add_co_ci_u32_e32 v14, vcc_lo, v12, v14, vcc_lo
	global_store_b16 v[13:14], v58, off
	s_or_b32 exec_lo, exec_lo, s18
	s_and_saveexec_b32 s18, s5
	s_cbranch_execz .LBB695_297
.LBB695_356:
	v_sub_nc_u32_e32 v13, v45, v3
	v_mov_b32_e32 v14, 0
	s_delay_alu instid0(VALU_DEP_1) | instskip(NEXT) | instid1(VALU_DEP_1)
	v_lshlrev_b64 v[13:14], 1, v[13:14]
	v_add_co_u32 v13, vcc_lo, v6, v13
	s_delay_alu instid0(VALU_DEP_2)
	v_add_co_ci_u32_e32 v14, vcc_lo, v12, v14, vcc_lo
	global_store_b16 v[13:14], v46, off
	s_or_b32 exec_lo, exec_lo, s18
	s_and_saveexec_b32 s18, s4
	s_cbranch_execz .LBB695_298
.LBB695_357:
	v_sub_nc_u32_e32 v13, v43, v3
	v_mov_b32_e32 v14, 0
	s_delay_alu instid0(VALU_DEP_1) | instskip(NEXT) | instid1(VALU_DEP_1)
	v_lshlrev_b64 v[13:14], 1, v[13:14]
	v_add_co_u32 v13, vcc_lo, v6, v13
	s_delay_alu instid0(VALU_DEP_2)
	v_add_co_ci_u32_e32 v14, vcc_lo, v12, v14, vcc_lo
	global_store_b16 v[13:14], v44, off
	s_or_b32 exec_lo, exec_lo, s18
	s_and_saveexec_b32 s18, s3
	s_cbranch_execz .LBB695_299
.LBB695_358:
	v_sub_nc_u32_e32 v13, v39, v3
	v_mov_b32_e32 v14, 0
	s_delay_alu instid0(VALU_DEP_1) | instskip(NEXT) | instid1(VALU_DEP_1)
	v_lshlrev_b64 v[13:14], 1, v[13:14]
	v_add_co_u32 v13, vcc_lo, v6, v13
	s_delay_alu instid0(VALU_DEP_2)
	v_add_co_ci_u32_e32 v14, vcc_lo, v12, v14, vcc_lo
	global_store_b16 v[13:14], v40, off
	s_or_b32 exec_lo, exec_lo, s18
	s_and_saveexec_b32 s18, s2
	s_cbranch_execz .LBB695_300
.LBB695_359:
	v_sub_nc_u32_e32 v13, v41, v3
	v_mov_b32_e32 v14, 0
	s_delay_alu instid0(VALU_DEP_1) | instskip(NEXT) | instid1(VALU_DEP_1)
	v_lshlrev_b64 v[13:14], 1, v[13:14]
	v_add_co_u32 v13, vcc_lo, v6, v13
	s_delay_alu instid0(VALU_DEP_2)
	v_add_co_ci_u32_e32 v14, vcc_lo, v12, v14, vcc_lo
	global_store_b16 v[13:14], v42, off
	s_or_b32 exec_lo, exec_lo, s18
	s_and_saveexec_b32 s18, s1
	s_cbranch_execnz .LBB695_301
	s_branch .LBB695_302
.LBB695_360:
	v_sub_nc_u32_e32 v8, v55, v3
	s_delay_alu instid0(VALU_DEP_1)
	v_lshlrev_b32_e32 v8, 1, v8
	ds_store_b16 v8, v56
	s_or_b32 exec_lo, exec_lo, s18
	s_and_saveexec_b32 s14, s13
	s_cbranch_execz .LBB695_306
.LBB695_361:
	v_sub_nc_u32_e32 v8, v51, v3
	s_delay_alu instid0(VALU_DEP_1)
	v_lshlrev_b32_e32 v8, 1, v8
	ds_store_b16 v8, v52
	s_or_b32 exec_lo, exec_lo, s14
	s_and_saveexec_b32 s13, s12
	s_cbranch_execz .LBB695_307
.LBB695_362:
	v_sub_nc_u32_e32 v8, v49, v3
	s_delay_alu instid0(VALU_DEP_1)
	v_lshlrev_b32_e32 v8, 1, v8
	ds_store_b16 v8, v50
	s_or_b32 exec_lo, exec_lo, s13
	s_and_saveexec_b32 s12, s11
	s_cbranch_execz .LBB695_308
.LBB695_363:
	v_sub_nc_u32_e32 v8, v47, v3
	s_delay_alu instid0(VALU_DEP_1)
	v_lshlrev_b32_e32 v8, 1, v8
	ds_store_b16 v8, v48
	s_or_b32 exec_lo, exec_lo, s12
	s_and_saveexec_b32 s11, s10
	s_cbranch_execz .LBB695_309
.LBB695_364:
	v_sub_nc_u32_e32 v8, v35, v3
	s_delay_alu instid0(VALU_DEP_1)
	v_lshlrev_b32_e32 v8, 1, v8
	ds_store_b16 v8, v36
	s_or_b32 exec_lo, exec_lo, s11
	s_and_saveexec_b32 s10, s9
	s_cbranch_execz .LBB695_310
.LBB695_365:
	v_sub_nc_u32_e32 v8, v33, v3
	s_delay_alu instid0(VALU_DEP_1)
	v_lshlrev_b32_e32 v8, 1, v8
	ds_store_b16 v8, v34
	s_or_b32 exec_lo, exec_lo, s10
	s_and_saveexec_b32 s9, s8
	s_cbranch_execz .LBB695_311
.LBB695_366:
	v_sub_nc_u32_e32 v8, v31, v3
	s_delay_alu instid0(VALU_DEP_1)
	v_lshlrev_b32_e32 v8, 1, v8
	ds_store_b16 v8, v32
	s_or_b32 exec_lo, exec_lo, s9
	s_and_saveexec_b32 s8, s7
	s_cbranch_execz .LBB695_312
.LBB695_367:
	v_sub_nc_u32_e32 v8, v53, v3
	s_delay_alu instid0(VALU_DEP_1)
	v_lshlrev_b32_e32 v8, 1, v8
	ds_store_b16 v8, v54
	s_or_b32 exec_lo, exec_lo, s8
	s_and_saveexec_b32 s7, s6
	s_cbranch_execz .LBB695_313
.LBB695_368:
	v_sub_nc_u32_e32 v8, v57, v3
	s_delay_alu instid0(VALU_DEP_1)
	v_lshlrev_b32_e32 v8, 1, v8
	ds_store_b16 v8, v58
	s_or_b32 exec_lo, exec_lo, s7
	s_and_saveexec_b32 s6, s5
	s_cbranch_execz .LBB695_314
.LBB695_369:
	v_sub_nc_u32_e32 v8, v45, v3
	s_delay_alu instid0(VALU_DEP_1)
	v_lshlrev_b32_e32 v8, 1, v8
	ds_store_b16 v8, v46
	s_or_b32 exec_lo, exec_lo, s6
	s_and_saveexec_b32 s5, s4
	s_cbranch_execz .LBB695_315
.LBB695_370:
	v_sub_nc_u32_e32 v8, v43, v3
	s_delay_alu instid0(VALU_DEP_1)
	v_lshlrev_b32_e32 v8, 1, v8
	ds_store_b16 v8, v44
	s_or_b32 exec_lo, exec_lo, s5
	s_and_saveexec_b32 s4, s3
	s_cbranch_execz .LBB695_316
.LBB695_371:
	v_sub_nc_u32_e32 v8, v39, v3
	s_delay_alu instid0(VALU_DEP_1)
	v_lshlrev_b32_e32 v8, 1, v8
	ds_store_b16 v8, v40
	s_or_b32 exec_lo, exec_lo, s4
	s_and_saveexec_b32 s3, s2
	s_cbranch_execz .LBB695_317
.LBB695_372:
	v_sub_nc_u32_e32 v8, v41, v3
	s_delay_alu instid0(VALU_DEP_1)
	v_lshlrev_b32_e32 v8, 1, v8
	ds_store_b16 v8, v42
	s_or_b32 exec_lo, exec_lo, s3
	s_and_saveexec_b32 s2, s1
	s_cbranch_execnz .LBB695_318
	s_branch .LBB695_319
	.section	.rodata,"a",@progbits
	.p2align	6, 0x0
	.amdhsa_kernel _ZN7rocprim17ROCPRIM_400000_NS6detail17trampoline_kernelINS0_14default_configENS1_29reduce_by_key_config_selectorIssN6thrust23THRUST_200600_302600_NS4plusIsEEEEZZNS1_33reduce_by_key_impl_wrapped_configILNS1_25lookback_scan_determinismE0ES3_S9_NS6_6detail15normal_iteratorINS6_10device_ptrIsEEEESG_SG_SG_PmS8_22is_equal_div_10_reduceIsEEE10hipError_tPvRmT2_T3_mT4_T5_T6_T7_T8_P12ihipStream_tbENKUlT_T0_E_clISt17integral_constantIbLb0EES10_IbLb1EEEEDaSW_SX_EUlSW_E_NS1_11comp_targetILNS1_3genE9ELNS1_11target_archE1100ELNS1_3gpuE3ELNS1_3repE0EEENS1_30default_config_static_selectorELNS0_4arch9wavefront6targetE0EEEvT1_
		.amdhsa_group_segment_fixed_size 7680
		.amdhsa_private_segment_fixed_size 0
		.amdhsa_kernarg_size 120
		.amdhsa_user_sgpr_count 15
		.amdhsa_user_sgpr_dispatch_ptr 0
		.amdhsa_user_sgpr_queue_ptr 0
		.amdhsa_user_sgpr_kernarg_segment_ptr 1
		.amdhsa_user_sgpr_dispatch_id 0
		.amdhsa_user_sgpr_private_segment_size 0
		.amdhsa_wavefront_size32 1
		.amdhsa_uses_dynamic_stack 0
		.amdhsa_enable_private_segment 0
		.amdhsa_system_sgpr_workgroup_id_x 1
		.amdhsa_system_sgpr_workgroup_id_y 0
		.amdhsa_system_sgpr_workgroup_id_z 0
		.amdhsa_system_sgpr_workgroup_info 0
		.amdhsa_system_vgpr_workitem_id 0
		.amdhsa_next_free_vgpr 102
		.amdhsa_next_free_sgpr 44
		.amdhsa_reserve_vcc 1
		.amdhsa_float_round_mode_32 0
		.amdhsa_float_round_mode_16_64 0
		.amdhsa_float_denorm_mode_32 3
		.amdhsa_float_denorm_mode_16_64 3
		.amdhsa_dx10_clamp 1
		.amdhsa_ieee_mode 1
		.amdhsa_fp16_overflow 0
		.amdhsa_workgroup_processor_mode 1
		.amdhsa_memory_ordered 1
		.amdhsa_forward_progress 0
		.amdhsa_shared_vgpr_count 0
		.amdhsa_exception_fp_ieee_invalid_op 0
		.amdhsa_exception_fp_denorm_src 0
		.amdhsa_exception_fp_ieee_div_zero 0
		.amdhsa_exception_fp_ieee_overflow 0
		.amdhsa_exception_fp_ieee_underflow 0
		.amdhsa_exception_fp_ieee_inexact 0
		.amdhsa_exception_int_div_zero 0
	.end_amdhsa_kernel
	.section	.text._ZN7rocprim17ROCPRIM_400000_NS6detail17trampoline_kernelINS0_14default_configENS1_29reduce_by_key_config_selectorIssN6thrust23THRUST_200600_302600_NS4plusIsEEEEZZNS1_33reduce_by_key_impl_wrapped_configILNS1_25lookback_scan_determinismE0ES3_S9_NS6_6detail15normal_iteratorINS6_10device_ptrIsEEEESG_SG_SG_PmS8_22is_equal_div_10_reduceIsEEE10hipError_tPvRmT2_T3_mT4_T5_T6_T7_T8_P12ihipStream_tbENKUlT_T0_E_clISt17integral_constantIbLb0EES10_IbLb1EEEEDaSW_SX_EUlSW_E_NS1_11comp_targetILNS1_3genE9ELNS1_11target_archE1100ELNS1_3gpuE3ELNS1_3repE0EEENS1_30default_config_static_selectorELNS0_4arch9wavefront6targetE0EEEvT1_,"axG",@progbits,_ZN7rocprim17ROCPRIM_400000_NS6detail17trampoline_kernelINS0_14default_configENS1_29reduce_by_key_config_selectorIssN6thrust23THRUST_200600_302600_NS4plusIsEEEEZZNS1_33reduce_by_key_impl_wrapped_configILNS1_25lookback_scan_determinismE0ES3_S9_NS6_6detail15normal_iteratorINS6_10device_ptrIsEEEESG_SG_SG_PmS8_22is_equal_div_10_reduceIsEEE10hipError_tPvRmT2_T3_mT4_T5_T6_T7_T8_P12ihipStream_tbENKUlT_T0_E_clISt17integral_constantIbLb0EES10_IbLb1EEEEDaSW_SX_EUlSW_E_NS1_11comp_targetILNS1_3genE9ELNS1_11target_archE1100ELNS1_3gpuE3ELNS1_3repE0EEENS1_30default_config_static_selectorELNS0_4arch9wavefront6targetE0EEEvT1_,comdat
.Lfunc_end695:
	.size	_ZN7rocprim17ROCPRIM_400000_NS6detail17trampoline_kernelINS0_14default_configENS1_29reduce_by_key_config_selectorIssN6thrust23THRUST_200600_302600_NS4plusIsEEEEZZNS1_33reduce_by_key_impl_wrapped_configILNS1_25lookback_scan_determinismE0ES3_S9_NS6_6detail15normal_iteratorINS6_10device_ptrIsEEEESG_SG_SG_PmS8_22is_equal_div_10_reduceIsEEE10hipError_tPvRmT2_T3_mT4_T5_T6_T7_T8_P12ihipStream_tbENKUlT_T0_E_clISt17integral_constantIbLb0EES10_IbLb1EEEEDaSW_SX_EUlSW_E_NS1_11comp_targetILNS1_3genE9ELNS1_11target_archE1100ELNS1_3gpuE3ELNS1_3repE0EEENS1_30default_config_static_selectorELNS0_4arch9wavefront6targetE0EEEvT1_, .Lfunc_end695-_ZN7rocprim17ROCPRIM_400000_NS6detail17trampoline_kernelINS0_14default_configENS1_29reduce_by_key_config_selectorIssN6thrust23THRUST_200600_302600_NS4plusIsEEEEZZNS1_33reduce_by_key_impl_wrapped_configILNS1_25lookback_scan_determinismE0ES3_S9_NS6_6detail15normal_iteratorINS6_10device_ptrIsEEEESG_SG_SG_PmS8_22is_equal_div_10_reduceIsEEE10hipError_tPvRmT2_T3_mT4_T5_T6_T7_T8_P12ihipStream_tbENKUlT_T0_E_clISt17integral_constantIbLb0EES10_IbLb1EEEEDaSW_SX_EUlSW_E_NS1_11comp_targetILNS1_3genE9ELNS1_11target_archE1100ELNS1_3gpuE3ELNS1_3repE0EEENS1_30default_config_static_selectorELNS0_4arch9wavefront6targetE0EEEvT1_
                                        ; -- End function
	.section	.AMDGPU.csdata,"",@progbits
; Kernel info:
; codeLenInByte = 24620
; NumSgprs: 46
; NumVgprs: 102
; ScratchSize: 0
; MemoryBound: 0
; FloatMode: 240
; IeeeMode: 1
; LDSByteSize: 7680 bytes/workgroup (compile time only)
; SGPRBlocks: 5
; VGPRBlocks: 12
; NumSGPRsForWavesPerEU: 46
; NumVGPRsForWavesPerEU: 102
; Occupancy: 12
; WaveLimiterHint : 1
; COMPUTE_PGM_RSRC2:SCRATCH_EN: 0
; COMPUTE_PGM_RSRC2:USER_SGPR: 15
; COMPUTE_PGM_RSRC2:TRAP_HANDLER: 0
; COMPUTE_PGM_RSRC2:TGID_X_EN: 1
; COMPUTE_PGM_RSRC2:TGID_Y_EN: 0
; COMPUTE_PGM_RSRC2:TGID_Z_EN: 0
; COMPUTE_PGM_RSRC2:TIDIG_COMP_CNT: 0
	.section	.text._ZN7rocprim17ROCPRIM_400000_NS6detail17trampoline_kernelINS0_14default_configENS1_29reduce_by_key_config_selectorIssN6thrust23THRUST_200600_302600_NS4plusIsEEEEZZNS1_33reduce_by_key_impl_wrapped_configILNS1_25lookback_scan_determinismE0ES3_S9_NS6_6detail15normal_iteratorINS6_10device_ptrIsEEEESG_SG_SG_PmS8_22is_equal_div_10_reduceIsEEE10hipError_tPvRmT2_T3_mT4_T5_T6_T7_T8_P12ihipStream_tbENKUlT_T0_E_clISt17integral_constantIbLb0EES10_IbLb1EEEEDaSW_SX_EUlSW_E_NS1_11comp_targetILNS1_3genE8ELNS1_11target_archE1030ELNS1_3gpuE2ELNS1_3repE0EEENS1_30default_config_static_selectorELNS0_4arch9wavefront6targetE0EEEvT1_,"axG",@progbits,_ZN7rocprim17ROCPRIM_400000_NS6detail17trampoline_kernelINS0_14default_configENS1_29reduce_by_key_config_selectorIssN6thrust23THRUST_200600_302600_NS4plusIsEEEEZZNS1_33reduce_by_key_impl_wrapped_configILNS1_25lookback_scan_determinismE0ES3_S9_NS6_6detail15normal_iteratorINS6_10device_ptrIsEEEESG_SG_SG_PmS8_22is_equal_div_10_reduceIsEEE10hipError_tPvRmT2_T3_mT4_T5_T6_T7_T8_P12ihipStream_tbENKUlT_T0_E_clISt17integral_constantIbLb0EES10_IbLb1EEEEDaSW_SX_EUlSW_E_NS1_11comp_targetILNS1_3genE8ELNS1_11target_archE1030ELNS1_3gpuE2ELNS1_3repE0EEENS1_30default_config_static_selectorELNS0_4arch9wavefront6targetE0EEEvT1_,comdat
	.protected	_ZN7rocprim17ROCPRIM_400000_NS6detail17trampoline_kernelINS0_14default_configENS1_29reduce_by_key_config_selectorIssN6thrust23THRUST_200600_302600_NS4plusIsEEEEZZNS1_33reduce_by_key_impl_wrapped_configILNS1_25lookback_scan_determinismE0ES3_S9_NS6_6detail15normal_iteratorINS6_10device_ptrIsEEEESG_SG_SG_PmS8_22is_equal_div_10_reduceIsEEE10hipError_tPvRmT2_T3_mT4_T5_T6_T7_T8_P12ihipStream_tbENKUlT_T0_E_clISt17integral_constantIbLb0EES10_IbLb1EEEEDaSW_SX_EUlSW_E_NS1_11comp_targetILNS1_3genE8ELNS1_11target_archE1030ELNS1_3gpuE2ELNS1_3repE0EEENS1_30default_config_static_selectorELNS0_4arch9wavefront6targetE0EEEvT1_ ; -- Begin function _ZN7rocprim17ROCPRIM_400000_NS6detail17trampoline_kernelINS0_14default_configENS1_29reduce_by_key_config_selectorIssN6thrust23THRUST_200600_302600_NS4plusIsEEEEZZNS1_33reduce_by_key_impl_wrapped_configILNS1_25lookback_scan_determinismE0ES3_S9_NS6_6detail15normal_iteratorINS6_10device_ptrIsEEEESG_SG_SG_PmS8_22is_equal_div_10_reduceIsEEE10hipError_tPvRmT2_T3_mT4_T5_T6_T7_T8_P12ihipStream_tbENKUlT_T0_E_clISt17integral_constantIbLb0EES10_IbLb1EEEEDaSW_SX_EUlSW_E_NS1_11comp_targetILNS1_3genE8ELNS1_11target_archE1030ELNS1_3gpuE2ELNS1_3repE0EEENS1_30default_config_static_selectorELNS0_4arch9wavefront6targetE0EEEvT1_
	.globl	_ZN7rocprim17ROCPRIM_400000_NS6detail17trampoline_kernelINS0_14default_configENS1_29reduce_by_key_config_selectorIssN6thrust23THRUST_200600_302600_NS4plusIsEEEEZZNS1_33reduce_by_key_impl_wrapped_configILNS1_25lookback_scan_determinismE0ES3_S9_NS6_6detail15normal_iteratorINS6_10device_ptrIsEEEESG_SG_SG_PmS8_22is_equal_div_10_reduceIsEEE10hipError_tPvRmT2_T3_mT4_T5_T6_T7_T8_P12ihipStream_tbENKUlT_T0_E_clISt17integral_constantIbLb0EES10_IbLb1EEEEDaSW_SX_EUlSW_E_NS1_11comp_targetILNS1_3genE8ELNS1_11target_archE1030ELNS1_3gpuE2ELNS1_3repE0EEENS1_30default_config_static_selectorELNS0_4arch9wavefront6targetE0EEEvT1_
	.p2align	8
	.type	_ZN7rocprim17ROCPRIM_400000_NS6detail17trampoline_kernelINS0_14default_configENS1_29reduce_by_key_config_selectorIssN6thrust23THRUST_200600_302600_NS4plusIsEEEEZZNS1_33reduce_by_key_impl_wrapped_configILNS1_25lookback_scan_determinismE0ES3_S9_NS6_6detail15normal_iteratorINS6_10device_ptrIsEEEESG_SG_SG_PmS8_22is_equal_div_10_reduceIsEEE10hipError_tPvRmT2_T3_mT4_T5_T6_T7_T8_P12ihipStream_tbENKUlT_T0_E_clISt17integral_constantIbLb0EES10_IbLb1EEEEDaSW_SX_EUlSW_E_NS1_11comp_targetILNS1_3genE8ELNS1_11target_archE1030ELNS1_3gpuE2ELNS1_3repE0EEENS1_30default_config_static_selectorELNS0_4arch9wavefront6targetE0EEEvT1_,@function
_ZN7rocprim17ROCPRIM_400000_NS6detail17trampoline_kernelINS0_14default_configENS1_29reduce_by_key_config_selectorIssN6thrust23THRUST_200600_302600_NS4plusIsEEEEZZNS1_33reduce_by_key_impl_wrapped_configILNS1_25lookback_scan_determinismE0ES3_S9_NS6_6detail15normal_iteratorINS6_10device_ptrIsEEEESG_SG_SG_PmS8_22is_equal_div_10_reduceIsEEE10hipError_tPvRmT2_T3_mT4_T5_T6_T7_T8_P12ihipStream_tbENKUlT_T0_E_clISt17integral_constantIbLb0EES10_IbLb1EEEEDaSW_SX_EUlSW_E_NS1_11comp_targetILNS1_3genE8ELNS1_11target_archE1030ELNS1_3gpuE2ELNS1_3repE0EEENS1_30default_config_static_selectorELNS0_4arch9wavefront6targetE0EEEvT1_: ; @_ZN7rocprim17ROCPRIM_400000_NS6detail17trampoline_kernelINS0_14default_configENS1_29reduce_by_key_config_selectorIssN6thrust23THRUST_200600_302600_NS4plusIsEEEEZZNS1_33reduce_by_key_impl_wrapped_configILNS1_25lookback_scan_determinismE0ES3_S9_NS6_6detail15normal_iteratorINS6_10device_ptrIsEEEESG_SG_SG_PmS8_22is_equal_div_10_reduceIsEEE10hipError_tPvRmT2_T3_mT4_T5_T6_T7_T8_P12ihipStream_tbENKUlT_T0_E_clISt17integral_constantIbLb0EES10_IbLb1EEEEDaSW_SX_EUlSW_E_NS1_11comp_targetILNS1_3genE8ELNS1_11target_archE1030ELNS1_3gpuE2ELNS1_3repE0EEENS1_30default_config_static_selectorELNS0_4arch9wavefront6targetE0EEEvT1_
; %bb.0:
	.section	.rodata,"a",@progbits
	.p2align	6, 0x0
	.amdhsa_kernel _ZN7rocprim17ROCPRIM_400000_NS6detail17trampoline_kernelINS0_14default_configENS1_29reduce_by_key_config_selectorIssN6thrust23THRUST_200600_302600_NS4plusIsEEEEZZNS1_33reduce_by_key_impl_wrapped_configILNS1_25lookback_scan_determinismE0ES3_S9_NS6_6detail15normal_iteratorINS6_10device_ptrIsEEEESG_SG_SG_PmS8_22is_equal_div_10_reduceIsEEE10hipError_tPvRmT2_T3_mT4_T5_T6_T7_T8_P12ihipStream_tbENKUlT_T0_E_clISt17integral_constantIbLb0EES10_IbLb1EEEEDaSW_SX_EUlSW_E_NS1_11comp_targetILNS1_3genE8ELNS1_11target_archE1030ELNS1_3gpuE2ELNS1_3repE0EEENS1_30default_config_static_selectorELNS0_4arch9wavefront6targetE0EEEvT1_
		.amdhsa_group_segment_fixed_size 0
		.amdhsa_private_segment_fixed_size 0
		.amdhsa_kernarg_size 120
		.amdhsa_user_sgpr_count 15
		.amdhsa_user_sgpr_dispatch_ptr 0
		.amdhsa_user_sgpr_queue_ptr 0
		.amdhsa_user_sgpr_kernarg_segment_ptr 1
		.amdhsa_user_sgpr_dispatch_id 0
		.amdhsa_user_sgpr_private_segment_size 0
		.amdhsa_wavefront_size32 1
		.amdhsa_uses_dynamic_stack 0
		.amdhsa_enable_private_segment 0
		.amdhsa_system_sgpr_workgroup_id_x 1
		.amdhsa_system_sgpr_workgroup_id_y 0
		.amdhsa_system_sgpr_workgroup_id_z 0
		.amdhsa_system_sgpr_workgroup_info 0
		.amdhsa_system_vgpr_workitem_id 0
		.amdhsa_next_free_vgpr 1
		.amdhsa_next_free_sgpr 1
		.amdhsa_reserve_vcc 0
		.amdhsa_float_round_mode_32 0
		.amdhsa_float_round_mode_16_64 0
		.amdhsa_float_denorm_mode_32 3
		.amdhsa_float_denorm_mode_16_64 3
		.amdhsa_dx10_clamp 1
		.amdhsa_ieee_mode 1
		.amdhsa_fp16_overflow 0
		.amdhsa_workgroup_processor_mode 1
		.amdhsa_memory_ordered 1
		.amdhsa_forward_progress 0
		.amdhsa_shared_vgpr_count 0
		.amdhsa_exception_fp_ieee_invalid_op 0
		.amdhsa_exception_fp_denorm_src 0
		.amdhsa_exception_fp_ieee_div_zero 0
		.amdhsa_exception_fp_ieee_overflow 0
		.amdhsa_exception_fp_ieee_underflow 0
		.amdhsa_exception_fp_ieee_inexact 0
		.amdhsa_exception_int_div_zero 0
	.end_amdhsa_kernel
	.section	.text._ZN7rocprim17ROCPRIM_400000_NS6detail17trampoline_kernelINS0_14default_configENS1_29reduce_by_key_config_selectorIssN6thrust23THRUST_200600_302600_NS4plusIsEEEEZZNS1_33reduce_by_key_impl_wrapped_configILNS1_25lookback_scan_determinismE0ES3_S9_NS6_6detail15normal_iteratorINS6_10device_ptrIsEEEESG_SG_SG_PmS8_22is_equal_div_10_reduceIsEEE10hipError_tPvRmT2_T3_mT4_T5_T6_T7_T8_P12ihipStream_tbENKUlT_T0_E_clISt17integral_constantIbLb0EES10_IbLb1EEEEDaSW_SX_EUlSW_E_NS1_11comp_targetILNS1_3genE8ELNS1_11target_archE1030ELNS1_3gpuE2ELNS1_3repE0EEENS1_30default_config_static_selectorELNS0_4arch9wavefront6targetE0EEEvT1_,"axG",@progbits,_ZN7rocprim17ROCPRIM_400000_NS6detail17trampoline_kernelINS0_14default_configENS1_29reduce_by_key_config_selectorIssN6thrust23THRUST_200600_302600_NS4plusIsEEEEZZNS1_33reduce_by_key_impl_wrapped_configILNS1_25lookback_scan_determinismE0ES3_S9_NS6_6detail15normal_iteratorINS6_10device_ptrIsEEEESG_SG_SG_PmS8_22is_equal_div_10_reduceIsEEE10hipError_tPvRmT2_T3_mT4_T5_T6_T7_T8_P12ihipStream_tbENKUlT_T0_E_clISt17integral_constantIbLb0EES10_IbLb1EEEEDaSW_SX_EUlSW_E_NS1_11comp_targetILNS1_3genE8ELNS1_11target_archE1030ELNS1_3gpuE2ELNS1_3repE0EEENS1_30default_config_static_selectorELNS0_4arch9wavefront6targetE0EEEvT1_,comdat
.Lfunc_end696:
	.size	_ZN7rocprim17ROCPRIM_400000_NS6detail17trampoline_kernelINS0_14default_configENS1_29reduce_by_key_config_selectorIssN6thrust23THRUST_200600_302600_NS4plusIsEEEEZZNS1_33reduce_by_key_impl_wrapped_configILNS1_25lookback_scan_determinismE0ES3_S9_NS6_6detail15normal_iteratorINS6_10device_ptrIsEEEESG_SG_SG_PmS8_22is_equal_div_10_reduceIsEEE10hipError_tPvRmT2_T3_mT4_T5_T6_T7_T8_P12ihipStream_tbENKUlT_T0_E_clISt17integral_constantIbLb0EES10_IbLb1EEEEDaSW_SX_EUlSW_E_NS1_11comp_targetILNS1_3genE8ELNS1_11target_archE1030ELNS1_3gpuE2ELNS1_3repE0EEENS1_30default_config_static_selectorELNS0_4arch9wavefront6targetE0EEEvT1_, .Lfunc_end696-_ZN7rocprim17ROCPRIM_400000_NS6detail17trampoline_kernelINS0_14default_configENS1_29reduce_by_key_config_selectorIssN6thrust23THRUST_200600_302600_NS4plusIsEEEEZZNS1_33reduce_by_key_impl_wrapped_configILNS1_25lookback_scan_determinismE0ES3_S9_NS6_6detail15normal_iteratorINS6_10device_ptrIsEEEESG_SG_SG_PmS8_22is_equal_div_10_reduceIsEEE10hipError_tPvRmT2_T3_mT4_T5_T6_T7_T8_P12ihipStream_tbENKUlT_T0_E_clISt17integral_constantIbLb0EES10_IbLb1EEEEDaSW_SX_EUlSW_E_NS1_11comp_targetILNS1_3genE8ELNS1_11target_archE1030ELNS1_3gpuE2ELNS1_3repE0EEENS1_30default_config_static_selectorELNS0_4arch9wavefront6targetE0EEEvT1_
                                        ; -- End function
	.section	.AMDGPU.csdata,"",@progbits
; Kernel info:
; codeLenInByte = 0
; NumSgprs: 0
; NumVgprs: 0
; ScratchSize: 0
; MemoryBound: 0
; FloatMode: 240
; IeeeMode: 1
; LDSByteSize: 0 bytes/workgroup (compile time only)
; SGPRBlocks: 0
; VGPRBlocks: 0
; NumSGPRsForWavesPerEU: 1
; NumVGPRsForWavesPerEU: 1
; Occupancy: 16
; WaveLimiterHint : 0
; COMPUTE_PGM_RSRC2:SCRATCH_EN: 0
; COMPUTE_PGM_RSRC2:USER_SGPR: 15
; COMPUTE_PGM_RSRC2:TRAP_HANDLER: 0
; COMPUTE_PGM_RSRC2:TGID_X_EN: 1
; COMPUTE_PGM_RSRC2:TGID_Y_EN: 0
; COMPUTE_PGM_RSRC2:TGID_Z_EN: 0
; COMPUTE_PGM_RSRC2:TIDIG_COMP_CNT: 0
	.section	.text._ZN7rocprim17ROCPRIM_400000_NS6detail17trampoline_kernelINS0_14default_configENS1_29reduce_by_key_config_selectorIyjN6thrust23THRUST_200600_302600_NS4plusIjEEEEZZNS1_33reduce_by_key_impl_wrapped_configILNS1_25lookback_scan_determinismE0ES3_S9_NS6_6detail15normal_iteratorINS6_10device_ptrIyEEEENSD_INSE_IjEEEESG_SI_PmS8_NS6_8equal_toIyEEEE10hipError_tPvRmT2_T3_mT4_T5_T6_T7_T8_P12ihipStream_tbENKUlT_T0_E_clISt17integral_constantIbLb0EES13_EEDaSY_SZ_EUlSY_E_NS1_11comp_targetILNS1_3genE0ELNS1_11target_archE4294967295ELNS1_3gpuE0ELNS1_3repE0EEENS1_30default_config_static_selectorELNS0_4arch9wavefront6targetE0EEEvT1_,"axG",@progbits,_ZN7rocprim17ROCPRIM_400000_NS6detail17trampoline_kernelINS0_14default_configENS1_29reduce_by_key_config_selectorIyjN6thrust23THRUST_200600_302600_NS4plusIjEEEEZZNS1_33reduce_by_key_impl_wrapped_configILNS1_25lookback_scan_determinismE0ES3_S9_NS6_6detail15normal_iteratorINS6_10device_ptrIyEEEENSD_INSE_IjEEEESG_SI_PmS8_NS6_8equal_toIyEEEE10hipError_tPvRmT2_T3_mT4_T5_T6_T7_T8_P12ihipStream_tbENKUlT_T0_E_clISt17integral_constantIbLb0EES13_EEDaSY_SZ_EUlSY_E_NS1_11comp_targetILNS1_3genE0ELNS1_11target_archE4294967295ELNS1_3gpuE0ELNS1_3repE0EEENS1_30default_config_static_selectorELNS0_4arch9wavefront6targetE0EEEvT1_,comdat
	.protected	_ZN7rocprim17ROCPRIM_400000_NS6detail17trampoline_kernelINS0_14default_configENS1_29reduce_by_key_config_selectorIyjN6thrust23THRUST_200600_302600_NS4plusIjEEEEZZNS1_33reduce_by_key_impl_wrapped_configILNS1_25lookback_scan_determinismE0ES3_S9_NS6_6detail15normal_iteratorINS6_10device_ptrIyEEEENSD_INSE_IjEEEESG_SI_PmS8_NS6_8equal_toIyEEEE10hipError_tPvRmT2_T3_mT4_T5_T6_T7_T8_P12ihipStream_tbENKUlT_T0_E_clISt17integral_constantIbLb0EES13_EEDaSY_SZ_EUlSY_E_NS1_11comp_targetILNS1_3genE0ELNS1_11target_archE4294967295ELNS1_3gpuE0ELNS1_3repE0EEENS1_30default_config_static_selectorELNS0_4arch9wavefront6targetE0EEEvT1_ ; -- Begin function _ZN7rocprim17ROCPRIM_400000_NS6detail17trampoline_kernelINS0_14default_configENS1_29reduce_by_key_config_selectorIyjN6thrust23THRUST_200600_302600_NS4plusIjEEEEZZNS1_33reduce_by_key_impl_wrapped_configILNS1_25lookback_scan_determinismE0ES3_S9_NS6_6detail15normal_iteratorINS6_10device_ptrIyEEEENSD_INSE_IjEEEESG_SI_PmS8_NS6_8equal_toIyEEEE10hipError_tPvRmT2_T3_mT4_T5_T6_T7_T8_P12ihipStream_tbENKUlT_T0_E_clISt17integral_constantIbLb0EES13_EEDaSY_SZ_EUlSY_E_NS1_11comp_targetILNS1_3genE0ELNS1_11target_archE4294967295ELNS1_3gpuE0ELNS1_3repE0EEENS1_30default_config_static_selectorELNS0_4arch9wavefront6targetE0EEEvT1_
	.globl	_ZN7rocprim17ROCPRIM_400000_NS6detail17trampoline_kernelINS0_14default_configENS1_29reduce_by_key_config_selectorIyjN6thrust23THRUST_200600_302600_NS4plusIjEEEEZZNS1_33reduce_by_key_impl_wrapped_configILNS1_25lookback_scan_determinismE0ES3_S9_NS6_6detail15normal_iteratorINS6_10device_ptrIyEEEENSD_INSE_IjEEEESG_SI_PmS8_NS6_8equal_toIyEEEE10hipError_tPvRmT2_T3_mT4_T5_T6_T7_T8_P12ihipStream_tbENKUlT_T0_E_clISt17integral_constantIbLb0EES13_EEDaSY_SZ_EUlSY_E_NS1_11comp_targetILNS1_3genE0ELNS1_11target_archE4294967295ELNS1_3gpuE0ELNS1_3repE0EEENS1_30default_config_static_selectorELNS0_4arch9wavefront6targetE0EEEvT1_
	.p2align	8
	.type	_ZN7rocprim17ROCPRIM_400000_NS6detail17trampoline_kernelINS0_14default_configENS1_29reduce_by_key_config_selectorIyjN6thrust23THRUST_200600_302600_NS4plusIjEEEEZZNS1_33reduce_by_key_impl_wrapped_configILNS1_25lookback_scan_determinismE0ES3_S9_NS6_6detail15normal_iteratorINS6_10device_ptrIyEEEENSD_INSE_IjEEEESG_SI_PmS8_NS6_8equal_toIyEEEE10hipError_tPvRmT2_T3_mT4_T5_T6_T7_T8_P12ihipStream_tbENKUlT_T0_E_clISt17integral_constantIbLb0EES13_EEDaSY_SZ_EUlSY_E_NS1_11comp_targetILNS1_3genE0ELNS1_11target_archE4294967295ELNS1_3gpuE0ELNS1_3repE0EEENS1_30default_config_static_selectorELNS0_4arch9wavefront6targetE0EEEvT1_,@function
_ZN7rocprim17ROCPRIM_400000_NS6detail17trampoline_kernelINS0_14default_configENS1_29reduce_by_key_config_selectorIyjN6thrust23THRUST_200600_302600_NS4plusIjEEEEZZNS1_33reduce_by_key_impl_wrapped_configILNS1_25lookback_scan_determinismE0ES3_S9_NS6_6detail15normal_iteratorINS6_10device_ptrIyEEEENSD_INSE_IjEEEESG_SI_PmS8_NS6_8equal_toIyEEEE10hipError_tPvRmT2_T3_mT4_T5_T6_T7_T8_P12ihipStream_tbENKUlT_T0_E_clISt17integral_constantIbLb0EES13_EEDaSY_SZ_EUlSY_E_NS1_11comp_targetILNS1_3genE0ELNS1_11target_archE4294967295ELNS1_3gpuE0ELNS1_3repE0EEENS1_30default_config_static_selectorELNS0_4arch9wavefront6targetE0EEEvT1_: ; @_ZN7rocprim17ROCPRIM_400000_NS6detail17trampoline_kernelINS0_14default_configENS1_29reduce_by_key_config_selectorIyjN6thrust23THRUST_200600_302600_NS4plusIjEEEEZZNS1_33reduce_by_key_impl_wrapped_configILNS1_25lookback_scan_determinismE0ES3_S9_NS6_6detail15normal_iteratorINS6_10device_ptrIyEEEENSD_INSE_IjEEEESG_SI_PmS8_NS6_8equal_toIyEEEE10hipError_tPvRmT2_T3_mT4_T5_T6_T7_T8_P12ihipStream_tbENKUlT_T0_E_clISt17integral_constantIbLb0EES13_EEDaSY_SZ_EUlSY_E_NS1_11comp_targetILNS1_3genE0ELNS1_11target_archE4294967295ELNS1_3gpuE0ELNS1_3repE0EEENS1_30default_config_static_selectorELNS0_4arch9wavefront6targetE0EEEvT1_
; %bb.0:
	.section	.rodata,"a",@progbits
	.p2align	6, 0x0
	.amdhsa_kernel _ZN7rocprim17ROCPRIM_400000_NS6detail17trampoline_kernelINS0_14default_configENS1_29reduce_by_key_config_selectorIyjN6thrust23THRUST_200600_302600_NS4plusIjEEEEZZNS1_33reduce_by_key_impl_wrapped_configILNS1_25lookback_scan_determinismE0ES3_S9_NS6_6detail15normal_iteratorINS6_10device_ptrIyEEEENSD_INSE_IjEEEESG_SI_PmS8_NS6_8equal_toIyEEEE10hipError_tPvRmT2_T3_mT4_T5_T6_T7_T8_P12ihipStream_tbENKUlT_T0_E_clISt17integral_constantIbLb0EES13_EEDaSY_SZ_EUlSY_E_NS1_11comp_targetILNS1_3genE0ELNS1_11target_archE4294967295ELNS1_3gpuE0ELNS1_3repE0EEENS1_30default_config_static_selectorELNS0_4arch9wavefront6targetE0EEEvT1_
		.amdhsa_group_segment_fixed_size 0
		.amdhsa_private_segment_fixed_size 0
		.amdhsa_kernarg_size 120
		.amdhsa_user_sgpr_count 15
		.amdhsa_user_sgpr_dispatch_ptr 0
		.amdhsa_user_sgpr_queue_ptr 0
		.amdhsa_user_sgpr_kernarg_segment_ptr 1
		.amdhsa_user_sgpr_dispatch_id 0
		.amdhsa_user_sgpr_private_segment_size 0
		.amdhsa_wavefront_size32 1
		.amdhsa_uses_dynamic_stack 0
		.amdhsa_enable_private_segment 0
		.amdhsa_system_sgpr_workgroup_id_x 1
		.amdhsa_system_sgpr_workgroup_id_y 0
		.amdhsa_system_sgpr_workgroup_id_z 0
		.amdhsa_system_sgpr_workgroup_info 0
		.amdhsa_system_vgpr_workitem_id 0
		.amdhsa_next_free_vgpr 1
		.amdhsa_next_free_sgpr 1
		.amdhsa_reserve_vcc 0
		.amdhsa_float_round_mode_32 0
		.amdhsa_float_round_mode_16_64 0
		.amdhsa_float_denorm_mode_32 3
		.amdhsa_float_denorm_mode_16_64 3
		.amdhsa_dx10_clamp 1
		.amdhsa_ieee_mode 1
		.amdhsa_fp16_overflow 0
		.amdhsa_workgroup_processor_mode 1
		.amdhsa_memory_ordered 1
		.amdhsa_forward_progress 0
		.amdhsa_shared_vgpr_count 0
		.amdhsa_exception_fp_ieee_invalid_op 0
		.amdhsa_exception_fp_denorm_src 0
		.amdhsa_exception_fp_ieee_div_zero 0
		.amdhsa_exception_fp_ieee_overflow 0
		.amdhsa_exception_fp_ieee_underflow 0
		.amdhsa_exception_fp_ieee_inexact 0
		.amdhsa_exception_int_div_zero 0
	.end_amdhsa_kernel
	.section	.text._ZN7rocprim17ROCPRIM_400000_NS6detail17trampoline_kernelINS0_14default_configENS1_29reduce_by_key_config_selectorIyjN6thrust23THRUST_200600_302600_NS4plusIjEEEEZZNS1_33reduce_by_key_impl_wrapped_configILNS1_25lookback_scan_determinismE0ES3_S9_NS6_6detail15normal_iteratorINS6_10device_ptrIyEEEENSD_INSE_IjEEEESG_SI_PmS8_NS6_8equal_toIyEEEE10hipError_tPvRmT2_T3_mT4_T5_T6_T7_T8_P12ihipStream_tbENKUlT_T0_E_clISt17integral_constantIbLb0EES13_EEDaSY_SZ_EUlSY_E_NS1_11comp_targetILNS1_3genE0ELNS1_11target_archE4294967295ELNS1_3gpuE0ELNS1_3repE0EEENS1_30default_config_static_selectorELNS0_4arch9wavefront6targetE0EEEvT1_,"axG",@progbits,_ZN7rocprim17ROCPRIM_400000_NS6detail17trampoline_kernelINS0_14default_configENS1_29reduce_by_key_config_selectorIyjN6thrust23THRUST_200600_302600_NS4plusIjEEEEZZNS1_33reduce_by_key_impl_wrapped_configILNS1_25lookback_scan_determinismE0ES3_S9_NS6_6detail15normal_iteratorINS6_10device_ptrIyEEEENSD_INSE_IjEEEESG_SI_PmS8_NS6_8equal_toIyEEEE10hipError_tPvRmT2_T3_mT4_T5_T6_T7_T8_P12ihipStream_tbENKUlT_T0_E_clISt17integral_constantIbLb0EES13_EEDaSY_SZ_EUlSY_E_NS1_11comp_targetILNS1_3genE0ELNS1_11target_archE4294967295ELNS1_3gpuE0ELNS1_3repE0EEENS1_30default_config_static_selectorELNS0_4arch9wavefront6targetE0EEEvT1_,comdat
.Lfunc_end697:
	.size	_ZN7rocprim17ROCPRIM_400000_NS6detail17trampoline_kernelINS0_14default_configENS1_29reduce_by_key_config_selectorIyjN6thrust23THRUST_200600_302600_NS4plusIjEEEEZZNS1_33reduce_by_key_impl_wrapped_configILNS1_25lookback_scan_determinismE0ES3_S9_NS6_6detail15normal_iteratorINS6_10device_ptrIyEEEENSD_INSE_IjEEEESG_SI_PmS8_NS6_8equal_toIyEEEE10hipError_tPvRmT2_T3_mT4_T5_T6_T7_T8_P12ihipStream_tbENKUlT_T0_E_clISt17integral_constantIbLb0EES13_EEDaSY_SZ_EUlSY_E_NS1_11comp_targetILNS1_3genE0ELNS1_11target_archE4294967295ELNS1_3gpuE0ELNS1_3repE0EEENS1_30default_config_static_selectorELNS0_4arch9wavefront6targetE0EEEvT1_, .Lfunc_end697-_ZN7rocprim17ROCPRIM_400000_NS6detail17trampoline_kernelINS0_14default_configENS1_29reduce_by_key_config_selectorIyjN6thrust23THRUST_200600_302600_NS4plusIjEEEEZZNS1_33reduce_by_key_impl_wrapped_configILNS1_25lookback_scan_determinismE0ES3_S9_NS6_6detail15normal_iteratorINS6_10device_ptrIyEEEENSD_INSE_IjEEEESG_SI_PmS8_NS6_8equal_toIyEEEE10hipError_tPvRmT2_T3_mT4_T5_T6_T7_T8_P12ihipStream_tbENKUlT_T0_E_clISt17integral_constantIbLb0EES13_EEDaSY_SZ_EUlSY_E_NS1_11comp_targetILNS1_3genE0ELNS1_11target_archE4294967295ELNS1_3gpuE0ELNS1_3repE0EEENS1_30default_config_static_selectorELNS0_4arch9wavefront6targetE0EEEvT1_
                                        ; -- End function
	.section	.AMDGPU.csdata,"",@progbits
; Kernel info:
; codeLenInByte = 0
; NumSgprs: 0
; NumVgprs: 0
; ScratchSize: 0
; MemoryBound: 0
; FloatMode: 240
; IeeeMode: 1
; LDSByteSize: 0 bytes/workgroup (compile time only)
; SGPRBlocks: 0
; VGPRBlocks: 0
; NumSGPRsForWavesPerEU: 1
; NumVGPRsForWavesPerEU: 1
; Occupancy: 16
; WaveLimiterHint : 0
; COMPUTE_PGM_RSRC2:SCRATCH_EN: 0
; COMPUTE_PGM_RSRC2:USER_SGPR: 15
; COMPUTE_PGM_RSRC2:TRAP_HANDLER: 0
; COMPUTE_PGM_RSRC2:TGID_X_EN: 1
; COMPUTE_PGM_RSRC2:TGID_Y_EN: 0
; COMPUTE_PGM_RSRC2:TGID_Z_EN: 0
; COMPUTE_PGM_RSRC2:TIDIG_COMP_CNT: 0
	.section	.text._ZN7rocprim17ROCPRIM_400000_NS6detail17trampoline_kernelINS0_14default_configENS1_29reduce_by_key_config_selectorIyjN6thrust23THRUST_200600_302600_NS4plusIjEEEEZZNS1_33reduce_by_key_impl_wrapped_configILNS1_25lookback_scan_determinismE0ES3_S9_NS6_6detail15normal_iteratorINS6_10device_ptrIyEEEENSD_INSE_IjEEEESG_SI_PmS8_NS6_8equal_toIyEEEE10hipError_tPvRmT2_T3_mT4_T5_T6_T7_T8_P12ihipStream_tbENKUlT_T0_E_clISt17integral_constantIbLb0EES13_EEDaSY_SZ_EUlSY_E_NS1_11comp_targetILNS1_3genE5ELNS1_11target_archE942ELNS1_3gpuE9ELNS1_3repE0EEENS1_30default_config_static_selectorELNS0_4arch9wavefront6targetE0EEEvT1_,"axG",@progbits,_ZN7rocprim17ROCPRIM_400000_NS6detail17trampoline_kernelINS0_14default_configENS1_29reduce_by_key_config_selectorIyjN6thrust23THRUST_200600_302600_NS4plusIjEEEEZZNS1_33reduce_by_key_impl_wrapped_configILNS1_25lookback_scan_determinismE0ES3_S9_NS6_6detail15normal_iteratorINS6_10device_ptrIyEEEENSD_INSE_IjEEEESG_SI_PmS8_NS6_8equal_toIyEEEE10hipError_tPvRmT2_T3_mT4_T5_T6_T7_T8_P12ihipStream_tbENKUlT_T0_E_clISt17integral_constantIbLb0EES13_EEDaSY_SZ_EUlSY_E_NS1_11comp_targetILNS1_3genE5ELNS1_11target_archE942ELNS1_3gpuE9ELNS1_3repE0EEENS1_30default_config_static_selectorELNS0_4arch9wavefront6targetE0EEEvT1_,comdat
	.protected	_ZN7rocprim17ROCPRIM_400000_NS6detail17trampoline_kernelINS0_14default_configENS1_29reduce_by_key_config_selectorIyjN6thrust23THRUST_200600_302600_NS4plusIjEEEEZZNS1_33reduce_by_key_impl_wrapped_configILNS1_25lookback_scan_determinismE0ES3_S9_NS6_6detail15normal_iteratorINS6_10device_ptrIyEEEENSD_INSE_IjEEEESG_SI_PmS8_NS6_8equal_toIyEEEE10hipError_tPvRmT2_T3_mT4_T5_T6_T7_T8_P12ihipStream_tbENKUlT_T0_E_clISt17integral_constantIbLb0EES13_EEDaSY_SZ_EUlSY_E_NS1_11comp_targetILNS1_3genE5ELNS1_11target_archE942ELNS1_3gpuE9ELNS1_3repE0EEENS1_30default_config_static_selectorELNS0_4arch9wavefront6targetE0EEEvT1_ ; -- Begin function _ZN7rocprim17ROCPRIM_400000_NS6detail17trampoline_kernelINS0_14default_configENS1_29reduce_by_key_config_selectorIyjN6thrust23THRUST_200600_302600_NS4plusIjEEEEZZNS1_33reduce_by_key_impl_wrapped_configILNS1_25lookback_scan_determinismE0ES3_S9_NS6_6detail15normal_iteratorINS6_10device_ptrIyEEEENSD_INSE_IjEEEESG_SI_PmS8_NS6_8equal_toIyEEEE10hipError_tPvRmT2_T3_mT4_T5_T6_T7_T8_P12ihipStream_tbENKUlT_T0_E_clISt17integral_constantIbLb0EES13_EEDaSY_SZ_EUlSY_E_NS1_11comp_targetILNS1_3genE5ELNS1_11target_archE942ELNS1_3gpuE9ELNS1_3repE0EEENS1_30default_config_static_selectorELNS0_4arch9wavefront6targetE0EEEvT1_
	.globl	_ZN7rocprim17ROCPRIM_400000_NS6detail17trampoline_kernelINS0_14default_configENS1_29reduce_by_key_config_selectorIyjN6thrust23THRUST_200600_302600_NS4plusIjEEEEZZNS1_33reduce_by_key_impl_wrapped_configILNS1_25lookback_scan_determinismE0ES3_S9_NS6_6detail15normal_iteratorINS6_10device_ptrIyEEEENSD_INSE_IjEEEESG_SI_PmS8_NS6_8equal_toIyEEEE10hipError_tPvRmT2_T3_mT4_T5_T6_T7_T8_P12ihipStream_tbENKUlT_T0_E_clISt17integral_constantIbLb0EES13_EEDaSY_SZ_EUlSY_E_NS1_11comp_targetILNS1_3genE5ELNS1_11target_archE942ELNS1_3gpuE9ELNS1_3repE0EEENS1_30default_config_static_selectorELNS0_4arch9wavefront6targetE0EEEvT1_
	.p2align	8
	.type	_ZN7rocprim17ROCPRIM_400000_NS6detail17trampoline_kernelINS0_14default_configENS1_29reduce_by_key_config_selectorIyjN6thrust23THRUST_200600_302600_NS4plusIjEEEEZZNS1_33reduce_by_key_impl_wrapped_configILNS1_25lookback_scan_determinismE0ES3_S9_NS6_6detail15normal_iteratorINS6_10device_ptrIyEEEENSD_INSE_IjEEEESG_SI_PmS8_NS6_8equal_toIyEEEE10hipError_tPvRmT2_T3_mT4_T5_T6_T7_T8_P12ihipStream_tbENKUlT_T0_E_clISt17integral_constantIbLb0EES13_EEDaSY_SZ_EUlSY_E_NS1_11comp_targetILNS1_3genE5ELNS1_11target_archE942ELNS1_3gpuE9ELNS1_3repE0EEENS1_30default_config_static_selectorELNS0_4arch9wavefront6targetE0EEEvT1_,@function
_ZN7rocprim17ROCPRIM_400000_NS6detail17trampoline_kernelINS0_14default_configENS1_29reduce_by_key_config_selectorIyjN6thrust23THRUST_200600_302600_NS4plusIjEEEEZZNS1_33reduce_by_key_impl_wrapped_configILNS1_25lookback_scan_determinismE0ES3_S9_NS6_6detail15normal_iteratorINS6_10device_ptrIyEEEENSD_INSE_IjEEEESG_SI_PmS8_NS6_8equal_toIyEEEE10hipError_tPvRmT2_T3_mT4_T5_T6_T7_T8_P12ihipStream_tbENKUlT_T0_E_clISt17integral_constantIbLb0EES13_EEDaSY_SZ_EUlSY_E_NS1_11comp_targetILNS1_3genE5ELNS1_11target_archE942ELNS1_3gpuE9ELNS1_3repE0EEENS1_30default_config_static_selectorELNS0_4arch9wavefront6targetE0EEEvT1_: ; @_ZN7rocprim17ROCPRIM_400000_NS6detail17trampoline_kernelINS0_14default_configENS1_29reduce_by_key_config_selectorIyjN6thrust23THRUST_200600_302600_NS4plusIjEEEEZZNS1_33reduce_by_key_impl_wrapped_configILNS1_25lookback_scan_determinismE0ES3_S9_NS6_6detail15normal_iteratorINS6_10device_ptrIyEEEENSD_INSE_IjEEEESG_SI_PmS8_NS6_8equal_toIyEEEE10hipError_tPvRmT2_T3_mT4_T5_T6_T7_T8_P12ihipStream_tbENKUlT_T0_E_clISt17integral_constantIbLb0EES13_EEDaSY_SZ_EUlSY_E_NS1_11comp_targetILNS1_3genE5ELNS1_11target_archE942ELNS1_3gpuE9ELNS1_3repE0EEENS1_30default_config_static_selectorELNS0_4arch9wavefront6targetE0EEEvT1_
; %bb.0:
	.section	.rodata,"a",@progbits
	.p2align	6, 0x0
	.amdhsa_kernel _ZN7rocprim17ROCPRIM_400000_NS6detail17trampoline_kernelINS0_14default_configENS1_29reduce_by_key_config_selectorIyjN6thrust23THRUST_200600_302600_NS4plusIjEEEEZZNS1_33reduce_by_key_impl_wrapped_configILNS1_25lookback_scan_determinismE0ES3_S9_NS6_6detail15normal_iteratorINS6_10device_ptrIyEEEENSD_INSE_IjEEEESG_SI_PmS8_NS6_8equal_toIyEEEE10hipError_tPvRmT2_T3_mT4_T5_T6_T7_T8_P12ihipStream_tbENKUlT_T0_E_clISt17integral_constantIbLb0EES13_EEDaSY_SZ_EUlSY_E_NS1_11comp_targetILNS1_3genE5ELNS1_11target_archE942ELNS1_3gpuE9ELNS1_3repE0EEENS1_30default_config_static_selectorELNS0_4arch9wavefront6targetE0EEEvT1_
		.amdhsa_group_segment_fixed_size 0
		.amdhsa_private_segment_fixed_size 0
		.amdhsa_kernarg_size 120
		.amdhsa_user_sgpr_count 15
		.amdhsa_user_sgpr_dispatch_ptr 0
		.amdhsa_user_sgpr_queue_ptr 0
		.amdhsa_user_sgpr_kernarg_segment_ptr 1
		.amdhsa_user_sgpr_dispatch_id 0
		.amdhsa_user_sgpr_private_segment_size 0
		.amdhsa_wavefront_size32 1
		.amdhsa_uses_dynamic_stack 0
		.amdhsa_enable_private_segment 0
		.amdhsa_system_sgpr_workgroup_id_x 1
		.amdhsa_system_sgpr_workgroup_id_y 0
		.amdhsa_system_sgpr_workgroup_id_z 0
		.amdhsa_system_sgpr_workgroup_info 0
		.amdhsa_system_vgpr_workitem_id 0
		.amdhsa_next_free_vgpr 1
		.amdhsa_next_free_sgpr 1
		.amdhsa_reserve_vcc 0
		.amdhsa_float_round_mode_32 0
		.amdhsa_float_round_mode_16_64 0
		.amdhsa_float_denorm_mode_32 3
		.amdhsa_float_denorm_mode_16_64 3
		.amdhsa_dx10_clamp 1
		.amdhsa_ieee_mode 1
		.amdhsa_fp16_overflow 0
		.amdhsa_workgroup_processor_mode 1
		.amdhsa_memory_ordered 1
		.amdhsa_forward_progress 0
		.amdhsa_shared_vgpr_count 0
		.amdhsa_exception_fp_ieee_invalid_op 0
		.amdhsa_exception_fp_denorm_src 0
		.amdhsa_exception_fp_ieee_div_zero 0
		.amdhsa_exception_fp_ieee_overflow 0
		.amdhsa_exception_fp_ieee_underflow 0
		.amdhsa_exception_fp_ieee_inexact 0
		.amdhsa_exception_int_div_zero 0
	.end_amdhsa_kernel
	.section	.text._ZN7rocprim17ROCPRIM_400000_NS6detail17trampoline_kernelINS0_14default_configENS1_29reduce_by_key_config_selectorIyjN6thrust23THRUST_200600_302600_NS4plusIjEEEEZZNS1_33reduce_by_key_impl_wrapped_configILNS1_25lookback_scan_determinismE0ES3_S9_NS6_6detail15normal_iteratorINS6_10device_ptrIyEEEENSD_INSE_IjEEEESG_SI_PmS8_NS6_8equal_toIyEEEE10hipError_tPvRmT2_T3_mT4_T5_T6_T7_T8_P12ihipStream_tbENKUlT_T0_E_clISt17integral_constantIbLb0EES13_EEDaSY_SZ_EUlSY_E_NS1_11comp_targetILNS1_3genE5ELNS1_11target_archE942ELNS1_3gpuE9ELNS1_3repE0EEENS1_30default_config_static_selectorELNS0_4arch9wavefront6targetE0EEEvT1_,"axG",@progbits,_ZN7rocprim17ROCPRIM_400000_NS6detail17trampoline_kernelINS0_14default_configENS1_29reduce_by_key_config_selectorIyjN6thrust23THRUST_200600_302600_NS4plusIjEEEEZZNS1_33reduce_by_key_impl_wrapped_configILNS1_25lookback_scan_determinismE0ES3_S9_NS6_6detail15normal_iteratorINS6_10device_ptrIyEEEENSD_INSE_IjEEEESG_SI_PmS8_NS6_8equal_toIyEEEE10hipError_tPvRmT2_T3_mT4_T5_T6_T7_T8_P12ihipStream_tbENKUlT_T0_E_clISt17integral_constantIbLb0EES13_EEDaSY_SZ_EUlSY_E_NS1_11comp_targetILNS1_3genE5ELNS1_11target_archE942ELNS1_3gpuE9ELNS1_3repE0EEENS1_30default_config_static_selectorELNS0_4arch9wavefront6targetE0EEEvT1_,comdat
.Lfunc_end698:
	.size	_ZN7rocprim17ROCPRIM_400000_NS6detail17trampoline_kernelINS0_14default_configENS1_29reduce_by_key_config_selectorIyjN6thrust23THRUST_200600_302600_NS4plusIjEEEEZZNS1_33reduce_by_key_impl_wrapped_configILNS1_25lookback_scan_determinismE0ES3_S9_NS6_6detail15normal_iteratorINS6_10device_ptrIyEEEENSD_INSE_IjEEEESG_SI_PmS8_NS6_8equal_toIyEEEE10hipError_tPvRmT2_T3_mT4_T5_T6_T7_T8_P12ihipStream_tbENKUlT_T0_E_clISt17integral_constantIbLb0EES13_EEDaSY_SZ_EUlSY_E_NS1_11comp_targetILNS1_3genE5ELNS1_11target_archE942ELNS1_3gpuE9ELNS1_3repE0EEENS1_30default_config_static_selectorELNS0_4arch9wavefront6targetE0EEEvT1_, .Lfunc_end698-_ZN7rocprim17ROCPRIM_400000_NS6detail17trampoline_kernelINS0_14default_configENS1_29reduce_by_key_config_selectorIyjN6thrust23THRUST_200600_302600_NS4plusIjEEEEZZNS1_33reduce_by_key_impl_wrapped_configILNS1_25lookback_scan_determinismE0ES3_S9_NS6_6detail15normal_iteratorINS6_10device_ptrIyEEEENSD_INSE_IjEEEESG_SI_PmS8_NS6_8equal_toIyEEEE10hipError_tPvRmT2_T3_mT4_T5_T6_T7_T8_P12ihipStream_tbENKUlT_T0_E_clISt17integral_constantIbLb0EES13_EEDaSY_SZ_EUlSY_E_NS1_11comp_targetILNS1_3genE5ELNS1_11target_archE942ELNS1_3gpuE9ELNS1_3repE0EEENS1_30default_config_static_selectorELNS0_4arch9wavefront6targetE0EEEvT1_
                                        ; -- End function
	.section	.AMDGPU.csdata,"",@progbits
; Kernel info:
; codeLenInByte = 0
; NumSgprs: 0
; NumVgprs: 0
; ScratchSize: 0
; MemoryBound: 0
; FloatMode: 240
; IeeeMode: 1
; LDSByteSize: 0 bytes/workgroup (compile time only)
; SGPRBlocks: 0
; VGPRBlocks: 0
; NumSGPRsForWavesPerEU: 1
; NumVGPRsForWavesPerEU: 1
; Occupancy: 16
; WaveLimiterHint : 0
; COMPUTE_PGM_RSRC2:SCRATCH_EN: 0
; COMPUTE_PGM_RSRC2:USER_SGPR: 15
; COMPUTE_PGM_RSRC2:TRAP_HANDLER: 0
; COMPUTE_PGM_RSRC2:TGID_X_EN: 1
; COMPUTE_PGM_RSRC2:TGID_Y_EN: 0
; COMPUTE_PGM_RSRC2:TGID_Z_EN: 0
; COMPUTE_PGM_RSRC2:TIDIG_COMP_CNT: 0
	.section	.text._ZN7rocprim17ROCPRIM_400000_NS6detail17trampoline_kernelINS0_14default_configENS1_29reduce_by_key_config_selectorIyjN6thrust23THRUST_200600_302600_NS4plusIjEEEEZZNS1_33reduce_by_key_impl_wrapped_configILNS1_25lookback_scan_determinismE0ES3_S9_NS6_6detail15normal_iteratorINS6_10device_ptrIyEEEENSD_INSE_IjEEEESG_SI_PmS8_NS6_8equal_toIyEEEE10hipError_tPvRmT2_T3_mT4_T5_T6_T7_T8_P12ihipStream_tbENKUlT_T0_E_clISt17integral_constantIbLb0EES13_EEDaSY_SZ_EUlSY_E_NS1_11comp_targetILNS1_3genE4ELNS1_11target_archE910ELNS1_3gpuE8ELNS1_3repE0EEENS1_30default_config_static_selectorELNS0_4arch9wavefront6targetE0EEEvT1_,"axG",@progbits,_ZN7rocprim17ROCPRIM_400000_NS6detail17trampoline_kernelINS0_14default_configENS1_29reduce_by_key_config_selectorIyjN6thrust23THRUST_200600_302600_NS4plusIjEEEEZZNS1_33reduce_by_key_impl_wrapped_configILNS1_25lookback_scan_determinismE0ES3_S9_NS6_6detail15normal_iteratorINS6_10device_ptrIyEEEENSD_INSE_IjEEEESG_SI_PmS8_NS6_8equal_toIyEEEE10hipError_tPvRmT2_T3_mT4_T5_T6_T7_T8_P12ihipStream_tbENKUlT_T0_E_clISt17integral_constantIbLb0EES13_EEDaSY_SZ_EUlSY_E_NS1_11comp_targetILNS1_3genE4ELNS1_11target_archE910ELNS1_3gpuE8ELNS1_3repE0EEENS1_30default_config_static_selectorELNS0_4arch9wavefront6targetE0EEEvT1_,comdat
	.protected	_ZN7rocprim17ROCPRIM_400000_NS6detail17trampoline_kernelINS0_14default_configENS1_29reduce_by_key_config_selectorIyjN6thrust23THRUST_200600_302600_NS4plusIjEEEEZZNS1_33reduce_by_key_impl_wrapped_configILNS1_25lookback_scan_determinismE0ES3_S9_NS6_6detail15normal_iteratorINS6_10device_ptrIyEEEENSD_INSE_IjEEEESG_SI_PmS8_NS6_8equal_toIyEEEE10hipError_tPvRmT2_T3_mT4_T5_T6_T7_T8_P12ihipStream_tbENKUlT_T0_E_clISt17integral_constantIbLb0EES13_EEDaSY_SZ_EUlSY_E_NS1_11comp_targetILNS1_3genE4ELNS1_11target_archE910ELNS1_3gpuE8ELNS1_3repE0EEENS1_30default_config_static_selectorELNS0_4arch9wavefront6targetE0EEEvT1_ ; -- Begin function _ZN7rocprim17ROCPRIM_400000_NS6detail17trampoline_kernelINS0_14default_configENS1_29reduce_by_key_config_selectorIyjN6thrust23THRUST_200600_302600_NS4plusIjEEEEZZNS1_33reduce_by_key_impl_wrapped_configILNS1_25lookback_scan_determinismE0ES3_S9_NS6_6detail15normal_iteratorINS6_10device_ptrIyEEEENSD_INSE_IjEEEESG_SI_PmS8_NS6_8equal_toIyEEEE10hipError_tPvRmT2_T3_mT4_T5_T6_T7_T8_P12ihipStream_tbENKUlT_T0_E_clISt17integral_constantIbLb0EES13_EEDaSY_SZ_EUlSY_E_NS1_11comp_targetILNS1_3genE4ELNS1_11target_archE910ELNS1_3gpuE8ELNS1_3repE0EEENS1_30default_config_static_selectorELNS0_4arch9wavefront6targetE0EEEvT1_
	.globl	_ZN7rocprim17ROCPRIM_400000_NS6detail17trampoline_kernelINS0_14default_configENS1_29reduce_by_key_config_selectorIyjN6thrust23THRUST_200600_302600_NS4plusIjEEEEZZNS1_33reduce_by_key_impl_wrapped_configILNS1_25lookback_scan_determinismE0ES3_S9_NS6_6detail15normal_iteratorINS6_10device_ptrIyEEEENSD_INSE_IjEEEESG_SI_PmS8_NS6_8equal_toIyEEEE10hipError_tPvRmT2_T3_mT4_T5_T6_T7_T8_P12ihipStream_tbENKUlT_T0_E_clISt17integral_constantIbLb0EES13_EEDaSY_SZ_EUlSY_E_NS1_11comp_targetILNS1_3genE4ELNS1_11target_archE910ELNS1_3gpuE8ELNS1_3repE0EEENS1_30default_config_static_selectorELNS0_4arch9wavefront6targetE0EEEvT1_
	.p2align	8
	.type	_ZN7rocprim17ROCPRIM_400000_NS6detail17trampoline_kernelINS0_14default_configENS1_29reduce_by_key_config_selectorIyjN6thrust23THRUST_200600_302600_NS4plusIjEEEEZZNS1_33reduce_by_key_impl_wrapped_configILNS1_25lookback_scan_determinismE0ES3_S9_NS6_6detail15normal_iteratorINS6_10device_ptrIyEEEENSD_INSE_IjEEEESG_SI_PmS8_NS6_8equal_toIyEEEE10hipError_tPvRmT2_T3_mT4_T5_T6_T7_T8_P12ihipStream_tbENKUlT_T0_E_clISt17integral_constantIbLb0EES13_EEDaSY_SZ_EUlSY_E_NS1_11comp_targetILNS1_3genE4ELNS1_11target_archE910ELNS1_3gpuE8ELNS1_3repE0EEENS1_30default_config_static_selectorELNS0_4arch9wavefront6targetE0EEEvT1_,@function
_ZN7rocprim17ROCPRIM_400000_NS6detail17trampoline_kernelINS0_14default_configENS1_29reduce_by_key_config_selectorIyjN6thrust23THRUST_200600_302600_NS4plusIjEEEEZZNS1_33reduce_by_key_impl_wrapped_configILNS1_25lookback_scan_determinismE0ES3_S9_NS6_6detail15normal_iteratorINS6_10device_ptrIyEEEENSD_INSE_IjEEEESG_SI_PmS8_NS6_8equal_toIyEEEE10hipError_tPvRmT2_T3_mT4_T5_T6_T7_T8_P12ihipStream_tbENKUlT_T0_E_clISt17integral_constantIbLb0EES13_EEDaSY_SZ_EUlSY_E_NS1_11comp_targetILNS1_3genE4ELNS1_11target_archE910ELNS1_3gpuE8ELNS1_3repE0EEENS1_30default_config_static_selectorELNS0_4arch9wavefront6targetE0EEEvT1_: ; @_ZN7rocprim17ROCPRIM_400000_NS6detail17trampoline_kernelINS0_14default_configENS1_29reduce_by_key_config_selectorIyjN6thrust23THRUST_200600_302600_NS4plusIjEEEEZZNS1_33reduce_by_key_impl_wrapped_configILNS1_25lookback_scan_determinismE0ES3_S9_NS6_6detail15normal_iteratorINS6_10device_ptrIyEEEENSD_INSE_IjEEEESG_SI_PmS8_NS6_8equal_toIyEEEE10hipError_tPvRmT2_T3_mT4_T5_T6_T7_T8_P12ihipStream_tbENKUlT_T0_E_clISt17integral_constantIbLb0EES13_EEDaSY_SZ_EUlSY_E_NS1_11comp_targetILNS1_3genE4ELNS1_11target_archE910ELNS1_3gpuE8ELNS1_3repE0EEENS1_30default_config_static_selectorELNS0_4arch9wavefront6targetE0EEEvT1_
; %bb.0:
	.section	.rodata,"a",@progbits
	.p2align	6, 0x0
	.amdhsa_kernel _ZN7rocprim17ROCPRIM_400000_NS6detail17trampoline_kernelINS0_14default_configENS1_29reduce_by_key_config_selectorIyjN6thrust23THRUST_200600_302600_NS4plusIjEEEEZZNS1_33reduce_by_key_impl_wrapped_configILNS1_25lookback_scan_determinismE0ES3_S9_NS6_6detail15normal_iteratorINS6_10device_ptrIyEEEENSD_INSE_IjEEEESG_SI_PmS8_NS6_8equal_toIyEEEE10hipError_tPvRmT2_T3_mT4_T5_T6_T7_T8_P12ihipStream_tbENKUlT_T0_E_clISt17integral_constantIbLb0EES13_EEDaSY_SZ_EUlSY_E_NS1_11comp_targetILNS1_3genE4ELNS1_11target_archE910ELNS1_3gpuE8ELNS1_3repE0EEENS1_30default_config_static_selectorELNS0_4arch9wavefront6targetE0EEEvT1_
		.amdhsa_group_segment_fixed_size 0
		.amdhsa_private_segment_fixed_size 0
		.amdhsa_kernarg_size 120
		.amdhsa_user_sgpr_count 15
		.amdhsa_user_sgpr_dispatch_ptr 0
		.amdhsa_user_sgpr_queue_ptr 0
		.amdhsa_user_sgpr_kernarg_segment_ptr 1
		.amdhsa_user_sgpr_dispatch_id 0
		.amdhsa_user_sgpr_private_segment_size 0
		.amdhsa_wavefront_size32 1
		.amdhsa_uses_dynamic_stack 0
		.amdhsa_enable_private_segment 0
		.amdhsa_system_sgpr_workgroup_id_x 1
		.amdhsa_system_sgpr_workgroup_id_y 0
		.amdhsa_system_sgpr_workgroup_id_z 0
		.amdhsa_system_sgpr_workgroup_info 0
		.amdhsa_system_vgpr_workitem_id 0
		.amdhsa_next_free_vgpr 1
		.amdhsa_next_free_sgpr 1
		.amdhsa_reserve_vcc 0
		.amdhsa_float_round_mode_32 0
		.amdhsa_float_round_mode_16_64 0
		.amdhsa_float_denorm_mode_32 3
		.amdhsa_float_denorm_mode_16_64 3
		.amdhsa_dx10_clamp 1
		.amdhsa_ieee_mode 1
		.amdhsa_fp16_overflow 0
		.amdhsa_workgroup_processor_mode 1
		.amdhsa_memory_ordered 1
		.amdhsa_forward_progress 0
		.amdhsa_shared_vgpr_count 0
		.amdhsa_exception_fp_ieee_invalid_op 0
		.amdhsa_exception_fp_denorm_src 0
		.amdhsa_exception_fp_ieee_div_zero 0
		.amdhsa_exception_fp_ieee_overflow 0
		.amdhsa_exception_fp_ieee_underflow 0
		.amdhsa_exception_fp_ieee_inexact 0
		.amdhsa_exception_int_div_zero 0
	.end_amdhsa_kernel
	.section	.text._ZN7rocprim17ROCPRIM_400000_NS6detail17trampoline_kernelINS0_14default_configENS1_29reduce_by_key_config_selectorIyjN6thrust23THRUST_200600_302600_NS4plusIjEEEEZZNS1_33reduce_by_key_impl_wrapped_configILNS1_25lookback_scan_determinismE0ES3_S9_NS6_6detail15normal_iteratorINS6_10device_ptrIyEEEENSD_INSE_IjEEEESG_SI_PmS8_NS6_8equal_toIyEEEE10hipError_tPvRmT2_T3_mT4_T5_T6_T7_T8_P12ihipStream_tbENKUlT_T0_E_clISt17integral_constantIbLb0EES13_EEDaSY_SZ_EUlSY_E_NS1_11comp_targetILNS1_3genE4ELNS1_11target_archE910ELNS1_3gpuE8ELNS1_3repE0EEENS1_30default_config_static_selectorELNS0_4arch9wavefront6targetE0EEEvT1_,"axG",@progbits,_ZN7rocprim17ROCPRIM_400000_NS6detail17trampoline_kernelINS0_14default_configENS1_29reduce_by_key_config_selectorIyjN6thrust23THRUST_200600_302600_NS4plusIjEEEEZZNS1_33reduce_by_key_impl_wrapped_configILNS1_25lookback_scan_determinismE0ES3_S9_NS6_6detail15normal_iteratorINS6_10device_ptrIyEEEENSD_INSE_IjEEEESG_SI_PmS8_NS6_8equal_toIyEEEE10hipError_tPvRmT2_T3_mT4_T5_T6_T7_T8_P12ihipStream_tbENKUlT_T0_E_clISt17integral_constantIbLb0EES13_EEDaSY_SZ_EUlSY_E_NS1_11comp_targetILNS1_3genE4ELNS1_11target_archE910ELNS1_3gpuE8ELNS1_3repE0EEENS1_30default_config_static_selectorELNS0_4arch9wavefront6targetE0EEEvT1_,comdat
.Lfunc_end699:
	.size	_ZN7rocprim17ROCPRIM_400000_NS6detail17trampoline_kernelINS0_14default_configENS1_29reduce_by_key_config_selectorIyjN6thrust23THRUST_200600_302600_NS4plusIjEEEEZZNS1_33reduce_by_key_impl_wrapped_configILNS1_25lookback_scan_determinismE0ES3_S9_NS6_6detail15normal_iteratorINS6_10device_ptrIyEEEENSD_INSE_IjEEEESG_SI_PmS8_NS6_8equal_toIyEEEE10hipError_tPvRmT2_T3_mT4_T5_T6_T7_T8_P12ihipStream_tbENKUlT_T0_E_clISt17integral_constantIbLb0EES13_EEDaSY_SZ_EUlSY_E_NS1_11comp_targetILNS1_3genE4ELNS1_11target_archE910ELNS1_3gpuE8ELNS1_3repE0EEENS1_30default_config_static_selectorELNS0_4arch9wavefront6targetE0EEEvT1_, .Lfunc_end699-_ZN7rocprim17ROCPRIM_400000_NS6detail17trampoline_kernelINS0_14default_configENS1_29reduce_by_key_config_selectorIyjN6thrust23THRUST_200600_302600_NS4plusIjEEEEZZNS1_33reduce_by_key_impl_wrapped_configILNS1_25lookback_scan_determinismE0ES3_S9_NS6_6detail15normal_iteratorINS6_10device_ptrIyEEEENSD_INSE_IjEEEESG_SI_PmS8_NS6_8equal_toIyEEEE10hipError_tPvRmT2_T3_mT4_T5_T6_T7_T8_P12ihipStream_tbENKUlT_T0_E_clISt17integral_constantIbLb0EES13_EEDaSY_SZ_EUlSY_E_NS1_11comp_targetILNS1_3genE4ELNS1_11target_archE910ELNS1_3gpuE8ELNS1_3repE0EEENS1_30default_config_static_selectorELNS0_4arch9wavefront6targetE0EEEvT1_
                                        ; -- End function
	.section	.AMDGPU.csdata,"",@progbits
; Kernel info:
; codeLenInByte = 0
; NumSgprs: 0
; NumVgprs: 0
; ScratchSize: 0
; MemoryBound: 0
; FloatMode: 240
; IeeeMode: 1
; LDSByteSize: 0 bytes/workgroup (compile time only)
; SGPRBlocks: 0
; VGPRBlocks: 0
; NumSGPRsForWavesPerEU: 1
; NumVGPRsForWavesPerEU: 1
; Occupancy: 16
; WaveLimiterHint : 0
; COMPUTE_PGM_RSRC2:SCRATCH_EN: 0
; COMPUTE_PGM_RSRC2:USER_SGPR: 15
; COMPUTE_PGM_RSRC2:TRAP_HANDLER: 0
; COMPUTE_PGM_RSRC2:TGID_X_EN: 1
; COMPUTE_PGM_RSRC2:TGID_Y_EN: 0
; COMPUTE_PGM_RSRC2:TGID_Z_EN: 0
; COMPUTE_PGM_RSRC2:TIDIG_COMP_CNT: 0
	.section	.text._ZN7rocprim17ROCPRIM_400000_NS6detail17trampoline_kernelINS0_14default_configENS1_29reduce_by_key_config_selectorIyjN6thrust23THRUST_200600_302600_NS4plusIjEEEEZZNS1_33reduce_by_key_impl_wrapped_configILNS1_25lookback_scan_determinismE0ES3_S9_NS6_6detail15normal_iteratorINS6_10device_ptrIyEEEENSD_INSE_IjEEEESG_SI_PmS8_NS6_8equal_toIyEEEE10hipError_tPvRmT2_T3_mT4_T5_T6_T7_T8_P12ihipStream_tbENKUlT_T0_E_clISt17integral_constantIbLb0EES13_EEDaSY_SZ_EUlSY_E_NS1_11comp_targetILNS1_3genE3ELNS1_11target_archE908ELNS1_3gpuE7ELNS1_3repE0EEENS1_30default_config_static_selectorELNS0_4arch9wavefront6targetE0EEEvT1_,"axG",@progbits,_ZN7rocprim17ROCPRIM_400000_NS6detail17trampoline_kernelINS0_14default_configENS1_29reduce_by_key_config_selectorIyjN6thrust23THRUST_200600_302600_NS4plusIjEEEEZZNS1_33reduce_by_key_impl_wrapped_configILNS1_25lookback_scan_determinismE0ES3_S9_NS6_6detail15normal_iteratorINS6_10device_ptrIyEEEENSD_INSE_IjEEEESG_SI_PmS8_NS6_8equal_toIyEEEE10hipError_tPvRmT2_T3_mT4_T5_T6_T7_T8_P12ihipStream_tbENKUlT_T0_E_clISt17integral_constantIbLb0EES13_EEDaSY_SZ_EUlSY_E_NS1_11comp_targetILNS1_3genE3ELNS1_11target_archE908ELNS1_3gpuE7ELNS1_3repE0EEENS1_30default_config_static_selectorELNS0_4arch9wavefront6targetE0EEEvT1_,comdat
	.protected	_ZN7rocprim17ROCPRIM_400000_NS6detail17trampoline_kernelINS0_14default_configENS1_29reduce_by_key_config_selectorIyjN6thrust23THRUST_200600_302600_NS4plusIjEEEEZZNS1_33reduce_by_key_impl_wrapped_configILNS1_25lookback_scan_determinismE0ES3_S9_NS6_6detail15normal_iteratorINS6_10device_ptrIyEEEENSD_INSE_IjEEEESG_SI_PmS8_NS6_8equal_toIyEEEE10hipError_tPvRmT2_T3_mT4_T5_T6_T7_T8_P12ihipStream_tbENKUlT_T0_E_clISt17integral_constantIbLb0EES13_EEDaSY_SZ_EUlSY_E_NS1_11comp_targetILNS1_3genE3ELNS1_11target_archE908ELNS1_3gpuE7ELNS1_3repE0EEENS1_30default_config_static_selectorELNS0_4arch9wavefront6targetE0EEEvT1_ ; -- Begin function _ZN7rocprim17ROCPRIM_400000_NS6detail17trampoline_kernelINS0_14default_configENS1_29reduce_by_key_config_selectorIyjN6thrust23THRUST_200600_302600_NS4plusIjEEEEZZNS1_33reduce_by_key_impl_wrapped_configILNS1_25lookback_scan_determinismE0ES3_S9_NS6_6detail15normal_iteratorINS6_10device_ptrIyEEEENSD_INSE_IjEEEESG_SI_PmS8_NS6_8equal_toIyEEEE10hipError_tPvRmT2_T3_mT4_T5_T6_T7_T8_P12ihipStream_tbENKUlT_T0_E_clISt17integral_constantIbLb0EES13_EEDaSY_SZ_EUlSY_E_NS1_11comp_targetILNS1_3genE3ELNS1_11target_archE908ELNS1_3gpuE7ELNS1_3repE0EEENS1_30default_config_static_selectorELNS0_4arch9wavefront6targetE0EEEvT1_
	.globl	_ZN7rocprim17ROCPRIM_400000_NS6detail17trampoline_kernelINS0_14default_configENS1_29reduce_by_key_config_selectorIyjN6thrust23THRUST_200600_302600_NS4plusIjEEEEZZNS1_33reduce_by_key_impl_wrapped_configILNS1_25lookback_scan_determinismE0ES3_S9_NS6_6detail15normal_iteratorINS6_10device_ptrIyEEEENSD_INSE_IjEEEESG_SI_PmS8_NS6_8equal_toIyEEEE10hipError_tPvRmT2_T3_mT4_T5_T6_T7_T8_P12ihipStream_tbENKUlT_T0_E_clISt17integral_constantIbLb0EES13_EEDaSY_SZ_EUlSY_E_NS1_11comp_targetILNS1_3genE3ELNS1_11target_archE908ELNS1_3gpuE7ELNS1_3repE0EEENS1_30default_config_static_selectorELNS0_4arch9wavefront6targetE0EEEvT1_
	.p2align	8
	.type	_ZN7rocprim17ROCPRIM_400000_NS6detail17trampoline_kernelINS0_14default_configENS1_29reduce_by_key_config_selectorIyjN6thrust23THRUST_200600_302600_NS4plusIjEEEEZZNS1_33reduce_by_key_impl_wrapped_configILNS1_25lookback_scan_determinismE0ES3_S9_NS6_6detail15normal_iteratorINS6_10device_ptrIyEEEENSD_INSE_IjEEEESG_SI_PmS8_NS6_8equal_toIyEEEE10hipError_tPvRmT2_T3_mT4_T5_T6_T7_T8_P12ihipStream_tbENKUlT_T0_E_clISt17integral_constantIbLb0EES13_EEDaSY_SZ_EUlSY_E_NS1_11comp_targetILNS1_3genE3ELNS1_11target_archE908ELNS1_3gpuE7ELNS1_3repE0EEENS1_30default_config_static_selectorELNS0_4arch9wavefront6targetE0EEEvT1_,@function
_ZN7rocprim17ROCPRIM_400000_NS6detail17trampoline_kernelINS0_14default_configENS1_29reduce_by_key_config_selectorIyjN6thrust23THRUST_200600_302600_NS4plusIjEEEEZZNS1_33reduce_by_key_impl_wrapped_configILNS1_25lookback_scan_determinismE0ES3_S9_NS6_6detail15normal_iteratorINS6_10device_ptrIyEEEENSD_INSE_IjEEEESG_SI_PmS8_NS6_8equal_toIyEEEE10hipError_tPvRmT2_T3_mT4_T5_T6_T7_T8_P12ihipStream_tbENKUlT_T0_E_clISt17integral_constantIbLb0EES13_EEDaSY_SZ_EUlSY_E_NS1_11comp_targetILNS1_3genE3ELNS1_11target_archE908ELNS1_3gpuE7ELNS1_3repE0EEENS1_30default_config_static_selectorELNS0_4arch9wavefront6targetE0EEEvT1_: ; @_ZN7rocprim17ROCPRIM_400000_NS6detail17trampoline_kernelINS0_14default_configENS1_29reduce_by_key_config_selectorIyjN6thrust23THRUST_200600_302600_NS4plusIjEEEEZZNS1_33reduce_by_key_impl_wrapped_configILNS1_25lookback_scan_determinismE0ES3_S9_NS6_6detail15normal_iteratorINS6_10device_ptrIyEEEENSD_INSE_IjEEEESG_SI_PmS8_NS6_8equal_toIyEEEE10hipError_tPvRmT2_T3_mT4_T5_T6_T7_T8_P12ihipStream_tbENKUlT_T0_E_clISt17integral_constantIbLb0EES13_EEDaSY_SZ_EUlSY_E_NS1_11comp_targetILNS1_3genE3ELNS1_11target_archE908ELNS1_3gpuE7ELNS1_3repE0EEENS1_30default_config_static_selectorELNS0_4arch9wavefront6targetE0EEEvT1_
; %bb.0:
	.section	.rodata,"a",@progbits
	.p2align	6, 0x0
	.amdhsa_kernel _ZN7rocprim17ROCPRIM_400000_NS6detail17trampoline_kernelINS0_14default_configENS1_29reduce_by_key_config_selectorIyjN6thrust23THRUST_200600_302600_NS4plusIjEEEEZZNS1_33reduce_by_key_impl_wrapped_configILNS1_25lookback_scan_determinismE0ES3_S9_NS6_6detail15normal_iteratorINS6_10device_ptrIyEEEENSD_INSE_IjEEEESG_SI_PmS8_NS6_8equal_toIyEEEE10hipError_tPvRmT2_T3_mT4_T5_T6_T7_T8_P12ihipStream_tbENKUlT_T0_E_clISt17integral_constantIbLb0EES13_EEDaSY_SZ_EUlSY_E_NS1_11comp_targetILNS1_3genE3ELNS1_11target_archE908ELNS1_3gpuE7ELNS1_3repE0EEENS1_30default_config_static_selectorELNS0_4arch9wavefront6targetE0EEEvT1_
		.amdhsa_group_segment_fixed_size 0
		.amdhsa_private_segment_fixed_size 0
		.amdhsa_kernarg_size 120
		.amdhsa_user_sgpr_count 15
		.amdhsa_user_sgpr_dispatch_ptr 0
		.amdhsa_user_sgpr_queue_ptr 0
		.amdhsa_user_sgpr_kernarg_segment_ptr 1
		.amdhsa_user_sgpr_dispatch_id 0
		.amdhsa_user_sgpr_private_segment_size 0
		.amdhsa_wavefront_size32 1
		.amdhsa_uses_dynamic_stack 0
		.amdhsa_enable_private_segment 0
		.amdhsa_system_sgpr_workgroup_id_x 1
		.amdhsa_system_sgpr_workgroup_id_y 0
		.amdhsa_system_sgpr_workgroup_id_z 0
		.amdhsa_system_sgpr_workgroup_info 0
		.amdhsa_system_vgpr_workitem_id 0
		.amdhsa_next_free_vgpr 1
		.amdhsa_next_free_sgpr 1
		.amdhsa_reserve_vcc 0
		.amdhsa_float_round_mode_32 0
		.amdhsa_float_round_mode_16_64 0
		.amdhsa_float_denorm_mode_32 3
		.amdhsa_float_denorm_mode_16_64 3
		.amdhsa_dx10_clamp 1
		.amdhsa_ieee_mode 1
		.amdhsa_fp16_overflow 0
		.amdhsa_workgroup_processor_mode 1
		.amdhsa_memory_ordered 1
		.amdhsa_forward_progress 0
		.amdhsa_shared_vgpr_count 0
		.amdhsa_exception_fp_ieee_invalid_op 0
		.amdhsa_exception_fp_denorm_src 0
		.amdhsa_exception_fp_ieee_div_zero 0
		.amdhsa_exception_fp_ieee_overflow 0
		.amdhsa_exception_fp_ieee_underflow 0
		.amdhsa_exception_fp_ieee_inexact 0
		.amdhsa_exception_int_div_zero 0
	.end_amdhsa_kernel
	.section	.text._ZN7rocprim17ROCPRIM_400000_NS6detail17trampoline_kernelINS0_14default_configENS1_29reduce_by_key_config_selectorIyjN6thrust23THRUST_200600_302600_NS4plusIjEEEEZZNS1_33reduce_by_key_impl_wrapped_configILNS1_25lookback_scan_determinismE0ES3_S9_NS6_6detail15normal_iteratorINS6_10device_ptrIyEEEENSD_INSE_IjEEEESG_SI_PmS8_NS6_8equal_toIyEEEE10hipError_tPvRmT2_T3_mT4_T5_T6_T7_T8_P12ihipStream_tbENKUlT_T0_E_clISt17integral_constantIbLb0EES13_EEDaSY_SZ_EUlSY_E_NS1_11comp_targetILNS1_3genE3ELNS1_11target_archE908ELNS1_3gpuE7ELNS1_3repE0EEENS1_30default_config_static_selectorELNS0_4arch9wavefront6targetE0EEEvT1_,"axG",@progbits,_ZN7rocprim17ROCPRIM_400000_NS6detail17trampoline_kernelINS0_14default_configENS1_29reduce_by_key_config_selectorIyjN6thrust23THRUST_200600_302600_NS4plusIjEEEEZZNS1_33reduce_by_key_impl_wrapped_configILNS1_25lookback_scan_determinismE0ES3_S9_NS6_6detail15normal_iteratorINS6_10device_ptrIyEEEENSD_INSE_IjEEEESG_SI_PmS8_NS6_8equal_toIyEEEE10hipError_tPvRmT2_T3_mT4_T5_T6_T7_T8_P12ihipStream_tbENKUlT_T0_E_clISt17integral_constantIbLb0EES13_EEDaSY_SZ_EUlSY_E_NS1_11comp_targetILNS1_3genE3ELNS1_11target_archE908ELNS1_3gpuE7ELNS1_3repE0EEENS1_30default_config_static_selectorELNS0_4arch9wavefront6targetE0EEEvT1_,comdat
.Lfunc_end700:
	.size	_ZN7rocprim17ROCPRIM_400000_NS6detail17trampoline_kernelINS0_14default_configENS1_29reduce_by_key_config_selectorIyjN6thrust23THRUST_200600_302600_NS4plusIjEEEEZZNS1_33reduce_by_key_impl_wrapped_configILNS1_25lookback_scan_determinismE0ES3_S9_NS6_6detail15normal_iteratorINS6_10device_ptrIyEEEENSD_INSE_IjEEEESG_SI_PmS8_NS6_8equal_toIyEEEE10hipError_tPvRmT2_T3_mT4_T5_T6_T7_T8_P12ihipStream_tbENKUlT_T0_E_clISt17integral_constantIbLb0EES13_EEDaSY_SZ_EUlSY_E_NS1_11comp_targetILNS1_3genE3ELNS1_11target_archE908ELNS1_3gpuE7ELNS1_3repE0EEENS1_30default_config_static_selectorELNS0_4arch9wavefront6targetE0EEEvT1_, .Lfunc_end700-_ZN7rocprim17ROCPRIM_400000_NS6detail17trampoline_kernelINS0_14default_configENS1_29reduce_by_key_config_selectorIyjN6thrust23THRUST_200600_302600_NS4plusIjEEEEZZNS1_33reduce_by_key_impl_wrapped_configILNS1_25lookback_scan_determinismE0ES3_S9_NS6_6detail15normal_iteratorINS6_10device_ptrIyEEEENSD_INSE_IjEEEESG_SI_PmS8_NS6_8equal_toIyEEEE10hipError_tPvRmT2_T3_mT4_T5_T6_T7_T8_P12ihipStream_tbENKUlT_T0_E_clISt17integral_constantIbLb0EES13_EEDaSY_SZ_EUlSY_E_NS1_11comp_targetILNS1_3genE3ELNS1_11target_archE908ELNS1_3gpuE7ELNS1_3repE0EEENS1_30default_config_static_selectorELNS0_4arch9wavefront6targetE0EEEvT1_
                                        ; -- End function
	.section	.AMDGPU.csdata,"",@progbits
; Kernel info:
; codeLenInByte = 0
; NumSgprs: 0
; NumVgprs: 0
; ScratchSize: 0
; MemoryBound: 0
; FloatMode: 240
; IeeeMode: 1
; LDSByteSize: 0 bytes/workgroup (compile time only)
; SGPRBlocks: 0
; VGPRBlocks: 0
; NumSGPRsForWavesPerEU: 1
; NumVGPRsForWavesPerEU: 1
; Occupancy: 16
; WaveLimiterHint : 0
; COMPUTE_PGM_RSRC2:SCRATCH_EN: 0
; COMPUTE_PGM_RSRC2:USER_SGPR: 15
; COMPUTE_PGM_RSRC2:TRAP_HANDLER: 0
; COMPUTE_PGM_RSRC2:TGID_X_EN: 1
; COMPUTE_PGM_RSRC2:TGID_Y_EN: 0
; COMPUTE_PGM_RSRC2:TGID_Z_EN: 0
; COMPUTE_PGM_RSRC2:TIDIG_COMP_CNT: 0
	.section	.text._ZN7rocprim17ROCPRIM_400000_NS6detail17trampoline_kernelINS0_14default_configENS1_29reduce_by_key_config_selectorIyjN6thrust23THRUST_200600_302600_NS4plusIjEEEEZZNS1_33reduce_by_key_impl_wrapped_configILNS1_25lookback_scan_determinismE0ES3_S9_NS6_6detail15normal_iteratorINS6_10device_ptrIyEEEENSD_INSE_IjEEEESG_SI_PmS8_NS6_8equal_toIyEEEE10hipError_tPvRmT2_T3_mT4_T5_T6_T7_T8_P12ihipStream_tbENKUlT_T0_E_clISt17integral_constantIbLb0EES13_EEDaSY_SZ_EUlSY_E_NS1_11comp_targetILNS1_3genE2ELNS1_11target_archE906ELNS1_3gpuE6ELNS1_3repE0EEENS1_30default_config_static_selectorELNS0_4arch9wavefront6targetE0EEEvT1_,"axG",@progbits,_ZN7rocprim17ROCPRIM_400000_NS6detail17trampoline_kernelINS0_14default_configENS1_29reduce_by_key_config_selectorIyjN6thrust23THRUST_200600_302600_NS4plusIjEEEEZZNS1_33reduce_by_key_impl_wrapped_configILNS1_25lookback_scan_determinismE0ES3_S9_NS6_6detail15normal_iteratorINS6_10device_ptrIyEEEENSD_INSE_IjEEEESG_SI_PmS8_NS6_8equal_toIyEEEE10hipError_tPvRmT2_T3_mT4_T5_T6_T7_T8_P12ihipStream_tbENKUlT_T0_E_clISt17integral_constantIbLb0EES13_EEDaSY_SZ_EUlSY_E_NS1_11comp_targetILNS1_3genE2ELNS1_11target_archE906ELNS1_3gpuE6ELNS1_3repE0EEENS1_30default_config_static_selectorELNS0_4arch9wavefront6targetE0EEEvT1_,comdat
	.protected	_ZN7rocprim17ROCPRIM_400000_NS6detail17trampoline_kernelINS0_14default_configENS1_29reduce_by_key_config_selectorIyjN6thrust23THRUST_200600_302600_NS4plusIjEEEEZZNS1_33reduce_by_key_impl_wrapped_configILNS1_25lookback_scan_determinismE0ES3_S9_NS6_6detail15normal_iteratorINS6_10device_ptrIyEEEENSD_INSE_IjEEEESG_SI_PmS8_NS6_8equal_toIyEEEE10hipError_tPvRmT2_T3_mT4_T5_T6_T7_T8_P12ihipStream_tbENKUlT_T0_E_clISt17integral_constantIbLb0EES13_EEDaSY_SZ_EUlSY_E_NS1_11comp_targetILNS1_3genE2ELNS1_11target_archE906ELNS1_3gpuE6ELNS1_3repE0EEENS1_30default_config_static_selectorELNS0_4arch9wavefront6targetE0EEEvT1_ ; -- Begin function _ZN7rocprim17ROCPRIM_400000_NS6detail17trampoline_kernelINS0_14default_configENS1_29reduce_by_key_config_selectorIyjN6thrust23THRUST_200600_302600_NS4plusIjEEEEZZNS1_33reduce_by_key_impl_wrapped_configILNS1_25lookback_scan_determinismE0ES3_S9_NS6_6detail15normal_iteratorINS6_10device_ptrIyEEEENSD_INSE_IjEEEESG_SI_PmS8_NS6_8equal_toIyEEEE10hipError_tPvRmT2_T3_mT4_T5_T6_T7_T8_P12ihipStream_tbENKUlT_T0_E_clISt17integral_constantIbLb0EES13_EEDaSY_SZ_EUlSY_E_NS1_11comp_targetILNS1_3genE2ELNS1_11target_archE906ELNS1_3gpuE6ELNS1_3repE0EEENS1_30default_config_static_selectorELNS0_4arch9wavefront6targetE0EEEvT1_
	.globl	_ZN7rocprim17ROCPRIM_400000_NS6detail17trampoline_kernelINS0_14default_configENS1_29reduce_by_key_config_selectorIyjN6thrust23THRUST_200600_302600_NS4plusIjEEEEZZNS1_33reduce_by_key_impl_wrapped_configILNS1_25lookback_scan_determinismE0ES3_S9_NS6_6detail15normal_iteratorINS6_10device_ptrIyEEEENSD_INSE_IjEEEESG_SI_PmS8_NS6_8equal_toIyEEEE10hipError_tPvRmT2_T3_mT4_T5_T6_T7_T8_P12ihipStream_tbENKUlT_T0_E_clISt17integral_constantIbLb0EES13_EEDaSY_SZ_EUlSY_E_NS1_11comp_targetILNS1_3genE2ELNS1_11target_archE906ELNS1_3gpuE6ELNS1_3repE0EEENS1_30default_config_static_selectorELNS0_4arch9wavefront6targetE0EEEvT1_
	.p2align	8
	.type	_ZN7rocprim17ROCPRIM_400000_NS6detail17trampoline_kernelINS0_14default_configENS1_29reduce_by_key_config_selectorIyjN6thrust23THRUST_200600_302600_NS4plusIjEEEEZZNS1_33reduce_by_key_impl_wrapped_configILNS1_25lookback_scan_determinismE0ES3_S9_NS6_6detail15normal_iteratorINS6_10device_ptrIyEEEENSD_INSE_IjEEEESG_SI_PmS8_NS6_8equal_toIyEEEE10hipError_tPvRmT2_T3_mT4_T5_T6_T7_T8_P12ihipStream_tbENKUlT_T0_E_clISt17integral_constantIbLb0EES13_EEDaSY_SZ_EUlSY_E_NS1_11comp_targetILNS1_3genE2ELNS1_11target_archE906ELNS1_3gpuE6ELNS1_3repE0EEENS1_30default_config_static_selectorELNS0_4arch9wavefront6targetE0EEEvT1_,@function
_ZN7rocprim17ROCPRIM_400000_NS6detail17trampoline_kernelINS0_14default_configENS1_29reduce_by_key_config_selectorIyjN6thrust23THRUST_200600_302600_NS4plusIjEEEEZZNS1_33reduce_by_key_impl_wrapped_configILNS1_25lookback_scan_determinismE0ES3_S9_NS6_6detail15normal_iteratorINS6_10device_ptrIyEEEENSD_INSE_IjEEEESG_SI_PmS8_NS6_8equal_toIyEEEE10hipError_tPvRmT2_T3_mT4_T5_T6_T7_T8_P12ihipStream_tbENKUlT_T0_E_clISt17integral_constantIbLb0EES13_EEDaSY_SZ_EUlSY_E_NS1_11comp_targetILNS1_3genE2ELNS1_11target_archE906ELNS1_3gpuE6ELNS1_3repE0EEENS1_30default_config_static_selectorELNS0_4arch9wavefront6targetE0EEEvT1_: ; @_ZN7rocprim17ROCPRIM_400000_NS6detail17trampoline_kernelINS0_14default_configENS1_29reduce_by_key_config_selectorIyjN6thrust23THRUST_200600_302600_NS4plusIjEEEEZZNS1_33reduce_by_key_impl_wrapped_configILNS1_25lookback_scan_determinismE0ES3_S9_NS6_6detail15normal_iteratorINS6_10device_ptrIyEEEENSD_INSE_IjEEEESG_SI_PmS8_NS6_8equal_toIyEEEE10hipError_tPvRmT2_T3_mT4_T5_T6_T7_T8_P12ihipStream_tbENKUlT_T0_E_clISt17integral_constantIbLb0EES13_EEDaSY_SZ_EUlSY_E_NS1_11comp_targetILNS1_3genE2ELNS1_11target_archE906ELNS1_3gpuE6ELNS1_3repE0EEENS1_30default_config_static_selectorELNS0_4arch9wavefront6targetE0EEEvT1_
; %bb.0:
	.section	.rodata,"a",@progbits
	.p2align	6, 0x0
	.amdhsa_kernel _ZN7rocprim17ROCPRIM_400000_NS6detail17trampoline_kernelINS0_14default_configENS1_29reduce_by_key_config_selectorIyjN6thrust23THRUST_200600_302600_NS4plusIjEEEEZZNS1_33reduce_by_key_impl_wrapped_configILNS1_25lookback_scan_determinismE0ES3_S9_NS6_6detail15normal_iteratorINS6_10device_ptrIyEEEENSD_INSE_IjEEEESG_SI_PmS8_NS6_8equal_toIyEEEE10hipError_tPvRmT2_T3_mT4_T5_T6_T7_T8_P12ihipStream_tbENKUlT_T0_E_clISt17integral_constantIbLb0EES13_EEDaSY_SZ_EUlSY_E_NS1_11comp_targetILNS1_3genE2ELNS1_11target_archE906ELNS1_3gpuE6ELNS1_3repE0EEENS1_30default_config_static_selectorELNS0_4arch9wavefront6targetE0EEEvT1_
		.amdhsa_group_segment_fixed_size 0
		.amdhsa_private_segment_fixed_size 0
		.amdhsa_kernarg_size 120
		.amdhsa_user_sgpr_count 15
		.amdhsa_user_sgpr_dispatch_ptr 0
		.amdhsa_user_sgpr_queue_ptr 0
		.amdhsa_user_sgpr_kernarg_segment_ptr 1
		.amdhsa_user_sgpr_dispatch_id 0
		.amdhsa_user_sgpr_private_segment_size 0
		.amdhsa_wavefront_size32 1
		.amdhsa_uses_dynamic_stack 0
		.amdhsa_enable_private_segment 0
		.amdhsa_system_sgpr_workgroup_id_x 1
		.amdhsa_system_sgpr_workgroup_id_y 0
		.amdhsa_system_sgpr_workgroup_id_z 0
		.amdhsa_system_sgpr_workgroup_info 0
		.amdhsa_system_vgpr_workitem_id 0
		.amdhsa_next_free_vgpr 1
		.amdhsa_next_free_sgpr 1
		.amdhsa_reserve_vcc 0
		.amdhsa_float_round_mode_32 0
		.amdhsa_float_round_mode_16_64 0
		.amdhsa_float_denorm_mode_32 3
		.amdhsa_float_denorm_mode_16_64 3
		.amdhsa_dx10_clamp 1
		.amdhsa_ieee_mode 1
		.amdhsa_fp16_overflow 0
		.amdhsa_workgroup_processor_mode 1
		.amdhsa_memory_ordered 1
		.amdhsa_forward_progress 0
		.amdhsa_shared_vgpr_count 0
		.amdhsa_exception_fp_ieee_invalid_op 0
		.amdhsa_exception_fp_denorm_src 0
		.amdhsa_exception_fp_ieee_div_zero 0
		.amdhsa_exception_fp_ieee_overflow 0
		.amdhsa_exception_fp_ieee_underflow 0
		.amdhsa_exception_fp_ieee_inexact 0
		.amdhsa_exception_int_div_zero 0
	.end_amdhsa_kernel
	.section	.text._ZN7rocprim17ROCPRIM_400000_NS6detail17trampoline_kernelINS0_14default_configENS1_29reduce_by_key_config_selectorIyjN6thrust23THRUST_200600_302600_NS4plusIjEEEEZZNS1_33reduce_by_key_impl_wrapped_configILNS1_25lookback_scan_determinismE0ES3_S9_NS6_6detail15normal_iteratorINS6_10device_ptrIyEEEENSD_INSE_IjEEEESG_SI_PmS8_NS6_8equal_toIyEEEE10hipError_tPvRmT2_T3_mT4_T5_T6_T7_T8_P12ihipStream_tbENKUlT_T0_E_clISt17integral_constantIbLb0EES13_EEDaSY_SZ_EUlSY_E_NS1_11comp_targetILNS1_3genE2ELNS1_11target_archE906ELNS1_3gpuE6ELNS1_3repE0EEENS1_30default_config_static_selectorELNS0_4arch9wavefront6targetE0EEEvT1_,"axG",@progbits,_ZN7rocprim17ROCPRIM_400000_NS6detail17trampoline_kernelINS0_14default_configENS1_29reduce_by_key_config_selectorIyjN6thrust23THRUST_200600_302600_NS4plusIjEEEEZZNS1_33reduce_by_key_impl_wrapped_configILNS1_25lookback_scan_determinismE0ES3_S9_NS6_6detail15normal_iteratorINS6_10device_ptrIyEEEENSD_INSE_IjEEEESG_SI_PmS8_NS6_8equal_toIyEEEE10hipError_tPvRmT2_T3_mT4_T5_T6_T7_T8_P12ihipStream_tbENKUlT_T0_E_clISt17integral_constantIbLb0EES13_EEDaSY_SZ_EUlSY_E_NS1_11comp_targetILNS1_3genE2ELNS1_11target_archE906ELNS1_3gpuE6ELNS1_3repE0EEENS1_30default_config_static_selectorELNS0_4arch9wavefront6targetE0EEEvT1_,comdat
.Lfunc_end701:
	.size	_ZN7rocprim17ROCPRIM_400000_NS6detail17trampoline_kernelINS0_14default_configENS1_29reduce_by_key_config_selectorIyjN6thrust23THRUST_200600_302600_NS4plusIjEEEEZZNS1_33reduce_by_key_impl_wrapped_configILNS1_25lookback_scan_determinismE0ES3_S9_NS6_6detail15normal_iteratorINS6_10device_ptrIyEEEENSD_INSE_IjEEEESG_SI_PmS8_NS6_8equal_toIyEEEE10hipError_tPvRmT2_T3_mT4_T5_T6_T7_T8_P12ihipStream_tbENKUlT_T0_E_clISt17integral_constantIbLb0EES13_EEDaSY_SZ_EUlSY_E_NS1_11comp_targetILNS1_3genE2ELNS1_11target_archE906ELNS1_3gpuE6ELNS1_3repE0EEENS1_30default_config_static_selectorELNS0_4arch9wavefront6targetE0EEEvT1_, .Lfunc_end701-_ZN7rocprim17ROCPRIM_400000_NS6detail17trampoline_kernelINS0_14default_configENS1_29reduce_by_key_config_selectorIyjN6thrust23THRUST_200600_302600_NS4plusIjEEEEZZNS1_33reduce_by_key_impl_wrapped_configILNS1_25lookback_scan_determinismE0ES3_S9_NS6_6detail15normal_iteratorINS6_10device_ptrIyEEEENSD_INSE_IjEEEESG_SI_PmS8_NS6_8equal_toIyEEEE10hipError_tPvRmT2_T3_mT4_T5_T6_T7_T8_P12ihipStream_tbENKUlT_T0_E_clISt17integral_constantIbLb0EES13_EEDaSY_SZ_EUlSY_E_NS1_11comp_targetILNS1_3genE2ELNS1_11target_archE906ELNS1_3gpuE6ELNS1_3repE0EEENS1_30default_config_static_selectorELNS0_4arch9wavefront6targetE0EEEvT1_
                                        ; -- End function
	.section	.AMDGPU.csdata,"",@progbits
; Kernel info:
; codeLenInByte = 0
; NumSgprs: 0
; NumVgprs: 0
; ScratchSize: 0
; MemoryBound: 0
; FloatMode: 240
; IeeeMode: 1
; LDSByteSize: 0 bytes/workgroup (compile time only)
; SGPRBlocks: 0
; VGPRBlocks: 0
; NumSGPRsForWavesPerEU: 1
; NumVGPRsForWavesPerEU: 1
; Occupancy: 16
; WaveLimiterHint : 0
; COMPUTE_PGM_RSRC2:SCRATCH_EN: 0
; COMPUTE_PGM_RSRC2:USER_SGPR: 15
; COMPUTE_PGM_RSRC2:TRAP_HANDLER: 0
; COMPUTE_PGM_RSRC2:TGID_X_EN: 1
; COMPUTE_PGM_RSRC2:TGID_Y_EN: 0
; COMPUTE_PGM_RSRC2:TGID_Z_EN: 0
; COMPUTE_PGM_RSRC2:TIDIG_COMP_CNT: 0
	.section	.text._ZN7rocprim17ROCPRIM_400000_NS6detail17trampoline_kernelINS0_14default_configENS1_29reduce_by_key_config_selectorIyjN6thrust23THRUST_200600_302600_NS4plusIjEEEEZZNS1_33reduce_by_key_impl_wrapped_configILNS1_25lookback_scan_determinismE0ES3_S9_NS6_6detail15normal_iteratorINS6_10device_ptrIyEEEENSD_INSE_IjEEEESG_SI_PmS8_NS6_8equal_toIyEEEE10hipError_tPvRmT2_T3_mT4_T5_T6_T7_T8_P12ihipStream_tbENKUlT_T0_E_clISt17integral_constantIbLb0EES13_EEDaSY_SZ_EUlSY_E_NS1_11comp_targetILNS1_3genE10ELNS1_11target_archE1201ELNS1_3gpuE5ELNS1_3repE0EEENS1_30default_config_static_selectorELNS0_4arch9wavefront6targetE0EEEvT1_,"axG",@progbits,_ZN7rocprim17ROCPRIM_400000_NS6detail17trampoline_kernelINS0_14default_configENS1_29reduce_by_key_config_selectorIyjN6thrust23THRUST_200600_302600_NS4plusIjEEEEZZNS1_33reduce_by_key_impl_wrapped_configILNS1_25lookback_scan_determinismE0ES3_S9_NS6_6detail15normal_iteratorINS6_10device_ptrIyEEEENSD_INSE_IjEEEESG_SI_PmS8_NS6_8equal_toIyEEEE10hipError_tPvRmT2_T3_mT4_T5_T6_T7_T8_P12ihipStream_tbENKUlT_T0_E_clISt17integral_constantIbLb0EES13_EEDaSY_SZ_EUlSY_E_NS1_11comp_targetILNS1_3genE10ELNS1_11target_archE1201ELNS1_3gpuE5ELNS1_3repE0EEENS1_30default_config_static_selectorELNS0_4arch9wavefront6targetE0EEEvT1_,comdat
	.protected	_ZN7rocprim17ROCPRIM_400000_NS6detail17trampoline_kernelINS0_14default_configENS1_29reduce_by_key_config_selectorIyjN6thrust23THRUST_200600_302600_NS4plusIjEEEEZZNS1_33reduce_by_key_impl_wrapped_configILNS1_25lookback_scan_determinismE0ES3_S9_NS6_6detail15normal_iteratorINS6_10device_ptrIyEEEENSD_INSE_IjEEEESG_SI_PmS8_NS6_8equal_toIyEEEE10hipError_tPvRmT2_T3_mT4_T5_T6_T7_T8_P12ihipStream_tbENKUlT_T0_E_clISt17integral_constantIbLb0EES13_EEDaSY_SZ_EUlSY_E_NS1_11comp_targetILNS1_3genE10ELNS1_11target_archE1201ELNS1_3gpuE5ELNS1_3repE0EEENS1_30default_config_static_selectorELNS0_4arch9wavefront6targetE0EEEvT1_ ; -- Begin function _ZN7rocprim17ROCPRIM_400000_NS6detail17trampoline_kernelINS0_14default_configENS1_29reduce_by_key_config_selectorIyjN6thrust23THRUST_200600_302600_NS4plusIjEEEEZZNS1_33reduce_by_key_impl_wrapped_configILNS1_25lookback_scan_determinismE0ES3_S9_NS6_6detail15normal_iteratorINS6_10device_ptrIyEEEENSD_INSE_IjEEEESG_SI_PmS8_NS6_8equal_toIyEEEE10hipError_tPvRmT2_T3_mT4_T5_T6_T7_T8_P12ihipStream_tbENKUlT_T0_E_clISt17integral_constantIbLb0EES13_EEDaSY_SZ_EUlSY_E_NS1_11comp_targetILNS1_3genE10ELNS1_11target_archE1201ELNS1_3gpuE5ELNS1_3repE0EEENS1_30default_config_static_selectorELNS0_4arch9wavefront6targetE0EEEvT1_
	.globl	_ZN7rocprim17ROCPRIM_400000_NS6detail17trampoline_kernelINS0_14default_configENS1_29reduce_by_key_config_selectorIyjN6thrust23THRUST_200600_302600_NS4plusIjEEEEZZNS1_33reduce_by_key_impl_wrapped_configILNS1_25lookback_scan_determinismE0ES3_S9_NS6_6detail15normal_iteratorINS6_10device_ptrIyEEEENSD_INSE_IjEEEESG_SI_PmS8_NS6_8equal_toIyEEEE10hipError_tPvRmT2_T3_mT4_T5_T6_T7_T8_P12ihipStream_tbENKUlT_T0_E_clISt17integral_constantIbLb0EES13_EEDaSY_SZ_EUlSY_E_NS1_11comp_targetILNS1_3genE10ELNS1_11target_archE1201ELNS1_3gpuE5ELNS1_3repE0EEENS1_30default_config_static_selectorELNS0_4arch9wavefront6targetE0EEEvT1_
	.p2align	8
	.type	_ZN7rocprim17ROCPRIM_400000_NS6detail17trampoline_kernelINS0_14default_configENS1_29reduce_by_key_config_selectorIyjN6thrust23THRUST_200600_302600_NS4plusIjEEEEZZNS1_33reduce_by_key_impl_wrapped_configILNS1_25lookback_scan_determinismE0ES3_S9_NS6_6detail15normal_iteratorINS6_10device_ptrIyEEEENSD_INSE_IjEEEESG_SI_PmS8_NS6_8equal_toIyEEEE10hipError_tPvRmT2_T3_mT4_T5_T6_T7_T8_P12ihipStream_tbENKUlT_T0_E_clISt17integral_constantIbLb0EES13_EEDaSY_SZ_EUlSY_E_NS1_11comp_targetILNS1_3genE10ELNS1_11target_archE1201ELNS1_3gpuE5ELNS1_3repE0EEENS1_30default_config_static_selectorELNS0_4arch9wavefront6targetE0EEEvT1_,@function
_ZN7rocprim17ROCPRIM_400000_NS6detail17trampoline_kernelINS0_14default_configENS1_29reduce_by_key_config_selectorIyjN6thrust23THRUST_200600_302600_NS4plusIjEEEEZZNS1_33reduce_by_key_impl_wrapped_configILNS1_25lookback_scan_determinismE0ES3_S9_NS6_6detail15normal_iteratorINS6_10device_ptrIyEEEENSD_INSE_IjEEEESG_SI_PmS8_NS6_8equal_toIyEEEE10hipError_tPvRmT2_T3_mT4_T5_T6_T7_T8_P12ihipStream_tbENKUlT_T0_E_clISt17integral_constantIbLb0EES13_EEDaSY_SZ_EUlSY_E_NS1_11comp_targetILNS1_3genE10ELNS1_11target_archE1201ELNS1_3gpuE5ELNS1_3repE0EEENS1_30default_config_static_selectorELNS0_4arch9wavefront6targetE0EEEvT1_: ; @_ZN7rocprim17ROCPRIM_400000_NS6detail17trampoline_kernelINS0_14default_configENS1_29reduce_by_key_config_selectorIyjN6thrust23THRUST_200600_302600_NS4plusIjEEEEZZNS1_33reduce_by_key_impl_wrapped_configILNS1_25lookback_scan_determinismE0ES3_S9_NS6_6detail15normal_iteratorINS6_10device_ptrIyEEEENSD_INSE_IjEEEESG_SI_PmS8_NS6_8equal_toIyEEEE10hipError_tPvRmT2_T3_mT4_T5_T6_T7_T8_P12ihipStream_tbENKUlT_T0_E_clISt17integral_constantIbLb0EES13_EEDaSY_SZ_EUlSY_E_NS1_11comp_targetILNS1_3genE10ELNS1_11target_archE1201ELNS1_3gpuE5ELNS1_3repE0EEENS1_30default_config_static_selectorELNS0_4arch9wavefront6targetE0EEEvT1_
; %bb.0:
	.section	.rodata,"a",@progbits
	.p2align	6, 0x0
	.amdhsa_kernel _ZN7rocprim17ROCPRIM_400000_NS6detail17trampoline_kernelINS0_14default_configENS1_29reduce_by_key_config_selectorIyjN6thrust23THRUST_200600_302600_NS4plusIjEEEEZZNS1_33reduce_by_key_impl_wrapped_configILNS1_25lookback_scan_determinismE0ES3_S9_NS6_6detail15normal_iteratorINS6_10device_ptrIyEEEENSD_INSE_IjEEEESG_SI_PmS8_NS6_8equal_toIyEEEE10hipError_tPvRmT2_T3_mT4_T5_T6_T7_T8_P12ihipStream_tbENKUlT_T0_E_clISt17integral_constantIbLb0EES13_EEDaSY_SZ_EUlSY_E_NS1_11comp_targetILNS1_3genE10ELNS1_11target_archE1201ELNS1_3gpuE5ELNS1_3repE0EEENS1_30default_config_static_selectorELNS0_4arch9wavefront6targetE0EEEvT1_
		.amdhsa_group_segment_fixed_size 0
		.amdhsa_private_segment_fixed_size 0
		.amdhsa_kernarg_size 120
		.amdhsa_user_sgpr_count 15
		.amdhsa_user_sgpr_dispatch_ptr 0
		.amdhsa_user_sgpr_queue_ptr 0
		.amdhsa_user_sgpr_kernarg_segment_ptr 1
		.amdhsa_user_sgpr_dispatch_id 0
		.amdhsa_user_sgpr_private_segment_size 0
		.amdhsa_wavefront_size32 1
		.amdhsa_uses_dynamic_stack 0
		.amdhsa_enable_private_segment 0
		.amdhsa_system_sgpr_workgroup_id_x 1
		.amdhsa_system_sgpr_workgroup_id_y 0
		.amdhsa_system_sgpr_workgroup_id_z 0
		.amdhsa_system_sgpr_workgroup_info 0
		.amdhsa_system_vgpr_workitem_id 0
		.amdhsa_next_free_vgpr 1
		.amdhsa_next_free_sgpr 1
		.amdhsa_reserve_vcc 0
		.amdhsa_float_round_mode_32 0
		.amdhsa_float_round_mode_16_64 0
		.amdhsa_float_denorm_mode_32 3
		.amdhsa_float_denorm_mode_16_64 3
		.amdhsa_dx10_clamp 1
		.amdhsa_ieee_mode 1
		.amdhsa_fp16_overflow 0
		.amdhsa_workgroup_processor_mode 1
		.amdhsa_memory_ordered 1
		.amdhsa_forward_progress 0
		.amdhsa_shared_vgpr_count 0
		.amdhsa_exception_fp_ieee_invalid_op 0
		.amdhsa_exception_fp_denorm_src 0
		.amdhsa_exception_fp_ieee_div_zero 0
		.amdhsa_exception_fp_ieee_overflow 0
		.amdhsa_exception_fp_ieee_underflow 0
		.amdhsa_exception_fp_ieee_inexact 0
		.amdhsa_exception_int_div_zero 0
	.end_amdhsa_kernel
	.section	.text._ZN7rocprim17ROCPRIM_400000_NS6detail17trampoline_kernelINS0_14default_configENS1_29reduce_by_key_config_selectorIyjN6thrust23THRUST_200600_302600_NS4plusIjEEEEZZNS1_33reduce_by_key_impl_wrapped_configILNS1_25lookback_scan_determinismE0ES3_S9_NS6_6detail15normal_iteratorINS6_10device_ptrIyEEEENSD_INSE_IjEEEESG_SI_PmS8_NS6_8equal_toIyEEEE10hipError_tPvRmT2_T3_mT4_T5_T6_T7_T8_P12ihipStream_tbENKUlT_T0_E_clISt17integral_constantIbLb0EES13_EEDaSY_SZ_EUlSY_E_NS1_11comp_targetILNS1_3genE10ELNS1_11target_archE1201ELNS1_3gpuE5ELNS1_3repE0EEENS1_30default_config_static_selectorELNS0_4arch9wavefront6targetE0EEEvT1_,"axG",@progbits,_ZN7rocprim17ROCPRIM_400000_NS6detail17trampoline_kernelINS0_14default_configENS1_29reduce_by_key_config_selectorIyjN6thrust23THRUST_200600_302600_NS4plusIjEEEEZZNS1_33reduce_by_key_impl_wrapped_configILNS1_25lookback_scan_determinismE0ES3_S9_NS6_6detail15normal_iteratorINS6_10device_ptrIyEEEENSD_INSE_IjEEEESG_SI_PmS8_NS6_8equal_toIyEEEE10hipError_tPvRmT2_T3_mT4_T5_T6_T7_T8_P12ihipStream_tbENKUlT_T0_E_clISt17integral_constantIbLb0EES13_EEDaSY_SZ_EUlSY_E_NS1_11comp_targetILNS1_3genE10ELNS1_11target_archE1201ELNS1_3gpuE5ELNS1_3repE0EEENS1_30default_config_static_selectorELNS0_4arch9wavefront6targetE0EEEvT1_,comdat
.Lfunc_end702:
	.size	_ZN7rocprim17ROCPRIM_400000_NS6detail17trampoline_kernelINS0_14default_configENS1_29reduce_by_key_config_selectorIyjN6thrust23THRUST_200600_302600_NS4plusIjEEEEZZNS1_33reduce_by_key_impl_wrapped_configILNS1_25lookback_scan_determinismE0ES3_S9_NS6_6detail15normal_iteratorINS6_10device_ptrIyEEEENSD_INSE_IjEEEESG_SI_PmS8_NS6_8equal_toIyEEEE10hipError_tPvRmT2_T3_mT4_T5_T6_T7_T8_P12ihipStream_tbENKUlT_T0_E_clISt17integral_constantIbLb0EES13_EEDaSY_SZ_EUlSY_E_NS1_11comp_targetILNS1_3genE10ELNS1_11target_archE1201ELNS1_3gpuE5ELNS1_3repE0EEENS1_30default_config_static_selectorELNS0_4arch9wavefront6targetE0EEEvT1_, .Lfunc_end702-_ZN7rocprim17ROCPRIM_400000_NS6detail17trampoline_kernelINS0_14default_configENS1_29reduce_by_key_config_selectorIyjN6thrust23THRUST_200600_302600_NS4plusIjEEEEZZNS1_33reduce_by_key_impl_wrapped_configILNS1_25lookback_scan_determinismE0ES3_S9_NS6_6detail15normal_iteratorINS6_10device_ptrIyEEEENSD_INSE_IjEEEESG_SI_PmS8_NS6_8equal_toIyEEEE10hipError_tPvRmT2_T3_mT4_T5_T6_T7_T8_P12ihipStream_tbENKUlT_T0_E_clISt17integral_constantIbLb0EES13_EEDaSY_SZ_EUlSY_E_NS1_11comp_targetILNS1_3genE10ELNS1_11target_archE1201ELNS1_3gpuE5ELNS1_3repE0EEENS1_30default_config_static_selectorELNS0_4arch9wavefront6targetE0EEEvT1_
                                        ; -- End function
	.section	.AMDGPU.csdata,"",@progbits
; Kernel info:
; codeLenInByte = 0
; NumSgprs: 0
; NumVgprs: 0
; ScratchSize: 0
; MemoryBound: 0
; FloatMode: 240
; IeeeMode: 1
; LDSByteSize: 0 bytes/workgroup (compile time only)
; SGPRBlocks: 0
; VGPRBlocks: 0
; NumSGPRsForWavesPerEU: 1
; NumVGPRsForWavesPerEU: 1
; Occupancy: 16
; WaveLimiterHint : 0
; COMPUTE_PGM_RSRC2:SCRATCH_EN: 0
; COMPUTE_PGM_RSRC2:USER_SGPR: 15
; COMPUTE_PGM_RSRC2:TRAP_HANDLER: 0
; COMPUTE_PGM_RSRC2:TGID_X_EN: 1
; COMPUTE_PGM_RSRC2:TGID_Y_EN: 0
; COMPUTE_PGM_RSRC2:TGID_Z_EN: 0
; COMPUTE_PGM_RSRC2:TIDIG_COMP_CNT: 0
	.section	.text._ZN7rocprim17ROCPRIM_400000_NS6detail17trampoline_kernelINS0_14default_configENS1_29reduce_by_key_config_selectorIyjN6thrust23THRUST_200600_302600_NS4plusIjEEEEZZNS1_33reduce_by_key_impl_wrapped_configILNS1_25lookback_scan_determinismE0ES3_S9_NS6_6detail15normal_iteratorINS6_10device_ptrIyEEEENSD_INSE_IjEEEESG_SI_PmS8_NS6_8equal_toIyEEEE10hipError_tPvRmT2_T3_mT4_T5_T6_T7_T8_P12ihipStream_tbENKUlT_T0_E_clISt17integral_constantIbLb0EES13_EEDaSY_SZ_EUlSY_E_NS1_11comp_targetILNS1_3genE10ELNS1_11target_archE1200ELNS1_3gpuE4ELNS1_3repE0EEENS1_30default_config_static_selectorELNS0_4arch9wavefront6targetE0EEEvT1_,"axG",@progbits,_ZN7rocprim17ROCPRIM_400000_NS6detail17trampoline_kernelINS0_14default_configENS1_29reduce_by_key_config_selectorIyjN6thrust23THRUST_200600_302600_NS4plusIjEEEEZZNS1_33reduce_by_key_impl_wrapped_configILNS1_25lookback_scan_determinismE0ES3_S9_NS6_6detail15normal_iteratorINS6_10device_ptrIyEEEENSD_INSE_IjEEEESG_SI_PmS8_NS6_8equal_toIyEEEE10hipError_tPvRmT2_T3_mT4_T5_T6_T7_T8_P12ihipStream_tbENKUlT_T0_E_clISt17integral_constantIbLb0EES13_EEDaSY_SZ_EUlSY_E_NS1_11comp_targetILNS1_3genE10ELNS1_11target_archE1200ELNS1_3gpuE4ELNS1_3repE0EEENS1_30default_config_static_selectorELNS0_4arch9wavefront6targetE0EEEvT1_,comdat
	.protected	_ZN7rocprim17ROCPRIM_400000_NS6detail17trampoline_kernelINS0_14default_configENS1_29reduce_by_key_config_selectorIyjN6thrust23THRUST_200600_302600_NS4plusIjEEEEZZNS1_33reduce_by_key_impl_wrapped_configILNS1_25lookback_scan_determinismE0ES3_S9_NS6_6detail15normal_iteratorINS6_10device_ptrIyEEEENSD_INSE_IjEEEESG_SI_PmS8_NS6_8equal_toIyEEEE10hipError_tPvRmT2_T3_mT4_T5_T6_T7_T8_P12ihipStream_tbENKUlT_T0_E_clISt17integral_constantIbLb0EES13_EEDaSY_SZ_EUlSY_E_NS1_11comp_targetILNS1_3genE10ELNS1_11target_archE1200ELNS1_3gpuE4ELNS1_3repE0EEENS1_30default_config_static_selectorELNS0_4arch9wavefront6targetE0EEEvT1_ ; -- Begin function _ZN7rocprim17ROCPRIM_400000_NS6detail17trampoline_kernelINS0_14default_configENS1_29reduce_by_key_config_selectorIyjN6thrust23THRUST_200600_302600_NS4plusIjEEEEZZNS1_33reduce_by_key_impl_wrapped_configILNS1_25lookback_scan_determinismE0ES3_S9_NS6_6detail15normal_iteratorINS6_10device_ptrIyEEEENSD_INSE_IjEEEESG_SI_PmS8_NS6_8equal_toIyEEEE10hipError_tPvRmT2_T3_mT4_T5_T6_T7_T8_P12ihipStream_tbENKUlT_T0_E_clISt17integral_constantIbLb0EES13_EEDaSY_SZ_EUlSY_E_NS1_11comp_targetILNS1_3genE10ELNS1_11target_archE1200ELNS1_3gpuE4ELNS1_3repE0EEENS1_30default_config_static_selectorELNS0_4arch9wavefront6targetE0EEEvT1_
	.globl	_ZN7rocprim17ROCPRIM_400000_NS6detail17trampoline_kernelINS0_14default_configENS1_29reduce_by_key_config_selectorIyjN6thrust23THRUST_200600_302600_NS4plusIjEEEEZZNS1_33reduce_by_key_impl_wrapped_configILNS1_25lookback_scan_determinismE0ES3_S9_NS6_6detail15normal_iteratorINS6_10device_ptrIyEEEENSD_INSE_IjEEEESG_SI_PmS8_NS6_8equal_toIyEEEE10hipError_tPvRmT2_T3_mT4_T5_T6_T7_T8_P12ihipStream_tbENKUlT_T0_E_clISt17integral_constantIbLb0EES13_EEDaSY_SZ_EUlSY_E_NS1_11comp_targetILNS1_3genE10ELNS1_11target_archE1200ELNS1_3gpuE4ELNS1_3repE0EEENS1_30default_config_static_selectorELNS0_4arch9wavefront6targetE0EEEvT1_
	.p2align	8
	.type	_ZN7rocprim17ROCPRIM_400000_NS6detail17trampoline_kernelINS0_14default_configENS1_29reduce_by_key_config_selectorIyjN6thrust23THRUST_200600_302600_NS4plusIjEEEEZZNS1_33reduce_by_key_impl_wrapped_configILNS1_25lookback_scan_determinismE0ES3_S9_NS6_6detail15normal_iteratorINS6_10device_ptrIyEEEENSD_INSE_IjEEEESG_SI_PmS8_NS6_8equal_toIyEEEE10hipError_tPvRmT2_T3_mT4_T5_T6_T7_T8_P12ihipStream_tbENKUlT_T0_E_clISt17integral_constantIbLb0EES13_EEDaSY_SZ_EUlSY_E_NS1_11comp_targetILNS1_3genE10ELNS1_11target_archE1200ELNS1_3gpuE4ELNS1_3repE0EEENS1_30default_config_static_selectorELNS0_4arch9wavefront6targetE0EEEvT1_,@function
_ZN7rocprim17ROCPRIM_400000_NS6detail17trampoline_kernelINS0_14default_configENS1_29reduce_by_key_config_selectorIyjN6thrust23THRUST_200600_302600_NS4plusIjEEEEZZNS1_33reduce_by_key_impl_wrapped_configILNS1_25lookback_scan_determinismE0ES3_S9_NS6_6detail15normal_iteratorINS6_10device_ptrIyEEEENSD_INSE_IjEEEESG_SI_PmS8_NS6_8equal_toIyEEEE10hipError_tPvRmT2_T3_mT4_T5_T6_T7_T8_P12ihipStream_tbENKUlT_T0_E_clISt17integral_constantIbLb0EES13_EEDaSY_SZ_EUlSY_E_NS1_11comp_targetILNS1_3genE10ELNS1_11target_archE1200ELNS1_3gpuE4ELNS1_3repE0EEENS1_30default_config_static_selectorELNS0_4arch9wavefront6targetE0EEEvT1_: ; @_ZN7rocprim17ROCPRIM_400000_NS6detail17trampoline_kernelINS0_14default_configENS1_29reduce_by_key_config_selectorIyjN6thrust23THRUST_200600_302600_NS4plusIjEEEEZZNS1_33reduce_by_key_impl_wrapped_configILNS1_25lookback_scan_determinismE0ES3_S9_NS6_6detail15normal_iteratorINS6_10device_ptrIyEEEENSD_INSE_IjEEEESG_SI_PmS8_NS6_8equal_toIyEEEE10hipError_tPvRmT2_T3_mT4_T5_T6_T7_T8_P12ihipStream_tbENKUlT_T0_E_clISt17integral_constantIbLb0EES13_EEDaSY_SZ_EUlSY_E_NS1_11comp_targetILNS1_3genE10ELNS1_11target_archE1200ELNS1_3gpuE4ELNS1_3repE0EEENS1_30default_config_static_selectorELNS0_4arch9wavefront6targetE0EEEvT1_
; %bb.0:
	.section	.rodata,"a",@progbits
	.p2align	6, 0x0
	.amdhsa_kernel _ZN7rocprim17ROCPRIM_400000_NS6detail17trampoline_kernelINS0_14default_configENS1_29reduce_by_key_config_selectorIyjN6thrust23THRUST_200600_302600_NS4plusIjEEEEZZNS1_33reduce_by_key_impl_wrapped_configILNS1_25lookback_scan_determinismE0ES3_S9_NS6_6detail15normal_iteratorINS6_10device_ptrIyEEEENSD_INSE_IjEEEESG_SI_PmS8_NS6_8equal_toIyEEEE10hipError_tPvRmT2_T3_mT4_T5_T6_T7_T8_P12ihipStream_tbENKUlT_T0_E_clISt17integral_constantIbLb0EES13_EEDaSY_SZ_EUlSY_E_NS1_11comp_targetILNS1_3genE10ELNS1_11target_archE1200ELNS1_3gpuE4ELNS1_3repE0EEENS1_30default_config_static_selectorELNS0_4arch9wavefront6targetE0EEEvT1_
		.amdhsa_group_segment_fixed_size 0
		.amdhsa_private_segment_fixed_size 0
		.amdhsa_kernarg_size 120
		.amdhsa_user_sgpr_count 15
		.amdhsa_user_sgpr_dispatch_ptr 0
		.amdhsa_user_sgpr_queue_ptr 0
		.amdhsa_user_sgpr_kernarg_segment_ptr 1
		.amdhsa_user_sgpr_dispatch_id 0
		.amdhsa_user_sgpr_private_segment_size 0
		.amdhsa_wavefront_size32 1
		.amdhsa_uses_dynamic_stack 0
		.amdhsa_enable_private_segment 0
		.amdhsa_system_sgpr_workgroup_id_x 1
		.amdhsa_system_sgpr_workgroup_id_y 0
		.amdhsa_system_sgpr_workgroup_id_z 0
		.amdhsa_system_sgpr_workgroup_info 0
		.amdhsa_system_vgpr_workitem_id 0
		.amdhsa_next_free_vgpr 1
		.amdhsa_next_free_sgpr 1
		.amdhsa_reserve_vcc 0
		.amdhsa_float_round_mode_32 0
		.amdhsa_float_round_mode_16_64 0
		.amdhsa_float_denorm_mode_32 3
		.amdhsa_float_denorm_mode_16_64 3
		.amdhsa_dx10_clamp 1
		.amdhsa_ieee_mode 1
		.amdhsa_fp16_overflow 0
		.amdhsa_workgroup_processor_mode 1
		.amdhsa_memory_ordered 1
		.amdhsa_forward_progress 0
		.amdhsa_shared_vgpr_count 0
		.amdhsa_exception_fp_ieee_invalid_op 0
		.amdhsa_exception_fp_denorm_src 0
		.amdhsa_exception_fp_ieee_div_zero 0
		.amdhsa_exception_fp_ieee_overflow 0
		.amdhsa_exception_fp_ieee_underflow 0
		.amdhsa_exception_fp_ieee_inexact 0
		.amdhsa_exception_int_div_zero 0
	.end_amdhsa_kernel
	.section	.text._ZN7rocprim17ROCPRIM_400000_NS6detail17trampoline_kernelINS0_14default_configENS1_29reduce_by_key_config_selectorIyjN6thrust23THRUST_200600_302600_NS4plusIjEEEEZZNS1_33reduce_by_key_impl_wrapped_configILNS1_25lookback_scan_determinismE0ES3_S9_NS6_6detail15normal_iteratorINS6_10device_ptrIyEEEENSD_INSE_IjEEEESG_SI_PmS8_NS6_8equal_toIyEEEE10hipError_tPvRmT2_T3_mT4_T5_T6_T7_T8_P12ihipStream_tbENKUlT_T0_E_clISt17integral_constantIbLb0EES13_EEDaSY_SZ_EUlSY_E_NS1_11comp_targetILNS1_3genE10ELNS1_11target_archE1200ELNS1_3gpuE4ELNS1_3repE0EEENS1_30default_config_static_selectorELNS0_4arch9wavefront6targetE0EEEvT1_,"axG",@progbits,_ZN7rocprim17ROCPRIM_400000_NS6detail17trampoline_kernelINS0_14default_configENS1_29reduce_by_key_config_selectorIyjN6thrust23THRUST_200600_302600_NS4plusIjEEEEZZNS1_33reduce_by_key_impl_wrapped_configILNS1_25lookback_scan_determinismE0ES3_S9_NS6_6detail15normal_iteratorINS6_10device_ptrIyEEEENSD_INSE_IjEEEESG_SI_PmS8_NS6_8equal_toIyEEEE10hipError_tPvRmT2_T3_mT4_T5_T6_T7_T8_P12ihipStream_tbENKUlT_T0_E_clISt17integral_constantIbLb0EES13_EEDaSY_SZ_EUlSY_E_NS1_11comp_targetILNS1_3genE10ELNS1_11target_archE1200ELNS1_3gpuE4ELNS1_3repE0EEENS1_30default_config_static_selectorELNS0_4arch9wavefront6targetE0EEEvT1_,comdat
.Lfunc_end703:
	.size	_ZN7rocprim17ROCPRIM_400000_NS6detail17trampoline_kernelINS0_14default_configENS1_29reduce_by_key_config_selectorIyjN6thrust23THRUST_200600_302600_NS4plusIjEEEEZZNS1_33reduce_by_key_impl_wrapped_configILNS1_25lookback_scan_determinismE0ES3_S9_NS6_6detail15normal_iteratorINS6_10device_ptrIyEEEENSD_INSE_IjEEEESG_SI_PmS8_NS6_8equal_toIyEEEE10hipError_tPvRmT2_T3_mT4_T5_T6_T7_T8_P12ihipStream_tbENKUlT_T0_E_clISt17integral_constantIbLb0EES13_EEDaSY_SZ_EUlSY_E_NS1_11comp_targetILNS1_3genE10ELNS1_11target_archE1200ELNS1_3gpuE4ELNS1_3repE0EEENS1_30default_config_static_selectorELNS0_4arch9wavefront6targetE0EEEvT1_, .Lfunc_end703-_ZN7rocprim17ROCPRIM_400000_NS6detail17trampoline_kernelINS0_14default_configENS1_29reduce_by_key_config_selectorIyjN6thrust23THRUST_200600_302600_NS4plusIjEEEEZZNS1_33reduce_by_key_impl_wrapped_configILNS1_25lookback_scan_determinismE0ES3_S9_NS6_6detail15normal_iteratorINS6_10device_ptrIyEEEENSD_INSE_IjEEEESG_SI_PmS8_NS6_8equal_toIyEEEE10hipError_tPvRmT2_T3_mT4_T5_T6_T7_T8_P12ihipStream_tbENKUlT_T0_E_clISt17integral_constantIbLb0EES13_EEDaSY_SZ_EUlSY_E_NS1_11comp_targetILNS1_3genE10ELNS1_11target_archE1200ELNS1_3gpuE4ELNS1_3repE0EEENS1_30default_config_static_selectorELNS0_4arch9wavefront6targetE0EEEvT1_
                                        ; -- End function
	.section	.AMDGPU.csdata,"",@progbits
; Kernel info:
; codeLenInByte = 0
; NumSgprs: 0
; NumVgprs: 0
; ScratchSize: 0
; MemoryBound: 0
; FloatMode: 240
; IeeeMode: 1
; LDSByteSize: 0 bytes/workgroup (compile time only)
; SGPRBlocks: 0
; VGPRBlocks: 0
; NumSGPRsForWavesPerEU: 1
; NumVGPRsForWavesPerEU: 1
; Occupancy: 16
; WaveLimiterHint : 0
; COMPUTE_PGM_RSRC2:SCRATCH_EN: 0
; COMPUTE_PGM_RSRC2:USER_SGPR: 15
; COMPUTE_PGM_RSRC2:TRAP_HANDLER: 0
; COMPUTE_PGM_RSRC2:TGID_X_EN: 1
; COMPUTE_PGM_RSRC2:TGID_Y_EN: 0
; COMPUTE_PGM_RSRC2:TGID_Z_EN: 0
; COMPUTE_PGM_RSRC2:TIDIG_COMP_CNT: 0
	.section	.text._ZN7rocprim17ROCPRIM_400000_NS6detail17trampoline_kernelINS0_14default_configENS1_29reduce_by_key_config_selectorIyjN6thrust23THRUST_200600_302600_NS4plusIjEEEEZZNS1_33reduce_by_key_impl_wrapped_configILNS1_25lookback_scan_determinismE0ES3_S9_NS6_6detail15normal_iteratorINS6_10device_ptrIyEEEENSD_INSE_IjEEEESG_SI_PmS8_NS6_8equal_toIyEEEE10hipError_tPvRmT2_T3_mT4_T5_T6_T7_T8_P12ihipStream_tbENKUlT_T0_E_clISt17integral_constantIbLb0EES13_EEDaSY_SZ_EUlSY_E_NS1_11comp_targetILNS1_3genE9ELNS1_11target_archE1100ELNS1_3gpuE3ELNS1_3repE0EEENS1_30default_config_static_selectorELNS0_4arch9wavefront6targetE0EEEvT1_,"axG",@progbits,_ZN7rocprim17ROCPRIM_400000_NS6detail17trampoline_kernelINS0_14default_configENS1_29reduce_by_key_config_selectorIyjN6thrust23THRUST_200600_302600_NS4plusIjEEEEZZNS1_33reduce_by_key_impl_wrapped_configILNS1_25lookback_scan_determinismE0ES3_S9_NS6_6detail15normal_iteratorINS6_10device_ptrIyEEEENSD_INSE_IjEEEESG_SI_PmS8_NS6_8equal_toIyEEEE10hipError_tPvRmT2_T3_mT4_T5_T6_T7_T8_P12ihipStream_tbENKUlT_T0_E_clISt17integral_constantIbLb0EES13_EEDaSY_SZ_EUlSY_E_NS1_11comp_targetILNS1_3genE9ELNS1_11target_archE1100ELNS1_3gpuE3ELNS1_3repE0EEENS1_30default_config_static_selectorELNS0_4arch9wavefront6targetE0EEEvT1_,comdat
	.protected	_ZN7rocprim17ROCPRIM_400000_NS6detail17trampoline_kernelINS0_14default_configENS1_29reduce_by_key_config_selectorIyjN6thrust23THRUST_200600_302600_NS4plusIjEEEEZZNS1_33reduce_by_key_impl_wrapped_configILNS1_25lookback_scan_determinismE0ES3_S9_NS6_6detail15normal_iteratorINS6_10device_ptrIyEEEENSD_INSE_IjEEEESG_SI_PmS8_NS6_8equal_toIyEEEE10hipError_tPvRmT2_T3_mT4_T5_T6_T7_T8_P12ihipStream_tbENKUlT_T0_E_clISt17integral_constantIbLb0EES13_EEDaSY_SZ_EUlSY_E_NS1_11comp_targetILNS1_3genE9ELNS1_11target_archE1100ELNS1_3gpuE3ELNS1_3repE0EEENS1_30default_config_static_selectorELNS0_4arch9wavefront6targetE0EEEvT1_ ; -- Begin function _ZN7rocprim17ROCPRIM_400000_NS6detail17trampoline_kernelINS0_14default_configENS1_29reduce_by_key_config_selectorIyjN6thrust23THRUST_200600_302600_NS4plusIjEEEEZZNS1_33reduce_by_key_impl_wrapped_configILNS1_25lookback_scan_determinismE0ES3_S9_NS6_6detail15normal_iteratorINS6_10device_ptrIyEEEENSD_INSE_IjEEEESG_SI_PmS8_NS6_8equal_toIyEEEE10hipError_tPvRmT2_T3_mT4_T5_T6_T7_T8_P12ihipStream_tbENKUlT_T0_E_clISt17integral_constantIbLb0EES13_EEDaSY_SZ_EUlSY_E_NS1_11comp_targetILNS1_3genE9ELNS1_11target_archE1100ELNS1_3gpuE3ELNS1_3repE0EEENS1_30default_config_static_selectorELNS0_4arch9wavefront6targetE0EEEvT1_
	.globl	_ZN7rocprim17ROCPRIM_400000_NS6detail17trampoline_kernelINS0_14default_configENS1_29reduce_by_key_config_selectorIyjN6thrust23THRUST_200600_302600_NS4plusIjEEEEZZNS1_33reduce_by_key_impl_wrapped_configILNS1_25lookback_scan_determinismE0ES3_S9_NS6_6detail15normal_iteratorINS6_10device_ptrIyEEEENSD_INSE_IjEEEESG_SI_PmS8_NS6_8equal_toIyEEEE10hipError_tPvRmT2_T3_mT4_T5_T6_T7_T8_P12ihipStream_tbENKUlT_T0_E_clISt17integral_constantIbLb0EES13_EEDaSY_SZ_EUlSY_E_NS1_11comp_targetILNS1_3genE9ELNS1_11target_archE1100ELNS1_3gpuE3ELNS1_3repE0EEENS1_30default_config_static_selectorELNS0_4arch9wavefront6targetE0EEEvT1_
	.p2align	8
	.type	_ZN7rocprim17ROCPRIM_400000_NS6detail17trampoline_kernelINS0_14default_configENS1_29reduce_by_key_config_selectorIyjN6thrust23THRUST_200600_302600_NS4plusIjEEEEZZNS1_33reduce_by_key_impl_wrapped_configILNS1_25lookback_scan_determinismE0ES3_S9_NS6_6detail15normal_iteratorINS6_10device_ptrIyEEEENSD_INSE_IjEEEESG_SI_PmS8_NS6_8equal_toIyEEEE10hipError_tPvRmT2_T3_mT4_T5_T6_T7_T8_P12ihipStream_tbENKUlT_T0_E_clISt17integral_constantIbLb0EES13_EEDaSY_SZ_EUlSY_E_NS1_11comp_targetILNS1_3genE9ELNS1_11target_archE1100ELNS1_3gpuE3ELNS1_3repE0EEENS1_30default_config_static_selectorELNS0_4arch9wavefront6targetE0EEEvT1_,@function
_ZN7rocprim17ROCPRIM_400000_NS6detail17trampoline_kernelINS0_14default_configENS1_29reduce_by_key_config_selectorIyjN6thrust23THRUST_200600_302600_NS4plusIjEEEEZZNS1_33reduce_by_key_impl_wrapped_configILNS1_25lookback_scan_determinismE0ES3_S9_NS6_6detail15normal_iteratorINS6_10device_ptrIyEEEENSD_INSE_IjEEEESG_SI_PmS8_NS6_8equal_toIyEEEE10hipError_tPvRmT2_T3_mT4_T5_T6_T7_T8_P12ihipStream_tbENKUlT_T0_E_clISt17integral_constantIbLb0EES13_EEDaSY_SZ_EUlSY_E_NS1_11comp_targetILNS1_3genE9ELNS1_11target_archE1100ELNS1_3gpuE3ELNS1_3repE0EEENS1_30default_config_static_selectorELNS0_4arch9wavefront6targetE0EEEvT1_: ; @_ZN7rocprim17ROCPRIM_400000_NS6detail17trampoline_kernelINS0_14default_configENS1_29reduce_by_key_config_selectorIyjN6thrust23THRUST_200600_302600_NS4plusIjEEEEZZNS1_33reduce_by_key_impl_wrapped_configILNS1_25lookback_scan_determinismE0ES3_S9_NS6_6detail15normal_iteratorINS6_10device_ptrIyEEEENSD_INSE_IjEEEESG_SI_PmS8_NS6_8equal_toIyEEEE10hipError_tPvRmT2_T3_mT4_T5_T6_T7_T8_P12ihipStream_tbENKUlT_T0_E_clISt17integral_constantIbLb0EES13_EEDaSY_SZ_EUlSY_E_NS1_11comp_targetILNS1_3genE9ELNS1_11target_archE1100ELNS1_3gpuE3ELNS1_3repE0EEENS1_30default_config_static_selectorELNS0_4arch9wavefront6targetE0EEEvT1_
; %bb.0:
	s_clause 0x4
	s_load_b256 s[16:23], s[0:1], 0x0
	s_load_b256 s[24:31], s[0:1], 0x38
	s_load_b128 s[36:39], s[0:1], 0x20
	s_load_b64 s[34:35], s[0:1], 0x68
	s_load_b128 s[40:43], s[0:1], 0x58
	s_mov_b32 s3, 0
	s_mul_i32 s2, s15, 0xf00
	v_mad_u32_u24 v31, v0, 15, 1
	v_mad_u32_u24 v33, v0, 15, 2
	;; [unrolled: 1-line block ×14, first 2 shown]
	s_waitcnt lgkmcnt(0)
	s_lshl_b64 s[0:1], s[18:19], 3
	s_mul_i32 s4, s28, s27
	s_add_u32 s6, s16, s0
	s_addc_u32 s7, s17, s1
	s_lshl_b64 s[0:1], s[18:19], 2
	s_mul_hi_u32 s5, s28, s26
	s_add_u32 s9, s20, s0
	s_mul_i32 s8, s29, s26
	s_addc_u32 s10, s21, s1
	s_add_i32 s4, s5, s4
	s_lshl_b64 s[0:1], s[2:3], 3
	s_add_i32 s4, s4, s8
	s_add_u32 s33, s6, s0
	s_addc_u32 s29, s7, s1
	s_lshl_b64 s[0:1], s[2:3], 2
	s_mul_i32 s2, s28, s26
	s_add_u32 s18, s9, s0
	s_addc_u32 s19, s10, s1
	s_add_u32 s16, s2, s15
	s_addc_u32 s17, s4, 0
	s_add_u32 s0, s30, -1
	s_addc_u32 s1, s31, -1
	s_mul_i32 s21, s0, 0xfffff100
	s_cmp_eq_u64 s[16:17], s[0:1]
	s_cselect_b32 s20, -1, 0
	s_cmp_lg_u64 s[16:17], s[0:1]
	s_cselect_b32 s14, -1, 0
	s_and_b32 vcc_lo, exec_lo, s20
	s_cbranch_vccnz .LBB704_2
; %bb.1:
	v_lshlrev_b32_e32 v30, 3, v0
	v_lshlrev_b32_e32 v32, 2, v0
	s_delay_alu instid0(VALU_DEP_2) | instskip(NEXT) | instid1(VALU_DEP_1)
	v_add_co_u32 v1, s0, s33, v30
	v_add_co_ci_u32_e64 v2, null, s29, 0, s0
	s_delay_alu instid0(VALU_DEP_3) | instskip(NEXT) | instid1(VALU_DEP_3)
	v_add_co_u32 v58, s0, s18, v32
	v_add_co_u32 v3, vcc_lo, 0x1000, v1
	s_delay_alu instid0(VALU_DEP_3)
	v_add_co_ci_u32_e32 v4, vcc_lo, 0, v2, vcc_lo
	v_add_co_u32 v5, vcc_lo, 0x2000, v1
	v_add_co_ci_u32_e32 v6, vcc_lo, 0, v2, vcc_lo
	v_add_co_u32 v7, vcc_lo, 0x3000, v1
	;; [unrolled: 2-line block ×5, first 2 shown]
	v_add_co_ci_u32_e32 v24, vcc_lo, 0, v2, vcc_lo
	s_clause 0x7
	flat_load_b64 v[9:10], v[1:2]
	flat_load_b64 v[11:12], v[1:2] offset:2048
	flat_load_b64 v[13:14], v[3:4]
	flat_load_b64 v[3:4], v[3:4] offset:2048
	;; [unrolled: 2-line block ×4, first 2 shown]
	v_add_co_u32 v1, vcc_lo, 0x7000, v1
	v_add_co_ci_u32_e32 v2, vcc_lo, 0, v2, vcc_lo
	s_clause 0x6
	flat_load_b64 v[25:26], v[19:20]
	flat_load_b64 v[19:20], v[19:20] offset:2048
	flat_load_b64 v[27:28], v[21:22]
	flat_load_b64 v[21:22], v[21:22] offset:2048
	;; [unrolled: 2-line block ×3, first 2 shown]
	flat_load_b64 v[1:2], v[1:2]
	v_add_co_ci_u32_e64 v59, null, s19, 0, s0
	v_add_co_u32 v60, vcc_lo, 0x1000, v58
	v_mad_u32_u24 v32, 0x70, v0, v30
	s_delay_alu instid0(VALU_DEP_3)
	v_add_co_ci_u32_e32 v61, vcc_lo, 0, v59, vcc_lo
	v_add_co_u32 v62, vcc_lo, 0x2000, v58
	v_add_co_ci_u32_e32 v63, vcc_lo, 0, v59, vcc_lo
	v_add_co_u32 v64, vcc_lo, 0x3000, v58
	v_add_co_ci_u32_e32 v65, vcc_lo, 0, v59, vcc_lo
	s_waitcnt vmcnt(13) lgkmcnt(13)
	ds_store_2addr_stride64_b64 v30, v[9:10], v[11:12] offset1:4
	s_waitcnt vmcnt(11) lgkmcnt(12)
	ds_store_2addr_stride64_b64 v30, v[13:14], v[3:4] offset0:8 offset1:12
	s_waitcnt vmcnt(9) lgkmcnt(11)
	ds_store_2addr_stride64_b64 v30, v[15:16], v[5:6] offset0:16 offset1:20
	;; [unrolled: 2-line block ×6, first 2 shown]
	s_waitcnt vmcnt(0) lgkmcnt(7)
	ds_store_b64 v30, v[1:2] offset:28672
	s_waitcnt lgkmcnt(0)
	s_barrier
	buffer_gl0_inv
	ds_load_2addr_b64 v[25:28], v32 offset1:1
	ds_load_2addr_b64 v[21:24], v32 offset0:2 offset1:3
	ds_load_2addr_b64 v[17:20], v32 offset0:4 offset1:5
	;; [unrolled: 1-line block ×6, first 2 shown]
	ds_load_b64 v[37:38], v32 offset:112
	s_waitcnt lgkmcnt(0)
	s_barrier
	buffer_gl0_inv
	s_clause 0xe
	flat_load_b32 v30, v[58:59]
	flat_load_b32 v34, v[58:59] offset:1024
	flat_load_b32 v40, v[58:59] offset:2048
	flat_load_b32 v42, v[58:59] offset:3072
	flat_load_b32 v44, v[60:61]
	flat_load_b32 v46, v[60:61] offset:1024
	flat_load_b32 v48, v[60:61] offset:2048
	flat_load_b32 v50, v[60:61] offset:3072
	;; [unrolled: 4-line block ×3, first 2 shown]
	flat_load_b32 v59, v[64:65]
	flat_load_b32 v60, v[64:65] offset:1024
	flat_load_b32 v61, v[64:65] offset:2048
	v_mad_i32_i24 v32, 0xffffff8c, v0, v32
	v_mul_u32_u24_e32 v36, 15, v0
	s_waitcnt vmcnt(13) lgkmcnt(13)
	ds_store_2addr_stride64_b32 v32, v30, v34 offset1:4
	s_waitcnt vmcnt(11) lgkmcnt(12)
	ds_store_2addr_stride64_b32 v32, v40, v42 offset0:8 offset1:12
	s_waitcnt vmcnt(9) lgkmcnt(11)
	ds_store_2addr_stride64_b32 v32, v44, v46 offset0:16 offset1:20
	;; [unrolled: 2-line block ×6, first 2 shown]
	s_waitcnt vmcnt(0) lgkmcnt(7)
	ds_store_b32 v32, v61 offset:14336
	s_waitcnt lgkmcnt(0)
	s_barrier
	s_branch .LBB704_3
.LBB704_2:
	s_mov_b32 s3, -1
                                        ; implicit-def: $vgpr36
                                        ; implicit-def: $vgpr25_vgpr26
                                        ; implicit-def: $vgpr21_vgpr22
                                        ; implicit-def: $vgpr17_vgpr18
                                        ; implicit-def: $vgpr13_vgpr14
                                        ; implicit-def: $vgpr9_vgpr10
                                        ; implicit-def: $vgpr5_vgpr6
                                        ; implicit-def: $vgpr1_vgpr2
                                        ; implicit-def: $vgpr37_vgpr38
.LBB704_3:
	v_dual_mov_b32 v30, v29 :: v_dual_mov_b32 v65, v51
	v_dual_mov_b32 v69, v57 :: v_dual_mov_b32 v70, v55
	;; [unrolled: 1-line block ×5, first 2 shown]
	v_mov_b32_e32 v64, v41
	v_mov_b32_e32 v58, v35
	;; [unrolled: 1-line block ×4, first 2 shown]
	s_and_not1_b32 vcc_lo, exec_lo, s3
	s_add_i32 s21, s21, s40
	s_cbranch_vccnz .LBB704_65
; %bb.4:
	v_cmp_gt_u32_e32 vcc_lo, s21, v0
                                        ; implicit-def: $vgpr1_vgpr2
	s_and_saveexec_b32 s0, vcc_lo
	s_cbranch_execz .LBB704_6
; %bb.5:
	v_lshlrev_b32_e32 v1, 3, v0
	s_delay_alu instid0(VALU_DEP_1) | instskip(NEXT) | instid1(VALU_DEP_1)
	v_add_co_u32 v1, s1, s33, v1
	v_add_co_ci_u32_e64 v2, null, s29, 0, s1
	flat_load_b64 v[1:2], v[1:2]
.LBB704_6:
	s_or_b32 exec_lo, exec_lo, s0
	v_or_b32_e32 v3, 0x100, v0
	s_delay_alu instid0(VALU_DEP_1) | instskip(NEXT) | instid1(VALU_DEP_1)
	v_cmp_gt_u32_e64 s0, s21, v3
                                        ; implicit-def: $vgpr3_vgpr4
	s_and_saveexec_b32 s1, s0
	s_cbranch_execz .LBB704_8
; %bb.7:
	v_lshlrev_b32_e32 v3, 3, v0
	s_delay_alu instid0(VALU_DEP_1) | instskip(NEXT) | instid1(VALU_DEP_1)
	v_add_co_u32 v3, s2, s33, v3
	v_add_co_ci_u32_e64 v4, null, s29, 0, s2
	flat_load_b64 v[3:4], v[3:4] offset:2048
.LBB704_8:
	s_or_b32 exec_lo, exec_lo, s1
	v_or_b32_e32 v7, 0x200, v0
                                        ; implicit-def: $vgpr5_vgpr6
	s_delay_alu instid0(VALU_DEP_1) | instskip(NEXT) | instid1(VALU_DEP_1)
	v_cmp_gt_u32_e64 s1, s21, v7
	s_and_saveexec_b32 s2, s1
	s_cbranch_execz .LBB704_10
; %bb.9:
	v_lshlrev_b32_e32 v5, 3, v7
	s_delay_alu instid0(VALU_DEP_1) | instskip(NEXT) | instid1(VALU_DEP_1)
	v_add_co_u32 v5, s3, s33, v5
	v_add_co_ci_u32_e64 v6, null, s29, 0, s3
	flat_load_b64 v[5:6], v[5:6]
.LBB704_10:
	s_or_b32 exec_lo, exec_lo, s2
	v_or_b32_e32 v9, 0x300, v0
                                        ; implicit-def: $vgpr7_vgpr8
	s_delay_alu instid0(VALU_DEP_1) | instskip(NEXT) | instid1(VALU_DEP_1)
	v_cmp_gt_u32_e64 s2, s21, v9
	s_and_saveexec_b32 s3, s2
	s_cbranch_execz .LBB704_12
; %bb.11:
	v_lshlrev_b32_e32 v7, 3, v9
	s_delay_alu instid0(VALU_DEP_1) | instskip(NEXT) | instid1(VALU_DEP_1)
	v_add_co_u32 v7, s4, s33, v7
	v_add_co_ci_u32_e64 v8, null, s29, 0, s4
	flat_load_b64 v[7:8], v[7:8]
.LBB704_12:
	s_or_b32 exec_lo, exec_lo, s3
	v_or_b32_e32 v40, 0x400, v0
                                        ; implicit-def: $vgpr9_vgpr10
	s_delay_alu instid0(VALU_DEP_1) | instskip(NEXT) | instid1(VALU_DEP_1)
	v_cmp_gt_u32_e64 s3, s21, v40
	s_and_saveexec_b32 s4, s3
	s_cbranch_execz .LBB704_14
; %bb.13:
	v_lshlrev_b32_e32 v9, 3, v40
	s_delay_alu instid0(VALU_DEP_1) | instskip(NEXT) | instid1(VALU_DEP_1)
	v_add_co_u32 v9, s5, s33, v9
	v_add_co_ci_u32_e64 v10, null, s29, 0, s5
	flat_load_b64 v[9:10], v[9:10]
.LBB704_14:
	s_or_b32 exec_lo, exec_lo, s4
	v_or_b32_e32 v42, 0x500, v0
                                        ; implicit-def: $vgpr11_vgpr12
	s_delay_alu instid0(VALU_DEP_1) | instskip(NEXT) | instid1(VALU_DEP_1)
	v_cmp_gt_u32_e64 s4, s21, v42
	s_and_saveexec_b32 s5, s4
	s_cbranch_execz .LBB704_16
; %bb.15:
	v_lshlrev_b32_e32 v11, 3, v42
	s_delay_alu instid0(VALU_DEP_1) | instskip(NEXT) | instid1(VALU_DEP_1)
	v_add_co_u32 v11, s6, s33, v11
	v_add_co_ci_u32_e64 v12, null, s29, 0, s6
	flat_load_b64 v[11:12], v[11:12]
.LBB704_16:
	s_or_b32 exec_lo, exec_lo, s5
	v_or_b32_e32 v44, 0x600, v0
                                        ; implicit-def: $vgpr13_vgpr14
	s_delay_alu instid0(VALU_DEP_1) | instskip(NEXT) | instid1(VALU_DEP_1)
	v_cmp_gt_u32_e64 s5, s21, v44
	s_and_saveexec_b32 s6, s5
	s_cbranch_execz .LBB704_18
; %bb.17:
	v_lshlrev_b32_e32 v13, 3, v44
	s_delay_alu instid0(VALU_DEP_1) | instskip(NEXT) | instid1(VALU_DEP_1)
	v_add_co_u32 v13, s7, s33, v13
	v_add_co_ci_u32_e64 v14, null, s29, 0, s7
	flat_load_b64 v[13:14], v[13:14]
.LBB704_18:
	s_or_b32 exec_lo, exec_lo, s6
	v_or_b32_e32 v46, 0x700, v0
                                        ; implicit-def: $vgpr15_vgpr16
	s_delay_alu instid0(VALU_DEP_1) | instskip(NEXT) | instid1(VALU_DEP_1)
	v_cmp_gt_u32_e64 s6, s21, v46
	s_and_saveexec_b32 s7, s6
	s_cbranch_execz .LBB704_20
; %bb.19:
	v_lshlrev_b32_e32 v15, 3, v46
	s_delay_alu instid0(VALU_DEP_1) | instskip(NEXT) | instid1(VALU_DEP_1)
	v_add_co_u32 v15, s8, s33, v15
	v_add_co_ci_u32_e64 v16, null, s29, 0, s8
	flat_load_b64 v[15:16], v[15:16]
.LBB704_20:
	s_or_b32 exec_lo, exec_lo, s7
	v_or_b32_e32 v50, 0x800, v0
                                        ; implicit-def: $vgpr17_vgpr18
	s_delay_alu instid0(VALU_DEP_1) | instskip(NEXT) | instid1(VALU_DEP_1)
	v_cmp_gt_u32_e64 s7, s21, v50
	s_and_saveexec_b32 s8, s7
	s_cbranch_execz .LBB704_22
; %bb.21:
	v_lshlrev_b32_e32 v17, 3, v50
	s_delay_alu instid0(VALU_DEP_1) | instskip(NEXT) | instid1(VALU_DEP_1)
	v_add_co_u32 v17, s9, s33, v17
	v_add_co_ci_u32_e64 v18, null, s29, 0, s9
	flat_load_b64 v[17:18], v[17:18]
.LBB704_22:
	s_or_b32 exec_lo, exec_lo, s8
	v_or_b32_e32 v52, 0x900, v0
                                        ; implicit-def: $vgpr19_vgpr20
	s_delay_alu instid0(VALU_DEP_1) | instskip(NEXT) | instid1(VALU_DEP_1)
	v_cmp_gt_u32_e64 s8, s21, v52
	s_and_saveexec_b32 s9, s8
	s_cbranch_execz .LBB704_24
; %bb.23:
	v_lshlrev_b32_e32 v19, 3, v52
	s_delay_alu instid0(VALU_DEP_1) | instskip(NEXT) | instid1(VALU_DEP_1)
	v_add_co_u32 v19, s10, s33, v19
	v_add_co_ci_u32_e64 v20, null, s29, 0, s10
	flat_load_b64 v[19:20], v[19:20]
.LBB704_24:
	s_or_b32 exec_lo, exec_lo, s9
	v_or_b32_e32 v54, 0xa00, v0
                                        ; implicit-def: $vgpr21_vgpr22
	s_delay_alu instid0(VALU_DEP_1) | instskip(NEXT) | instid1(VALU_DEP_1)
	v_cmp_gt_u32_e64 s9, s21, v54
	s_and_saveexec_b32 s10, s9
	s_cbranch_execz .LBB704_26
; %bb.25:
	v_lshlrev_b32_e32 v21, 3, v54
	s_delay_alu instid0(VALU_DEP_1) | instskip(NEXT) | instid1(VALU_DEP_1)
	v_add_co_u32 v21, s11, s33, v21
	v_add_co_ci_u32_e64 v22, null, s29, 0, s11
	flat_load_b64 v[21:22], v[21:22]
.LBB704_26:
	s_or_b32 exec_lo, exec_lo, s10
	v_or_b32_e32 v56, 0xb00, v0
                                        ; implicit-def: $vgpr23_vgpr24
	s_delay_alu instid0(VALU_DEP_1) | instskip(NEXT) | instid1(VALU_DEP_1)
	v_cmp_gt_u32_e64 s10, s21, v56
	s_and_saveexec_b32 s11, s10
	s_cbranch_execz .LBB704_28
; %bb.27:
	v_lshlrev_b32_e32 v23, 3, v56
	s_delay_alu instid0(VALU_DEP_1) | instskip(NEXT) | instid1(VALU_DEP_1)
	v_add_co_u32 v23, s12, s33, v23
	v_add_co_ci_u32_e64 v24, null, s29, 0, s12
	flat_load_b64 v[23:24], v[23:24]
.LBB704_28:
	s_or_b32 exec_lo, exec_lo, s11
	v_or_b32_e32 v58, 0xc00, v0
                                        ; implicit-def: $vgpr25_vgpr26
	s_delay_alu instid0(VALU_DEP_1) | instskip(NEXT) | instid1(VALU_DEP_1)
	v_cmp_gt_u32_e64 s11, s21, v58
	s_and_saveexec_b32 s12, s11
	s_cbranch_execz .LBB704_30
; %bb.29:
	v_lshlrev_b32_e32 v25, 3, v58
	s_delay_alu instid0(VALU_DEP_1) | instskip(NEXT) | instid1(VALU_DEP_1)
	v_add_co_u32 v25, s13, s33, v25
	v_add_co_ci_u32_e64 v26, null, s29, 0, s13
	flat_load_b64 v[25:26], v[25:26]
.LBB704_30:
	s_or_b32 exec_lo, exec_lo, s12
	v_or_b32_e32 v59, 0xd00, v0
                                        ; implicit-def: $vgpr27_vgpr28
	s_delay_alu instid0(VALU_DEP_1) | instskip(NEXT) | instid1(VALU_DEP_1)
	v_cmp_gt_u32_e64 s12, s21, v59
	s_and_saveexec_b32 s13, s12
	s_cbranch_execz .LBB704_32
; %bb.31:
	v_lshlrev_b32_e32 v27, 3, v59
	s_delay_alu instid0(VALU_DEP_1) | instskip(NEXT) | instid1(VALU_DEP_1)
	v_add_co_u32 v27, s28, s33, v27
	v_add_co_ci_u32_e64 v28, null, s29, 0, s28
	flat_load_b64 v[27:28], v[27:28]
.LBB704_32:
	s_or_b32 exec_lo, exec_lo, s13
	v_or_b32_e32 v60, 0xe00, v0
                                        ; implicit-def: $vgpr36_vgpr37
	s_delay_alu instid0(VALU_DEP_1) | instskip(NEXT) | instid1(VALU_DEP_1)
	v_cmp_gt_u32_e64 s13, s21, v60
	s_and_saveexec_b32 s28, s13
	s_cbranch_execz .LBB704_34
; %bb.33:
	v_lshlrev_b32_e32 v30, 3, v60
	s_delay_alu instid0(VALU_DEP_1) | instskip(NEXT) | instid1(VALU_DEP_1)
	v_add_co_u32 v36, s30, s33, v30
	v_add_co_ci_u32_e64 v37, null, s29, 0, s30
	flat_load_b64 v[36:37], v[36:37]
.LBB704_34:
	s_or_b32 exec_lo, exec_lo, s28
	v_lshlrev_b32_e32 v32, 3, v0
	s_waitcnt vmcnt(0) lgkmcnt(0)
	ds_store_2addr_stride64_b64 v32, v[1:2], v[3:4] offset1:4
	ds_store_2addr_stride64_b64 v32, v[5:6], v[7:8] offset0:8 offset1:12
	ds_store_2addr_stride64_b64 v32, v[9:10], v[11:12] offset0:16 offset1:20
	ds_store_2addr_stride64_b64 v32, v[13:14], v[15:16] offset0:24 offset1:28
	ds_store_2addr_stride64_b64 v32, v[17:18], v[19:20] offset0:32 offset1:36
	ds_store_2addr_stride64_b64 v32, v[21:22], v[23:24] offset0:40 offset1:44
	ds_store_2addr_stride64_b64 v32, v[25:26], v[27:28] offset0:48 offset1:52
	v_mad_u32_u24 v30, 0x70, v0, v32
	ds_store_b64 v32, v[36:37] offset:28672
	s_waitcnt lgkmcnt(0)
	s_barrier
	buffer_gl0_inv
	ds_load_2addr_b64 v[25:28], v30 offset1:1
	ds_load_2addr_b64 v[21:24], v30 offset0:2 offset1:3
	ds_load_2addr_b64 v[17:20], v30 offset0:4 offset1:5
	;; [unrolled: 1-line block ×6, first 2 shown]
	ds_load_b64 v[37:38], v30 offset:112
	s_waitcnt lgkmcnt(0)
	s_barrier
	buffer_gl0_inv
                                        ; implicit-def: $vgpr32
	s_and_saveexec_b32 s28, vcc_lo
	s_cbranch_execz .LBB704_48
; %bb.35:
	v_lshlrev_b32_e32 v32, 2, v0
	s_delay_alu instid0(VALU_DEP_1) | instskip(NEXT) | instid1(VALU_DEP_1)
	v_add_co_u32 v61, s30, s18, v32
	v_add_co_ci_u32_e64 v62, null, s19, 0, s30
	flat_load_b32 v32, v[61:62]
	s_or_b32 exec_lo, exec_lo, s28
                                        ; implicit-def: $vgpr34
	s_and_saveexec_b32 s28, s0
	s_cbranch_execnz .LBB704_49
.LBB704_36:
	s_or_b32 exec_lo, exec_lo, s28
                                        ; implicit-def: $vgpr48
	s_and_saveexec_b32 s0, s1
	s_cbranch_execz .LBB704_50
.LBB704_37:
	v_lshlrev_b32_e32 v36, 2, v0
	s_delay_alu instid0(VALU_DEP_1) | instskip(NEXT) | instid1(VALU_DEP_1)
	v_add_co_u32 v61, s1, s18, v36
	v_add_co_ci_u32_e64 v62, null, s19, 0, s1
	flat_load_b32 v48, v[61:62] offset:2048
	s_or_b32 exec_lo, exec_lo, s0
                                        ; implicit-def: $vgpr61
	s_and_saveexec_b32 s0, s2
	s_cbranch_execnz .LBB704_51
.LBB704_38:
	s_or_b32 exec_lo, exec_lo, s0
                                        ; implicit-def: $vgpr62
	s_and_saveexec_b32 s0, s3
	s_cbranch_execz .LBB704_52
.LBB704_39:
	v_lshlrev_b32_e32 v36, 2, v40
	s_delay_alu instid0(VALU_DEP_1) | instskip(NEXT) | instid1(VALU_DEP_1)
	v_add_co_u32 v62, s1, s18, v36
	v_add_co_ci_u32_e64 v63, null, s19, 0, s1
	flat_load_b32 v62, v[62:63]
	s_or_b32 exec_lo, exec_lo, s0
                                        ; implicit-def: $vgpr40
	s_and_saveexec_b32 s0, s4
	s_cbranch_execnz .LBB704_53
.LBB704_40:
	s_or_b32 exec_lo, exec_lo, s0
                                        ; implicit-def: $vgpr42
	s_and_saveexec_b32 s0, s5
	s_cbranch_execz .LBB704_54
.LBB704_41:
	v_lshlrev_b32_e32 v36, 2, v44
	s_delay_alu instid0(VALU_DEP_1) | instskip(NEXT) | instid1(VALU_DEP_1)
	v_add_co_u32 v63, s1, s18, v36
	v_add_co_ci_u32_e64 v64, null, s19, 0, s1
	flat_load_b32 v42, v[63:64]
	s_or_b32 exec_lo, exec_lo, s0
                                        ; implicit-def: $vgpr44
	s_and_saveexec_b32 s0, s6
	s_cbranch_execnz .LBB704_55
.LBB704_42:
	s_or_b32 exec_lo, exec_lo, s0
                                        ; implicit-def: $vgpr46
	s_and_saveexec_b32 s0, s7
	s_cbranch_execz .LBB704_56
.LBB704_43:
	v_lshlrev_b32_e32 v36, 2, v50
	s_delay_alu instid0(VALU_DEP_1) | instskip(NEXT) | instid1(VALU_DEP_1)
	v_add_co_u32 v63, s1, s18, v36
	v_add_co_ci_u32_e64 v64, null, s19, 0, s1
	flat_load_b32 v46, v[63:64]
	s_or_b32 exec_lo, exec_lo, s0
                                        ; implicit-def: $vgpr50
	s_and_saveexec_b32 s0, s8
	s_cbranch_execnz .LBB704_57
.LBB704_44:
	s_or_b32 exec_lo, exec_lo, s0
                                        ; implicit-def: $vgpr63
	s_and_saveexec_b32 s0, s9
	s_cbranch_execz .LBB704_58
.LBB704_45:
	v_lshlrev_b32_e32 v36, 2, v54
	s_delay_alu instid0(VALU_DEP_1) | instskip(NEXT) | instid1(VALU_DEP_1)
	v_add_co_u32 v63, s1, s18, v36
	v_add_co_ci_u32_e64 v64, null, s19, 0, s1
	flat_load_b32 v63, v[63:64]
	s_or_b32 exec_lo, exec_lo, s0
                                        ; implicit-def: $vgpr68
	s_and_saveexec_b32 s0, s10
	s_cbranch_execnz .LBB704_59
.LBB704_46:
	s_or_b32 exec_lo, exec_lo, s0
                                        ; implicit-def: $vgpr72
	s_and_saveexec_b32 s0, s11
	s_cbranch_execz .LBB704_60
.LBB704_47:
	v_lshlrev_b32_e32 v36, 2, v58
	s_delay_alu instid0(VALU_DEP_1) | instskip(NEXT) | instid1(VALU_DEP_1)
	v_add_co_u32 v64, s1, s18, v36
	v_add_co_ci_u32_e64 v65, null, s19, 0, s1
	flat_load_b32 v72, v[64:65]
	s_or_b32 exec_lo, exec_lo, s0
                                        ; implicit-def: $vgpr73
	s_and_saveexec_b32 s0, s12
	s_cbranch_execz .LBB704_62
	s_branch .LBB704_61
.LBB704_48:
	s_or_b32 exec_lo, exec_lo, s28
                                        ; implicit-def: $vgpr34
	s_and_saveexec_b32 s28, s0
	s_cbranch_execz .LBB704_36
.LBB704_49:
	v_lshlrev_b32_e32 v34, 2, v0
	s_delay_alu instid0(VALU_DEP_1) | instskip(NEXT) | instid1(VALU_DEP_1)
	v_add_co_u32 v61, s0, s18, v34
	v_add_co_ci_u32_e64 v62, null, s19, 0, s0
	flat_load_b32 v34, v[61:62] offset:1024
	s_or_b32 exec_lo, exec_lo, s28
                                        ; implicit-def: $vgpr48
	s_and_saveexec_b32 s0, s1
	s_cbranch_execnz .LBB704_37
.LBB704_50:
	s_or_b32 exec_lo, exec_lo, s0
                                        ; implicit-def: $vgpr61
	s_and_saveexec_b32 s0, s2
	s_cbranch_execz .LBB704_38
.LBB704_51:
	v_lshlrev_b32_e32 v36, 2, v0
	s_delay_alu instid0(VALU_DEP_1) | instskip(NEXT) | instid1(VALU_DEP_1)
	v_add_co_u32 v61, s1, s18, v36
	v_add_co_ci_u32_e64 v62, null, s19, 0, s1
	flat_load_b32 v61, v[61:62] offset:3072
	s_or_b32 exec_lo, exec_lo, s0
                                        ; implicit-def: $vgpr62
	s_and_saveexec_b32 s0, s3
	s_cbranch_execnz .LBB704_39
.LBB704_52:
	s_or_b32 exec_lo, exec_lo, s0
                                        ; implicit-def: $vgpr40
	s_and_saveexec_b32 s0, s4
	s_cbranch_execz .LBB704_40
.LBB704_53:
	v_lshlrev_b32_e32 v36, 2, v42
	s_delay_alu instid0(VALU_DEP_1) | instskip(NEXT) | instid1(VALU_DEP_1)
	v_add_co_u32 v63, s1, s18, v36
	v_add_co_ci_u32_e64 v64, null, s19, 0, s1
	flat_load_b32 v40, v[63:64]
	s_or_b32 exec_lo, exec_lo, s0
                                        ; implicit-def: $vgpr42
	s_and_saveexec_b32 s0, s5
	s_cbranch_execnz .LBB704_41
.LBB704_54:
	s_or_b32 exec_lo, exec_lo, s0
                                        ; implicit-def: $vgpr44
	s_and_saveexec_b32 s0, s6
	s_cbranch_execz .LBB704_42
.LBB704_55:
	v_lshlrev_b32_e32 v36, 2, v46
	s_delay_alu instid0(VALU_DEP_1) | instskip(NEXT) | instid1(VALU_DEP_1)
	v_add_co_u32 v63, s1, s18, v36
	v_add_co_ci_u32_e64 v64, null, s19, 0, s1
	flat_load_b32 v44, v[63:64]
	s_or_b32 exec_lo, exec_lo, s0
                                        ; implicit-def: $vgpr46
	s_and_saveexec_b32 s0, s7
	s_cbranch_execnz .LBB704_43
.LBB704_56:
	s_or_b32 exec_lo, exec_lo, s0
                                        ; implicit-def: $vgpr50
	s_and_saveexec_b32 s0, s8
	s_cbranch_execz .LBB704_44
.LBB704_57:
	v_lshlrev_b32_e32 v36, 2, v52
	s_delay_alu instid0(VALU_DEP_1) | instskip(NEXT) | instid1(VALU_DEP_1)
	v_add_co_u32 v63, s1, s18, v36
	v_add_co_ci_u32_e64 v64, null, s19, 0, s1
	flat_load_b32 v50, v[63:64]
	s_or_b32 exec_lo, exec_lo, s0
                                        ; implicit-def: $vgpr63
	s_and_saveexec_b32 s0, s9
	s_cbranch_execnz .LBB704_45
.LBB704_58:
	s_or_b32 exec_lo, exec_lo, s0
                                        ; implicit-def: $vgpr68
	s_and_saveexec_b32 s0, s10
	s_cbranch_execz .LBB704_46
.LBB704_59:
	v_lshlrev_b32_e32 v36, 2, v56
	s_delay_alu instid0(VALU_DEP_1) | instskip(NEXT) | instid1(VALU_DEP_1)
	v_add_co_u32 v64, s1, s18, v36
	v_add_co_ci_u32_e64 v65, null, s19, 0, s1
	flat_load_b32 v68, v[64:65]
	s_or_b32 exec_lo, exec_lo, s0
                                        ; implicit-def: $vgpr72
	s_and_saveexec_b32 s0, s11
	s_cbranch_execnz .LBB704_47
.LBB704_60:
	s_or_b32 exec_lo, exec_lo, s0
                                        ; implicit-def: $vgpr73
	s_and_saveexec_b32 s0, s12
	s_cbranch_execz .LBB704_62
.LBB704_61:
	v_lshlrev_b32_e32 v36, 2, v59
	s_delay_alu instid0(VALU_DEP_1) | instskip(NEXT) | instid1(VALU_DEP_1)
	v_add_co_u32 v58, s1, s18, v36
	v_add_co_ci_u32_e64 v59, null, s19, 0, s1
	flat_load_b32 v73, v[58:59]
.LBB704_62:
	s_or_b32 exec_lo, exec_lo, s0
	v_mul_u32_u24_e32 v36, 15, v0
                                        ; implicit-def: $vgpr74
	s_and_saveexec_b32 s0, s13
	s_cbranch_execz .LBB704_64
; %bb.63:
	v_lshlrev_b32_e32 v52, 2, v60
	s_delay_alu instid0(VALU_DEP_1) | instskip(NEXT) | instid1(VALU_DEP_1)
	v_add_co_u32 v58, s1, s18, v52
	v_add_co_ci_u32_e64 v59, null, s19, 0, s1
	flat_load_b32 v74, v[58:59]
.LBB704_64:
	s_or_b32 exec_lo, exec_lo, s0
	s_delay_alu instid0(VALU_DEP_1)
	v_add_nc_u32_e32 v54, 1, v36
	v_add_nc_u32_e32 v52, 2, v36
	;; [unrolled: 1-line block ×10, first 2 shown]
	v_mad_i32_i24 v75, 0xffffff8c, v0, v30
	v_add_nc_u32_e32 v71, 11, v36
	v_add_nc_u32_e32 v70, 12, v36
	;; [unrolled: 1-line block ×4, first 2 shown]
	s_waitcnt vmcnt(0) lgkmcnt(0)
	ds_store_2addr_stride64_b32 v75, v32, v34 offset1:4
	ds_store_2addr_stride64_b32 v75, v48, v61 offset0:8 offset1:12
	ds_store_2addr_stride64_b32 v75, v62, v40 offset0:16 offset1:20
	;; [unrolled: 1-line block ×6, first 2 shown]
	ds_store_b32 v75, v74 offset:14336
	s_waitcnt lgkmcnt(0)
	s_barrier
.LBB704_65:
	v_lshlrev_b32_e32 v32, 2, v36
	v_lshlrev_b32_e32 v34, 2, v54
	;; [unrolled: 1-line block ×5, first 2 shown]
	buffer_gl0_inv
	v_lshlrev_b32_e32 v44, 2, v64
	v_lshlrev_b32_e32 v46, 2, v60
	;; [unrolled: 1-line block ×3, first 2 shown]
	ds_load_b32 v92, v32
	ds_load_b32 v91, v34
	;; [unrolled: 1-line block ×8, first 2 shown]
	v_lshlrev_b32_e32 v32, 2, v59
	v_lshlrev_b32_e32 v34, 2, v66
	v_lshlrev_b32_e32 v36, 2, v65
	v_lshlrev_b32_e32 v40, 2, v71
	v_lshlrev_b32_e32 v42, 2, v70
	v_lshlrev_b32_e32 v44, 2, v69
	v_lshlrev_b32_e32 v30, 2, v30
	ds_load_b32 v88, v32
	ds_load_b32 v85, v34
	;; [unrolled: 1-line block ×7, first 2 shown]
	s_cmp_eq_u64 s[16:17], 0
	s_waitcnt lgkmcnt(0)
	s_cselect_b32 s28, -1, 0
	s_cmp_lg_u64 s[16:17], 0
	s_barrier
	s_cselect_b32 s31, -1, 0
	s_and_b32 vcc_lo, exec_lo, s14
	buffer_gl0_inv
	s_cbranch_vccz .LBB704_71
; %bb.66:
	s_and_b32 vcc_lo, exec_lo, s31
	s_cbranch_vccz .LBB704_131
; %bb.67:
	v_add_co_u32 v58, s0, -8, s33
	s_delay_alu instid0(VALU_DEP_1)
	v_add_co_ci_u32_e64 v59, null, -1, s29, s0
	v_cmp_ne_u64_e64 s0, v[3:4], v[37:38]
	v_cmp_ne_u64_e64 s1, v[1:2], v[3:4]
	;; [unrolled: 1-line block ×3, first 2 shown]
	flat_load_b64 v[58:59], v[58:59]
	v_cmp_ne_u64_e64 s3, v[5:6], v[7:8]
	v_cmp_ne_u64_e64 s4, v[11:12], v[5:6]
	;; [unrolled: 1-line block ×10, first 2 shown]
	v_cmp_ne_u64_e32 vcc_lo, v[25:26], v[27:28]
	v_lshlrev_b32_e32 v30, 3, v0
	s_mov_b32 s30, -1
	s_mov_b32 s14, 0
	s_mov_b32 s18, exec_lo
	ds_store_b64 v30, v[37:38]
	s_waitcnt vmcnt(0) lgkmcnt(0)
	s_barrier
	buffer_gl0_inv
	v_cmpx_ne_u32_e32 0, v0
	s_cbranch_execz .LBB704_69
; %bb.68:
	v_add_nc_u32_e32 v30, -8, v30
	ds_load_b64 v[58:59], v30
.LBB704_69:
	s_or_b32 exec_lo, exec_lo, s18
	v_cndmask_b32_e64 v72, 0, 1, s0
	v_cndmask_b32_e64 v67, 0, 1, s1
	;; [unrolled: 1-line block ×13, first 2 shown]
	s_waitcnt lgkmcnt(0)
	v_cmp_ne_u64_e64 s0, v[58:59], v[25:26]
	v_cndmask_b32_e64 v80, 0, 1, vcc_lo
	s_and_b32 vcc_lo, exec_lo, s14
	s_cbranch_vccnz .LBB704_132
.LBB704_70:
                                        ; implicit-def: $sgpr1
	s_branch .LBB704_72
.LBB704_71:
	s_mov_b32 s30, 0
                                        ; implicit-def: $sgpr0
                                        ; implicit-def: $vgpr72
                                        ; implicit-def: $vgpr67
                                        ; implicit-def: $vgpr68
                                        ; implicit-def: $vgpr69
                                        ; implicit-def: $vgpr70
                                        ; implicit-def: $vgpr71
                                        ; implicit-def: $vgpr73
                                        ; implicit-def: $vgpr74
                                        ; implicit-def: $vgpr75
                                        ; implicit-def: $vgpr76
                                        ; implicit-def: $vgpr77
                                        ; implicit-def: $vgpr78
                                        ; implicit-def: $vgpr79
                                        ; implicit-def: $vgpr80
                                        ; implicit-def: $sgpr1
	s_cbranch_execnz .LBB704_135
.LBB704_72:
	v_mov_b32_e32 v93, s1
	s_and_saveexec_b32 s1, s30
.LBB704_73:
	v_cndmask_b32_e64 v93, 0, 1, s0
.LBB704_74:
	s_or_b32 exec_lo, exec_lo, s1
	s_delay_alu instid0(VALU_DEP_1)
	v_add3_u32 v29, v80, v93, v79
	v_cmp_eq_u32_e64 s12, 0, v80
	v_cmp_eq_u32_e64 s11, 0, v79
	;; [unrolled: 1-line block ×4, first 2 shown]
	v_add3_u32 v99, v29, v78, v77
	v_cmp_eq_u32_e64 s8, 0, v76
	v_cmp_eq_u32_e64 s7, 0, v75
	;; [unrolled: 1-line block ×9, first 2 shown]
	v_cmp_eq_u32_e32 vcc_lo, 0, v72
	v_mbcnt_lo_u32_b32 v96, -1, 0
	v_lshrrev_b32_e32 v97, 5, v0
	v_or_b32_e32 v98, 31, v0
	s_cmp_eq_u64 s[26:27], 0
	s_cselect_b32 s16, -1, 0
	s_cmp_lg_u32 s15, 0
	s_cbranch_scc0 .LBB704_100
; %bb.75:
	v_cndmask_b32_e64 v29, 0, v92, s12
	v_add3_u32 v30, v99, v76, v75
	v_and_b32_e32 v32, 15, v96
	s_delay_alu instid0(VALU_DEP_3) | instskip(NEXT) | instid1(VALU_DEP_3)
	v_add_nc_u32_e32 v29, v29, v91
	v_add3_u32 v30, v30, v74, v73
	s_delay_alu instid0(VALU_DEP_3) | instskip(NEXT) | instid1(VALU_DEP_3)
	v_cmp_lt_u32_e64 s13, 1, v32
	v_cndmask_b32_e64 v29, 0, v29, s11
	s_delay_alu instid0(VALU_DEP_3) | instskip(NEXT) | instid1(VALU_DEP_2)
	v_add3_u32 v30, v30, v71, v70
	v_add_nc_u32_e32 v29, v29, v90
	s_delay_alu instid0(VALU_DEP_2) | instskip(NEXT) | instid1(VALU_DEP_2)
	v_add3_u32 v30, v30, v69, v68
	v_cndmask_b32_e64 v29, 0, v29, s10
	s_delay_alu instid0(VALU_DEP_2) | instskip(NEXT) | instid1(VALU_DEP_2)
	v_add3_u32 v30, v30, v67, v72
	v_add_nc_u32_e32 v29, v29, v89
	s_delay_alu instid0(VALU_DEP_2) | instskip(NEXT) | instid1(VALU_DEP_2)
	v_mov_b32_dpp v33, v30 row_shr:1 row_mask:0xf bank_mask:0xf
	v_cndmask_b32_e64 v29, 0, v29, s9
	s_delay_alu instid0(VALU_DEP_1) | instskip(NEXT) | instid1(VALU_DEP_1)
	v_add_nc_u32_e32 v29, v29, v87
	v_cndmask_b32_e64 v29, 0, v29, s8
	s_delay_alu instid0(VALU_DEP_1) | instskip(NEXT) | instid1(VALU_DEP_1)
	v_add_nc_u32_e32 v29, v29, v86
	;; [unrolled: 3-line block ×10, first 2 shown]
	v_cndmask_b32_e32 v29, 0, v29, vcc_lo
	v_cmp_eq_u32_e32 vcc_lo, 0, v30
	s_delay_alu instid0(VALU_DEP_2) | instskip(NEXT) | instid1(VALU_DEP_1)
	v_add_nc_u32_e32 v29, v29, v95
	v_mov_b32_dpp v31, v29 row_shr:1 row_mask:0xf bank_mask:0xf
	s_delay_alu instid0(VALU_DEP_1) | instskip(SKIP_2) | instid1(VALU_DEP_1)
	v_cndmask_b32_e32 v31, 0, v31, vcc_lo
	v_cmp_eq_u32_e32 vcc_lo, 0, v32
	v_cndmask_b32_e64 v33, v33, 0, vcc_lo
	v_add_nc_u32_e32 v30, v33, v30
	s_delay_alu instid0(VALU_DEP_4) | instskip(NEXT) | instid1(VALU_DEP_2)
	v_cndmask_b32_e64 v31, v31, 0, vcc_lo
	v_cmp_eq_u32_e32 vcc_lo, 0, v30
	s_delay_alu instid0(VALU_DEP_2) | instskip(SKIP_2) | instid1(VALU_DEP_2)
	v_add_nc_u32_e32 v29, v31, v29
	v_mov_b32_dpp v31, v30 row_shr:2 row_mask:0xf bank_mask:0xf
	s_and_b32 vcc_lo, s13, vcc_lo
	v_mov_b32_dpp v33, v29 row_shr:2 row_mask:0xf bank_mask:0xf
	s_delay_alu instid0(VALU_DEP_2) | instskip(SKIP_1) | instid1(VALU_DEP_2)
	v_cndmask_b32_e64 v31, 0, v31, s13
	v_cmp_lt_u32_e64 s13, 3, v32
	v_dual_cndmask_b32 v33, 0, v33 :: v_dual_add_nc_u32 v30, v30, v31
	s_delay_alu instid0(VALU_DEP_1) | instskip(NEXT) | instid1(VALU_DEP_2)
	v_add_nc_u32_e32 v29, v33, v29
	v_mov_b32_dpp v31, v30 row_shr:4 row_mask:0xf bank_mask:0xf
	v_cmp_eq_u32_e32 vcc_lo, 0, v30
	s_delay_alu instid0(VALU_DEP_3) | instskip(NEXT) | instid1(VALU_DEP_3)
	v_mov_b32_dpp v33, v29 row_shr:4 row_mask:0xf bank_mask:0xf
	v_cndmask_b32_e64 v31, 0, v31, s13
	s_and_b32 vcc_lo, s13, vcc_lo
	v_cmp_lt_u32_e64 s13, 7, v32
	s_delay_alu instid0(VALU_DEP_2) | instskip(NEXT) | instid1(VALU_DEP_1)
	v_dual_cndmask_b32 v33, 0, v33 :: v_dual_add_nc_u32 v30, v31, v30
	v_add_nc_u32_e32 v29, v29, v33
	s_delay_alu instid0(VALU_DEP_2) | instskip(SKIP_2) | instid1(VALU_DEP_4)
	v_cmp_eq_u32_e32 vcc_lo, 0, v30
	v_mov_b32_dpp v31, v30 row_shr:8 row_mask:0xf bank_mask:0xf
	v_bfe_i32 v33, v96, 4, 1
	v_mov_b32_dpp v32, v29 row_shr:8 row_mask:0xf bank_mask:0xf
	s_and_b32 vcc_lo, s13, vcc_lo
	s_delay_alu instid0(VALU_DEP_3) | instskip(SKIP_1) | instid1(VALU_DEP_2)
	v_cndmask_b32_e64 v31, 0, v31, s13
	s_mov_b32 s13, exec_lo
	v_cndmask_b32_e32 v32, 0, v32, vcc_lo
	s_delay_alu instid0(VALU_DEP_1) | instskip(NEXT) | instid1(VALU_DEP_3)
	v_add_nc_u32_e32 v32, v32, v29
	v_add_nc_u32_e32 v29, v31, v30
	ds_swizzle_b32 v30, v32 offset:swizzle(BROADCAST,32,15)
	ds_swizzle_b32 v31, v29 offset:swizzle(BROADCAST,32,15)
	v_cmp_eq_u32_e32 vcc_lo, 0, v29
	s_waitcnt lgkmcnt(0)
	v_dual_cndmask_b32 v30, 0, v30 :: v_dual_and_b32 v31, v33, v31
	s_delay_alu instid0(VALU_DEP_1) | instskip(NEXT) | instid1(VALU_DEP_2)
	v_and_b32_e32 v30, v33, v30
	v_add_nc_u32_e32 v29, v31, v29
	v_lshlrev_b32_e32 v31, 3, v97
	s_delay_alu instid0(VALU_DEP_3)
	v_add_nc_u32_e32 v30, v30, v32
	v_cmpx_eq_u32_e64 v98, v0
	s_cbranch_execz .LBB704_77
; %bb.76:
	ds_store_b64 v31, v[29:30] offset:4112
.LBB704_77:
	s_or_b32 exec_lo, exec_lo, s13
	s_delay_alu instid0(SALU_CYCLE_1)
	s_mov_b32 s14, exec_lo
	s_waitcnt lgkmcnt(0)
	s_barrier
	buffer_gl0_inv
	v_cmpx_gt_u32_e32 8, v0
	s_cbranch_execz .LBB704_79
; %bb.78:
	v_lshlrev_b32_e32 v34, 3, v0
	v_and_b32_e32 v36, 7, v96
	ds_load_b64 v[32:33], v34 offset:4112
	v_cmp_lt_u32_e64 s13, 1, v36
	s_waitcnt lgkmcnt(0)
	v_mov_b32_dpp v35, v33 row_shr:1 row_mask:0xf bank_mask:0xf
	v_cmp_eq_u32_e32 vcc_lo, 0, v32
	v_mov_b32_dpp v39, v32 row_shr:1 row_mask:0xf bank_mask:0xf
	s_delay_alu instid0(VALU_DEP_3) | instskip(SKIP_1) | instid1(VALU_DEP_3)
	v_cndmask_b32_e32 v35, 0, v35, vcc_lo
	v_cmp_eq_u32_e32 vcc_lo, 0, v36
	v_cndmask_b32_e64 v39, v39, 0, vcc_lo
	s_delay_alu instid0(VALU_DEP_3) | instskip(NEXT) | instid1(VALU_DEP_2)
	v_cndmask_b32_e64 v35, v35, 0, vcc_lo
	v_add_nc_u32_e32 v32, v39, v32
	s_delay_alu instid0(VALU_DEP_2) | instskip(NEXT) | instid1(VALU_DEP_2)
	v_add_nc_u32_e32 v33, v35, v33
	v_mov_b32_dpp v35, v32 row_shr:2 row_mask:0xf bank_mask:0xf
	v_cmp_eq_u32_e32 vcc_lo, 0, v32
	s_delay_alu instid0(VALU_DEP_3) | instskip(NEXT) | instid1(VALU_DEP_3)
	v_mov_b32_dpp v39, v33 row_shr:2 row_mask:0xf bank_mask:0xf
	v_cndmask_b32_e64 v35, 0, v35, s13
	s_and_b32 vcc_lo, s13, vcc_lo
	s_delay_alu instid0(VALU_DEP_2) | instskip(SKIP_1) | instid1(VALU_DEP_3)
	v_cndmask_b32_e32 v39, 0, v39, vcc_lo
	v_cmp_lt_u32_e64 s13, 3, v36
	v_add_nc_u32_e32 v32, v35, v32
	s_delay_alu instid0(VALU_DEP_3) | instskip(NEXT) | instid1(VALU_DEP_2)
	v_add_nc_u32_e32 v33, v39, v33
	v_cmp_eq_u32_e32 vcc_lo, 0, v32
	v_mov_b32_dpp v35, v32 row_shr:4 row_mask:0xf bank_mask:0xf
	s_delay_alu instid0(VALU_DEP_3) | instskip(SKIP_1) | instid1(VALU_DEP_2)
	v_mov_b32_dpp v36, v33 row_shr:4 row_mask:0xf bank_mask:0xf
	s_and_b32 vcc_lo, s13, vcc_lo
	v_cndmask_b32_e64 v35, 0, v35, s13
	s_delay_alu instid0(VALU_DEP_2) | instskip(NEXT) | instid1(VALU_DEP_2)
	v_cndmask_b32_e32 v36, 0, v36, vcc_lo
	v_add_nc_u32_e32 v32, v35, v32
	s_delay_alu instid0(VALU_DEP_2)
	v_add_nc_u32_e32 v33, v36, v33
	ds_store_b64 v34, v[32:33] offset:4112
.LBB704_79:
	s_or_b32 exec_lo, exec_lo, s14
	v_cmp_gt_u32_e32 vcc_lo, 32, v0
	v_dual_mov_b32 v39, 0 :: v_dual_mov_b32 v40, 0
	s_mov_b32 s14, exec_lo
	s_waitcnt lgkmcnt(0)
	s_barrier
	buffer_gl0_inv
	v_cmpx_lt_u32_e32 31, v0
	s_cbranch_execz .LBB704_81
; %bb.80:
	ds_load_b64 v[39:40], v31 offset:4104
	v_cmp_eq_u32_e64 s13, 0, v29
	s_waitcnt lgkmcnt(0)
	s_delay_alu instid0(VALU_DEP_1) | instskip(SKIP_1) | instid1(VALU_DEP_2)
	v_cndmask_b32_e64 v31, 0, v40, s13
	v_add_nc_u32_e32 v29, v39, v29
	v_add_nc_u32_e32 v30, v31, v30
.LBB704_81:
	s_or_b32 exec_lo, exec_lo, s14
	v_add_nc_u32_e32 v31, -1, v96
	s_delay_alu instid0(VALU_DEP_1) | instskip(NEXT) | instid1(VALU_DEP_1)
	v_cmp_gt_i32_e64 s13, 0, v31
	v_cndmask_b32_e64 v31, v31, v96, s13
	v_cmp_eq_u32_e64 s13, 0, v96
	s_delay_alu instid0(VALU_DEP_2)
	v_lshlrev_b32_e32 v31, 2, v31
	ds_bpermute_b32 v45, v31, v29
	ds_bpermute_b32 v46, v31, v30
	s_and_saveexec_b32 s17, vcc_lo
	s_cbranch_execz .LBB704_99
; %bb.82:
	v_mov_b32_e32 v32, 0
	ds_load_b64 v[29:30], v32 offset:4168
	s_waitcnt lgkmcnt(0)
	v_readfirstlane_b32 s18, v30
	s_and_saveexec_b32 s14, s13
	s_cbranch_execz .LBB704_84
; %bb.83:
	s_add_i32 s26, s15, 32
	s_mov_b32 s27, 0
	v_mov_b32_e32 v31, 1
	s_lshl_b64 s[30:31], s[26:27], 4
	s_mov_b32 s40, s27
	s_add_u32 s30, s24, s30
	s_addc_u32 s31, s25, s31
	s_and_b32 s41, s18, 0xff000000
	s_and_b32 s45, s18, 0xff0000
	s_mov_b32 s44, s27
	v_dual_mov_b32 v34, s31 :: v_dual_mov_b32 v33, s30
	s_or_b64 s[40:41], s[44:45], s[40:41]
	s_and_b32 s45, s18, 0xff00
	s_delay_alu instid0(SALU_CYCLE_1) | instskip(SKIP_1) | instid1(SALU_CYCLE_1)
	s_or_b64 s[40:41], s[40:41], s[44:45]
	s_and_b32 s45, s18, 0xff
	s_or_b64 s[26:27], s[40:41], s[44:45]
	s_delay_alu instid0(SALU_CYCLE_1)
	v_mov_b32_e32 v30, s27
	;;#ASMSTART
	global_store_dwordx4 v[33:34], v[29:32] off	
s_waitcnt vmcnt(0)
	;;#ASMEND
.LBB704_84:
	s_or_b32 exec_lo, exec_lo, s14
	v_xad_u32 v41, v96, -1, s15
	s_mov_b32 s19, 0
	s_mov_b32 s14, exec_lo
	s_delay_alu instid0(VALU_DEP_1) | instskip(NEXT) | instid1(VALU_DEP_1)
	v_add_nc_u32_e32 v31, 32, v41
	v_lshlrev_b64 v[30:31], 4, v[31:32]
	s_delay_alu instid0(VALU_DEP_1) | instskip(NEXT) | instid1(VALU_DEP_2)
	v_add_co_u32 v30, vcc_lo, s24, v30
	v_add_co_ci_u32_e32 v31, vcc_lo, s25, v31, vcc_lo
	;;#ASMSTART
	global_load_dwordx4 v[33:36], v[30:31] off glc	
s_waitcnt vmcnt(0)
	;;#ASMEND
	v_and_b32_e32 v32, 0xff, v34
	v_and_b32_e32 v36, 0xff00, v34
	;; [unrolled: 1-line block ×3, first 2 shown]
	v_or3_b32 v33, v33, 0, 0
	v_and_b32_e32 v34, 0xff000000, v34
	s_delay_alu instid0(VALU_DEP_4) | instskip(SKIP_1) | instid1(VALU_DEP_4)
	v_or3_b32 v32, 0, v32, v36
	v_and_b32_e32 v36, 0xff, v35
	v_or3_b32 v33, v33, 0, 0
	s_delay_alu instid0(VALU_DEP_3) | instskip(NEXT) | instid1(VALU_DEP_3)
	v_or3_b32 v34, v32, v42, v34
	v_cmpx_eq_u16_e32 0, v36
	s_cbranch_execz .LBB704_87
.LBB704_85:                             ; =>This Inner Loop Header: Depth=1
	;;#ASMSTART
	global_load_dwordx4 v[33:36], v[30:31] off glc	
s_waitcnt vmcnt(0)
	;;#ASMEND
	v_and_b32_e32 v32, 0xff, v35
	s_delay_alu instid0(VALU_DEP_1) | instskip(SKIP_1) | instid1(SALU_CYCLE_1)
	v_cmp_ne_u16_e32 vcc_lo, 0, v32
	s_or_b32 s19, vcc_lo, s19
	s_and_not1_b32 exec_lo, exec_lo, s19
	s_cbranch_execnz .LBB704_85
; %bb.86:
	s_or_b32 exec_lo, exec_lo, s19
.LBB704_87:
	s_delay_alu instid0(SALU_CYCLE_1)
	s_or_b32 exec_lo, exec_lo, s14
	v_cmp_ne_u32_e32 vcc_lo, 31, v96
	v_and_b32_e32 v31, 0xff, v35
	v_lshlrev_b32_e64 v47, v96, -1
	v_add_nc_u32_e32 v49, 2, v96
	v_add_nc_u32_e32 v51, 4, v96
	v_add_co_ci_u32_e32 v30, vcc_lo, 0, v96, vcc_lo
	v_cmp_eq_u16_e32 vcc_lo, 2, v31
	v_add_nc_u32_e32 v53, 8, v96
	v_add_nc_u32_e32 v55, 16, v96
	v_and_or_b32 v36, vcc_lo, v47, 0x80000000
	v_cmp_gt_u32_e32 vcc_lo, 30, v96
	s_delay_alu instid0(VALU_DEP_2) | instskip(SKIP_2) | instid1(VALU_DEP_3)
	v_ctz_i32_b32_e32 v36, v36
	v_cndmask_b32_e64 v42, 0, 1, vcc_lo
	v_cmp_eq_u32_e32 vcc_lo, 0, v33
	v_cmp_lt_u32_e64 s14, v96, v36
	s_delay_alu instid0(VALU_DEP_3) | instskip(NEXT) | instid1(VALU_DEP_2)
	v_lshlrev_b32_e32 v42, 1, v42
	s_and_b32 vcc_lo, s14, vcc_lo
	v_lshlrev_b32_e32 v30, 2, v30
	s_delay_alu instid0(VALU_DEP_2)
	v_add_lshl_u32 v48, v42, v96, 2
	ds_bpermute_b32 v31, v30, v34
	s_waitcnt lgkmcnt(0)
	v_cndmask_b32_e32 v31, 0, v31, vcc_lo
	ds_bpermute_b32 v32, v30, v33
	v_cmp_gt_u32_e32 vcc_lo, 28, v96
	v_add_nc_u32_e32 v31, v31, v34
	ds_bpermute_b32 v34, v48, v31
	s_waitcnt lgkmcnt(1)
	v_cndmask_b32_e64 v32, 0, v32, s14
	s_delay_alu instid0(VALU_DEP_1) | instskip(SKIP_1) | instid1(VALU_DEP_2)
	v_add_nc_u32_e32 v32, v32, v33
	v_cndmask_b32_e64 v33, 0, 1, vcc_lo
	v_cmp_eq_u32_e32 vcc_lo, 0, v32
	ds_bpermute_b32 v42, v48, v32
	s_waitcnt lgkmcnt(1)
	v_dual_cndmask_b32 v34, 0, v34 :: v_dual_lshlrev_b32 v33, 2, v33
	v_cmp_gt_u32_e32 vcc_lo, v49, v36
	s_delay_alu instid0(VALU_DEP_2) | instskip(NEXT) | instid1(VALU_DEP_3)
	v_add_lshl_u32 v50, v33, v96, 2
	v_cndmask_b32_e64 v34, v34, 0, vcc_lo
	s_delay_alu instid0(VALU_DEP_1) | instskip(SKIP_4) | instid1(VALU_DEP_2)
	v_add_nc_u32_e32 v31, v34, v31
	ds_bpermute_b32 v33, v50, v31
	s_waitcnt lgkmcnt(1)
	v_cndmask_b32_e64 v34, v42, 0, vcc_lo
	v_cmp_gt_u32_e32 vcc_lo, 24, v96
	v_add_nc_u32_e32 v32, v32, v34
	v_cndmask_b32_e64 v42, 0, 1, vcc_lo
	ds_bpermute_b32 v34, v50, v32
	v_cmp_eq_u32_e32 vcc_lo, 0, v32
	v_lshlrev_b32_e32 v42, 3, v42
	s_delay_alu instid0(VALU_DEP_1) | instskip(SKIP_3) | instid1(VALU_DEP_2)
	v_add_lshl_u32 v52, v42, v96, 2
	s_waitcnt lgkmcnt(1)
	v_cndmask_b32_e32 v33, 0, v33, vcc_lo
	v_cmp_gt_u32_e32 vcc_lo, v51, v36
	v_cndmask_b32_e64 v33, v33, 0, vcc_lo
	s_delay_alu instid0(VALU_DEP_1)
	v_add_nc_u32_e32 v31, v31, v33
	s_waitcnt lgkmcnt(0)
	v_cndmask_b32_e64 v34, v34, 0, vcc_lo
	v_cmp_gt_u32_e32 vcc_lo, 16, v96
	ds_bpermute_b32 v33, v52, v31
	v_add_nc_u32_e32 v32, v32, v34
	v_cndmask_b32_e64 v42, 0, 1, vcc_lo
	ds_bpermute_b32 v34, v52, v32
	v_cmp_eq_u32_e32 vcc_lo, 0, v32
	v_lshlrev_b32_e32 v42, 4, v42
	s_delay_alu instid0(VALU_DEP_1) | instskip(SKIP_3) | instid1(VALU_DEP_2)
	v_add_lshl_u32 v54, v42, v96, 2
	s_waitcnt lgkmcnt(1)
	v_dual_mov_b32 v42, 0 :: v_dual_cndmask_b32 v33, 0, v33
	v_cmp_gt_u32_e32 vcc_lo, v53, v36
	v_cndmask_b32_e64 v33, v33, 0, vcc_lo
	s_delay_alu instid0(VALU_DEP_1)
	v_add_nc_u32_e32 v31, v31, v33
	s_waitcnt lgkmcnt(0)
	v_cndmask_b32_e64 v33, v34, 0, vcc_lo
	ds_bpermute_b32 v34, v54, v31
	v_add_nc_u32_e32 v32, v32, v33
	ds_bpermute_b32 v33, v54, v32
	v_cmp_eq_u32_e32 vcc_lo, 0, v32
	s_waitcnt lgkmcnt(1)
	v_cndmask_b32_e32 v34, 0, v34, vcc_lo
	v_cmp_gt_u32_e32 vcc_lo, v55, v36
	s_delay_alu instid0(VALU_DEP_2) | instskip(SKIP_2) | instid1(VALU_DEP_2)
	v_cndmask_b32_e64 v34, v34, 0, vcc_lo
	s_waitcnt lgkmcnt(0)
	v_cndmask_b32_e64 v33, v33, 0, vcc_lo
	v_add_nc_u32_e32 v34, v34, v31
	s_delay_alu instid0(VALU_DEP_2)
	v_add_nc_u32_e32 v33, v33, v32
	s_branch .LBB704_89
.LBB704_88:                             ;   in Loop: Header=BB704_89 Depth=1
	s_or_b32 exec_lo, exec_lo, s14
	v_and_b32_e32 v36, 0xff, v35
	ds_bpermute_b32 v43, v30, v33
	v_subrev_nc_u32_e32 v41, 32, v41
	v_cmp_eq_u16_e32 vcc_lo, 2, v36
	ds_bpermute_b32 v36, v30, v34
	v_and_or_b32 v44, vcc_lo, v47, 0x80000000
	v_cmp_eq_u32_e32 vcc_lo, 0, v33
	s_delay_alu instid0(VALU_DEP_2) | instskip(NEXT) | instid1(VALU_DEP_1)
	v_ctz_i32_b32_e32 v44, v44
	v_cmp_lt_u32_e64 s14, v96, v44
	s_delay_alu instid0(VALU_DEP_1) | instskip(SKIP_4) | instid1(VALU_DEP_2)
	s_and_b32 vcc_lo, s14, vcc_lo
	s_waitcnt lgkmcnt(1)
	v_cndmask_b32_e64 v43, 0, v43, s14
	s_waitcnt lgkmcnt(0)
	v_cndmask_b32_e32 v36, 0, v36, vcc_lo
	v_add_nc_u32_e32 v33, v43, v33
	s_delay_alu instid0(VALU_DEP_2)
	v_add_nc_u32_e32 v34, v36, v34
	ds_bpermute_b32 v43, v48, v33
	ds_bpermute_b32 v36, v48, v34
	v_cmp_eq_u32_e32 vcc_lo, 0, v33
	s_waitcnt lgkmcnt(0)
	v_cndmask_b32_e32 v36, 0, v36, vcc_lo
	v_cmp_gt_u32_e32 vcc_lo, v49, v44
	v_cndmask_b32_e64 v43, v43, 0, vcc_lo
	s_delay_alu instid0(VALU_DEP_1) | instskip(NEXT) | instid1(VALU_DEP_4)
	v_add_nc_u32_e32 v33, v33, v43
	v_cndmask_b32_e64 v36, v36, 0, vcc_lo
	ds_bpermute_b32 v43, v50, v33
	v_add_nc_u32_e32 v34, v36, v34
	v_cmp_eq_u32_e32 vcc_lo, 0, v33
	ds_bpermute_b32 v36, v50, v34
	s_waitcnt lgkmcnt(0)
	v_cndmask_b32_e32 v36, 0, v36, vcc_lo
	v_cmp_gt_u32_e32 vcc_lo, v51, v44
	v_cndmask_b32_e64 v43, v43, 0, vcc_lo
	s_delay_alu instid0(VALU_DEP_1) | instskip(NEXT) | instid1(VALU_DEP_4)
	v_add_nc_u32_e32 v33, v33, v43
	v_cndmask_b32_e64 v36, v36, 0, vcc_lo
	ds_bpermute_b32 v43, v52, v33
	v_add_nc_u32_e32 v34, v34, v36
	v_cmp_eq_u32_e32 vcc_lo, 0, v33
	ds_bpermute_b32 v36, v52, v34
	;; [unrolled: 11-line block ×3, first 2 shown]
	s_waitcnt lgkmcnt(0)
	v_cndmask_b32_e32 v36, 0, v36, vcc_lo
	v_cmp_gt_u32_e32 vcc_lo, v55, v44
	s_delay_alu instid0(VALU_DEP_2) | instskip(NEXT) | instid1(VALU_DEP_1)
	v_cndmask_b32_e64 v36, v36, 0, vcc_lo
	v_add_nc_u32_e32 v34, v36, v34
	v_cndmask_b32_e64 v36, v43, 0, vcc_lo
	v_cmp_eq_u32_e32 vcc_lo, 0, v31
	s_delay_alu instid0(VALU_DEP_2) | instskip(NEXT) | instid1(VALU_DEP_4)
	v_add3_u32 v33, v33, v31, v36
	v_cndmask_b32_e32 v34, 0, v34, vcc_lo
	s_delay_alu instid0(VALU_DEP_1)
	v_add_nc_u32_e32 v34, v34, v32
.LBB704_89:                             ; =>This Loop Header: Depth=1
                                        ;     Child Loop BB704_92 Depth 2
	s_delay_alu instid0(VALU_DEP_1) | instskip(NEXT) | instid1(VALU_DEP_1)
	v_dual_mov_b32 v32, v34 :: v_dual_and_b32 v31, 0xff, v35
	v_cmp_ne_u16_e32 vcc_lo, 2, v31
	v_cndmask_b32_e64 v31, 0, 1, vcc_lo
	;;#ASMSTART
	;;#ASMEND
	s_delay_alu instid0(VALU_DEP_1)
	v_cmp_ne_u32_e32 vcc_lo, 0, v31
	v_mov_b32_e32 v31, v33
	s_cmp_lg_u32 vcc_lo, exec_lo
	s_cbranch_scc1 .LBB704_94
; %bb.90:                               ;   in Loop: Header=BB704_89 Depth=1
	v_lshlrev_b64 v[33:34], 4, v[41:42]
	s_mov_b32 s14, exec_lo
	s_delay_alu instid0(VALU_DEP_1) | instskip(NEXT) | instid1(VALU_DEP_2)
	v_add_co_u32 v43, vcc_lo, s24, v33
	v_add_co_ci_u32_e32 v44, vcc_lo, s25, v34, vcc_lo
	;;#ASMSTART
	global_load_dwordx4 v[33:36], v[43:44] off glc	
s_waitcnt vmcnt(0)
	;;#ASMEND
	v_and_b32_e32 v36, 0xff, v34
	v_and_b32_e32 v56, 0xff00, v34
	v_and_b32_e32 v57, 0xff0000, v34
	v_or3_b32 v33, v33, 0, 0
	v_and_b32_e32 v34, 0xff000000, v34
	s_delay_alu instid0(VALU_DEP_4) | instskip(SKIP_1) | instid1(VALU_DEP_4)
	v_or3_b32 v36, 0, v36, v56
	v_and_b32_e32 v56, 0xff, v35
	v_or3_b32 v33, v33, 0, 0
	s_delay_alu instid0(VALU_DEP_3) | instskip(NEXT) | instid1(VALU_DEP_3)
	v_or3_b32 v34, v36, v57, v34
	v_cmpx_eq_u16_e32 0, v56
	s_cbranch_execz .LBB704_88
; %bb.91:                               ;   in Loop: Header=BB704_89 Depth=1
	s_mov_b32 s19, 0
.LBB704_92:                             ;   Parent Loop BB704_89 Depth=1
                                        ; =>  This Inner Loop Header: Depth=2
	;;#ASMSTART
	global_load_dwordx4 v[33:36], v[43:44] off glc	
s_waitcnt vmcnt(0)
	;;#ASMEND
	v_and_b32_e32 v36, 0xff, v35
	s_delay_alu instid0(VALU_DEP_1) | instskip(SKIP_1) | instid1(SALU_CYCLE_1)
	v_cmp_ne_u16_e32 vcc_lo, 0, v36
	s_or_b32 s19, vcc_lo, s19
	s_and_not1_b32 exec_lo, exec_lo, s19
	s_cbranch_execnz .LBB704_92
; %bb.93:                               ;   in Loop: Header=BB704_89 Depth=1
	s_or_b32 exec_lo, exec_lo, s19
	s_branch .LBB704_88
.LBB704_94:                             ;   in Loop: Header=BB704_89 Depth=1
                                        ; implicit-def: $vgpr34
                                        ; implicit-def: $vgpr33
                                        ; implicit-def: $vgpr35
	s_cbranch_execz .LBB704_89
; %bb.95:
	s_and_saveexec_b32 s14, s13
	s_cbranch_execz .LBB704_97
; %bb.96:
	v_cmp_eq_u32_e32 vcc_lo, 0, v29
	s_mov_b32 s27, 0
	s_add_i32 s26, s15, 32
	v_add_nc_u32_e32 v33, v31, v29
	s_lshl_b64 s[26:27], s[26:27], 4
	v_cndmask_b32_e32 v30, 0, v32, vcc_lo
	s_add_u32 s26, s24, s26
	s_addc_u32 s27, s25, s27
	v_mov_b32_e32 v36, 0
	s_delay_alu instid0(VALU_DEP_2) | instskip(NEXT) | instid1(VALU_DEP_1)
	v_add_nc_u32_e32 v30, s18, v30
	v_and_b32_e32 v34, 0xff000000, v30
	v_and_b32_e32 v35, 0xff0000, v30
	s_delay_alu instid0(VALU_DEP_1) | instskip(SKIP_3) | instid1(VALU_DEP_1)
	v_or_b32_e32 v34, v35, v34
	v_mov_b32_e32 v35, 2
	v_and_b32_e32 v41, 0xff00, v30
	v_and_b32_e32 v30, 0xff, v30
	v_or3_b32 v34, v34, v41, v30
	v_mov_b32_e32 v30, s18
	v_dual_mov_b32 v42, s27 :: v_dual_mov_b32 v41, s26
	;;#ASMSTART
	global_store_dwordx4 v[41:42], v[33:36] off	
s_waitcnt vmcnt(0)
	;;#ASMEND
	ds_store_b128 v36, v[29:32] offset:4096
.LBB704_97:
	s_or_b32 exec_lo, exec_lo, s14
	v_cmp_eq_u32_e32 vcc_lo, 0, v0
	s_and_b32 exec_lo, exec_lo, vcc_lo
	s_cbranch_execz .LBB704_99
; %bb.98:
	v_mov_b32_e32 v29, 0
	ds_store_b64 v29, v[31:32] offset:4168
.LBB704_99:
	s_or_b32 exec_lo, exec_lo, s17
	s_waitcnt lgkmcnt(1)
	v_cndmask_b32_e64 v32, v45, v39, s13
	s_waitcnt lgkmcnt(0)
	s_barrier
	buffer_gl0_inv
	v_cndmask_b32_e64 v33, v46, v40, s13
	v_cmp_eq_u32_e32 vcc_lo, 0, v32
	v_mov_b32_e32 v31, 0
	v_cmp_eq_u32_e64 s13, 0, v93
	ds_load_b64 v[29:30], v31 offset:4168
	s_waitcnt lgkmcnt(0)
	s_barrier
	buffer_gl0_inv
	v_cndmask_b32_e32 v34, 0, v30, vcc_lo
	v_cmp_eq_u32_e32 vcc_lo, 0, v0
	s_delay_alu instid0(VALU_DEP_2) | instskip(NEXT) | instid1(VALU_DEP_1)
	v_add_nc_u32_e32 v33, v34, v33
	v_cndmask_b32_e32 v56, v33, v30, vcc_lo
	s_delay_alu instid0(VALU_DEP_1) | instskip(NEXT) | instid1(VALU_DEP_1)
	v_cndmask_b32_e64 v30, 0, v56, s13
	v_add_nc_u32_e32 v62, v30, v92
	s_delay_alu instid0(VALU_DEP_1) | instskip(NEXT) | instid1(VALU_DEP_1)
	v_cndmask_b32_e64 v30, 0, v62, s12
	v_add_nc_u32_e32 v58, v30, v91
	;; [unrolled: 3-line block ×6, first 2 shown]
	v_cndmask_b32_e64 v30, v32, 0, vcc_lo
	s_delay_alu instid0(VALU_DEP_2) | instskip(NEXT) | instid1(VALU_DEP_2)
	v_cndmask_b32_e64 v32, 0, v42, s7
	v_add_nc_u32_e32 v55, v29, v30
	s_delay_alu instid0(VALU_DEP_2) | instskip(NEXT) | instid1(VALU_DEP_2)
	v_add_nc_u32_e32 v46, v32, v84
	v_add_nc_u32_e32 v61, v55, v93
	s_delay_alu instid0(VALU_DEP_2) | instskip(NEXT) | instid1(VALU_DEP_2)
	v_cndmask_b32_e64 v29, 0, v46, s6
	v_add_nc_u32_e32 v57, v61, v80
	s_delay_alu instid0(VALU_DEP_2) | instskip(NEXT) | instid1(VALU_DEP_2)
	v_add_nc_u32_e32 v50, v29, v82
	v_add_nc_u32_e32 v53, v57, v79
	;; [unrolled: 6-line block ×4, first 2 shown]
	s_delay_alu instid0(VALU_DEP_2) | instskip(NEXT) | instid1(VALU_DEP_2)
	v_cndmask_b32_e64 v29, 0, v36, s3
	v_add_nc_u32_e32 v49, v45, v74
	s_delay_alu instid0(VALU_DEP_2) | instskip(SKIP_3) | instid1(VALU_DEP_2)
	v_add_nc_u32_e32 v40, v29, v83
	ds_load_b128 v[29:32], v31 offset:4096
	v_add_nc_u32_e32 v33, v49, v73
	v_cndmask_b32_e64 v39, 0, v40, s2
	v_add_nc_u32_e32 v35, v33, v71
	s_delay_alu instid0(VALU_DEP_2) | instskip(NEXT) | instid1(VALU_DEP_2)
	v_add_nc_u32_e32 v64, v39, v81
	v_add_nc_u32_e32 v39, v35, v70
	s_delay_alu instid0(VALU_DEP_2) | instskip(NEXT) | instid1(VALU_DEP_2)
	v_cndmask_b32_e64 v51, 0, v64, s1
	v_add_nc_u32_e32 v63, v39, v69
	s_delay_alu instid0(VALU_DEP_2) | instskip(SKIP_2) | instid1(VALU_DEP_3)
	v_add_nc_u32_e32 v60, v51, v66
	s_waitcnt lgkmcnt(0)
	v_cmp_eq_u32_e32 vcc_lo, 0, v29
	v_add_nc_u32_e32 v59, v63, v68
	s_delay_alu instid0(VALU_DEP_3) | instskip(NEXT) | instid1(VALU_DEP_2)
	v_cndmask_b32_e64 v52, 0, v60, s0
	v_dual_cndmask_b32 v32, 0, v32 :: v_dual_add_nc_u32 v51, v59, v67
	s_delay_alu instid0(VALU_DEP_2) | instskip(NEXT) | instid1(VALU_DEP_2)
	v_add_nc_u32_e32 v52, v52, v65
	v_add_nc_u32_e32 v94, v32, v30
	s_branch .LBB704_112
.LBB704_100:
                                        ; implicit-def: $vgpr29
                                        ; implicit-def: $vgpr94
                                        ; implicit-def: $vgpr55_vgpr56
                                        ; implicit-def: $vgpr61_vgpr62
                                        ; implicit-def: $vgpr57_vgpr58
                                        ; implicit-def: $vgpr53_vgpr54
                                        ; implicit-def: $vgpr47_vgpr48
                                        ; implicit-def: $vgpr43_vgpr44
                                        ; implicit-def: $vgpr41_vgpr42
                                        ; implicit-def: $vgpr45_vgpr46
                                        ; implicit-def: $vgpr49_vgpr50
                                        ; implicit-def: $vgpr33_vgpr34
                                        ; implicit-def: $vgpr35_vgpr36
                                        ; implicit-def: $vgpr39_vgpr40
                                        ; implicit-def: $vgpr63_vgpr64
                                        ; implicit-def: $vgpr59_vgpr60
                                        ; implicit-def: $vgpr51_vgpr52
	s_cbranch_execz .LBB704_112
; %bb.101:
	s_and_b32 s0, s16, exec_lo
	v_mov_b32_e32 v51, v92
	s_cselect_b32 s1, 0, s35
	s_cselect_b32 s0, 0, s34
	s_delay_alu instid0(SALU_CYCLE_1)
	s_cmp_eq_u64 s[0:1], 0
	s_cbranch_scc1 .LBB704_103
; %bb.102:
	v_mov_b32_e32 v29, 0
	global_load_b32 v51, v29, s[0:1]
.LBB704_103:
	v_cmp_eq_u32_e64 s6, 0, v80
	v_cmp_eq_u32_e64 s7, 0, v79
	v_cmp_eq_u32_e64 s8, 0, v78
	v_cmp_eq_u32_e64 s9, 0, v77
	v_cmp_eq_u32_e64 s10, 0, v76
	v_cndmask_b32_e64 v29, 0, v92, s6
	v_cmp_eq_u32_e64 s11, 0, v75
	v_cmp_eq_u32_e64 s5, 0, v74
	;; [unrolled: 1-line block ×4, first 2 shown]
	v_add_nc_u32_e32 v29, v29, v91
	v_cmp_eq_u32_e64 s2, 0, v70
	v_cmp_eq_u32_e64 s1, 0, v69
	v_cmp_eq_u32_e32 vcc_lo, 0, v68
	v_add3_u32 v30, v99, v76, v75
	v_cndmask_b32_e64 v29, 0, v29, s7
	v_cmp_eq_u32_e64 s0, 0, v67
	v_cmp_eq_u32_e64 s12, 0, v72
	v_and_b32_e32 v32, 15, v96
	v_add3_u32 v30, v30, v74, v73
	v_add_nc_u32_e32 v29, v29, v90
	s_delay_alu instid0(VALU_DEP_3) | instskip(NEXT) | instid1(VALU_DEP_3)
	v_cmp_lt_u32_e64 s13, 1, v32
	v_add3_u32 v30, v30, v71, v70
	s_delay_alu instid0(VALU_DEP_3) | instskip(NEXT) | instid1(VALU_DEP_2)
	v_cndmask_b32_e64 v29, 0, v29, s8
	v_add3_u32 v30, v30, v69, v68
	s_delay_alu instid0(VALU_DEP_2) | instskip(NEXT) | instid1(VALU_DEP_2)
	v_add_nc_u32_e32 v29, v29, v89
	v_add3_u32 v30, v30, v67, v72
	s_delay_alu instid0(VALU_DEP_2) | instskip(NEXT) | instid1(VALU_DEP_2)
	v_cndmask_b32_e64 v29, 0, v29, s9
	v_mov_b32_dpp v33, v30 row_shr:1 row_mask:0xf bank_mask:0xf
	s_delay_alu instid0(VALU_DEP_2) | instskip(NEXT) | instid1(VALU_DEP_1)
	v_add_nc_u32_e32 v29, v29, v87
	v_cndmask_b32_e64 v29, 0, v29, s10
	s_delay_alu instid0(VALU_DEP_1) | instskip(NEXT) | instid1(VALU_DEP_1)
	v_add_nc_u32_e32 v29, v29, v86
	v_cndmask_b32_e64 v29, 0, v29, s11
	s_delay_alu instid0(VALU_DEP_1) | instskip(NEXT) | instid1(VALU_DEP_1)
	;; [unrolled: 3-line block ×7, first 2 shown]
	v_add_nc_u32_e32 v29, v29, v81
	v_cndmask_b32_e32 v29, 0, v29, vcc_lo
	s_delay_alu instid0(VALU_DEP_1) | instskip(NEXT) | instid1(VALU_DEP_1)
	v_add_nc_u32_e32 v29, v29, v66
	v_cndmask_b32_e64 v29, 0, v29, s0
	s_delay_alu instid0(VALU_DEP_1) | instskip(NEXT) | instid1(VALU_DEP_1)
	v_add_nc_u32_e32 v29, v29, v65
	v_cndmask_b32_e64 v29, 0, v29, s12
	v_cmp_eq_u32_e64 s12, 0, v30
	s_delay_alu instid0(VALU_DEP_2) | instskip(NEXT) | instid1(VALU_DEP_1)
	v_add_nc_u32_e32 v29, v29, v95
	v_mov_b32_dpp v31, v29 row_shr:1 row_mask:0xf bank_mask:0xf
	s_delay_alu instid0(VALU_DEP_1) | instskip(SKIP_1) | instid1(VALU_DEP_1)
	v_cndmask_b32_e64 v31, 0, v31, s12
	v_cmp_eq_u32_e64 s12, 0, v32
	v_cndmask_b32_e64 v33, v33, 0, s12
	s_delay_alu instid0(VALU_DEP_3) | instskip(NEXT) | instid1(VALU_DEP_2)
	v_cndmask_b32_e64 v31, v31, 0, s12
	v_add_nc_u32_e32 v30, v33, v30
	s_delay_alu instid0(VALU_DEP_2) | instskip(NEXT) | instid1(VALU_DEP_2)
	v_add_nc_u32_e32 v29, v31, v29
	v_mov_b32_dpp v31, v30 row_shr:2 row_mask:0xf bank_mask:0xf
	v_cmp_eq_u32_e64 s12, 0, v30
	s_delay_alu instid0(VALU_DEP_3) | instskip(NEXT) | instid1(VALU_DEP_3)
	v_mov_b32_dpp v33, v29 row_shr:2 row_mask:0xf bank_mask:0xf
	v_cndmask_b32_e64 v31, 0, v31, s13
	s_delay_alu instid0(VALU_DEP_3) | instskip(SKIP_1) | instid1(VALU_DEP_3)
	s_and_b32 s12, s13, s12
	v_cmp_lt_u32_e64 s13, 3, v32
	v_cndmask_b32_e64 v33, 0, v33, s12
	s_delay_alu instid0(VALU_DEP_3) | instskip(NEXT) | instid1(VALU_DEP_2)
	v_add_nc_u32_e32 v30, v30, v31
	v_add_nc_u32_e32 v29, v33, v29
	s_delay_alu instid0(VALU_DEP_2) | instskip(SKIP_1) | instid1(VALU_DEP_3)
	v_mov_b32_dpp v31, v30 row_shr:4 row_mask:0xf bank_mask:0xf
	v_cmp_eq_u32_e64 s12, 0, v30
	v_mov_b32_dpp v33, v29 row_shr:4 row_mask:0xf bank_mask:0xf
	s_delay_alu instid0(VALU_DEP_3) | instskip(NEXT) | instid1(VALU_DEP_3)
	v_cndmask_b32_e64 v31, 0, v31, s13
	s_and_b32 s12, s13, s12
	v_cmp_lt_u32_e64 s13, 7, v32
	s_delay_alu instid0(VALU_DEP_3) | instskip(NEXT) | instid1(VALU_DEP_3)
	v_cndmask_b32_e64 v33, 0, v33, s12
	v_add_nc_u32_e32 v30, v31, v30
	s_delay_alu instid0(VALU_DEP_2) | instskip(SKIP_1) | instid1(VALU_DEP_3)
	v_add_nc_u32_e32 v29, v29, v33
	v_bfe_i32 v33, v96, 4, 1
	v_cmp_eq_u32_e64 s12, 0, v30
	v_mov_b32_dpp v31, v30 row_shr:8 row_mask:0xf bank_mask:0xf
	s_delay_alu instid0(VALU_DEP_4) | instskip(NEXT) | instid1(VALU_DEP_3)
	v_mov_b32_dpp v32, v29 row_shr:8 row_mask:0xf bank_mask:0xf
	s_and_b32 s12, s13, s12
	s_delay_alu instid0(VALU_DEP_2) | instskip(SKIP_1) | instid1(VALU_DEP_2)
	v_cndmask_b32_e64 v31, 0, v31, s13
	s_mov_b32 s13, exec_lo
	v_cndmask_b32_e64 v32, 0, v32, s12
	s_delay_alu instid0(VALU_DEP_1) | instskip(NEXT) | instid1(VALU_DEP_3)
	v_add_nc_u32_e32 v32, v32, v29
	v_add_nc_u32_e32 v29, v31, v30
	ds_swizzle_b32 v30, v32 offset:swizzle(BROADCAST,32,15)
	ds_swizzle_b32 v31, v29 offset:swizzle(BROADCAST,32,15)
	v_cmp_eq_u32_e64 s12, 0, v29
	s_waitcnt lgkmcnt(1)
	s_delay_alu instid0(VALU_DEP_1) | instskip(SKIP_2) | instid1(VALU_DEP_2)
	v_cndmask_b32_e64 v30, 0, v30, s12
	s_waitcnt lgkmcnt(0)
	v_and_b32_e32 v31, v33, v31
	v_and_b32_e32 v30, v33, v30
	s_delay_alu instid0(VALU_DEP_2) | instskip(NEXT) | instid1(VALU_DEP_2)
	v_add_nc_u32_e32 v29, v31, v29
	v_add_nc_u32_e32 v30, v30, v32
	v_lshlrev_b32_e32 v32, 3, v97
	v_cmpx_eq_u32_e64 v98, v0
	s_cbranch_execz .LBB704_105
; %bb.104:
	ds_store_b64 v32, v[29:30] offset:4112
.LBB704_105:
	s_or_b32 exec_lo, exec_lo, s13
	s_delay_alu instid0(SALU_CYCLE_1)
	s_mov_b32 s14, exec_lo
	s_waitcnt vmcnt(0) lgkmcnt(0)
	s_barrier
	buffer_gl0_inv
	v_cmpx_gt_u32_e32 8, v0
	s_cbranch_execz .LBB704_107
; %bb.106:
	v_lshlrev_b32_e32 v31, 3, v0
	v_and_b32_e32 v36, 7, v96
	ds_load_b64 v[33:34], v31 offset:4112
	v_cmp_lt_u32_e64 s13, 1, v36
	s_waitcnt lgkmcnt(0)
	v_mov_b32_dpp v35, v34 row_shr:1 row_mask:0xf bank_mask:0xf
	v_cmp_eq_u32_e64 s12, 0, v33
	v_mov_b32_dpp v39, v33 row_shr:1 row_mask:0xf bank_mask:0xf
	s_delay_alu instid0(VALU_DEP_2) | instskip(SKIP_1) | instid1(VALU_DEP_1)
	v_cndmask_b32_e64 v35, 0, v35, s12
	v_cmp_eq_u32_e64 s12, 0, v36
	v_cndmask_b32_e64 v39, v39, 0, s12
	s_delay_alu instid0(VALU_DEP_3) | instskip(NEXT) | instid1(VALU_DEP_2)
	v_cndmask_b32_e64 v35, v35, 0, s12
	v_add_nc_u32_e32 v33, v39, v33
	s_delay_alu instid0(VALU_DEP_2) | instskip(NEXT) | instid1(VALU_DEP_2)
	v_add_nc_u32_e32 v34, v35, v34
	v_mov_b32_dpp v35, v33 row_shr:2 row_mask:0xf bank_mask:0xf
	v_cmp_eq_u32_e64 s12, 0, v33
	s_delay_alu instid0(VALU_DEP_3) | instskip(NEXT) | instid1(VALU_DEP_3)
	v_mov_b32_dpp v39, v34 row_shr:2 row_mask:0xf bank_mask:0xf
	v_cndmask_b32_e64 v35, 0, v35, s13
	s_delay_alu instid0(VALU_DEP_3) | instskip(SKIP_1) | instid1(VALU_DEP_3)
	s_and_b32 s12, s13, s12
	v_cmp_lt_u32_e64 s13, 3, v36
	v_cndmask_b32_e64 v39, 0, v39, s12
	s_delay_alu instid0(VALU_DEP_3) | instskip(NEXT) | instid1(VALU_DEP_2)
	v_add_nc_u32_e32 v33, v35, v33
	v_add_nc_u32_e32 v34, v39, v34
	s_delay_alu instid0(VALU_DEP_2) | instskip(SKIP_1) | instid1(VALU_DEP_3)
	v_cmp_eq_u32_e64 s12, 0, v33
	v_mov_b32_dpp v35, v33 row_shr:4 row_mask:0xf bank_mask:0xf
	v_mov_b32_dpp v36, v34 row_shr:4 row_mask:0xf bank_mask:0xf
	s_delay_alu instid0(VALU_DEP_3) | instskip(NEXT) | instid1(VALU_DEP_2)
	s_and_b32 s12, s13, s12
	v_cndmask_b32_e64 v35, 0, v35, s13
	s_delay_alu instid0(VALU_DEP_2) | instskip(NEXT) | instid1(VALU_DEP_2)
	v_cndmask_b32_e64 v36, 0, v36, s12
	v_add_nc_u32_e32 v33, v35, v33
	s_delay_alu instid0(VALU_DEP_2)
	v_add_nc_u32_e32 v34, v36, v34
	ds_store_b64 v31, v[33:34] offset:4112
.LBB704_107:
	s_or_b32 exec_lo, exec_lo, s14
	v_mov_b32_e32 v35, 0
	v_mov_b32_e32 v31, 0
	;; [unrolled: 1-line block ×3, first 2 shown]
	s_mov_b32 s13, exec_lo
	s_waitcnt lgkmcnt(0)
	s_barrier
	buffer_gl0_inv
	v_cmpx_lt_u32_e32 31, v0
	s_cbranch_execz .LBB704_109
; %bb.108:
	ds_load_b64 v[31:32], v32 offset:4104
	s_waitcnt lgkmcnt(0)
	v_cmp_eq_u32_e64 s12, 0, v31
	s_delay_alu instid0(VALU_DEP_1) | instskip(NEXT) | instid1(VALU_DEP_1)
	v_cndmask_b32_e64 v33, 0, v51, s12
	v_add_nc_u32_e32 v33, v33, v32
.LBB704_109:
	s_or_b32 exec_lo, exec_lo, s13
	v_add_nc_u32_e32 v32, -1, v96
	v_cmp_eq_u32_e64 s13, 0, v93
	s_delay_alu instid0(VALU_DEP_2) | instskip(NEXT) | instid1(VALU_DEP_1)
	v_cmp_gt_i32_e64 s12, 0, v32
	v_cndmask_b32_e64 v32, v32, v96, s12
	v_cmp_eq_u32_e64 s12, 0, v29
	v_add_nc_u32_e32 v29, v31, v29
	s_delay_alu instid0(VALU_DEP_3) | instskip(NEXT) | instid1(VALU_DEP_3)
	v_lshlrev_b32_e32 v32, 2, v32
	v_cndmask_b32_e64 v34, 0, v33, s12
	v_cmp_eq_u32_e64 s12, 0, v96
	ds_bpermute_b32 v29, v32, v29
	v_add_nc_u32_e32 v30, v34, v30
	ds_bpermute_b32 v30, v32, v30
	s_waitcnt lgkmcnt(1)
	v_cndmask_b32_e64 v29, v29, v31, s12
	s_waitcnt lgkmcnt(0)
	v_cndmask_b32_e64 v30, v30, v33, s12
	v_cmp_eq_u32_e64 s12, 0, v0
	s_delay_alu instid0(VALU_DEP_1) | instskip(SKIP_1) | instid1(VALU_DEP_2)
	v_cndmask_b32_e64 v56, v30, v51, s12
	v_cndmask_b32_e64 v55, v29, 0, s12
	;; [unrolled: 1-line block ×3, first 2 shown]
	s_delay_alu instid0(VALU_DEP_2) | instskip(NEXT) | instid1(VALU_DEP_2)
	v_add_nc_u32_e32 v61, v55, v93
	v_add_nc_u32_e32 v62, v30, v92
	s_delay_alu instid0(VALU_DEP_2) | instskip(NEXT) | instid1(VALU_DEP_2)
	v_add_nc_u32_e32 v57, v61, v80
	v_cndmask_b32_e64 v30, 0, v62, s6
	s_delay_alu instid0(VALU_DEP_2) | instskip(NEXT) | instid1(VALU_DEP_2)
	v_add_nc_u32_e32 v53, v57, v79
	v_add_nc_u32_e32 v58, v30, v91
	s_delay_alu instid0(VALU_DEP_2) | instskip(NEXT) | instid1(VALU_DEP_2)
	v_add_nc_u32_e32 v47, v53, v78
	v_cndmask_b32_e64 v30, 0, v58, s7
	;; [unrolled: 6-line block ×4, first 2 shown]
	s_delay_alu instid0(VALU_DEP_2) | instskip(NEXT) | instid1(VALU_DEP_2)
	v_add_nc_u32_e32 v33, v49, v73
	v_add_nc_u32_e32 v44, v30, v87
	s_delay_alu instid0(VALU_DEP_1) | instskip(NEXT) | instid1(VALU_DEP_1)
	v_cndmask_b32_e64 v30, 0, v44, s10
	v_add_nc_u32_e32 v42, v30, v86
	s_delay_alu instid0(VALU_DEP_1) | instskip(NEXT) | instid1(VALU_DEP_1)
	v_cndmask_b32_e64 v30, 0, v42, s11
	;; [unrolled: 3-line block ×6, first 2 shown]
	v_add_nc_u32_e32 v40, v29, v83
	ds_load_b64 v[29:30], v35 offset:4168
	v_add_nc_u32_e32 v35, v33, v71
	v_cndmask_b32_e64 v31, 0, v40, s1
	s_delay_alu instid0(VALU_DEP_2) | instskip(NEXT) | instid1(VALU_DEP_2)
	v_add_nc_u32_e32 v39, v35, v70
	v_add_nc_u32_e32 v64, v31, v81
	s_delay_alu instid0(VALU_DEP_2) | instskip(NEXT) | instid1(VALU_DEP_2)
	v_add_nc_u32_e32 v63, v39, v69
	v_cndmask_b32_e32 v31, 0, v64, vcc_lo
	s_delay_alu instid0(VALU_DEP_2) | instskip(NEXT) | instid1(VALU_DEP_2)
	v_add_nc_u32_e32 v59, v63, v68
	v_add_nc_u32_e32 v60, v31, v66
	s_waitcnt lgkmcnt(0)
	v_cmp_eq_u32_e32 vcc_lo, 0, v29
	s_delay_alu instid0(VALU_DEP_2) | instskip(SKIP_2) | instid1(VALU_DEP_3)
	v_cndmask_b32_e64 v31, 0, v60, s0
	v_cndmask_b32_e32 v32, 0, v51, vcc_lo
	v_add_nc_u32_e32 v51, v59, v67
	v_add_nc_u32_e32 v52, v31, v65
	s_delay_alu instid0(VALU_DEP_3)
	v_add_nc_u32_e32 v94, v32, v30
	s_and_saveexec_b32 s0, s12
	s_cbranch_execz .LBB704_111
; %bb.110:
	s_delay_alu instid0(VALU_DEP_1)
	v_and_b32_e32 v30, 0xff000000, v94
	v_dual_mov_b32 v32, 0 :: v_dual_and_b32 v31, 0xff0000, v94
	s_add_u32 s2, s24, 0x200
	v_and_b32_e32 v65, 0xff00, v94
	s_addc_u32 s3, s25, 0
	v_and_b32_e32 v66, 0xff, v94
	v_or_b32_e32 v30, v31, v30
	v_mov_b32_e32 v31, 2
	s_delay_alu instid0(VALU_DEP_2)
	v_or3_b32 v30, v30, v65, v66
	v_dual_mov_b32 v66, s3 :: v_dual_mov_b32 v65, s2
	;;#ASMSTART
	global_store_dwordx4 v[65:66], v[29:32] off	
s_waitcnt vmcnt(0)
	;;#ASMEND
.LBB704_111:
	s_or_b32 exec_lo, exec_lo, s0
	v_mov_b32_e32 v31, 0
.LBB704_112:
	v_mov_b32_e32 v65, 0
	s_and_b32 s0, s16, exec_lo
	v_mov_b32_e32 v66, 0
	s_cselect_b32 s1, 0, s43
	s_cselect_b32 s0, 0, s42
	s_delay_alu instid0(SALU_CYCLE_1)
	s_cmp_eq_u64 s[0:1], 0
	s_barrier
	buffer_gl0_inv
	s_cbranch_scc1 .LBB704_114
; %bb.113:
	v_mov_b32_e32 v30, 0
	global_load_b64 v[65:66], v30, s[0:1]
.LBB704_114:
	v_cmp_eq_u32_e32 vcc_lo, 0, v93
	v_cmp_ne_u32_e64 s14, 0, v93
	v_cmp_ne_u32_e64 s13, 0, v80
	;; [unrolled: 1-line block ×4, first 2 shown]
	v_cndmask_b32_e64 v30, 1, 2, vcc_lo
	v_cmp_eq_u32_e32 vcc_lo, 0, v80
	v_cmp_ne_u32_e64 s10, 0, v77
	v_cmp_ne_u32_e64 s9, 0, v76
	;; [unrolled: 1-line block ×4, first 2 shown]
	v_cndmask_b32_e64 v32, 1, 2, vcc_lo
	v_cmp_eq_u32_e32 vcc_lo, 0, v79
	v_cmp_ne_u32_e64 s8, 0, v73
	v_cmp_ne_u32_e64 s6, 0, v71
	;; [unrolled: 1-line block ×3, first 2 shown]
	v_and_b32_e32 v30, v32, v30
	v_cndmask_b32_e64 v81, 1, 2, vcc_lo
	v_cmp_eq_u32_e32 vcc_lo, 0, v78
	v_cmp_ne_u32_e64 s3, 0, v69
	v_cmp_ne_u32_e64 s2, 0, v68
	;; [unrolled: 1-line block ×3, first 2 shown]
	v_and_b32_e32 v30, v30, v81
	v_cndmask_b32_e64 v32, 1, 2, vcc_lo
	v_cmp_eq_u32_e32 vcc_lo, 0, v77
	v_cmp_ne_u32_e64 s0, 0, v72
	s_mov_b32 s16, -1
	s_delay_alu instid0(VALU_DEP_3) | instskip(SKIP_2) | instid1(VALU_DEP_2)
	v_and_b32_e32 v30, v30, v32
	v_cndmask_b32_e64 v81, 1, 2, vcc_lo
	v_cmp_eq_u32_e32 vcc_lo, 0, v76
	v_and_b32_e32 v30, v30, v81
	v_cndmask_b32_e64 v32, 1, 2, vcc_lo
	v_cmp_eq_u32_e32 vcc_lo, 0, v75
	s_waitcnt vmcnt(0)
	v_lshlrev_b64 v[81:82], 3, v[65:66]
	s_delay_alu instid0(VALU_DEP_3) | instskip(SKIP_2) | instid1(VALU_DEP_2)
	v_and_b32_e32 v30, v30, v32
	v_cndmask_b32_e64 v83, 1, 2, vcc_lo
	v_cmp_eq_u32_e32 vcc_lo, 0, v74
	v_and_b32_e32 v30, v30, v83
	v_cndmask_b32_e64 v84, 1, 2, vcc_lo
	v_cmp_eq_u32_e32 vcc_lo, 0, v73
	s_delay_alu instid0(VALU_DEP_2) | instskip(SKIP_2) | instid1(VALU_DEP_2)
	v_and_b32_e32 v30, v30, v84
	v_cndmask_b32_e64 v83, 1, 2, vcc_lo
	v_cmp_eq_u32_e32 vcc_lo, 0, v71
	v_and_b32_e32 v30, v30, v83
	v_cndmask_b32_e64 v84, 1, 2, vcc_lo
	v_cmp_eq_u32_e32 vcc_lo, 0, v70
	s_delay_alu instid0(VALU_DEP_2) | instskip(SKIP_2) | instid1(VALU_DEP_2)
	v_and_b32_e32 v30, v30, v84
	v_cndmask_b32_e64 v83, 1, 2, vcc_lo
	v_cmp_eq_u32_e32 vcc_lo, 0, v69
	v_and_b32_e32 v30, v30, v83
	v_cndmask_b32_e64 v85, 1, 2, vcc_lo
	v_cmp_eq_u32_e32 vcc_lo, 0, v68
	s_delay_alu instid0(VALU_DEP_2) | instskip(SKIP_3) | instid1(VALU_DEP_3)
	v_and_b32_e32 v30, v30, v85
	v_cndmask_b32_e64 v86, 1, 2, vcc_lo
	v_mov_b32_e32 v32, 0
	v_cmp_eq_u32_e32 vcc_lo, 0, v67
	v_and_b32_e32 v85, v30, v86
	s_delay_alu instid0(VALU_DEP_3) | instskip(SKIP_3) | instid1(VALU_DEP_2)
	v_lshlrev_b64 v[83:84], 3, v[31:32]
	v_cndmask_b32_e64 v87, 1, 2, vcc_lo
	v_add_co_u32 v81, vcc_lo, s22, v81
	v_add_co_ci_u32_e32 v82, vcc_lo, s23, v82, vcc_lo
	v_add_co_u32 v30, vcc_lo, v81, v83
	s_delay_alu instid0(VALU_DEP_2) | instskip(SKIP_4) | instid1(VALU_DEP_2)
	v_add_co_ci_u32_e32 v81, vcc_lo, v82, v84, vcc_lo
	v_cmp_eq_u32_e32 vcc_lo, 0, v72
	v_and_b32_e32 v82, v85, v87
	v_cndmask_b32_e64 v83, 1, 2, vcc_lo
	v_cmp_gt_u32_e32 vcc_lo, 0x100, v29
	v_and_b32_e32 v82, v82, v83
	s_delay_alu instid0(VALU_DEP_1)
	v_cmp_gt_i16_e64 s15, 2, v82
	s_cbranch_vccz .LBB704_163
; %bb.115:
	s_delay_alu instid0(VALU_DEP_1)
	s_and_saveexec_b32 s16, s15
	s_cbranch_execz .LBB704_162
; %bb.116:
	s_mov_b32 s17, 0
	s_mov_b32 s15, exec_lo
	v_cmpx_ne_u16_e32 1, v82
	s_xor_b32 s15, exec_lo, s15
	s_cbranch_execz .LBB704_140
; %bb.117:
	s_and_saveexec_b32 s17, s14
	s_cbranch_execz .LBB704_145
; %bb.118:
	v_sub_nc_u32_e32 v83, v55, v31
	v_mov_b32_e32 v84, 0
	s_delay_alu instid0(VALU_DEP_1) | instskip(NEXT) | instid1(VALU_DEP_1)
	v_lshlrev_b64 v[83:84], 3, v[83:84]
	v_add_co_u32 v83, vcc_lo, v30, v83
	s_delay_alu instid0(VALU_DEP_2)
	v_add_co_ci_u32_e32 v84, vcc_lo, v81, v84, vcc_lo
	global_store_b64 v[83:84], v[25:26], off
	s_or_b32 exec_lo, exec_lo, s17
	s_and_saveexec_b32 s17, s13
	s_cbranch_execnz .LBB704_146
.LBB704_119:
	s_or_b32 exec_lo, exec_lo, s17
	s_and_saveexec_b32 s17, s12
	s_cbranch_execz .LBB704_147
.LBB704_120:
	v_sub_nc_u32_e32 v83, v57, v31
	v_mov_b32_e32 v84, 0
	s_delay_alu instid0(VALU_DEP_1) | instskip(NEXT) | instid1(VALU_DEP_1)
	v_lshlrev_b64 v[83:84], 3, v[83:84]
	v_add_co_u32 v83, vcc_lo, v30, v83
	s_delay_alu instid0(VALU_DEP_2)
	v_add_co_ci_u32_e32 v84, vcc_lo, v81, v84, vcc_lo
	global_store_b64 v[83:84], v[21:22], off
	s_or_b32 exec_lo, exec_lo, s17
	s_and_saveexec_b32 s17, s11
	s_cbranch_execnz .LBB704_148
.LBB704_121:
	s_or_b32 exec_lo, exec_lo, s17
	s_and_saveexec_b32 s17, s10
	s_cbranch_execz .LBB704_149
.LBB704_122:
	v_sub_nc_u32_e32 v83, v47, v31
	v_mov_b32_e32 v84, 0
	s_delay_alu instid0(VALU_DEP_1) | instskip(NEXT) | instid1(VALU_DEP_1)
	v_lshlrev_b64 v[83:84], 3, v[83:84]
	v_add_co_u32 v83, vcc_lo, v30, v83
	s_delay_alu instid0(VALU_DEP_2)
	v_add_co_ci_u32_e32 v84, vcc_lo, v81, v84, vcc_lo
	global_store_b64 v[83:84], v[17:18], off
	s_or_b32 exec_lo, exec_lo, s17
	s_and_saveexec_b32 s17, s9
	s_cbranch_execnz .LBB704_150
.LBB704_123:
	s_or_b32 exec_lo, exec_lo, s17
	s_and_saveexec_b32 s17, s7
	s_cbranch_execz .LBB704_151
.LBB704_124:
	v_sub_nc_u32_e32 v83, v41, v31
	v_mov_b32_e32 v84, 0
	s_delay_alu instid0(VALU_DEP_1) | instskip(NEXT) | instid1(VALU_DEP_1)
	v_lshlrev_b64 v[83:84], 3, v[83:84]
	v_add_co_u32 v83, vcc_lo, v30, v83
	s_delay_alu instid0(VALU_DEP_2)
	v_add_co_ci_u32_e32 v84, vcc_lo, v81, v84, vcc_lo
	global_store_b64 v[83:84], v[13:14], off
	s_or_b32 exec_lo, exec_lo, s17
	s_and_saveexec_b32 s17, s5
	s_cbranch_execnz .LBB704_152
.LBB704_125:
	s_or_b32 exec_lo, exec_lo, s17
	s_and_saveexec_b32 s17, s8
	s_cbranch_execz .LBB704_153
.LBB704_126:
	v_sub_nc_u32_e32 v83, v49, v31
	v_mov_b32_e32 v84, 0
	s_delay_alu instid0(VALU_DEP_1) | instskip(NEXT) | instid1(VALU_DEP_1)
	v_lshlrev_b64 v[83:84], 3, v[83:84]
	v_add_co_u32 v83, vcc_lo, v30, v83
	s_delay_alu instid0(VALU_DEP_2)
	v_add_co_ci_u32_e32 v84, vcc_lo, v81, v84, vcc_lo
	global_store_b64 v[83:84], v[9:10], off
	s_or_b32 exec_lo, exec_lo, s17
	s_and_saveexec_b32 s17, s6
	s_cbranch_execnz .LBB704_154
.LBB704_127:
	s_or_b32 exec_lo, exec_lo, s17
	s_and_saveexec_b32 s17, s4
	s_cbranch_execz .LBB704_155
.LBB704_128:
	v_sub_nc_u32_e32 v83, v35, v31
	v_mov_b32_e32 v84, 0
	s_delay_alu instid0(VALU_DEP_1) | instskip(NEXT) | instid1(VALU_DEP_1)
	v_lshlrev_b64 v[83:84], 3, v[83:84]
	v_add_co_u32 v83, vcc_lo, v30, v83
	s_delay_alu instid0(VALU_DEP_2)
	v_add_co_ci_u32_e32 v84, vcc_lo, v81, v84, vcc_lo
	global_store_b64 v[83:84], v[5:6], off
	s_or_b32 exec_lo, exec_lo, s17
	s_and_saveexec_b32 s17, s3
	s_cbranch_execnz .LBB704_156
.LBB704_129:
	s_or_b32 exec_lo, exec_lo, s17
	s_and_saveexec_b32 s17, s2
	s_cbranch_execz .LBB704_157
.LBB704_130:
	v_sub_nc_u32_e32 v83, v63, v31
	v_mov_b32_e32 v84, 0
	s_delay_alu instid0(VALU_DEP_1) | instskip(NEXT) | instid1(VALU_DEP_1)
	v_lshlrev_b64 v[83:84], 3, v[83:84]
	v_add_co_u32 v83, vcc_lo, v30, v83
	s_delay_alu instid0(VALU_DEP_2)
	v_add_co_ci_u32_e32 v84, vcc_lo, v81, v84, vcc_lo
	global_store_b64 v[83:84], v[1:2], off
	s_or_b32 exec_lo, exec_lo, s17
	s_and_saveexec_b32 s17, s1
	s_cbranch_execnz .LBB704_158
	s_branch .LBB704_159
.LBB704_131:
	s_mov_b32 s30, 0
                                        ; implicit-def: $sgpr0
                                        ; implicit-def: $vgpr72
                                        ; implicit-def: $vgpr67
                                        ; implicit-def: $vgpr68
                                        ; implicit-def: $vgpr69
                                        ; implicit-def: $vgpr70
                                        ; implicit-def: $vgpr71
                                        ; implicit-def: $vgpr73
                                        ; implicit-def: $vgpr74
                                        ; implicit-def: $vgpr75
                                        ; implicit-def: $vgpr76
                                        ; implicit-def: $vgpr77
                                        ; implicit-def: $vgpr78
                                        ; implicit-def: $vgpr79
                                        ; implicit-def: $vgpr80
	s_cbranch_execz .LBB704_70
.LBB704_132:
	v_cmp_ne_u64_e32 vcc_lo, v[3:4], v[37:38]
	v_lshlrev_b32_e32 v30, 3, v0
	s_mov_b32 s1, exec_lo
                                        ; implicit-def: $sgpr0
	ds_store_b64 v30, v[37:38]
	v_cndmask_b32_e64 v72, 0, 1, vcc_lo
	v_cmp_ne_u64_e32 vcc_lo, v[1:2], v[3:4]
	s_waitcnt lgkmcnt(0)
	s_barrier
	buffer_gl0_inv
	v_cndmask_b32_e64 v67, 0, 1, vcc_lo
	v_cmp_ne_u64_e32 vcc_lo, v[7:8], v[1:2]
	v_cndmask_b32_e64 v68, 0, 1, vcc_lo
	v_cmp_ne_u64_e32 vcc_lo, v[5:6], v[7:8]
	v_cndmask_b32_e64 v69, 0, 1, vcc_lo
	v_cmp_ne_u64_e32 vcc_lo, v[11:12], v[5:6]
	v_cndmask_b32_e64 v70, 0, 1, vcc_lo
	v_cmp_ne_u64_e32 vcc_lo, v[9:10], v[11:12]
	v_cndmask_b32_e64 v71, 0, 1, vcc_lo
	v_cmp_ne_u64_e32 vcc_lo, v[15:16], v[9:10]
	v_cndmask_b32_e64 v73, 0, 1, vcc_lo
	v_cmp_ne_u64_e32 vcc_lo, v[13:14], v[15:16]
	v_cndmask_b32_e64 v74, 0, 1, vcc_lo
	v_cmp_ne_u64_e32 vcc_lo, v[19:20], v[13:14]
	v_cndmask_b32_e64 v75, 0, 1, vcc_lo
	v_cmp_ne_u64_e32 vcc_lo, v[17:18], v[19:20]
	v_cndmask_b32_e64 v76, 0, 1, vcc_lo
	v_cmp_ne_u64_e32 vcc_lo, v[23:24], v[17:18]
	v_cndmask_b32_e64 v77, 0, 1, vcc_lo
	v_cmp_ne_u64_e32 vcc_lo, v[21:22], v[23:24]
	v_cndmask_b32_e64 v78, 0, 1, vcc_lo
	v_cmp_ne_u64_e32 vcc_lo, v[27:28], v[21:22]
	v_cndmask_b32_e64 v79, 0, 1, vcc_lo
	v_cmp_ne_u64_e32 vcc_lo, v[25:26], v[27:28]
	v_cndmask_b32_e64 v80, 0, 1, vcc_lo
	v_cmpx_ne_u32_e32 0, v0
	s_xor_b32 s1, exec_lo, s1
	s_cbranch_execz .LBB704_134
; %bb.133:
	v_add_nc_u32_e32 v30, -8, v30
	s_or_b32 s30, s30, exec_lo
	ds_load_b64 v[58:59], v30
	s_waitcnt lgkmcnt(0)
	v_cmp_ne_u64_e32 vcc_lo, v[58:59], v[25:26]
	s_and_b32 s0, vcc_lo, exec_lo
.LBB704_134:
	s_or_b32 exec_lo, exec_lo, s1
	s_mov_b32 s1, 1
	s_branch .LBB704_72
.LBB704_135:
	s_mul_hi_u32 s0, s16, 0xfffff100
	s_mul_i32 s1, s17, 0xfffff100
	s_sub_i32 s0, s0, s16
	s_mul_i32 s2, s16, 0xfffff100
	s_add_i32 s0, s0, s1
	s_add_u32 s18, s2, s40
	v_cmp_ne_u64_e64 s13, v[3:4], v[37:38]
	v_cmp_ne_u64_e64 s14, v[1:2], v[3:4]
	;; [unrolled: 1-line block ×14, first 2 shown]
	s_addc_u32 s19, s0, s41
	v_cmp_ne_u32_e64 s0, 0, v0
	s_and_b32 vcc_lo, exec_lo, s31
	s_cbranch_vccz .LBB704_142
; %bb.136:
	v_add_co_u32 v58, s16, -8, s33
	s_delay_alu instid0(VALU_DEP_1)
	v_add_co_ci_u32_e64 v59, null, -1, s29, s16
	v_mov_b32_e32 v30, 0
	v_lshlrev_b32_e32 v62, 3, v0
	v_mul_u32_u24_e32 v61, 15, v0
	flat_load_b64 v[59:60], v[58:59]
	s_mov_b32 s30, -1
	v_cmp_gt_u64_e32 vcc_lo, s[18:19], v[29:30]
	v_mov_b32_e32 v58, v30
	v_mov_b32_e32 v56, v30
	;; [unrolled: 1-line block ×5, first 2 shown]
	v_cmp_gt_u64_e64 s16, s[18:19], v[57:58]
	s_and_b32 s29, vcc_lo, s13
	v_cmp_gt_u64_e32 vcc_lo, s[18:19], v[55:56]
	v_mov_b32_e32 v48, v30
	v_mov_b32_e32 v46, v30
	v_cmp_gt_u64_e64 s13, s[18:19], v[53:54]
	s_and_b32 s31, s16, s14
	v_mov_b32_e32 v44, v30
	s_and_b32 s33, vcc_lo, s12
	v_cmp_gt_u64_e32 vcc_lo, s[18:19], v[51:52]
	v_cmp_gt_u64_e64 s12, s[18:19], v[49:50]
	v_cmp_gt_u64_e64 s14, s[18:19], v[47:48]
	;; [unrolled: 1-line block ×3, first 2 shown]
	v_mov_b32_e32 v42, v30
	v_mov_b32_e32 v40, v30
	;; [unrolled: 1-line block ×5, first 2 shown]
	s_and_b32 s13, s13, s11
	s_and_b32 s40, vcc_lo, s7
	s_and_b32 s41, s12, s8
	s_and_b32 s14, s14, s9
	;; [unrolled: 1-line block ×3, first 2 shown]
	v_cmp_gt_u64_e32 vcc_lo, s[18:19], v[43:44]
	v_cmp_gt_u64_e64 s7, s[18:19], v[41:42]
	v_cmp_gt_u64_e64 s8, s[18:19], v[39:40]
	;; [unrolled: 1-line block ×5, first 2 shown]
	s_mov_b32 s17, 0
	s_and_b32 s16, vcc_lo, s1
	s_and_b32 s7, s7, s2
	s_and_b32 s8, s8, s3
	;; [unrolled: 1-line block ×5, first 2 shown]
	ds_store_b64 v62, v[37:38]
	s_waitcnt vmcnt(0) lgkmcnt(0)
	s_barrier
	buffer_gl0_inv
	s_and_saveexec_b32 s4, s0
	s_cbranch_execz .LBB704_138
; %bb.137:
	v_add_nc_u32_e32 v32, -8, v62
	ds_load_b64 v[59:60], v32
.LBB704_138:
	s_or_b32 exec_lo, exec_lo, s4
	v_mov_b32_e32 v62, v30
	s_waitcnt lgkmcnt(0)
	v_cmp_ne_u64_e64 s0, v[59:60], v[25:26]
	v_cndmask_b32_e64 v72, 0, 1, s29
	v_cndmask_b32_e64 v67, 0, 1, s31
	v_cndmask_b32_e64 v68, 0, 1, s33
	v_cmp_gt_u64_e32 vcc_lo, s[18:19], v[61:62]
	v_cndmask_b32_e64 v69, 0, 1, s13
	v_cndmask_b32_e64 v70, 0, 1, s40
	;; [unrolled: 1-line block ×11, first 2 shown]
	s_and_b32 s0, vcc_lo, s0
	s_and_b32 vcc_lo, exec_lo, s17
	s_cbranch_vccnz .LBB704_143
.LBB704_139:
                                        ; implicit-def: $sgpr1
	v_mov_b32_e32 v93, s1
	s_and_saveexec_b32 s1, s30
	s_cbranch_execnz .LBB704_73
	s_branch .LBB704_74
.LBB704_140:
	s_and_not1_saveexec_b32 s15, s15
	s_cbranch_execz .LBB704_160
.LBB704_141:
	v_sub_nc_u32_e32 v83, v55, v31
	v_mov_b32_e32 v84, 0
	s_or_b32 s17, s17, exec_lo
	s_delay_alu instid0(VALU_DEP_1) | instskip(SKIP_1) | instid1(VALU_DEP_1)
	v_lshlrev_b64 v[85:86], 3, v[83:84]
	v_sub_nc_u32_e32 v83, v61, v31
	v_lshlrev_b64 v[87:88], 3, v[83:84]
	v_sub_nc_u32_e32 v83, v57, v31
	s_delay_alu instid0(VALU_DEP_4) | instskip(SKIP_1) | instid1(VALU_DEP_3)
	v_add_co_u32 v85, vcc_lo, v30, v85
	v_add_co_ci_u32_e32 v86, vcc_lo, v81, v86, vcc_lo
	v_lshlrev_b64 v[89:90], 3, v[83:84]
	v_sub_nc_u32_e32 v83, v53, v31
	v_add_co_u32 v87, vcc_lo, v30, v87
	v_add_co_ci_u32_e32 v88, vcc_lo, v81, v88, vcc_lo
	global_store_b64 v[85:86], v[25:26], off
	v_lshlrev_b64 v[85:86], 3, v[83:84]
	v_sub_nc_u32_e32 v83, v47, v31
	global_store_b64 v[87:88], v[27:28], off
	v_add_co_u32 v87, vcc_lo, v30, v89
	v_add_co_ci_u32_e32 v88, vcc_lo, v81, v90, vcc_lo
	v_lshlrev_b64 v[89:90], 3, v[83:84]
	v_sub_nc_u32_e32 v83, v43, v31
	v_add_co_u32 v85, vcc_lo, v30, v85
	v_add_co_ci_u32_e32 v86, vcc_lo, v81, v86, vcc_lo
	s_delay_alu instid0(VALU_DEP_3) | instskip(SKIP_3) | instid1(VALU_DEP_3)
	v_lshlrev_b64 v[91:92], 3, v[83:84]
	v_sub_nc_u32_e32 v83, v41, v31
	v_add_co_u32 v89, vcc_lo, v30, v89
	v_add_co_ci_u32_e32 v90, vcc_lo, v81, v90, vcc_lo
	v_lshlrev_b64 v[95:96], 3, v[83:84]
	v_sub_nc_u32_e32 v83, v45, v31
	v_add_co_u32 v91, vcc_lo, v30, v91
	v_add_co_ci_u32_e32 v92, vcc_lo, v81, v92, vcc_lo
	s_clause 0x3
	global_store_b64 v[87:88], v[21:22], off
	global_store_b64 v[85:86], v[23:24], off
	;; [unrolled: 1-line block ×4, first 2 shown]
	v_lshlrev_b64 v[85:86], 3, v[83:84]
	v_sub_nc_u32_e32 v83, v49, v31
	v_add_co_u32 v87, vcc_lo, v30, v95
	v_add_co_ci_u32_e32 v88, vcc_lo, v81, v96, vcc_lo
	s_delay_alu instid0(VALU_DEP_3) | instskip(SKIP_3) | instid1(VALU_DEP_3)
	v_lshlrev_b64 v[89:90], 3, v[83:84]
	v_sub_nc_u32_e32 v83, v33, v31
	v_add_co_u32 v85, vcc_lo, v30, v85
	v_add_co_ci_u32_e32 v86, vcc_lo, v81, v86, vcc_lo
	v_lshlrev_b64 v[91:92], 3, v[83:84]
	v_sub_nc_u32_e32 v83, v35, v31
	v_add_co_u32 v89, vcc_lo, v30, v89
	v_add_co_ci_u32_e32 v90, vcc_lo, v81, v90, vcc_lo
	s_delay_alu instid0(VALU_DEP_3)
	v_lshlrev_b64 v[95:96], 3, v[83:84]
	v_sub_nc_u32_e32 v83, v39, v31
	v_add_co_u32 v91, vcc_lo, v30, v91
	v_add_co_ci_u32_e32 v92, vcc_lo, v81, v92, vcc_lo
	s_clause 0x3
	global_store_b64 v[87:88], v[13:14], off
	global_store_b64 v[85:86], v[15:16], off
	global_store_b64 v[89:90], v[9:10], off
	global_store_b64 v[91:92], v[11:12], off
	v_lshlrev_b64 v[85:86], 3, v[83:84]
	v_sub_nc_u32_e32 v83, v63, v31
	v_add_co_u32 v87, vcc_lo, v30, v95
	v_add_co_ci_u32_e32 v88, vcc_lo, v81, v96, vcc_lo
	s_delay_alu instid0(VALU_DEP_3) | instskip(SKIP_3) | instid1(VALU_DEP_3)
	v_lshlrev_b64 v[89:90], 3, v[83:84]
	v_sub_nc_u32_e32 v83, v59, v31
	v_add_co_u32 v85, vcc_lo, v30, v85
	v_add_co_ci_u32_e32 v86, vcc_lo, v81, v86, vcc_lo
	v_lshlrev_b64 v[83:84], 3, v[83:84]
	v_add_co_u32 v89, vcc_lo, v30, v89
	v_add_co_ci_u32_e32 v90, vcc_lo, v81, v90, vcc_lo
	s_clause 0x2
	global_store_b64 v[87:88], v[5:6], off
	global_store_b64 v[85:86], v[7:8], off
	;; [unrolled: 1-line block ×3, first 2 shown]
	v_add_co_u32 v83, vcc_lo, v30, v83
	v_add_co_ci_u32_e32 v84, vcc_lo, v81, v84, vcc_lo
	global_store_b64 v[83:84], v[3:4], off
	s_or_b32 exec_lo, exec_lo, s15
	s_delay_alu instid0(SALU_CYCLE_1)
	s_and_b32 exec_lo, exec_lo, s17
	s_cbranch_execnz .LBB704_161
	s_branch .LBB704_162
.LBB704_142:
                                        ; implicit-def: $sgpr0
                                        ; implicit-def: $vgpr72
                                        ; implicit-def: $vgpr67
                                        ; implicit-def: $vgpr68
                                        ; implicit-def: $vgpr69
                                        ; implicit-def: $vgpr70
                                        ; implicit-def: $vgpr71
                                        ; implicit-def: $vgpr73
                                        ; implicit-def: $vgpr74
                                        ; implicit-def: $vgpr75
                                        ; implicit-def: $vgpr76
                                        ; implicit-def: $vgpr77
                                        ; implicit-def: $vgpr78
                                        ; implicit-def: $vgpr79
                                        ; implicit-def: $vgpr80
	s_cbranch_execz .LBB704_139
.LBB704_143:
	v_dual_mov_b32 v30, 0 :: v_dual_lshlrev_b32 v59, 3, v0
	v_cmp_ne_u64_e64 s0, v[1:2], v[3:4]
	v_cmp_ne_u64_e32 vcc_lo, v[3:4], v[37:38]
	v_cmp_ne_u64_e64 s2, v[7:8], v[1:2]
	s_delay_alu instid0(VALU_DEP_4)
	v_mov_b32_e32 v58, v30
	v_mov_b32_e32 v56, v30
	v_cmp_gt_u64_e64 s1, s[18:19], v[29:30]
	v_mov_b32_e32 v52, v30
	v_mov_b32_e32 v54, v30
	v_cmp_gt_u64_e64 s3, s[18:19], v[57:58]
	v_cmp_gt_u64_e64 s4, s[18:19], v[55:56]
	v_mov_b32_e32 v48, v30
	s_and_b32 s1, s1, vcc_lo
	v_cmp_gt_u64_e64 s5, s[18:19], v[53:54]
	v_cndmask_b32_e64 v72, 0, 1, s1
	s_and_b32 s0, s3, s0
	v_cmp_ne_u64_e64 s1, v[11:12], v[5:6]
	v_cndmask_b32_e64 v67, 0, 1, s0
	s_and_b32 s0, s4, s2
	v_cmp_ne_u64_e32 vcc_lo, v[5:6], v[7:8]
	v_cndmask_b32_e64 v68, 0, 1, s0
	v_cmp_gt_u64_e64 s0, s[18:19], v[51:52]
	v_mov_b32_e32 v50, v30
	v_mov_b32_e32 v44, v30
	;; [unrolled: 1-line block ×3, first 2 shown]
	s_and_b32 s2, s5, vcc_lo
	v_mov_b32_e32 v46, v30
	s_and_b32 s0, s0, s1
	v_cmp_ne_u64_e64 s1, v[15:16], v[9:10]
	v_cndmask_b32_e64 v70, 0, 1, s0
	v_cmp_gt_u64_e64 s0, s[18:19], v[47:48]
	v_cndmask_b32_e64 v69, 0, 1, s2
	v_cmp_gt_u64_e32 vcc_lo, s[18:19], v[49:50]
	v_cmp_ne_u64_e64 s2, v[9:10], v[11:12]
	v_cmp_gt_u64_e64 s3, s[18:19], v[41:42]
	v_cmp_ne_u64_e64 s4, v[17:18], v[19:20]
	s_and_b32 s0, s0, s1
	v_cmp_ne_u64_e64 s1, v[19:20], v[13:14]
	v_cndmask_b32_e64 v73, 0, 1, s0
	v_cmp_gt_u64_e64 s0, s[18:19], v[43:44]
	s_and_b32 s2, vcc_lo, s2
	v_cmp_gt_u64_e32 vcc_lo, s[18:19], v[45:46]
	v_cndmask_b32_e64 v71, 0, 1, s2
	v_cmp_ne_u64_e64 s2, v[13:14], v[15:16]
	v_mov_b32_e32 v40, v30
	s_and_b32 s0, s0, s1
	v_mov_b32_e32 v36, v30
	v_cndmask_b32_e64 v75, 0, 1, s0
	s_and_b32 s0, s3, s4
	v_mov_b32_e32 v34, v30
	s_and_b32 s2, vcc_lo, s2
	v_cndmask_b32_e64 v76, 0, 1, s0
	v_cmp_gt_u64_e32 vcc_lo, s[18:19], v[39:40]
	v_cmp_ne_u64_e64 s0, v[23:24], v[17:18]
	v_mov_b32_e32 v32, v30
	v_cndmask_b32_e64 v74, 0, 1, s2
	v_cmp_gt_u64_e64 s1, s[18:19], v[35:36]
	v_cmp_ne_u64_e64 s2, v[21:22], v[23:24]
	v_cmp_gt_u64_e64 s3, s[18:19], v[33:34]
	v_cmp_ne_u64_e64 s4, v[27:28], v[21:22]
	;; [unrolled: 2-line block ×3, first 2 shown]
	s_and_b32 s0, vcc_lo, s0
	ds_store_b64 v59, v[37:38]
	v_cndmask_b32_e64 v77, 0, 1, s0
	s_and_b32 s0, s1, s2
	s_mov_b32 s1, 1
	v_cndmask_b32_e64 v78, 0, 1, s0
	s_and_b32 s0, s3, s4
	s_mov_b32 s2, exec_lo
	v_cndmask_b32_e64 v79, 0, 1, s0
	s_and_b32 s0, s5, s6
	s_waitcnt lgkmcnt(0)
	v_cndmask_b32_e64 v80, 0, 1, s0
	s_barrier
	buffer_gl0_inv
                                        ; implicit-def: $sgpr0
	v_cmpx_ne_u32_e32 0, v0
	s_cbranch_execz .LBB704_182
; %bb.144:
	v_add_nc_u32_e32 v29, -8, v59
	s_or_b32 s30, s30, exec_lo
	ds_load_b64 v[31:32], v29
	v_mul_u32_u24_e32 v29, 15, v0
	s_delay_alu instid0(VALU_DEP_1) | instskip(SKIP_2) | instid1(VALU_DEP_1)
	v_cmp_gt_u64_e32 vcc_lo, s[18:19], v[29:30]
	s_waitcnt lgkmcnt(0)
	v_cmp_ne_u64_e64 s0, v[31:32], v[25:26]
	s_and_b32 s0, vcc_lo, s0
	s_delay_alu instid0(SALU_CYCLE_1)
	s_and_b32 s0, s0, exec_lo
	s_or_b32 exec_lo, exec_lo, s2
	v_mov_b32_e32 v93, s1
	s_and_saveexec_b32 s1, s30
	s_cbranch_execz .LBB704_74
	s_branch .LBB704_73
.LBB704_145:
	s_or_b32 exec_lo, exec_lo, s17
	s_and_saveexec_b32 s17, s13
	s_cbranch_execz .LBB704_119
.LBB704_146:
	v_sub_nc_u32_e32 v83, v61, v31
	v_mov_b32_e32 v84, 0
	s_delay_alu instid0(VALU_DEP_1) | instskip(NEXT) | instid1(VALU_DEP_1)
	v_lshlrev_b64 v[83:84], 3, v[83:84]
	v_add_co_u32 v83, vcc_lo, v30, v83
	s_delay_alu instid0(VALU_DEP_2)
	v_add_co_ci_u32_e32 v84, vcc_lo, v81, v84, vcc_lo
	global_store_b64 v[83:84], v[27:28], off
	s_or_b32 exec_lo, exec_lo, s17
	s_and_saveexec_b32 s17, s12
	s_cbranch_execnz .LBB704_120
.LBB704_147:
	s_or_b32 exec_lo, exec_lo, s17
	s_and_saveexec_b32 s17, s11
	s_cbranch_execz .LBB704_121
.LBB704_148:
	v_sub_nc_u32_e32 v83, v53, v31
	v_mov_b32_e32 v84, 0
	s_delay_alu instid0(VALU_DEP_1) | instskip(NEXT) | instid1(VALU_DEP_1)
	v_lshlrev_b64 v[83:84], 3, v[83:84]
	v_add_co_u32 v83, vcc_lo, v30, v83
	s_delay_alu instid0(VALU_DEP_2)
	v_add_co_ci_u32_e32 v84, vcc_lo, v81, v84, vcc_lo
	global_store_b64 v[83:84], v[23:24], off
	s_or_b32 exec_lo, exec_lo, s17
	s_and_saveexec_b32 s17, s10
	s_cbranch_execnz .LBB704_122
.LBB704_149:
	s_or_b32 exec_lo, exec_lo, s17
	s_and_saveexec_b32 s17, s9
	s_cbranch_execz .LBB704_123
.LBB704_150:
	v_sub_nc_u32_e32 v83, v43, v31
	v_mov_b32_e32 v84, 0
	s_delay_alu instid0(VALU_DEP_1) | instskip(NEXT) | instid1(VALU_DEP_1)
	v_lshlrev_b64 v[83:84], 3, v[83:84]
	v_add_co_u32 v83, vcc_lo, v30, v83
	s_delay_alu instid0(VALU_DEP_2)
	v_add_co_ci_u32_e32 v84, vcc_lo, v81, v84, vcc_lo
	global_store_b64 v[83:84], v[19:20], off
	s_or_b32 exec_lo, exec_lo, s17
	s_and_saveexec_b32 s17, s7
	s_cbranch_execnz .LBB704_124
.LBB704_151:
	s_or_b32 exec_lo, exec_lo, s17
	s_and_saveexec_b32 s17, s5
	s_cbranch_execz .LBB704_125
.LBB704_152:
	v_sub_nc_u32_e32 v83, v45, v31
	v_mov_b32_e32 v84, 0
	s_delay_alu instid0(VALU_DEP_1) | instskip(NEXT) | instid1(VALU_DEP_1)
	v_lshlrev_b64 v[83:84], 3, v[83:84]
	v_add_co_u32 v83, vcc_lo, v30, v83
	s_delay_alu instid0(VALU_DEP_2)
	v_add_co_ci_u32_e32 v84, vcc_lo, v81, v84, vcc_lo
	global_store_b64 v[83:84], v[15:16], off
	s_or_b32 exec_lo, exec_lo, s17
	s_and_saveexec_b32 s17, s8
	s_cbranch_execnz .LBB704_126
.LBB704_153:
	s_or_b32 exec_lo, exec_lo, s17
	s_and_saveexec_b32 s17, s6
	s_cbranch_execz .LBB704_127
.LBB704_154:
	v_sub_nc_u32_e32 v83, v33, v31
	v_mov_b32_e32 v84, 0
	s_delay_alu instid0(VALU_DEP_1) | instskip(NEXT) | instid1(VALU_DEP_1)
	v_lshlrev_b64 v[83:84], 3, v[83:84]
	v_add_co_u32 v83, vcc_lo, v30, v83
	s_delay_alu instid0(VALU_DEP_2)
	v_add_co_ci_u32_e32 v84, vcc_lo, v81, v84, vcc_lo
	global_store_b64 v[83:84], v[11:12], off
	s_or_b32 exec_lo, exec_lo, s17
	s_and_saveexec_b32 s17, s4
	s_cbranch_execnz .LBB704_128
.LBB704_155:
	s_or_b32 exec_lo, exec_lo, s17
	s_and_saveexec_b32 s17, s3
	s_cbranch_execz .LBB704_129
.LBB704_156:
	v_sub_nc_u32_e32 v83, v39, v31
	v_mov_b32_e32 v84, 0
	s_delay_alu instid0(VALU_DEP_1) | instskip(NEXT) | instid1(VALU_DEP_1)
	v_lshlrev_b64 v[83:84], 3, v[83:84]
	v_add_co_u32 v83, vcc_lo, v30, v83
	s_delay_alu instid0(VALU_DEP_2)
	v_add_co_ci_u32_e32 v84, vcc_lo, v81, v84, vcc_lo
	global_store_b64 v[83:84], v[7:8], off
	s_or_b32 exec_lo, exec_lo, s17
	s_and_saveexec_b32 s17, s2
	s_cbranch_execnz .LBB704_130
.LBB704_157:
	s_or_b32 exec_lo, exec_lo, s17
	s_and_saveexec_b32 s17, s1
	s_cbranch_execz .LBB704_159
.LBB704_158:
	v_sub_nc_u32_e32 v83, v59, v31
	v_mov_b32_e32 v84, 0
	s_delay_alu instid0(VALU_DEP_1) | instskip(NEXT) | instid1(VALU_DEP_1)
	v_lshlrev_b64 v[83:84], 3, v[83:84]
	v_add_co_u32 v83, vcc_lo, v30, v83
	s_delay_alu instid0(VALU_DEP_2)
	v_add_co_ci_u32_e32 v84, vcc_lo, v81, v84, vcc_lo
	global_store_b64 v[83:84], v[3:4], off
.LBB704_159:
	s_or_b32 exec_lo, exec_lo, s17
	s_delay_alu instid0(SALU_CYCLE_1)
	s_and_b32 s17, s0, exec_lo
	s_and_not1_saveexec_b32 s15, s15
	s_cbranch_execnz .LBB704_141
.LBB704_160:
	s_or_b32 exec_lo, exec_lo, s15
	s_delay_alu instid0(SALU_CYCLE_1)
	s_and_b32 exec_lo, exec_lo, s17
	s_cbranch_execz .LBB704_162
.LBB704_161:
	v_sub_nc_u32_e32 v83, v51, v31
	v_mov_b32_e32 v84, 0
	s_delay_alu instid0(VALU_DEP_1) | instskip(NEXT) | instid1(VALU_DEP_1)
	v_lshlrev_b64 v[83:84], 3, v[83:84]
	v_add_co_u32 v83, vcc_lo, v30, v83
	s_delay_alu instid0(VALU_DEP_2)
	v_add_co_ci_u32_e32 v84, vcc_lo, v81, v84, vcc_lo
	global_store_b64 v[83:84], v[37:38], off
.LBB704_162:
	s_or_b32 exec_lo, exec_lo, s16
	s_mov_b32 s16, 0
.LBB704_163:
	s_delay_alu instid0(SALU_CYCLE_1)
	s_and_b32 vcc_lo, exec_lo, s16
	s_cbranch_vccz .LBB704_204
; %bb.164:
	s_mov_b32 s15, exec_lo
	v_cmpx_gt_i16_e32 2, v82
	s_cbranch_execz .LBB704_200
; %bb.165:
	s_mov_b32 s17, 0
	s_mov_b32 s16, exec_lo
	v_cmpx_ne_u16_e32 1, v82
	s_xor_b32 s16, exec_lo, s16
	s_cbranch_execz .LBB704_180
; %bb.166:
	s_and_saveexec_b32 s17, s14
	s_cbranch_execz .LBB704_183
; %bb.167:
	v_sub_nc_u32_e32 v82, v55, v31
	s_delay_alu instid0(VALU_DEP_1)
	v_lshlrev_b32_e32 v82, 3, v82
	ds_store_b64 v82, v[25:26]
	s_or_b32 exec_lo, exec_lo, s17
	s_and_saveexec_b32 s14, s13
	s_cbranch_execnz .LBB704_184
.LBB704_168:
	s_or_b32 exec_lo, exec_lo, s14
	s_and_saveexec_b32 s13, s12
	s_cbranch_execz .LBB704_185
.LBB704_169:
	v_sub_nc_u32_e32 v25, v57, v31
	s_delay_alu instid0(VALU_DEP_1)
	v_lshlrev_b32_e32 v25, 3, v25
	ds_store_b64 v25, v[21:22]
	s_or_b32 exec_lo, exec_lo, s13
	s_and_saveexec_b32 s12, s11
	s_cbranch_execnz .LBB704_186
.LBB704_170:
	s_or_b32 exec_lo, exec_lo, s12
	s_and_saveexec_b32 s11, s10
	s_cbranch_execz .LBB704_187
.LBB704_171:
	v_sub_nc_u32_e32 v21, v47, v31
	s_delay_alu instid0(VALU_DEP_1)
	v_lshlrev_b32_e32 v21, 3, v21
	ds_store_b64 v21, v[17:18]
	s_or_b32 exec_lo, exec_lo, s11
	s_and_saveexec_b32 s10, s9
	s_cbranch_execnz .LBB704_188
.LBB704_172:
	s_or_b32 exec_lo, exec_lo, s10
	s_and_saveexec_b32 s9, s7
	s_cbranch_execz .LBB704_189
.LBB704_173:
	v_sub_nc_u32_e32 v17, v41, v31
	s_delay_alu instid0(VALU_DEP_1)
	v_lshlrev_b32_e32 v17, 3, v17
	ds_store_b64 v17, v[13:14]
	s_or_b32 exec_lo, exec_lo, s9
	s_and_saveexec_b32 s7, s5
	s_cbranch_execnz .LBB704_190
.LBB704_174:
	s_or_b32 exec_lo, exec_lo, s7
	s_and_saveexec_b32 s5, s8
	s_cbranch_execz .LBB704_191
.LBB704_175:
	v_sub_nc_u32_e32 v13, v49, v31
	s_delay_alu instid0(VALU_DEP_1)
	v_lshlrev_b32_e32 v13, 3, v13
	ds_store_b64 v13, v[9:10]
	s_or_b32 exec_lo, exec_lo, s5
	s_and_saveexec_b32 s5, s6
	s_cbranch_execnz .LBB704_192
.LBB704_176:
	s_or_b32 exec_lo, exec_lo, s5
	s_and_saveexec_b32 s5, s4
	s_cbranch_execz .LBB704_193
.LBB704_177:
	v_sub_nc_u32_e32 v9, v35, v31
	s_delay_alu instid0(VALU_DEP_1)
	v_lshlrev_b32_e32 v9, 3, v9
	ds_store_b64 v9, v[5:6]
	s_or_b32 exec_lo, exec_lo, s5
	s_and_saveexec_b32 s4, s3
	s_cbranch_execnz .LBB704_194
.LBB704_178:
	s_or_b32 exec_lo, exec_lo, s4
	s_and_saveexec_b32 s3, s2
	s_cbranch_execz .LBB704_195
.LBB704_179:
	v_sub_nc_u32_e32 v5, v63, v31
	s_delay_alu instid0(VALU_DEP_1)
	v_lshlrev_b32_e32 v5, 3, v5
	ds_store_b64 v5, v[1:2]
	s_or_b32 exec_lo, exec_lo, s3
	s_and_saveexec_b32 s2, s1
	s_cbranch_execnz .LBB704_196
	s_branch .LBB704_197
.LBB704_180:
	s_and_not1_saveexec_b32 s0, s16
	s_cbranch_execz .LBB704_198
.LBB704_181:
	v_sub_nc_u32_e32 v82, v55, v31
	v_sub_nc_u32_e32 v83, v61, v31
	v_sub_nc_u32_e32 v85, v53, v31
	v_sub_nc_u32_e32 v84, v57, v31
	s_or_b32 s17, s17, exec_lo
	v_lshlrev_b32_e32 v82, 3, v82
	v_lshlrev_b32_e32 v83, 3, v83
	;; [unrolled: 1-line block ×4, first 2 shown]
	ds_store_b64 v82, v[25:26]
	ds_store_b64 v83, v[27:28]
	;; [unrolled: 1-line block ×3, first 2 shown]
	v_sub_nc_u32_e32 v21, v47, v31
	v_sub_nc_u32_e32 v22, v43, v31
	ds_store_b64 v85, v[23:24]
	v_sub_nc_u32_e32 v23, v41, v31
	v_sub_nc_u32_e32 v24, v45, v31
	v_lshlrev_b32_e32 v21, 3, v21
	v_sub_nc_u32_e32 v25, v49, v31
	v_lshlrev_b32_e32 v22, 3, v22
	v_lshlrev_b32_e32 v23, 3, v23
	;; [unrolled: 1-line block ×3, first 2 shown]
	ds_store_b64 v21, v[17:18]
	v_lshlrev_b32_e32 v17, 3, v25
	ds_store_b64 v22, v[19:20]
	ds_store_b64 v23, v[13:14]
	;; [unrolled: 1-line block ×3, first 2 shown]
	v_sub_nc_u32_e32 v13, v33, v31
	v_sub_nc_u32_e32 v15, v59, v31
	;; [unrolled: 1-line block ×3, first 2 shown]
	ds_store_b64 v17, v[9:10]
	v_sub_nc_u32_e32 v9, v35, v31
	v_lshlrev_b32_e32 v13, 3, v13
	v_sub_nc_u32_e32 v10, v39, v31
	v_lshlrev_b32_e32 v14, 3, v14
	s_delay_alu instid0(VALU_DEP_4)
	v_lshlrev_b32_e32 v9, 3, v9
	ds_store_b64 v13, v[11:12]
	v_lshlrev_b32_e32 v11, 3, v15
	v_lshlrev_b32_e32 v10, 3, v10
	ds_store_b64 v9, v[5:6]
	ds_store_b64 v10, v[7:8]
	;; [unrolled: 1-line block ×4, first 2 shown]
	s_or_b32 exec_lo, exec_lo, s0
	s_delay_alu instid0(SALU_CYCLE_1)
	s_and_b32 exec_lo, exec_lo, s17
	s_cbranch_execnz .LBB704_199
	s_branch .LBB704_200
.LBB704_182:
	s_or_b32 exec_lo, exec_lo, s2
	v_mov_b32_e32 v93, s1
	s_and_saveexec_b32 s1, s30
	s_cbranch_execnz .LBB704_73
	s_branch .LBB704_74
.LBB704_183:
	s_or_b32 exec_lo, exec_lo, s17
	s_and_saveexec_b32 s14, s13
	s_cbranch_execz .LBB704_168
.LBB704_184:
	v_sub_nc_u32_e32 v25, v61, v31
	s_delay_alu instid0(VALU_DEP_1)
	v_lshlrev_b32_e32 v25, 3, v25
	ds_store_b64 v25, v[27:28]
	s_or_b32 exec_lo, exec_lo, s14
	s_and_saveexec_b32 s13, s12
	s_cbranch_execnz .LBB704_169
.LBB704_185:
	s_or_b32 exec_lo, exec_lo, s13
	s_and_saveexec_b32 s12, s11
	s_cbranch_execz .LBB704_170
.LBB704_186:
	v_sub_nc_u32_e32 v21, v53, v31
	s_delay_alu instid0(VALU_DEP_1)
	v_lshlrev_b32_e32 v21, 3, v21
	ds_store_b64 v21, v[23:24]
	s_or_b32 exec_lo, exec_lo, s12
	s_and_saveexec_b32 s11, s10
	s_cbranch_execnz .LBB704_171
.LBB704_187:
	s_or_b32 exec_lo, exec_lo, s11
	s_and_saveexec_b32 s10, s9
	s_cbranch_execz .LBB704_172
.LBB704_188:
	v_sub_nc_u32_e32 v17, v43, v31
	s_delay_alu instid0(VALU_DEP_1)
	v_lshlrev_b32_e32 v17, 3, v17
	ds_store_b64 v17, v[19:20]
	s_or_b32 exec_lo, exec_lo, s10
	s_and_saveexec_b32 s9, s7
	s_cbranch_execnz .LBB704_173
.LBB704_189:
	s_or_b32 exec_lo, exec_lo, s9
	s_and_saveexec_b32 s7, s5
	s_cbranch_execz .LBB704_174
.LBB704_190:
	v_sub_nc_u32_e32 v13, v45, v31
	s_delay_alu instid0(VALU_DEP_1)
	v_lshlrev_b32_e32 v13, 3, v13
	ds_store_b64 v13, v[15:16]
	s_or_b32 exec_lo, exec_lo, s7
	s_and_saveexec_b32 s5, s8
	s_cbranch_execnz .LBB704_175
.LBB704_191:
	s_or_b32 exec_lo, exec_lo, s5
	s_and_saveexec_b32 s5, s6
	s_cbranch_execz .LBB704_176
.LBB704_192:
	v_sub_nc_u32_e32 v9, v33, v31
	s_delay_alu instid0(VALU_DEP_1)
	v_lshlrev_b32_e32 v9, 3, v9
	ds_store_b64 v9, v[11:12]
	s_or_b32 exec_lo, exec_lo, s5
	s_and_saveexec_b32 s5, s4
	s_cbranch_execnz .LBB704_177
.LBB704_193:
	s_or_b32 exec_lo, exec_lo, s5
	s_and_saveexec_b32 s4, s3
	s_cbranch_execz .LBB704_178
.LBB704_194:
	v_sub_nc_u32_e32 v5, v39, v31
	s_delay_alu instid0(VALU_DEP_1)
	v_lshlrev_b32_e32 v5, 3, v5
	ds_store_b64 v5, v[7:8]
	s_or_b32 exec_lo, exec_lo, s4
	s_and_saveexec_b32 s3, s2
	s_cbranch_execnz .LBB704_179
.LBB704_195:
	s_or_b32 exec_lo, exec_lo, s3
	s_and_saveexec_b32 s2, s1
	s_cbranch_execz .LBB704_197
.LBB704_196:
	v_sub_nc_u32_e32 v1, v59, v31
	s_delay_alu instid0(VALU_DEP_1)
	v_lshlrev_b32_e32 v1, 3, v1
	ds_store_b64 v1, v[3:4]
.LBB704_197:
	s_or_b32 exec_lo, exec_lo, s2
	s_delay_alu instid0(SALU_CYCLE_1)
	s_and_b32 s17, s0, exec_lo
                                        ; implicit-def: $vgpr25_vgpr26
                                        ; implicit-def: $vgpr21_vgpr22
                                        ; implicit-def: $vgpr17_vgpr18
                                        ; implicit-def: $vgpr13_vgpr14
                                        ; implicit-def: $vgpr9_vgpr10
                                        ; implicit-def: $vgpr5_vgpr6
                                        ; implicit-def: $vgpr1_vgpr2
	s_and_not1_saveexec_b32 s0, s16
	s_cbranch_execnz .LBB704_181
.LBB704_198:
	s_or_b32 exec_lo, exec_lo, s0
	s_delay_alu instid0(SALU_CYCLE_1)
	s_and_b32 exec_lo, exec_lo, s17
	s_cbranch_execz .LBB704_200
.LBB704_199:
	v_sub_nc_u32_e32 v1, v51, v31
	s_delay_alu instid0(VALU_DEP_1)
	v_lshlrev_b32_e32 v1, 3, v1
	ds_store_b64 v1, v[37:38]
.LBB704_200:
	s_or_b32 exec_lo, exec_lo, s15
	s_delay_alu instid0(SALU_CYCLE_1)
	s_mov_b32 s1, exec_lo
	s_waitcnt lgkmcnt(0)
	s_waitcnt_vscnt null, 0x0
	s_barrier
	buffer_gl0_inv
	v_cmpx_lt_u32_e64 v0, v29
	s_cbranch_execz .LBB704_203
; %bb.201:
	v_dual_mov_b32 v2, 0 :: v_dual_lshlrev_b32 v3, 3, v0
	v_mov_b32_e32 v1, v0
	s_mov_b32 s2, 0
	.p2align	6
.LBB704_202:                            ; =>This Inner Loop Header: Depth=1
	ds_load_b64 v[4:5], v3
	v_lshlrev_b64 v[6:7], 3, v[1:2]
	v_add_nc_u32_e32 v1, 0x100, v1
	v_add_nc_u32_e32 v3, 0x800, v3
	s_delay_alu instid0(VALU_DEP_2) | instskip(NEXT) | instid1(VALU_DEP_4)
	v_cmp_ge_u32_e32 vcc_lo, v1, v29
	v_add_co_u32 v6, s0, v30, v6
	s_delay_alu instid0(VALU_DEP_1)
	v_add_co_ci_u32_e64 v7, s0, v81, v7, s0
	s_or_b32 s2, vcc_lo, s2
	s_waitcnt lgkmcnt(0)
	global_store_b64 v[6:7], v[4:5], off
	s_and_not1_b32 exec_lo, exec_lo, s2
	s_cbranch_execnz .LBB704_202
.LBB704_203:
	s_or_b32 exec_lo, exec_lo, s1
.LBB704_204:
	s_cmpk_lg_i32 s21, 0xf00
	v_cmp_eq_u32_e32 vcc_lo, 0, v0
	s_cselect_b32 s0, -1, 0
	v_cndmask_b32_e64 v8, 0, 1, s28
	s_and_b32 s0, s20, s0
	v_mad_i32_i24 v4, v0, -15, s21
	v_cndmask_b32_e64 v2, 0, 1, s0
	s_mul_hi_u32 s0, s21, 0x88888889
	s_and_b32 s1, vcc_lo, s28
	s_lshr_b32 s0, s0, 3
	v_sub_nc_u32_e32 v1, v29, v8
	v_cndmask_b32_e64 v5, v93, 0, s1
	v_cmp_eq_u32_e32 vcc_lo, s0, v0
	v_cmp_ne_u32_e64 s0, 0, v4
	s_mov_b32 s16, -1
	s_waitcnt_vscnt null, 0x0
	s_barrier
	s_and_b32 vcc_lo, s20, vcc_lo
	v_add_nc_u32_e32 v3, v1, v2
	v_cndmask_b32_e64 v1, 1, v5, s0
	v_cmp_ne_u32_e64 s0, 1, v4
	buffer_gl0_inv
	v_cndmask_b32_e32 v12, v5, v1, vcc_lo
	v_cndmask_b32_e64 v2, 1, v80, s0
	v_cmp_ne_u32_e64 s0, 2, v4
	s_delay_alu instid0(VALU_DEP_3) | instskip(NEXT) | instid1(VALU_DEP_3)
	v_cmp_ne_u32_e64 s14, 0, v12
	v_cndmask_b32_e32 v13, v80, v2, vcc_lo
	s_delay_alu instid0(VALU_DEP_3) | instskip(SKIP_1) | instid1(VALU_DEP_1)
	v_cndmask_b32_e64 v6, 1, v79, s0
	v_cmp_ne_u32_e64 s0, 14, v4
	v_cndmask_b32_e64 v7, 1, v72, s0
	v_cmp_ne_u32_e64 s0, 3, v4
	s_delay_alu instid0(VALU_DEP_2) | instskip(NEXT) | instid1(VALU_DEP_2)
	v_cndmask_b32_e32 v11, v72, v7, vcc_lo
	v_cndmask_b32_e64 v9, 1, v78, s0
	v_cmp_ne_u32_e64 s0, 4, v4
	s_delay_alu instid0(VALU_DEP_2) | instskip(NEXT) | instid1(VALU_DEP_2)
	v_dual_cndmask_b32 v14, v79, v6 :: v_dual_cndmask_b32 v9, v78, v9
	v_cndmask_b32_e64 v10, 1, v77, s0
	v_cmp_ne_u32_e64 s0, 5, v4
	s_delay_alu instid0(VALU_DEP_3) | instskip(NEXT) | instid1(VALU_DEP_4)
	v_cmp_ne_u32_e64 s12, 0, v14
	v_cmp_ne_u32_e64 s11, 0, v9
	s_delay_alu instid0(VALU_DEP_4) | instskip(NEXT) | instid1(VALU_DEP_4)
	v_cndmask_b32_e32 v10, v77, v10, vcc_lo
	v_cndmask_b32_e64 v1, 1, v76, s0
	v_cmp_ne_u32_e64 s0, 6, v4
	s_delay_alu instid0(VALU_DEP_3) | instskip(NEXT) | instid1(VALU_DEP_3)
	v_cmp_ne_u32_e64 s10, 0, v10
	v_cndmask_b32_e32 v18, v76, v1, vcc_lo
	s_delay_alu instid0(VALU_DEP_3) | instskip(SKIP_1) | instid1(VALU_DEP_3)
	v_cndmask_b32_e64 v2, 1, v75, s0
	v_cmp_eq_u32_e64 s0, 0, v12
	v_cmp_ne_u32_e64 s9, 0, v18
	s_delay_alu instid0(VALU_DEP_3) | instskip(NEXT) | instid1(VALU_DEP_3)
	v_cndmask_b32_e32 v20, v75, v2, vcc_lo
	v_cndmask_b32_e64 v5, 1, 2, s0
	v_cmp_eq_u32_e64 s0, 0, v13
	s_delay_alu instid0(VALU_DEP_3) | instskip(NEXT) | instid1(VALU_DEP_2)
	v_cmp_ne_u32_e64 s8, 0, v20
	v_cndmask_b32_e64 v7, 1, 2, s0
	v_cmp_ne_u32_e64 s0, 7, v4
	s_delay_alu instid0(VALU_DEP_2) | instskip(NEXT) | instid1(VALU_DEP_2)
	v_and_b32_e32 v5, v7, v5
	v_cndmask_b32_e64 v6, 1, v74, s0
	v_cmp_eq_u32_e64 s0, 0, v14
	s_delay_alu instid0(VALU_DEP_2) | instskip(NEXT) | instid1(VALU_DEP_2)
	v_cndmask_b32_e32 v21, v74, v6, vcc_lo
	v_cndmask_b32_e64 v7, 1, 2, s0
	v_cmp_ne_u32_e64 s0, 8, v4
	s_delay_alu instid0(VALU_DEP_3) | instskip(NEXT) | instid1(VALU_DEP_3)
	v_cmp_ne_u32_e64 s7, 0, v21
	v_and_b32_e32 v5, v5, v7
	s_delay_alu instid0(VALU_DEP_3) | instskip(SKIP_1) | instid1(VALU_DEP_2)
	v_cndmask_b32_e64 v15, 1, v73, s0
	v_cmp_ne_u32_e64 s0, 9, v4
	v_cndmask_b32_e32 v15, v73, v15, vcc_lo
	s_delay_alu instid0(VALU_DEP_2) | instskip(SKIP_1) | instid1(VALU_DEP_2)
	v_cndmask_b32_e64 v16, 1, v71, s0
	v_cmp_eq_u32_e64 s0, 0, v9
	v_cndmask_b32_e32 v16, v71, v16, vcc_lo
	s_delay_alu instid0(VALU_DEP_2) | instskip(SKIP_1) | instid1(VALU_DEP_3)
	v_cndmask_b32_e64 v7, 1, 2, s0
	v_cmp_ne_u32_e64 s0, 10, v4
	v_cmp_ne_u32_e64 s5, 0, v16
	s_delay_alu instid0(VALU_DEP_3) | instskip(NEXT) | instid1(VALU_DEP_3)
	v_and_b32_e32 v1, v5, v7
	v_cndmask_b32_e64 v17, 1, v70, s0
	v_cmp_eq_u32_e64 s0, 0, v10
	s_delay_alu instid0(VALU_DEP_2) | instskip(NEXT) | instid1(VALU_DEP_2)
	v_cndmask_b32_e32 v17, v70, v17, vcc_lo
	v_cndmask_b32_e64 v5, 1, 2, s0
	v_cmp_ne_u32_e64 s0, 11, v4
	s_delay_alu instid0(VALU_DEP_3) | instskip(NEXT) | instid1(VALU_DEP_3)
	v_cmp_ne_u32_e64 s4, 0, v17
	v_and_b32_e32 v1, v1, v5
	s_delay_alu instid0(VALU_DEP_3) | instskip(SKIP_1) | instid1(VALU_DEP_2)
	v_cndmask_b32_e64 v7, 1, v69, s0
	v_cmp_ne_u32_e64 s0, 13, v4
	v_cndmask_b32_e32 v23, v69, v7, vcc_lo
	s_delay_alu instid0(VALU_DEP_2) | instskip(SKIP_1) | instid1(VALU_DEP_2)
	v_cndmask_b32_e64 v19, 1, v67, s0
	v_cmp_eq_u32_e64 s0, 0, v18
	v_cndmask_b32_e32 v19, v67, v19, vcc_lo
	s_delay_alu instid0(VALU_DEP_2) | instskip(SKIP_1) | instid1(VALU_DEP_2)
	v_cndmask_b32_e64 v5, 1, 2, s0
	v_cmp_ne_u32_e64 s0, 12, v4
	v_and_b32_e32 v1, v1, v5
	s_delay_alu instid0(VALU_DEP_2) | instskip(SKIP_1) | instid1(VALU_DEP_2)
	v_cndmask_b32_e64 v2, 1, v68, s0
	v_cmp_eq_u32_e64 s0, 0, v20
	v_cndmask_b32_e32 v22, v68, v2, vcc_lo
	s_delay_alu instid0(VALU_DEP_2) | instskip(SKIP_2) | instid1(VALU_DEP_4)
	v_cndmask_b32_e64 v4, 1, 2, s0
	v_cmp_eq_u32_e64 s0, 0, v21
	v_cmp_eq_u32_e32 vcc_lo, 0, v15
	v_cmp_ne_u32_e64 s2, 0, v22
	s_delay_alu instid0(VALU_DEP_4)
	v_and_b32_e32 v6, v1, v4
	v_lshlrev_b64 v[1:2], 2, v[65:66]
	v_cndmask_b32_e64 v7, 1, 2, s0
	v_lshlrev_b64 v[4:5], 2, v[31:32]
	v_cmp_ne_u32_e64 s13, 0, v13
	v_cmp_ne_u32_e64 s0, 0, v11
	s_delay_alu instid0(VALU_DEP_4) | instskip(SKIP_4) | instid1(VALU_DEP_4)
	v_and_b32_e32 v6, v6, v7
	v_cndmask_b32_e64 v7, 1, 2, vcc_lo
	v_add_co_u32 v1, vcc_lo, s36, v1
	v_add_co_ci_u32_e32 v2, vcc_lo, s37, v2, vcc_lo
	v_cmp_eq_u32_e32 vcc_lo, 0, v16
	v_and_b32_e32 v6, v6, v7
	v_cndmask_b32_e64 v7, 1, 2, vcc_lo
	v_add_co_u32 v4, vcc_lo, v1, v4
	v_add_co_ci_u32_e32 v5, vcc_lo, v2, v5, vcc_lo
	v_lshlrev_b32_e32 v1, 2, v8
	v_cmp_eq_u32_e32 vcc_lo, 0, v17
	v_and_b32_e32 v2, v6, v7
	v_cndmask_b32_e64 v6, 1, 2, vcc_lo
	s_delay_alu instid0(VALU_DEP_4) | instskip(SKIP_1) | instid1(VALU_DEP_3)
	v_add_co_u32 v1, vcc_lo, v1, v4
	v_add_co_ci_u32_e32 v7, vcc_lo, 0, v5, vcc_lo
	v_and_b32_e32 v2, v2, v6
	v_cmp_eq_u32_e32 vcc_lo, 0, v23
	v_cmp_ne_u32_e64 s1, 0, v19
	v_cndmask_b32_e64 v24, 1, 2, vcc_lo
	v_add_co_u32 v6, vcc_lo, v1, -4
	v_add_co_ci_u32_e32 v7, vcc_lo, -1, v7, vcc_lo
	v_cmp_eq_u32_e32 vcc_lo, 0, v22
	v_add_nc_u32_e32 v1, v31, v8
	v_and_b32_e32 v2, v2, v24
	v_cmp_ne_u32_e64 s3, 0, v23
	v_cndmask_b32_e64 v8, 1, 2, vcc_lo
	v_cmp_eq_u32_e32 vcc_lo, 0, v19
	s_delay_alu instid0(VALU_DEP_2) | instskip(SKIP_3) | instid1(VALU_DEP_3)
	v_and_b32_e32 v2, v2, v8
	v_cndmask_b32_e64 v8, 1, 2, vcc_lo
	v_cmp_eq_u32_e32 vcc_lo, 0, v11
	v_cmp_ne_u32_e64 s6, 0, v15
	v_and_b32_e32 v2, v2, v8
	v_cndmask_b32_e64 v8, 1, 2, vcc_lo
	v_cmp_gt_u32_e32 vcc_lo, 0x100, v3
	s_delay_alu instid0(VALU_DEP_2) | instskip(NEXT) | instid1(VALU_DEP_1)
	v_and_b32_e32 v2, v2, v8
	v_cmp_gt_i16_e64 s15, 2, v2
	s_cbranch_vccz .LBB704_221
; %bb.205:
	s_delay_alu instid0(VALU_DEP_1)
	s_and_saveexec_b32 s16, s15
	s_cbranch_execz .LBB704_259
; %bb.206:
	s_mov_b32 s17, 0
	s_mov_b32 s15, exec_lo
	v_cmpx_ne_u16_e32 1, v2
	s_xor_b32 s15, exec_lo, s15
	s_cbranch_execz .LBB704_238
; %bb.207:
	s_and_saveexec_b32 s17, s14
	s_cbranch_execz .LBB704_242
; %bb.208:
	v_sub_nc_u32_e32 v8, v55, v1
	v_mov_b32_e32 v9, 0
	s_delay_alu instid0(VALU_DEP_1) | instskip(NEXT) | instid1(VALU_DEP_1)
	v_lshlrev_b64 v[8:9], 2, v[8:9]
	v_add_co_u32 v8, vcc_lo, v6, v8
	s_delay_alu instid0(VALU_DEP_2)
	v_add_co_ci_u32_e32 v9, vcc_lo, v7, v9, vcc_lo
	global_store_b32 v[8:9], v56, off
	s_or_b32 exec_lo, exec_lo, s17
	s_and_saveexec_b32 s17, s13
	s_cbranch_execnz .LBB704_243
.LBB704_209:
	s_or_b32 exec_lo, exec_lo, s17
	s_and_saveexec_b32 s17, s12
	s_cbranch_execz .LBB704_244
.LBB704_210:
	v_sub_nc_u32_e32 v8, v57, v1
	v_mov_b32_e32 v9, 0
	s_delay_alu instid0(VALU_DEP_1) | instskip(NEXT) | instid1(VALU_DEP_1)
	v_lshlrev_b64 v[8:9], 2, v[8:9]
	v_add_co_u32 v8, vcc_lo, v6, v8
	s_delay_alu instid0(VALU_DEP_2)
	v_add_co_ci_u32_e32 v9, vcc_lo, v7, v9, vcc_lo
	global_store_b32 v[8:9], v58, off
	s_or_b32 exec_lo, exec_lo, s17
	s_and_saveexec_b32 s17, s11
	s_cbranch_execnz .LBB704_245
.LBB704_211:
	s_or_b32 exec_lo, exec_lo, s17
	s_and_saveexec_b32 s17, s10
	s_cbranch_execz .LBB704_246
.LBB704_212:
	v_sub_nc_u32_e32 v8, v47, v1
	v_mov_b32_e32 v9, 0
	s_delay_alu instid0(VALU_DEP_1) | instskip(NEXT) | instid1(VALU_DEP_1)
	v_lshlrev_b64 v[8:9], 2, v[8:9]
	v_add_co_u32 v8, vcc_lo, v6, v8
	s_delay_alu instid0(VALU_DEP_2)
	v_add_co_ci_u32_e32 v9, vcc_lo, v7, v9, vcc_lo
	global_store_b32 v[8:9], v48, off
	s_or_b32 exec_lo, exec_lo, s17
	s_and_saveexec_b32 s17, s9
	s_cbranch_execnz .LBB704_247
.LBB704_213:
	s_or_b32 exec_lo, exec_lo, s17
	s_and_saveexec_b32 s17, s8
	s_cbranch_execz .LBB704_248
.LBB704_214:
	v_sub_nc_u32_e32 v8, v41, v1
	v_mov_b32_e32 v9, 0
	s_delay_alu instid0(VALU_DEP_1) | instskip(NEXT) | instid1(VALU_DEP_1)
	v_lshlrev_b64 v[8:9], 2, v[8:9]
	v_add_co_u32 v8, vcc_lo, v6, v8
	s_delay_alu instid0(VALU_DEP_2)
	v_add_co_ci_u32_e32 v9, vcc_lo, v7, v9, vcc_lo
	global_store_b32 v[8:9], v42, off
	s_or_b32 exec_lo, exec_lo, s17
	s_and_saveexec_b32 s17, s7
	s_cbranch_execnz .LBB704_249
.LBB704_215:
	s_or_b32 exec_lo, exec_lo, s17
	s_and_saveexec_b32 s17, s6
	s_cbranch_execz .LBB704_250
.LBB704_216:
	v_sub_nc_u32_e32 v8, v49, v1
	v_mov_b32_e32 v9, 0
	s_delay_alu instid0(VALU_DEP_1) | instskip(NEXT) | instid1(VALU_DEP_1)
	v_lshlrev_b64 v[8:9], 2, v[8:9]
	v_add_co_u32 v8, vcc_lo, v6, v8
	s_delay_alu instid0(VALU_DEP_2)
	v_add_co_ci_u32_e32 v9, vcc_lo, v7, v9, vcc_lo
	global_store_b32 v[8:9], v50, off
	s_or_b32 exec_lo, exec_lo, s17
	s_and_saveexec_b32 s17, s5
	s_cbranch_execnz .LBB704_251
.LBB704_217:
	s_or_b32 exec_lo, exec_lo, s17
	s_and_saveexec_b32 s17, s4
	s_cbranch_execz .LBB704_252
.LBB704_218:
	v_sub_nc_u32_e32 v8, v35, v1
	v_mov_b32_e32 v9, 0
	s_delay_alu instid0(VALU_DEP_1) | instskip(NEXT) | instid1(VALU_DEP_1)
	v_lshlrev_b64 v[8:9], 2, v[8:9]
	v_add_co_u32 v8, vcc_lo, v6, v8
	s_delay_alu instid0(VALU_DEP_2)
	v_add_co_ci_u32_e32 v9, vcc_lo, v7, v9, vcc_lo
	global_store_b32 v[8:9], v36, off
	s_or_b32 exec_lo, exec_lo, s17
	s_and_saveexec_b32 s17, s3
	s_cbranch_execnz .LBB704_253
.LBB704_219:
	s_or_b32 exec_lo, exec_lo, s17
	s_and_saveexec_b32 s17, s2
	s_cbranch_execz .LBB704_254
.LBB704_220:
	v_sub_nc_u32_e32 v8, v63, v1
	v_mov_b32_e32 v9, 0
	s_delay_alu instid0(VALU_DEP_1) | instskip(NEXT) | instid1(VALU_DEP_1)
	v_lshlrev_b64 v[8:9], 2, v[8:9]
	v_add_co_u32 v8, vcc_lo, v6, v8
	s_delay_alu instid0(VALU_DEP_2)
	v_add_co_ci_u32_e32 v9, vcc_lo, v7, v9, vcc_lo
	global_store_b32 v[8:9], v64, off
	s_or_b32 exec_lo, exec_lo, s17
	s_and_saveexec_b32 s17, s1
	s_cbranch_execnz .LBB704_255
	s_branch .LBB704_256
.LBB704_221:
	s_and_b32 vcc_lo, exec_lo, s16
	s_cbranch_vccz .LBB704_260
; %bb.222:
	s_mov_b32 s15, exec_lo
	v_cmpx_gt_i16_e32 2, v2
	s_cbranch_execz .LBB704_278
; %bb.223:
	s_mov_b32 s17, 0
	s_mov_b32 s16, exec_lo
	v_cmpx_ne_u16_e32 1, v2
	s_xor_b32 s16, exec_lo, s16
	s_cbranch_execz .LBB704_240
; %bb.224:
	s_and_saveexec_b32 s17, s14
	s_cbranch_execz .LBB704_261
; %bb.225:
	v_sub_nc_u32_e32 v2, v55, v1
	s_delay_alu instid0(VALU_DEP_1)
	v_lshlrev_b32_e32 v2, 2, v2
	ds_store_b32 v2, v56
	s_or_b32 exec_lo, exec_lo, s17
	s_and_saveexec_b32 s14, s13
	s_cbranch_execnz .LBB704_262
.LBB704_226:
	s_or_b32 exec_lo, exec_lo, s14
	s_and_saveexec_b32 s13, s12
	s_cbranch_execz .LBB704_263
.LBB704_227:
	v_sub_nc_u32_e32 v2, v57, v1
	s_delay_alu instid0(VALU_DEP_1)
	v_lshlrev_b32_e32 v2, 2, v2
	ds_store_b32 v2, v58
	s_or_b32 exec_lo, exec_lo, s13
	s_and_saveexec_b32 s12, s11
	s_cbranch_execnz .LBB704_264
.LBB704_228:
	s_or_b32 exec_lo, exec_lo, s12
	s_and_saveexec_b32 s11, s10
	s_cbranch_execz .LBB704_265
.LBB704_229:
	v_sub_nc_u32_e32 v2, v47, v1
	s_delay_alu instid0(VALU_DEP_1)
	v_lshlrev_b32_e32 v2, 2, v2
	ds_store_b32 v2, v48
	s_or_b32 exec_lo, exec_lo, s11
	s_and_saveexec_b32 s10, s9
	s_cbranch_execnz .LBB704_266
.LBB704_230:
	s_or_b32 exec_lo, exec_lo, s10
	s_and_saveexec_b32 s9, s8
	s_cbranch_execz .LBB704_267
.LBB704_231:
	v_sub_nc_u32_e32 v2, v41, v1
	s_delay_alu instid0(VALU_DEP_1)
	v_lshlrev_b32_e32 v2, 2, v2
	ds_store_b32 v2, v42
	s_or_b32 exec_lo, exec_lo, s9
	s_and_saveexec_b32 s8, s7
	s_cbranch_execnz .LBB704_268
.LBB704_232:
	s_or_b32 exec_lo, exec_lo, s8
	s_and_saveexec_b32 s7, s6
	s_cbranch_execz .LBB704_269
.LBB704_233:
	v_sub_nc_u32_e32 v2, v49, v1
	s_delay_alu instid0(VALU_DEP_1)
	v_lshlrev_b32_e32 v2, 2, v2
	ds_store_b32 v2, v50
	s_or_b32 exec_lo, exec_lo, s7
	s_and_saveexec_b32 s6, s5
	s_cbranch_execnz .LBB704_270
.LBB704_234:
	s_or_b32 exec_lo, exec_lo, s6
	s_and_saveexec_b32 s5, s4
	s_cbranch_execz .LBB704_271
.LBB704_235:
	v_sub_nc_u32_e32 v2, v35, v1
	s_delay_alu instid0(VALU_DEP_1)
	v_lshlrev_b32_e32 v2, 2, v2
	ds_store_b32 v2, v36
	s_or_b32 exec_lo, exec_lo, s5
	s_and_saveexec_b32 s4, s3
	s_cbranch_execnz .LBB704_272
.LBB704_236:
	s_or_b32 exec_lo, exec_lo, s4
	s_and_saveexec_b32 s3, s2
	s_cbranch_execz .LBB704_273
.LBB704_237:
	v_sub_nc_u32_e32 v2, v63, v1
	s_delay_alu instid0(VALU_DEP_1)
	v_lshlrev_b32_e32 v2, 2, v2
	ds_store_b32 v2, v64
	s_or_b32 exec_lo, exec_lo, s3
	s_and_saveexec_b32 s2, s1
	s_cbranch_execnz .LBB704_274
	s_branch .LBB704_275
.LBB704_238:
	s_and_not1_saveexec_b32 s15, s15
	s_cbranch_execz .LBB704_257
.LBB704_239:
	v_sub_nc_u32_e32 v8, v55, v1
	v_mov_b32_e32 v9, 0
	s_or_b32 s17, s17, exec_lo
	s_delay_alu instid0(VALU_DEP_1) | instskip(SKIP_1) | instid1(VALU_DEP_1)
	v_lshlrev_b64 v[10:11], 2, v[8:9]
	v_sub_nc_u32_e32 v8, v61, v1
	v_lshlrev_b64 v[12:13], 2, v[8:9]
	v_sub_nc_u32_e32 v8, v57, v1
	s_delay_alu instid0(VALU_DEP_4) | instskip(SKIP_1) | instid1(VALU_DEP_3)
	v_add_co_u32 v10, vcc_lo, v6, v10
	v_add_co_ci_u32_e32 v11, vcc_lo, v7, v11, vcc_lo
	v_lshlrev_b64 v[14:15], 2, v[8:9]
	v_sub_nc_u32_e32 v8, v53, v1
	v_add_co_u32 v12, vcc_lo, v6, v12
	v_add_co_ci_u32_e32 v13, vcc_lo, v7, v13, vcc_lo
	global_store_b32 v[10:11], v56, off
	v_lshlrev_b64 v[10:11], 2, v[8:9]
	v_sub_nc_u32_e32 v8, v47, v1
	global_store_b32 v[12:13], v62, off
	v_add_co_u32 v12, vcc_lo, v6, v14
	v_add_co_ci_u32_e32 v13, vcc_lo, v7, v15, vcc_lo
	v_lshlrev_b64 v[14:15], 2, v[8:9]
	v_sub_nc_u32_e32 v8, v43, v1
	v_add_co_u32 v10, vcc_lo, v6, v10
	v_add_co_ci_u32_e32 v11, vcc_lo, v7, v11, vcc_lo
	s_delay_alu instid0(VALU_DEP_3) | instskip(SKIP_3) | instid1(VALU_DEP_3)
	v_lshlrev_b64 v[16:17], 2, v[8:9]
	v_sub_nc_u32_e32 v8, v41, v1
	v_add_co_u32 v14, vcc_lo, v6, v14
	v_add_co_ci_u32_e32 v15, vcc_lo, v7, v15, vcc_lo
	v_lshlrev_b64 v[18:19], 2, v[8:9]
	v_sub_nc_u32_e32 v8, v45, v1
	v_add_co_u32 v16, vcc_lo, v6, v16
	v_add_co_ci_u32_e32 v17, vcc_lo, v7, v17, vcc_lo
	s_clause 0x3
	global_store_b32 v[12:13], v58, off
	global_store_b32 v[10:11], v54, off
	;; [unrolled: 1-line block ×4, first 2 shown]
	v_lshlrev_b64 v[10:11], 2, v[8:9]
	v_sub_nc_u32_e32 v8, v49, v1
	v_add_co_u32 v12, vcc_lo, v6, v18
	v_add_co_ci_u32_e32 v13, vcc_lo, v7, v19, vcc_lo
	s_delay_alu instid0(VALU_DEP_3) | instskip(SKIP_3) | instid1(VALU_DEP_3)
	v_lshlrev_b64 v[14:15], 2, v[8:9]
	v_sub_nc_u32_e32 v8, v33, v1
	v_add_co_u32 v10, vcc_lo, v6, v10
	v_add_co_ci_u32_e32 v11, vcc_lo, v7, v11, vcc_lo
	v_lshlrev_b64 v[16:17], 2, v[8:9]
	v_sub_nc_u32_e32 v8, v35, v1
	v_add_co_u32 v14, vcc_lo, v6, v14
	v_add_co_ci_u32_e32 v15, vcc_lo, v7, v15, vcc_lo
	s_delay_alu instid0(VALU_DEP_3)
	v_lshlrev_b64 v[18:19], 2, v[8:9]
	v_sub_nc_u32_e32 v8, v39, v1
	v_add_co_u32 v16, vcc_lo, v6, v16
	v_add_co_ci_u32_e32 v17, vcc_lo, v7, v17, vcc_lo
	s_clause 0x3
	global_store_b32 v[12:13], v42, off
	global_store_b32 v[10:11], v46, off
	;; [unrolled: 1-line block ×4, first 2 shown]
	v_lshlrev_b64 v[10:11], 2, v[8:9]
	v_sub_nc_u32_e32 v8, v63, v1
	v_add_co_u32 v12, vcc_lo, v6, v18
	v_add_co_ci_u32_e32 v13, vcc_lo, v7, v19, vcc_lo
	s_delay_alu instid0(VALU_DEP_3) | instskip(SKIP_3) | instid1(VALU_DEP_3)
	v_lshlrev_b64 v[14:15], 2, v[8:9]
	v_sub_nc_u32_e32 v8, v59, v1
	v_add_co_u32 v10, vcc_lo, v6, v10
	v_add_co_ci_u32_e32 v11, vcc_lo, v7, v11, vcc_lo
	v_lshlrev_b64 v[8:9], 2, v[8:9]
	v_add_co_u32 v14, vcc_lo, v6, v14
	v_add_co_ci_u32_e32 v15, vcc_lo, v7, v15, vcc_lo
	s_clause 0x2
	global_store_b32 v[12:13], v36, off
	global_store_b32 v[10:11], v40, off
	;; [unrolled: 1-line block ×3, first 2 shown]
	v_add_co_u32 v8, vcc_lo, v6, v8
	v_add_co_ci_u32_e32 v9, vcc_lo, v7, v9, vcc_lo
	global_store_b32 v[8:9], v60, off
	s_or_b32 exec_lo, exec_lo, s15
	s_delay_alu instid0(SALU_CYCLE_1)
	s_and_b32 exec_lo, exec_lo, s17
	s_cbranch_execnz .LBB704_258
	s_branch .LBB704_259
.LBB704_240:
	s_and_not1_saveexec_b32 s0, s16
	s_cbranch_execz .LBB704_276
.LBB704_241:
	v_sub_nc_u32_e32 v2, v55, v1
	v_sub_nc_u32_e32 v8, v61, v1
	v_sub_nc_u32_e32 v9, v57, v1
	v_sub_nc_u32_e32 v10, v53, v1
	v_sub_nc_u32_e32 v11, v49, v1
	v_lshlrev_b32_e32 v2, 2, v2
	v_lshlrev_b32_e32 v8, 2, v8
	;; [unrolled: 1-line block ×4, first 2 shown]
	s_or_b32 s17, s17, exec_lo
	ds_store_b32 v2, v56
	ds_store_b32 v8, v62
	;; [unrolled: 1-line block ×3, first 2 shown]
	v_sub_nc_u32_e32 v2, v47, v1
	v_sub_nc_u32_e32 v8, v43, v1
	;; [unrolled: 1-line block ×3, first 2 shown]
	ds_store_b32 v10, v54
	v_sub_nc_u32_e32 v10, v45, v1
	v_lshlrev_b32_e32 v2, 2, v2
	v_lshlrev_b32_e32 v8, 2, v8
	;; [unrolled: 1-line block ×3, first 2 shown]
	s_delay_alu instid0(VALU_DEP_4)
	v_lshlrev_b32_e32 v10, 2, v10
	ds_store_b32 v2, v48
	v_lshlrev_b32_e32 v2, 2, v11
	ds_store_b32 v8, v44
	ds_store_b32 v9, v42
	;; [unrolled: 1-line block ×3, first 2 shown]
	v_sub_nc_u32_e32 v8, v33, v1
	v_sub_nc_u32_e32 v11, v59, v1
	;; [unrolled: 1-line block ×3, first 2 shown]
	ds_store_b32 v2, v50
	v_sub_nc_u32_e32 v2, v35, v1
	v_lshlrev_b32_e32 v8, 2, v8
	v_sub_nc_u32_e32 v10, v63, v1
	v_lshlrev_b32_e32 v9, 2, v9
	s_delay_alu instid0(VALU_DEP_4)
	v_lshlrev_b32_e32 v2, 2, v2
	ds_store_b32 v8, v34
	v_lshlrev_b32_e32 v8, 2, v11
	v_lshlrev_b32_e32 v10, 2, v10
	ds_store_b32 v2, v36
	ds_store_b32 v9, v40
	;; [unrolled: 1-line block ×4, first 2 shown]
	s_or_b32 exec_lo, exec_lo, s0
	s_delay_alu instid0(SALU_CYCLE_1)
	s_and_b32 exec_lo, exec_lo, s17
	s_cbranch_execnz .LBB704_277
	s_branch .LBB704_278
.LBB704_242:
	s_or_b32 exec_lo, exec_lo, s17
	s_and_saveexec_b32 s17, s13
	s_cbranch_execz .LBB704_209
.LBB704_243:
	v_sub_nc_u32_e32 v8, v61, v1
	v_mov_b32_e32 v9, 0
	s_delay_alu instid0(VALU_DEP_1) | instskip(NEXT) | instid1(VALU_DEP_1)
	v_lshlrev_b64 v[8:9], 2, v[8:9]
	v_add_co_u32 v8, vcc_lo, v6, v8
	s_delay_alu instid0(VALU_DEP_2)
	v_add_co_ci_u32_e32 v9, vcc_lo, v7, v9, vcc_lo
	global_store_b32 v[8:9], v62, off
	s_or_b32 exec_lo, exec_lo, s17
	s_and_saveexec_b32 s17, s12
	s_cbranch_execnz .LBB704_210
.LBB704_244:
	s_or_b32 exec_lo, exec_lo, s17
	s_and_saveexec_b32 s17, s11
	s_cbranch_execz .LBB704_211
.LBB704_245:
	v_sub_nc_u32_e32 v8, v53, v1
	v_mov_b32_e32 v9, 0
	s_delay_alu instid0(VALU_DEP_1) | instskip(NEXT) | instid1(VALU_DEP_1)
	v_lshlrev_b64 v[8:9], 2, v[8:9]
	v_add_co_u32 v8, vcc_lo, v6, v8
	s_delay_alu instid0(VALU_DEP_2)
	v_add_co_ci_u32_e32 v9, vcc_lo, v7, v9, vcc_lo
	global_store_b32 v[8:9], v54, off
	s_or_b32 exec_lo, exec_lo, s17
	s_and_saveexec_b32 s17, s10
	s_cbranch_execnz .LBB704_212
.LBB704_246:
	s_or_b32 exec_lo, exec_lo, s17
	s_and_saveexec_b32 s17, s9
	s_cbranch_execz .LBB704_213
.LBB704_247:
	v_sub_nc_u32_e32 v8, v43, v1
	v_mov_b32_e32 v9, 0
	s_delay_alu instid0(VALU_DEP_1) | instskip(NEXT) | instid1(VALU_DEP_1)
	v_lshlrev_b64 v[8:9], 2, v[8:9]
	v_add_co_u32 v8, vcc_lo, v6, v8
	s_delay_alu instid0(VALU_DEP_2)
	v_add_co_ci_u32_e32 v9, vcc_lo, v7, v9, vcc_lo
	global_store_b32 v[8:9], v44, off
	s_or_b32 exec_lo, exec_lo, s17
	s_and_saveexec_b32 s17, s8
	s_cbranch_execnz .LBB704_214
.LBB704_248:
	s_or_b32 exec_lo, exec_lo, s17
	s_and_saveexec_b32 s17, s7
	s_cbranch_execz .LBB704_215
.LBB704_249:
	v_sub_nc_u32_e32 v8, v45, v1
	v_mov_b32_e32 v9, 0
	s_delay_alu instid0(VALU_DEP_1) | instskip(NEXT) | instid1(VALU_DEP_1)
	v_lshlrev_b64 v[8:9], 2, v[8:9]
	v_add_co_u32 v8, vcc_lo, v6, v8
	s_delay_alu instid0(VALU_DEP_2)
	v_add_co_ci_u32_e32 v9, vcc_lo, v7, v9, vcc_lo
	global_store_b32 v[8:9], v46, off
	s_or_b32 exec_lo, exec_lo, s17
	s_and_saveexec_b32 s17, s6
	s_cbranch_execnz .LBB704_216
.LBB704_250:
	s_or_b32 exec_lo, exec_lo, s17
	s_and_saveexec_b32 s17, s5
	s_cbranch_execz .LBB704_217
.LBB704_251:
	v_sub_nc_u32_e32 v8, v33, v1
	v_mov_b32_e32 v9, 0
	s_delay_alu instid0(VALU_DEP_1) | instskip(NEXT) | instid1(VALU_DEP_1)
	v_lshlrev_b64 v[8:9], 2, v[8:9]
	v_add_co_u32 v8, vcc_lo, v6, v8
	s_delay_alu instid0(VALU_DEP_2)
	v_add_co_ci_u32_e32 v9, vcc_lo, v7, v9, vcc_lo
	global_store_b32 v[8:9], v34, off
	s_or_b32 exec_lo, exec_lo, s17
	s_and_saveexec_b32 s17, s4
	s_cbranch_execnz .LBB704_218
.LBB704_252:
	s_or_b32 exec_lo, exec_lo, s17
	s_and_saveexec_b32 s17, s3
	s_cbranch_execz .LBB704_219
.LBB704_253:
	v_sub_nc_u32_e32 v8, v39, v1
	v_mov_b32_e32 v9, 0
	s_delay_alu instid0(VALU_DEP_1) | instskip(NEXT) | instid1(VALU_DEP_1)
	v_lshlrev_b64 v[8:9], 2, v[8:9]
	v_add_co_u32 v8, vcc_lo, v6, v8
	s_delay_alu instid0(VALU_DEP_2)
	v_add_co_ci_u32_e32 v9, vcc_lo, v7, v9, vcc_lo
	global_store_b32 v[8:9], v40, off
	s_or_b32 exec_lo, exec_lo, s17
	s_and_saveexec_b32 s17, s2
	s_cbranch_execnz .LBB704_220
.LBB704_254:
	s_or_b32 exec_lo, exec_lo, s17
	s_and_saveexec_b32 s17, s1
	s_cbranch_execz .LBB704_256
.LBB704_255:
	v_sub_nc_u32_e32 v8, v59, v1
	v_mov_b32_e32 v9, 0
	s_delay_alu instid0(VALU_DEP_1) | instskip(NEXT) | instid1(VALU_DEP_1)
	v_lshlrev_b64 v[8:9], 2, v[8:9]
	v_add_co_u32 v8, vcc_lo, v6, v8
	s_delay_alu instid0(VALU_DEP_2)
	v_add_co_ci_u32_e32 v9, vcc_lo, v7, v9, vcc_lo
	global_store_b32 v[8:9], v60, off
.LBB704_256:
	s_or_b32 exec_lo, exec_lo, s17
	s_delay_alu instid0(SALU_CYCLE_1)
	s_and_b32 s17, s0, exec_lo
	s_and_not1_saveexec_b32 s15, s15
	s_cbranch_execnz .LBB704_239
.LBB704_257:
	s_or_b32 exec_lo, exec_lo, s15
	s_delay_alu instid0(SALU_CYCLE_1)
	s_and_b32 exec_lo, exec_lo, s17
	s_cbranch_execz .LBB704_259
.LBB704_258:
	v_sub_nc_u32_e32 v8, v51, v1
	v_mov_b32_e32 v9, 0
	s_delay_alu instid0(VALU_DEP_1) | instskip(NEXT) | instid1(VALU_DEP_1)
	v_lshlrev_b64 v[8:9], 2, v[8:9]
	v_add_co_u32 v8, vcc_lo, v6, v8
	s_delay_alu instid0(VALU_DEP_2)
	v_add_co_ci_u32_e32 v9, vcc_lo, v7, v9, vcc_lo
	global_store_b32 v[8:9], v52, off
.LBB704_259:
	s_or_b32 exec_lo, exec_lo, s16
.LBB704_260:
	v_cmp_eq_u32_e32 vcc_lo, 0xff, v0
	s_and_b32 s0, vcc_lo, s20
	s_delay_alu instid0(SALU_CYCLE_1)
	s_and_saveexec_b32 s1, s0
	s_cbranch_execnz .LBB704_282
	s_branch .LBB704_284
.LBB704_261:
	s_or_b32 exec_lo, exec_lo, s17
	s_and_saveexec_b32 s14, s13
	s_cbranch_execz .LBB704_226
.LBB704_262:
	v_sub_nc_u32_e32 v2, v61, v1
	s_delay_alu instid0(VALU_DEP_1)
	v_lshlrev_b32_e32 v2, 2, v2
	ds_store_b32 v2, v62
	s_or_b32 exec_lo, exec_lo, s14
	s_and_saveexec_b32 s13, s12
	s_cbranch_execnz .LBB704_227
.LBB704_263:
	s_or_b32 exec_lo, exec_lo, s13
	s_and_saveexec_b32 s12, s11
	s_cbranch_execz .LBB704_228
.LBB704_264:
	v_sub_nc_u32_e32 v2, v53, v1
	s_delay_alu instid0(VALU_DEP_1)
	v_lshlrev_b32_e32 v2, 2, v2
	ds_store_b32 v2, v54
	s_or_b32 exec_lo, exec_lo, s12
	s_and_saveexec_b32 s11, s10
	s_cbranch_execnz .LBB704_229
.LBB704_265:
	s_or_b32 exec_lo, exec_lo, s11
	s_and_saveexec_b32 s10, s9
	s_cbranch_execz .LBB704_230
.LBB704_266:
	v_sub_nc_u32_e32 v2, v43, v1
	s_delay_alu instid0(VALU_DEP_1)
	v_lshlrev_b32_e32 v2, 2, v2
	ds_store_b32 v2, v44
	s_or_b32 exec_lo, exec_lo, s10
	s_and_saveexec_b32 s9, s8
	s_cbranch_execnz .LBB704_231
.LBB704_267:
	s_or_b32 exec_lo, exec_lo, s9
	s_and_saveexec_b32 s8, s7
	s_cbranch_execz .LBB704_232
.LBB704_268:
	v_sub_nc_u32_e32 v2, v45, v1
	s_delay_alu instid0(VALU_DEP_1)
	v_lshlrev_b32_e32 v2, 2, v2
	ds_store_b32 v2, v46
	s_or_b32 exec_lo, exec_lo, s8
	s_and_saveexec_b32 s7, s6
	s_cbranch_execnz .LBB704_233
.LBB704_269:
	s_or_b32 exec_lo, exec_lo, s7
	s_and_saveexec_b32 s6, s5
	s_cbranch_execz .LBB704_234
.LBB704_270:
	v_sub_nc_u32_e32 v2, v33, v1
	s_delay_alu instid0(VALU_DEP_1)
	v_lshlrev_b32_e32 v2, 2, v2
	ds_store_b32 v2, v34
	s_or_b32 exec_lo, exec_lo, s6
	s_and_saveexec_b32 s5, s4
	s_cbranch_execnz .LBB704_235
.LBB704_271:
	s_or_b32 exec_lo, exec_lo, s5
	s_and_saveexec_b32 s4, s3
	s_cbranch_execz .LBB704_236
.LBB704_272:
	v_sub_nc_u32_e32 v2, v39, v1
	s_delay_alu instid0(VALU_DEP_1)
	v_lshlrev_b32_e32 v2, 2, v2
	ds_store_b32 v2, v40
	s_or_b32 exec_lo, exec_lo, s4
	s_and_saveexec_b32 s3, s2
	s_cbranch_execnz .LBB704_237
.LBB704_273:
	s_or_b32 exec_lo, exec_lo, s3
	s_and_saveexec_b32 s2, s1
	s_cbranch_execz .LBB704_275
.LBB704_274:
	v_sub_nc_u32_e32 v2, v59, v1
	s_delay_alu instid0(VALU_DEP_1)
	v_lshlrev_b32_e32 v2, 2, v2
	ds_store_b32 v2, v60
.LBB704_275:
	s_or_b32 exec_lo, exec_lo, s2
	s_delay_alu instid0(SALU_CYCLE_1)
	s_and_b32 s17, s0, exec_lo
                                        ; implicit-def: $vgpr55_vgpr56
                                        ; implicit-def: $vgpr61_vgpr62
                                        ; implicit-def: $vgpr57_vgpr58
                                        ; implicit-def: $vgpr53_vgpr54
                                        ; implicit-def: $vgpr47_vgpr48
                                        ; implicit-def: $vgpr43_vgpr44
                                        ; implicit-def: $vgpr41_vgpr42
                                        ; implicit-def: $vgpr45_vgpr46
                                        ; implicit-def: $vgpr49_vgpr50
                                        ; implicit-def: $vgpr33_vgpr34
                                        ; implicit-def: $vgpr35_vgpr36
                                        ; implicit-def: $vgpr39_vgpr40
                                        ; implicit-def: $vgpr63_vgpr64
                                        ; implicit-def: $vgpr59_vgpr60
	s_and_not1_saveexec_b32 s0, s16
	s_cbranch_execnz .LBB704_241
.LBB704_276:
	s_or_b32 exec_lo, exec_lo, s0
	s_delay_alu instid0(SALU_CYCLE_1)
	s_and_b32 exec_lo, exec_lo, s17
	s_cbranch_execz .LBB704_278
.LBB704_277:
	v_sub_nc_u32_e32 v1, v51, v1
	s_delay_alu instid0(VALU_DEP_1)
	v_lshlrev_b32_e32 v1, 2, v1
	ds_store_b32 v1, v52
.LBB704_278:
	s_or_b32 exec_lo, exec_lo, s15
	s_delay_alu instid0(SALU_CYCLE_1)
	s_mov_b32 s1, exec_lo
	s_waitcnt lgkmcnt(0)
	s_waitcnt_vscnt null, 0x0
	s_barrier
	buffer_gl0_inv
	v_cmpx_lt_u32_e64 v0, v3
	s_cbranch_execz .LBB704_281
; %bb.279:
	v_dual_mov_b32 v1, v0 :: v_dual_lshlrev_b32 v8, 2, v0
	v_mov_b32_e32 v2, 0
	s_mov_b32 s2, 0
	.p2align	6
.LBB704_280:                            ; =>This Inner Loop Header: Depth=1
	ds_load_b32 v11, v8
	v_lshlrev_b64 v[9:10], 2, v[1:2]
	v_add_nc_u32_e32 v1, 0x100, v1
	v_add_nc_u32_e32 v8, 0x400, v8
	s_delay_alu instid0(VALU_DEP_2) | instskip(NEXT) | instid1(VALU_DEP_4)
	v_cmp_ge_u32_e32 vcc_lo, v1, v3
	v_add_co_u32 v9, s0, v6, v9
	s_delay_alu instid0(VALU_DEP_1)
	v_add_co_ci_u32_e64 v10, s0, v7, v10, s0
	s_or_b32 s2, vcc_lo, s2
	s_waitcnt lgkmcnt(0)
	global_store_b32 v[9:10], v11, off
	s_and_not1_b32 exec_lo, exec_lo, s2
	s_cbranch_execnz .LBB704_280
.LBB704_281:
	s_or_b32 exec_lo, exec_lo, s1
	v_cmp_eq_u32_e32 vcc_lo, 0xff, v0
	s_and_b32 s0, vcc_lo, s20
	s_delay_alu instid0(SALU_CYCLE_1)
	s_and_saveexec_b32 s1, s0
	s_cbranch_execz .LBB704_284
.LBB704_282:
	v_add_co_u32 v0, s0, v29, v31
	s_delay_alu instid0(VALU_DEP_1) | instskip(SKIP_1) | instid1(VALU_DEP_3)
	v_add_co_ci_u32_e64 v1, null, 0, 0, s0
	v_mov_b32_e32 v30, 0
	v_add_co_u32 v0, vcc_lo, v0, v65
	s_delay_alu instid0(VALU_DEP_3)
	v_add_co_ci_u32_e32 v1, vcc_lo, v1, v66, vcc_lo
	s_cmpk_lg_i32 s21, 0xf00
	global_store_b64 v30, v[0:1], s[38:39]
	s_cbranch_scc1 .LBB704_284
; %bb.283:
	v_lshlrev_b64 v[0:1], 2, v[29:30]
	s_delay_alu instid0(VALU_DEP_1) | instskip(NEXT) | instid1(VALU_DEP_2)
	v_add_co_u32 v0, vcc_lo, v4, v0
	v_add_co_ci_u32_e32 v1, vcc_lo, v5, v1, vcc_lo
	global_store_b32 v[0:1], v94, off offset:-4
	s_nop 0
	s_sendmsg sendmsg(MSG_DEALLOC_VGPRS)
	s_endpgm
.LBB704_284:
	s_nop 0
	s_sendmsg sendmsg(MSG_DEALLOC_VGPRS)
	s_endpgm
	.section	.rodata,"a",@progbits
	.p2align	6, 0x0
	.amdhsa_kernel _ZN7rocprim17ROCPRIM_400000_NS6detail17trampoline_kernelINS0_14default_configENS1_29reduce_by_key_config_selectorIyjN6thrust23THRUST_200600_302600_NS4plusIjEEEEZZNS1_33reduce_by_key_impl_wrapped_configILNS1_25lookback_scan_determinismE0ES3_S9_NS6_6detail15normal_iteratorINS6_10device_ptrIyEEEENSD_INSE_IjEEEESG_SI_PmS8_NS6_8equal_toIyEEEE10hipError_tPvRmT2_T3_mT4_T5_T6_T7_T8_P12ihipStream_tbENKUlT_T0_E_clISt17integral_constantIbLb0EES13_EEDaSY_SZ_EUlSY_E_NS1_11comp_targetILNS1_3genE9ELNS1_11target_archE1100ELNS1_3gpuE3ELNS1_3repE0EEENS1_30default_config_static_selectorELNS0_4arch9wavefront6targetE0EEEvT1_
		.amdhsa_group_segment_fixed_size 30720
		.amdhsa_private_segment_fixed_size 0
		.amdhsa_kernarg_size 120
		.amdhsa_user_sgpr_count 15
		.amdhsa_user_sgpr_dispatch_ptr 0
		.amdhsa_user_sgpr_queue_ptr 0
		.amdhsa_user_sgpr_kernarg_segment_ptr 1
		.amdhsa_user_sgpr_dispatch_id 0
		.amdhsa_user_sgpr_private_segment_size 0
		.amdhsa_wavefront_size32 1
		.amdhsa_uses_dynamic_stack 0
		.amdhsa_enable_private_segment 0
		.amdhsa_system_sgpr_workgroup_id_x 1
		.amdhsa_system_sgpr_workgroup_id_y 0
		.amdhsa_system_sgpr_workgroup_id_z 0
		.amdhsa_system_sgpr_workgroup_info 0
		.amdhsa_system_vgpr_workitem_id 0
		.amdhsa_next_free_vgpr 100
		.amdhsa_next_free_sgpr 46
		.amdhsa_reserve_vcc 1
		.amdhsa_float_round_mode_32 0
		.amdhsa_float_round_mode_16_64 0
		.amdhsa_float_denorm_mode_32 3
		.amdhsa_float_denorm_mode_16_64 3
		.amdhsa_dx10_clamp 1
		.amdhsa_ieee_mode 1
		.amdhsa_fp16_overflow 0
		.amdhsa_workgroup_processor_mode 1
		.amdhsa_memory_ordered 1
		.amdhsa_forward_progress 0
		.amdhsa_shared_vgpr_count 0
		.amdhsa_exception_fp_ieee_invalid_op 0
		.amdhsa_exception_fp_denorm_src 0
		.amdhsa_exception_fp_ieee_div_zero 0
		.amdhsa_exception_fp_ieee_overflow 0
		.amdhsa_exception_fp_ieee_underflow 0
		.amdhsa_exception_fp_ieee_inexact 0
		.amdhsa_exception_int_div_zero 0
	.end_amdhsa_kernel
	.section	.text._ZN7rocprim17ROCPRIM_400000_NS6detail17trampoline_kernelINS0_14default_configENS1_29reduce_by_key_config_selectorIyjN6thrust23THRUST_200600_302600_NS4plusIjEEEEZZNS1_33reduce_by_key_impl_wrapped_configILNS1_25lookback_scan_determinismE0ES3_S9_NS6_6detail15normal_iteratorINS6_10device_ptrIyEEEENSD_INSE_IjEEEESG_SI_PmS8_NS6_8equal_toIyEEEE10hipError_tPvRmT2_T3_mT4_T5_T6_T7_T8_P12ihipStream_tbENKUlT_T0_E_clISt17integral_constantIbLb0EES13_EEDaSY_SZ_EUlSY_E_NS1_11comp_targetILNS1_3genE9ELNS1_11target_archE1100ELNS1_3gpuE3ELNS1_3repE0EEENS1_30default_config_static_selectorELNS0_4arch9wavefront6targetE0EEEvT1_,"axG",@progbits,_ZN7rocprim17ROCPRIM_400000_NS6detail17trampoline_kernelINS0_14default_configENS1_29reduce_by_key_config_selectorIyjN6thrust23THRUST_200600_302600_NS4plusIjEEEEZZNS1_33reduce_by_key_impl_wrapped_configILNS1_25lookback_scan_determinismE0ES3_S9_NS6_6detail15normal_iteratorINS6_10device_ptrIyEEEENSD_INSE_IjEEEESG_SI_PmS8_NS6_8equal_toIyEEEE10hipError_tPvRmT2_T3_mT4_T5_T6_T7_T8_P12ihipStream_tbENKUlT_T0_E_clISt17integral_constantIbLb0EES13_EEDaSY_SZ_EUlSY_E_NS1_11comp_targetILNS1_3genE9ELNS1_11target_archE1100ELNS1_3gpuE3ELNS1_3repE0EEENS1_30default_config_static_selectorELNS0_4arch9wavefront6targetE0EEEvT1_,comdat
.Lfunc_end704:
	.size	_ZN7rocprim17ROCPRIM_400000_NS6detail17trampoline_kernelINS0_14default_configENS1_29reduce_by_key_config_selectorIyjN6thrust23THRUST_200600_302600_NS4plusIjEEEEZZNS1_33reduce_by_key_impl_wrapped_configILNS1_25lookback_scan_determinismE0ES3_S9_NS6_6detail15normal_iteratorINS6_10device_ptrIyEEEENSD_INSE_IjEEEESG_SI_PmS8_NS6_8equal_toIyEEEE10hipError_tPvRmT2_T3_mT4_T5_T6_T7_T8_P12ihipStream_tbENKUlT_T0_E_clISt17integral_constantIbLb0EES13_EEDaSY_SZ_EUlSY_E_NS1_11comp_targetILNS1_3genE9ELNS1_11target_archE1100ELNS1_3gpuE3ELNS1_3repE0EEENS1_30default_config_static_selectorELNS0_4arch9wavefront6targetE0EEEvT1_, .Lfunc_end704-_ZN7rocprim17ROCPRIM_400000_NS6detail17trampoline_kernelINS0_14default_configENS1_29reduce_by_key_config_selectorIyjN6thrust23THRUST_200600_302600_NS4plusIjEEEEZZNS1_33reduce_by_key_impl_wrapped_configILNS1_25lookback_scan_determinismE0ES3_S9_NS6_6detail15normal_iteratorINS6_10device_ptrIyEEEENSD_INSE_IjEEEESG_SI_PmS8_NS6_8equal_toIyEEEE10hipError_tPvRmT2_T3_mT4_T5_T6_T7_T8_P12ihipStream_tbENKUlT_T0_E_clISt17integral_constantIbLb0EES13_EEDaSY_SZ_EUlSY_E_NS1_11comp_targetILNS1_3genE9ELNS1_11target_archE1100ELNS1_3gpuE3ELNS1_3repE0EEENS1_30default_config_static_selectorELNS0_4arch9wavefront6targetE0EEEvT1_
                                        ; -- End function
	.section	.AMDGPU.csdata,"",@progbits
; Kernel info:
; codeLenInByte = 17580
; NumSgprs: 48
; NumVgprs: 100
; ScratchSize: 0
; MemoryBound: 0
; FloatMode: 240
; IeeeMode: 1
; LDSByteSize: 30720 bytes/workgroup (compile time only)
; SGPRBlocks: 5
; VGPRBlocks: 12
; NumSGPRsForWavesPerEU: 48
; NumVGPRsForWavesPerEU: 100
; Occupancy: 8
; WaveLimiterHint : 1
; COMPUTE_PGM_RSRC2:SCRATCH_EN: 0
; COMPUTE_PGM_RSRC2:USER_SGPR: 15
; COMPUTE_PGM_RSRC2:TRAP_HANDLER: 0
; COMPUTE_PGM_RSRC2:TGID_X_EN: 1
; COMPUTE_PGM_RSRC2:TGID_Y_EN: 0
; COMPUTE_PGM_RSRC2:TGID_Z_EN: 0
; COMPUTE_PGM_RSRC2:TIDIG_COMP_CNT: 0
	.section	.text._ZN7rocprim17ROCPRIM_400000_NS6detail17trampoline_kernelINS0_14default_configENS1_29reduce_by_key_config_selectorIyjN6thrust23THRUST_200600_302600_NS4plusIjEEEEZZNS1_33reduce_by_key_impl_wrapped_configILNS1_25lookback_scan_determinismE0ES3_S9_NS6_6detail15normal_iteratorINS6_10device_ptrIyEEEENSD_INSE_IjEEEESG_SI_PmS8_NS6_8equal_toIyEEEE10hipError_tPvRmT2_T3_mT4_T5_T6_T7_T8_P12ihipStream_tbENKUlT_T0_E_clISt17integral_constantIbLb0EES13_EEDaSY_SZ_EUlSY_E_NS1_11comp_targetILNS1_3genE8ELNS1_11target_archE1030ELNS1_3gpuE2ELNS1_3repE0EEENS1_30default_config_static_selectorELNS0_4arch9wavefront6targetE0EEEvT1_,"axG",@progbits,_ZN7rocprim17ROCPRIM_400000_NS6detail17trampoline_kernelINS0_14default_configENS1_29reduce_by_key_config_selectorIyjN6thrust23THRUST_200600_302600_NS4plusIjEEEEZZNS1_33reduce_by_key_impl_wrapped_configILNS1_25lookback_scan_determinismE0ES3_S9_NS6_6detail15normal_iteratorINS6_10device_ptrIyEEEENSD_INSE_IjEEEESG_SI_PmS8_NS6_8equal_toIyEEEE10hipError_tPvRmT2_T3_mT4_T5_T6_T7_T8_P12ihipStream_tbENKUlT_T0_E_clISt17integral_constantIbLb0EES13_EEDaSY_SZ_EUlSY_E_NS1_11comp_targetILNS1_3genE8ELNS1_11target_archE1030ELNS1_3gpuE2ELNS1_3repE0EEENS1_30default_config_static_selectorELNS0_4arch9wavefront6targetE0EEEvT1_,comdat
	.protected	_ZN7rocprim17ROCPRIM_400000_NS6detail17trampoline_kernelINS0_14default_configENS1_29reduce_by_key_config_selectorIyjN6thrust23THRUST_200600_302600_NS4plusIjEEEEZZNS1_33reduce_by_key_impl_wrapped_configILNS1_25lookback_scan_determinismE0ES3_S9_NS6_6detail15normal_iteratorINS6_10device_ptrIyEEEENSD_INSE_IjEEEESG_SI_PmS8_NS6_8equal_toIyEEEE10hipError_tPvRmT2_T3_mT4_T5_T6_T7_T8_P12ihipStream_tbENKUlT_T0_E_clISt17integral_constantIbLb0EES13_EEDaSY_SZ_EUlSY_E_NS1_11comp_targetILNS1_3genE8ELNS1_11target_archE1030ELNS1_3gpuE2ELNS1_3repE0EEENS1_30default_config_static_selectorELNS0_4arch9wavefront6targetE0EEEvT1_ ; -- Begin function _ZN7rocprim17ROCPRIM_400000_NS6detail17trampoline_kernelINS0_14default_configENS1_29reduce_by_key_config_selectorIyjN6thrust23THRUST_200600_302600_NS4plusIjEEEEZZNS1_33reduce_by_key_impl_wrapped_configILNS1_25lookback_scan_determinismE0ES3_S9_NS6_6detail15normal_iteratorINS6_10device_ptrIyEEEENSD_INSE_IjEEEESG_SI_PmS8_NS6_8equal_toIyEEEE10hipError_tPvRmT2_T3_mT4_T5_T6_T7_T8_P12ihipStream_tbENKUlT_T0_E_clISt17integral_constantIbLb0EES13_EEDaSY_SZ_EUlSY_E_NS1_11comp_targetILNS1_3genE8ELNS1_11target_archE1030ELNS1_3gpuE2ELNS1_3repE0EEENS1_30default_config_static_selectorELNS0_4arch9wavefront6targetE0EEEvT1_
	.globl	_ZN7rocprim17ROCPRIM_400000_NS6detail17trampoline_kernelINS0_14default_configENS1_29reduce_by_key_config_selectorIyjN6thrust23THRUST_200600_302600_NS4plusIjEEEEZZNS1_33reduce_by_key_impl_wrapped_configILNS1_25lookback_scan_determinismE0ES3_S9_NS6_6detail15normal_iteratorINS6_10device_ptrIyEEEENSD_INSE_IjEEEESG_SI_PmS8_NS6_8equal_toIyEEEE10hipError_tPvRmT2_T3_mT4_T5_T6_T7_T8_P12ihipStream_tbENKUlT_T0_E_clISt17integral_constantIbLb0EES13_EEDaSY_SZ_EUlSY_E_NS1_11comp_targetILNS1_3genE8ELNS1_11target_archE1030ELNS1_3gpuE2ELNS1_3repE0EEENS1_30default_config_static_selectorELNS0_4arch9wavefront6targetE0EEEvT1_
	.p2align	8
	.type	_ZN7rocprim17ROCPRIM_400000_NS6detail17trampoline_kernelINS0_14default_configENS1_29reduce_by_key_config_selectorIyjN6thrust23THRUST_200600_302600_NS4plusIjEEEEZZNS1_33reduce_by_key_impl_wrapped_configILNS1_25lookback_scan_determinismE0ES3_S9_NS6_6detail15normal_iteratorINS6_10device_ptrIyEEEENSD_INSE_IjEEEESG_SI_PmS8_NS6_8equal_toIyEEEE10hipError_tPvRmT2_T3_mT4_T5_T6_T7_T8_P12ihipStream_tbENKUlT_T0_E_clISt17integral_constantIbLb0EES13_EEDaSY_SZ_EUlSY_E_NS1_11comp_targetILNS1_3genE8ELNS1_11target_archE1030ELNS1_3gpuE2ELNS1_3repE0EEENS1_30default_config_static_selectorELNS0_4arch9wavefront6targetE0EEEvT1_,@function
_ZN7rocprim17ROCPRIM_400000_NS6detail17trampoline_kernelINS0_14default_configENS1_29reduce_by_key_config_selectorIyjN6thrust23THRUST_200600_302600_NS4plusIjEEEEZZNS1_33reduce_by_key_impl_wrapped_configILNS1_25lookback_scan_determinismE0ES3_S9_NS6_6detail15normal_iteratorINS6_10device_ptrIyEEEENSD_INSE_IjEEEESG_SI_PmS8_NS6_8equal_toIyEEEE10hipError_tPvRmT2_T3_mT4_T5_T6_T7_T8_P12ihipStream_tbENKUlT_T0_E_clISt17integral_constantIbLb0EES13_EEDaSY_SZ_EUlSY_E_NS1_11comp_targetILNS1_3genE8ELNS1_11target_archE1030ELNS1_3gpuE2ELNS1_3repE0EEENS1_30default_config_static_selectorELNS0_4arch9wavefront6targetE0EEEvT1_: ; @_ZN7rocprim17ROCPRIM_400000_NS6detail17trampoline_kernelINS0_14default_configENS1_29reduce_by_key_config_selectorIyjN6thrust23THRUST_200600_302600_NS4plusIjEEEEZZNS1_33reduce_by_key_impl_wrapped_configILNS1_25lookback_scan_determinismE0ES3_S9_NS6_6detail15normal_iteratorINS6_10device_ptrIyEEEENSD_INSE_IjEEEESG_SI_PmS8_NS6_8equal_toIyEEEE10hipError_tPvRmT2_T3_mT4_T5_T6_T7_T8_P12ihipStream_tbENKUlT_T0_E_clISt17integral_constantIbLb0EES13_EEDaSY_SZ_EUlSY_E_NS1_11comp_targetILNS1_3genE8ELNS1_11target_archE1030ELNS1_3gpuE2ELNS1_3repE0EEENS1_30default_config_static_selectorELNS0_4arch9wavefront6targetE0EEEvT1_
; %bb.0:
	.section	.rodata,"a",@progbits
	.p2align	6, 0x0
	.amdhsa_kernel _ZN7rocprim17ROCPRIM_400000_NS6detail17trampoline_kernelINS0_14default_configENS1_29reduce_by_key_config_selectorIyjN6thrust23THRUST_200600_302600_NS4plusIjEEEEZZNS1_33reduce_by_key_impl_wrapped_configILNS1_25lookback_scan_determinismE0ES3_S9_NS6_6detail15normal_iteratorINS6_10device_ptrIyEEEENSD_INSE_IjEEEESG_SI_PmS8_NS6_8equal_toIyEEEE10hipError_tPvRmT2_T3_mT4_T5_T6_T7_T8_P12ihipStream_tbENKUlT_T0_E_clISt17integral_constantIbLb0EES13_EEDaSY_SZ_EUlSY_E_NS1_11comp_targetILNS1_3genE8ELNS1_11target_archE1030ELNS1_3gpuE2ELNS1_3repE0EEENS1_30default_config_static_selectorELNS0_4arch9wavefront6targetE0EEEvT1_
		.amdhsa_group_segment_fixed_size 0
		.amdhsa_private_segment_fixed_size 0
		.amdhsa_kernarg_size 120
		.amdhsa_user_sgpr_count 15
		.amdhsa_user_sgpr_dispatch_ptr 0
		.amdhsa_user_sgpr_queue_ptr 0
		.amdhsa_user_sgpr_kernarg_segment_ptr 1
		.amdhsa_user_sgpr_dispatch_id 0
		.amdhsa_user_sgpr_private_segment_size 0
		.amdhsa_wavefront_size32 1
		.amdhsa_uses_dynamic_stack 0
		.amdhsa_enable_private_segment 0
		.amdhsa_system_sgpr_workgroup_id_x 1
		.amdhsa_system_sgpr_workgroup_id_y 0
		.amdhsa_system_sgpr_workgroup_id_z 0
		.amdhsa_system_sgpr_workgroup_info 0
		.amdhsa_system_vgpr_workitem_id 0
		.amdhsa_next_free_vgpr 1
		.amdhsa_next_free_sgpr 1
		.amdhsa_reserve_vcc 0
		.amdhsa_float_round_mode_32 0
		.amdhsa_float_round_mode_16_64 0
		.amdhsa_float_denorm_mode_32 3
		.amdhsa_float_denorm_mode_16_64 3
		.amdhsa_dx10_clamp 1
		.amdhsa_ieee_mode 1
		.amdhsa_fp16_overflow 0
		.amdhsa_workgroup_processor_mode 1
		.amdhsa_memory_ordered 1
		.amdhsa_forward_progress 0
		.amdhsa_shared_vgpr_count 0
		.amdhsa_exception_fp_ieee_invalid_op 0
		.amdhsa_exception_fp_denorm_src 0
		.amdhsa_exception_fp_ieee_div_zero 0
		.amdhsa_exception_fp_ieee_overflow 0
		.amdhsa_exception_fp_ieee_underflow 0
		.amdhsa_exception_fp_ieee_inexact 0
		.amdhsa_exception_int_div_zero 0
	.end_amdhsa_kernel
	.section	.text._ZN7rocprim17ROCPRIM_400000_NS6detail17trampoline_kernelINS0_14default_configENS1_29reduce_by_key_config_selectorIyjN6thrust23THRUST_200600_302600_NS4plusIjEEEEZZNS1_33reduce_by_key_impl_wrapped_configILNS1_25lookback_scan_determinismE0ES3_S9_NS6_6detail15normal_iteratorINS6_10device_ptrIyEEEENSD_INSE_IjEEEESG_SI_PmS8_NS6_8equal_toIyEEEE10hipError_tPvRmT2_T3_mT4_T5_T6_T7_T8_P12ihipStream_tbENKUlT_T0_E_clISt17integral_constantIbLb0EES13_EEDaSY_SZ_EUlSY_E_NS1_11comp_targetILNS1_3genE8ELNS1_11target_archE1030ELNS1_3gpuE2ELNS1_3repE0EEENS1_30default_config_static_selectorELNS0_4arch9wavefront6targetE0EEEvT1_,"axG",@progbits,_ZN7rocprim17ROCPRIM_400000_NS6detail17trampoline_kernelINS0_14default_configENS1_29reduce_by_key_config_selectorIyjN6thrust23THRUST_200600_302600_NS4plusIjEEEEZZNS1_33reduce_by_key_impl_wrapped_configILNS1_25lookback_scan_determinismE0ES3_S9_NS6_6detail15normal_iteratorINS6_10device_ptrIyEEEENSD_INSE_IjEEEESG_SI_PmS8_NS6_8equal_toIyEEEE10hipError_tPvRmT2_T3_mT4_T5_T6_T7_T8_P12ihipStream_tbENKUlT_T0_E_clISt17integral_constantIbLb0EES13_EEDaSY_SZ_EUlSY_E_NS1_11comp_targetILNS1_3genE8ELNS1_11target_archE1030ELNS1_3gpuE2ELNS1_3repE0EEENS1_30default_config_static_selectorELNS0_4arch9wavefront6targetE0EEEvT1_,comdat
.Lfunc_end705:
	.size	_ZN7rocprim17ROCPRIM_400000_NS6detail17trampoline_kernelINS0_14default_configENS1_29reduce_by_key_config_selectorIyjN6thrust23THRUST_200600_302600_NS4plusIjEEEEZZNS1_33reduce_by_key_impl_wrapped_configILNS1_25lookback_scan_determinismE0ES3_S9_NS6_6detail15normal_iteratorINS6_10device_ptrIyEEEENSD_INSE_IjEEEESG_SI_PmS8_NS6_8equal_toIyEEEE10hipError_tPvRmT2_T3_mT4_T5_T6_T7_T8_P12ihipStream_tbENKUlT_T0_E_clISt17integral_constantIbLb0EES13_EEDaSY_SZ_EUlSY_E_NS1_11comp_targetILNS1_3genE8ELNS1_11target_archE1030ELNS1_3gpuE2ELNS1_3repE0EEENS1_30default_config_static_selectorELNS0_4arch9wavefront6targetE0EEEvT1_, .Lfunc_end705-_ZN7rocprim17ROCPRIM_400000_NS6detail17trampoline_kernelINS0_14default_configENS1_29reduce_by_key_config_selectorIyjN6thrust23THRUST_200600_302600_NS4plusIjEEEEZZNS1_33reduce_by_key_impl_wrapped_configILNS1_25lookback_scan_determinismE0ES3_S9_NS6_6detail15normal_iteratorINS6_10device_ptrIyEEEENSD_INSE_IjEEEESG_SI_PmS8_NS6_8equal_toIyEEEE10hipError_tPvRmT2_T3_mT4_T5_T6_T7_T8_P12ihipStream_tbENKUlT_T0_E_clISt17integral_constantIbLb0EES13_EEDaSY_SZ_EUlSY_E_NS1_11comp_targetILNS1_3genE8ELNS1_11target_archE1030ELNS1_3gpuE2ELNS1_3repE0EEENS1_30default_config_static_selectorELNS0_4arch9wavefront6targetE0EEEvT1_
                                        ; -- End function
	.section	.AMDGPU.csdata,"",@progbits
; Kernel info:
; codeLenInByte = 0
; NumSgprs: 0
; NumVgprs: 0
; ScratchSize: 0
; MemoryBound: 0
; FloatMode: 240
; IeeeMode: 1
; LDSByteSize: 0 bytes/workgroup (compile time only)
; SGPRBlocks: 0
; VGPRBlocks: 0
; NumSGPRsForWavesPerEU: 1
; NumVGPRsForWavesPerEU: 1
; Occupancy: 16
; WaveLimiterHint : 0
; COMPUTE_PGM_RSRC2:SCRATCH_EN: 0
; COMPUTE_PGM_RSRC2:USER_SGPR: 15
; COMPUTE_PGM_RSRC2:TRAP_HANDLER: 0
; COMPUTE_PGM_RSRC2:TGID_X_EN: 1
; COMPUTE_PGM_RSRC2:TGID_Y_EN: 0
; COMPUTE_PGM_RSRC2:TGID_Z_EN: 0
; COMPUTE_PGM_RSRC2:TIDIG_COMP_CNT: 0
	.section	.text._ZN7rocprim17ROCPRIM_400000_NS6detail17trampoline_kernelINS0_14default_configENS1_29reduce_by_key_config_selectorIyjN6thrust23THRUST_200600_302600_NS4plusIjEEEEZZNS1_33reduce_by_key_impl_wrapped_configILNS1_25lookback_scan_determinismE0ES3_S9_NS6_6detail15normal_iteratorINS6_10device_ptrIyEEEENSD_INSE_IjEEEESG_SI_PmS8_NS6_8equal_toIyEEEE10hipError_tPvRmT2_T3_mT4_T5_T6_T7_T8_P12ihipStream_tbENKUlT_T0_E_clISt17integral_constantIbLb1EES13_EEDaSY_SZ_EUlSY_E_NS1_11comp_targetILNS1_3genE0ELNS1_11target_archE4294967295ELNS1_3gpuE0ELNS1_3repE0EEENS1_30default_config_static_selectorELNS0_4arch9wavefront6targetE0EEEvT1_,"axG",@progbits,_ZN7rocprim17ROCPRIM_400000_NS6detail17trampoline_kernelINS0_14default_configENS1_29reduce_by_key_config_selectorIyjN6thrust23THRUST_200600_302600_NS4plusIjEEEEZZNS1_33reduce_by_key_impl_wrapped_configILNS1_25lookback_scan_determinismE0ES3_S9_NS6_6detail15normal_iteratorINS6_10device_ptrIyEEEENSD_INSE_IjEEEESG_SI_PmS8_NS6_8equal_toIyEEEE10hipError_tPvRmT2_T3_mT4_T5_T6_T7_T8_P12ihipStream_tbENKUlT_T0_E_clISt17integral_constantIbLb1EES13_EEDaSY_SZ_EUlSY_E_NS1_11comp_targetILNS1_3genE0ELNS1_11target_archE4294967295ELNS1_3gpuE0ELNS1_3repE0EEENS1_30default_config_static_selectorELNS0_4arch9wavefront6targetE0EEEvT1_,comdat
	.protected	_ZN7rocprim17ROCPRIM_400000_NS6detail17trampoline_kernelINS0_14default_configENS1_29reduce_by_key_config_selectorIyjN6thrust23THRUST_200600_302600_NS4plusIjEEEEZZNS1_33reduce_by_key_impl_wrapped_configILNS1_25lookback_scan_determinismE0ES3_S9_NS6_6detail15normal_iteratorINS6_10device_ptrIyEEEENSD_INSE_IjEEEESG_SI_PmS8_NS6_8equal_toIyEEEE10hipError_tPvRmT2_T3_mT4_T5_T6_T7_T8_P12ihipStream_tbENKUlT_T0_E_clISt17integral_constantIbLb1EES13_EEDaSY_SZ_EUlSY_E_NS1_11comp_targetILNS1_3genE0ELNS1_11target_archE4294967295ELNS1_3gpuE0ELNS1_3repE0EEENS1_30default_config_static_selectorELNS0_4arch9wavefront6targetE0EEEvT1_ ; -- Begin function _ZN7rocprim17ROCPRIM_400000_NS6detail17trampoline_kernelINS0_14default_configENS1_29reduce_by_key_config_selectorIyjN6thrust23THRUST_200600_302600_NS4plusIjEEEEZZNS1_33reduce_by_key_impl_wrapped_configILNS1_25lookback_scan_determinismE0ES3_S9_NS6_6detail15normal_iteratorINS6_10device_ptrIyEEEENSD_INSE_IjEEEESG_SI_PmS8_NS6_8equal_toIyEEEE10hipError_tPvRmT2_T3_mT4_T5_T6_T7_T8_P12ihipStream_tbENKUlT_T0_E_clISt17integral_constantIbLb1EES13_EEDaSY_SZ_EUlSY_E_NS1_11comp_targetILNS1_3genE0ELNS1_11target_archE4294967295ELNS1_3gpuE0ELNS1_3repE0EEENS1_30default_config_static_selectorELNS0_4arch9wavefront6targetE0EEEvT1_
	.globl	_ZN7rocprim17ROCPRIM_400000_NS6detail17trampoline_kernelINS0_14default_configENS1_29reduce_by_key_config_selectorIyjN6thrust23THRUST_200600_302600_NS4plusIjEEEEZZNS1_33reduce_by_key_impl_wrapped_configILNS1_25lookback_scan_determinismE0ES3_S9_NS6_6detail15normal_iteratorINS6_10device_ptrIyEEEENSD_INSE_IjEEEESG_SI_PmS8_NS6_8equal_toIyEEEE10hipError_tPvRmT2_T3_mT4_T5_T6_T7_T8_P12ihipStream_tbENKUlT_T0_E_clISt17integral_constantIbLb1EES13_EEDaSY_SZ_EUlSY_E_NS1_11comp_targetILNS1_3genE0ELNS1_11target_archE4294967295ELNS1_3gpuE0ELNS1_3repE0EEENS1_30default_config_static_selectorELNS0_4arch9wavefront6targetE0EEEvT1_
	.p2align	8
	.type	_ZN7rocprim17ROCPRIM_400000_NS6detail17trampoline_kernelINS0_14default_configENS1_29reduce_by_key_config_selectorIyjN6thrust23THRUST_200600_302600_NS4plusIjEEEEZZNS1_33reduce_by_key_impl_wrapped_configILNS1_25lookback_scan_determinismE0ES3_S9_NS6_6detail15normal_iteratorINS6_10device_ptrIyEEEENSD_INSE_IjEEEESG_SI_PmS8_NS6_8equal_toIyEEEE10hipError_tPvRmT2_T3_mT4_T5_T6_T7_T8_P12ihipStream_tbENKUlT_T0_E_clISt17integral_constantIbLb1EES13_EEDaSY_SZ_EUlSY_E_NS1_11comp_targetILNS1_3genE0ELNS1_11target_archE4294967295ELNS1_3gpuE0ELNS1_3repE0EEENS1_30default_config_static_selectorELNS0_4arch9wavefront6targetE0EEEvT1_,@function
_ZN7rocprim17ROCPRIM_400000_NS6detail17trampoline_kernelINS0_14default_configENS1_29reduce_by_key_config_selectorIyjN6thrust23THRUST_200600_302600_NS4plusIjEEEEZZNS1_33reduce_by_key_impl_wrapped_configILNS1_25lookback_scan_determinismE0ES3_S9_NS6_6detail15normal_iteratorINS6_10device_ptrIyEEEENSD_INSE_IjEEEESG_SI_PmS8_NS6_8equal_toIyEEEE10hipError_tPvRmT2_T3_mT4_T5_T6_T7_T8_P12ihipStream_tbENKUlT_T0_E_clISt17integral_constantIbLb1EES13_EEDaSY_SZ_EUlSY_E_NS1_11comp_targetILNS1_3genE0ELNS1_11target_archE4294967295ELNS1_3gpuE0ELNS1_3repE0EEENS1_30default_config_static_selectorELNS0_4arch9wavefront6targetE0EEEvT1_: ; @_ZN7rocprim17ROCPRIM_400000_NS6detail17trampoline_kernelINS0_14default_configENS1_29reduce_by_key_config_selectorIyjN6thrust23THRUST_200600_302600_NS4plusIjEEEEZZNS1_33reduce_by_key_impl_wrapped_configILNS1_25lookback_scan_determinismE0ES3_S9_NS6_6detail15normal_iteratorINS6_10device_ptrIyEEEENSD_INSE_IjEEEESG_SI_PmS8_NS6_8equal_toIyEEEE10hipError_tPvRmT2_T3_mT4_T5_T6_T7_T8_P12ihipStream_tbENKUlT_T0_E_clISt17integral_constantIbLb1EES13_EEDaSY_SZ_EUlSY_E_NS1_11comp_targetILNS1_3genE0ELNS1_11target_archE4294967295ELNS1_3gpuE0ELNS1_3repE0EEENS1_30default_config_static_selectorELNS0_4arch9wavefront6targetE0EEEvT1_
; %bb.0:
	.section	.rodata,"a",@progbits
	.p2align	6, 0x0
	.amdhsa_kernel _ZN7rocprim17ROCPRIM_400000_NS6detail17trampoline_kernelINS0_14default_configENS1_29reduce_by_key_config_selectorIyjN6thrust23THRUST_200600_302600_NS4plusIjEEEEZZNS1_33reduce_by_key_impl_wrapped_configILNS1_25lookback_scan_determinismE0ES3_S9_NS6_6detail15normal_iteratorINS6_10device_ptrIyEEEENSD_INSE_IjEEEESG_SI_PmS8_NS6_8equal_toIyEEEE10hipError_tPvRmT2_T3_mT4_T5_T6_T7_T8_P12ihipStream_tbENKUlT_T0_E_clISt17integral_constantIbLb1EES13_EEDaSY_SZ_EUlSY_E_NS1_11comp_targetILNS1_3genE0ELNS1_11target_archE4294967295ELNS1_3gpuE0ELNS1_3repE0EEENS1_30default_config_static_selectorELNS0_4arch9wavefront6targetE0EEEvT1_
		.amdhsa_group_segment_fixed_size 0
		.amdhsa_private_segment_fixed_size 0
		.amdhsa_kernarg_size 120
		.amdhsa_user_sgpr_count 15
		.amdhsa_user_sgpr_dispatch_ptr 0
		.amdhsa_user_sgpr_queue_ptr 0
		.amdhsa_user_sgpr_kernarg_segment_ptr 1
		.amdhsa_user_sgpr_dispatch_id 0
		.amdhsa_user_sgpr_private_segment_size 0
		.amdhsa_wavefront_size32 1
		.amdhsa_uses_dynamic_stack 0
		.amdhsa_enable_private_segment 0
		.amdhsa_system_sgpr_workgroup_id_x 1
		.amdhsa_system_sgpr_workgroup_id_y 0
		.amdhsa_system_sgpr_workgroup_id_z 0
		.amdhsa_system_sgpr_workgroup_info 0
		.amdhsa_system_vgpr_workitem_id 0
		.amdhsa_next_free_vgpr 1
		.amdhsa_next_free_sgpr 1
		.amdhsa_reserve_vcc 0
		.amdhsa_float_round_mode_32 0
		.amdhsa_float_round_mode_16_64 0
		.amdhsa_float_denorm_mode_32 3
		.amdhsa_float_denorm_mode_16_64 3
		.amdhsa_dx10_clamp 1
		.amdhsa_ieee_mode 1
		.amdhsa_fp16_overflow 0
		.amdhsa_workgroup_processor_mode 1
		.amdhsa_memory_ordered 1
		.amdhsa_forward_progress 0
		.amdhsa_shared_vgpr_count 0
		.amdhsa_exception_fp_ieee_invalid_op 0
		.amdhsa_exception_fp_denorm_src 0
		.amdhsa_exception_fp_ieee_div_zero 0
		.amdhsa_exception_fp_ieee_overflow 0
		.amdhsa_exception_fp_ieee_underflow 0
		.amdhsa_exception_fp_ieee_inexact 0
		.amdhsa_exception_int_div_zero 0
	.end_amdhsa_kernel
	.section	.text._ZN7rocprim17ROCPRIM_400000_NS6detail17trampoline_kernelINS0_14default_configENS1_29reduce_by_key_config_selectorIyjN6thrust23THRUST_200600_302600_NS4plusIjEEEEZZNS1_33reduce_by_key_impl_wrapped_configILNS1_25lookback_scan_determinismE0ES3_S9_NS6_6detail15normal_iteratorINS6_10device_ptrIyEEEENSD_INSE_IjEEEESG_SI_PmS8_NS6_8equal_toIyEEEE10hipError_tPvRmT2_T3_mT4_T5_T6_T7_T8_P12ihipStream_tbENKUlT_T0_E_clISt17integral_constantIbLb1EES13_EEDaSY_SZ_EUlSY_E_NS1_11comp_targetILNS1_3genE0ELNS1_11target_archE4294967295ELNS1_3gpuE0ELNS1_3repE0EEENS1_30default_config_static_selectorELNS0_4arch9wavefront6targetE0EEEvT1_,"axG",@progbits,_ZN7rocprim17ROCPRIM_400000_NS6detail17trampoline_kernelINS0_14default_configENS1_29reduce_by_key_config_selectorIyjN6thrust23THRUST_200600_302600_NS4plusIjEEEEZZNS1_33reduce_by_key_impl_wrapped_configILNS1_25lookback_scan_determinismE0ES3_S9_NS6_6detail15normal_iteratorINS6_10device_ptrIyEEEENSD_INSE_IjEEEESG_SI_PmS8_NS6_8equal_toIyEEEE10hipError_tPvRmT2_T3_mT4_T5_T6_T7_T8_P12ihipStream_tbENKUlT_T0_E_clISt17integral_constantIbLb1EES13_EEDaSY_SZ_EUlSY_E_NS1_11comp_targetILNS1_3genE0ELNS1_11target_archE4294967295ELNS1_3gpuE0ELNS1_3repE0EEENS1_30default_config_static_selectorELNS0_4arch9wavefront6targetE0EEEvT1_,comdat
.Lfunc_end706:
	.size	_ZN7rocprim17ROCPRIM_400000_NS6detail17trampoline_kernelINS0_14default_configENS1_29reduce_by_key_config_selectorIyjN6thrust23THRUST_200600_302600_NS4plusIjEEEEZZNS1_33reduce_by_key_impl_wrapped_configILNS1_25lookback_scan_determinismE0ES3_S9_NS6_6detail15normal_iteratorINS6_10device_ptrIyEEEENSD_INSE_IjEEEESG_SI_PmS8_NS6_8equal_toIyEEEE10hipError_tPvRmT2_T3_mT4_T5_T6_T7_T8_P12ihipStream_tbENKUlT_T0_E_clISt17integral_constantIbLb1EES13_EEDaSY_SZ_EUlSY_E_NS1_11comp_targetILNS1_3genE0ELNS1_11target_archE4294967295ELNS1_3gpuE0ELNS1_3repE0EEENS1_30default_config_static_selectorELNS0_4arch9wavefront6targetE0EEEvT1_, .Lfunc_end706-_ZN7rocprim17ROCPRIM_400000_NS6detail17trampoline_kernelINS0_14default_configENS1_29reduce_by_key_config_selectorIyjN6thrust23THRUST_200600_302600_NS4plusIjEEEEZZNS1_33reduce_by_key_impl_wrapped_configILNS1_25lookback_scan_determinismE0ES3_S9_NS6_6detail15normal_iteratorINS6_10device_ptrIyEEEENSD_INSE_IjEEEESG_SI_PmS8_NS6_8equal_toIyEEEE10hipError_tPvRmT2_T3_mT4_T5_T6_T7_T8_P12ihipStream_tbENKUlT_T0_E_clISt17integral_constantIbLb1EES13_EEDaSY_SZ_EUlSY_E_NS1_11comp_targetILNS1_3genE0ELNS1_11target_archE4294967295ELNS1_3gpuE0ELNS1_3repE0EEENS1_30default_config_static_selectorELNS0_4arch9wavefront6targetE0EEEvT1_
                                        ; -- End function
	.section	.AMDGPU.csdata,"",@progbits
; Kernel info:
; codeLenInByte = 0
; NumSgprs: 0
; NumVgprs: 0
; ScratchSize: 0
; MemoryBound: 0
; FloatMode: 240
; IeeeMode: 1
; LDSByteSize: 0 bytes/workgroup (compile time only)
; SGPRBlocks: 0
; VGPRBlocks: 0
; NumSGPRsForWavesPerEU: 1
; NumVGPRsForWavesPerEU: 1
; Occupancy: 16
; WaveLimiterHint : 0
; COMPUTE_PGM_RSRC2:SCRATCH_EN: 0
; COMPUTE_PGM_RSRC2:USER_SGPR: 15
; COMPUTE_PGM_RSRC2:TRAP_HANDLER: 0
; COMPUTE_PGM_RSRC2:TGID_X_EN: 1
; COMPUTE_PGM_RSRC2:TGID_Y_EN: 0
; COMPUTE_PGM_RSRC2:TGID_Z_EN: 0
; COMPUTE_PGM_RSRC2:TIDIG_COMP_CNT: 0
	.section	.text._ZN7rocprim17ROCPRIM_400000_NS6detail17trampoline_kernelINS0_14default_configENS1_29reduce_by_key_config_selectorIyjN6thrust23THRUST_200600_302600_NS4plusIjEEEEZZNS1_33reduce_by_key_impl_wrapped_configILNS1_25lookback_scan_determinismE0ES3_S9_NS6_6detail15normal_iteratorINS6_10device_ptrIyEEEENSD_INSE_IjEEEESG_SI_PmS8_NS6_8equal_toIyEEEE10hipError_tPvRmT2_T3_mT4_T5_T6_T7_T8_P12ihipStream_tbENKUlT_T0_E_clISt17integral_constantIbLb1EES13_EEDaSY_SZ_EUlSY_E_NS1_11comp_targetILNS1_3genE5ELNS1_11target_archE942ELNS1_3gpuE9ELNS1_3repE0EEENS1_30default_config_static_selectorELNS0_4arch9wavefront6targetE0EEEvT1_,"axG",@progbits,_ZN7rocprim17ROCPRIM_400000_NS6detail17trampoline_kernelINS0_14default_configENS1_29reduce_by_key_config_selectorIyjN6thrust23THRUST_200600_302600_NS4plusIjEEEEZZNS1_33reduce_by_key_impl_wrapped_configILNS1_25lookback_scan_determinismE0ES3_S9_NS6_6detail15normal_iteratorINS6_10device_ptrIyEEEENSD_INSE_IjEEEESG_SI_PmS8_NS6_8equal_toIyEEEE10hipError_tPvRmT2_T3_mT4_T5_T6_T7_T8_P12ihipStream_tbENKUlT_T0_E_clISt17integral_constantIbLb1EES13_EEDaSY_SZ_EUlSY_E_NS1_11comp_targetILNS1_3genE5ELNS1_11target_archE942ELNS1_3gpuE9ELNS1_3repE0EEENS1_30default_config_static_selectorELNS0_4arch9wavefront6targetE0EEEvT1_,comdat
	.protected	_ZN7rocprim17ROCPRIM_400000_NS6detail17trampoline_kernelINS0_14default_configENS1_29reduce_by_key_config_selectorIyjN6thrust23THRUST_200600_302600_NS4plusIjEEEEZZNS1_33reduce_by_key_impl_wrapped_configILNS1_25lookback_scan_determinismE0ES3_S9_NS6_6detail15normal_iteratorINS6_10device_ptrIyEEEENSD_INSE_IjEEEESG_SI_PmS8_NS6_8equal_toIyEEEE10hipError_tPvRmT2_T3_mT4_T5_T6_T7_T8_P12ihipStream_tbENKUlT_T0_E_clISt17integral_constantIbLb1EES13_EEDaSY_SZ_EUlSY_E_NS1_11comp_targetILNS1_3genE5ELNS1_11target_archE942ELNS1_3gpuE9ELNS1_3repE0EEENS1_30default_config_static_selectorELNS0_4arch9wavefront6targetE0EEEvT1_ ; -- Begin function _ZN7rocprim17ROCPRIM_400000_NS6detail17trampoline_kernelINS0_14default_configENS1_29reduce_by_key_config_selectorIyjN6thrust23THRUST_200600_302600_NS4plusIjEEEEZZNS1_33reduce_by_key_impl_wrapped_configILNS1_25lookback_scan_determinismE0ES3_S9_NS6_6detail15normal_iteratorINS6_10device_ptrIyEEEENSD_INSE_IjEEEESG_SI_PmS8_NS6_8equal_toIyEEEE10hipError_tPvRmT2_T3_mT4_T5_T6_T7_T8_P12ihipStream_tbENKUlT_T0_E_clISt17integral_constantIbLb1EES13_EEDaSY_SZ_EUlSY_E_NS1_11comp_targetILNS1_3genE5ELNS1_11target_archE942ELNS1_3gpuE9ELNS1_3repE0EEENS1_30default_config_static_selectorELNS0_4arch9wavefront6targetE0EEEvT1_
	.globl	_ZN7rocprim17ROCPRIM_400000_NS6detail17trampoline_kernelINS0_14default_configENS1_29reduce_by_key_config_selectorIyjN6thrust23THRUST_200600_302600_NS4plusIjEEEEZZNS1_33reduce_by_key_impl_wrapped_configILNS1_25lookback_scan_determinismE0ES3_S9_NS6_6detail15normal_iteratorINS6_10device_ptrIyEEEENSD_INSE_IjEEEESG_SI_PmS8_NS6_8equal_toIyEEEE10hipError_tPvRmT2_T3_mT4_T5_T6_T7_T8_P12ihipStream_tbENKUlT_T0_E_clISt17integral_constantIbLb1EES13_EEDaSY_SZ_EUlSY_E_NS1_11comp_targetILNS1_3genE5ELNS1_11target_archE942ELNS1_3gpuE9ELNS1_3repE0EEENS1_30default_config_static_selectorELNS0_4arch9wavefront6targetE0EEEvT1_
	.p2align	8
	.type	_ZN7rocprim17ROCPRIM_400000_NS6detail17trampoline_kernelINS0_14default_configENS1_29reduce_by_key_config_selectorIyjN6thrust23THRUST_200600_302600_NS4plusIjEEEEZZNS1_33reduce_by_key_impl_wrapped_configILNS1_25lookback_scan_determinismE0ES3_S9_NS6_6detail15normal_iteratorINS6_10device_ptrIyEEEENSD_INSE_IjEEEESG_SI_PmS8_NS6_8equal_toIyEEEE10hipError_tPvRmT2_T3_mT4_T5_T6_T7_T8_P12ihipStream_tbENKUlT_T0_E_clISt17integral_constantIbLb1EES13_EEDaSY_SZ_EUlSY_E_NS1_11comp_targetILNS1_3genE5ELNS1_11target_archE942ELNS1_3gpuE9ELNS1_3repE0EEENS1_30default_config_static_selectorELNS0_4arch9wavefront6targetE0EEEvT1_,@function
_ZN7rocprim17ROCPRIM_400000_NS6detail17trampoline_kernelINS0_14default_configENS1_29reduce_by_key_config_selectorIyjN6thrust23THRUST_200600_302600_NS4plusIjEEEEZZNS1_33reduce_by_key_impl_wrapped_configILNS1_25lookback_scan_determinismE0ES3_S9_NS6_6detail15normal_iteratorINS6_10device_ptrIyEEEENSD_INSE_IjEEEESG_SI_PmS8_NS6_8equal_toIyEEEE10hipError_tPvRmT2_T3_mT4_T5_T6_T7_T8_P12ihipStream_tbENKUlT_T0_E_clISt17integral_constantIbLb1EES13_EEDaSY_SZ_EUlSY_E_NS1_11comp_targetILNS1_3genE5ELNS1_11target_archE942ELNS1_3gpuE9ELNS1_3repE0EEENS1_30default_config_static_selectorELNS0_4arch9wavefront6targetE0EEEvT1_: ; @_ZN7rocprim17ROCPRIM_400000_NS6detail17trampoline_kernelINS0_14default_configENS1_29reduce_by_key_config_selectorIyjN6thrust23THRUST_200600_302600_NS4plusIjEEEEZZNS1_33reduce_by_key_impl_wrapped_configILNS1_25lookback_scan_determinismE0ES3_S9_NS6_6detail15normal_iteratorINS6_10device_ptrIyEEEENSD_INSE_IjEEEESG_SI_PmS8_NS6_8equal_toIyEEEE10hipError_tPvRmT2_T3_mT4_T5_T6_T7_T8_P12ihipStream_tbENKUlT_T0_E_clISt17integral_constantIbLb1EES13_EEDaSY_SZ_EUlSY_E_NS1_11comp_targetILNS1_3genE5ELNS1_11target_archE942ELNS1_3gpuE9ELNS1_3repE0EEENS1_30default_config_static_selectorELNS0_4arch9wavefront6targetE0EEEvT1_
; %bb.0:
	.section	.rodata,"a",@progbits
	.p2align	6, 0x0
	.amdhsa_kernel _ZN7rocprim17ROCPRIM_400000_NS6detail17trampoline_kernelINS0_14default_configENS1_29reduce_by_key_config_selectorIyjN6thrust23THRUST_200600_302600_NS4plusIjEEEEZZNS1_33reduce_by_key_impl_wrapped_configILNS1_25lookback_scan_determinismE0ES3_S9_NS6_6detail15normal_iteratorINS6_10device_ptrIyEEEENSD_INSE_IjEEEESG_SI_PmS8_NS6_8equal_toIyEEEE10hipError_tPvRmT2_T3_mT4_T5_T6_T7_T8_P12ihipStream_tbENKUlT_T0_E_clISt17integral_constantIbLb1EES13_EEDaSY_SZ_EUlSY_E_NS1_11comp_targetILNS1_3genE5ELNS1_11target_archE942ELNS1_3gpuE9ELNS1_3repE0EEENS1_30default_config_static_selectorELNS0_4arch9wavefront6targetE0EEEvT1_
		.amdhsa_group_segment_fixed_size 0
		.amdhsa_private_segment_fixed_size 0
		.amdhsa_kernarg_size 120
		.amdhsa_user_sgpr_count 15
		.amdhsa_user_sgpr_dispatch_ptr 0
		.amdhsa_user_sgpr_queue_ptr 0
		.amdhsa_user_sgpr_kernarg_segment_ptr 1
		.amdhsa_user_sgpr_dispatch_id 0
		.amdhsa_user_sgpr_private_segment_size 0
		.amdhsa_wavefront_size32 1
		.amdhsa_uses_dynamic_stack 0
		.amdhsa_enable_private_segment 0
		.amdhsa_system_sgpr_workgroup_id_x 1
		.amdhsa_system_sgpr_workgroup_id_y 0
		.amdhsa_system_sgpr_workgroup_id_z 0
		.amdhsa_system_sgpr_workgroup_info 0
		.amdhsa_system_vgpr_workitem_id 0
		.amdhsa_next_free_vgpr 1
		.amdhsa_next_free_sgpr 1
		.amdhsa_reserve_vcc 0
		.amdhsa_float_round_mode_32 0
		.amdhsa_float_round_mode_16_64 0
		.amdhsa_float_denorm_mode_32 3
		.amdhsa_float_denorm_mode_16_64 3
		.amdhsa_dx10_clamp 1
		.amdhsa_ieee_mode 1
		.amdhsa_fp16_overflow 0
		.amdhsa_workgroup_processor_mode 1
		.amdhsa_memory_ordered 1
		.amdhsa_forward_progress 0
		.amdhsa_shared_vgpr_count 0
		.amdhsa_exception_fp_ieee_invalid_op 0
		.amdhsa_exception_fp_denorm_src 0
		.amdhsa_exception_fp_ieee_div_zero 0
		.amdhsa_exception_fp_ieee_overflow 0
		.amdhsa_exception_fp_ieee_underflow 0
		.amdhsa_exception_fp_ieee_inexact 0
		.amdhsa_exception_int_div_zero 0
	.end_amdhsa_kernel
	.section	.text._ZN7rocprim17ROCPRIM_400000_NS6detail17trampoline_kernelINS0_14default_configENS1_29reduce_by_key_config_selectorIyjN6thrust23THRUST_200600_302600_NS4plusIjEEEEZZNS1_33reduce_by_key_impl_wrapped_configILNS1_25lookback_scan_determinismE0ES3_S9_NS6_6detail15normal_iteratorINS6_10device_ptrIyEEEENSD_INSE_IjEEEESG_SI_PmS8_NS6_8equal_toIyEEEE10hipError_tPvRmT2_T3_mT4_T5_T6_T7_T8_P12ihipStream_tbENKUlT_T0_E_clISt17integral_constantIbLb1EES13_EEDaSY_SZ_EUlSY_E_NS1_11comp_targetILNS1_3genE5ELNS1_11target_archE942ELNS1_3gpuE9ELNS1_3repE0EEENS1_30default_config_static_selectorELNS0_4arch9wavefront6targetE0EEEvT1_,"axG",@progbits,_ZN7rocprim17ROCPRIM_400000_NS6detail17trampoline_kernelINS0_14default_configENS1_29reduce_by_key_config_selectorIyjN6thrust23THRUST_200600_302600_NS4plusIjEEEEZZNS1_33reduce_by_key_impl_wrapped_configILNS1_25lookback_scan_determinismE0ES3_S9_NS6_6detail15normal_iteratorINS6_10device_ptrIyEEEENSD_INSE_IjEEEESG_SI_PmS8_NS6_8equal_toIyEEEE10hipError_tPvRmT2_T3_mT4_T5_T6_T7_T8_P12ihipStream_tbENKUlT_T0_E_clISt17integral_constantIbLb1EES13_EEDaSY_SZ_EUlSY_E_NS1_11comp_targetILNS1_3genE5ELNS1_11target_archE942ELNS1_3gpuE9ELNS1_3repE0EEENS1_30default_config_static_selectorELNS0_4arch9wavefront6targetE0EEEvT1_,comdat
.Lfunc_end707:
	.size	_ZN7rocprim17ROCPRIM_400000_NS6detail17trampoline_kernelINS0_14default_configENS1_29reduce_by_key_config_selectorIyjN6thrust23THRUST_200600_302600_NS4plusIjEEEEZZNS1_33reduce_by_key_impl_wrapped_configILNS1_25lookback_scan_determinismE0ES3_S9_NS6_6detail15normal_iteratorINS6_10device_ptrIyEEEENSD_INSE_IjEEEESG_SI_PmS8_NS6_8equal_toIyEEEE10hipError_tPvRmT2_T3_mT4_T5_T6_T7_T8_P12ihipStream_tbENKUlT_T0_E_clISt17integral_constantIbLb1EES13_EEDaSY_SZ_EUlSY_E_NS1_11comp_targetILNS1_3genE5ELNS1_11target_archE942ELNS1_3gpuE9ELNS1_3repE0EEENS1_30default_config_static_selectorELNS0_4arch9wavefront6targetE0EEEvT1_, .Lfunc_end707-_ZN7rocprim17ROCPRIM_400000_NS6detail17trampoline_kernelINS0_14default_configENS1_29reduce_by_key_config_selectorIyjN6thrust23THRUST_200600_302600_NS4plusIjEEEEZZNS1_33reduce_by_key_impl_wrapped_configILNS1_25lookback_scan_determinismE0ES3_S9_NS6_6detail15normal_iteratorINS6_10device_ptrIyEEEENSD_INSE_IjEEEESG_SI_PmS8_NS6_8equal_toIyEEEE10hipError_tPvRmT2_T3_mT4_T5_T6_T7_T8_P12ihipStream_tbENKUlT_T0_E_clISt17integral_constantIbLb1EES13_EEDaSY_SZ_EUlSY_E_NS1_11comp_targetILNS1_3genE5ELNS1_11target_archE942ELNS1_3gpuE9ELNS1_3repE0EEENS1_30default_config_static_selectorELNS0_4arch9wavefront6targetE0EEEvT1_
                                        ; -- End function
	.section	.AMDGPU.csdata,"",@progbits
; Kernel info:
; codeLenInByte = 0
; NumSgprs: 0
; NumVgprs: 0
; ScratchSize: 0
; MemoryBound: 0
; FloatMode: 240
; IeeeMode: 1
; LDSByteSize: 0 bytes/workgroup (compile time only)
; SGPRBlocks: 0
; VGPRBlocks: 0
; NumSGPRsForWavesPerEU: 1
; NumVGPRsForWavesPerEU: 1
; Occupancy: 16
; WaveLimiterHint : 0
; COMPUTE_PGM_RSRC2:SCRATCH_EN: 0
; COMPUTE_PGM_RSRC2:USER_SGPR: 15
; COMPUTE_PGM_RSRC2:TRAP_HANDLER: 0
; COMPUTE_PGM_RSRC2:TGID_X_EN: 1
; COMPUTE_PGM_RSRC2:TGID_Y_EN: 0
; COMPUTE_PGM_RSRC2:TGID_Z_EN: 0
; COMPUTE_PGM_RSRC2:TIDIG_COMP_CNT: 0
	.section	.text._ZN7rocprim17ROCPRIM_400000_NS6detail17trampoline_kernelINS0_14default_configENS1_29reduce_by_key_config_selectorIyjN6thrust23THRUST_200600_302600_NS4plusIjEEEEZZNS1_33reduce_by_key_impl_wrapped_configILNS1_25lookback_scan_determinismE0ES3_S9_NS6_6detail15normal_iteratorINS6_10device_ptrIyEEEENSD_INSE_IjEEEESG_SI_PmS8_NS6_8equal_toIyEEEE10hipError_tPvRmT2_T3_mT4_T5_T6_T7_T8_P12ihipStream_tbENKUlT_T0_E_clISt17integral_constantIbLb1EES13_EEDaSY_SZ_EUlSY_E_NS1_11comp_targetILNS1_3genE4ELNS1_11target_archE910ELNS1_3gpuE8ELNS1_3repE0EEENS1_30default_config_static_selectorELNS0_4arch9wavefront6targetE0EEEvT1_,"axG",@progbits,_ZN7rocprim17ROCPRIM_400000_NS6detail17trampoline_kernelINS0_14default_configENS1_29reduce_by_key_config_selectorIyjN6thrust23THRUST_200600_302600_NS4plusIjEEEEZZNS1_33reduce_by_key_impl_wrapped_configILNS1_25lookback_scan_determinismE0ES3_S9_NS6_6detail15normal_iteratorINS6_10device_ptrIyEEEENSD_INSE_IjEEEESG_SI_PmS8_NS6_8equal_toIyEEEE10hipError_tPvRmT2_T3_mT4_T5_T6_T7_T8_P12ihipStream_tbENKUlT_T0_E_clISt17integral_constantIbLb1EES13_EEDaSY_SZ_EUlSY_E_NS1_11comp_targetILNS1_3genE4ELNS1_11target_archE910ELNS1_3gpuE8ELNS1_3repE0EEENS1_30default_config_static_selectorELNS0_4arch9wavefront6targetE0EEEvT1_,comdat
	.protected	_ZN7rocprim17ROCPRIM_400000_NS6detail17trampoline_kernelINS0_14default_configENS1_29reduce_by_key_config_selectorIyjN6thrust23THRUST_200600_302600_NS4plusIjEEEEZZNS1_33reduce_by_key_impl_wrapped_configILNS1_25lookback_scan_determinismE0ES3_S9_NS6_6detail15normal_iteratorINS6_10device_ptrIyEEEENSD_INSE_IjEEEESG_SI_PmS8_NS6_8equal_toIyEEEE10hipError_tPvRmT2_T3_mT4_T5_T6_T7_T8_P12ihipStream_tbENKUlT_T0_E_clISt17integral_constantIbLb1EES13_EEDaSY_SZ_EUlSY_E_NS1_11comp_targetILNS1_3genE4ELNS1_11target_archE910ELNS1_3gpuE8ELNS1_3repE0EEENS1_30default_config_static_selectorELNS0_4arch9wavefront6targetE0EEEvT1_ ; -- Begin function _ZN7rocprim17ROCPRIM_400000_NS6detail17trampoline_kernelINS0_14default_configENS1_29reduce_by_key_config_selectorIyjN6thrust23THRUST_200600_302600_NS4plusIjEEEEZZNS1_33reduce_by_key_impl_wrapped_configILNS1_25lookback_scan_determinismE0ES3_S9_NS6_6detail15normal_iteratorINS6_10device_ptrIyEEEENSD_INSE_IjEEEESG_SI_PmS8_NS6_8equal_toIyEEEE10hipError_tPvRmT2_T3_mT4_T5_T6_T7_T8_P12ihipStream_tbENKUlT_T0_E_clISt17integral_constantIbLb1EES13_EEDaSY_SZ_EUlSY_E_NS1_11comp_targetILNS1_3genE4ELNS1_11target_archE910ELNS1_3gpuE8ELNS1_3repE0EEENS1_30default_config_static_selectorELNS0_4arch9wavefront6targetE0EEEvT1_
	.globl	_ZN7rocprim17ROCPRIM_400000_NS6detail17trampoline_kernelINS0_14default_configENS1_29reduce_by_key_config_selectorIyjN6thrust23THRUST_200600_302600_NS4plusIjEEEEZZNS1_33reduce_by_key_impl_wrapped_configILNS1_25lookback_scan_determinismE0ES3_S9_NS6_6detail15normal_iteratorINS6_10device_ptrIyEEEENSD_INSE_IjEEEESG_SI_PmS8_NS6_8equal_toIyEEEE10hipError_tPvRmT2_T3_mT4_T5_T6_T7_T8_P12ihipStream_tbENKUlT_T0_E_clISt17integral_constantIbLb1EES13_EEDaSY_SZ_EUlSY_E_NS1_11comp_targetILNS1_3genE4ELNS1_11target_archE910ELNS1_3gpuE8ELNS1_3repE0EEENS1_30default_config_static_selectorELNS0_4arch9wavefront6targetE0EEEvT1_
	.p2align	8
	.type	_ZN7rocprim17ROCPRIM_400000_NS6detail17trampoline_kernelINS0_14default_configENS1_29reduce_by_key_config_selectorIyjN6thrust23THRUST_200600_302600_NS4plusIjEEEEZZNS1_33reduce_by_key_impl_wrapped_configILNS1_25lookback_scan_determinismE0ES3_S9_NS6_6detail15normal_iteratorINS6_10device_ptrIyEEEENSD_INSE_IjEEEESG_SI_PmS8_NS6_8equal_toIyEEEE10hipError_tPvRmT2_T3_mT4_T5_T6_T7_T8_P12ihipStream_tbENKUlT_T0_E_clISt17integral_constantIbLb1EES13_EEDaSY_SZ_EUlSY_E_NS1_11comp_targetILNS1_3genE4ELNS1_11target_archE910ELNS1_3gpuE8ELNS1_3repE0EEENS1_30default_config_static_selectorELNS0_4arch9wavefront6targetE0EEEvT1_,@function
_ZN7rocprim17ROCPRIM_400000_NS6detail17trampoline_kernelINS0_14default_configENS1_29reduce_by_key_config_selectorIyjN6thrust23THRUST_200600_302600_NS4plusIjEEEEZZNS1_33reduce_by_key_impl_wrapped_configILNS1_25lookback_scan_determinismE0ES3_S9_NS6_6detail15normal_iteratorINS6_10device_ptrIyEEEENSD_INSE_IjEEEESG_SI_PmS8_NS6_8equal_toIyEEEE10hipError_tPvRmT2_T3_mT4_T5_T6_T7_T8_P12ihipStream_tbENKUlT_T0_E_clISt17integral_constantIbLb1EES13_EEDaSY_SZ_EUlSY_E_NS1_11comp_targetILNS1_3genE4ELNS1_11target_archE910ELNS1_3gpuE8ELNS1_3repE0EEENS1_30default_config_static_selectorELNS0_4arch9wavefront6targetE0EEEvT1_: ; @_ZN7rocprim17ROCPRIM_400000_NS6detail17trampoline_kernelINS0_14default_configENS1_29reduce_by_key_config_selectorIyjN6thrust23THRUST_200600_302600_NS4plusIjEEEEZZNS1_33reduce_by_key_impl_wrapped_configILNS1_25lookback_scan_determinismE0ES3_S9_NS6_6detail15normal_iteratorINS6_10device_ptrIyEEEENSD_INSE_IjEEEESG_SI_PmS8_NS6_8equal_toIyEEEE10hipError_tPvRmT2_T3_mT4_T5_T6_T7_T8_P12ihipStream_tbENKUlT_T0_E_clISt17integral_constantIbLb1EES13_EEDaSY_SZ_EUlSY_E_NS1_11comp_targetILNS1_3genE4ELNS1_11target_archE910ELNS1_3gpuE8ELNS1_3repE0EEENS1_30default_config_static_selectorELNS0_4arch9wavefront6targetE0EEEvT1_
; %bb.0:
	.section	.rodata,"a",@progbits
	.p2align	6, 0x0
	.amdhsa_kernel _ZN7rocprim17ROCPRIM_400000_NS6detail17trampoline_kernelINS0_14default_configENS1_29reduce_by_key_config_selectorIyjN6thrust23THRUST_200600_302600_NS4plusIjEEEEZZNS1_33reduce_by_key_impl_wrapped_configILNS1_25lookback_scan_determinismE0ES3_S9_NS6_6detail15normal_iteratorINS6_10device_ptrIyEEEENSD_INSE_IjEEEESG_SI_PmS8_NS6_8equal_toIyEEEE10hipError_tPvRmT2_T3_mT4_T5_T6_T7_T8_P12ihipStream_tbENKUlT_T0_E_clISt17integral_constantIbLb1EES13_EEDaSY_SZ_EUlSY_E_NS1_11comp_targetILNS1_3genE4ELNS1_11target_archE910ELNS1_3gpuE8ELNS1_3repE0EEENS1_30default_config_static_selectorELNS0_4arch9wavefront6targetE0EEEvT1_
		.amdhsa_group_segment_fixed_size 0
		.amdhsa_private_segment_fixed_size 0
		.amdhsa_kernarg_size 120
		.amdhsa_user_sgpr_count 15
		.amdhsa_user_sgpr_dispatch_ptr 0
		.amdhsa_user_sgpr_queue_ptr 0
		.amdhsa_user_sgpr_kernarg_segment_ptr 1
		.amdhsa_user_sgpr_dispatch_id 0
		.amdhsa_user_sgpr_private_segment_size 0
		.amdhsa_wavefront_size32 1
		.amdhsa_uses_dynamic_stack 0
		.amdhsa_enable_private_segment 0
		.amdhsa_system_sgpr_workgroup_id_x 1
		.amdhsa_system_sgpr_workgroup_id_y 0
		.amdhsa_system_sgpr_workgroup_id_z 0
		.amdhsa_system_sgpr_workgroup_info 0
		.amdhsa_system_vgpr_workitem_id 0
		.amdhsa_next_free_vgpr 1
		.amdhsa_next_free_sgpr 1
		.amdhsa_reserve_vcc 0
		.amdhsa_float_round_mode_32 0
		.amdhsa_float_round_mode_16_64 0
		.amdhsa_float_denorm_mode_32 3
		.amdhsa_float_denorm_mode_16_64 3
		.amdhsa_dx10_clamp 1
		.amdhsa_ieee_mode 1
		.amdhsa_fp16_overflow 0
		.amdhsa_workgroup_processor_mode 1
		.amdhsa_memory_ordered 1
		.amdhsa_forward_progress 0
		.amdhsa_shared_vgpr_count 0
		.amdhsa_exception_fp_ieee_invalid_op 0
		.amdhsa_exception_fp_denorm_src 0
		.amdhsa_exception_fp_ieee_div_zero 0
		.amdhsa_exception_fp_ieee_overflow 0
		.amdhsa_exception_fp_ieee_underflow 0
		.amdhsa_exception_fp_ieee_inexact 0
		.amdhsa_exception_int_div_zero 0
	.end_amdhsa_kernel
	.section	.text._ZN7rocprim17ROCPRIM_400000_NS6detail17trampoline_kernelINS0_14default_configENS1_29reduce_by_key_config_selectorIyjN6thrust23THRUST_200600_302600_NS4plusIjEEEEZZNS1_33reduce_by_key_impl_wrapped_configILNS1_25lookback_scan_determinismE0ES3_S9_NS6_6detail15normal_iteratorINS6_10device_ptrIyEEEENSD_INSE_IjEEEESG_SI_PmS8_NS6_8equal_toIyEEEE10hipError_tPvRmT2_T3_mT4_T5_T6_T7_T8_P12ihipStream_tbENKUlT_T0_E_clISt17integral_constantIbLb1EES13_EEDaSY_SZ_EUlSY_E_NS1_11comp_targetILNS1_3genE4ELNS1_11target_archE910ELNS1_3gpuE8ELNS1_3repE0EEENS1_30default_config_static_selectorELNS0_4arch9wavefront6targetE0EEEvT1_,"axG",@progbits,_ZN7rocprim17ROCPRIM_400000_NS6detail17trampoline_kernelINS0_14default_configENS1_29reduce_by_key_config_selectorIyjN6thrust23THRUST_200600_302600_NS4plusIjEEEEZZNS1_33reduce_by_key_impl_wrapped_configILNS1_25lookback_scan_determinismE0ES3_S9_NS6_6detail15normal_iteratorINS6_10device_ptrIyEEEENSD_INSE_IjEEEESG_SI_PmS8_NS6_8equal_toIyEEEE10hipError_tPvRmT2_T3_mT4_T5_T6_T7_T8_P12ihipStream_tbENKUlT_T0_E_clISt17integral_constantIbLb1EES13_EEDaSY_SZ_EUlSY_E_NS1_11comp_targetILNS1_3genE4ELNS1_11target_archE910ELNS1_3gpuE8ELNS1_3repE0EEENS1_30default_config_static_selectorELNS0_4arch9wavefront6targetE0EEEvT1_,comdat
.Lfunc_end708:
	.size	_ZN7rocprim17ROCPRIM_400000_NS6detail17trampoline_kernelINS0_14default_configENS1_29reduce_by_key_config_selectorIyjN6thrust23THRUST_200600_302600_NS4plusIjEEEEZZNS1_33reduce_by_key_impl_wrapped_configILNS1_25lookback_scan_determinismE0ES3_S9_NS6_6detail15normal_iteratorINS6_10device_ptrIyEEEENSD_INSE_IjEEEESG_SI_PmS8_NS6_8equal_toIyEEEE10hipError_tPvRmT2_T3_mT4_T5_T6_T7_T8_P12ihipStream_tbENKUlT_T0_E_clISt17integral_constantIbLb1EES13_EEDaSY_SZ_EUlSY_E_NS1_11comp_targetILNS1_3genE4ELNS1_11target_archE910ELNS1_3gpuE8ELNS1_3repE0EEENS1_30default_config_static_selectorELNS0_4arch9wavefront6targetE0EEEvT1_, .Lfunc_end708-_ZN7rocprim17ROCPRIM_400000_NS6detail17trampoline_kernelINS0_14default_configENS1_29reduce_by_key_config_selectorIyjN6thrust23THRUST_200600_302600_NS4plusIjEEEEZZNS1_33reduce_by_key_impl_wrapped_configILNS1_25lookback_scan_determinismE0ES3_S9_NS6_6detail15normal_iteratorINS6_10device_ptrIyEEEENSD_INSE_IjEEEESG_SI_PmS8_NS6_8equal_toIyEEEE10hipError_tPvRmT2_T3_mT4_T5_T6_T7_T8_P12ihipStream_tbENKUlT_T0_E_clISt17integral_constantIbLb1EES13_EEDaSY_SZ_EUlSY_E_NS1_11comp_targetILNS1_3genE4ELNS1_11target_archE910ELNS1_3gpuE8ELNS1_3repE0EEENS1_30default_config_static_selectorELNS0_4arch9wavefront6targetE0EEEvT1_
                                        ; -- End function
	.section	.AMDGPU.csdata,"",@progbits
; Kernel info:
; codeLenInByte = 0
; NumSgprs: 0
; NumVgprs: 0
; ScratchSize: 0
; MemoryBound: 0
; FloatMode: 240
; IeeeMode: 1
; LDSByteSize: 0 bytes/workgroup (compile time only)
; SGPRBlocks: 0
; VGPRBlocks: 0
; NumSGPRsForWavesPerEU: 1
; NumVGPRsForWavesPerEU: 1
; Occupancy: 16
; WaveLimiterHint : 0
; COMPUTE_PGM_RSRC2:SCRATCH_EN: 0
; COMPUTE_PGM_RSRC2:USER_SGPR: 15
; COMPUTE_PGM_RSRC2:TRAP_HANDLER: 0
; COMPUTE_PGM_RSRC2:TGID_X_EN: 1
; COMPUTE_PGM_RSRC2:TGID_Y_EN: 0
; COMPUTE_PGM_RSRC2:TGID_Z_EN: 0
; COMPUTE_PGM_RSRC2:TIDIG_COMP_CNT: 0
	.section	.text._ZN7rocprim17ROCPRIM_400000_NS6detail17trampoline_kernelINS0_14default_configENS1_29reduce_by_key_config_selectorIyjN6thrust23THRUST_200600_302600_NS4plusIjEEEEZZNS1_33reduce_by_key_impl_wrapped_configILNS1_25lookback_scan_determinismE0ES3_S9_NS6_6detail15normal_iteratorINS6_10device_ptrIyEEEENSD_INSE_IjEEEESG_SI_PmS8_NS6_8equal_toIyEEEE10hipError_tPvRmT2_T3_mT4_T5_T6_T7_T8_P12ihipStream_tbENKUlT_T0_E_clISt17integral_constantIbLb1EES13_EEDaSY_SZ_EUlSY_E_NS1_11comp_targetILNS1_3genE3ELNS1_11target_archE908ELNS1_3gpuE7ELNS1_3repE0EEENS1_30default_config_static_selectorELNS0_4arch9wavefront6targetE0EEEvT1_,"axG",@progbits,_ZN7rocprim17ROCPRIM_400000_NS6detail17trampoline_kernelINS0_14default_configENS1_29reduce_by_key_config_selectorIyjN6thrust23THRUST_200600_302600_NS4plusIjEEEEZZNS1_33reduce_by_key_impl_wrapped_configILNS1_25lookback_scan_determinismE0ES3_S9_NS6_6detail15normal_iteratorINS6_10device_ptrIyEEEENSD_INSE_IjEEEESG_SI_PmS8_NS6_8equal_toIyEEEE10hipError_tPvRmT2_T3_mT4_T5_T6_T7_T8_P12ihipStream_tbENKUlT_T0_E_clISt17integral_constantIbLb1EES13_EEDaSY_SZ_EUlSY_E_NS1_11comp_targetILNS1_3genE3ELNS1_11target_archE908ELNS1_3gpuE7ELNS1_3repE0EEENS1_30default_config_static_selectorELNS0_4arch9wavefront6targetE0EEEvT1_,comdat
	.protected	_ZN7rocprim17ROCPRIM_400000_NS6detail17trampoline_kernelINS0_14default_configENS1_29reduce_by_key_config_selectorIyjN6thrust23THRUST_200600_302600_NS4plusIjEEEEZZNS1_33reduce_by_key_impl_wrapped_configILNS1_25lookback_scan_determinismE0ES3_S9_NS6_6detail15normal_iteratorINS6_10device_ptrIyEEEENSD_INSE_IjEEEESG_SI_PmS8_NS6_8equal_toIyEEEE10hipError_tPvRmT2_T3_mT4_T5_T6_T7_T8_P12ihipStream_tbENKUlT_T0_E_clISt17integral_constantIbLb1EES13_EEDaSY_SZ_EUlSY_E_NS1_11comp_targetILNS1_3genE3ELNS1_11target_archE908ELNS1_3gpuE7ELNS1_3repE0EEENS1_30default_config_static_selectorELNS0_4arch9wavefront6targetE0EEEvT1_ ; -- Begin function _ZN7rocprim17ROCPRIM_400000_NS6detail17trampoline_kernelINS0_14default_configENS1_29reduce_by_key_config_selectorIyjN6thrust23THRUST_200600_302600_NS4plusIjEEEEZZNS1_33reduce_by_key_impl_wrapped_configILNS1_25lookback_scan_determinismE0ES3_S9_NS6_6detail15normal_iteratorINS6_10device_ptrIyEEEENSD_INSE_IjEEEESG_SI_PmS8_NS6_8equal_toIyEEEE10hipError_tPvRmT2_T3_mT4_T5_T6_T7_T8_P12ihipStream_tbENKUlT_T0_E_clISt17integral_constantIbLb1EES13_EEDaSY_SZ_EUlSY_E_NS1_11comp_targetILNS1_3genE3ELNS1_11target_archE908ELNS1_3gpuE7ELNS1_3repE0EEENS1_30default_config_static_selectorELNS0_4arch9wavefront6targetE0EEEvT1_
	.globl	_ZN7rocprim17ROCPRIM_400000_NS6detail17trampoline_kernelINS0_14default_configENS1_29reduce_by_key_config_selectorIyjN6thrust23THRUST_200600_302600_NS4plusIjEEEEZZNS1_33reduce_by_key_impl_wrapped_configILNS1_25lookback_scan_determinismE0ES3_S9_NS6_6detail15normal_iteratorINS6_10device_ptrIyEEEENSD_INSE_IjEEEESG_SI_PmS8_NS6_8equal_toIyEEEE10hipError_tPvRmT2_T3_mT4_T5_T6_T7_T8_P12ihipStream_tbENKUlT_T0_E_clISt17integral_constantIbLb1EES13_EEDaSY_SZ_EUlSY_E_NS1_11comp_targetILNS1_3genE3ELNS1_11target_archE908ELNS1_3gpuE7ELNS1_3repE0EEENS1_30default_config_static_selectorELNS0_4arch9wavefront6targetE0EEEvT1_
	.p2align	8
	.type	_ZN7rocprim17ROCPRIM_400000_NS6detail17trampoline_kernelINS0_14default_configENS1_29reduce_by_key_config_selectorIyjN6thrust23THRUST_200600_302600_NS4plusIjEEEEZZNS1_33reduce_by_key_impl_wrapped_configILNS1_25lookback_scan_determinismE0ES3_S9_NS6_6detail15normal_iteratorINS6_10device_ptrIyEEEENSD_INSE_IjEEEESG_SI_PmS8_NS6_8equal_toIyEEEE10hipError_tPvRmT2_T3_mT4_T5_T6_T7_T8_P12ihipStream_tbENKUlT_T0_E_clISt17integral_constantIbLb1EES13_EEDaSY_SZ_EUlSY_E_NS1_11comp_targetILNS1_3genE3ELNS1_11target_archE908ELNS1_3gpuE7ELNS1_3repE0EEENS1_30default_config_static_selectorELNS0_4arch9wavefront6targetE0EEEvT1_,@function
_ZN7rocprim17ROCPRIM_400000_NS6detail17trampoline_kernelINS0_14default_configENS1_29reduce_by_key_config_selectorIyjN6thrust23THRUST_200600_302600_NS4plusIjEEEEZZNS1_33reduce_by_key_impl_wrapped_configILNS1_25lookback_scan_determinismE0ES3_S9_NS6_6detail15normal_iteratorINS6_10device_ptrIyEEEENSD_INSE_IjEEEESG_SI_PmS8_NS6_8equal_toIyEEEE10hipError_tPvRmT2_T3_mT4_T5_T6_T7_T8_P12ihipStream_tbENKUlT_T0_E_clISt17integral_constantIbLb1EES13_EEDaSY_SZ_EUlSY_E_NS1_11comp_targetILNS1_3genE3ELNS1_11target_archE908ELNS1_3gpuE7ELNS1_3repE0EEENS1_30default_config_static_selectorELNS0_4arch9wavefront6targetE0EEEvT1_: ; @_ZN7rocprim17ROCPRIM_400000_NS6detail17trampoline_kernelINS0_14default_configENS1_29reduce_by_key_config_selectorIyjN6thrust23THRUST_200600_302600_NS4plusIjEEEEZZNS1_33reduce_by_key_impl_wrapped_configILNS1_25lookback_scan_determinismE0ES3_S9_NS6_6detail15normal_iteratorINS6_10device_ptrIyEEEENSD_INSE_IjEEEESG_SI_PmS8_NS6_8equal_toIyEEEE10hipError_tPvRmT2_T3_mT4_T5_T6_T7_T8_P12ihipStream_tbENKUlT_T0_E_clISt17integral_constantIbLb1EES13_EEDaSY_SZ_EUlSY_E_NS1_11comp_targetILNS1_3genE3ELNS1_11target_archE908ELNS1_3gpuE7ELNS1_3repE0EEENS1_30default_config_static_selectorELNS0_4arch9wavefront6targetE0EEEvT1_
; %bb.0:
	.section	.rodata,"a",@progbits
	.p2align	6, 0x0
	.amdhsa_kernel _ZN7rocprim17ROCPRIM_400000_NS6detail17trampoline_kernelINS0_14default_configENS1_29reduce_by_key_config_selectorIyjN6thrust23THRUST_200600_302600_NS4plusIjEEEEZZNS1_33reduce_by_key_impl_wrapped_configILNS1_25lookback_scan_determinismE0ES3_S9_NS6_6detail15normal_iteratorINS6_10device_ptrIyEEEENSD_INSE_IjEEEESG_SI_PmS8_NS6_8equal_toIyEEEE10hipError_tPvRmT2_T3_mT4_T5_T6_T7_T8_P12ihipStream_tbENKUlT_T0_E_clISt17integral_constantIbLb1EES13_EEDaSY_SZ_EUlSY_E_NS1_11comp_targetILNS1_3genE3ELNS1_11target_archE908ELNS1_3gpuE7ELNS1_3repE0EEENS1_30default_config_static_selectorELNS0_4arch9wavefront6targetE0EEEvT1_
		.amdhsa_group_segment_fixed_size 0
		.amdhsa_private_segment_fixed_size 0
		.amdhsa_kernarg_size 120
		.amdhsa_user_sgpr_count 15
		.amdhsa_user_sgpr_dispatch_ptr 0
		.amdhsa_user_sgpr_queue_ptr 0
		.amdhsa_user_sgpr_kernarg_segment_ptr 1
		.amdhsa_user_sgpr_dispatch_id 0
		.amdhsa_user_sgpr_private_segment_size 0
		.amdhsa_wavefront_size32 1
		.amdhsa_uses_dynamic_stack 0
		.amdhsa_enable_private_segment 0
		.amdhsa_system_sgpr_workgroup_id_x 1
		.amdhsa_system_sgpr_workgroup_id_y 0
		.amdhsa_system_sgpr_workgroup_id_z 0
		.amdhsa_system_sgpr_workgroup_info 0
		.amdhsa_system_vgpr_workitem_id 0
		.amdhsa_next_free_vgpr 1
		.amdhsa_next_free_sgpr 1
		.amdhsa_reserve_vcc 0
		.amdhsa_float_round_mode_32 0
		.amdhsa_float_round_mode_16_64 0
		.amdhsa_float_denorm_mode_32 3
		.amdhsa_float_denorm_mode_16_64 3
		.amdhsa_dx10_clamp 1
		.amdhsa_ieee_mode 1
		.amdhsa_fp16_overflow 0
		.amdhsa_workgroup_processor_mode 1
		.amdhsa_memory_ordered 1
		.amdhsa_forward_progress 0
		.amdhsa_shared_vgpr_count 0
		.amdhsa_exception_fp_ieee_invalid_op 0
		.amdhsa_exception_fp_denorm_src 0
		.amdhsa_exception_fp_ieee_div_zero 0
		.amdhsa_exception_fp_ieee_overflow 0
		.amdhsa_exception_fp_ieee_underflow 0
		.amdhsa_exception_fp_ieee_inexact 0
		.amdhsa_exception_int_div_zero 0
	.end_amdhsa_kernel
	.section	.text._ZN7rocprim17ROCPRIM_400000_NS6detail17trampoline_kernelINS0_14default_configENS1_29reduce_by_key_config_selectorIyjN6thrust23THRUST_200600_302600_NS4plusIjEEEEZZNS1_33reduce_by_key_impl_wrapped_configILNS1_25lookback_scan_determinismE0ES3_S9_NS6_6detail15normal_iteratorINS6_10device_ptrIyEEEENSD_INSE_IjEEEESG_SI_PmS8_NS6_8equal_toIyEEEE10hipError_tPvRmT2_T3_mT4_T5_T6_T7_T8_P12ihipStream_tbENKUlT_T0_E_clISt17integral_constantIbLb1EES13_EEDaSY_SZ_EUlSY_E_NS1_11comp_targetILNS1_3genE3ELNS1_11target_archE908ELNS1_3gpuE7ELNS1_3repE0EEENS1_30default_config_static_selectorELNS0_4arch9wavefront6targetE0EEEvT1_,"axG",@progbits,_ZN7rocprim17ROCPRIM_400000_NS6detail17trampoline_kernelINS0_14default_configENS1_29reduce_by_key_config_selectorIyjN6thrust23THRUST_200600_302600_NS4plusIjEEEEZZNS1_33reduce_by_key_impl_wrapped_configILNS1_25lookback_scan_determinismE0ES3_S9_NS6_6detail15normal_iteratorINS6_10device_ptrIyEEEENSD_INSE_IjEEEESG_SI_PmS8_NS6_8equal_toIyEEEE10hipError_tPvRmT2_T3_mT4_T5_T6_T7_T8_P12ihipStream_tbENKUlT_T0_E_clISt17integral_constantIbLb1EES13_EEDaSY_SZ_EUlSY_E_NS1_11comp_targetILNS1_3genE3ELNS1_11target_archE908ELNS1_3gpuE7ELNS1_3repE0EEENS1_30default_config_static_selectorELNS0_4arch9wavefront6targetE0EEEvT1_,comdat
.Lfunc_end709:
	.size	_ZN7rocprim17ROCPRIM_400000_NS6detail17trampoline_kernelINS0_14default_configENS1_29reduce_by_key_config_selectorIyjN6thrust23THRUST_200600_302600_NS4plusIjEEEEZZNS1_33reduce_by_key_impl_wrapped_configILNS1_25lookback_scan_determinismE0ES3_S9_NS6_6detail15normal_iteratorINS6_10device_ptrIyEEEENSD_INSE_IjEEEESG_SI_PmS8_NS6_8equal_toIyEEEE10hipError_tPvRmT2_T3_mT4_T5_T6_T7_T8_P12ihipStream_tbENKUlT_T0_E_clISt17integral_constantIbLb1EES13_EEDaSY_SZ_EUlSY_E_NS1_11comp_targetILNS1_3genE3ELNS1_11target_archE908ELNS1_3gpuE7ELNS1_3repE0EEENS1_30default_config_static_selectorELNS0_4arch9wavefront6targetE0EEEvT1_, .Lfunc_end709-_ZN7rocprim17ROCPRIM_400000_NS6detail17trampoline_kernelINS0_14default_configENS1_29reduce_by_key_config_selectorIyjN6thrust23THRUST_200600_302600_NS4plusIjEEEEZZNS1_33reduce_by_key_impl_wrapped_configILNS1_25lookback_scan_determinismE0ES3_S9_NS6_6detail15normal_iteratorINS6_10device_ptrIyEEEENSD_INSE_IjEEEESG_SI_PmS8_NS6_8equal_toIyEEEE10hipError_tPvRmT2_T3_mT4_T5_T6_T7_T8_P12ihipStream_tbENKUlT_T0_E_clISt17integral_constantIbLb1EES13_EEDaSY_SZ_EUlSY_E_NS1_11comp_targetILNS1_3genE3ELNS1_11target_archE908ELNS1_3gpuE7ELNS1_3repE0EEENS1_30default_config_static_selectorELNS0_4arch9wavefront6targetE0EEEvT1_
                                        ; -- End function
	.section	.AMDGPU.csdata,"",@progbits
; Kernel info:
; codeLenInByte = 0
; NumSgprs: 0
; NumVgprs: 0
; ScratchSize: 0
; MemoryBound: 0
; FloatMode: 240
; IeeeMode: 1
; LDSByteSize: 0 bytes/workgroup (compile time only)
; SGPRBlocks: 0
; VGPRBlocks: 0
; NumSGPRsForWavesPerEU: 1
; NumVGPRsForWavesPerEU: 1
; Occupancy: 16
; WaveLimiterHint : 0
; COMPUTE_PGM_RSRC2:SCRATCH_EN: 0
; COMPUTE_PGM_RSRC2:USER_SGPR: 15
; COMPUTE_PGM_RSRC2:TRAP_HANDLER: 0
; COMPUTE_PGM_RSRC2:TGID_X_EN: 1
; COMPUTE_PGM_RSRC2:TGID_Y_EN: 0
; COMPUTE_PGM_RSRC2:TGID_Z_EN: 0
; COMPUTE_PGM_RSRC2:TIDIG_COMP_CNT: 0
	.section	.text._ZN7rocprim17ROCPRIM_400000_NS6detail17trampoline_kernelINS0_14default_configENS1_29reduce_by_key_config_selectorIyjN6thrust23THRUST_200600_302600_NS4plusIjEEEEZZNS1_33reduce_by_key_impl_wrapped_configILNS1_25lookback_scan_determinismE0ES3_S9_NS6_6detail15normal_iteratorINS6_10device_ptrIyEEEENSD_INSE_IjEEEESG_SI_PmS8_NS6_8equal_toIyEEEE10hipError_tPvRmT2_T3_mT4_T5_T6_T7_T8_P12ihipStream_tbENKUlT_T0_E_clISt17integral_constantIbLb1EES13_EEDaSY_SZ_EUlSY_E_NS1_11comp_targetILNS1_3genE2ELNS1_11target_archE906ELNS1_3gpuE6ELNS1_3repE0EEENS1_30default_config_static_selectorELNS0_4arch9wavefront6targetE0EEEvT1_,"axG",@progbits,_ZN7rocprim17ROCPRIM_400000_NS6detail17trampoline_kernelINS0_14default_configENS1_29reduce_by_key_config_selectorIyjN6thrust23THRUST_200600_302600_NS4plusIjEEEEZZNS1_33reduce_by_key_impl_wrapped_configILNS1_25lookback_scan_determinismE0ES3_S9_NS6_6detail15normal_iteratorINS6_10device_ptrIyEEEENSD_INSE_IjEEEESG_SI_PmS8_NS6_8equal_toIyEEEE10hipError_tPvRmT2_T3_mT4_T5_T6_T7_T8_P12ihipStream_tbENKUlT_T0_E_clISt17integral_constantIbLb1EES13_EEDaSY_SZ_EUlSY_E_NS1_11comp_targetILNS1_3genE2ELNS1_11target_archE906ELNS1_3gpuE6ELNS1_3repE0EEENS1_30default_config_static_selectorELNS0_4arch9wavefront6targetE0EEEvT1_,comdat
	.protected	_ZN7rocprim17ROCPRIM_400000_NS6detail17trampoline_kernelINS0_14default_configENS1_29reduce_by_key_config_selectorIyjN6thrust23THRUST_200600_302600_NS4plusIjEEEEZZNS1_33reduce_by_key_impl_wrapped_configILNS1_25lookback_scan_determinismE0ES3_S9_NS6_6detail15normal_iteratorINS6_10device_ptrIyEEEENSD_INSE_IjEEEESG_SI_PmS8_NS6_8equal_toIyEEEE10hipError_tPvRmT2_T3_mT4_T5_T6_T7_T8_P12ihipStream_tbENKUlT_T0_E_clISt17integral_constantIbLb1EES13_EEDaSY_SZ_EUlSY_E_NS1_11comp_targetILNS1_3genE2ELNS1_11target_archE906ELNS1_3gpuE6ELNS1_3repE0EEENS1_30default_config_static_selectorELNS0_4arch9wavefront6targetE0EEEvT1_ ; -- Begin function _ZN7rocprim17ROCPRIM_400000_NS6detail17trampoline_kernelINS0_14default_configENS1_29reduce_by_key_config_selectorIyjN6thrust23THRUST_200600_302600_NS4plusIjEEEEZZNS1_33reduce_by_key_impl_wrapped_configILNS1_25lookback_scan_determinismE0ES3_S9_NS6_6detail15normal_iteratorINS6_10device_ptrIyEEEENSD_INSE_IjEEEESG_SI_PmS8_NS6_8equal_toIyEEEE10hipError_tPvRmT2_T3_mT4_T5_T6_T7_T8_P12ihipStream_tbENKUlT_T0_E_clISt17integral_constantIbLb1EES13_EEDaSY_SZ_EUlSY_E_NS1_11comp_targetILNS1_3genE2ELNS1_11target_archE906ELNS1_3gpuE6ELNS1_3repE0EEENS1_30default_config_static_selectorELNS0_4arch9wavefront6targetE0EEEvT1_
	.globl	_ZN7rocprim17ROCPRIM_400000_NS6detail17trampoline_kernelINS0_14default_configENS1_29reduce_by_key_config_selectorIyjN6thrust23THRUST_200600_302600_NS4plusIjEEEEZZNS1_33reduce_by_key_impl_wrapped_configILNS1_25lookback_scan_determinismE0ES3_S9_NS6_6detail15normal_iteratorINS6_10device_ptrIyEEEENSD_INSE_IjEEEESG_SI_PmS8_NS6_8equal_toIyEEEE10hipError_tPvRmT2_T3_mT4_T5_T6_T7_T8_P12ihipStream_tbENKUlT_T0_E_clISt17integral_constantIbLb1EES13_EEDaSY_SZ_EUlSY_E_NS1_11comp_targetILNS1_3genE2ELNS1_11target_archE906ELNS1_3gpuE6ELNS1_3repE0EEENS1_30default_config_static_selectorELNS0_4arch9wavefront6targetE0EEEvT1_
	.p2align	8
	.type	_ZN7rocprim17ROCPRIM_400000_NS6detail17trampoline_kernelINS0_14default_configENS1_29reduce_by_key_config_selectorIyjN6thrust23THRUST_200600_302600_NS4plusIjEEEEZZNS1_33reduce_by_key_impl_wrapped_configILNS1_25lookback_scan_determinismE0ES3_S9_NS6_6detail15normal_iteratorINS6_10device_ptrIyEEEENSD_INSE_IjEEEESG_SI_PmS8_NS6_8equal_toIyEEEE10hipError_tPvRmT2_T3_mT4_T5_T6_T7_T8_P12ihipStream_tbENKUlT_T0_E_clISt17integral_constantIbLb1EES13_EEDaSY_SZ_EUlSY_E_NS1_11comp_targetILNS1_3genE2ELNS1_11target_archE906ELNS1_3gpuE6ELNS1_3repE0EEENS1_30default_config_static_selectorELNS0_4arch9wavefront6targetE0EEEvT1_,@function
_ZN7rocprim17ROCPRIM_400000_NS6detail17trampoline_kernelINS0_14default_configENS1_29reduce_by_key_config_selectorIyjN6thrust23THRUST_200600_302600_NS4plusIjEEEEZZNS1_33reduce_by_key_impl_wrapped_configILNS1_25lookback_scan_determinismE0ES3_S9_NS6_6detail15normal_iteratorINS6_10device_ptrIyEEEENSD_INSE_IjEEEESG_SI_PmS8_NS6_8equal_toIyEEEE10hipError_tPvRmT2_T3_mT4_T5_T6_T7_T8_P12ihipStream_tbENKUlT_T0_E_clISt17integral_constantIbLb1EES13_EEDaSY_SZ_EUlSY_E_NS1_11comp_targetILNS1_3genE2ELNS1_11target_archE906ELNS1_3gpuE6ELNS1_3repE0EEENS1_30default_config_static_selectorELNS0_4arch9wavefront6targetE0EEEvT1_: ; @_ZN7rocprim17ROCPRIM_400000_NS6detail17trampoline_kernelINS0_14default_configENS1_29reduce_by_key_config_selectorIyjN6thrust23THRUST_200600_302600_NS4plusIjEEEEZZNS1_33reduce_by_key_impl_wrapped_configILNS1_25lookback_scan_determinismE0ES3_S9_NS6_6detail15normal_iteratorINS6_10device_ptrIyEEEENSD_INSE_IjEEEESG_SI_PmS8_NS6_8equal_toIyEEEE10hipError_tPvRmT2_T3_mT4_T5_T6_T7_T8_P12ihipStream_tbENKUlT_T0_E_clISt17integral_constantIbLb1EES13_EEDaSY_SZ_EUlSY_E_NS1_11comp_targetILNS1_3genE2ELNS1_11target_archE906ELNS1_3gpuE6ELNS1_3repE0EEENS1_30default_config_static_selectorELNS0_4arch9wavefront6targetE0EEEvT1_
; %bb.0:
	.section	.rodata,"a",@progbits
	.p2align	6, 0x0
	.amdhsa_kernel _ZN7rocprim17ROCPRIM_400000_NS6detail17trampoline_kernelINS0_14default_configENS1_29reduce_by_key_config_selectorIyjN6thrust23THRUST_200600_302600_NS4plusIjEEEEZZNS1_33reduce_by_key_impl_wrapped_configILNS1_25lookback_scan_determinismE0ES3_S9_NS6_6detail15normal_iteratorINS6_10device_ptrIyEEEENSD_INSE_IjEEEESG_SI_PmS8_NS6_8equal_toIyEEEE10hipError_tPvRmT2_T3_mT4_T5_T6_T7_T8_P12ihipStream_tbENKUlT_T0_E_clISt17integral_constantIbLb1EES13_EEDaSY_SZ_EUlSY_E_NS1_11comp_targetILNS1_3genE2ELNS1_11target_archE906ELNS1_3gpuE6ELNS1_3repE0EEENS1_30default_config_static_selectorELNS0_4arch9wavefront6targetE0EEEvT1_
		.amdhsa_group_segment_fixed_size 0
		.amdhsa_private_segment_fixed_size 0
		.amdhsa_kernarg_size 120
		.amdhsa_user_sgpr_count 15
		.amdhsa_user_sgpr_dispatch_ptr 0
		.amdhsa_user_sgpr_queue_ptr 0
		.amdhsa_user_sgpr_kernarg_segment_ptr 1
		.amdhsa_user_sgpr_dispatch_id 0
		.amdhsa_user_sgpr_private_segment_size 0
		.amdhsa_wavefront_size32 1
		.amdhsa_uses_dynamic_stack 0
		.amdhsa_enable_private_segment 0
		.amdhsa_system_sgpr_workgroup_id_x 1
		.amdhsa_system_sgpr_workgroup_id_y 0
		.amdhsa_system_sgpr_workgroup_id_z 0
		.amdhsa_system_sgpr_workgroup_info 0
		.amdhsa_system_vgpr_workitem_id 0
		.amdhsa_next_free_vgpr 1
		.amdhsa_next_free_sgpr 1
		.amdhsa_reserve_vcc 0
		.amdhsa_float_round_mode_32 0
		.amdhsa_float_round_mode_16_64 0
		.amdhsa_float_denorm_mode_32 3
		.amdhsa_float_denorm_mode_16_64 3
		.amdhsa_dx10_clamp 1
		.amdhsa_ieee_mode 1
		.amdhsa_fp16_overflow 0
		.amdhsa_workgroup_processor_mode 1
		.amdhsa_memory_ordered 1
		.amdhsa_forward_progress 0
		.amdhsa_shared_vgpr_count 0
		.amdhsa_exception_fp_ieee_invalid_op 0
		.amdhsa_exception_fp_denorm_src 0
		.amdhsa_exception_fp_ieee_div_zero 0
		.amdhsa_exception_fp_ieee_overflow 0
		.amdhsa_exception_fp_ieee_underflow 0
		.amdhsa_exception_fp_ieee_inexact 0
		.amdhsa_exception_int_div_zero 0
	.end_amdhsa_kernel
	.section	.text._ZN7rocprim17ROCPRIM_400000_NS6detail17trampoline_kernelINS0_14default_configENS1_29reduce_by_key_config_selectorIyjN6thrust23THRUST_200600_302600_NS4plusIjEEEEZZNS1_33reduce_by_key_impl_wrapped_configILNS1_25lookback_scan_determinismE0ES3_S9_NS6_6detail15normal_iteratorINS6_10device_ptrIyEEEENSD_INSE_IjEEEESG_SI_PmS8_NS6_8equal_toIyEEEE10hipError_tPvRmT2_T3_mT4_T5_T6_T7_T8_P12ihipStream_tbENKUlT_T0_E_clISt17integral_constantIbLb1EES13_EEDaSY_SZ_EUlSY_E_NS1_11comp_targetILNS1_3genE2ELNS1_11target_archE906ELNS1_3gpuE6ELNS1_3repE0EEENS1_30default_config_static_selectorELNS0_4arch9wavefront6targetE0EEEvT1_,"axG",@progbits,_ZN7rocprim17ROCPRIM_400000_NS6detail17trampoline_kernelINS0_14default_configENS1_29reduce_by_key_config_selectorIyjN6thrust23THRUST_200600_302600_NS4plusIjEEEEZZNS1_33reduce_by_key_impl_wrapped_configILNS1_25lookback_scan_determinismE0ES3_S9_NS6_6detail15normal_iteratorINS6_10device_ptrIyEEEENSD_INSE_IjEEEESG_SI_PmS8_NS6_8equal_toIyEEEE10hipError_tPvRmT2_T3_mT4_T5_T6_T7_T8_P12ihipStream_tbENKUlT_T0_E_clISt17integral_constantIbLb1EES13_EEDaSY_SZ_EUlSY_E_NS1_11comp_targetILNS1_3genE2ELNS1_11target_archE906ELNS1_3gpuE6ELNS1_3repE0EEENS1_30default_config_static_selectorELNS0_4arch9wavefront6targetE0EEEvT1_,comdat
.Lfunc_end710:
	.size	_ZN7rocprim17ROCPRIM_400000_NS6detail17trampoline_kernelINS0_14default_configENS1_29reduce_by_key_config_selectorIyjN6thrust23THRUST_200600_302600_NS4plusIjEEEEZZNS1_33reduce_by_key_impl_wrapped_configILNS1_25lookback_scan_determinismE0ES3_S9_NS6_6detail15normal_iteratorINS6_10device_ptrIyEEEENSD_INSE_IjEEEESG_SI_PmS8_NS6_8equal_toIyEEEE10hipError_tPvRmT2_T3_mT4_T5_T6_T7_T8_P12ihipStream_tbENKUlT_T0_E_clISt17integral_constantIbLb1EES13_EEDaSY_SZ_EUlSY_E_NS1_11comp_targetILNS1_3genE2ELNS1_11target_archE906ELNS1_3gpuE6ELNS1_3repE0EEENS1_30default_config_static_selectorELNS0_4arch9wavefront6targetE0EEEvT1_, .Lfunc_end710-_ZN7rocprim17ROCPRIM_400000_NS6detail17trampoline_kernelINS0_14default_configENS1_29reduce_by_key_config_selectorIyjN6thrust23THRUST_200600_302600_NS4plusIjEEEEZZNS1_33reduce_by_key_impl_wrapped_configILNS1_25lookback_scan_determinismE0ES3_S9_NS6_6detail15normal_iteratorINS6_10device_ptrIyEEEENSD_INSE_IjEEEESG_SI_PmS8_NS6_8equal_toIyEEEE10hipError_tPvRmT2_T3_mT4_T5_T6_T7_T8_P12ihipStream_tbENKUlT_T0_E_clISt17integral_constantIbLb1EES13_EEDaSY_SZ_EUlSY_E_NS1_11comp_targetILNS1_3genE2ELNS1_11target_archE906ELNS1_3gpuE6ELNS1_3repE0EEENS1_30default_config_static_selectorELNS0_4arch9wavefront6targetE0EEEvT1_
                                        ; -- End function
	.section	.AMDGPU.csdata,"",@progbits
; Kernel info:
; codeLenInByte = 0
; NumSgprs: 0
; NumVgprs: 0
; ScratchSize: 0
; MemoryBound: 0
; FloatMode: 240
; IeeeMode: 1
; LDSByteSize: 0 bytes/workgroup (compile time only)
; SGPRBlocks: 0
; VGPRBlocks: 0
; NumSGPRsForWavesPerEU: 1
; NumVGPRsForWavesPerEU: 1
; Occupancy: 16
; WaveLimiterHint : 0
; COMPUTE_PGM_RSRC2:SCRATCH_EN: 0
; COMPUTE_PGM_RSRC2:USER_SGPR: 15
; COMPUTE_PGM_RSRC2:TRAP_HANDLER: 0
; COMPUTE_PGM_RSRC2:TGID_X_EN: 1
; COMPUTE_PGM_RSRC2:TGID_Y_EN: 0
; COMPUTE_PGM_RSRC2:TGID_Z_EN: 0
; COMPUTE_PGM_RSRC2:TIDIG_COMP_CNT: 0
	.section	.text._ZN7rocprim17ROCPRIM_400000_NS6detail17trampoline_kernelINS0_14default_configENS1_29reduce_by_key_config_selectorIyjN6thrust23THRUST_200600_302600_NS4plusIjEEEEZZNS1_33reduce_by_key_impl_wrapped_configILNS1_25lookback_scan_determinismE0ES3_S9_NS6_6detail15normal_iteratorINS6_10device_ptrIyEEEENSD_INSE_IjEEEESG_SI_PmS8_NS6_8equal_toIyEEEE10hipError_tPvRmT2_T3_mT4_T5_T6_T7_T8_P12ihipStream_tbENKUlT_T0_E_clISt17integral_constantIbLb1EES13_EEDaSY_SZ_EUlSY_E_NS1_11comp_targetILNS1_3genE10ELNS1_11target_archE1201ELNS1_3gpuE5ELNS1_3repE0EEENS1_30default_config_static_selectorELNS0_4arch9wavefront6targetE0EEEvT1_,"axG",@progbits,_ZN7rocprim17ROCPRIM_400000_NS6detail17trampoline_kernelINS0_14default_configENS1_29reduce_by_key_config_selectorIyjN6thrust23THRUST_200600_302600_NS4plusIjEEEEZZNS1_33reduce_by_key_impl_wrapped_configILNS1_25lookback_scan_determinismE0ES3_S9_NS6_6detail15normal_iteratorINS6_10device_ptrIyEEEENSD_INSE_IjEEEESG_SI_PmS8_NS6_8equal_toIyEEEE10hipError_tPvRmT2_T3_mT4_T5_T6_T7_T8_P12ihipStream_tbENKUlT_T0_E_clISt17integral_constantIbLb1EES13_EEDaSY_SZ_EUlSY_E_NS1_11comp_targetILNS1_3genE10ELNS1_11target_archE1201ELNS1_3gpuE5ELNS1_3repE0EEENS1_30default_config_static_selectorELNS0_4arch9wavefront6targetE0EEEvT1_,comdat
	.protected	_ZN7rocprim17ROCPRIM_400000_NS6detail17trampoline_kernelINS0_14default_configENS1_29reduce_by_key_config_selectorIyjN6thrust23THRUST_200600_302600_NS4plusIjEEEEZZNS1_33reduce_by_key_impl_wrapped_configILNS1_25lookback_scan_determinismE0ES3_S9_NS6_6detail15normal_iteratorINS6_10device_ptrIyEEEENSD_INSE_IjEEEESG_SI_PmS8_NS6_8equal_toIyEEEE10hipError_tPvRmT2_T3_mT4_T5_T6_T7_T8_P12ihipStream_tbENKUlT_T0_E_clISt17integral_constantIbLb1EES13_EEDaSY_SZ_EUlSY_E_NS1_11comp_targetILNS1_3genE10ELNS1_11target_archE1201ELNS1_3gpuE5ELNS1_3repE0EEENS1_30default_config_static_selectorELNS0_4arch9wavefront6targetE0EEEvT1_ ; -- Begin function _ZN7rocprim17ROCPRIM_400000_NS6detail17trampoline_kernelINS0_14default_configENS1_29reduce_by_key_config_selectorIyjN6thrust23THRUST_200600_302600_NS4plusIjEEEEZZNS1_33reduce_by_key_impl_wrapped_configILNS1_25lookback_scan_determinismE0ES3_S9_NS6_6detail15normal_iteratorINS6_10device_ptrIyEEEENSD_INSE_IjEEEESG_SI_PmS8_NS6_8equal_toIyEEEE10hipError_tPvRmT2_T3_mT4_T5_T6_T7_T8_P12ihipStream_tbENKUlT_T0_E_clISt17integral_constantIbLb1EES13_EEDaSY_SZ_EUlSY_E_NS1_11comp_targetILNS1_3genE10ELNS1_11target_archE1201ELNS1_3gpuE5ELNS1_3repE0EEENS1_30default_config_static_selectorELNS0_4arch9wavefront6targetE0EEEvT1_
	.globl	_ZN7rocprim17ROCPRIM_400000_NS6detail17trampoline_kernelINS0_14default_configENS1_29reduce_by_key_config_selectorIyjN6thrust23THRUST_200600_302600_NS4plusIjEEEEZZNS1_33reduce_by_key_impl_wrapped_configILNS1_25lookback_scan_determinismE0ES3_S9_NS6_6detail15normal_iteratorINS6_10device_ptrIyEEEENSD_INSE_IjEEEESG_SI_PmS8_NS6_8equal_toIyEEEE10hipError_tPvRmT2_T3_mT4_T5_T6_T7_T8_P12ihipStream_tbENKUlT_T0_E_clISt17integral_constantIbLb1EES13_EEDaSY_SZ_EUlSY_E_NS1_11comp_targetILNS1_3genE10ELNS1_11target_archE1201ELNS1_3gpuE5ELNS1_3repE0EEENS1_30default_config_static_selectorELNS0_4arch9wavefront6targetE0EEEvT1_
	.p2align	8
	.type	_ZN7rocprim17ROCPRIM_400000_NS6detail17trampoline_kernelINS0_14default_configENS1_29reduce_by_key_config_selectorIyjN6thrust23THRUST_200600_302600_NS4plusIjEEEEZZNS1_33reduce_by_key_impl_wrapped_configILNS1_25lookback_scan_determinismE0ES3_S9_NS6_6detail15normal_iteratorINS6_10device_ptrIyEEEENSD_INSE_IjEEEESG_SI_PmS8_NS6_8equal_toIyEEEE10hipError_tPvRmT2_T3_mT4_T5_T6_T7_T8_P12ihipStream_tbENKUlT_T0_E_clISt17integral_constantIbLb1EES13_EEDaSY_SZ_EUlSY_E_NS1_11comp_targetILNS1_3genE10ELNS1_11target_archE1201ELNS1_3gpuE5ELNS1_3repE0EEENS1_30default_config_static_selectorELNS0_4arch9wavefront6targetE0EEEvT1_,@function
_ZN7rocprim17ROCPRIM_400000_NS6detail17trampoline_kernelINS0_14default_configENS1_29reduce_by_key_config_selectorIyjN6thrust23THRUST_200600_302600_NS4plusIjEEEEZZNS1_33reduce_by_key_impl_wrapped_configILNS1_25lookback_scan_determinismE0ES3_S9_NS6_6detail15normal_iteratorINS6_10device_ptrIyEEEENSD_INSE_IjEEEESG_SI_PmS8_NS6_8equal_toIyEEEE10hipError_tPvRmT2_T3_mT4_T5_T6_T7_T8_P12ihipStream_tbENKUlT_T0_E_clISt17integral_constantIbLb1EES13_EEDaSY_SZ_EUlSY_E_NS1_11comp_targetILNS1_3genE10ELNS1_11target_archE1201ELNS1_3gpuE5ELNS1_3repE0EEENS1_30default_config_static_selectorELNS0_4arch9wavefront6targetE0EEEvT1_: ; @_ZN7rocprim17ROCPRIM_400000_NS6detail17trampoline_kernelINS0_14default_configENS1_29reduce_by_key_config_selectorIyjN6thrust23THRUST_200600_302600_NS4plusIjEEEEZZNS1_33reduce_by_key_impl_wrapped_configILNS1_25lookback_scan_determinismE0ES3_S9_NS6_6detail15normal_iteratorINS6_10device_ptrIyEEEENSD_INSE_IjEEEESG_SI_PmS8_NS6_8equal_toIyEEEE10hipError_tPvRmT2_T3_mT4_T5_T6_T7_T8_P12ihipStream_tbENKUlT_T0_E_clISt17integral_constantIbLb1EES13_EEDaSY_SZ_EUlSY_E_NS1_11comp_targetILNS1_3genE10ELNS1_11target_archE1201ELNS1_3gpuE5ELNS1_3repE0EEENS1_30default_config_static_selectorELNS0_4arch9wavefront6targetE0EEEvT1_
; %bb.0:
	.section	.rodata,"a",@progbits
	.p2align	6, 0x0
	.amdhsa_kernel _ZN7rocprim17ROCPRIM_400000_NS6detail17trampoline_kernelINS0_14default_configENS1_29reduce_by_key_config_selectorIyjN6thrust23THRUST_200600_302600_NS4plusIjEEEEZZNS1_33reduce_by_key_impl_wrapped_configILNS1_25lookback_scan_determinismE0ES3_S9_NS6_6detail15normal_iteratorINS6_10device_ptrIyEEEENSD_INSE_IjEEEESG_SI_PmS8_NS6_8equal_toIyEEEE10hipError_tPvRmT2_T3_mT4_T5_T6_T7_T8_P12ihipStream_tbENKUlT_T0_E_clISt17integral_constantIbLb1EES13_EEDaSY_SZ_EUlSY_E_NS1_11comp_targetILNS1_3genE10ELNS1_11target_archE1201ELNS1_3gpuE5ELNS1_3repE0EEENS1_30default_config_static_selectorELNS0_4arch9wavefront6targetE0EEEvT1_
		.amdhsa_group_segment_fixed_size 0
		.amdhsa_private_segment_fixed_size 0
		.amdhsa_kernarg_size 120
		.amdhsa_user_sgpr_count 15
		.amdhsa_user_sgpr_dispatch_ptr 0
		.amdhsa_user_sgpr_queue_ptr 0
		.amdhsa_user_sgpr_kernarg_segment_ptr 1
		.amdhsa_user_sgpr_dispatch_id 0
		.amdhsa_user_sgpr_private_segment_size 0
		.amdhsa_wavefront_size32 1
		.amdhsa_uses_dynamic_stack 0
		.amdhsa_enable_private_segment 0
		.amdhsa_system_sgpr_workgroup_id_x 1
		.amdhsa_system_sgpr_workgroup_id_y 0
		.amdhsa_system_sgpr_workgroup_id_z 0
		.amdhsa_system_sgpr_workgroup_info 0
		.amdhsa_system_vgpr_workitem_id 0
		.amdhsa_next_free_vgpr 1
		.amdhsa_next_free_sgpr 1
		.amdhsa_reserve_vcc 0
		.amdhsa_float_round_mode_32 0
		.amdhsa_float_round_mode_16_64 0
		.amdhsa_float_denorm_mode_32 3
		.amdhsa_float_denorm_mode_16_64 3
		.amdhsa_dx10_clamp 1
		.amdhsa_ieee_mode 1
		.amdhsa_fp16_overflow 0
		.amdhsa_workgroup_processor_mode 1
		.amdhsa_memory_ordered 1
		.amdhsa_forward_progress 0
		.amdhsa_shared_vgpr_count 0
		.amdhsa_exception_fp_ieee_invalid_op 0
		.amdhsa_exception_fp_denorm_src 0
		.amdhsa_exception_fp_ieee_div_zero 0
		.amdhsa_exception_fp_ieee_overflow 0
		.amdhsa_exception_fp_ieee_underflow 0
		.amdhsa_exception_fp_ieee_inexact 0
		.amdhsa_exception_int_div_zero 0
	.end_amdhsa_kernel
	.section	.text._ZN7rocprim17ROCPRIM_400000_NS6detail17trampoline_kernelINS0_14default_configENS1_29reduce_by_key_config_selectorIyjN6thrust23THRUST_200600_302600_NS4plusIjEEEEZZNS1_33reduce_by_key_impl_wrapped_configILNS1_25lookback_scan_determinismE0ES3_S9_NS6_6detail15normal_iteratorINS6_10device_ptrIyEEEENSD_INSE_IjEEEESG_SI_PmS8_NS6_8equal_toIyEEEE10hipError_tPvRmT2_T3_mT4_T5_T6_T7_T8_P12ihipStream_tbENKUlT_T0_E_clISt17integral_constantIbLb1EES13_EEDaSY_SZ_EUlSY_E_NS1_11comp_targetILNS1_3genE10ELNS1_11target_archE1201ELNS1_3gpuE5ELNS1_3repE0EEENS1_30default_config_static_selectorELNS0_4arch9wavefront6targetE0EEEvT1_,"axG",@progbits,_ZN7rocprim17ROCPRIM_400000_NS6detail17trampoline_kernelINS0_14default_configENS1_29reduce_by_key_config_selectorIyjN6thrust23THRUST_200600_302600_NS4plusIjEEEEZZNS1_33reduce_by_key_impl_wrapped_configILNS1_25lookback_scan_determinismE0ES3_S9_NS6_6detail15normal_iteratorINS6_10device_ptrIyEEEENSD_INSE_IjEEEESG_SI_PmS8_NS6_8equal_toIyEEEE10hipError_tPvRmT2_T3_mT4_T5_T6_T7_T8_P12ihipStream_tbENKUlT_T0_E_clISt17integral_constantIbLb1EES13_EEDaSY_SZ_EUlSY_E_NS1_11comp_targetILNS1_3genE10ELNS1_11target_archE1201ELNS1_3gpuE5ELNS1_3repE0EEENS1_30default_config_static_selectorELNS0_4arch9wavefront6targetE0EEEvT1_,comdat
.Lfunc_end711:
	.size	_ZN7rocprim17ROCPRIM_400000_NS6detail17trampoline_kernelINS0_14default_configENS1_29reduce_by_key_config_selectorIyjN6thrust23THRUST_200600_302600_NS4plusIjEEEEZZNS1_33reduce_by_key_impl_wrapped_configILNS1_25lookback_scan_determinismE0ES3_S9_NS6_6detail15normal_iteratorINS6_10device_ptrIyEEEENSD_INSE_IjEEEESG_SI_PmS8_NS6_8equal_toIyEEEE10hipError_tPvRmT2_T3_mT4_T5_T6_T7_T8_P12ihipStream_tbENKUlT_T0_E_clISt17integral_constantIbLb1EES13_EEDaSY_SZ_EUlSY_E_NS1_11comp_targetILNS1_3genE10ELNS1_11target_archE1201ELNS1_3gpuE5ELNS1_3repE0EEENS1_30default_config_static_selectorELNS0_4arch9wavefront6targetE0EEEvT1_, .Lfunc_end711-_ZN7rocprim17ROCPRIM_400000_NS6detail17trampoline_kernelINS0_14default_configENS1_29reduce_by_key_config_selectorIyjN6thrust23THRUST_200600_302600_NS4plusIjEEEEZZNS1_33reduce_by_key_impl_wrapped_configILNS1_25lookback_scan_determinismE0ES3_S9_NS6_6detail15normal_iteratorINS6_10device_ptrIyEEEENSD_INSE_IjEEEESG_SI_PmS8_NS6_8equal_toIyEEEE10hipError_tPvRmT2_T3_mT4_T5_T6_T7_T8_P12ihipStream_tbENKUlT_T0_E_clISt17integral_constantIbLb1EES13_EEDaSY_SZ_EUlSY_E_NS1_11comp_targetILNS1_3genE10ELNS1_11target_archE1201ELNS1_3gpuE5ELNS1_3repE0EEENS1_30default_config_static_selectorELNS0_4arch9wavefront6targetE0EEEvT1_
                                        ; -- End function
	.section	.AMDGPU.csdata,"",@progbits
; Kernel info:
; codeLenInByte = 0
; NumSgprs: 0
; NumVgprs: 0
; ScratchSize: 0
; MemoryBound: 0
; FloatMode: 240
; IeeeMode: 1
; LDSByteSize: 0 bytes/workgroup (compile time only)
; SGPRBlocks: 0
; VGPRBlocks: 0
; NumSGPRsForWavesPerEU: 1
; NumVGPRsForWavesPerEU: 1
; Occupancy: 16
; WaveLimiterHint : 0
; COMPUTE_PGM_RSRC2:SCRATCH_EN: 0
; COMPUTE_PGM_RSRC2:USER_SGPR: 15
; COMPUTE_PGM_RSRC2:TRAP_HANDLER: 0
; COMPUTE_PGM_RSRC2:TGID_X_EN: 1
; COMPUTE_PGM_RSRC2:TGID_Y_EN: 0
; COMPUTE_PGM_RSRC2:TGID_Z_EN: 0
; COMPUTE_PGM_RSRC2:TIDIG_COMP_CNT: 0
	.section	.text._ZN7rocprim17ROCPRIM_400000_NS6detail17trampoline_kernelINS0_14default_configENS1_29reduce_by_key_config_selectorIyjN6thrust23THRUST_200600_302600_NS4plusIjEEEEZZNS1_33reduce_by_key_impl_wrapped_configILNS1_25lookback_scan_determinismE0ES3_S9_NS6_6detail15normal_iteratorINS6_10device_ptrIyEEEENSD_INSE_IjEEEESG_SI_PmS8_NS6_8equal_toIyEEEE10hipError_tPvRmT2_T3_mT4_T5_T6_T7_T8_P12ihipStream_tbENKUlT_T0_E_clISt17integral_constantIbLb1EES13_EEDaSY_SZ_EUlSY_E_NS1_11comp_targetILNS1_3genE10ELNS1_11target_archE1200ELNS1_3gpuE4ELNS1_3repE0EEENS1_30default_config_static_selectorELNS0_4arch9wavefront6targetE0EEEvT1_,"axG",@progbits,_ZN7rocprim17ROCPRIM_400000_NS6detail17trampoline_kernelINS0_14default_configENS1_29reduce_by_key_config_selectorIyjN6thrust23THRUST_200600_302600_NS4plusIjEEEEZZNS1_33reduce_by_key_impl_wrapped_configILNS1_25lookback_scan_determinismE0ES3_S9_NS6_6detail15normal_iteratorINS6_10device_ptrIyEEEENSD_INSE_IjEEEESG_SI_PmS8_NS6_8equal_toIyEEEE10hipError_tPvRmT2_T3_mT4_T5_T6_T7_T8_P12ihipStream_tbENKUlT_T0_E_clISt17integral_constantIbLb1EES13_EEDaSY_SZ_EUlSY_E_NS1_11comp_targetILNS1_3genE10ELNS1_11target_archE1200ELNS1_3gpuE4ELNS1_3repE0EEENS1_30default_config_static_selectorELNS0_4arch9wavefront6targetE0EEEvT1_,comdat
	.protected	_ZN7rocprim17ROCPRIM_400000_NS6detail17trampoline_kernelINS0_14default_configENS1_29reduce_by_key_config_selectorIyjN6thrust23THRUST_200600_302600_NS4plusIjEEEEZZNS1_33reduce_by_key_impl_wrapped_configILNS1_25lookback_scan_determinismE0ES3_S9_NS6_6detail15normal_iteratorINS6_10device_ptrIyEEEENSD_INSE_IjEEEESG_SI_PmS8_NS6_8equal_toIyEEEE10hipError_tPvRmT2_T3_mT4_T5_T6_T7_T8_P12ihipStream_tbENKUlT_T0_E_clISt17integral_constantIbLb1EES13_EEDaSY_SZ_EUlSY_E_NS1_11comp_targetILNS1_3genE10ELNS1_11target_archE1200ELNS1_3gpuE4ELNS1_3repE0EEENS1_30default_config_static_selectorELNS0_4arch9wavefront6targetE0EEEvT1_ ; -- Begin function _ZN7rocprim17ROCPRIM_400000_NS6detail17trampoline_kernelINS0_14default_configENS1_29reduce_by_key_config_selectorIyjN6thrust23THRUST_200600_302600_NS4plusIjEEEEZZNS1_33reduce_by_key_impl_wrapped_configILNS1_25lookback_scan_determinismE0ES3_S9_NS6_6detail15normal_iteratorINS6_10device_ptrIyEEEENSD_INSE_IjEEEESG_SI_PmS8_NS6_8equal_toIyEEEE10hipError_tPvRmT2_T3_mT4_T5_T6_T7_T8_P12ihipStream_tbENKUlT_T0_E_clISt17integral_constantIbLb1EES13_EEDaSY_SZ_EUlSY_E_NS1_11comp_targetILNS1_3genE10ELNS1_11target_archE1200ELNS1_3gpuE4ELNS1_3repE0EEENS1_30default_config_static_selectorELNS0_4arch9wavefront6targetE0EEEvT1_
	.globl	_ZN7rocprim17ROCPRIM_400000_NS6detail17trampoline_kernelINS0_14default_configENS1_29reduce_by_key_config_selectorIyjN6thrust23THRUST_200600_302600_NS4plusIjEEEEZZNS1_33reduce_by_key_impl_wrapped_configILNS1_25lookback_scan_determinismE0ES3_S9_NS6_6detail15normal_iteratorINS6_10device_ptrIyEEEENSD_INSE_IjEEEESG_SI_PmS8_NS6_8equal_toIyEEEE10hipError_tPvRmT2_T3_mT4_T5_T6_T7_T8_P12ihipStream_tbENKUlT_T0_E_clISt17integral_constantIbLb1EES13_EEDaSY_SZ_EUlSY_E_NS1_11comp_targetILNS1_3genE10ELNS1_11target_archE1200ELNS1_3gpuE4ELNS1_3repE0EEENS1_30default_config_static_selectorELNS0_4arch9wavefront6targetE0EEEvT1_
	.p2align	8
	.type	_ZN7rocprim17ROCPRIM_400000_NS6detail17trampoline_kernelINS0_14default_configENS1_29reduce_by_key_config_selectorIyjN6thrust23THRUST_200600_302600_NS4plusIjEEEEZZNS1_33reduce_by_key_impl_wrapped_configILNS1_25lookback_scan_determinismE0ES3_S9_NS6_6detail15normal_iteratorINS6_10device_ptrIyEEEENSD_INSE_IjEEEESG_SI_PmS8_NS6_8equal_toIyEEEE10hipError_tPvRmT2_T3_mT4_T5_T6_T7_T8_P12ihipStream_tbENKUlT_T0_E_clISt17integral_constantIbLb1EES13_EEDaSY_SZ_EUlSY_E_NS1_11comp_targetILNS1_3genE10ELNS1_11target_archE1200ELNS1_3gpuE4ELNS1_3repE0EEENS1_30default_config_static_selectorELNS0_4arch9wavefront6targetE0EEEvT1_,@function
_ZN7rocprim17ROCPRIM_400000_NS6detail17trampoline_kernelINS0_14default_configENS1_29reduce_by_key_config_selectorIyjN6thrust23THRUST_200600_302600_NS4plusIjEEEEZZNS1_33reduce_by_key_impl_wrapped_configILNS1_25lookback_scan_determinismE0ES3_S9_NS6_6detail15normal_iteratorINS6_10device_ptrIyEEEENSD_INSE_IjEEEESG_SI_PmS8_NS6_8equal_toIyEEEE10hipError_tPvRmT2_T3_mT4_T5_T6_T7_T8_P12ihipStream_tbENKUlT_T0_E_clISt17integral_constantIbLb1EES13_EEDaSY_SZ_EUlSY_E_NS1_11comp_targetILNS1_3genE10ELNS1_11target_archE1200ELNS1_3gpuE4ELNS1_3repE0EEENS1_30default_config_static_selectorELNS0_4arch9wavefront6targetE0EEEvT1_: ; @_ZN7rocprim17ROCPRIM_400000_NS6detail17trampoline_kernelINS0_14default_configENS1_29reduce_by_key_config_selectorIyjN6thrust23THRUST_200600_302600_NS4plusIjEEEEZZNS1_33reduce_by_key_impl_wrapped_configILNS1_25lookback_scan_determinismE0ES3_S9_NS6_6detail15normal_iteratorINS6_10device_ptrIyEEEENSD_INSE_IjEEEESG_SI_PmS8_NS6_8equal_toIyEEEE10hipError_tPvRmT2_T3_mT4_T5_T6_T7_T8_P12ihipStream_tbENKUlT_T0_E_clISt17integral_constantIbLb1EES13_EEDaSY_SZ_EUlSY_E_NS1_11comp_targetILNS1_3genE10ELNS1_11target_archE1200ELNS1_3gpuE4ELNS1_3repE0EEENS1_30default_config_static_selectorELNS0_4arch9wavefront6targetE0EEEvT1_
; %bb.0:
	.section	.rodata,"a",@progbits
	.p2align	6, 0x0
	.amdhsa_kernel _ZN7rocprim17ROCPRIM_400000_NS6detail17trampoline_kernelINS0_14default_configENS1_29reduce_by_key_config_selectorIyjN6thrust23THRUST_200600_302600_NS4plusIjEEEEZZNS1_33reduce_by_key_impl_wrapped_configILNS1_25lookback_scan_determinismE0ES3_S9_NS6_6detail15normal_iteratorINS6_10device_ptrIyEEEENSD_INSE_IjEEEESG_SI_PmS8_NS6_8equal_toIyEEEE10hipError_tPvRmT2_T3_mT4_T5_T6_T7_T8_P12ihipStream_tbENKUlT_T0_E_clISt17integral_constantIbLb1EES13_EEDaSY_SZ_EUlSY_E_NS1_11comp_targetILNS1_3genE10ELNS1_11target_archE1200ELNS1_3gpuE4ELNS1_3repE0EEENS1_30default_config_static_selectorELNS0_4arch9wavefront6targetE0EEEvT1_
		.amdhsa_group_segment_fixed_size 0
		.amdhsa_private_segment_fixed_size 0
		.amdhsa_kernarg_size 120
		.amdhsa_user_sgpr_count 15
		.amdhsa_user_sgpr_dispatch_ptr 0
		.amdhsa_user_sgpr_queue_ptr 0
		.amdhsa_user_sgpr_kernarg_segment_ptr 1
		.amdhsa_user_sgpr_dispatch_id 0
		.amdhsa_user_sgpr_private_segment_size 0
		.amdhsa_wavefront_size32 1
		.amdhsa_uses_dynamic_stack 0
		.amdhsa_enable_private_segment 0
		.amdhsa_system_sgpr_workgroup_id_x 1
		.amdhsa_system_sgpr_workgroup_id_y 0
		.amdhsa_system_sgpr_workgroup_id_z 0
		.amdhsa_system_sgpr_workgroup_info 0
		.amdhsa_system_vgpr_workitem_id 0
		.amdhsa_next_free_vgpr 1
		.amdhsa_next_free_sgpr 1
		.amdhsa_reserve_vcc 0
		.amdhsa_float_round_mode_32 0
		.amdhsa_float_round_mode_16_64 0
		.amdhsa_float_denorm_mode_32 3
		.amdhsa_float_denorm_mode_16_64 3
		.amdhsa_dx10_clamp 1
		.amdhsa_ieee_mode 1
		.amdhsa_fp16_overflow 0
		.amdhsa_workgroup_processor_mode 1
		.amdhsa_memory_ordered 1
		.amdhsa_forward_progress 0
		.amdhsa_shared_vgpr_count 0
		.amdhsa_exception_fp_ieee_invalid_op 0
		.amdhsa_exception_fp_denorm_src 0
		.amdhsa_exception_fp_ieee_div_zero 0
		.amdhsa_exception_fp_ieee_overflow 0
		.amdhsa_exception_fp_ieee_underflow 0
		.amdhsa_exception_fp_ieee_inexact 0
		.amdhsa_exception_int_div_zero 0
	.end_amdhsa_kernel
	.section	.text._ZN7rocprim17ROCPRIM_400000_NS6detail17trampoline_kernelINS0_14default_configENS1_29reduce_by_key_config_selectorIyjN6thrust23THRUST_200600_302600_NS4plusIjEEEEZZNS1_33reduce_by_key_impl_wrapped_configILNS1_25lookback_scan_determinismE0ES3_S9_NS6_6detail15normal_iteratorINS6_10device_ptrIyEEEENSD_INSE_IjEEEESG_SI_PmS8_NS6_8equal_toIyEEEE10hipError_tPvRmT2_T3_mT4_T5_T6_T7_T8_P12ihipStream_tbENKUlT_T0_E_clISt17integral_constantIbLb1EES13_EEDaSY_SZ_EUlSY_E_NS1_11comp_targetILNS1_3genE10ELNS1_11target_archE1200ELNS1_3gpuE4ELNS1_3repE0EEENS1_30default_config_static_selectorELNS0_4arch9wavefront6targetE0EEEvT1_,"axG",@progbits,_ZN7rocprim17ROCPRIM_400000_NS6detail17trampoline_kernelINS0_14default_configENS1_29reduce_by_key_config_selectorIyjN6thrust23THRUST_200600_302600_NS4plusIjEEEEZZNS1_33reduce_by_key_impl_wrapped_configILNS1_25lookback_scan_determinismE0ES3_S9_NS6_6detail15normal_iteratorINS6_10device_ptrIyEEEENSD_INSE_IjEEEESG_SI_PmS8_NS6_8equal_toIyEEEE10hipError_tPvRmT2_T3_mT4_T5_T6_T7_T8_P12ihipStream_tbENKUlT_T0_E_clISt17integral_constantIbLb1EES13_EEDaSY_SZ_EUlSY_E_NS1_11comp_targetILNS1_3genE10ELNS1_11target_archE1200ELNS1_3gpuE4ELNS1_3repE0EEENS1_30default_config_static_selectorELNS0_4arch9wavefront6targetE0EEEvT1_,comdat
.Lfunc_end712:
	.size	_ZN7rocprim17ROCPRIM_400000_NS6detail17trampoline_kernelINS0_14default_configENS1_29reduce_by_key_config_selectorIyjN6thrust23THRUST_200600_302600_NS4plusIjEEEEZZNS1_33reduce_by_key_impl_wrapped_configILNS1_25lookback_scan_determinismE0ES3_S9_NS6_6detail15normal_iteratorINS6_10device_ptrIyEEEENSD_INSE_IjEEEESG_SI_PmS8_NS6_8equal_toIyEEEE10hipError_tPvRmT2_T3_mT4_T5_T6_T7_T8_P12ihipStream_tbENKUlT_T0_E_clISt17integral_constantIbLb1EES13_EEDaSY_SZ_EUlSY_E_NS1_11comp_targetILNS1_3genE10ELNS1_11target_archE1200ELNS1_3gpuE4ELNS1_3repE0EEENS1_30default_config_static_selectorELNS0_4arch9wavefront6targetE0EEEvT1_, .Lfunc_end712-_ZN7rocprim17ROCPRIM_400000_NS6detail17trampoline_kernelINS0_14default_configENS1_29reduce_by_key_config_selectorIyjN6thrust23THRUST_200600_302600_NS4plusIjEEEEZZNS1_33reduce_by_key_impl_wrapped_configILNS1_25lookback_scan_determinismE0ES3_S9_NS6_6detail15normal_iteratorINS6_10device_ptrIyEEEENSD_INSE_IjEEEESG_SI_PmS8_NS6_8equal_toIyEEEE10hipError_tPvRmT2_T3_mT4_T5_T6_T7_T8_P12ihipStream_tbENKUlT_T0_E_clISt17integral_constantIbLb1EES13_EEDaSY_SZ_EUlSY_E_NS1_11comp_targetILNS1_3genE10ELNS1_11target_archE1200ELNS1_3gpuE4ELNS1_3repE0EEENS1_30default_config_static_selectorELNS0_4arch9wavefront6targetE0EEEvT1_
                                        ; -- End function
	.section	.AMDGPU.csdata,"",@progbits
; Kernel info:
; codeLenInByte = 0
; NumSgprs: 0
; NumVgprs: 0
; ScratchSize: 0
; MemoryBound: 0
; FloatMode: 240
; IeeeMode: 1
; LDSByteSize: 0 bytes/workgroup (compile time only)
; SGPRBlocks: 0
; VGPRBlocks: 0
; NumSGPRsForWavesPerEU: 1
; NumVGPRsForWavesPerEU: 1
; Occupancy: 16
; WaveLimiterHint : 0
; COMPUTE_PGM_RSRC2:SCRATCH_EN: 0
; COMPUTE_PGM_RSRC2:USER_SGPR: 15
; COMPUTE_PGM_RSRC2:TRAP_HANDLER: 0
; COMPUTE_PGM_RSRC2:TGID_X_EN: 1
; COMPUTE_PGM_RSRC2:TGID_Y_EN: 0
; COMPUTE_PGM_RSRC2:TGID_Z_EN: 0
; COMPUTE_PGM_RSRC2:TIDIG_COMP_CNT: 0
	.section	.text._ZN7rocprim17ROCPRIM_400000_NS6detail17trampoline_kernelINS0_14default_configENS1_29reduce_by_key_config_selectorIyjN6thrust23THRUST_200600_302600_NS4plusIjEEEEZZNS1_33reduce_by_key_impl_wrapped_configILNS1_25lookback_scan_determinismE0ES3_S9_NS6_6detail15normal_iteratorINS6_10device_ptrIyEEEENSD_INSE_IjEEEESG_SI_PmS8_NS6_8equal_toIyEEEE10hipError_tPvRmT2_T3_mT4_T5_T6_T7_T8_P12ihipStream_tbENKUlT_T0_E_clISt17integral_constantIbLb1EES13_EEDaSY_SZ_EUlSY_E_NS1_11comp_targetILNS1_3genE9ELNS1_11target_archE1100ELNS1_3gpuE3ELNS1_3repE0EEENS1_30default_config_static_selectorELNS0_4arch9wavefront6targetE0EEEvT1_,"axG",@progbits,_ZN7rocprim17ROCPRIM_400000_NS6detail17trampoline_kernelINS0_14default_configENS1_29reduce_by_key_config_selectorIyjN6thrust23THRUST_200600_302600_NS4plusIjEEEEZZNS1_33reduce_by_key_impl_wrapped_configILNS1_25lookback_scan_determinismE0ES3_S9_NS6_6detail15normal_iteratorINS6_10device_ptrIyEEEENSD_INSE_IjEEEESG_SI_PmS8_NS6_8equal_toIyEEEE10hipError_tPvRmT2_T3_mT4_T5_T6_T7_T8_P12ihipStream_tbENKUlT_T0_E_clISt17integral_constantIbLb1EES13_EEDaSY_SZ_EUlSY_E_NS1_11comp_targetILNS1_3genE9ELNS1_11target_archE1100ELNS1_3gpuE3ELNS1_3repE0EEENS1_30default_config_static_selectorELNS0_4arch9wavefront6targetE0EEEvT1_,comdat
	.protected	_ZN7rocprim17ROCPRIM_400000_NS6detail17trampoline_kernelINS0_14default_configENS1_29reduce_by_key_config_selectorIyjN6thrust23THRUST_200600_302600_NS4plusIjEEEEZZNS1_33reduce_by_key_impl_wrapped_configILNS1_25lookback_scan_determinismE0ES3_S9_NS6_6detail15normal_iteratorINS6_10device_ptrIyEEEENSD_INSE_IjEEEESG_SI_PmS8_NS6_8equal_toIyEEEE10hipError_tPvRmT2_T3_mT4_T5_T6_T7_T8_P12ihipStream_tbENKUlT_T0_E_clISt17integral_constantIbLb1EES13_EEDaSY_SZ_EUlSY_E_NS1_11comp_targetILNS1_3genE9ELNS1_11target_archE1100ELNS1_3gpuE3ELNS1_3repE0EEENS1_30default_config_static_selectorELNS0_4arch9wavefront6targetE0EEEvT1_ ; -- Begin function _ZN7rocprim17ROCPRIM_400000_NS6detail17trampoline_kernelINS0_14default_configENS1_29reduce_by_key_config_selectorIyjN6thrust23THRUST_200600_302600_NS4plusIjEEEEZZNS1_33reduce_by_key_impl_wrapped_configILNS1_25lookback_scan_determinismE0ES3_S9_NS6_6detail15normal_iteratorINS6_10device_ptrIyEEEENSD_INSE_IjEEEESG_SI_PmS8_NS6_8equal_toIyEEEE10hipError_tPvRmT2_T3_mT4_T5_T6_T7_T8_P12ihipStream_tbENKUlT_T0_E_clISt17integral_constantIbLb1EES13_EEDaSY_SZ_EUlSY_E_NS1_11comp_targetILNS1_3genE9ELNS1_11target_archE1100ELNS1_3gpuE3ELNS1_3repE0EEENS1_30default_config_static_selectorELNS0_4arch9wavefront6targetE0EEEvT1_
	.globl	_ZN7rocprim17ROCPRIM_400000_NS6detail17trampoline_kernelINS0_14default_configENS1_29reduce_by_key_config_selectorIyjN6thrust23THRUST_200600_302600_NS4plusIjEEEEZZNS1_33reduce_by_key_impl_wrapped_configILNS1_25lookback_scan_determinismE0ES3_S9_NS6_6detail15normal_iteratorINS6_10device_ptrIyEEEENSD_INSE_IjEEEESG_SI_PmS8_NS6_8equal_toIyEEEE10hipError_tPvRmT2_T3_mT4_T5_T6_T7_T8_P12ihipStream_tbENKUlT_T0_E_clISt17integral_constantIbLb1EES13_EEDaSY_SZ_EUlSY_E_NS1_11comp_targetILNS1_3genE9ELNS1_11target_archE1100ELNS1_3gpuE3ELNS1_3repE0EEENS1_30default_config_static_selectorELNS0_4arch9wavefront6targetE0EEEvT1_
	.p2align	8
	.type	_ZN7rocprim17ROCPRIM_400000_NS6detail17trampoline_kernelINS0_14default_configENS1_29reduce_by_key_config_selectorIyjN6thrust23THRUST_200600_302600_NS4plusIjEEEEZZNS1_33reduce_by_key_impl_wrapped_configILNS1_25lookback_scan_determinismE0ES3_S9_NS6_6detail15normal_iteratorINS6_10device_ptrIyEEEENSD_INSE_IjEEEESG_SI_PmS8_NS6_8equal_toIyEEEE10hipError_tPvRmT2_T3_mT4_T5_T6_T7_T8_P12ihipStream_tbENKUlT_T0_E_clISt17integral_constantIbLb1EES13_EEDaSY_SZ_EUlSY_E_NS1_11comp_targetILNS1_3genE9ELNS1_11target_archE1100ELNS1_3gpuE3ELNS1_3repE0EEENS1_30default_config_static_selectorELNS0_4arch9wavefront6targetE0EEEvT1_,@function
_ZN7rocprim17ROCPRIM_400000_NS6detail17trampoline_kernelINS0_14default_configENS1_29reduce_by_key_config_selectorIyjN6thrust23THRUST_200600_302600_NS4plusIjEEEEZZNS1_33reduce_by_key_impl_wrapped_configILNS1_25lookback_scan_determinismE0ES3_S9_NS6_6detail15normal_iteratorINS6_10device_ptrIyEEEENSD_INSE_IjEEEESG_SI_PmS8_NS6_8equal_toIyEEEE10hipError_tPvRmT2_T3_mT4_T5_T6_T7_T8_P12ihipStream_tbENKUlT_T0_E_clISt17integral_constantIbLb1EES13_EEDaSY_SZ_EUlSY_E_NS1_11comp_targetILNS1_3genE9ELNS1_11target_archE1100ELNS1_3gpuE3ELNS1_3repE0EEENS1_30default_config_static_selectorELNS0_4arch9wavefront6targetE0EEEvT1_: ; @_ZN7rocprim17ROCPRIM_400000_NS6detail17trampoline_kernelINS0_14default_configENS1_29reduce_by_key_config_selectorIyjN6thrust23THRUST_200600_302600_NS4plusIjEEEEZZNS1_33reduce_by_key_impl_wrapped_configILNS1_25lookback_scan_determinismE0ES3_S9_NS6_6detail15normal_iteratorINS6_10device_ptrIyEEEENSD_INSE_IjEEEESG_SI_PmS8_NS6_8equal_toIyEEEE10hipError_tPvRmT2_T3_mT4_T5_T6_T7_T8_P12ihipStream_tbENKUlT_T0_E_clISt17integral_constantIbLb1EES13_EEDaSY_SZ_EUlSY_E_NS1_11comp_targetILNS1_3genE9ELNS1_11target_archE1100ELNS1_3gpuE3ELNS1_3repE0EEENS1_30default_config_static_selectorELNS0_4arch9wavefront6targetE0EEEvT1_
; %bb.0:
	s_clause 0x4
	s_load_b256 s[20:27], s[0:1], 0x0
	s_load_b128 s[28:31], s[0:1], 0x20
	s_load_b256 s[36:43], s[0:1], 0x38
	s_load_b64 s[34:35], s[0:1], 0x68
	s_load_b128 s[44:47], s[0:1], 0x58
	v_cmp_ne_u32_e64 s3, 0, v0
	v_cmp_eq_u32_e64 s2, 0, v0
	s_delay_alu instid0(VALU_DEP_1)
	s_and_saveexec_b32 s4, s2
	s_cbranch_execz .LBB713_4
; %bb.1:
	s_mov_b32 s6, exec_lo
	s_mov_b32 s5, exec_lo
	v_mbcnt_lo_u32_b32 v1, s6, 0
                                        ; implicit-def: $vgpr2
	s_delay_alu instid0(VALU_DEP_1)
	v_cmpx_eq_u32_e32 0, v1
	s_cbranch_execz .LBB713_3
; %bb.2:
	s_load_b64 s[0:1], s[0:1], 0x70
	s_bcnt1_i32_b32 s6, s6
	s_delay_alu instid0(SALU_CYCLE_1)
	v_dual_mov_b32 v2, 0 :: v_dual_mov_b32 v3, s6
	s_waitcnt lgkmcnt(0)
	global_atomic_add_u32 v2, v2, v3, s[0:1] glc
.LBB713_3:
	s_or_b32 exec_lo, exec_lo, s5
	s_waitcnt vmcnt(0)
	v_readfirstlane_b32 s0, v2
	s_delay_alu instid0(VALU_DEP_1)
	v_dual_mov_b32 v2, 0 :: v_dual_add_nc_u32 v1, s0, v1
	ds_store_b32 v2, v1
.LBB713_4:
	s_or_b32 exec_lo, exec_lo, s4
	v_mov_b32_e32 v2, 0
	s_waitcnt lgkmcnt(0)
	s_barrier
	buffer_gl0_inv
	s_lshl_b64 s[0:1], s[22:23], 3
	ds_load_b32 v1, v2
	s_add_u32 s10, s20, s0
	s_addc_u32 s1, s21, s1
	s_lshl_b64 s[4:5], s[22:23], 2
	s_mul_i32 s6, s40, s39
	s_mul_hi_u32 s7, s40, s38
	s_add_u32 s11, s24, s4
	s_mul_i32 s8, s41, s38
	s_addc_u32 s12, s25, s5
	s_add_i32 s4, s7, s6
	s_mul_i32 s9, s40, s38
	s_add_i32 s4, s4, s8
	s_mov_b32 s0, 0
	s_waitcnt lgkmcnt(0)
	s_barrier
	buffer_gl0_inv
	v_readfirstlane_b32 s48, v1
	v_mul_lo_u32 v1, 0xf00, v1
	s_delay_alu instid0(VALU_DEP_2) | instskip(SKIP_3) | instid1(VALU_DEP_1)
	s_add_u32 s18, s9, s48
	s_addc_u32 s19, s4, 0
	s_add_u32 s4, s42, -1
	s_addc_u32 s5, s43, -1
	v_lshlrev_b64 v[3:4], 3, v[1:2]
	v_lshlrev_b64 v[1:2], 2, v[1:2]
	s_cmp_eq_u64 s[18:19], s[4:5]
	s_mul_i32 s40, s4, 0xfffff100
	s_cselect_b32 s33, -1, 0
	s_cmp_lg_u64 s[18:19], s[4:5]
	v_add_co_u32 v32, vcc_lo, s10, v3
	v_add_co_ci_u32_e32 v31, vcc_lo, s1, v4, vcc_lo
	v_add_co_u32 v33, vcc_lo, s11, v1
	v_add_co_ci_u32_e32 v34, vcc_lo, s12, v2, vcc_lo
	s_cselect_b32 s17, -1, 0
	s_and_b32 vcc_lo, exec_lo, s33
	s_cbranch_vccnz .LBB713_6
; %bb.5:
	v_lshlrev_b32_e32 v37, 3, v0
	v_lshlrev_b32_e32 v35, 2, v0
	v_mad_u32_u24 v46, v0, 15, 5
	v_mad_u32_u24 v48, v0, 15, 7
	;; [unrolled: 1-line block ×3, first 2 shown]
	v_add_co_u32 v1, vcc_lo, v32, v37
	v_add_co_ci_u32_e32 v2, vcc_lo, 0, v31, vcc_lo
	v_mad_u32_u24 v50, 0x70, v0, v37
	s_delay_alu instid0(VALU_DEP_3) | instskip(NEXT) | instid1(VALU_DEP_3)
	v_add_co_u32 v3, vcc_lo, 0x1000, v1
	v_add_co_ci_u32_e32 v4, vcc_lo, 0, v2, vcc_lo
	v_add_co_u32 v5, vcc_lo, 0x2000, v1
	v_add_co_ci_u32_e32 v6, vcc_lo, 0, v2, vcc_lo
	;; [unrolled: 2-line block ×6, first 2 shown]
	s_clause 0x7
	flat_load_b64 v[9:10], v[1:2]
	flat_load_b64 v[11:12], v[1:2] offset:2048
	flat_load_b64 v[13:14], v[3:4]
	flat_load_b64 v[3:4], v[3:4] offset:2048
	;; [unrolled: 2-line block ×4, first 2 shown]
	v_add_co_u32 v1, vcc_lo, 0x7000, v1
	v_add_co_ci_u32_e32 v2, vcc_lo, 0, v2, vcc_lo
	s_clause 0x6
	flat_load_b64 v[25:26], v[19:20]
	flat_load_b64 v[19:20], v[19:20] offset:2048
	flat_load_b64 v[27:28], v[21:22]
	flat_load_b64 v[21:22], v[21:22] offset:2048
	;; [unrolled: 2-line block ×3, first 2 shown]
	flat_load_b64 v[1:2], v[1:2]
	v_add_co_u32 v35, vcc_lo, v33, v35
	v_add_co_ci_u32_e32 v36, vcc_lo, 0, v34, vcc_lo
	v_mad_u32_u24 v49, v0, 15, 9
	s_delay_alu instid0(VALU_DEP_3) | instskip(NEXT) | instid1(VALU_DEP_3)
	v_add_co_u32 v39, vcc_lo, 0x1000, v35
	v_add_co_ci_u32_e32 v40, vcc_lo, 0, v36, vcc_lo
	v_add_co_u32 v41, vcc_lo, 0x2000, v35
	v_add_co_ci_u32_e32 v42, vcc_lo, 0, v36, vcc_lo
	;; [unrolled: 2-line block ×3, first 2 shown]
	v_mad_u32_u24 v47, v0, 15, 10
	v_mad_i32_i24 v65, 0xffffff8c, v0, v50
	v_mad_u32_u24 v54, v0, 15, 11
	v_mad_u32_u24 v53, v0, 15, 12
	s_waitcnt vmcnt(13) lgkmcnt(13)
	ds_store_2addr_stride64_b64 v37, v[9:10], v[11:12] offset1:4
	s_waitcnt vmcnt(11) lgkmcnt(12)
	ds_store_2addr_stride64_b64 v37, v[13:14], v[3:4] offset0:8 offset1:12
	s_waitcnt vmcnt(9) lgkmcnt(11)
	ds_store_2addr_stride64_b64 v37, v[15:16], v[5:6] offset0:16 offset1:20
	;; [unrolled: 2-line block ×6, first 2 shown]
	s_waitcnt vmcnt(0) lgkmcnt(7)
	ds_store_b64 v37, v[1:2] offset:28672
	s_waitcnt lgkmcnt(0)
	s_barrier
	buffer_gl0_inv
	ds_load_2addr_b64 v[25:28], v50 offset1:1
	ds_load_2addr_b64 v[21:24], v50 offset0:2 offset1:3
	ds_load_2addr_b64 v[17:20], v50 offset0:4 offset1:5
	;; [unrolled: 1-line block ×6, first 2 shown]
	ds_load_b64 v[37:38], v50 offset:112
	s_waitcnt lgkmcnt(0)
	s_barrier
	buffer_gl0_inv
	s_clause 0xe
	flat_load_b32 v29, v[35:36]
	flat_load_b32 v51, v[35:36] offset:1024
	flat_load_b32 v52, v[35:36] offset:2048
	flat_load_b32 v36, v[35:36] offset:3072
	flat_load_b32 v55, v[39:40]
	flat_load_b32 v56, v[39:40] offset:1024
	flat_load_b32 v57, v[39:40] offset:2048
	flat_load_b32 v58, v[39:40] offset:3072
	;; [unrolled: 4-line block ×3, first 2 shown]
	flat_load_b32 v63, v[43:44]
	flat_load_b32 v64, v[43:44] offset:1024
	flat_load_b32 v43, v[43:44] offset:2048
	v_mul_u32_u24_e32 v30, 15, v0
	v_mad_u32_u24 v40, v0, 15, 1
	v_mad_u32_u24 v39, v0, 15, 2
	;; [unrolled: 1-line block ×7, first 2 shown]
	s_waitcnt vmcnt(13) lgkmcnt(13)
	ds_store_2addr_stride64_b32 v65, v29, v51 offset1:4
	s_waitcnt vmcnt(11) lgkmcnt(12)
	ds_store_2addr_stride64_b32 v65, v52, v36 offset0:8 offset1:12
	s_waitcnt vmcnt(9) lgkmcnt(11)
	ds_store_2addr_stride64_b32 v65, v55, v56 offset0:16 offset1:20
	s_waitcnt vmcnt(7) lgkmcnt(10)
	ds_store_2addr_stride64_b32 v65, v57, v58 offset0:24 offset1:28
	s_waitcnt vmcnt(5) lgkmcnt(9)
	ds_store_2addr_stride64_b32 v65, v59, v60 offset0:32 offset1:36
	s_waitcnt vmcnt(3) lgkmcnt(8)
	ds_store_2addr_stride64_b32 v65, v61, v62 offset0:40 offset1:44
	s_waitcnt vmcnt(1) lgkmcnt(7)
	ds_store_2addr_stride64_b32 v65, v63, v64 offset0:48 offset1:52
	s_waitcnt vmcnt(0) lgkmcnt(7)
	ds_store_b32 v65, v43 offset:14336
	s_waitcnt lgkmcnt(0)
	s_barrier
	s_and_not1_b32 vcc_lo, exec_lo, s0
	s_add_i32 s40, s40, s44
	s_cbranch_vccz .LBB713_7
	s_branch .LBB713_68
.LBB713_6:
                                        ; implicit-def: $vgpr35
                                        ; implicit-def: $vgpr50
                                        ; implicit-def: $vgpr53
                                        ; implicit-def: $vgpr54
                                        ; implicit-def: $vgpr47
                                        ; implicit-def: $vgpr49
                                        ; implicit-def: $vgpr45
                                        ; implicit-def: $vgpr48
                                        ; implicit-def: $vgpr44
                                        ; implicit-def: $vgpr46
                                        ; implicit-def: $vgpr41
                                        ; implicit-def: $vgpr42
                                        ; implicit-def: $vgpr39
                                        ; implicit-def: $vgpr40
                                        ; implicit-def: $vgpr30
                                        ; implicit-def: $vgpr25_vgpr26
                                        ; implicit-def: $vgpr21_vgpr22
                                        ; implicit-def: $vgpr17_vgpr18
                                        ; implicit-def: $vgpr13_vgpr14
                                        ; implicit-def: $vgpr9_vgpr10
                                        ; implicit-def: $vgpr5_vgpr6
                                        ; implicit-def: $vgpr1_vgpr2
                                        ; implicit-def: $vgpr37_vgpr38
	s_add_i32 s40, s40, s44
.LBB713_7:
	s_delay_alu instid0(SALU_CYCLE_1)
	v_cmp_gt_u32_e32 vcc_lo, s40, v0
                                        ; implicit-def: $vgpr1_vgpr2
	s_and_saveexec_b32 s1, vcc_lo
	s_cbranch_execz .LBB713_9
; %bb.8:
	v_lshlrev_b32_e32 v1, 3, v0
	s_delay_alu instid0(VALU_DEP_1) | instskip(NEXT) | instid1(VALU_DEP_1)
	v_add_co_u32 v1, s0, v32, v1
	v_add_co_ci_u32_e64 v2, s0, 0, v31, s0
	flat_load_b64 v[1:2], v[1:2]
.LBB713_9:
	s_or_b32 exec_lo, exec_lo, s1
	v_or_b32_e32 v3, 0x100, v0
	s_delay_alu instid0(VALU_DEP_1) | instskip(NEXT) | instid1(VALU_DEP_1)
	v_cmp_gt_u32_e64 s0, s40, v3
                                        ; implicit-def: $vgpr3_vgpr4
	s_and_saveexec_b32 s4, s0
	s_cbranch_execz .LBB713_11
; %bb.10:
	v_lshlrev_b32_e32 v3, 3, v0
	s_delay_alu instid0(VALU_DEP_1) | instskip(NEXT) | instid1(VALU_DEP_1)
	v_add_co_u32 v3, s1, v32, v3
	v_add_co_ci_u32_e64 v4, s1, 0, v31, s1
	flat_load_b64 v[3:4], v[3:4] offset:2048
.LBB713_11:
	s_or_b32 exec_lo, exec_lo, s4
	v_or_b32_e32 v7, 0x200, v0
                                        ; implicit-def: $vgpr5_vgpr6
	s_delay_alu instid0(VALU_DEP_1) | instskip(NEXT) | instid1(VALU_DEP_1)
	v_cmp_gt_u32_e64 s1, s40, v7
	s_and_saveexec_b32 s5, s1
	s_cbranch_execz .LBB713_13
; %bb.12:
	v_lshlrev_b32_e32 v5, 3, v7
	s_delay_alu instid0(VALU_DEP_1) | instskip(NEXT) | instid1(VALU_DEP_1)
	v_add_co_u32 v5, s4, v32, v5
	v_add_co_ci_u32_e64 v6, s4, 0, v31, s4
	flat_load_b64 v[5:6], v[5:6]
.LBB713_13:
	s_or_b32 exec_lo, exec_lo, s5
	v_or_b32_e32 v9, 0x300, v0
                                        ; implicit-def: $vgpr7_vgpr8
	s_delay_alu instid0(VALU_DEP_1) | instskip(NEXT) | instid1(VALU_DEP_1)
	v_cmp_gt_u32_e64 s4, s40, v9
	s_and_saveexec_b32 s6, s4
	s_cbranch_execz .LBB713_15
; %bb.14:
	v_lshlrev_b32_e32 v7, 3, v9
	s_delay_alu instid0(VALU_DEP_1) | instskip(NEXT) | instid1(VALU_DEP_1)
	v_add_co_u32 v7, s5, v32, v7
	v_add_co_ci_u32_e64 v8, s5, 0, v31, s5
	flat_load_b64 v[7:8], v[7:8]
.LBB713_15:
	s_or_b32 exec_lo, exec_lo, s6
	v_or_b32_e32 v39, 0x400, v0
                                        ; implicit-def: $vgpr9_vgpr10
	s_delay_alu instid0(VALU_DEP_1) | instskip(NEXT) | instid1(VALU_DEP_1)
	v_cmp_gt_u32_e64 s5, s40, v39
	s_and_saveexec_b32 s7, s5
	s_cbranch_execz .LBB713_17
; %bb.16:
	v_lshlrev_b32_e32 v9, 3, v39
	s_delay_alu instid0(VALU_DEP_1) | instskip(NEXT) | instid1(VALU_DEP_1)
	v_add_co_u32 v9, s6, v32, v9
	v_add_co_ci_u32_e64 v10, s6, 0, v31, s6
	flat_load_b64 v[9:10], v[9:10]
.LBB713_17:
	s_or_b32 exec_lo, exec_lo, s7
	v_or_b32_e32 v40, 0x500, v0
                                        ; implicit-def: $vgpr11_vgpr12
	s_delay_alu instid0(VALU_DEP_1) | instskip(NEXT) | instid1(VALU_DEP_1)
	v_cmp_gt_u32_e64 s6, s40, v40
	s_and_saveexec_b32 s8, s6
	s_cbranch_execz .LBB713_19
; %bb.18:
	v_lshlrev_b32_e32 v11, 3, v40
	s_delay_alu instid0(VALU_DEP_1) | instskip(NEXT) | instid1(VALU_DEP_1)
	v_add_co_u32 v11, s7, v32, v11
	v_add_co_ci_u32_e64 v12, s7, 0, v31, s7
	flat_load_b64 v[11:12], v[11:12]
.LBB713_19:
	s_or_b32 exec_lo, exec_lo, s8
	v_or_b32_e32 v41, 0x600, v0
                                        ; implicit-def: $vgpr13_vgpr14
	s_delay_alu instid0(VALU_DEP_1) | instskip(NEXT) | instid1(VALU_DEP_1)
	v_cmp_gt_u32_e64 s7, s40, v41
	s_and_saveexec_b32 s9, s7
	s_cbranch_execz .LBB713_21
; %bb.20:
	v_lshlrev_b32_e32 v13, 3, v41
	s_delay_alu instid0(VALU_DEP_1) | instskip(NEXT) | instid1(VALU_DEP_1)
	v_add_co_u32 v13, s8, v32, v13
	v_add_co_ci_u32_e64 v14, s8, 0, v31, s8
	flat_load_b64 v[13:14], v[13:14]
.LBB713_21:
	s_or_b32 exec_lo, exec_lo, s9
	v_or_b32_e32 v42, 0x700, v0
                                        ; implicit-def: $vgpr15_vgpr16
	s_delay_alu instid0(VALU_DEP_1) | instskip(NEXT) | instid1(VALU_DEP_1)
	v_cmp_gt_u32_e64 s8, s40, v42
	s_and_saveexec_b32 s10, s8
	s_cbranch_execz .LBB713_23
; %bb.22:
	v_lshlrev_b32_e32 v15, 3, v42
	s_delay_alu instid0(VALU_DEP_1) | instskip(NEXT) | instid1(VALU_DEP_1)
	v_add_co_u32 v15, s9, v32, v15
	v_add_co_ci_u32_e64 v16, s9, 0, v31, s9
	flat_load_b64 v[15:16], v[15:16]
.LBB713_23:
	s_or_b32 exec_lo, exec_lo, s10
	v_or_b32_e32 v44, 0x800, v0
                                        ; implicit-def: $vgpr17_vgpr18
	s_delay_alu instid0(VALU_DEP_1) | instskip(NEXT) | instid1(VALU_DEP_1)
	v_cmp_gt_u32_e64 s9, s40, v44
	s_and_saveexec_b32 s11, s9
	s_cbranch_execz .LBB713_25
; %bb.24:
	v_lshlrev_b32_e32 v17, 3, v44
	s_delay_alu instid0(VALU_DEP_1) | instskip(NEXT) | instid1(VALU_DEP_1)
	v_add_co_u32 v17, s10, v32, v17
	v_add_co_ci_u32_e64 v18, s10, 0, v31, s10
	flat_load_b64 v[17:18], v[17:18]
.LBB713_25:
	s_or_b32 exec_lo, exec_lo, s11
	v_or_b32_e32 v45, 0x900, v0
                                        ; implicit-def: $vgpr19_vgpr20
	s_delay_alu instid0(VALU_DEP_1) | instskip(NEXT) | instid1(VALU_DEP_1)
	v_cmp_gt_u32_e64 s10, s40, v45
	s_and_saveexec_b32 s12, s10
	s_cbranch_execz .LBB713_27
; %bb.26:
	v_lshlrev_b32_e32 v19, 3, v45
	s_delay_alu instid0(VALU_DEP_1) | instskip(NEXT) | instid1(VALU_DEP_1)
	v_add_co_u32 v19, s11, v32, v19
	v_add_co_ci_u32_e64 v20, s11, 0, v31, s11
	flat_load_b64 v[19:20], v[19:20]
.LBB713_27:
	s_or_b32 exec_lo, exec_lo, s12
	v_or_b32_e32 v46, 0xa00, v0
                                        ; implicit-def: $vgpr21_vgpr22
	s_delay_alu instid0(VALU_DEP_1) | instskip(NEXT) | instid1(VALU_DEP_1)
	v_cmp_gt_u32_e64 s11, s40, v46
	s_and_saveexec_b32 s13, s11
	s_cbranch_execz .LBB713_29
; %bb.28:
	v_lshlrev_b32_e32 v21, 3, v46
	s_delay_alu instid0(VALU_DEP_1) | instskip(NEXT) | instid1(VALU_DEP_1)
	v_add_co_u32 v21, s12, v32, v21
	v_add_co_ci_u32_e64 v22, s12, 0, v31, s12
	flat_load_b64 v[21:22], v[21:22]
.LBB713_29:
	s_or_b32 exec_lo, exec_lo, s13
	v_or_b32_e32 v47, 0xb00, v0
                                        ; implicit-def: $vgpr23_vgpr24
	s_delay_alu instid0(VALU_DEP_1) | instskip(NEXT) | instid1(VALU_DEP_1)
	v_cmp_gt_u32_e64 s12, s40, v47
	s_and_saveexec_b32 s14, s12
	s_cbranch_execz .LBB713_31
; %bb.30:
	v_lshlrev_b32_e32 v23, 3, v47
	s_delay_alu instid0(VALU_DEP_1) | instskip(NEXT) | instid1(VALU_DEP_1)
	v_add_co_u32 v23, s13, v32, v23
	v_add_co_ci_u32_e64 v24, s13, 0, v31, s13
	flat_load_b64 v[23:24], v[23:24]
.LBB713_31:
	s_or_b32 exec_lo, exec_lo, s14
	v_or_b32_e32 v48, 0xc00, v0
                                        ; implicit-def: $vgpr25_vgpr26
	s_delay_alu instid0(VALU_DEP_1) | instskip(NEXT) | instid1(VALU_DEP_1)
	v_cmp_gt_u32_e64 s13, s40, v48
	s_and_saveexec_b32 s15, s13
	s_cbranch_execz .LBB713_33
; %bb.32:
	v_lshlrev_b32_e32 v25, 3, v48
	s_delay_alu instid0(VALU_DEP_1) | instskip(NEXT) | instid1(VALU_DEP_1)
	v_add_co_u32 v25, s14, v32, v25
	v_add_co_ci_u32_e64 v26, s14, 0, v31, s14
	flat_load_b64 v[25:26], v[25:26]
.LBB713_33:
	s_or_b32 exec_lo, exec_lo, s15
	v_or_b32_e32 v49, 0xd00, v0
                                        ; implicit-def: $vgpr27_vgpr28
	s_delay_alu instid0(VALU_DEP_1) | instskip(NEXT) | instid1(VALU_DEP_1)
	v_cmp_gt_u32_e64 s14, s40, v49
	s_and_saveexec_b32 s16, s14
	s_cbranch_execz .LBB713_35
; %bb.34:
	v_lshlrev_b32_e32 v27, 3, v49
	s_delay_alu instid0(VALU_DEP_1) | instskip(NEXT) | instid1(VALU_DEP_1)
	v_add_co_u32 v27, s15, v32, v27
	v_add_co_ci_u32_e64 v28, s15, 0, v31, s15
	flat_load_b64 v[27:28], v[27:28]
.LBB713_35:
	s_or_b32 exec_lo, exec_lo, s16
	v_or_b32_e32 v50, 0xe00, v0
                                        ; implicit-def: $vgpr29_vgpr30
	s_delay_alu instid0(VALU_DEP_1) | instskip(NEXT) | instid1(VALU_DEP_1)
	v_cmp_gt_u32_e64 s15, s40, v50
	s_and_saveexec_b32 s20, s15
	s_cbranch_execz .LBB713_37
; %bb.36:
	v_lshlrev_b32_e32 v29, 3, v50
	s_delay_alu instid0(VALU_DEP_1) | instskip(NEXT) | instid1(VALU_DEP_1)
	v_add_co_u32 v29, s16, v32, v29
	v_add_co_ci_u32_e64 v30, s16, 0, v31, s16
	flat_load_b64 v[29:30], v[29:30]
.LBB713_37:
	s_or_b32 exec_lo, exec_lo, s20
	v_lshlrev_b32_e32 v36, 3, v0
	s_waitcnt vmcnt(0) lgkmcnt(0)
	ds_store_2addr_stride64_b64 v36, v[1:2], v[3:4] offset1:4
	ds_store_2addr_stride64_b64 v36, v[5:6], v[7:8] offset0:8 offset1:12
	ds_store_2addr_stride64_b64 v36, v[9:10], v[11:12] offset0:16 offset1:20
	;; [unrolled: 1-line block ×6, first 2 shown]
	v_mad_u32_u24 v35, 0x70, v0, v36
	ds_store_b64 v36, v[29:30] offset:28672
	s_waitcnt lgkmcnt(0)
	s_barrier
	buffer_gl0_inv
	ds_load_2addr_b64 v[25:28], v35 offset1:1
	ds_load_2addr_b64 v[21:24], v35 offset0:2 offset1:3
	ds_load_2addr_b64 v[17:20], v35 offset0:4 offset1:5
	;; [unrolled: 1-line block ×6, first 2 shown]
	ds_load_b64 v[37:38], v35 offset:112
	s_waitcnt lgkmcnt(0)
	s_barrier
	buffer_gl0_inv
                                        ; implicit-def: $vgpr29
	s_and_saveexec_b32 s16, vcc_lo
	s_cbranch_execz .LBB713_51
; %bb.38:
	v_lshlrev_b32_e32 v29, 2, v0
	s_delay_alu instid0(VALU_DEP_1)
	v_add_co_u32 v29, vcc_lo, v33, v29
	v_add_co_ci_u32_e32 v30, vcc_lo, 0, v34, vcc_lo
	flat_load_b32 v29, v[29:30]
	s_or_b32 exec_lo, exec_lo, s16
                                        ; implicit-def: $vgpr36
	s_and_saveexec_b32 s16, s0
	s_cbranch_execnz .LBB713_52
.LBB713_39:
	s_or_b32 exec_lo, exec_lo, s16
                                        ; implicit-def: $vgpr43
	s_and_saveexec_b32 s0, s1
	s_cbranch_execz .LBB713_53
.LBB713_40:
	v_lshlrev_b32_e32 v30, 2, v0
	s_delay_alu instid0(VALU_DEP_1)
	v_add_co_u32 v51, vcc_lo, v33, v30
	v_add_co_ci_u32_e32 v52, vcc_lo, 0, v34, vcc_lo
	flat_load_b32 v43, v[51:52] offset:2048
	s_or_b32 exec_lo, exec_lo, s0
                                        ; implicit-def: $vgpr51
	s_and_saveexec_b32 s0, s4
	s_cbranch_execnz .LBB713_54
.LBB713_41:
	s_or_b32 exec_lo, exec_lo, s0
                                        ; implicit-def: $vgpr52
	s_and_saveexec_b32 s0, s5
	s_cbranch_execz .LBB713_55
.LBB713_42:
	v_lshlrev_b32_e32 v30, 2, v39
	s_delay_alu instid0(VALU_DEP_1)
	v_add_co_u32 v52, vcc_lo, v33, v30
	v_add_co_ci_u32_e32 v53, vcc_lo, 0, v34, vcc_lo
	flat_load_b32 v52, v[52:53]
	s_or_b32 exec_lo, exec_lo, s0
                                        ; implicit-def: $vgpr55
	s_and_saveexec_b32 s0, s6
	s_cbranch_execnz .LBB713_56
.LBB713_43:
	s_or_b32 exec_lo, exec_lo, s0
                                        ; implicit-def: $vgpr56
	s_and_saveexec_b32 s0, s7
	s_cbranch_execz .LBB713_57
.LBB713_44:
	v_lshlrev_b32_e32 v30, 2, v41
	s_delay_alu instid0(VALU_DEP_1)
	v_add_co_u32 v39, vcc_lo, v33, v30
	v_add_co_ci_u32_e32 v40, vcc_lo, 0, v34, vcc_lo
	flat_load_b32 v56, v[39:40]
	s_or_b32 exec_lo, exec_lo, s0
                                        ; implicit-def: $vgpr57
	s_and_saveexec_b32 s0, s8
	s_cbranch_execnz .LBB713_58
.LBB713_45:
	s_or_b32 exec_lo, exec_lo, s0
                                        ; implicit-def: $vgpr58
	s_and_saveexec_b32 s0, s9
	s_cbranch_execz .LBB713_59
.LBB713_46:
	v_lshlrev_b32_e32 v30, 2, v44
	s_delay_alu instid0(VALU_DEP_1)
	v_add_co_u32 v39, vcc_lo, v33, v30
	v_add_co_ci_u32_e32 v40, vcc_lo, 0, v34, vcc_lo
	flat_load_b32 v58, v[39:40]
	s_or_b32 exec_lo, exec_lo, s0
                                        ; implicit-def: $vgpr59
	s_and_saveexec_b32 s0, s10
	s_cbranch_execnz .LBB713_60
.LBB713_47:
	s_or_b32 exec_lo, exec_lo, s0
                                        ; implicit-def: $vgpr60
	s_and_saveexec_b32 s0, s11
	s_cbranch_execz .LBB713_61
.LBB713_48:
	v_lshlrev_b32_e32 v30, 2, v46
	s_delay_alu instid0(VALU_DEP_1)
	v_add_co_u32 v39, vcc_lo, v33, v30
	v_add_co_ci_u32_e32 v40, vcc_lo, 0, v34, vcc_lo
	flat_load_b32 v60, v[39:40]
	s_or_b32 exec_lo, exec_lo, s0
                                        ; implicit-def: $vgpr61
	s_and_saveexec_b32 s0, s12
	s_cbranch_execnz .LBB713_62
.LBB713_49:
	s_or_b32 exec_lo, exec_lo, s0
                                        ; implicit-def: $vgpr62
	s_and_saveexec_b32 s0, s13
	s_cbranch_execz .LBB713_63
.LBB713_50:
	v_lshlrev_b32_e32 v30, 2, v48
	s_delay_alu instid0(VALU_DEP_1)
	v_add_co_u32 v39, vcc_lo, v33, v30
	v_add_co_ci_u32_e32 v40, vcc_lo, 0, v34, vcc_lo
	flat_load_b32 v62, v[39:40]
	s_or_b32 exec_lo, exec_lo, s0
                                        ; implicit-def: $vgpr63
	s_and_saveexec_b32 s0, s14
	s_cbranch_execz .LBB713_65
	s_branch .LBB713_64
.LBB713_51:
	s_or_b32 exec_lo, exec_lo, s16
                                        ; implicit-def: $vgpr36
	s_and_saveexec_b32 s16, s0
	s_cbranch_execz .LBB713_39
.LBB713_52:
	v_lshlrev_b32_e32 v30, 2, v0
	s_delay_alu instid0(VALU_DEP_1)
	v_add_co_u32 v51, vcc_lo, v33, v30
	v_add_co_ci_u32_e32 v52, vcc_lo, 0, v34, vcc_lo
	flat_load_b32 v36, v[51:52] offset:1024
	s_or_b32 exec_lo, exec_lo, s16
                                        ; implicit-def: $vgpr43
	s_and_saveexec_b32 s0, s1
	s_cbranch_execnz .LBB713_40
.LBB713_53:
	s_or_b32 exec_lo, exec_lo, s0
                                        ; implicit-def: $vgpr51
	s_and_saveexec_b32 s0, s4
	s_cbranch_execz .LBB713_41
.LBB713_54:
	v_lshlrev_b32_e32 v30, 2, v0
	s_delay_alu instid0(VALU_DEP_1)
	v_add_co_u32 v51, vcc_lo, v33, v30
	v_add_co_ci_u32_e32 v52, vcc_lo, 0, v34, vcc_lo
	flat_load_b32 v51, v[51:52] offset:3072
	s_or_b32 exec_lo, exec_lo, s0
                                        ; implicit-def: $vgpr52
	s_and_saveexec_b32 s0, s5
	s_cbranch_execnz .LBB713_42
.LBB713_55:
	s_or_b32 exec_lo, exec_lo, s0
                                        ; implicit-def: $vgpr55
	s_and_saveexec_b32 s0, s6
	s_cbranch_execz .LBB713_43
.LBB713_56:
	v_lshlrev_b32_e32 v30, 2, v40
	s_delay_alu instid0(VALU_DEP_1)
	v_add_co_u32 v39, vcc_lo, v33, v30
	v_add_co_ci_u32_e32 v40, vcc_lo, 0, v34, vcc_lo
	flat_load_b32 v55, v[39:40]
	s_or_b32 exec_lo, exec_lo, s0
                                        ; implicit-def: $vgpr56
	s_and_saveexec_b32 s0, s7
	s_cbranch_execnz .LBB713_44
.LBB713_57:
	s_or_b32 exec_lo, exec_lo, s0
                                        ; implicit-def: $vgpr57
	s_and_saveexec_b32 s0, s8
	s_cbranch_execz .LBB713_45
.LBB713_58:
	v_lshlrev_b32_e32 v30, 2, v42
	s_delay_alu instid0(VALU_DEP_1)
	v_add_co_u32 v39, vcc_lo, v33, v30
	v_add_co_ci_u32_e32 v40, vcc_lo, 0, v34, vcc_lo
	flat_load_b32 v57, v[39:40]
	s_or_b32 exec_lo, exec_lo, s0
                                        ; implicit-def: $vgpr58
	s_and_saveexec_b32 s0, s9
	s_cbranch_execnz .LBB713_46
.LBB713_59:
	s_or_b32 exec_lo, exec_lo, s0
                                        ; implicit-def: $vgpr59
	s_and_saveexec_b32 s0, s10
	s_cbranch_execz .LBB713_47
.LBB713_60:
	v_lshlrev_b32_e32 v30, 2, v45
	s_delay_alu instid0(VALU_DEP_1)
	v_add_co_u32 v39, vcc_lo, v33, v30
	v_add_co_ci_u32_e32 v40, vcc_lo, 0, v34, vcc_lo
	flat_load_b32 v59, v[39:40]
	s_or_b32 exec_lo, exec_lo, s0
                                        ; implicit-def: $vgpr60
	s_and_saveexec_b32 s0, s11
	s_cbranch_execnz .LBB713_48
.LBB713_61:
	s_or_b32 exec_lo, exec_lo, s0
                                        ; implicit-def: $vgpr61
	s_and_saveexec_b32 s0, s12
	s_cbranch_execz .LBB713_49
.LBB713_62:
	v_lshlrev_b32_e32 v30, 2, v47
	s_delay_alu instid0(VALU_DEP_1)
	v_add_co_u32 v39, vcc_lo, v33, v30
	v_add_co_ci_u32_e32 v40, vcc_lo, 0, v34, vcc_lo
	flat_load_b32 v61, v[39:40]
	s_or_b32 exec_lo, exec_lo, s0
                                        ; implicit-def: $vgpr62
	s_and_saveexec_b32 s0, s13
	s_cbranch_execnz .LBB713_50
.LBB713_63:
	s_or_b32 exec_lo, exec_lo, s0
                                        ; implicit-def: $vgpr63
	s_and_saveexec_b32 s0, s14
	s_cbranch_execz .LBB713_65
.LBB713_64:
	v_lshlrev_b32_e32 v30, 2, v49
	s_delay_alu instid0(VALU_DEP_1)
	v_add_co_u32 v39, vcc_lo, v33, v30
	v_add_co_ci_u32_e32 v40, vcc_lo, 0, v34, vcc_lo
	flat_load_b32 v63, v[39:40]
.LBB713_65:
	s_or_b32 exec_lo, exec_lo, s0
	v_mul_u32_u24_e32 v30, 15, v0
                                        ; implicit-def: $vgpr64
	s_and_saveexec_b32 s0, s15
	s_cbranch_execz .LBB713_67
; %bb.66:
	v_lshlrev_b32_e32 v39, 2, v50
	s_delay_alu instid0(VALU_DEP_1)
	v_add_co_u32 v33, vcc_lo, v33, v39
	v_add_co_ci_u32_e32 v34, vcc_lo, 0, v34, vcc_lo
	flat_load_b32 v64, v[33:34]
.LBB713_67:
	s_or_b32 exec_lo, exec_lo, s0
	s_delay_alu instid0(VALU_DEP_1)
	v_add_nc_u32_e32 v40, 1, v30
	v_add_nc_u32_e32 v39, 2, v30
	v_add_nc_u32_e32 v42, 3, v30
	v_add_nc_u32_e32 v41, 4, v30
	v_add_nc_u32_e32 v46, 5, v30
	v_add_nc_u32_e32 v44, 6, v30
	v_add_nc_u32_e32 v48, 7, v30
	v_add_nc_u32_e32 v45, 8, v30
	v_add_nc_u32_e32 v49, 9, v30
	v_add_nc_u32_e32 v47, 10, v30
	v_mad_i32_i24 v33, 0xffffff8c, v0, v35
	v_add_nc_u32_e32 v54, 11, v30
	v_add_nc_u32_e32 v53, 12, v30
	;; [unrolled: 1-line block ×4, first 2 shown]
	s_waitcnt vmcnt(0) lgkmcnt(0)
	ds_store_2addr_stride64_b32 v33, v29, v36 offset1:4
	ds_store_2addr_stride64_b32 v33, v43, v51 offset0:8 offset1:12
	ds_store_2addr_stride64_b32 v33, v52, v55 offset0:16 offset1:20
	;; [unrolled: 1-line block ×6, first 2 shown]
	ds_store_b32 v33, v64 offset:14336
	s_waitcnt lgkmcnt(0)
	s_barrier
.LBB713_68:
	v_lshlrev_b32_e32 v29, 2, v30
	v_lshlrev_b32_e32 v30, 2, v40
	;; [unrolled: 1-line block ×5, first 2 shown]
	buffer_gl0_inv
	v_lshlrev_b32_e32 v39, 2, v46
	v_lshlrev_b32_e32 v40, 2, v44
	;; [unrolled: 1-line block ×3, first 2 shown]
	ds_load_b32 v92, v29
	ds_load_b32 v91, v30
	;; [unrolled: 1-line block ×8, first 2 shown]
	v_lshlrev_b32_e32 v29, 2, v45
	v_lshlrev_b32_e32 v30, 2, v49
	v_lshlrev_b32_e32 v33, 2, v47
	v_lshlrev_b32_e32 v34, 2, v54
	v_lshlrev_b32_e32 v36, 2, v53
	v_lshlrev_b32_e32 v39, 2, v50
	v_lshlrev_b32_e32 v35, 2, v35
	ds_load_b32 v88, v29
	ds_load_b32 v85, v30
	;; [unrolled: 1-line block ×7, first 2 shown]
	s_cmp_eq_u64 s[18:19], 0
	s_waitcnt lgkmcnt(0)
	s_cselect_b32 s41, -1, 0
	s_cmp_lg_u64 s[18:19], 0
	s_barrier
	s_cselect_b32 s15, -1, 0
	s_and_b32 vcc_lo, exec_lo, s17
	buffer_gl0_inv
	s_cbranch_vccz .LBB713_74
; %bb.69:
	s_and_b32 vcc_lo, exec_lo, s15
	s_cbranch_vccz .LBB713_139
; %bb.70:
	v_add_co_u32 v29, vcc_lo, -8, v32
	v_add_co_ci_u32_e32 v30, vcc_lo, -1, v31, vcc_lo
	v_cmp_ne_u64_e64 s0, v[3:4], v[37:38]
	v_cmp_ne_u64_e64 s1, v[1:2], v[3:4]
	v_cmp_ne_u64_e64 s4, v[7:8], v[1:2]
	flat_load_b64 v[29:30], v[29:30]
	v_cmp_ne_u64_e64 s5, v[5:6], v[7:8]
	v_cmp_ne_u64_e64 s6, v[11:12], v[5:6]
	;; [unrolled: 1-line block ×10, first 2 shown]
	v_cmp_ne_u64_e32 vcc_lo, v[25:26], v[27:28]
	v_lshlrev_b32_e32 v33, 3, v0
	s_mov_b32 s42, -1
	ds_store_b64 v33, v[37:38]
	s_waitcnt vmcnt(0) lgkmcnt(0)
	s_barrier
	buffer_gl0_inv
	s_and_saveexec_b32 s16, s3
	s_cbranch_execz .LBB713_72
; %bb.71:
	v_add_nc_u32_e32 v29, -8, v33
	ds_load_b64 v[29:30], v29
.LBB713_72:
	s_or_b32 exec_lo, exec_lo, s16
	v_cndmask_b32_e64 v73, 0, 1, s0
	v_cndmask_b32_e64 v67, 0, 1, s1
	;; [unrolled: 1-line block ×13, first 2 shown]
	s_waitcnt lgkmcnt(0)
	v_cmp_ne_u64_e64 s0, v[29:30], v[25:26]
	v_cndmask_b32_e64 v80, 0, 1, vcc_lo
.LBB713_73:
                                        ; implicit-def: $sgpr1
	s_branch .LBB713_75
.LBB713_74:
	s_mov_b32 s42, 0
                                        ; implicit-def: $sgpr0
                                        ; implicit-def: $vgpr73
                                        ; implicit-def: $vgpr67
                                        ; implicit-def: $vgpr68
                                        ; implicit-def: $vgpr69
                                        ; implicit-def: $vgpr70
                                        ; implicit-def: $vgpr71
                                        ; implicit-def: $vgpr72
                                        ; implicit-def: $vgpr74
                                        ; implicit-def: $vgpr75
                                        ; implicit-def: $vgpr76
                                        ; implicit-def: $vgpr77
                                        ; implicit-def: $vgpr78
                                        ; implicit-def: $vgpr79
                                        ; implicit-def: $vgpr80
                                        ; implicit-def: $sgpr1
	s_cbranch_execnz .LBB713_143
.LBB713_75:
	v_mov_b32_e32 v93, s1
	s_and_saveexec_b32 s1, s42
.LBB713_76:
	s_delay_alu instid0(VALU_DEP_3)
	v_cndmask_b32_e64 v93, 0, 1, s0
.LBB713_77:
	s_or_b32 exec_lo, exec_lo, s1
	s_delay_alu instid0(VALU_DEP_1)
	v_add3_u32 v29, v80, v93, v79
	v_cmp_eq_u32_e64 s13, 0, v80
	v_cmp_eq_u32_e64 s12, 0, v79
	;; [unrolled: 1-line block ×4, first 2 shown]
	v_add3_u32 v99, v29, v78, v77
	v_cmp_eq_u32_e64 s9, 0, v76
	v_cmp_eq_u32_e64 s8, 0, v75
	;; [unrolled: 1-line block ×9, first 2 shown]
	v_cmp_eq_u32_e32 vcc_lo, 0, v73
	v_mbcnt_lo_u32_b32 v96, -1, 0
	v_lshrrev_b32_e32 v97, 5, v0
	v_or_b32_e32 v98, 31, v0
	s_cmp_eq_u64 s[38:39], 0
	s_cselect_b32 s16, -1, 0
	s_cmp_lg_u32 s48, 0
	s_cbranch_scc0 .LBB713_108
; %bb.78:
	v_cndmask_b32_e64 v29, 0, v92, s13
	v_add3_u32 v30, v99, v76, v75
	v_and_b32_e32 v32, 15, v96
	s_delay_alu instid0(VALU_DEP_3) | instskip(NEXT) | instid1(VALU_DEP_3)
	v_add_nc_u32_e32 v29, v29, v91
	v_add3_u32 v30, v30, v74, v72
	s_delay_alu instid0(VALU_DEP_3) | instskip(NEXT) | instid1(VALU_DEP_3)
	v_cmp_lt_u32_e64 s14, 1, v32
	v_cndmask_b32_e64 v29, 0, v29, s12
	s_delay_alu instid0(VALU_DEP_3) | instskip(NEXT) | instid1(VALU_DEP_2)
	v_add3_u32 v30, v30, v71, v70
	v_add_nc_u32_e32 v29, v29, v90
	s_delay_alu instid0(VALU_DEP_2) | instskip(NEXT) | instid1(VALU_DEP_2)
	v_add3_u32 v30, v30, v69, v68
	v_cndmask_b32_e64 v29, 0, v29, s11
	s_delay_alu instid0(VALU_DEP_2) | instskip(NEXT) | instid1(VALU_DEP_2)
	v_add3_u32 v30, v30, v67, v73
	v_add_nc_u32_e32 v29, v29, v89
	s_delay_alu instid0(VALU_DEP_2) | instskip(NEXT) | instid1(VALU_DEP_2)
	v_mov_b32_dpp v33, v30 row_shr:1 row_mask:0xf bank_mask:0xf
	v_cndmask_b32_e64 v29, 0, v29, s10
	s_delay_alu instid0(VALU_DEP_1) | instskip(NEXT) | instid1(VALU_DEP_1)
	v_add_nc_u32_e32 v29, v29, v87
	v_cndmask_b32_e64 v29, 0, v29, s9
	s_delay_alu instid0(VALU_DEP_1) | instskip(NEXT) | instid1(VALU_DEP_1)
	v_add_nc_u32_e32 v29, v29, v86
	;; [unrolled: 3-line block ×10, first 2 shown]
	v_cndmask_b32_e32 v29, 0, v29, vcc_lo
	v_cmp_eq_u32_e32 vcc_lo, 0, v30
	s_delay_alu instid0(VALU_DEP_2) | instskip(NEXT) | instid1(VALU_DEP_1)
	v_add_nc_u32_e32 v29, v29, v94
	v_mov_b32_dpp v31, v29 row_shr:1 row_mask:0xf bank_mask:0xf
	s_delay_alu instid0(VALU_DEP_1) | instskip(SKIP_2) | instid1(VALU_DEP_1)
	v_cndmask_b32_e32 v31, 0, v31, vcc_lo
	v_cmp_eq_u32_e32 vcc_lo, 0, v32
	v_cndmask_b32_e64 v33, v33, 0, vcc_lo
	v_add_nc_u32_e32 v30, v33, v30
	s_delay_alu instid0(VALU_DEP_4) | instskip(NEXT) | instid1(VALU_DEP_2)
	v_cndmask_b32_e64 v31, v31, 0, vcc_lo
	v_cmp_eq_u32_e32 vcc_lo, 0, v30
	s_delay_alu instid0(VALU_DEP_2) | instskip(SKIP_2) | instid1(VALU_DEP_2)
	v_add_nc_u32_e32 v29, v31, v29
	v_mov_b32_dpp v31, v30 row_shr:2 row_mask:0xf bank_mask:0xf
	s_and_b32 vcc_lo, s14, vcc_lo
	v_mov_b32_dpp v33, v29 row_shr:2 row_mask:0xf bank_mask:0xf
	s_delay_alu instid0(VALU_DEP_2) | instskip(SKIP_1) | instid1(VALU_DEP_2)
	v_cndmask_b32_e64 v31, 0, v31, s14
	v_cmp_lt_u32_e64 s14, 3, v32
	v_dual_cndmask_b32 v33, 0, v33 :: v_dual_add_nc_u32 v30, v30, v31
	s_delay_alu instid0(VALU_DEP_1) | instskip(NEXT) | instid1(VALU_DEP_2)
	v_add_nc_u32_e32 v29, v33, v29
	v_mov_b32_dpp v31, v30 row_shr:4 row_mask:0xf bank_mask:0xf
	v_cmp_eq_u32_e32 vcc_lo, 0, v30
	s_delay_alu instid0(VALU_DEP_3) | instskip(NEXT) | instid1(VALU_DEP_3)
	v_mov_b32_dpp v33, v29 row_shr:4 row_mask:0xf bank_mask:0xf
	v_cndmask_b32_e64 v31, 0, v31, s14
	s_and_b32 vcc_lo, s14, vcc_lo
	v_cmp_lt_u32_e64 s14, 7, v32
	s_delay_alu instid0(VALU_DEP_2) | instskip(NEXT) | instid1(VALU_DEP_1)
	v_dual_cndmask_b32 v33, 0, v33 :: v_dual_add_nc_u32 v30, v31, v30
	v_add_nc_u32_e32 v29, v29, v33
	s_delay_alu instid0(VALU_DEP_2) | instskip(SKIP_2) | instid1(VALU_DEP_4)
	v_cmp_eq_u32_e32 vcc_lo, 0, v30
	v_mov_b32_dpp v31, v30 row_shr:8 row_mask:0xf bank_mask:0xf
	v_bfe_i32 v33, v96, 4, 1
	v_mov_b32_dpp v32, v29 row_shr:8 row_mask:0xf bank_mask:0xf
	s_and_b32 vcc_lo, s14, vcc_lo
	s_delay_alu instid0(VALU_DEP_3) | instskip(SKIP_1) | instid1(VALU_DEP_2)
	v_cndmask_b32_e64 v31, 0, v31, s14
	s_mov_b32 s14, exec_lo
	v_cndmask_b32_e32 v32, 0, v32, vcc_lo
	s_delay_alu instid0(VALU_DEP_1) | instskip(NEXT) | instid1(VALU_DEP_3)
	v_add_nc_u32_e32 v32, v32, v29
	v_add_nc_u32_e32 v29, v31, v30
	ds_swizzle_b32 v30, v32 offset:swizzle(BROADCAST,32,15)
	ds_swizzle_b32 v31, v29 offset:swizzle(BROADCAST,32,15)
	v_cmp_eq_u32_e32 vcc_lo, 0, v29
	s_waitcnt lgkmcnt(0)
	v_dual_cndmask_b32 v30, 0, v30 :: v_dual_and_b32 v31, v33, v31
	s_delay_alu instid0(VALU_DEP_1) | instskip(NEXT) | instid1(VALU_DEP_2)
	v_and_b32_e32 v30, v33, v30
	v_add_nc_u32_e32 v29, v31, v29
	v_lshlrev_b32_e32 v31, 3, v97
	s_delay_alu instid0(VALU_DEP_3)
	v_add_nc_u32_e32 v30, v30, v32
	v_cmpx_eq_u32_e64 v98, v0
	s_cbranch_execz .LBB713_80
; %bb.79:
	ds_store_b64 v31, v[29:30] offset:4112
.LBB713_80:
	s_or_b32 exec_lo, exec_lo, s14
	s_delay_alu instid0(SALU_CYCLE_1)
	s_mov_b32 s15, exec_lo
	s_waitcnt lgkmcnt(0)
	s_barrier
	buffer_gl0_inv
	v_cmpx_gt_u32_e32 8, v0
	s_cbranch_execz .LBB713_82
; %bb.81:
	v_lshlrev_b32_e32 v34, 3, v0
	v_and_b32_e32 v36, 7, v96
	ds_load_b64 v[32:33], v34 offset:4112
	v_cmp_lt_u32_e64 s14, 1, v36
	s_waitcnt lgkmcnt(0)
	v_mov_b32_dpp v35, v33 row_shr:1 row_mask:0xf bank_mask:0xf
	v_cmp_eq_u32_e32 vcc_lo, 0, v32
	v_mov_b32_dpp v39, v32 row_shr:1 row_mask:0xf bank_mask:0xf
	s_delay_alu instid0(VALU_DEP_3) | instskip(SKIP_1) | instid1(VALU_DEP_3)
	v_cndmask_b32_e32 v35, 0, v35, vcc_lo
	v_cmp_eq_u32_e32 vcc_lo, 0, v36
	v_cndmask_b32_e64 v39, v39, 0, vcc_lo
	s_delay_alu instid0(VALU_DEP_3) | instskip(NEXT) | instid1(VALU_DEP_2)
	v_cndmask_b32_e64 v35, v35, 0, vcc_lo
	v_add_nc_u32_e32 v32, v39, v32
	s_delay_alu instid0(VALU_DEP_2) | instskip(NEXT) | instid1(VALU_DEP_2)
	v_add_nc_u32_e32 v33, v35, v33
	v_mov_b32_dpp v35, v32 row_shr:2 row_mask:0xf bank_mask:0xf
	v_cmp_eq_u32_e32 vcc_lo, 0, v32
	s_delay_alu instid0(VALU_DEP_3) | instskip(NEXT) | instid1(VALU_DEP_3)
	v_mov_b32_dpp v39, v33 row_shr:2 row_mask:0xf bank_mask:0xf
	v_cndmask_b32_e64 v35, 0, v35, s14
	s_and_b32 vcc_lo, s14, vcc_lo
	s_delay_alu instid0(VALU_DEP_2) | instskip(SKIP_1) | instid1(VALU_DEP_3)
	v_cndmask_b32_e32 v39, 0, v39, vcc_lo
	v_cmp_lt_u32_e64 s14, 3, v36
	v_add_nc_u32_e32 v32, v35, v32
	s_delay_alu instid0(VALU_DEP_3) | instskip(NEXT) | instid1(VALU_DEP_2)
	v_add_nc_u32_e32 v33, v39, v33
	v_cmp_eq_u32_e32 vcc_lo, 0, v32
	v_mov_b32_dpp v35, v32 row_shr:4 row_mask:0xf bank_mask:0xf
	s_delay_alu instid0(VALU_DEP_3) | instskip(SKIP_1) | instid1(VALU_DEP_2)
	v_mov_b32_dpp v36, v33 row_shr:4 row_mask:0xf bank_mask:0xf
	s_and_b32 vcc_lo, s14, vcc_lo
	v_cndmask_b32_e64 v35, 0, v35, s14
	s_delay_alu instid0(VALU_DEP_2) | instskip(NEXT) | instid1(VALU_DEP_2)
	v_cndmask_b32_e32 v36, 0, v36, vcc_lo
	v_add_nc_u32_e32 v32, v35, v32
	s_delay_alu instid0(VALU_DEP_2)
	v_add_nc_u32_e32 v33, v36, v33
	ds_store_b64 v34, v[32:33] offset:4112
.LBB713_82:
	s_or_b32 exec_lo, exec_lo, s15
	v_cmp_gt_u32_e32 vcc_lo, 32, v0
	v_dual_mov_b32 v39, 0 :: v_dual_mov_b32 v40, 0
	s_mov_b32 s15, exec_lo
	s_waitcnt lgkmcnt(0)
	s_barrier
	buffer_gl0_inv
	v_cmpx_lt_u32_e32 31, v0
	s_cbranch_execz .LBB713_84
; %bb.83:
	ds_load_b64 v[39:40], v31 offset:4104
	v_cmp_eq_u32_e64 s14, 0, v29
	s_waitcnt lgkmcnt(0)
	s_delay_alu instid0(VALU_DEP_1) | instskip(SKIP_1) | instid1(VALU_DEP_2)
	v_cndmask_b32_e64 v31, 0, v40, s14
	v_add_nc_u32_e32 v29, v39, v29
	v_add_nc_u32_e32 v30, v31, v30
.LBB713_84:
	s_or_b32 exec_lo, exec_lo, s15
	v_add_nc_u32_e32 v31, -1, v96
	s_delay_alu instid0(VALU_DEP_1) | instskip(NEXT) | instid1(VALU_DEP_1)
	v_cmp_gt_i32_e64 s14, 0, v31
	v_cndmask_b32_e64 v31, v31, v96, s14
	v_cmp_eq_u32_e64 s14, 0, v96
	s_delay_alu instid0(VALU_DEP_2)
	v_lshlrev_b32_e32 v31, 2, v31
	ds_bpermute_b32 v45, v31, v29
	ds_bpermute_b32 v46, v31, v30
	s_and_saveexec_b32 s17, vcc_lo
	s_cbranch_execz .LBB713_107
; %bb.85:
	v_mov_b32_e32 v32, 0
	ds_load_b64 v[29:30], v32 offset:4168
	s_waitcnt lgkmcnt(0)
	v_readfirstlane_b32 s18, v30
	s_and_saveexec_b32 s15, s14
	s_cbranch_execz .LBB713_87
; %bb.86:
	s_add_i32 s20, s48, 32
	s_mov_b32 s21, 0
	v_mov_b32_e32 v31, 1
	s_lshl_b64 s[22:23], s[20:21], 4
	s_mov_b32 s24, s21
	s_add_u32 s22, s36, s22
	s_addc_u32 s23, s37, s23
	s_and_b32 s25, s18, 0xff000000
	s_and_b32 s39, s18, 0xff0000
	s_mov_b32 s38, s21
	v_dual_mov_b32 v34, s23 :: v_dual_mov_b32 v33, s22
	s_or_b64 s[24:25], s[38:39], s[24:25]
	s_and_b32 s39, s18, 0xff00
	s_delay_alu instid0(SALU_CYCLE_1) | instskip(SKIP_1) | instid1(SALU_CYCLE_1)
	s_or_b64 s[24:25], s[24:25], s[38:39]
	s_and_b32 s39, s18, 0xff
	s_or_b64 s[20:21], s[24:25], s[38:39]
	s_delay_alu instid0(SALU_CYCLE_1)
	v_mov_b32_e32 v30, s21
	;;#ASMSTART
	global_store_dwordx4 v[33:34], v[29:32] off	
s_waitcnt vmcnt(0)
	;;#ASMEND
.LBB713_87:
	s_or_b32 exec_lo, exec_lo, s15
	v_xad_u32 v41, v96, -1, s48
	s_mov_b32 s19, 0
	s_mov_b32 s15, exec_lo
	s_delay_alu instid0(VALU_DEP_1) | instskip(NEXT) | instid1(VALU_DEP_1)
	v_add_nc_u32_e32 v31, 32, v41
	v_lshlrev_b64 v[30:31], 4, v[31:32]
	s_delay_alu instid0(VALU_DEP_1) | instskip(NEXT) | instid1(VALU_DEP_2)
	v_add_co_u32 v30, vcc_lo, s36, v30
	v_add_co_ci_u32_e32 v31, vcc_lo, s37, v31, vcc_lo
	;;#ASMSTART
	global_load_dwordx4 v[33:36], v[30:31] off glc	
s_waitcnt vmcnt(0)
	;;#ASMEND
	v_and_b32_e32 v32, 0xff, v34
	v_and_b32_e32 v36, 0xff00, v34
	;; [unrolled: 1-line block ×3, first 2 shown]
	v_or3_b32 v33, v33, 0, 0
	v_and_b32_e32 v34, 0xff000000, v34
	s_delay_alu instid0(VALU_DEP_4) | instskip(SKIP_1) | instid1(VALU_DEP_4)
	v_or3_b32 v32, 0, v32, v36
	v_and_b32_e32 v36, 0xff, v35
	v_or3_b32 v33, v33, 0, 0
	s_delay_alu instid0(VALU_DEP_3) | instskip(NEXT) | instid1(VALU_DEP_3)
	v_or3_b32 v34, v32, v42, v34
	v_cmpx_eq_u16_e32 0, v36
	s_cbranch_execz .LBB713_93
; %bb.88:
	s_mov_b32 s20, 1
	.p2align	6
.LBB713_89:                             ; =>This Loop Header: Depth=1
                                        ;     Child Loop BB713_90 Depth 2
	s_delay_alu instid0(SALU_CYCLE_1)
	s_max_u32 s21, s20, 1
.LBB713_90:                             ;   Parent Loop BB713_89 Depth=1
                                        ; =>  This Inner Loop Header: Depth=2
	s_delay_alu instid0(SALU_CYCLE_1)
	s_add_i32 s21, s21, -1
	s_sleep 1
	s_cmp_eq_u32 s21, 0
	s_cbranch_scc0 .LBB713_90
; %bb.91:                               ;   in Loop: Header=BB713_89 Depth=1
	;;#ASMSTART
	global_load_dwordx4 v[33:36], v[30:31] off glc	
s_waitcnt vmcnt(0)
	;;#ASMEND
	v_and_b32_e32 v32, 0xff, v35
	s_cmp_lt_u32 s20, 32
	s_cselect_b32 s21, -1, 0
	s_delay_alu instid0(VALU_DEP_1) | instskip(SKIP_3) | instid1(SALU_CYCLE_1)
	v_cmp_ne_u16_e32 vcc_lo, 0, v32
	s_cmp_lg_u32 s21, 0
	s_addc_u32 s20, s20, 0
	s_or_b32 s19, vcc_lo, s19
	s_and_not1_b32 exec_lo, exec_lo, s19
	s_cbranch_execnz .LBB713_89
; %bb.92:
	s_or_b32 exec_lo, exec_lo, s19
.LBB713_93:
	s_delay_alu instid0(SALU_CYCLE_1)
	s_or_b32 exec_lo, exec_lo, s15
	v_cmp_ne_u32_e32 vcc_lo, 31, v96
	v_and_b32_e32 v31, 0xff, v35
	v_lshlrev_b32_e64 v47, v96, -1
	v_add_nc_u32_e32 v49, 2, v96
	v_add_nc_u32_e32 v51, 4, v96
	v_add_co_ci_u32_e32 v30, vcc_lo, 0, v96, vcc_lo
	v_cmp_eq_u16_e32 vcc_lo, 2, v31
	v_add_nc_u32_e32 v53, 8, v96
	v_add_nc_u32_e32 v55, 16, v96
	v_and_or_b32 v36, vcc_lo, v47, 0x80000000
	v_cmp_gt_u32_e32 vcc_lo, 30, v96
	s_delay_alu instid0(VALU_DEP_2) | instskip(SKIP_2) | instid1(VALU_DEP_3)
	v_ctz_i32_b32_e32 v36, v36
	v_cndmask_b32_e64 v42, 0, 1, vcc_lo
	v_cmp_eq_u32_e32 vcc_lo, 0, v33
	v_cmp_lt_u32_e64 s15, v96, v36
	s_delay_alu instid0(VALU_DEP_3) | instskip(NEXT) | instid1(VALU_DEP_2)
	v_lshlrev_b32_e32 v42, 1, v42
	s_and_b32 vcc_lo, s15, vcc_lo
	v_lshlrev_b32_e32 v30, 2, v30
	s_delay_alu instid0(VALU_DEP_2)
	v_add_lshl_u32 v48, v42, v96, 2
	ds_bpermute_b32 v31, v30, v34
	s_waitcnt lgkmcnt(0)
	v_cndmask_b32_e32 v31, 0, v31, vcc_lo
	ds_bpermute_b32 v32, v30, v33
	v_cmp_gt_u32_e32 vcc_lo, 28, v96
	v_add_nc_u32_e32 v31, v31, v34
	ds_bpermute_b32 v34, v48, v31
	s_waitcnt lgkmcnt(1)
	v_cndmask_b32_e64 v32, 0, v32, s15
	s_delay_alu instid0(VALU_DEP_1) | instskip(SKIP_1) | instid1(VALU_DEP_2)
	v_add_nc_u32_e32 v32, v32, v33
	v_cndmask_b32_e64 v33, 0, 1, vcc_lo
	v_cmp_eq_u32_e32 vcc_lo, 0, v32
	ds_bpermute_b32 v42, v48, v32
	s_waitcnt lgkmcnt(1)
	v_dual_cndmask_b32 v34, 0, v34 :: v_dual_lshlrev_b32 v33, 2, v33
	v_cmp_gt_u32_e32 vcc_lo, v49, v36
	s_delay_alu instid0(VALU_DEP_2) | instskip(NEXT) | instid1(VALU_DEP_3)
	v_add_lshl_u32 v50, v33, v96, 2
	v_cndmask_b32_e64 v34, v34, 0, vcc_lo
	s_delay_alu instid0(VALU_DEP_1) | instskip(SKIP_4) | instid1(VALU_DEP_2)
	v_add_nc_u32_e32 v31, v34, v31
	ds_bpermute_b32 v33, v50, v31
	s_waitcnt lgkmcnt(1)
	v_cndmask_b32_e64 v34, v42, 0, vcc_lo
	v_cmp_gt_u32_e32 vcc_lo, 24, v96
	v_add_nc_u32_e32 v32, v32, v34
	v_cndmask_b32_e64 v42, 0, 1, vcc_lo
	ds_bpermute_b32 v34, v50, v32
	v_cmp_eq_u32_e32 vcc_lo, 0, v32
	v_lshlrev_b32_e32 v42, 3, v42
	s_delay_alu instid0(VALU_DEP_1) | instskip(SKIP_3) | instid1(VALU_DEP_2)
	v_add_lshl_u32 v52, v42, v96, 2
	s_waitcnt lgkmcnt(1)
	v_cndmask_b32_e32 v33, 0, v33, vcc_lo
	v_cmp_gt_u32_e32 vcc_lo, v51, v36
	v_cndmask_b32_e64 v33, v33, 0, vcc_lo
	s_delay_alu instid0(VALU_DEP_1)
	v_add_nc_u32_e32 v31, v31, v33
	s_waitcnt lgkmcnt(0)
	v_cndmask_b32_e64 v34, v34, 0, vcc_lo
	v_cmp_gt_u32_e32 vcc_lo, 16, v96
	ds_bpermute_b32 v33, v52, v31
	v_add_nc_u32_e32 v32, v32, v34
	v_cndmask_b32_e64 v42, 0, 1, vcc_lo
	ds_bpermute_b32 v34, v52, v32
	v_cmp_eq_u32_e32 vcc_lo, 0, v32
	v_lshlrev_b32_e32 v42, 4, v42
	s_delay_alu instid0(VALU_DEP_1) | instskip(SKIP_3) | instid1(VALU_DEP_2)
	v_add_lshl_u32 v54, v42, v96, 2
	s_waitcnt lgkmcnt(1)
	v_dual_mov_b32 v42, 0 :: v_dual_cndmask_b32 v33, 0, v33
	v_cmp_gt_u32_e32 vcc_lo, v53, v36
	v_cndmask_b32_e64 v33, v33, 0, vcc_lo
	s_delay_alu instid0(VALU_DEP_1)
	v_add_nc_u32_e32 v31, v31, v33
	s_waitcnt lgkmcnt(0)
	v_cndmask_b32_e64 v33, v34, 0, vcc_lo
	ds_bpermute_b32 v34, v54, v31
	v_add_nc_u32_e32 v32, v32, v33
	ds_bpermute_b32 v33, v54, v32
	v_cmp_eq_u32_e32 vcc_lo, 0, v32
	s_waitcnt lgkmcnt(1)
	v_cndmask_b32_e32 v34, 0, v34, vcc_lo
	v_cmp_gt_u32_e32 vcc_lo, v55, v36
	s_delay_alu instid0(VALU_DEP_2) | instskip(SKIP_2) | instid1(VALU_DEP_2)
	v_cndmask_b32_e64 v34, v34, 0, vcc_lo
	s_waitcnt lgkmcnt(0)
	v_cndmask_b32_e64 v33, v33, 0, vcc_lo
	v_add_nc_u32_e32 v34, v34, v31
	s_delay_alu instid0(VALU_DEP_2)
	v_add_nc_u32_e32 v33, v33, v32
	s_branch .LBB713_95
.LBB713_94:                             ;   in Loop: Header=BB713_95 Depth=1
	s_or_b32 exec_lo, exec_lo, s15
	v_and_b32_e32 v36, 0xff, v35
	ds_bpermute_b32 v43, v30, v33
	v_subrev_nc_u32_e32 v41, 32, v41
	v_cmp_eq_u16_e32 vcc_lo, 2, v36
	ds_bpermute_b32 v36, v30, v34
	v_and_or_b32 v44, vcc_lo, v47, 0x80000000
	v_cmp_eq_u32_e32 vcc_lo, 0, v33
	s_delay_alu instid0(VALU_DEP_2) | instskip(NEXT) | instid1(VALU_DEP_1)
	v_ctz_i32_b32_e32 v44, v44
	v_cmp_lt_u32_e64 s15, v96, v44
	s_delay_alu instid0(VALU_DEP_1) | instskip(SKIP_4) | instid1(VALU_DEP_2)
	s_and_b32 vcc_lo, s15, vcc_lo
	s_waitcnt lgkmcnt(1)
	v_cndmask_b32_e64 v43, 0, v43, s15
	s_waitcnt lgkmcnt(0)
	v_cndmask_b32_e32 v36, 0, v36, vcc_lo
	v_add_nc_u32_e32 v33, v43, v33
	s_delay_alu instid0(VALU_DEP_2)
	v_add_nc_u32_e32 v34, v36, v34
	ds_bpermute_b32 v43, v48, v33
	ds_bpermute_b32 v36, v48, v34
	v_cmp_eq_u32_e32 vcc_lo, 0, v33
	s_waitcnt lgkmcnt(0)
	v_cndmask_b32_e32 v36, 0, v36, vcc_lo
	v_cmp_gt_u32_e32 vcc_lo, v49, v44
	v_cndmask_b32_e64 v43, v43, 0, vcc_lo
	s_delay_alu instid0(VALU_DEP_1) | instskip(NEXT) | instid1(VALU_DEP_4)
	v_add_nc_u32_e32 v33, v33, v43
	v_cndmask_b32_e64 v36, v36, 0, vcc_lo
	ds_bpermute_b32 v43, v50, v33
	v_add_nc_u32_e32 v34, v36, v34
	v_cmp_eq_u32_e32 vcc_lo, 0, v33
	ds_bpermute_b32 v36, v50, v34
	s_waitcnt lgkmcnt(0)
	v_cndmask_b32_e32 v36, 0, v36, vcc_lo
	v_cmp_gt_u32_e32 vcc_lo, v51, v44
	v_cndmask_b32_e64 v43, v43, 0, vcc_lo
	s_delay_alu instid0(VALU_DEP_1) | instskip(NEXT) | instid1(VALU_DEP_4)
	v_add_nc_u32_e32 v33, v33, v43
	v_cndmask_b32_e64 v36, v36, 0, vcc_lo
	ds_bpermute_b32 v43, v52, v33
	v_add_nc_u32_e32 v34, v34, v36
	v_cmp_eq_u32_e32 vcc_lo, 0, v33
	ds_bpermute_b32 v36, v52, v34
	;; [unrolled: 11-line block ×3, first 2 shown]
	s_waitcnt lgkmcnt(0)
	v_cndmask_b32_e32 v36, 0, v36, vcc_lo
	v_cmp_gt_u32_e32 vcc_lo, v55, v44
	s_delay_alu instid0(VALU_DEP_2) | instskip(NEXT) | instid1(VALU_DEP_1)
	v_cndmask_b32_e64 v36, v36, 0, vcc_lo
	v_add_nc_u32_e32 v34, v36, v34
	v_cndmask_b32_e64 v36, v43, 0, vcc_lo
	v_cmp_eq_u32_e32 vcc_lo, 0, v31
	s_delay_alu instid0(VALU_DEP_2) | instskip(NEXT) | instid1(VALU_DEP_4)
	v_add3_u32 v33, v33, v31, v36
	v_cndmask_b32_e32 v34, 0, v34, vcc_lo
	s_delay_alu instid0(VALU_DEP_1)
	v_add_nc_u32_e32 v34, v34, v32
.LBB713_95:                             ; =>This Loop Header: Depth=1
                                        ;     Child Loop BB713_98 Depth 2
                                        ;       Child Loop BB713_99 Depth 3
	s_delay_alu instid0(VALU_DEP_1) | instskip(NEXT) | instid1(VALU_DEP_1)
	v_dual_mov_b32 v32, v34 :: v_dual_and_b32 v31, 0xff, v35
	v_cmp_ne_u16_e32 vcc_lo, 2, v31
	v_cndmask_b32_e64 v31, 0, 1, vcc_lo
	;;#ASMSTART
	;;#ASMEND
	s_delay_alu instid0(VALU_DEP_1)
	v_cmp_ne_u32_e32 vcc_lo, 0, v31
	v_mov_b32_e32 v31, v33
	s_cmp_lg_u32 vcc_lo, exec_lo
	s_cbranch_scc1 .LBB713_102
; %bb.96:                               ;   in Loop: Header=BB713_95 Depth=1
	v_lshlrev_b64 v[33:34], 4, v[41:42]
	s_mov_b32 s15, exec_lo
	s_delay_alu instid0(VALU_DEP_1) | instskip(NEXT) | instid1(VALU_DEP_2)
	v_add_co_u32 v43, vcc_lo, s36, v33
	v_add_co_ci_u32_e32 v44, vcc_lo, s37, v34, vcc_lo
	;;#ASMSTART
	global_load_dwordx4 v[33:36], v[43:44] off glc	
s_waitcnt vmcnt(0)
	;;#ASMEND
	v_and_b32_e32 v36, 0xff, v34
	v_and_b32_e32 v56, 0xff00, v34
	;; [unrolled: 1-line block ×3, first 2 shown]
	v_or3_b32 v33, v33, 0, 0
	v_and_b32_e32 v34, 0xff000000, v34
	s_delay_alu instid0(VALU_DEP_4) | instskip(SKIP_1) | instid1(VALU_DEP_4)
	v_or3_b32 v36, 0, v36, v56
	v_and_b32_e32 v56, 0xff, v35
	v_or3_b32 v33, v33, 0, 0
	s_delay_alu instid0(VALU_DEP_3) | instskip(NEXT) | instid1(VALU_DEP_3)
	v_or3_b32 v34, v36, v57, v34
	v_cmpx_eq_u16_e32 0, v56
	s_cbranch_execz .LBB713_94
; %bb.97:                               ;   in Loop: Header=BB713_95 Depth=1
	s_mov_b32 s20, 1
	s_mov_b32 s19, 0
	.p2align	6
.LBB713_98:                             ;   Parent Loop BB713_95 Depth=1
                                        ; =>  This Loop Header: Depth=2
                                        ;       Child Loop BB713_99 Depth 3
	s_max_u32 s21, s20, 1
.LBB713_99:                             ;   Parent Loop BB713_95 Depth=1
                                        ;     Parent Loop BB713_98 Depth=2
                                        ; =>    This Inner Loop Header: Depth=3
	s_delay_alu instid0(SALU_CYCLE_1)
	s_add_i32 s21, s21, -1
	s_sleep 1
	s_cmp_eq_u32 s21, 0
	s_cbranch_scc0 .LBB713_99
; %bb.100:                              ;   in Loop: Header=BB713_98 Depth=2
	;;#ASMSTART
	global_load_dwordx4 v[33:36], v[43:44] off glc	
s_waitcnt vmcnt(0)
	;;#ASMEND
	v_and_b32_e32 v36, 0xff, v35
	s_cmp_lt_u32 s20, 32
	s_cselect_b32 s21, -1, 0
	s_delay_alu instid0(SALU_CYCLE_1) | instskip(NEXT) | instid1(VALU_DEP_1)
	s_cmp_lg_u32 s21, 0
	v_cmp_ne_u16_e32 vcc_lo, 0, v36
	s_addc_u32 s20, s20, 0
	s_or_b32 s19, vcc_lo, s19
	s_delay_alu instid0(SALU_CYCLE_1)
	s_and_not1_b32 exec_lo, exec_lo, s19
	s_cbranch_execnz .LBB713_98
; %bb.101:                              ;   in Loop: Header=BB713_95 Depth=1
	s_or_b32 exec_lo, exec_lo, s19
	s_branch .LBB713_94
.LBB713_102:                            ;   in Loop: Header=BB713_95 Depth=1
                                        ; implicit-def: $vgpr34
                                        ; implicit-def: $vgpr33
                                        ; implicit-def: $vgpr35
	s_cbranch_execz .LBB713_95
; %bb.103:
	s_and_saveexec_b32 s15, s14
	s_cbranch_execz .LBB713_105
; %bb.104:
	v_cmp_eq_u32_e32 vcc_lo, 0, v29
	s_mov_b32 s21, 0
	s_add_i32 s20, s48, 32
	v_add_nc_u32_e32 v33, v31, v29
	s_lshl_b64 s[20:21], s[20:21], 4
	v_cndmask_b32_e32 v30, 0, v32, vcc_lo
	s_add_u32 s20, s36, s20
	s_addc_u32 s21, s37, s21
	v_mov_b32_e32 v36, 0
	s_delay_alu instid0(VALU_DEP_2) | instskip(NEXT) | instid1(VALU_DEP_1)
	v_add_nc_u32_e32 v30, s18, v30
	v_and_b32_e32 v34, 0xff000000, v30
	v_and_b32_e32 v35, 0xff0000, v30
	s_delay_alu instid0(VALU_DEP_1) | instskip(SKIP_3) | instid1(VALU_DEP_1)
	v_or_b32_e32 v34, v35, v34
	v_mov_b32_e32 v35, 2
	v_and_b32_e32 v41, 0xff00, v30
	v_and_b32_e32 v30, 0xff, v30
	v_or3_b32 v34, v34, v41, v30
	v_mov_b32_e32 v30, s18
	v_dual_mov_b32 v42, s21 :: v_dual_mov_b32 v41, s20
	;;#ASMSTART
	global_store_dwordx4 v[41:42], v[33:36] off	
s_waitcnt vmcnt(0)
	;;#ASMEND
	ds_store_b128 v36, v[29:32] offset:4096
.LBB713_105:
	s_or_b32 exec_lo, exec_lo, s15
	s_delay_alu instid0(SALU_CYCLE_1)
	s_and_b32 exec_lo, exec_lo, s2
	s_cbranch_execz .LBB713_107
; %bb.106:
	v_mov_b32_e32 v29, 0
	ds_store_b64 v29, v[31:32] offset:4168
.LBB713_107:
	s_or_b32 exec_lo, exec_lo, s17
	s_waitcnt lgkmcnt(1)
	v_cndmask_b32_e64 v32, v45, v39, s14
	s_waitcnt lgkmcnt(0)
	s_barrier
	buffer_gl0_inv
	v_cndmask_b32_e64 v33, v46, v40, s14
	v_cmp_eq_u32_e32 vcc_lo, 0, v32
	v_mov_b32_e32 v31, 0
	ds_load_b64 v[29:30], v31 offset:4168
	s_waitcnt lgkmcnt(0)
	s_barrier
	buffer_gl0_inv
	v_cndmask_b32_e32 v34, 0, v30, vcc_lo
	v_cmp_eq_u32_e32 vcc_lo, 0, v93
	s_delay_alu instid0(VALU_DEP_2) | instskip(NEXT) | instid1(VALU_DEP_1)
	v_add_nc_u32_e32 v33, v34, v33
	v_cndmask_b32_e64 v56, v33, v30, s2
	s_delay_alu instid0(VALU_DEP_1) | instskip(NEXT) | instid1(VALU_DEP_1)
	v_cndmask_b32_e32 v30, 0, v56, vcc_lo
	v_add_nc_u32_e32 v62, v30, v92
	s_delay_alu instid0(VALU_DEP_1) | instskip(NEXT) | instid1(VALU_DEP_1)
	v_cndmask_b32_e64 v30, 0, v62, s13
	v_add_nc_u32_e32 v58, v30, v91
	s_delay_alu instid0(VALU_DEP_1) | instskip(NEXT) | instid1(VALU_DEP_1)
	v_cndmask_b32_e64 v30, 0, v58, s12
	;; [unrolled: 3-line block ×5, first 2 shown]
	v_add_nc_u32_e32 v42, v30, v86
	v_cndmask_b32_e64 v30, v32, 0, s2
	s_delay_alu instid0(VALU_DEP_2) | instskip(NEXT) | instid1(VALU_DEP_2)
	v_cndmask_b32_e64 v32, 0, v42, s8
	v_add_nc_u32_e32 v55, v29, v30
	s_delay_alu instid0(VALU_DEP_2) | instskip(NEXT) | instid1(VALU_DEP_1)
	v_add_nc_u32_e32 v46, v32, v84
	v_cndmask_b32_e64 v29, 0, v46, s7
	s_delay_alu instid0(VALU_DEP_1) | instskip(NEXT) | instid1(VALU_DEP_1)
	v_add_nc_u32_e32 v50, v29, v82
	v_cndmask_b32_e64 v29, 0, v50, s6
	s_delay_alu instid0(VALU_DEP_1) | instskip(NEXT) | instid1(VALU_DEP_1)
	;; [unrolled: 3-line block ×3, first 2 shown]
	v_add_nc_u32_e32 v36, v29, v85
	v_cndmask_b32_e64 v29, 0, v36, s4
	s_delay_alu instid0(VALU_DEP_1) | instskip(SKIP_2) | instid1(VALU_DEP_1)
	v_add_nc_u32_e32 v40, v29, v83
	ds_load_b128 v[29:32], v31 offset:4096
	v_cndmask_b32_e64 v39, 0, v40, s3
	v_add_nc_u32_e32 v64, v39, v81
	s_delay_alu instid0(VALU_DEP_1) | instskip(NEXT) | instid1(VALU_DEP_1)
	v_cndmask_b32_e64 v51, 0, v64, s1
	v_add_nc_u32_e32 v60, v51, v66
	s_waitcnt lgkmcnt(0)
	v_cmp_eq_u32_e32 vcc_lo, 0, v29
	s_delay_alu instid0(VALU_DEP_2) | instskip(SKIP_1) | instid1(VALU_DEP_2)
	v_cndmask_b32_e64 v52, 0, v60, s0
	v_dual_cndmask_b32 v32, 0, v32 :: v_dual_add_nc_u32 v61, v55, v93
	v_add_nc_u32_e32 v52, v52, v65
	s_delay_alu instid0(VALU_DEP_2) | instskip(NEXT) | instid1(VALU_DEP_3)
	v_add_nc_u32_e32 v95, v32, v30
	v_add_nc_u32_e32 v57, v61, v80
	s_delay_alu instid0(VALU_DEP_1) | instskip(NEXT) | instid1(VALU_DEP_1)
	v_add_nc_u32_e32 v53, v57, v79
	v_add_nc_u32_e32 v47, v53, v78
	s_delay_alu instid0(VALU_DEP_1) | instskip(NEXT) | instid1(VALU_DEP_1)
	;; [unrolled: 3-line block ×6, first 2 shown]
	v_add_nc_u32_e32 v59, v63, v68
	v_add_nc_u32_e32 v51, v59, v67
	s_branch .LBB713_120
.LBB713_108:
                                        ; implicit-def: $vgpr29
                                        ; implicit-def: $vgpr95
                                        ; implicit-def: $vgpr55_vgpr56
                                        ; implicit-def: $vgpr61_vgpr62
                                        ; implicit-def: $vgpr57_vgpr58
                                        ; implicit-def: $vgpr53_vgpr54
                                        ; implicit-def: $vgpr47_vgpr48
                                        ; implicit-def: $vgpr43_vgpr44
                                        ; implicit-def: $vgpr41_vgpr42
                                        ; implicit-def: $vgpr45_vgpr46
                                        ; implicit-def: $vgpr49_vgpr50
                                        ; implicit-def: $vgpr33_vgpr34
                                        ; implicit-def: $vgpr35_vgpr36
                                        ; implicit-def: $vgpr39_vgpr40
                                        ; implicit-def: $vgpr63_vgpr64
                                        ; implicit-def: $vgpr59_vgpr60
                                        ; implicit-def: $vgpr51_vgpr52
	s_cbranch_execz .LBB713_120
; %bb.109:
	s_and_b32 s0, s16, exec_lo
	v_mov_b32_e32 v51, v92
	s_cselect_b32 s1, 0, s35
	s_cselect_b32 s0, 0, s34
	s_delay_alu instid0(SALU_CYCLE_1)
	s_cmp_eq_u64 s[0:1], 0
	s_cbranch_scc1 .LBB713_111
; %bb.110:
	v_mov_b32_e32 v29, 0
	global_load_b32 v51, v29, s[0:1]
.LBB713_111:
	v_cmp_eq_u32_e64 s7, 0, v80
	v_cmp_eq_u32_e64 s8, 0, v79
	;; [unrolled: 1-line block ×5, first 2 shown]
	v_cndmask_b32_e64 v29, 0, v92, s7
	v_cmp_eq_u32_e64 s12, 0, v75
	v_cmp_eq_u32_e64 s6, 0, v74
	;; [unrolled: 1-line block ×4, first 2 shown]
	v_add_nc_u32_e32 v29, v29, v91
	v_cmp_eq_u32_e64 s3, 0, v70
	v_cmp_eq_u32_e64 s1, 0, v69
	v_cmp_eq_u32_e32 vcc_lo, 0, v68
	v_add3_u32 v30, v99, v76, v75
	v_cndmask_b32_e64 v29, 0, v29, s8
	v_cmp_eq_u32_e64 s0, 0, v67
	v_cmp_eq_u32_e64 s13, 0, v73
	v_and_b32_e32 v32, 15, v96
	v_add3_u32 v30, v30, v74, v72
	v_add_nc_u32_e32 v29, v29, v90
	s_delay_alu instid0(VALU_DEP_3) | instskip(NEXT) | instid1(VALU_DEP_3)
	v_cmp_lt_u32_e64 s14, 1, v32
	v_add3_u32 v30, v30, v71, v70
	s_delay_alu instid0(VALU_DEP_3) | instskip(NEXT) | instid1(VALU_DEP_2)
	v_cndmask_b32_e64 v29, 0, v29, s9
	v_add3_u32 v30, v30, v69, v68
	s_delay_alu instid0(VALU_DEP_2) | instskip(NEXT) | instid1(VALU_DEP_2)
	v_add_nc_u32_e32 v29, v29, v89
	v_add3_u32 v30, v30, v67, v73
	s_delay_alu instid0(VALU_DEP_2) | instskip(NEXT) | instid1(VALU_DEP_2)
	v_cndmask_b32_e64 v29, 0, v29, s10
	v_mov_b32_dpp v33, v30 row_shr:1 row_mask:0xf bank_mask:0xf
	s_delay_alu instid0(VALU_DEP_2) | instskip(NEXT) | instid1(VALU_DEP_1)
	v_add_nc_u32_e32 v29, v29, v87
	v_cndmask_b32_e64 v29, 0, v29, s11
	s_delay_alu instid0(VALU_DEP_1) | instskip(NEXT) | instid1(VALU_DEP_1)
	v_add_nc_u32_e32 v29, v29, v86
	v_cndmask_b32_e64 v29, 0, v29, s12
	s_delay_alu instid0(VALU_DEP_1) | instskip(NEXT) | instid1(VALU_DEP_1)
	;; [unrolled: 3-line block ×7, first 2 shown]
	v_add_nc_u32_e32 v29, v29, v81
	v_cndmask_b32_e32 v29, 0, v29, vcc_lo
	s_delay_alu instid0(VALU_DEP_1) | instskip(NEXT) | instid1(VALU_DEP_1)
	v_add_nc_u32_e32 v29, v29, v66
	v_cndmask_b32_e64 v29, 0, v29, s0
	s_delay_alu instid0(VALU_DEP_1) | instskip(NEXT) | instid1(VALU_DEP_1)
	v_add_nc_u32_e32 v29, v29, v65
	v_cndmask_b32_e64 v29, 0, v29, s13
	v_cmp_eq_u32_e64 s13, 0, v30
	s_delay_alu instid0(VALU_DEP_2) | instskip(NEXT) | instid1(VALU_DEP_1)
	v_add_nc_u32_e32 v29, v29, v94
	v_mov_b32_dpp v31, v29 row_shr:1 row_mask:0xf bank_mask:0xf
	s_delay_alu instid0(VALU_DEP_1) | instskip(SKIP_1) | instid1(VALU_DEP_1)
	v_cndmask_b32_e64 v31, 0, v31, s13
	v_cmp_eq_u32_e64 s13, 0, v32
	v_cndmask_b32_e64 v33, v33, 0, s13
	s_delay_alu instid0(VALU_DEP_3) | instskip(NEXT) | instid1(VALU_DEP_2)
	v_cndmask_b32_e64 v31, v31, 0, s13
	v_add_nc_u32_e32 v30, v33, v30
	s_delay_alu instid0(VALU_DEP_2) | instskip(NEXT) | instid1(VALU_DEP_2)
	v_add_nc_u32_e32 v29, v31, v29
	v_mov_b32_dpp v31, v30 row_shr:2 row_mask:0xf bank_mask:0xf
	v_cmp_eq_u32_e64 s13, 0, v30
	s_delay_alu instid0(VALU_DEP_3) | instskip(NEXT) | instid1(VALU_DEP_3)
	v_mov_b32_dpp v33, v29 row_shr:2 row_mask:0xf bank_mask:0xf
	v_cndmask_b32_e64 v31, 0, v31, s14
	s_delay_alu instid0(VALU_DEP_3) | instskip(SKIP_1) | instid1(VALU_DEP_3)
	s_and_b32 s13, s14, s13
	v_cmp_lt_u32_e64 s14, 3, v32
	v_cndmask_b32_e64 v33, 0, v33, s13
	s_delay_alu instid0(VALU_DEP_3) | instskip(NEXT) | instid1(VALU_DEP_2)
	v_add_nc_u32_e32 v30, v30, v31
	v_add_nc_u32_e32 v29, v33, v29
	s_delay_alu instid0(VALU_DEP_2) | instskip(SKIP_1) | instid1(VALU_DEP_3)
	v_mov_b32_dpp v31, v30 row_shr:4 row_mask:0xf bank_mask:0xf
	v_cmp_eq_u32_e64 s13, 0, v30
	v_mov_b32_dpp v33, v29 row_shr:4 row_mask:0xf bank_mask:0xf
	s_delay_alu instid0(VALU_DEP_3) | instskip(NEXT) | instid1(VALU_DEP_3)
	v_cndmask_b32_e64 v31, 0, v31, s14
	s_and_b32 s13, s14, s13
	v_cmp_lt_u32_e64 s14, 7, v32
	s_delay_alu instid0(VALU_DEP_3) | instskip(NEXT) | instid1(VALU_DEP_3)
	v_cndmask_b32_e64 v33, 0, v33, s13
	v_add_nc_u32_e32 v30, v31, v30
	s_delay_alu instid0(VALU_DEP_2) | instskip(SKIP_1) | instid1(VALU_DEP_3)
	v_add_nc_u32_e32 v29, v29, v33
	v_bfe_i32 v33, v96, 4, 1
	v_cmp_eq_u32_e64 s13, 0, v30
	v_mov_b32_dpp v31, v30 row_shr:8 row_mask:0xf bank_mask:0xf
	s_delay_alu instid0(VALU_DEP_4) | instskip(NEXT) | instid1(VALU_DEP_3)
	v_mov_b32_dpp v32, v29 row_shr:8 row_mask:0xf bank_mask:0xf
	s_and_b32 s13, s14, s13
	s_delay_alu instid0(VALU_DEP_2) | instskip(SKIP_1) | instid1(VALU_DEP_2)
	v_cndmask_b32_e64 v31, 0, v31, s14
	s_mov_b32 s14, exec_lo
	v_cndmask_b32_e64 v32, 0, v32, s13
	s_delay_alu instid0(VALU_DEP_1) | instskip(NEXT) | instid1(VALU_DEP_3)
	v_add_nc_u32_e32 v32, v32, v29
	v_add_nc_u32_e32 v29, v31, v30
	ds_swizzle_b32 v30, v32 offset:swizzle(BROADCAST,32,15)
	ds_swizzle_b32 v31, v29 offset:swizzle(BROADCAST,32,15)
	v_cmp_eq_u32_e64 s13, 0, v29
	s_waitcnt lgkmcnt(1)
	s_delay_alu instid0(VALU_DEP_1) | instskip(SKIP_2) | instid1(VALU_DEP_2)
	v_cndmask_b32_e64 v30, 0, v30, s13
	s_waitcnt lgkmcnt(0)
	v_and_b32_e32 v31, v33, v31
	v_and_b32_e32 v30, v33, v30
	s_delay_alu instid0(VALU_DEP_2) | instskip(NEXT) | instid1(VALU_DEP_2)
	v_add_nc_u32_e32 v29, v31, v29
	v_add_nc_u32_e32 v30, v30, v32
	v_cmpx_eq_u32_e64 v98, v0
	s_cbranch_execz .LBB713_113
; %bb.112:
	v_lshlrev_b32_e32 v31, 3, v97
	ds_store_b64 v31, v[29:30] offset:4112
.LBB713_113:
	s_or_b32 exec_lo, exec_lo, s14
	s_delay_alu instid0(SALU_CYCLE_1)
	s_mov_b32 s15, exec_lo
	s_waitcnt vmcnt(0) lgkmcnt(0)
	s_barrier
	buffer_gl0_inv
	v_cmpx_gt_u32_e32 8, v0
	s_cbranch_execz .LBB713_115
; %bb.114:
	v_lshlrev_b32_e32 v33, 3, v0
	v_and_b32_e32 v35, 7, v96
	ds_load_b64 v[31:32], v33 offset:4112
	v_cmp_lt_u32_e64 s14, 1, v35
	s_waitcnt lgkmcnt(0)
	v_mov_b32_dpp v34, v32 row_shr:1 row_mask:0xf bank_mask:0xf
	v_cmp_eq_u32_e64 s13, 0, v31
	v_mov_b32_dpp v36, v31 row_shr:1 row_mask:0xf bank_mask:0xf
	s_delay_alu instid0(VALU_DEP_2) | instskip(SKIP_1) | instid1(VALU_DEP_1)
	v_cndmask_b32_e64 v34, 0, v34, s13
	v_cmp_eq_u32_e64 s13, 0, v35
	v_cndmask_b32_e64 v36, v36, 0, s13
	s_delay_alu instid0(VALU_DEP_3) | instskip(NEXT) | instid1(VALU_DEP_2)
	v_cndmask_b32_e64 v34, v34, 0, s13
	v_add_nc_u32_e32 v31, v36, v31
	s_delay_alu instid0(VALU_DEP_2) | instskip(NEXT) | instid1(VALU_DEP_2)
	v_add_nc_u32_e32 v32, v34, v32
	v_mov_b32_dpp v34, v31 row_shr:2 row_mask:0xf bank_mask:0xf
	v_cmp_eq_u32_e64 s13, 0, v31
	s_delay_alu instid0(VALU_DEP_3) | instskip(NEXT) | instid1(VALU_DEP_3)
	v_mov_b32_dpp v36, v32 row_shr:2 row_mask:0xf bank_mask:0xf
	v_cndmask_b32_e64 v34, 0, v34, s14
	s_delay_alu instid0(VALU_DEP_3) | instskip(SKIP_1) | instid1(VALU_DEP_3)
	s_and_b32 s13, s14, s13
	v_cmp_lt_u32_e64 s14, 3, v35
	v_cndmask_b32_e64 v36, 0, v36, s13
	s_delay_alu instid0(VALU_DEP_3) | instskip(NEXT) | instid1(VALU_DEP_2)
	v_add_nc_u32_e32 v31, v34, v31
	v_add_nc_u32_e32 v32, v36, v32
	s_delay_alu instid0(VALU_DEP_2) | instskip(SKIP_1) | instid1(VALU_DEP_3)
	v_cmp_eq_u32_e64 s13, 0, v31
	v_mov_b32_dpp v34, v31 row_shr:4 row_mask:0xf bank_mask:0xf
	v_mov_b32_dpp v35, v32 row_shr:4 row_mask:0xf bank_mask:0xf
	s_delay_alu instid0(VALU_DEP_3) | instskip(NEXT) | instid1(VALU_DEP_2)
	s_and_b32 s13, s14, s13
	v_cndmask_b32_e64 v34, 0, v34, s14
	s_delay_alu instid0(VALU_DEP_2) | instskip(NEXT) | instid1(VALU_DEP_2)
	v_cndmask_b32_e64 v35, 0, v35, s13
	v_add_nc_u32_e32 v31, v34, v31
	s_delay_alu instid0(VALU_DEP_2)
	v_add_nc_u32_e32 v32, v35, v32
	ds_store_b64 v33, v[31:32] offset:4112
.LBB713_115:
	s_or_b32 exec_lo, exec_lo, s15
	v_dual_mov_b32 v35, 0 :: v_dual_mov_b32 v32, v51
	v_mov_b32_e32 v31, 0
	s_mov_b32 s14, exec_lo
	s_waitcnt lgkmcnt(0)
	s_barrier
	buffer_gl0_inv
	v_cmpx_lt_u32_e32 31, v0
	s_cbranch_execz .LBB713_117
; %bb.116:
	v_lshlrev_b32_e32 v31, 3, v97
	ds_load_b64 v[31:32], v31 offset:4104
	s_waitcnt lgkmcnt(0)
	v_cmp_eq_u32_e64 s13, 0, v31
	s_delay_alu instid0(VALU_DEP_1) | instskip(NEXT) | instid1(VALU_DEP_1)
	v_cndmask_b32_e64 v33, 0, v51, s13
	v_add_nc_u32_e32 v32, v33, v32
.LBB713_117:
	s_or_b32 exec_lo, exec_lo, s14
	v_add_nc_u32_e32 v33, -1, v96
	s_delay_alu instid0(VALU_DEP_1) | instskip(NEXT) | instid1(VALU_DEP_1)
	v_cmp_gt_i32_e64 s13, 0, v33
	v_cndmask_b32_e64 v33, v33, v96, s13
	v_cmp_eq_u32_e64 s13, 0, v29
	v_add_nc_u32_e32 v29, v31, v29
	s_delay_alu instid0(VALU_DEP_3) | instskip(NEXT) | instid1(VALU_DEP_3)
	v_lshlrev_b32_e32 v33, 2, v33
	v_cndmask_b32_e64 v34, 0, v32, s13
	v_cmp_eq_u32_e64 s13, 0, v96
	ds_bpermute_b32 v29, v33, v29
	v_add_nc_u32_e32 v30, v34, v30
	ds_bpermute_b32 v30, v33, v30
	s_waitcnt lgkmcnt(1)
	v_cndmask_b32_e64 v29, v29, v31, s13
	s_delay_alu instid0(VALU_DEP_1) | instskip(SKIP_3) | instid1(VALU_DEP_3)
	v_cndmask_b32_e64 v55, v29, 0, s2
	s_waitcnt lgkmcnt(0)
	v_cndmask_b32_e64 v30, v30, v32, s13
	v_cmp_eq_u32_e64 s13, 0, v93
	v_add_nc_u32_e32 v61, v55, v93
	s_delay_alu instid0(VALU_DEP_3) | instskip(NEXT) | instid1(VALU_DEP_2)
	v_cndmask_b32_e64 v56, v30, v51, s2
	v_add_nc_u32_e32 v57, v61, v80
	s_delay_alu instid0(VALU_DEP_2) | instskip(NEXT) | instid1(VALU_DEP_2)
	v_cndmask_b32_e64 v30, 0, v56, s13
	v_add_nc_u32_e32 v53, v57, v79
	s_delay_alu instid0(VALU_DEP_2) | instskip(NEXT) | instid1(VALU_DEP_2)
	v_add_nc_u32_e32 v62, v30, v92
	v_add_nc_u32_e32 v47, v53, v78
	s_delay_alu instid0(VALU_DEP_2) | instskip(NEXT) | instid1(VALU_DEP_2)
	v_cndmask_b32_e64 v30, 0, v62, s7
	v_add_nc_u32_e32 v43, v47, v77
	s_delay_alu instid0(VALU_DEP_2) | instskip(NEXT) | instid1(VALU_DEP_2)
	v_add_nc_u32_e32 v58, v30, v91
	;; [unrolled: 6-line block ×3, first 2 shown]
	v_add_nc_u32_e32 v49, v45, v74
	s_delay_alu instid0(VALU_DEP_2) | instskip(NEXT) | instid1(VALU_DEP_2)
	v_cndmask_b32_e64 v30, 0, v54, s9
	v_add_nc_u32_e32 v33, v49, v72
	s_delay_alu instid0(VALU_DEP_2) | instskip(NEXT) | instid1(VALU_DEP_1)
	v_add_nc_u32_e32 v48, v30, v89
	v_cndmask_b32_e64 v30, 0, v48, s10
	s_delay_alu instid0(VALU_DEP_1) | instskip(NEXT) | instid1(VALU_DEP_1)
	v_add_nc_u32_e32 v44, v30, v87
	v_cndmask_b32_e64 v30, 0, v44, s11
	s_delay_alu instid0(VALU_DEP_1) | instskip(NEXT) | instid1(VALU_DEP_1)
	;; [unrolled: 3-line block ×6, first 2 shown]
	v_add_nc_u32_e32 v36, v29, v85
	v_cndmask_b32_e64 v29, 0, v36, s3
	s_delay_alu instid0(VALU_DEP_1) | instskip(SKIP_3) | instid1(VALU_DEP_2)
	v_add_nc_u32_e32 v40, v29, v83
	ds_load_b64 v[29:30], v35 offset:4168
	v_add_nc_u32_e32 v35, v33, v71
	v_cndmask_b32_e64 v31, 0, v40, s1
	v_add_nc_u32_e32 v39, v35, v70
	s_delay_alu instid0(VALU_DEP_2) | instskip(NEXT) | instid1(VALU_DEP_2)
	v_add_nc_u32_e32 v64, v31, v81
	v_add_nc_u32_e32 v63, v39, v69
	s_delay_alu instid0(VALU_DEP_2) | instskip(NEXT) | instid1(VALU_DEP_2)
	v_cndmask_b32_e32 v31, 0, v64, vcc_lo
	v_add_nc_u32_e32 v59, v63, v68
	s_delay_alu instid0(VALU_DEP_2) | instskip(SKIP_2) | instid1(VALU_DEP_2)
	v_add_nc_u32_e32 v60, v31, v66
	s_waitcnt lgkmcnt(0)
	v_cmp_eq_u32_e32 vcc_lo, 0, v29
	v_cndmask_b32_e64 v31, 0, v60, s0
	v_cndmask_b32_e32 v32, 0, v51, vcc_lo
	v_add_nc_u32_e32 v51, v59, v67
	s_delay_alu instid0(VALU_DEP_3) | instskip(NEXT) | instid1(VALU_DEP_3)
	v_add_nc_u32_e32 v52, v31, v65
	v_add_nc_u32_e32 v95, v32, v30
	s_and_saveexec_b32 s0, s2
	s_cbranch_execz .LBB713_119
; %bb.118:
	s_delay_alu instid0(VALU_DEP_1)
	v_and_b32_e32 v30, 0xff000000, v95
	v_dual_mov_b32 v32, 0 :: v_dual_and_b32 v31, 0xff0000, v95
	s_add_u32 s4, s36, 0x200
	v_and_b32_e32 v65, 0xff00, v95
	s_addc_u32 s5, s37, 0
	v_and_b32_e32 v66, 0xff, v95
	v_or_b32_e32 v30, v31, v30
	v_mov_b32_e32 v31, 2
	s_delay_alu instid0(VALU_DEP_2)
	v_or3_b32 v30, v30, v65, v66
	v_dual_mov_b32 v66, s5 :: v_dual_mov_b32 v65, s4
	;;#ASMSTART
	global_store_dwordx4 v[65:66], v[29:32] off	
s_waitcnt vmcnt(0)
	;;#ASMEND
.LBB713_119:
	s_or_b32 exec_lo, exec_lo, s0
	v_mov_b32_e32 v31, 0
.LBB713_120:
	v_mov_b32_e32 v65, 0
	s_and_b32 s0, s16, exec_lo
	v_mov_b32_e32 v66, 0
	s_cselect_b32 s1, 0, s47
	s_cselect_b32 s0, 0, s46
	s_delay_alu instid0(SALU_CYCLE_1)
	s_cmp_eq_u64 s[0:1], 0
	s_barrier
	buffer_gl0_inv
	s_cbranch_scc1 .LBB713_122
; %bb.121:
	v_mov_b32_e32 v30, 0
	global_load_b64 v[65:66], v30, s[0:1]
.LBB713_122:
	v_cmp_eq_u32_e32 vcc_lo, 0, v93
	v_cmp_ne_u32_e64 s15, 0, v93
	v_cmp_ne_u32_e64 s14, 0, v80
	;; [unrolled: 1-line block ×4, first 2 shown]
	v_cndmask_b32_e64 v30, 1, 2, vcc_lo
	v_cmp_eq_u32_e32 vcc_lo, 0, v80
	v_cmp_ne_u32_e64 s11, 0, v77
	v_cmp_ne_u32_e64 s10, 0, v76
	v_cmp_ne_u32_e64 s8, 0, v75
	v_cmp_ne_u32_e64 s6, 0, v74
	v_cndmask_b32_e64 v32, 1, 2, vcc_lo
	v_cmp_eq_u32_e32 vcc_lo, 0, v79
	v_cmp_ne_u32_e64 s9, 0, v72
	v_cmp_ne_u32_e64 s7, 0, v71
	;; [unrolled: 1-line block ×3, first 2 shown]
	v_and_b32_e32 v30, v32, v30
	v_cndmask_b32_e64 v81, 1, 2, vcc_lo
	v_cmp_eq_u32_e32 vcc_lo, 0, v78
	v_cmp_ne_u32_e64 s4, 0, v69
	v_cmp_ne_u32_e64 s3, 0, v68
	;; [unrolled: 1-line block ×3, first 2 shown]
	v_and_b32_e32 v30, v30, v81
	v_cndmask_b32_e64 v32, 1, 2, vcc_lo
	v_cmp_eq_u32_e32 vcc_lo, 0, v77
	v_cmp_ne_u32_e64 s0, 0, v73
	s_mov_b32 s17, -1
	s_delay_alu instid0(VALU_DEP_3) | instskip(SKIP_2) | instid1(VALU_DEP_2)
	v_and_b32_e32 v30, v30, v32
	v_cndmask_b32_e64 v81, 1, 2, vcc_lo
	v_cmp_eq_u32_e32 vcc_lo, 0, v76
	v_and_b32_e32 v30, v30, v81
	v_cndmask_b32_e64 v32, 1, 2, vcc_lo
	v_cmp_eq_u32_e32 vcc_lo, 0, v75
	s_waitcnt vmcnt(0)
	v_lshlrev_b64 v[81:82], 3, v[65:66]
	s_delay_alu instid0(VALU_DEP_3) | instskip(SKIP_2) | instid1(VALU_DEP_2)
	v_and_b32_e32 v30, v30, v32
	v_cndmask_b32_e64 v83, 1, 2, vcc_lo
	v_cmp_eq_u32_e32 vcc_lo, 0, v74
	v_and_b32_e32 v30, v30, v83
	v_cndmask_b32_e64 v84, 1, 2, vcc_lo
	v_cmp_eq_u32_e32 vcc_lo, 0, v72
	s_delay_alu instid0(VALU_DEP_2) | instskip(SKIP_2) | instid1(VALU_DEP_2)
	v_and_b32_e32 v30, v30, v84
	v_cndmask_b32_e64 v83, 1, 2, vcc_lo
	v_cmp_eq_u32_e32 vcc_lo, 0, v71
	v_and_b32_e32 v30, v30, v83
	v_cndmask_b32_e64 v84, 1, 2, vcc_lo
	v_cmp_eq_u32_e32 vcc_lo, 0, v70
	s_delay_alu instid0(VALU_DEP_2) | instskip(SKIP_2) | instid1(VALU_DEP_2)
	v_and_b32_e32 v30, v30, v84
	v_cndmask_b32_e64 v83, 1, 2, vcc_lo
	v_cmp_eq_u32_e32 vcc_lo, 0, v69
	v_and_b32_e32 v30, v30, v83
	v_cndmask_b32_e64 v85, 1, 2, vcc_lo
	v_cmp_eq_u32_e32 vcc_lo, 0, v68
	s_delay_alu instid0(VALU_DEP_2) | instskip(SKIP_3) | instid1(VALU_DEP_3)
	v_and_b32_e32 v30, v30, v85
	v_cndmask_b32_e64 v86, 1, 2, vcc_lo
	v_mov_b32_e32 v32, 0
	v_cmp_eq_u32_e32 vcc_lo, 0, v67
	v_and_b32_e32 v85, v30, v86
	s_delay_alu instid0(VALU_DEP_3) | instskip(SKIP_3) | instid1(VALU_DEP_2)
	v_lshlrev_b64 v[83:84], 3, v[31:32]
	v_cndmask_b32_e64 v87, 1, 2, vcc_lo
	v_add_co_u32 v81, vcc_lo, s26, v81
	v_add_co_ci_u32_e32 v82, vcc_lo, s27, v82, vcc_lo
	v_add_co_u32 v30, vcc_lo, v81, v83
	s_delay_alu instid0(VALU_DEP_2) | instskip(SKIP_4) | instid1(VALU_DEP_2)
	v_add_co_ci_u32_e32 v81, vcc_lo, v82, v84, vcc_lo
	v_cmp_eq_u32_e32 vcc_lo, 0, v73
	v_and_b32_e32 v82, v85, v87
	v_cndmask_b32_e64 v83, 1, 2, vcc_lo
	v_cmp_gt_u32_e32 vcc_lo, 0x100, v29
	v_and_b32_e32 v82, v82, v83
	s_delay_alu instid0(VALU_DEP_1)
	v_cmp_gt_i16_e64 s16, 2, v82
	s_cbranch_vccz .LBB713_171
; %bb.123:
	s_delay_alu instid0(VALU_DEP_1)
	s_and_saveexec_b32 s17, s16
	s_cbranch_execz .LBB713_170
; %bb.124:
	s_mov_b32 s18, 0
	s_mov_b32 s16, exec_lo
	v_cmpx_ne_u16_e32 1, v82
	s_xor_b32 s16, exec_lo, s16
	s_cbranch_execz .LBB713_148
; %bb.125:
	s_and_saveexec_b32 s18, s15
	s_cbranch_execz .LBB713_153
; %bb.126:
	v_sub_nc_u32_e32 v83, v55, v31
	v_mov_b32_e32 v84, 0
	s_delay_alu instid0(VALU_DEP_1) | instskip(NEXT) | instid1(VALU_DEP_1)
	v_lshlrev_b64 v[83:84], 3, v[83:84]
	v_add_co_u32 v83, vcc_lo, v30, v83
	s_delay_alu instid0(VALU_DEP_2)
	v_add_co_ci_u32_e32 v84, vcc_lo, v81, v84, vcc_lo
	global_store_b64 v[83:84], v[25:26], off
	s_or_b32 exec_lo, exec_lo, s18
	s_and_saveexec_b32 s18, s14
	s_cbranch_execnz .LBB713_154
.LBB713_127:
	s_or_b32 exec_lo, exec_lo, s18
	s_and_saveexec_b32 s18, s13
	s_cbranch_execz .LBB713_155
.LBB713_128:
	v_sub_nc_u32_e32 v83, v57, v31
	v_mov_b32_e32 v84, 0
	s_delay_alu instid0(VALU_DEP_1) | instskip(NEXT) | instid1(VALU_DEP_1)
	v_lshlrev_b64 v[83:84], 3, v[83:84]
	v_add_co_u32 v83, vcc_lo, v30, v83
	s_delay_alu instid0(VALU_DEP_2)
	v_add_co_ci_u32_e32 v84, vcc_lo, v81, v84, vcc_lo
	global_store_b64 v[83:84], v[21:22], off
	s_or_b32 exec_lo, exec_lo, s18
	s_and_saveexec_b32 s18, s12
	s_cbranch_execnz .LBB713_156
.LBB713_129:
	s_or_b32 exec_lo, exec_lo, s18
	s_and_saveexec_b32 s18, s11
	s_cbranch_execz .LBB713_157
.LBB713_130:
	v_sub_nc_u32_e32 v83, v47, v31
	v_mov_b32_e32 v84, 0
	s_delay_alu instid0(VALU_DEP_1) | instskip(NEXT) | instid1(VALU_DEP_1)
	v_lshlrev_b64 v[83:84], 3, v[83:84]
	v_add_co_u32 v83, vcc_lo, v30, v83
	s_delay_alu instid0(VALU_DEP_2)
	v_add_co_ci_u32_e32 v84, vcc_lo, v81, v84, vcc_lo
	global_store_b64 v[83:84], v[17:18], off
	s_or_b32 exec_lo, exec_lo, s18
	s_and_saveexec_b32 s18, s10
	s_cbranch_execnz .LBB713_158
.LBB713_131:
	s_or_b32 exec_lo, exec_lo, s18
	s_and_saveexec_b32 s18, s8
	s_cbranch_execz .LBB713_159
.LBB713_132:
	v_sub_nc_u32_e32 v83, v41, v31
	v_mov_b32_e32 v84, 0
	s_delay_alu instid0(VALU_DEP_1) | instskip(NEXT) | instid1(VALU_DEP_1)
	v_lshlrev_b64 v[83:84], 3, v[83:84]
	v_add_co_u32 v83, vcc_lo, v30, v83
	s_delay_alu instid0(VALU_DEP_2)
	v_add_co_ci_u32_e32 v84, vcc_lo, v81, v84, vcc_lo
	global_store_b64 v[83:84], v[13:14], off
	s_or_b32 exec_lo, exec_lo, s18
	s_and_saveexec_b32 s18, s6
	s_cbranch_execnz .LBB713_160
.LBB713_133:
	s_or_b32 exec_lo, exec_lo, s18
	s_and_saveexec_b32 s18, s9
	s_cbranch_execz .LBB713_161
.LBB713_134:
	v_sub_nc_u32_e32 v83, v49, v31
	v_mov_b32_e32 v84, 0
	s_delay_alu instid0(VALU_DEP_1) | instskip(NEXT) | instid1(VALU_DEP_1)
	v_lshlrev_b64 v[83:84], 3, v[83:84]
	v_add_co_u32 v83, vcc_lo, v30, v83
	s_delay_alu instid0(VALU_DEP_2)
	v_add_co_ci_u32_e32 v84, vcc_lo, v81, v84, vcc_lo
	global_store_b64 v[83:84], v[9:10], off
	s_or_b32 exec_lo, exec_lo, s18
	s_and_saveexec_b32 s18, s7
	s_cbranch_execnz .LBB713_162
.LBB713_135:
	s_or_b32 exec_lo, exec_lo, s18
	s_and_saveexec_b32 s18, s5
	s_cbranch_execz .LBB713_163
.LBB713_136:
	v_sub_nc_u32_e32 v83, v35, v31
	v_mov_b32_e32 v84, 0
	s_delay_alu instid0(VALU_DEP_1) | instskip(NEXT) | instid1(VALU_DEP_1)
	v_lshlrev_b64 v[83:84], 3, v[83:84]
	v_add_co_u32 v83, vcc_lo, v30, v83
	s_delay_alu instid0(VALU_DEP_2)
	v_add_co_ci_u32_e32 v84, vcc_lo, v81, v84, vcc_lo
	global_store_b64 v[83:84], v[5:6], off
	s_or_b32 exec_lo, exec_lo, s18
	s_and_saveexec_b32 s18, s4
	s_cbranch_execnz .LBB713_164
.LBB713_137:
	s_or_b32 exec_lo, exec_lo, s18
	s_and_saveexec_b32 s18, s3
	s_cbranch_execz .LBB713_165
.LBB713_138:
	v_sub_nc_u32_e32 v83, v63, v31
	v_mov_b32_e32 v84, 0
	s_delay_alu instid0(VALU_DEP_1) | instskip(NEXT) | instid1(VALU_DEP_1)
	v_lshlrev_b64 v[83:84], 3, v[83:84]
	v_add_co_u32 v83, vcc_lo, v30, v83
	s_delay_alu instid0(VALU_DEP_2)
	v_add_co_ci_u32_e32 v84, vcc_lo, v81, v84, vcc_lo
	global_store_b64 v[83:84], v[1:2], off
	s_or_b32 exec_lo, exec_lo, s18
	s_and_saveexec_b32 s18, s1
	s_cbranch_execnz .LBB713_166
	s_branch .LBB713_167
.LBB713_139:
	s_mov_b32 s42, 0
                                        ; implicit-def: $sgpr0
                                        ; implicit-def: $vgpr73
                                        ; implicit-def: $vgpr67
                                        ; implicit-def: $vgpr68
                                        ; implicit-def: $vgpr69
                                        ; implicit-def: $vgpr70
                                        ; implicit-def: $vgpr71
                                        ; implicit-def: $vgpr72
                                        ; implicit-def: $vgpr74
                                        ; implicit-def: $vgpr75
                                        ; implicit-def: $vgpr76
                                        ; implicit-def: $vgpr77
                                        ; implicit-def: $vgpr78
                                        ; implicit-def: $vgpr79
                                        ; implicit-def: $vgpr80
	s_cbranch_execz .LBB713_73
; %bb.140:
	v_cmp_ne_u64_e32 vcc_lo, v[3:4], v[37:38]
	v_lshlrev_b32_e32 v29, 3, v0
                                        ; implicit-def: $sgpr0
	ds_store_b64 v29, v[37:38]
	v_cndmask_b32_e64 v73, 0, 1, vcc_lo
	v_cmp_ne_u64_e32 vcc_lo, v[1:2], v[3:4]
	s_waitcnt lgkmcnt(0)
	s_barrier
	buffer_gl0_inv
	v_cndmask_b32_e64 v67, 0, 1, vcc_lo
	v_cmp_ne_u64_e32 vcc_lo, v[7:8], v[1:2]
	v_cndmask_b32_e64 v68, 0, 1, vcc_lo
	v_cmp_ne_u64_e32 vcc_lo, v[5:6], v[7:8]
	;; [unrolled: 2-line block ×12, first 2 shown]
	v_cndmask_b32_e64 v80, 0, 1, vcc_lo
	s_and_saveexec_b32 s1, s3
	s_delay_alu instid0(SALU_CYCLE_1)
	s_xor_b32 s1, exec_lo, s1
	s_cbranch_execz .LBB713_142
; %bb.141:
	v_add_nc_u32_e32 v29, -8, v29
	s_or_b32 s42, s42, exec_lo
	ds_load_b64 v[29:30], v29
	s_waitcnt lgkmcnt(0)
	v_cmp_ne_u64_e32 vcc_lo, v[29:30], v[25:26]
	s_and_b32 s0, vcc_lo, exec_lo
.LBB713_142:
	s_or_b32 exec_lo, exec_lo, s1
	s_mov_b32 s1, 1
	s_branch .LBB713_75
.LBB713_143:
	s_mul_hi_u32 s0, s18, 0xfffff100
	s_mul_i32 s1, s19, 0xfffff100
	s_sub_i32 s0, s0, s18
	s_mul_i32 s4, s18, 0xfffff100
	s_add_i32 s0, s0, s1
	s_add_u32 s24, s4, s44
	s_addc_u32 s25, s0, s45
	s_and_b32 vcc_lo, exec_lo, s15
	s_cbranch_vccz .LBB713_150
; %bb.144:
	v_add_co_u32 v29, vcc_lo, -8, v32
	v_add_co_ci_u32_e32 v30, vcc_lo, -1, v31, vcc_lo
	v_mad_u32_u24 v31, v0, 15, 14
	v_mov_b32_e32 v32, 0
	v_cmp_ne_u64_e64 s9, v[3:4], v[37:38]
	flat_load_b64 v[29:30], v[29:30]
	v_cmp_ne_u64_e64 s11, v[1:2], v[3:4]
	v_cmp_ne_u64_e64 s12, v[7:8], v[1:2]
	v_cmp_gt_u64_e32 vcc_lo, s[24:25], v[31:32]
	v_mad_u32_u24 v31, v0, 15, 13
	v_cmp_ne_u64_e64 s13, v[5:6], v[7:8]
	v_lshlrev_b32_e32 v34, 3, v0
	v_mul_u32_u24_e32 v33, 15, v0
	s_mov_b32 s42, -1
	v_cmp_gt_u64_e64 s0, s[24:25], v[31:32]
	v_mad_u32_u24 v31, v0, 15, 12
	s_and_b32 s15, vcc_lo, s9
	v_cmp_ne_u64_e64 s9, v[15:16], v[9:10]
	s_mov_b32 s14, 0
	ds_store_b64 v34, v[37:38]
	v_cmp_gt_u64_e64 s1, s[24:25], v[31:32]
	v_mad_u32_u24 v31, v0, 15, 11
	s_and_b32 s16, s0, s11
	v_cmp_ne_u64_e64 s0, v[11:12], v[5:6]
	v_cmp_ne_u64_e64 s11, v[13:14], v[15:16]
	s_waitcnt vmcnt(0) lgkmcnt(0)
	v_cmp_gt_u64_e64 s4, s[24:25], v[31:32]
	v_mad_u32_u24 v31, v0, 15, 10
	s_and_b32 s17, s1, s12
	v_cmp_ne_u64_e64 s12, v[25:26], v[27:28]
	s_barrier
	buffer_gl0_inv
	v_cmp_gt_u64_e64 s5, s[24:25], v[31:32]
	v_mad_u32_u24 v31, v0, 15, 9
	s_and_b32 s13, s4, s13
	v_cmp_ne_u64_e64 s4, v[9:10], v[11:12]
	s_delay_alu instid0(VALU_DEP_2) | instskip(SKIP_2) | instid1(VALU_DEP_1)
	v_cmp_gt_u64_e64 s6, s[24:25], v[31:32]
	v_mad_u32_u24 v31, v0, 15, 8
	s_and_b32 s19, s5, s0
	v_cmp_gt_u64_e64 s7, s[24:25], v[31:32]
	v_mad_u32_u24 v31, v0, 15, 7
	s_delay_alu instid0(VALU_DEP_4) | instskip(SKIP_2) | instid1(VALU_DEP_3)
	s_and_b32 s20, s6, s4
	v_cmp_ne_u64_e64 s4, v[19:20], v[13:14]
	v_cmp_ne_u64_e64 s6, v[17:18], v[19:20]
	v_cmp_gt_u64_e64 s8, s[24:25], v[31:32]
	v_mad_u32_u24 v31, v0, 15, 6
	s_and_b32 s21, s7, s9
	v_cmp_ne_u64_e64 s7, v[23:24], v[17:18]
	v_cmp_ne_u64_e64 s9, v[27:28], v[21:22]
	s_delay_alu instid0(VALU_DEP_3) | instskip(SKIP_3) | instid1(VALU_DEP_2)
	v_cmp_gt_u64_e64 s10, s[24:25], v[31:32]
	v_mad_u32_u24 v31, v0, 15, 5
	s_and_b32 s18, s8, s11
	v_cmp_ne_u64_e64 s8, v[21:22], v[23:24]
	v_cmp_gt_u64_e32 vcc_lo, s[24:25], v[31:32]
	v_mad_u32_u24 v31, v0, 15, 4
	s_and_b32 s10, s10, s4
	s_delay_alu instid0(VALU_DEP_1) | instskip(SKIP_2) | instid1(VALU_DEP_1)
	v_cmp_gt_u64_e64 s1, s[24:25], v[31:32]
	v_mad_u32_u24 v31, v0, 15, 3
	s_and_b32 s6, vcc_lo, s6
	v_cmp_gt_u64_e64 s0, s[24:25], v[31:32]
	v_mad_u32_u24 v31, v0, 15, 2
	s_delay_alu instid0(VALU_DEP_4) | instskip(NEXT) | instid1(VALU_DEP_1)
	s_and_b32 s7, s1, s7
	v_cmp_gt_u64_e64 s5, s[24:25], v[31:32]
	v_mad_u32_u24 v31, v0, 15, 1
	s_delay_alu instid0(VALU_DEP_4) | instskip(NEXT) | instid1(VALU_DEP_1)
	s_and_b32 s1, s0, s8
	v_cmp_gt_u64_e64 s11, s[24:25], v[31:32]
	s_delay_alu instid0(VALU_DEP_3) | instskip(NEXT) | instid1(VALU_DEP_1)
	s_and_b32 s4, s5, s9
	s_and_b32 s5, s11, s12
	s_and_saveexec_b32 s0, s3
	s_cbranch_execz .LBB713_146
; %bb.145:
	v_add_nc_u32_e32 v29, -8, v34
	ds_load_b64 v[29:30], v29
.LBB713_146:
	s_or_b32 exec_lo, exec_lo, s0
	v_mov_b32_e32 v34, v32
	s_waitcnt lgkmcnt(0)
	v_cmp_ne_u64_e64 s0, v[29:30], v[25:26]
	v_cndmask_b32_e64 v73, 0, 1, s15
	v_cndmask_b32_e64 v67, 0, 1, s16
	;; [unrolled: 1-line block ×3, first 2 shown]
	v_cmp_gt_u64_e32 vcc_lo, s[24:25], v[33:34]
	v_cndmask_b32_e64 v69, 0, 1, s13
	v_cndmask_b32_e64 v70, 0, 1, s19
	;; [unrolled: 1-line block ×11, first 2 shown]
	s_and_b32 s0, vcc_lo, s0
	s_and_b32 vcc_lo, exec_lo, s14
	s_cbranch_vccnz .LBB713_151
.LBB713_147:
                                        ; implicit-def: $sgpr1
	v_mov_b32_e32 v93, s1
	s_and_saveexec_b32 s1, s42
	s_cbranch_execnz .LBB713_76
	s_branch .LBB713_77
.LBB713_148:
	s_and_not1_saveexec_b32 s16, s16
	s_cbranch_execz .LBB713_168
.LBB713_149:
	v_sub_nc_u32_e32 v83, v55, v31
	v_mov_b32_e32 v84, 0
	s_or_b32 s18, s18, exec_lo
	s_delay_alu instid0(VALU_DEP_1) | instskip(SKIP_1) | instid1(VALU_DEP_1)
	v_lshlrev_b64 v[85:86], 3, v[83:84]
	v_sub_nc_u32_e32 v83, v61, v31
	v_lshlrev_b64 v[87:88], 3, v[83:84]
	v_sub_nc_u32_e32 v83, v57, v31
	s_delay_alu instid0(VALU_DEP_4) | instskip(SKIP_1) | instid1(VALU_DEP_3)
	v_add_co_u32 v85, vcc_lo, v30, v85
	v_add_co_ci_u32_e32 v86, vcc_lo, v81, v86, vcc_lo
	v_lshlrev_b64 v[89:90], 3, v[83:84]
	v_sub_nc_u32_e32 v83, v53, v31
	v_add_co_u32 v87, vcc_lo, v30, v87
	v_add_co_ci_u32_e32 v88, vcc_lo, v81, v88, vcc_lo
	global_store_b64 v[85:86], v[25:26], off
	v_lshlrev_b64 v[85:86], 3, v[83:84]
	v_sub_nc_u32_e32 v83, v47, v31
	global_store_b64 v[87:88], v[27:28], off
	v_add_co_u32 v87, vcc_lo, v30, v89
	v_add_co_ci_u32_e32 v88, vcc_lo, v81, v90, vcc_lo
	v_lshlrev_b64 v[89:90], 3, v[83:84]
	v_sub_nc_u32_e32 v83, v43, v31
	v_add_co_u32 v85, vcc_lo, v30, v85
	v_add_co_ci_u32_e32 v86, vcc_lo, v81, v86, vcc_lo
	s_delay_alu instid0(VALU_DEP_3) | instskip(SKIP_3) | instid1(VALU_DEP_3)
	v_lshlrev_b64 v[91:92], 3, v[83:84]
	v_sub_nc_u32_e32 v83, v41, v31
	v_add_co_u32 v89, vcc_lo, v30, v89
	v_add_co_ci_u32_e32 v90, vcc_lo, v81, v90, vcc_lo
	v_lshlrev_b64 v[96:97], 3, v[83:84]
	v_sub_nc_u32_e32 v83, v45, v31
	v_add_co_u32 v91, vcc_lo, v30, v91
	v_add_co_ci_u32_e32 v92, vcc_lo, v81, v92, vcc_lo
	s_clause 0x3
	global_store_b64 v[87:88], v[21:22], off
	global_store_b64 v[85:86], v[23:24], off
	;; [unrolled: 1-line block ×4, first 2 shown]
	v_lshlrev_b64 v[85:86], 3, v[83:84]
	v_sub_nc_u32_e32 v83, v49, v31
	v_add_co_u32 v87, vcc_lo, v30, v96
	v_add_co_ci_u32_e32 v88, vcc_lo, v81, v97, vcc_lo
	s_delay_alu instid0(VALU_DEP_3) | instskip(SKIP_3) | instid1(VALU_DEP_3)
	v_lshlrev_b64 v[89:90], 3, v[83:84]
	v_sub_nc_u32_e32 v83, v33, v31
	v_add_co_u32 v85, vcc_lo, v30, v85
	v_add_co_ci_u32_e32 v86, vcc_lo, v81, v86, vcc_lo
	v_lshlrev_b64 v[91:92], 3, v[83:84]
	v_sub_nc_u32_e32 v83, v35, v31
	v_add_co_u32 v89, vcc_lo, v30, v89
	v_add_co_ci_u32_e32 v90, vcc_lo, v81, v90, vcc_lo
	s_delay_alu instid0(VALU_DEP_3)
	v_lshlrev_b64 v[96:97], 3, v[83:84]
	v_sub_nc_u32_e32 v83, v39, v31
	v_add_co_u32 v91, vcc_lo, v30, v91
	v_add_co_ci_u32_e32 v92, vcc_lo, v81, v92, vcc_lo
	s_clause 0x3
	global_store_b64 v[87:88], v[13:14], off
	global_store_b64 v[85:86], v[15:16], off
	;; [unrolled: 1-line block ×4, first 2 shown]
	v_lshlrev_b64 v[85:86], 3, v[83:84]
	v_sub_nc_u32_e32 v83, v63, v31
	v_add_co_u32 v87, vcc_lo, v30, v96
	v_add_co_ci_u32_e32 v88, vcc_lo, v81, v97, vcc_lo
	s_delay_alu instid0(VALU_DEP_3) | instskip(SKIP_3) | instid1(VALU_DEP_3)
	v_lshlrev_b64 v[89:90], 3, v[83:84]
	v_sub_nc_u32_e32 v83, v59, v31
	v_add_co_u32 v85, vcc_lo, v30, v85
	v_add_co_ci_u32_e32 v86, vcc_lo, v81, v86, vcc_lo
	v_lshlrev_b64 v[83:84], 3, v[83:84]
	v_add_co_u32 v89, vcc_lo, v30, v89
	v_add_co_ci_u32_e32 v90, vcc_lo, v81, v90, vcc_lo
	s_clause 0x2
	global_store_b64 v[87:88], v[5:6], off
	global_store_b64 v[85:86], v[7:8], off
	;; [unrolled: 1-line block ×3, first 2 shown]
	v_add_co_u32 v83, vcc_lo, v30, v83
	v_add_co_ci_u32_e32 v84, vcc_lo, v81, v84, vcc_lo
	global_store_b64 v[83:84], v[3:4], off
	s_or_b32 exec_lo, exec_lo, s16
	s_delay_alu instid0(SALU_CYCLE_1)
	s_and_b32 exec_lo, exec_lo, s18
	s_cbranch_execnz .LBB713_169
	s_branch .LBB713_170
.LBB713_150:
                                        ; implicit-def: $sgpr0
                                        ; implicit-def: $vgpr73
                                        ; implicit-def: $vgpr67
                                        ; implicit-def: $vgpr68
                                        ; implicit-def: $vgpr69
                                        ; implicit-def: $vgpr70
                                        ; implicit-def: $vgpr71
                                        ; implicit-def: $vgpr72
                                        ; implicit-def: $vgpr74
                                        ; implicit-def: $vgpr75
                                        ; implicit-def: $vgpr76
                                        ; implicit-def: $vgpr77
                                        ; implicit-def: $vgpr78
                                        ; implicit-def: $vgpr79
                                        ; implicit-def: $vgpr80
	s_cbranch_execz .LBB713_147
.LBB713_151:
	v_mad_u32_u24 v29, v0, 15, 14
	v_dual_mov_b32 v30, 0 :: v_dual_lshlrev_b32 v31, 3, v0
	v_cmp_ne_u64_e64 s7, v[1:2], v[3:4]
	v_cmp_ne_u64_e64 s6, v[3:4], v[37:38]
	;; [unrolled: 1-line block ×3, first 2 shown]
	s_delay_alu instid0(VALU_DEP_4)
	v_cmp_gt_u64_e32 vcc_lo, s[24:25], v[29:30]
	v_mad_u32_u24 v29, v0, 15, 13
	v_cmp_ne_u64_e64 s10, v[5:6], v[7:8]
	v_cmp_ne_u64_e64 s11, v[11:12], v[5:6]
	;; [unrolled: 1-line block ×4, first 2 shown]
	v_cmp_gt_u64_e64 s0, s[24:25], v[29:30]
	v_mad_u32_u24 v29, v0, 15, 12
	s_and_b32 s6, vcc_lo, s6
	v_cmp_ne_u64_e64 s15, v[13:14], v[15:16]
	v_cmp_ne_u64_e64 s16, v[19:20], v[13:14]
	;; [unrolled: 1-line block ×3, first 2 shown]
	v_cmp_gt_u64_e64 s1, s[24:25], v[29:30]
	v_mad_u32_u24 v29, v0, 15, 11
	s_and_b32 s0, s0, s7
	v_cmp_ne_u64_e64 s18, v[23:24], v[17:18]
	v_cndmask_b32_e64 v67, 0, 1, s0
	v_cmp_ne_u64_e64 s20, v[21:22], v[23:24]
	v_cmp_gt_u64_e64 s4, s[24:25], v[29:30]
	v_mad_u32_u24 v29, v0, 15, 10
	s_and_b32 s0, s1, s8
	v_cmp_ne_u64_e64 s21, v[27:28], v[21:22]
	v_cndmask_b32_e64 v68, 0, 1, s0
	v_cmp_ne_u64_e64 s22, v[25:26], v[27:28]
	v_cmp_gt_u64_e64 s5, s[24:25], v[29:30]
	v_mad_u32_u24 v29, v0, 15, 9
	s_and_b32 s0, s4, s10
	v_cndmask_b32_e64 v73, 0, 1, s6
	v_cndmask_b32_e64 v69, 0, 1, s0
	ds_store_b64 v31, v[37:38]
	v_cmp_gt_u64_e64 s9, s[24:25], v[29:30]
	v_mad_u32_u24 v29, v0, 15, 8
	s_and_b32 s1, s5, s11
	s_waitcnt lgkmcnt(0)
	v_cndmask_b32_e64 v70, 0, 1, s1
	s_barrier
	v_cmp_gt_u64_e64 s14, s[24:25], v[29:30]
	v_mad_u32_u24 v29, v0, 15, 7
	s_and_b32 s1, s9, s12
	buffer_gl0_inv
	v_cndmask_b32_e64 v71, 0, 1, s1
	v_cmp_gt_u64_e64 s19, s[24:25], v[29:30]
	v_mad_u32_u24 v29, v0, 15, 6
	s_and_b32 s4, s14, s13
	s_delay_alu instid0(SALU_CYCLE_1) | instskip(NEXT) | instid1(VALU_DEP_2)
	v_cndmask_b32_e64 v72, 0, 1, s4
	v_cmp_gt_u64_e64 s23, s[24:25], v[29:30]
	v_mad_u32_u24 v29, v0, 15, 5
	s_and_b32 s4, s19, s15
	s_delay_alu instid0(SALU_CYCLE_1) | instskip(NEXT) | instid1(VALU_DEP_2)
	v_cndmask_b32_e64 v74, 0, 1, s4
	v_cmp_gt_u64_e32 vcc_lo, s[24:25], v[29:30]
	v_mad_u32_u24 v29, v0, 15, 4
	s_and_b32 s5, s23, s16
	s_delay_alu instid0(SALU_CYCLE_1) | instskip(NEXT) | instid1(VALU_DEP_2)
	v_cndmask_b32_e64 v75, 0, 1, s5
	v_cmp_gt_u64_e64 s0, s[24:25], v[29:30]
	v_mad_u32_u24 v29, v0, 15, 3
	s_and_b32 s5, vcc_lo, s17
	s_delay_alu instid0(SALU_CYCLE_1) | instskip(NEXT) | instid1(VALU_DEP_2)
	v_cndmask_b32_e64 v76, 0, 1, s5
	v_cmp_gt_u64_e64 s1, s[24:25], v[29:30]
	v_mad_u32_u24 v29, v0, 15, 2
	s_and_b32 s0, s0, s18
	s_delay_alu instid0(SALU_CYCLE_1) | instskip(NEXT) | instid1(VALU_DEP_2)
	v_cndmask_b32_e64 v77, 0, 1, s0
	v_cmp_gt_u64_e64 s4, s[24:25], v[29:30]
	v_mad_u32_u24 v29, v0, 15, 1
	s_and_b32 s0, s1, s20
	s_mov_b32 s1, 1
	v_cndmask_b32_e64 v78, 0, 1, s0
	s_delay_alu instid0(VALU_DEP_2) | instskip(SKIP_1) | instid1(SALU_CYCLE_1)
	v_cmp_gt_u64_e32 vcc_lo, s[24:25], v[29:30]
	s_and_b32 s0, s4, s21
	v_cndmask_b32_e64 v79, 0, 1, s0
	s_and_b32 s0, vcc_lo, s22
	s_delay_alu instid0(SALU_CYCLE_1)
	v_cndmask_b32_e64 v80, 0, 1, s0
                                        ; implicit-def: $sgpr0
	s_and_saveexec_b32 s4, s3
	s_cbranch_execz .LBB713_190
; %bb.152:
	v_add_nc_u32_e32 v29, -8, v31
	s_or_b32 s42, s42, exec_lo
	ds_load_b64 v[31:32], v29
	v_mul_u32_u24_e32 v29, 15, v0
	s_delay_alu instid0(VALU_DEP_1) | instskip(SKIP_2) | instid1(VALU_DEP_1)
	v_cmp_gt_u64_e32 vcc_lo, s[24:25], v[29:30]
	s_waitcnt lgkmcnt(0)
	v_cmp_ne_u64_e64 s0, v[31:32], v[25:26]
	s_and_b32 s0, vcc_lo, s0
	s_delay_alu instid0(SALU_CYCLE_1)
	s_and_b32 s0, s0, exec_lo
	s_or_b32 exec_lo, exec_lo, s4
	v_mov_b32_e32 v93, s1
	s_and_saveexec_b32 s1, s42
	s_cbranch_execz .LBB713_77
	s_branch .LBB713_76
.LBB713_153:
	s_or_b32 exec_lo, exec_lo, s18
	s_and_saveexec_b32 s18, s14
	s_cbranch_execz .LBB713_127
.LBB713_154:
	v_sub_nc_u32_e32 v83, v61, v31
	v_mov_b32_e32 v84, 0
	s_delay_alu instid0(VALU_DEP_1) | instskip(NEXT) | instid1(VALU_DEP_1)
	v_lshlrev_b64 v[83:84], 3, v[83:84]
	v_add_co_u32 v83, vcc_lo, v30, v83
	s_delay_alu instid0(VALU_DEP_2)
	v_add_co_ci_u32_e32 v84, vcc_lo, v81, v84, vcc_lo
	global_store_b64 v[83:84], v[27:28], off
	s_or_b32 exec_lo, exec_lo, s18
	s_and_saveexec_b32 s18, s13
	s_cbranch_execnz .LBB713_128
.LBB713_155:
	s_or_b32 exec_lo, exec_lo, s18
	s_and_saveexec_b32 s18, s12
	s_cbranch_execz .LBB713_129
.LBB713_156:
	v_sub_nc_u32_e32 v83, v53, v31
	v_mov_b32_e32 v84, 0
	s_delay_alu instid0(VALU_DEP_1) | instskip(NEXT) | instid1(VALU_DEP_1)
	v_lshlrev_b64 v[83:84], 3, v[83:84]
	v_add_co_u32 v83, vcc_lo, v30, v83
	s_delay_alu instid0(VALU_DEP_2)
	v_add_co_ci_u32_e32 v84, vcc_lo, v81, v84, vcc_lo
	global_store_b64 v[83:84], v[23:24], off
	s_or_b32 exec_lo, exec_lo, s18
	s_and_saveexec_b32 s18, s11
	s_cbranch_execnz .LBB713_130
.LBB713_157:
	s_or_b32 exec_lo, exec_lo, s18
	s_and_saveexec_b32 s18, s10
	s_cbranch_execz .LBB713_131
.LBB713_158:
	v_sub_nc_u32_e32 v83, v43, v31
	v_mov_b32_e32 v84, 0
	s_delay_alu instid0(VALU_DEP_1) | instskip(NEXT) | instid1(VALU_DEP_1)
	v_lshlrev_b64 v[83:84], 3, v[83:84]
	v_add_co_u32 v83, vcc_lo, v30, v83
	s_delay_alu instid0(VALU_DEP_2)
	v_add_co_ci_u32_e32 v84, vcc_lo, v81, v84, vcc_lo
	global_store_b64 v[83:84], v[19:20], off
	s_or_b32 exec_lo, exec_lo, s18
	s_and_saveexec_b32 s18, s8
	s_cbranch_execnz .LBB713_132
.LBB713_159:
	s_or_b32 exec_lo, exec_lo, s18
	s_and_saveexec_b32 s18, s6
	s_cbranch_execz .LBB713_133
.LBB713_160:
	v_sub_nc_u32_e32 v83, v45, v31
	v_mov_b32_e32 v84, 0
	s_delay_alu instid0(VALU_DEP_1) | instskip(NEXT) | instid1(VALU_DEP_1)
	v_lshlrev_b64 v[83:84], 3, v[83:84]
	v_add_co_u32 v83, vcc_lo, v30, v83
	s_delay_alu instid0(VALU_DEP_2)
	v_add_co_ci_u32_e32 v84, vcc_lo, v81, v84, vcc_lo
	global_store_b64 v[83:84], v[15:16], off
	s_or_b32 exec_lo, exec_lo, s18
	s_and_saveexec_b32 s18, s9
	s_cbranch_execnz .LBB713_134
.LBB713_161:
	s_or_b32 exec_lo, exec_lo, s18
	s_and_saveexec_b32 s18, s7
	s_cbranch_execz .LBB713_135
.LBB713_162:
	v_sub_nc_u32_e32 v83, v33, v31
	v_mov_b32_e32 v84, 0
	s_delay_alu instid0(VALU_DEP_1) | instskip(NEXT) | instid1(VALU_DEP_1)
	v_lshlrev_b64 v[83:84], 3, v[83:84]
	v_add_co_u32 v83, vcc_lo, v30, v83
	s_delay_alu instid0(VALU_DEP_2)
	v_add_co_ci_u32_e32 v84, vcc_lo, v81, v84, vcc_lo
	global_store_b64 v[83:84], v[11:12], off
	s_or_b32 exec_lo, exec_lo, s18
	s_and_saveexec_b32 s18, s5
	s_cbranch_execnz .LBB713_136
.LBB713_163:
	s_or_b32 exec_lo, exec_lo, s18
	s_and_saveexec_b32 s18, s4
	s_cbranch_execz .LBB713_137
.LBB713_164:
	v_sub_nc_u32_e32 v83, v39, v31
	v_mov_b32_e32 v84, 0
	s_delay_alu instid0(VALU_DEP_1) | instskip(NEXT) | instid1(VALU_DEP_1)
	v_lshlrev_b64 v[83:84], 3, v[83:84]
	v_add_co_u32 v83, vcc_lo, v30, v83
	s_delay_alu instid0(VALU_DEP_2)
	v_add_co_ci_u32_e32 v84, vcc_lo, v81, v84, vcc_lo
	global_store_b64 v[83:84], v[7:8], off
	s_or_b32 exec_lo, exec_lo, s18
	s_and_saveexec_b32 s18, s3
	s_cbranch_execnz .LBB713_138
.LBB713_165:
	s_or_b32 exec_lo, exec_lo, s18
	s_and_saveexec_b32 s18, s1
	s_cbranch_execz .LBB713_167
.LBB713_166:
	v_sub_nc_u32_e32 v83, v59, v31
	v_mov_b32_e32 v84, 0
	s_delay_alu instid0(VALU_DEP_1) | instskip(NEXT) | instid1(VALU_DEP_1)
	v_lshlrev_b64 v[83:84], 3, v[83:84]
	v_add_co_u32 v83, vcc_lo, v30, v83
	s_delay_alu instid0(VALU_DEP_2)
	v_add_co_ci_u32_e32 v84, vcc_lo, v81, v84, vcc_lo
	global_store_b64 v[83:84], v[3:4], off
.LBB713_167:
	s_or_b32 exec_lo, exec_lo, s18
	s_delay_alu instid0(SALU_CYCLE_1)
	s_and_b32 s18, s0, exec_lo
	s_and_not1_saveexec_b32 s16, s16
	s_cbranch_execnz .LBB713_149
.LBB713_168:
	s_or_b32 exec_lo, exec_lo, s16
	s_delay_alu instid0(SALU_CYCLE_1)
	s_and_b32 exec_lo, exec_lo, s18
	s_cbranch_execz .LBB713_170
.LBB713_169:
	v_sub_nc_u32_e32 v83, v51, v31
	v_mov_b32_e32 v84, 0
	s_delay_alu instid0(VALU_DEP_1) | instskip(NEXT) | instid1(VALU_DEP_1)
	v_lshlrev_b64 v[83:84], 3, v[83:84]
	v_add_co_u32 v83, vcc_lo, v30, v83
	s_delay_alu instid0(VALU_DEP_2)
	v_add_co_ci_u32_e32 v84, vcc_lo, v81, v84, vcc_lo
	global_store_b64 v[83:84], v[37:38], off
.LBB713_170:
	s_or_b32 exec_lo, exec_lo, s17
	s_mov_b32 s17, 0
.LBB713_171:
	s_delay_alu instid0(SALU_CYCLE_1)
	s_and_b32 vcc_lo, exec_lo, s17
	s_cbranch_vccz .LBB713_212
; %bb.172:
	s_mov_b32 s16, exec_lo
	v_cmpx_gt_i16_e32 2, v82
	s_cbranch_execz .LBB713_208
; %bb.173:
	s_mov_b32 s18, 0
	s_mov_b32 s17, exec_lo
	v_cmpx_ne_u16_e32 1, v82
	s_xor_b32 s17, exec_lo, s17
	s_cbranch_execz .LBB713_188
; %bb.174:
	s_and_saveexec_b32 s18, s15
	s_cbranch_execz .LBB713_191
; %bb.175:
	v_sub_nc_u32_e32 v82, v55, v31
	s_delay_alu instid0(VALU_DEP_1)
	v_lshlrev_b32_e32 v82, 3, v82
	ds_store_b64 v82, v[25:26]
	s_or_b32 exec_lo, exec_lo, s18
	s_and_saveexec_b32 s15, s14
	s_cbranch_execnz .LBB713_192
.LBB713_176:
	s_or_b32 exec_lo, exec_lo, s15
	s_and_saveexec_b32 s14, s13
	s_cbranch_execz .LBB713_193
.LBB713_177:
	v_sub_nc_u32_e32 v25, v57, v31
	s_delay_alu instid0(VALU_DEP_1)
	v_lshlrev_b32_e32 v25, 3, v25
	ds_store_b64 v25, v[21:22]
	s_or_b32 exec_lo, exec_lo, s14
	s_and_saveexec_b32 s13, s12
	s_cbranch_execnz .LBB713_194
.LBB713_178:
	s_or_b32 exec_lo, exec_lo, s13
	s_and_saveexec_b32 s12, s11
	s_cbranch_execz .LBB713_195
.LBB713_179:
	v_sub_nc_u32_e32 v21, v47, v31
	s_delay_alu instid0(VALU_DEP_1)
	v_lshlrev_b32_e32 v21, 3, v21
	ds_store_b64 v21, v[17:18]
	s_or_b32 exec_lo, exec_lo, s12
	s_and_saveexec_b32 s11, s10
	s_cbranch_execnz .LBB713_196
.LBB713_180:
	s_or_b32 exec_lo, exec_lo, s11
	s_and_saveexec_b32 s10, s8
	s_cbranch_execz .LBB713_197
.LBB713_181:
	v_sub_nc_u32_e32 v17, v41, v31
	s_delay_alu instid0(VALU_DEP_1)
	v_lshlrev_b32_e32 v17, 3, v17
	ds_store_b64 v17, v[13:14]
	s_or_b32 exec_lo, exec_lo, s10
	s_and_saveexec_b32 s8, s6
	s_cbranch_execnz .LBB713_198
.LBB713_182:
	s_or_b32 exec_lo, exec_lo, s8
	s_and_saveexec_b32 s6, s9
	s_cbranch_execz .LBB713_199
.LBB713_183:
	v_sub_nc_u32_e32 v13, v49, v31
	s_delay_alu instid0(VALU_DEP_1)
	v_lshlrev_b32_e32 v13, 3, v13
	ds_store_b64 v13, v[9:10]
	s_or_b32 exec_lo, exec_lo, s6
	s_and_saveexec_b32 s6, s7
	s_cbranch_execnz .LBB713_200
.LBB713_184:
	s_or_b32 exec_lo, exec_lo, s6
	s_and_saveexec_b32 s6, s5
	s_cbranch_execz .LBB713_201
.LBB713_185:
	v_sub_nc_u32_e32 v9, v35, v31
	s_delay_alu instid0(VALU_DEP_1)
	v_lshlrev_b32_e32 v9, 3, v9
	ds_store_b64 v9, v[5:6]
	s_or_b32 exec_lo, exec_lo, s6
	s_and_saveexec_b32 s5, s4
	s_cbranch_execnz .LBB713_202
.LBB713_186:
	s_or_b32 exec_lo, exec_lo, s5
	s_and_saveexec_b32 s4, s3
	s_cbranch_execz .LBB713_203
.LBB713_187:
	v_sub_nc_u32_e32 v5, v63, v31
	s_delay_alu instid0(VALU_DEP_1)
	v_lshlrev_b32_e32 v5, 3, v5
	ds_store_b64 v5, v[1:2]
	s_or_b32 exec_lo, exec_lo, s4
	s_and_saveexec_b32 s3, s1
	s_cbranch_execnz .LBB713_204
	s_branch .LBB713_205
.LBB713_188:
	s_and_not1_saveexec_b32 s0, s17
	s_cbranch_execz .LBB713_206
.LBB713_189:
	v_sub_nc_u32_e32 v82, v55, v31
	v_sub_nc_u32_e32 v83, v61, v31
	;; [unrolled: 1-line block ×4, first 2 shown]
	s_or_b32 s18, s18, exec_lo
	v_lshlrev_b32_e32 v82, 3, v82
	v_lshlrev_b32_e32 v83, 3, v83
	;; [unrolled: 1-line block ×4, first 2 shown]
	ds_store_b64 v82, v[25:26]
	ds_store_b64 v83, v[27:28]
	;; [unrolled: 1-line block ×3, first 2 shown]
	v_sub_nc_u32_e32 v21, v47, v31
	v_sub_nc_u32_e32 v22, v43, v31
	ds_store_b64 v85, v[23:24]
	v_sub_nc_u32_e32 v23, v41, v31
	v_sub_nc_u32_e32 v24, v45, v31
	v_lshlrev_b32_e32 v21, 3, v21
	v_sub_nc_u32_e32 v25, v49, v31
	v_lshlrev_b32_e32 v22, 3, v22
	v_lshlrev_b32_e32 v23, 3, v23
	;; [unrolled: 1-line block ×3, first 2 shown]
	ds_store_b64 v21, v[17:18]
	v_lshlrev_b32_e32 v17, 3, v25
	ds_store_b64 v22, v[19:20]
	ds_store_b64 v23, v[13:14]
	;; [unrolled: 1-line block ×3, first 2 shown]
	v_sub_nc_u32_e32 v13, v33, v31
	v_sub_nc_u32_e32 v15, v59, v31
	;; [unrolled: 1-line block ×3, first 2 shown]
	ds_store_b64 v17, v[9:10]
	v_sub_nc_u32_e32 v9, v35, v31
	v_lshlrev_b32_e32 v13, 3, v13
	v_sub_nc_u32_e32 v10, v39, v31
	v_lshlrev_b32_e32 v14, 3, v14
	s_delay_alu instid0(VALU_DEP_4)
	v_lshlrev_b32_e32 v9, 3, v9
	ds_store_b64 v13, v[11:12]
	v_lshlrev_b32_e32 v11, 3, v15
	v_lshlrev_b32_e32 v10, 3, v10
	ds_store_b64 v9, v[5:6]
	ds_store_b64 v10, v[7:8]
	;; [unrolled: 1-line block ×4, first 2 shown]
	s_or_b32 exec_lo, exec_lo, s0
	s_delay_alu instid0(SALU_CYCLE_1)
	s_and_b32 exec_lo, exec_lo, s18
	s_cbranch_execnz .LBB713_207
	s_branch .LBB713_208
.LBB713_190:
	s_or_b32 exec_lo, exec_lo, s4
	v_mov_b32_e32 v93, s1
	s_and_saveexec_b32 s1, s42
	s_cbranch_execnz .LBB713_76
	s_branch .LBB713_77
.LBB713_191:
	s_or_b32 exec_lo, exec_lo, s18
	s_and_saveexec_b32 s15, s14
	s_cbranch_execz .LBB713_176
.LBB713_192:
	v_sub_nc_u32_e32 v25, v61, v31
	s_delay_alu instid0(VALU_DEP_1)
	v_lshlrev_b32_e32 v25, 3, v25
	ds_store_b64 v25, v[27:28]
	s_or_b32 exec_lo, exec_lo, s15
	s_and_saveexec_b32 s14, s13
	s_cbranch_execnz .LBB713_177
.LBB713_193:
	s_or_b32 exec_lo, exec_lo, s14
	s_and_saveexec_b32 s13, s12
	s_cbranch_execz .LBB713_178
.LBB713_194:
	v_sub_nc_u32_e32 v21, v53, v31
	s_delay_alu instid0(VALU_DEP_1)
	v_lshlrev_b32_e32 v21, 3, v21
	ds_store_b64 v21, v[23:24]
	s_or_b32 exec_lo, exec_lo, s13
	s_and_saveexec_b32 s12, s11
	s_cbranch_execnz .LBB713_179
.LBB713_195:
	s_or_b32 exec_lo, exec_lo, s12
	s_and_saveexec_b32 s11, s10
	s_cbranch_execz .LBB713_180
.LBB713_196:
	v_sub_nc_u32_e32 v17, v43, v31
	s_delay_alu instid0(VALU_DEP_1)
	v_lshlrev_b32_e32 v17, 3, v17
	ds_store_b64 v17, v[19:20]
	s_or_b32 exec_lo, exec_lo, s11
	s_and_saveexec_b32 s10, s8
	s_cbranch_execnz .LBB713_181
.LBB713_197:
	s_or_b32 exec_lo, exec_lo, s10
	s_and_saveexec_b32 s8, s6
	s_cbranch_execz .LBB713_182
.LBB713_198:
	v_sub_nc_u32_e32 v13, v45, v31
	s_delay_alu instid0(VALU_DEP_1)
	v_lshlrev_b32_e32 v13, 3, v13
	ds_store_b64 v13, v[15:16]
	s_or_b32 exec_lo, exec_lo, s8
	s_and_saveexec_b32 s6, s9
	s_cbranch_execnz .LBB713_183
.LBB713_199:
	s_or_b32 exec_lo, exec_lo, s6
	s_and_saveexec_b32 s6, s7
	s_cbranch_execz .LBB713_184
.LBB713_200:
	v_sub_nc_u32_e32 v9, v33, v31
	s_delay_alu instid0(VALU_DEP_1)
	v_lshlrev_b32_e32 v9, 3, v9
	ds_store_b64 v9, v[11:12]
	s_or_b32 exec_lo, exec_lo, s6
	s_and_saveexec_b32 s6, s5
	s_cbranch_execnz .LBB713_185
.LBB713_201:
	s_or_b32 exec_lo, exec_lo, s6
	s_and_saveexec_b32 s5, s4
	s_cbranch_execz .LBB713_186
.LBB713_202:
	v_sub_nc_u32_e32 v5, v39, v31
	s_delay_alu instid0(VALU_DEP_1)
	v_lshlrev_b32_e32 v5, 3, v5
	ds_store_b64 v5, v[7:8]
	s_or_b32 exec_lo, exec_lo, s5
	s_and_saveexec_b32 s4, s3
	s_cbranch_execnz .LBB713_187
.LBB713_203:
	s_or_b32 exec_lo, exec_lo, s4
	s_and_saveexec_b32 s3, s1
	s_cbranch_execz .LBB713_205
.LBB713_204:
	v_sub_nc_u32_e32 v1, v59, v31
	s_delay_alu instid0(VALU_DEP_1)
	v_lshlrev_b32_e32 v1, 3, v1
	ds_store_b64 v1, v[3:4]
.LBB713_205:
	s_or_b32 exec_lo, exec_lo, s3
	s_delay_alu instid0(SALU_CYCLE_1)
	s_and_b32 s18, s0, exec_lo
                                        ; implicit-def: $vgpr25_vgpr26
                                        ; implicit-def: $vgpr21_vgpr22
                                        ; implicit-def: $vgpr17_vgpr18
                                        ; implicit-def: $vgpr13_vgpr14
                                        ; implicit-def: $vgpr9_vgpr10
                                        ; implicit-def: $vgpr5_vgpr6
                                        ; implicit-def: $vgpr1_vgpr2
	s_and_not1_saveexec_b32 s0, s17
	s_cbranch_execnz .LBB713_189
.LBB713_206:
	s_or_b32 exec_lo, exec_lo, s0
	s_delay_alu instid0(SALU_CYCLE_1)
	s_and_b32 exec_lo, exec_lo, s18
	s_cbranch_execz .LBB713_208
.LBB713_207:
	v_sub_nc_u32_e32 v1, v51, v31
	s_delay_alu instid0(VALU_DEP_1)
	v_lshlrev_b32_e32 v1, 3, v1
	ds_store_b64 v1, v[37:38]
.LBB713_208:
	s_or_b32 exec_lo, exec_lo, s16
	s_delay_alu instid0(SALU_CYCLE_1)
	s_mov_b32 s1, exec_lo
	s_waitcnt lgkmcnt(0)
	s_waitcnt_vscnt null, 0x0
	s_barrier
	buffer_gl0_inv
	v_cmpx_lt_u32_e64 v0, v29
	s_cbranch_execz .LBB713_211
; %bb.209:
	v_dual_mov_b32 v2, 0 :: v_dual_lshlrev_b32 v3, 3, v0
	v_mov_b32_e32 v1, v0
	s_mov_b32 s3, 0
	.p2align	6
.LBB713_210:                            ; =>This Inner Loop Header: Depth=1
	ds_load_b64 v[4:5], v3
	v_lshlrev_b64 v[6:7], 3, v[1:2]
	v_add_nc_u32_e32 v1, 0x100, v1
	v_add_nc_u32_e32 v3, 0x800, v3
	s_delay_alu instid0(VALU_DEP_2) | instskip(NEXT) | instid1(VALU_DEP_4)
	v_cmp_ge_u32_e32 vcc_lo, v1, v29
	v_add_co_u32 v6, s0, v30, v6
	s_delay_alu instid0(VALU_DEP_1)
	v_add_co_ci_u32_e64 v7, s0, v81, v7, s0
	s_or_b32 s3, vcc_lo, s3
	s_waitcnt lgkmcnt(0)
	global_store_b64 v[6:7], v[4:5], off
	s_and_not1_b32 exec_lo, exec_lo, s3
	s_cbranch_execnz .LBB713_210
.LBB713_211:
	s_or_b32 exec_lo, exec_lo, s1
.LBB713_212:
	s_cmpk_lg_i32 s40, 0xf00
	v_cndmask_b32_e64 v8, 0, 1, s41
	s_cselect_b32 s0, -1, 0
	v_mad_i32_i24 v4, v0, -15, s40
	s_and_b32 s0, s0, s33
	s_and_b32 s1, s2, s41
	v_cndmask_b32_e64 v2, 0, 1, s0
	s_mul_hi_u32 s0, s40, 0x88888889
	v_sub_nc_u32_e32 v1, v29, v8
	s_lshr_b32 s0, s0, 3
	v_cndmask_b32_e64 v5, v93, 0, s1
	v_cmp_eq_u32_e32 vcc_lo, s0, v0
	v_cmp_ne_u32_e64 s0, 0, v4
	s_mov_b32 s16, -1
	s_waitcnt_vscnt null, 0x0
	s_barrier
	s_and_b32 vcc_lo, vcc_lo, s33
	v_add_nc_u32_e32 v3, v1, v2
	v_cndmask_b32_e64 v1, 1, v5, s0
	v_cmp_ne_u32_e64 s0, 1, v4
	buffer_gl0_inv
	v_cndmask_b32_e64 v2, 1, v80, s0
	v_cmp_ne_u32_e64 s0, 2, v4
	s_delay_alu instid0(VALU_DEP_2) | instskip(NEXT) | instid1(VALU_DEP_2)
	v_dual_cndmask_b32 v12, v5, v1 :: v_dual_cndmask_b32 v13, v80, v2
	v_cndmask_b32_e64 v6, 1, v79, s0
	v_cmp_ne_u32_e64 s0, 14, v4
	s_delay_alu instid0(VALU_DEP_3) | instskip(NEXT) | instid1(VALU_DEP_4)
	v_cmp_ne_u32_e64 s14, 0, v12
	v_cmp_ne_u32_e64 s13, 0, v13
	s_delay_alu instid0(VALU_DEP_4) | instskip(NEXT) | instid1(VALU_DEP_4)
	v_cndmask_b32_e32 v14, v79, v6, vcc_lo
	v_cndmask_b32_e64 v7, 1, v73, s0
	v_cmp_ne_u32_e64 s0, 3, v4
	s_delay_alu instid0(VALU_DEP_3) | instskip(NEXT) | instid1(VALU_DEP_3)
	v_cmp_ne_u32_e64 s12, 0, v14
	v_cndmask_b32_e32 v11, v73, v7, vcc_lo
	s_delay_alu instid0(VALU_DEP_3) | instskip(SKIP_1) | instid1(VALU_DEP_1)
	v_cndmask_b32_e64 v9, 1, v78, s0
	v_cmp_ne_u32_e64 s0, 4, v4
	v_cndmask_b32_e64 v10, 1, v77, s0
	v_cmp_ne_u32_e64 s0, 5, v4
	s_delay_alu instid0(VALU_DEP_2) | instskip(NEXT) | instid1(VALU_DEP_2)
	v_dual_cndmask_b32 v9, v78, v9 :: v_dual_cndmask_b32 v10, v77, v10
	v_cndmask_b32_e64 v1, 1, v76, s0
	v_cmp_ne_u32_e64 s0, 6, v4
	s_delay_alu instid0(VALU_DEP_3) | instskip(NEXT) | instid1(VALU_DEP_4)
	v_cmp_ne_u32_e64 s11, 0, v9
	v_cmp_ne_u32_e64 s10, 0, v10
	s_delay_alu instid0(VALU_DEP_4) | instskip(NEXT) | instid1(VALU_DEP_4)
	v_cndmask_b32_e32 v18, v76, v1, vcc_lo
	v_cndmask_b32_e64 v2, 1, v75, s0
	v_cmp_eq_u32_e64 s0, 0, v12
	s_delay_alu instid0(VALU_DEP_3) | instskip(NEXT) | instid1(VALU_DEP_3)
	v_cmp_ne_u32_e64 s9, 0, v18
	v_cndmask_b32_e32 v20, v75, v2, vcc_lo
	s_delay_alu instid0(VALU_DEP_3) | instskip(SKIP_1) | instid1(VALU_DEP_3)
	v_cndmask_b32_e64 v5, 1, 2, s0
	v_cmp_eq_u32_e64 s0, 0, v13
	v_cmp_ne_u32_e64 s8, 0, v20
	s_delay_alu instid0(VALU_DEP_2) | instskip(SKIP_1) | instid1(VALU_DEP_2)
	v_cndmask_b32_e64 v7, 1, 2, s0
	v_cmp_ne_u32_e64 s0, 7, v4
	v_and_b32_e32 v5, v7, v5
	s_delay_alu instid0(VALU_DEP_2) | instskip(SKIP_1) | instid1(VALU_DEP_2)
	v_cndmask_b32_e64 v6, 1, v74, s0
	v_cmp_eq_u32_e64 s0, 0, v14
	v_cndmask_b32_e32 v21, v74, v6, vcc_lo
	s_delay_alu instid0(VALU_DEP_2) | instskip(SKIP_1) | instid1(VALU_DEP_3)
	v_cndmask_b32_e64 v7, 1, 2, s0
	v_cmp_ne_u32_e64 s0, 8, v4
	v_cmp_ne_u32_e64 s7, 0, v21
	s_delay_alu instid0(VALU_DEP_3) | instskip(NEXT) | instid1(VALU_DEP_3)
	v_and_b32_e32 v5, v5, v7
	v_cndmask_b32_e64 v15, 1, v72, s0
	v_cmp_ne_u32_e64 s0, 9, v4
	s_delay_alu instid0(VALU_DEP_2) | instskip(NEXT) | instid1(VALU_DEP_2)
	v_cndmask_b32_e32 v15, v72, v15, vcc_lo
	v_cndmask_b32_e64 v16, 1, v71, s0
	v_cmp_eq_u32_e64 s0, 0, v9
	s_delay_alu instid0(VALU_DEP_2) | instskip(NEXT) | instid1(VALU_DEP_2)
	v_cndmask_b32_e32 v16, v71, v16, vcc_lo
	v_cndmask_b32_e64 v7, 1, 2, s0
	v_cmp_ne_u32_e64 s0, 10, v4
	s_delay_alu instid0(VALU_DEP_3) | instskip(NEXT) | instid1(VALU_DEP_3)
	v_cmp_ne_u32_e64 s5, 0, v16
	v_and_b32_e32 v1, v5, v7
	s_delay_alu instid0(VALU_DEP_3) | instskip(SKIP_1) | instid1(VALU_DEP_2)
	v_cndmask_b32_e64 v17, 1, v70, s0
	v_cmp_eq_u32_e64 s0, 0, v10
	v_cndmask_b32_e32 v17, v70, v17, vcc_lo
	s_delay_alu instid0(VALU_DEP_2) | instskip(SKIP_1) | instid1(VALU_DEP_3)
	v_cndmask_b32_e64 v5, 1, 2, s0
	v_cmp_ne_u32_e64 s0, 11, v4
	v_cmp_ne_u32_e64 s4, 0, v17
	s_delay_alu instid0(VALU_DEP_3) | instskip(NEXT) | instid1(VALU_DEP_3)
	v_and_b32_e32 v1, v1, v5
	v_cndmask_b32_e64 v7, 1, v69, s0
	v_cmp_ne_u32_e64 s0, 13, v4
	s_delay_alu instid0(VALU_DEP_2) | instskip(NEXT) | instid1(VALU_DEP_2)
	v_cndmask_b32_e32 v23, v69, v7, vcc_lo
	v_cndmask_b32_e64 v19, 1, v67, s0
	v_cmp_eq_u32_e64 s0, 0, v18
	s_delay_alu instid0(VALU_DEP_1) | instskip(SKIP_1) | instid1(VALU_DEP_2)
	v_cndmask_b32_e64 v5, 1, 2, s0
	v_cmp_ne_u32_e64 s0, 12, v4
	v_and_b32_e32 v1, v1, v5
	s_delay_alu instid0(VALU_DEP_2) | instskip(SKIP_1) | instid1(VALU_DEP_2)
	v_cndmask_b32_e64 v2, 1, v68, s0
	v_cmp_eq_u32_e64 s0, 0, v20
	v_cndmask_b32_e32 v22, v68, v2, vcc_lo
	s_delay_alu instid0(VALU_DEP_2)
	v_cndmask_b32_e64 v4, 1, 2, s0
	v_cmp_eq_u32_e64 s0, 0, v21
	v_cndmask_b32_e32 v19, v67, v19, vcc_lo
	v_cmp_eq_u32_e32 vcc_lo, 0, v15
	v_cmp_ne_u32_e64 s2, 0, v22
	v_and_b32_e32 v6, v1, v4
	v_lshlrev_b64 v[1:2], 2, v[65:66]
	v_cndmask_b32_e64 v7, 1, 2, s0
	v_lshlrev_b64 v[4:5], 2, v[31:32]
	v_cmp_ne_u32_e64 s1, 0, v19
	v_cmp_ne_u32_e64 s0, 0, v11
	s_delay_alu instid0(VALU_DEP_4) | instskip(SKIP_4) | instid1(VALU_DEP_4)
	v_and_b32_e32 v6, v6, v7
	v_cndmask_b32_e64 v7, 1, 2, vcc_lo
	v_add_co_u32 v1, vcc_lo, s28, v1
	v_add_co_ci_u32_e32 v2, vcc_lo, s29, v2, vcc_lo
	v_cmp_eq_u32_e32 vcc_lo, 0, v16
	v_and_b32_e32 v6, v6, v7
	v_cndmask_b32_e64 v7, 1, 2, vcc_lo
	v_add_co_u32 v4, vcc_lo, v1, v4
	v_add_co_ci_u32_e32 v5, vcc_lo, v2, v5, vcc_lo
	v_cmp_eq_u32_e32 vcc_lo, 0, v17
	v_lshlrev_b32_e32 v1, 2, v8
	v_and_b32_e32 v2, v6, v7
	v_cndmask_b32_e64 v6, 1, 2, vcc_lo
	s_delay_alu instid0(VALU_DEP_3) | instskip(SKIP_1) | instid1(VALU_DEP_3)
	v_add_co_u32 v1, vcc_lo, v1, v4
	v_add_co_ci_u32_e32 v7, vcc_lo, 0, v5, vcc_lo
	v_and_b32_e32 v2, v2, v6
	v_cmp_eq_u32_e32 vcc_lo, 0, v23
	v_cmp_ne_u32_e64 s3, 0, v23
	v_cndmask_b32_e64 v24, 1, 2, vcc_lo
	v_add_co_u32 v6, vcc_lo, v1, -4
	v_add_co_ci_u32_e32 v7, vcc_lo, -1, v7, vcc_lo
	v_cmp_eq_u32_e32 vcc_lo, 0, v22
	v_add_nc_u32_e32 v1, v31, v8
	v_and_b32_e32 v2, v2, v24
	v_cmp_ne_u32_e64 s6, 0, v15
	v_cndmask_b32_e64 v8, 1, 2, vcc_lo
	v_cmp_eq_u32_e32 vcc_lo, 0, v19
	s_delay_alu instid0(VALU_DEP_2) | instskip(SKIP_2) | instid1(VALU_DEP_2)
	v_and_b32_e32 v2, v2, v8
	v_cndmask_b32_e64 v8, 1, 2, vcc_lo
	v_cmp_eq_u32_e32 vcc_lo, 0, v11
	v_and_b32_e32 v2, v2, v8
	v_cndmask_b32_e64 v8, 1, 2, vcc_lo
	v_cmp_gt_u32_e32 vcc_lo, 0x100, v3
	s_delay_alu instid0(VALU_DEP_2) | instskip(NEXT) | instid1(VALU_DEP_1)
	v_and_b32_e32 v2, v2, v8
	v_cmp_gt_i16_e64 s15, 2, v2
	s_cbranch_vccz .LBB713_229
; %bb.213:
	s_delay_alu instid0(VALU_DEP_1)
	s_and_saveexec_b32 s16, s15
	s_cbranch_execz .LBB713_267
; %bb.214:
	s_mov_b32 s17, 0
	s_mov_b32 s15, exec_lo
	v_cmpx_ne_u16_e32 1, v2
	s_xor_b32 s15, exec_lo, s15
	s_cbranch_execz .LBB713_246
; %bb.215:
	s_and_saveexec_b32 s17, s14
	s_cbranch_execz .LBB713_250
; %bb.216:
	v_sub_nc_u32_e32 v8, v55, v1
	v_mov_b32_e32 v9, 0
	s_delay_alu instid0(VALU_DEP_1) | instskip(NEXT) | instid1(VALU_DEP_1)
	v_lshlrev_b64 v[8:9], 2, v[8:9]
	v_add_co_u32 v8, vcc_lo, v6, v8
	s_delay_alu instid0(VALU_DEP_2)
	v_add_co_ci_u32_e32 v9, vcc_lo, v7, v9, vcc_lo
	global_store_b32 v[8:9], v56, off
	s_or_b32 exec_lo, exec_lo, s17
	s_and_saveexec_b32 s17, s13
	s_cbranch_execnz .LBB713_251
.LBB713_217:
	s_or_b32 exec_lo, exec_lo, s17
	s_and_saveexec_b32 s17, s12
	s_cbranch_execz .LBB713_252
.LBB713_218:
	v_sub_nc_u32_e32 v8, v57, v1
	v_mov_b32_e32 v9, 0
	s_delay_alu instid0(VALU_DEP_1) | instskip(NEXT) | instid1(VALU_DEP_1)
	v_lshlrev_b64 v[8:9], 2, v[8:9]
	v_add_co_u32 v8, vcc_lo, v6, v8
	s_delay_alu instid0(VALU_DEP_2)
	v_add_co_ci_u32_e32 v9, vcc_lo, v7, v9, vcc_lo
	global_store_b32 v[8:9], v58, off
	s_or_b32 exec_lo, exec_lo, s17
	s_and_saveexec_b32 s17, s11
	s_cbranch_execnz .LBB713_253
.LBB713_219:
	s_or_b32 exec_lo, exec_lo, s17
	s_and_saveexec_b32 s17, s10
	s_cbranch_execz .LBB713_254
.LBB713_220:
	v_sub_nc_u32_e32 v8, v47, v1
	v_mov_b32_e32 v9, 0
	s_delay_alu instid0(VALU_DEP_1) | instskip(NEXT) | instid1(VALU_DEP_1)
	v_lshlrev_b64 v[8:9], 2, v[8:9]
	v_add_co_u32 v8, vcc_lo, v6, v8
	s_delay_alu instid0(VALU_DEP_2)
	v_add_co_ci_u32_e32 v9, vcc_lo, v7, v9, vcc_lo
	global_store_b32 v[8:9], v48, off
	s_or_b32 exec_lo, exec_lo, s17
	s_and_saveexec_b32 s17, s9
	s_cbranch_execnz .LBB713_255
.LBB713_221:
	s_or_b32 exec_lo, exec_lo, s17
	s_and_saveexec_b32 s17, s8
	s_cbranch_execz .LBB713_256
.LBB713_222:
	v_sub_nc_u32_e32 v8, v41, v1
	v_mov_b32_e32 v9, 0
	s_delay_alu instid0(VALU_DEP_1) | instskip(NEXT) | instid1(VALU_DEP_1)
	v_lshlrev_b64 v[8:9], 2, v[8:9]
	v_add_co_u32 v8, vcc_lo, v6, v8
	s_delay_alu instid0(VALU_DEP_2)
	v_add_co_ci_u32_e32 v9, vcc_lo, v7, v9, vcc_lo
	global_store_b32 v[8:9], v42, off
	s_or_b32 exec_lo, exec_lo, s17
	s_and_saveexec_b32 s17, s7
	s_cbranch_execnz .LBB713_257
.LBB713_223:
	s_or_b32 exec_lo, exec_lo, s17
	s_and_saveexec_b32 s17, s6
	s_cbranch_execz .LBB713_258
.LBB713_224:
	v_sub_nc_u32_e32 v8, v49, v1
	v_mov_b32_e32 v9, 0
	s_delay_alu instid0(VALU_DEP_1) | instskip(NEXT) | instid1(VALU_DEP_1)
	v_lshlrev_b64 v[8:9], 2, v[8:9]
	v_add_co_u32 v8, vcc_lo, v6, v8
	s_delay_alu instid0(VALU_DEP_2)
	v_add_co_ci_u32_e32 v9, vcc_lo, v7, v9, vcc_lo
	global_store_b32 v[8:9], v50, off
	s_or_b32 exec_lo, exec_lo, s17
	s_and_saveexec_b32 s17, s5
	s_cbranch_execnz .LBB713_259
.LBB713_225:
	s_or_b32 exec_lo, exec_lo, s17
	s_and_saveexec_b32 s17, s4
	s_cbranch_execz .LBB713_260
.LBB713_226:
	v_sub_nc_u32_e32 v8, v35, v1
	v_mov_b32_e32 v9, 0
	s_delay_alu instid0(VALU_DEP_1) | instskip(NEXT) | instid1(VALU_DEP_1)
	v_lshlrev_b64 v[8:9], 2, v[8:9]
	v_add_co_u32 v8, vcc_lo, v6, v8
	s_delay_alu instid0(VALU_DEP_2)
	v_add_co_ci_u32_e32 v9, vcc_lo, v7, v9, vcc_lo
	global_store_b32 v[8:9], v36, off
	s_or_b32 exec_lo, exec_lo, s17
	s_and_saveexec_b32 s17, s3
	s_cbranch_execnz .LBB713_261
.LBB713_227:
	s_or_b32 exec_lo, exec_lo, s17
	s_and_saveexec_b32 s17, s2
	s_cbranch_execz .LBB713_262
.LBB713_228:
	v_sub_nc_u32_e32 v8, v63, v1
	v_mov_b32_e32 v9, 0
	s_delay_alu instid0(VALU_DEP_1) | instskip(NEXT) | instid1(VALU_DEP_1)
	v_lshlrev_b64 v[8:9], 2, v[8:9]
	v_add_co_u32 v8, vcc_lo, v6, v8
	s_delay_alu instid0(VALU_DEP_2)
	v_add_co_ci_u32_e32 v9, vcc_lo, v7, v9, vcc_lo
	global_store_b32 v[8:9], v64, off
	s_or_b32 exec_lo, exec_lo, s17
	s_and_saveexec_b32 s17, s1
	s_cbranch_execnz .LBB713_263
	s_branch .LBB713_264
.LBB713_229:
	s_and_b32 vcc_lo, exec_lo, s16
	s_cbranch_vccz .LBB713_268
; %bb.230:
	s_mov_b32 s15, exec_lo
	v_cmpx_gt_i16_e32 2, v2
	s_cbranch_execz .LBB713_286
; %bb.231:
	s_mov_b32 s17, 0
	s_mov_b32 s16, exec_lo
	v_cmpx_ne_u16_e32 1, v2
	s_xor_b32 s16, exec_lo, s16
	s_cbranch_execz .LBB713_248
; %bb.232:
	s_and_saveexec_b32 s17, s14
	s_cbranch_execz .LBB713_269
; %bb.233:
	v_sub_nc_u32_e32 v2, v55, v1
	s_delay_alu instid0(VALU_DEP_1)
	v_lshlrev_b32_e32 v2, 2, v2
	ds_store_b32 v2, v56
	s_or_b32 exec_lo, exec_lo, s17
	s_and_saveexec_b32 s14, s13
	s_cbranch_execnz .LBB713_270
.LBB713_234:
	s_or_b32 exec_lo, exec_lo, s14
	s_and_saveexec_b32 s13, s12
	s_cbranch_execz .LBB713_271
.LBB713_235:
	v_sub_nc_u32_e32 v2, v57, v1
	s_delay_alu instid0(VALU_DEP_1)
	v_lshlrev_b32_e32 v2, 2, v2
	ds_store_b32 v2, v58
	s_or_b32 exec_lo, exec_lo, s13
	s_and_saveexec_b32 s12, s11
	s_cbranch_execnz .LBB713_272
.LBB713_236:
	s_or_b32 exec_lo, exec_lo, s12
	s_and_saveexec_b32 s11, s10
	s_cbranch_execz .LBB713_273
.LBB713_237:
	v_sub_nc_u32_e32 v2, v47, v1
	s_delay_alu instid0(VALU_DEP_1)
	v_lshlrev_b32_e32 v2, 2, v2
	ds_store_b32 v2, v48
	s_or_b32 exec_lo, exec_lo, s11
	s_and_saveexec_b32 s10, s9
	s_cbranch_execnz .LBB713_274
.LBB713_238:
	s_or_b32 exec_lo, exec_lo, s10
	s_and_saveexec_b32 s9, s8
	s_cbranch_execz .LBB713_275
.LBB713_239:
	v_sub_nc_u32_e32 v2, v41, v1
	s_delay_alu instid0(VALU_DEP_1)
	v_lshlrev_b32_e32 v2, 2, v2
	ds_store_b32 v2, v42
	s_or_b32 exec_lo, exec_lo, s9
	s_and_saveexec_b32 s8, s7
	s_cbranch_execnz .LBB713_276
.LBB713_240:
	s_or_b32 exec_lo, exec_lo, s8
	s_and_saveexec_b32 s7, s6
	s_cbranch_execz .LBB713_277
.LBB713_241:
	v_sub_nc_u32_e32 v2, v49, v1
	s_delay_alu instid0(VALU_DEP_1)
	v_lshlrev_b32_e32 v2, 2, v2
	ds_store_b32 v2, v50
	s_or_b32 exec_lo, exec_lo, s7
	s_and_saveexec_b32 s6, s5
	s_cbranch_execnz .LBB713_278
.LBB713_242:
	s_or_b32 exec_lo, exec_lo, s6
	s_and_saveexec_b32 s5, s4
	s_cbranch_execz .LBB713_279
.LBB713_243:
	v_sub_nc_u32_e32 v2, v35, v1
	s_delay_alu instid0(VALU_DEP_1)
	v_lshlrev_b32_e32 v2, 2, v2
	ds_store_b32 v2, v36
	s_or_b32 exec_lo, exec_lo, s5
	s_and_saveexec_b32 s4, s3
	s_cbranch_execnz .LBB713_280
.LBB713_244:
	s_or_b32 exec_lo, exec_lo, s4
	s_and_saveexec_b32 s3, s2
	s_cbranch_execz .LBB713_281
.LBB713_245:
	v_sub_nc_u32_e32 v2, v63, v1
	s_delay_alu instid0(VALU_DEP_1)
	v_lshlrev_b32_e32 v2, 2, v2
	ds_store_b32 v2, v64
	s_or_b32 exec_lo, exec_lo, s3
	s_and_saveexec_b32 s2, s1
	s_cbranch_execnz .LBB713_282
	s_branch .LBB713_283
.LBB713_246:
	s_and_not1_saveexec_b32 s15, s15
	s_cbranch_execz .LBB713_265
.LBB713_247:
	v_sub_nc_u32_e32 v8, v55, v1
	v_mov_b32_e32 v9, 0
	s_or_b32 s17, s17, exec_lo
	s_delay_alu instid0(VALU_DEP_1) | instskip(SKIP_1) | instid1(VALU_DEP_1)
	v_lshlrev_b64 v[10:11], 2, v[8:9]
	v_sub_nc_u32_e32 v8, v61, v1
	v_lshlrev_b64 v[12:13], 2, v[8:9]
	v_sub_nc_u32_e32 v8, v57, v1
	s_delay_alu instid0(VALU_DEP_4) | instskip(SKIP_1) | instid1(VALU_DEP_3)
	v_add_co_u32 v10, vcc_lo, v6, v10
	v_add_co_ci_u32_e32 v11, vcc_lo, v7, v11, vcc_lo
	v_lshlrev_b64 v[14:15], 2, v[8:9]
	v_sub_nc_u32_e32 v8, v53, v1
	v_add_co_u32 v12, vcc_lo, v6, v12
	v_add_co_ci_u32_e32 v13, vcc_lo, v7, v13, vcc_lo
	global_store_b32 v[10:11], v56, off
	v_lshlrev_b64 v[10:11], 2, v[8:9]
	v_sub_nc_u32_e32 v8, v47, v1
	global_store_b32 v[12:13], v62, off
	v_add_co_u32 v12, vcc_lo, v6, v14
	v_add_co_ci_u32_e32 v13, vcc_lo, v7, v15, vcc_lo
	v_lshlrev_b64 v[14:15], 2, v[8:9]
	v_sub_nc_u32_e32 v8, v43, v1
	v_add_co_u32 v10, vcc_lo, v6, v10
	v_add_co_ci_u32_e32 v11, vcc_lo, v7, v11, vcc_lo
	s_delay_alu instid0(VALU_DEP_3) | instskip(SKIP_3) | instid1(VALU_DEP_3)
	v_lshlrev_b64 v[16:17], 2, v[8:9]
	v_sub_nc_u32_e32 v8, v41, v1
	v_add_co_u32 v14, vcc_lo, v6, v14
	v_add_co_ci_u32_e32 v15, vcc_lo, v7, v15, vcc_lo
	v_lshlrev_b64 v[18:19], 2, v[8:9]
	v_sub_nc_u32_e32 v8, v45, v1
	v_add_co_u32 v16, vcc_lo, v6, v16
	v_add_co_ci_u32_e32 v17, vcc_lo, v7, v17, vcc_lo
	s_clause 0x3
	global_store_b32 v[12:13], v58, off
	global_store_b32 v[10:11], v54, off
	;; [unrolled: 1-line block ×4, first 2 shown]
	v_lshlrev_b64 v[10:11], 2, v[8:9]
	v_sub_nc_u32_e32 v8, v49, v1
	v_add_co_u32 v12, vcc_lo, v6, v18
	v_add_co_ci_u32_e32 v13, vcc_lo, v7, v19, vcc_lo
	s_delay_alu instid0(VALU_DEP_3) | instskip(SKIP_3) | instid1(VALU_DEP_3)
	v_lshlrev_b64 v[14:15], 2, v[8:9]
	v_sub_nc_u32_e32 v8, v33, v1
	v_add_co_u32 v10, vcc_lo, v6, v10
	v_add_co_ci_u32_e32 v11, vcc_lo, v7, v11, vcc_lo
	v_lshlrev_b64 v[16:17], 2, v[8:9]
	v_sub_nc_u32_e32 v8, v35, v1
	v_add_co_u32 v14, vcc_lo, v6, v14
	v_add_co_ci_u32_e32 v15, vcc_lo, v7, v15, vcc_lo
	s_delay_alu instid0(VALU_DEP_3)
	v_lshlrev_b64 v[18:19], 2, v[8:9]
	v_sub_nc_u32_e32 v8, v39, v1
	v_add_co_u32 v16, vcc_lo, v6, v16
	v_add_co_ci_u32_e32 v17, vcc_lo, v7, v17, vcc_lo
	s_clause 0x3
	global_store_b32 v[12:13], v42, off
	global_store_b32 v[10:11], v46, off
	;; [unrolled: 1-line block ×4, first 2 shown]
	v_lshlrev_b64 v[10:11], 2, v[8:9]
	v_sub_nc_u32_e32 v8, v63, v1
	v_add_co_u32 v12, vcc_lo, v6, v18
	v_add_co_ci_u32_e32 v13, vcc_lo, v7, v19, vcc_lo
	s_delay_alu instid0(VALU_DEP_3) | instskip(SKIP_3) | instid1(VALU_DEP_3)
	v_lshlrev_b64 v[14:15], 2, v[8:9]
	v_sub_nc_u32_e32 v8, v59, v1
	v_add_co_u32 v10, vcc_lo, v6, v10
	v_add_co_ci_u32_e32 v11, vcc_lo, v7, v11, vcc_lo
	v_lshlrev_b64 v[8:9], 2, v[8:9]
	v_add_co_u32 v14, vcc_lo, v6, v14
	v_add_co_ci_u32_e32 v15, vcc_lo, v7, v15, vcc_lo
	s_clause 0x2
	global_store_b32 v[12:13], v36, off
	global_store_b32 v[10:11], v40, off
	;; [unrolled: 1-line block ×3, first 2 shown]
	v_add_co_u32 v8, vcc_lo, v6, v8
	v_add_co_ci_u32_e32 v9, vcc_lo, v7, v9, vcc_lo
	global_store_b32 v[8:9], v60, off
	s_or_b32 exec_lo, exec_lo, s15
	s_delay_alu instid0(SALU_CYCLE_1)
	s_and_b32 exec_lo, exec_lo, s17
	s_cbranch_execnz .LBB713_266
	s_branch .LBB713_267
.LBB713_248:
	s_and_not1_saveexec_b32 s0, s16
	s_cbranch_execz .LBB713_284
.LBB713_249:
	v_sub_nc_u32_e32 v2, v55, v1
	v_sub_nc_u32_e32 v8, v61, v1
	;; [unrolled: 1-line block ×5, first 2 shown]
	v_lshlrev_b32_e32 v2, 2, v2
	v_lshlrev_b32_e32 v8, 2, v8
	;; [unrolled: 1-line block ×4, first 2 shown]
	s_or_b32 s17, s17, exec_lo
	ds_store_b32 v2, v56
	ds_store_b32 v8, v62
	;; [unrolled: 1-line block ×3, first 2 shown]
	v_sub_nc_u32_e32 v2, v47, v1
	v_sub_nc_u32_e32 v8, v43, v1
	;; [unrolled: 1-line block ×3, first 2 shown]
	ds_store_b32 v10, v54
	v_sub_nc_u32_e32 v10, v45, v1
	v_lshlrev_b32_e32 v2, 2, v2
	v_lshlrev_b32_e32 v8, 2, v8
	;; [unrolled: 1-line block ×3, first 2 shown]
	s_delay_alu instid0(VALU_DEP_4)
	v_lshlrev_b32_e32 v10, 2, v10
	ds_store_b32 v2, v48
	v_lshlrev_b32_e32 v2, 2, v11
	ds_store_b32 v8, v44
	ds_store_b32 v9, v42
	;; [unrolled: 1-line block ×3, first 2 shown]
	v_sub_nc_u32_e32 v8, v33, v1
	v_sub_nc_u32_e32 v11, v59, v1
	;; [unrolled: 1-line block ×3, first 2 shown]
	ds_store_b32 v2, v50
	v_sub_nc_u32_e32 v2, v35, v1
	v_lshlrev_b32_e32 v8, 2, v8
	v_sub_nc_u32_e32 v10, v63, v1
	v_lshlrev_b32_e32 v9, 2, v9
	s_delay_alu instid0(VALU_DEP_4)
	v_lshlrev_b32_e32 v2, 2, v2
	ds_store_b32 v8, v34
	v_lshlrev_b32_e32 v8, 2, v11
	v_lshlrev_b32_e32 v10, 2, v10
	ds_store_b32 v2, v36
	ds_store_b32 v9, v40
	;; [unrolled: 1-line block ×4, first 2 shown]
	s_or_b32 exec_lo, exec_lo, s0
	s_delay_alu instid0(SALU_CYCLE_1)
	s_and_b32 exec_lo, exec_lo, s17
	s_cbranch_execnz .LBB713_285
	s_branch .LBB713_286
.LBB713_250:
	s_or_b32 exec_lo, exec_lo, s17
	s_and_saveexec_b32 s17, s13
	s_cbranch_execz .LBB713_217
.LBB713_251:
	v_sub_nc_u32_e32 v8, v61, v1
	v_mov_b32_e32 v9, 0
	s_delay_alu instid0(VALU_DEP_1) | instskip(NEXT) | instid1(VALU_DEP_1)
	v_lshlrev_b64 v[8:9], 2, v[8:9]
	v_add_co_u32 v8, vcc_lo, v6, v8
	s_delay_alu instid0(VALU_DEP_2)
	v_add_co_ci_u32_e32 v9, vcc_lo, v7, v9, vcc_lo
	global_store_b32 v[8:9], v62, off
	s_or_b32 exec_lo, exec_lo, s17
	s_and_saveexec_b32 s17, s12
	s_cbranch_execnz .LBB713_218
.LBB713_252:
	s_or_b32 exec_lo, exec_lo, s17
	s_and_saveexec_b32 s17, s11
	s_cbranch_execz .LBB713_219
.LBB713_253:
	v_sub_nc_u32_e32 v8, v53, v1
	v_mov_b32_e32 v9, 0
	s_delay_alu instid0(VALU_DEP_1) | instskip(NEXT) | instid1(VALU_DEP_1)
	v_lshlrev_b64 v[8:9], 2, v[8:9]
	v_add_co_u32 v8, vcc_lo, v6, v8
	s_delay_alu instid0(VALU_DEP_2)
	v_add_co_ci_u32_e32 v9, vcc_lo, v7, v9, vcc_lo
	global_store_b32 v[8:9], v54, off
	s_or_b32 exec_lo, exec_lo, s17
	s_and_saveexec_b32 s17, s10
	s_cbranch_execnz .LBB713_220
.LBB713_254:
	s_or_b32 exec_lo, exec_lo, s17
	s_and_saveexec_b32 s17, s9
	s_cbranch_execz .LBB713_221
.LBB713_255:
	v_sub_nc_u32_e32 v8, v43, v1
	v_mov_b32_e32 v9, 0
	s_delay_alu instid0(VALU_DEP_1) | instskip(NEXT) | instid1(VALU_DEP_1)
	v_lshlrev_b64 v[8:9], 2, v[8:9]
	v_add_co_u32 v8, vcc_lo, v6, v8
	s_delay_alu instid0(VALU_DEP_2)
	v_add_co_ci_u32_e32 v9, vcc_lo, v7, v9, vcc_lo
	global_store_b32 v[8:9], v44, off
	s_or_b32 exec_lo, exec_lo, s17
	s_and_saveexec_b32 s17, s8
	s_cbranch_execnz .LBB713_222
.LBB713_256:
	s_or_b32 exec_lo, exec_lo, s17
	s_and_saveexec_b32 s17, s7
	s_cbranch_execz .LBB713_223
.LBB713_257:
	v_sub_nc_u32_e32 v8, v45, v1
	v_mov_b32_e32 v9, 0
	s_delay_alu instid0(VALU_DEP_1) | instskip(NEXT) | instid1(VALU_DEP_1)
	v_lshlrev_b64 v[8:9], 2, v[8:9]
	v_add_co_u32 v8, vcc_lo, v6, v8
	s_delay_alu instid0(VALU_DEP_2)
	v_add_co_ci_u32_e32 v9, vcc_lo, v7, v9, vcc_lo
	global_store_b32 v[8:9], v46, off
	s_or_b32 exec_lo, exec_lo, s17
	s_and_saveexec_b32 s17, s6
	s_cbranch_execnz .LBB713_224
.LBB713_258:
	s_or_b32 exec_lo, exec_lo, s17
	s_and_saveexec_b32 s17, s5
	s_cbranch_execz .LBB713_225
.LBB713_259:
	v_sub_nc_u32_e32 v8, v33, v1
	v_mov_b32_e32 v9, 0
	s_delay_alu instid0(VALU_DEP_1) | instskip(NEXT) | instid1(VALU_DEP_1)
	v_lshlrev_b64 v[8:9], 2, v[8:9]
	v_add_co_u32 v8, vcc_lo, v6, v8
	s_delay_alu instid0(VALU_DEP_2)
	v_add_co_ci_u32_e32 v9, vcc_lo, v7, v9, vcc_lo
	global_store_b32 v[8:9], v34, off
	s_or_b32 exec_lo, exec_lo, s17
	s_and_saveexec_b32 s17, s4
	s_cbranch_execnz .LBB713_226
.LBB713_260:
	s_or_b32 exec_lo, exec_lo, s17
	s_and_saveexec_b32 s17, s3
	s_cbranch_execz .LBB713_227
.LBB713_261:
	v_sub_nc_u32_e32 v8, v39, v1
	v_mov_b32_e32 v9, 0
	s_delay_alu instid0(VALU_DEP_1) | instskip(NEXT) | instid1(VALU_DEP_1)
	v_lshlrev_b64 v[8:9], 2, v[8:9]
	v_add_co_u32 v8, vcc_lo, v6, v8
	s_delay_alu instid0(VALU_DEP_2)
	v_add_co_ci_u32_e32 v9, vcc_lo, v7, v9, vcc_lo
	global_store_b32 v[8:9], v40, off
	s_or_b32 exec_lo, exec_lo, s17
	s_and_saveexec_b32 s17, s2
	s_cbranch_execnz .LBB713_228
.LBB713_262:
	s_or_b32 exec_lo, exec_lo, s17
	s_and_saveexec_b32 s17, s1
	s_cbranch_execz .LBB713_264
.LBB713_263:
	v_sub_nc_u32_e32 v8, v59, v1
	v_mov_b32_e32 v9, 0
	s_delay_alu instid0(VALU_DEP_1) | instskip(NEXT) | instid1(VALU_DEP_1)
	v_lshlrev_b64 v[8:9], 2, v[8:9]
	v_add_co_u32 v8, vcc_lo, v6, v8
	s_delay_alu instid0(VALU_DEP_2)
	v_add_co_ci_u32_e32 v9, vcc_lo, v7, v9, vcc_lo
	global_store_b32 v[8:9], v60, off
.LBB713_264:
	s_or_b32 exec_lo, exec_lo, s17
	s_delay_alu instid0(SALU_CYCLE_1)
	s_and_b32 s17, s0, exec_lo
	s_and_not1_saveexec_b32 s15, s15
	s_cbranch_execnz .LBB713_247
.LBB713_265:
	s_or_b32 exec_lo, exec_lo, s15
	s_delay_alu instid0(SALU_CYCLE_1)
	s_and_b32 exec_lo, exec_lo, s17
	s_cbranch_execz .LBB713_267
.LBB713_266:
	v_sub_nc_u32_e32 v8, v51, v1
	v_mov_b32_e32 v9, 0
	s_delay_alu instid0(VALU_DEP_1) | instskip(NEXT) | instid1(VALU_DEP_1)
	v_lshlrev_b64 v[8:9], 2, v[8:9]
	v_add_co_u32 v8, vcc_lo, v6, v8
	s_delay_alu instid0(VALU_DEP_2)
	v_add_co_ci_u32_e32 v9, vcc_lo, v7, v9, vcc_lo
	global_store_b32 v[8:9], v52, off
.LBB713_267:
	s_or_b32 exec_lo, exec_lo, s16
.LBB713_268:
	v_cmp_eq_u32_e32 vcc_lo, 0xff, v0
	s_and_b32 s0, vcc_lo, s33
	s_delay_alu instid0(SALU_CYCLE_1)
	s_and_saveexec_b32 s1, s0
	s_cbranch_execnz .LBB713_290
	s_branch .LBB713_292
.LBB713_269:
	s_or_b32 exec_lo, exec_lo, s17
	s_and_saveexec_b32 s14, s13
	s_cbranch_execz .LBB713_234
.LBB713_270:
	v_sub_nc_u32_e32 v2, v61, v1
	s_delay_alu instid0(VALU_DEP_1)
	v_lshlrev_b32_e32 v2, 2, v2
	ds_store_b32 v2, v62
	s_or_b32 exec_lo, exec_lo, s14
	s_and_saveexec_b32 s13, s12
	s_cbranch_execnz .LBB713_235
.LBB713_271:
	s_or_b32 exec_lo, exec_lo, s13
	s_and_saveexec_b32 s12, s11
	s_cbranch_execz .LBB713_236
.LBB713_272:
	v_sub_nc_u32_e32 v2, v53, v1
	s_delay_alu instid0(VALU_DEP_1)
	v_lshlrev_b32_e32 v2, 2, v2
	ds_store_b32 v2, v54
	s_or_b32 exec_lo, exec_lo, s12
	s_and_saveexec_b32 s11, s10
	s_cbranch_execnz .LBB713_237
.LBB713_273:
	s_or_b32 exec_lo, exec_lo, s11
	s_and_saveexec_b32 s10, s9
	s_cbranch_execz .LBB713_238
.LBB713_274:
	v_sub_nc_u32_e32 v2, v43, v1
	s_delay_alu instid0(VALU_DEP_1)
	v_lshlrev_b32_e32 v2, 2, v2
	ds_store_b32 v2, v44
	s_or_b32 exec_lo, exec_lo, s10
	s_and_saveexec_b32 s9, s8
	s_cbranch_execnz .LBB713_239
.LBB713_275:
	s_or_b32 exec_lo, exec_lo, s9
	s_and_saveexec_b32 s8, s7
	s_cbranch_execz .LBB713_240
.LBB713_276:
	v_sub_nc_u32_e32 v2, v45, v1
	s_delay_alu instid0(VALU_DEP_1)
	v_lshlrev_b32_e32 v2, 2, v2
	ds_store_b32 v2, v46
	s_or_b32 exec_lo, exec_lo, s8
	s_and_saveexec_b32 s7, s6
	s_cbranch_execnz .LBB713_241
.LBB713_277:
	s_or_b32 exec_lo, exec_lo, s7
	s_and_saveexec_b32 s6, s5
	s_cbranch_execz .LBB713_242
.LBB713_278:
	v_sub_nc_u32_e32 v2, v33, v1
	s_delay_alu instid0(VALU_DEP_1)
	v_lshlrev_b32_e32 v2, 2, v2
	ds_store_b32 v2, v34
	s_or_b32 exec_lo, exec_lo, s6
	s_and_saveexec_b32 s5, s4
	s_cbranch_execnz .LBB713_243
.LBB713_279:
	s_or_b32 exec_lo, exec_lo, s5
	s_and_saveexec_b32 s4, s3
	s_cbranch_execz .LBB713_244
.LBB713_280:
	v_sub_nc_u32_e32 v2, v39, v1
	s_delay_alu instid0(VALU_DEP_1)
	v_lshlrev_b32_e32 v2, 2, v2
	ds_store_b32 v2, v40
	s_or_b32 exec_lo, exec_lo, s4
	s_and_saveexec_b32 s3, s2
	s_cbranch_execnz .LBB713_245
.LBB713_281:
	s_or_b32 exec_lo, exec_lo, s3
	s_and_saveexec_b32 s2, s1
	s_cbranch_execz .LBB713_283
.LBB713_282:
	v_sub_nc_u32_e32 v2, v59, v1
	s_delay_alu instid0(VALU_DEP_1)
	v_lshlrev_b32_e32 v2, 2, v2
	ds_store_b32 v2, v60
.LBB713_283:
	s_or_b32 exec_lo, exec_lo, s2
	s_delay_alu instid0(SALU_CYCLE_1)
	s_and_b32 s17, s0, exec_lo
                                        ; implicit-def: $vgpr55_vgpr56
                                        ; implicit-def: $vgpr61_vgpr62
                                        ; implicit-def: $vgpr57_vgpr58
                                        ; implicit-def: $vgpr53_vgpr54
                                        ; implicit-def: $vgpr47_vgpr48
                                        ; implicit-def: $vgpr43_vgpr44
                                        ; implicit-def: $vgpr41_vgpr42
                                        ; implicit-def: $vgpr45_vgpr46
                                        ; implicit-def: $vgpr49_vgpr50
                                        ; implicit-def: $vgpr33_vgpr34
                                        ; implicit-def: $vgpr35_vgpr36
                                        ; implicit-def: $vgpr39_vgpr40
                                        ; implicit-def: $vgpr63_vgpr64
                                        ; implicit-def: $vgpr59_vgpr60
	s_and_not1_saveexec_b32 s0, s16
	s_cbranch_execnz .LBB713_249
.LBB713_284:
	s_or_b32 exec_lo, exec_lo, s0
	s_delay_alu instid0(SALU_CYCLE_1)
	s_and_b32 exec_lo, exec_lo, s17
	s_cbranch_execz .LBB713_286
.LBB713_285:
	v_sub_nc_u32_e32 v1, v51, v1
	s_delay_alu instid0(VALU_DEP_1)
	v_lshlrev_b32_e32 v1, 2, v1
	ds_store_b32 v1, v52
.LBB713_286:
	s_or_b32 exec_lo, exec_lo, s15
	s_delay_alu instid0(SALU_CYCLE_1)
	s_mov_b32 s1, exec_lo
	s_waitcnt lgkmcnt(0)
	s_waitcnt_vscnt null, 0x0
	s_barrier
	buffer_gl0_inv
	v_cmpx_lt_u32_e64 v0, v3
	s_cbranch_execz .LBB713_289
; %bb.287:
	v_dual_mov_b32 v1, v0 :: v_dual_lshlrev_b32 v8, 2, v0
	v_mov_b32_e32 v2, 0
	s_mov_b32 s2, 0
	.p2align	6
.LBB713_288:                            ; =>This Inner Loop Header: Depth=1
	ds_load_b32 v11, v8
	v_lshlrev_b64 v[9:10], 2, v[1:2]
	v_add_nc_u32_e32 v1, 0x100, v1
	v_add_nc_u32_e32 v8, 0x400, v8
	s_delay_alu instid0(VALU_DEP_2) | instskip(NEXT) | instid1(VALU_DEP_4)
	v_cmp_ge_u32_e32 vcc_lo, v1, v3
	v_add_co_u32 v9, s0, v6, v9
	s_delay_alu instid0(VALU_DEP_1)
	v_add_co_ci_u32_e64 v10, s0, v7, v10, s0
	s_or_b32 s2, vcc_lo, s2
	s_waitcnt lgkmcnt(0)
	global_store_b32 v[9:10], v11, off
	s_and_not1_b32 exec_lo, exec_lo, s2
	s_cbranch_execnz .LBB713_288
.LBB713_289:
	s_or_b32 exec_lo, exec_lo, s1
	v_cmp_eq_u32_e32 vcc_lo, 0xff, v0
	s_and_b32 s0, vcc_lo, s33
	s_delay_alu instid0(SALU_CYCLE_1)
	s_and_saveexec_b32 s1, s0
	s_cbranch_execz .LBB713_292
.LBB713_290:
	v_add_co_u32 v0, s0, v29, v31
	s_delay_alu instid0(VALU_DEP_1) | instskip(SKIP_1) | instid1(VALU_DEP_3)
	v_add_co_ci_u32_e64 v1, null, 0, 0, s0
	v_mov_b32_e32 v30, 0
	v_add_co_u32 v0, vcc_lo, v0, v65
	s_delay_alu instid0(VALU_DEP_3)
	v_add_co_ci_u32_e32 v1, vcc_lo, v1, v66, vcc_lo
	s_cmpk_lg_i32 s40, 0xf00
	global_store_b64 v30, v[0:1], s[30:31]
	s_cbranch_scc1 .LBB713_292
; %bb.291:
	v_lshlrev_b64 v[0:1], 2, v[29:30]
	s_delay_alu instid0(VALU_DEP_1) | instskip(NEXT) | instid1(VALU_DEP_2)
	v_add_co_u32 v0, vcc_lo, v4, v0
	v_add_co_ci_u32_e32 v1, vcc_lo, v5, v1, vcc_lo
	global_store_b32 v[0:1], v95, off offset:-4
	s_nop 0
	s_sendmsg sendmsg(MSG_DEALLOC_VGPRS)
	s_endpgm
.LBB713_292:
	s_nop 0
	s_sendmsg sendmsg(MSG_DEALLOC_VGPRS)
	s_endpgm
	.section	.rodata,"a",@progbits
	.p2align	6, 0x0
	.amdhsa_kernel _ZN7rocprim17ROCPRIM_400000_NS6detail17trampoline_kernelINS0_14default_configENS1_29reduce_by_key_config_selectorIyjN6thrust23THRUST_200600_302600_NS4plusIjEEEEZZNS1_33reduce_by_key_impl_wrapped_configILNS1_25lookback_scan_determinismE0ES3_S9_NS6_6detail15normal_iteratorINS6_10device_ptrIyEEEENSD_INSE_IjEEEESG_SI_PmS8_NS6_8equal_toIyEEEE10hipError_tPvRmT2_T3_mT4_T5_T6_T7_T8_P12ihipStream_tbENKUlT_T0_E_clISt17integral_constantIbLb1EES13_EEDaSY_SZ_EUlSY_E_NS1_11comp_targetILNS1_3genE9ELNS1_11target_archE1100ELNS1_3gpuE3ELNS1_3repE0EEENS1_30default_config_static_selectorELNS0_4arch9wavefront6targetE0EEEvT1_
		.amdhsa_group_segment_fixed_size 30720
		.amdhsa_private_segment_fixed_size 0
		.amdhsa_kernarg_size 120
		.amdhsa_user_sgpr_count 15
		.amdhsa_user_sgpr_dispatch_ptr 0
		.amdhsa_user_sgpr_queue_ptr 0
		.amdhsa_user_sgpr_kernarg_segment_ptr 1
		.amdhsa_user_sgpr_dispatch_id 0
		.amdhsa_user_sgpr_private_segment_size 0
		.amdhsa_wavefront_size32 1
		.amdhsa_uses_dynamic_stack 0
		.amdhsa_enable_private_segment 0
		.amdhsa_system_sgpr_workgroup_id_x 1
		.amdhsa_system_sgpr_workgroup_id_y 0
		.amdhsa_system_sgpr_workgroup_id_z 0
		.amdhsa_system_sgpr_workgroup_info 0
		.amdhsa_system_vgpr_workitem_id 0
		.amdhsa_next_free_vgpr 100
		.amdhsa_next_free_sgpr 49
		.amdhsa_reserve_vcc 1
		.amdhsa_float_round_mode_32 0
		.amdhsa_float_round_mode_16_64 0
		.amdhsa_float_denorm_mode_32 3
		.amdhsa_float_denorm_mode_16_64 3
		.amdhsa_dx10_clamp 1
		.amdhsa_ieee_mode 1
		.amdhsa_fp16_overflow 0
		.amdhsa_workgroup_processor_mode 1
		.amdhsa_memory_ordered 1
		.amdhsa_forward_progress 0
		.amdhsa_shared_vgpr_count 0
		.amdhsa_exception_fp_ieee_invalid_op 0
		.amdhsa_exception_fp_denorm_src 0
		.amdhsa_exception_fp_ieee_div_zero 0
		.amdhsa_exception_fp_ieee_overflow 0
		.amdhsa_exception_fp_ieee_underflow 0
		.amdhsa_exception_fp_ieee_inexact 0
		.amdhsa_exception_int_div_zero 0
	.end_amdhsa_kernel
	.section	.text._ZN7rocprim17ROCPRIM_400000_NS6detail17trampoline_kernelINS0_14default_configENS1_29reduce_by_key_config_selectorIyjN6thrust23THRUST_200600_302600_NS4plusIjEEEEZZNS1_33reduce_by_key_impl_wrapped_configILNS1_25lookback_scan_determinismE0ES3_S9_NS6_6detail15normal_iteratorINS6_10device_ptrIyEEEENSD_INSE_IjEEEESG_SI_PmS8_NS6_8equal_toIyEEEE10hipError_tPvRmT2_T3_mT4_T5_T6_T7_T8_P12ihipStream_tbENKUlT_T0_E_clISt17integral_constantIbLb1EES13_EEDaSY_SZ_EUlSY_E_NS1_11comp_targetILNS1_3genE9ELNS1_11target_archE1100ELNS1_3gpuE3ELNS1_3repE0EEENS1_30default_config_static_selectorELNS0_4arch9wavefront6targetE0EEEvT1_,"axG",@progbits,_ZN7rocprim17ROCPRIM_400000_NS6detail17trampoline_kernelINS0_14default_configENS1_29reduce_by_key_config_selectorIyjN6thrust23THRUST_200600_302600_NS4plusIjEEEEZZNS1_33reduce_by_key_impl_wrapped_configILNS1_25lookback_scan_determinismE0ES3_S9_NS6_6detail15normal_iteratorINS6_10device_ptrIyEEEENSD_INSE_IjEEEESG_SI_PmS8_NS6_8equal_toIyEEEE10hipError_tPvRmT2_T3_mT4_T5_T6_T7_T8_P12ihipStream_tbENKUlT_T0_E_clISt17integral_constantIbLb1EES13_EEDaSY_SZ_EUlSY_E_NS1_11comp_targetILNS1_3genE9ELNS1_11target_archE1100ELNS1_3gpuE3ELNS1_3repE0EEENS1_30default_config_static_selectorELNS0_4arch9wavefront6targetE0EEEvT1_,comdat
.Lfunc_end713:
	.size	_ZN7rocprim17ROCPRIM_400000_NS6detail17trampoline_kernelINS0_14default_configENS1_29reduce_by_key_config_selectorIyjN6thrust23THRUST_200600_302600_NS4plusIjEEEEZZNS1_33reduce_by_key_impl_wrapped_configILNS1_25lookback_scan_determinismE0ES3_S9_NS6_6detail15normal_iteratorINS6_10device_ptrIyEEEENSD_INSE_IjEEEESG_SI_PmS8_NS6_8equal_toIyEEEE10hipError_tPvRmT2_T3_mT4_T5_T6_T7_T8_P12ihipStream_tbENKUlT_T0_E_clISt17integral_constantIbLb1EES13_EEDaSY_SZ_EUlSY_E_NS1_11comp_targetILNS1_3genE9ELNS1_11target_archE1100ELNS1_3gpuE3ELNS1_3repE0EEENS1_30default_config_static_selectorELNS0_4arch9wavefront6targetE0EEEvT1_, .Lfunc_end713-_ZN7rocprim17ROCPRIM_400000_NS6detail17trampoline_kernelINS0_14default_configENS1_29reduce_by_key_config_selectorIyjN6thrust23THRUST_200600_302600_NS4plusIjEEEEZZNS1_33reduce_by_key_impl_wrapped_configILNS1_25lookback_scan_determinismE0ES3_S9_NS6_6detail15normal_iteratorINS6_10device_ptrIyEEEENSD_INSE_IjEEEESG_SI_PmS8_NS6_8equal_toIyEEEE10hipError_tPvRmT2_T3_mT4_T5_T6_T7_T8_P12ihipStream_tbENKUlT_T0_E_clISt17integral_constantIbLb1EES13_EEDaSY_SZ_EUlSY_E_NS1_11comp_targetILNS1_3genE9ELNS1_11target_archE1100ELNS1_3gpuE3ELNS1_3repE0EEENS1_30default_config_static_selectorELNS0_4arch9wavefront6targetE0EEEvT1_
                                        ; -- End function
	.section	.AMDGPU.csdata,"",@progbits
; Kernel info:
; codeLenInByte = 17876
; NumSgprs: 51
; NumVgprs: 100
; ScratchSize: 0
; MemoryBound: 0
; FloatMode: 240
; IeeeMode: 1
; LDSByteSize: 30720 bytes/workgroup (compile time only)
; SGPRBlocks: 6
; VGPRBlocks: 12
; NumSGPRsForWavesPerEU: 51
; NumVGPRsForWavesPerEU: 100
; Occupancy: 8
; WaveLimiterHint : 1
; COMPUTE_PGM_RSRC2:SCRATCH_EN: 0
; COMPUTE_PGM_RSRC2:USER_SGPR: 15
; COMPUTE_PGM_RSRC2:TRAP_HANDLER: 0
; COMPUTE_PGM_RSRC2:TGID_X_EN: 1
; COMPUTE_PGM_RSRC2:TGID_Y_EN: 0
; COMPUTE_PGM_RSRC2:TGID_Z_EN: 0
; COMPUTE_PGM_RSRC2:TIDIG_COMP_CNT: 0
	.section	.text._ZN7rocprim17ROCPRIM_400000_NS6detail17trampoline_kernelINS0_14default_configENS1_29reduce_by_key_config_selectorIyjN6thrust23THRUST_200600_302600_NS4plusIjEEEEZZNS1_33reduce_by_key_impl_wrapped_configILNS1_25lookback_scan_determinismE0ES3_S9_NS6_6detail15normal_iteratorINS6_10device_ptrIyEEEENSD_INSE_IjEEEESG_SI_PmS8_NS6_8equal_toIyEEEE10hipError_tPvRmT2_T3_mT4_T5_T6_T7_T8_P12ihipStream_tbENKUlT_T0_E_clISt17integral_constantIbLb1EES13_EEDaSY_SZ_EUlSY_E_NS1_11comp_targetILNS1_3genE8ELNS1_11target_archE1030ELNS1_3gpuE2ELNS1_3repE0EEENS1_30default_config_static_selectorELNS0_4arch9wavefront6targetE0EEEvT1_,"axG",@progbits,_ZN7rocprim17ROCPRIM_400000_NS6detail17trampoline_kernelINS0_14default_configENS1_29reduce_by_key_config_selectorIyjN6thrust23THRUST_200600_302600_NS4plusIjEEEEZZNS1_33reduce_by_key_impl_wrapped_configILNS1_25lookback_scan_determinismE0ES3_S9_NS6_6detail15normal_iteratorINS6_10device_ptrIyEEEENSD_INSE_IjEEEESG_SI_PmS8_NS6_8equal_toIyEEEE10hipError_tPvRmT2_T3_mT4_T5_T6_T7_T8_P12ihipStream_tbENKUlT_T0_E_clISt17integral_constantIbLb1EES13_EEDaSY_SZ_EUlSY_E_NS1_11comp_targetILNS1_3genE8ELNS1_11target_archE1030ELNS1_3gpuE2ELNS1_3repE0EEENS1_30default_config_static_selectorELNS0_4arch9wavefront6targetE0EEEvT1_,comdat
	.protected	_ZN7rocprim17ROCPRIM_400000_NS6detail17trampoline_kernelINS0_14default_configENS1_29reduce_by_key_config_selectorIyjN6thrust23THRUST_200600_302600_NS4plusIjEEEEZZNS1_33reduce_by_key_impl_wrapped_configILNS1_25lookback_scan_determinismE0ES3_S9_NS6_6detail15normal_iteratorINS6_10device_ptrIyEEEENSD_INSE_IjEEEESG_SI_PmS8_NS6_8equal_toIyEEEE10hipError_tPvRmT2_T3_mT4_T5_T6_T7_T8_P12ihipStream_tbENKUlT_T0_E_clISt17integral_constantIbLb1EES13_EEDaSY_SZ_EUlSY_E_NS1_11comp_targetILNS1_3genE8ELNS1_11target_archE1030ELNS1_3gpuE2ELNS1_3repE0EEENS1_30default_config_static_selectorELNS0_4arch9wavefront6targetE0EEEvT1_ ; -- Begin function _ZN7rocprim17ROCPRIM_400000_NS6detail17trampoline_kernelINS0_14default_configENS1_29reduce_by_key_config_selectorIyjN6thrust23THRUST_200600_302600_NS4plusIjEEEEZZNS1_33reduce_by_key_impl_wrapped_configILNS1_25lookback_scan_determinismE0ES3_S9_NS6_6detail15normal_iteratorINS6_10device_ptrIyEEEENSD_INSE_IjEEEESG_SI_PmS8_NS6_8equal_toIyEEEE10hipError_tPvRmT2_T3_mT4_T5_T6_T7_T8_P12ihipStream_tbENKUlT_T0_E_clISt17integral_constantIbLb1EES13_EEDaSY_SZ_EUlSY_E_NS1_11comp_targetILNS1_3genE8ELNS1_11target_archE1030ELNS1_3gpuE2ELNS1_3repE0EEENS1_30default_config_static_selectorELNS0_4arch9wavefront6targetE0EEEvT1_
	.globl	_ZN7rocprim17ROCPRIM_400000_NS6detail17trampoline_kernelINS0_14default_configENS1_29reduce_by_key_config_selectorIyjN6thrust23THRUST_200600_302600_NS4plusIjEEEEZZNS1_33reduce_by_key_impl_wrapped_configILNS1_25lookback_scan_determinismE0ES3_S9_NS6_6detail15normal_iteratorINS6_10device_ptrIyEEEENSD_INSE_IjEEEESG_SI_PmS8_NS6_8equal_toIyEEEE10hipError_tPvRmT2_T3_mT4_T5_T6_T7_T8_P12ihipStream_tbENKUlT_T0_E_clISt17integral_constantIbLb1EES13_EEDaSY_SZ_EUlSY_E_NS1_11comp_targetILNS1_3genE8ELNS1_11target_archE1030ELNS1_3gpuE2ELNS1_3repE0EEENS1_30default_config_static_selectorELNS0_4arch9wavefront6targetE0EEEvT1_
	.p2align	8
	.type	_ZN7rocprim17ROCPRIM_400000_NS6detail17trampoline_kernelINS0_14default_configENS1_29reduce_by_key_config_selectorIyjN6thrust23THRUST_200600_302600_NS4plusIjEEEEZZNS1_33reduce_by_key_impl_wrapped_configILNS1_25lookback_scan_determinismE0ES3_S9_NS6_6detail15normal_iteratorINS6_10device_ptrIyEEEENSD_INSE_IjEEEESG_SI_PmS8_NS6_8equal_toIyEEEE10hipError_tPvRmT2_T3_mT4_T5_T6_T7_T8_P12ihipStream_tbENKUlT_T0_E_clISt17integral_constantIbLb1EES13_EEDaSY_SZ_EUlSY_E_NS1_11comp_targetILNS1_3genE8ELNS1_11target_archE1030ELNS1_3gpuE2ELNS1_3repE0EEENS1_30default_config_static_selectorELNS0_4arch9wavefront6targetE0EEEvT1_,@function
_ZN7rocprim17ROCPRIM_400000_NS6detail17trampoline_kernelINS0_14default_configENS1_29reduce_by_key_config_selectorIyjN6thrust23THRUST_200600_302600_NS4plusIjEEEEZZNS1_33reduce_by_key_impl_wrapped_configILNS1_25lookback_scan_determinismE0ES3_S9_NS6_6detail15normal_iteratorINS6_10device_ptrIyEEEENSD_INSE_IjEEEESG_SI_PmS8_NS6_8equal_toIyEEEE10hipError_tPvRmT2_T3_mT4_T5_T6_T7_T8_P12ihipStream_tbENKUlT_T0_E_clISt17integral_constantIbLb1EES13_EEDaSY_SZ_EUlSY_E_NS1_11comp_targetILNS1_3genE8ELNS1_11target_archE1030ELNS1_3gpuE2ELNS1_3repE0EEENS1_30default_config_static_selectorELNS0_4arch9wavefront6targetE0EEEvT1_: ; @_ZN7rocprim17ROCPRIM_400000_NS6detail17trampoline_kernelINS0_14default_configENS1_29reduce_by_key_config_selectorIyjN6thrust23THRUST_200600_302600_NS4plusIjEEEEZZNS1_33reduce_by_key_impl_wrapped_configILNS1_25lookback_scan_determinismE0ES3_S9_NS6_6detail15normal_iteratorINS6_10device_ptrIyEEEENSD_INSE_IjEEEESG_SI_PmS8_NS6_8equal_toIyEEEE10hipError_tPvRmT2_T3_mT4_T5_T6_T7_T8_P12ihipStream_tbENKUlT_T0_E_clISt17integral_constantIbLb1EES13_EEDaSY_SZ_EUlSY_E_NS1_11comp_targetILNS1_3genE8ELNS1_11target_archE1030ELNS1_3gpuE2ELNS1_3repE0EEENS1_30default_config_static_selectorELNS0_4arch9wavefront6targetE0EEEvT1_
; %bb.0:
	.section	.rodata,"a",@progbits
	.p2align	6, 0x0
	.amdhsa_kernel _ZN7rocprim17ROCPRIM_400000_NS6detail17trampoline_kernelINS0_14default_configENS1_29reduce_by_key_config_selectorIyjN6thrust23THRUST_200600_302600_NS4plusIjEEEEZZNS1_33reduce_by_key_impl_wrapped_configILNS1_25lookback_scan_determinismE0ES3_S9_NS6_6detail15normal_iteratorINS6_10device_ptrIyEEEENSD_INSE_IjEEEESG_SI_PmS8_NS6_8equal_toIyEEEE10hipError_tPvRmT2_T3_mT4_T5_T6_T7_T8_P12ihipStream_tbENKUlT_T0_E_clISt17integral_constantIbLb1EES13_EEDaSY_SZ_EUlSY_E_NS1_11comp_targetILNS1_3genE8ELNS1_11target_archE1030ELNS1_3gpuE2ELNS1_3repE0EEENS1_30default_config_static_selectorELNS0_4arch9wavefront6targetE0EEEvT1_
		.amdhsa_group_segment_fixed_size 0
		.amdhsa_private_segment_fixed_size 0
		.amdhsa_kernarg_size 120
		.amdhsa_user_sgpr_count 15
		.amdhsa_user_sgpr_dispatch_ptr 0
		.amdhsa_user_sgpr_queue_ptr 0
		.amdhsa_user_sgpr_kernarg_segment_ptr 1
		.amdhsa_user_sgpr_dispatch_id 0
		.amdhsa_user_sgpr_private_segment_size 0
		.amdhsa_wavefront_size32 1
		.amdhsa_uses_dynamic_stack 0
		.amdhsa_enable_private_segment 0
		.amdhsa_system_sgpr_workgroup_id_x 1
		.amdhsa_system_sgpr_workgroup_id_y 0
		.amdhsa_system_sgpr_workgroup_id_z 0
		.amdhsa_system_sgpr_workgroup_info 0
		.amdhsa_system_vgpr_workitem_id 0
		.amdhsa_next_free_vgpr 1
		.amdhsa_next_free_sgpr 1
		.amdhsa_reserve_vcc 0
		.amdhsa_float_round_mode_32 0
		.amdhsa_float_round_mode_16_64 0
		.amdhsa_float_denorm_mode_32 3
		.amdhsa_float_denorm_mode_16_64 3
		.amdhsa_dx10_clamp 1
		.amdhsa_ieee_mode 1
		.amdhsa_fp16_overflow 0
		.amdhsa_workgroup_processor_mode 1
		.amdhsa_memory_ordered 1
		.amdhsa_forward_progress 0
		.amdhsa_shared_vgpr_count 0
		.amdhsa_exception_fp_ieee_invalid_op 0
		.amdhsa_exception_fp_denorm_src 0
		.amdhsa_exception_fp_ieee_div_zero 0
		.amdhsa_exception_fp_ieee_overflow 0
		.amdhsa_exception_fp_ieee_underflow 0
		.amdhsa_exception_fp_ieee_inexact 0
		.amdhsa_exception_int_div_zero 0
	.end_amdhsa_kernel
	.section	.text._ZN7rocprim17ROCPRIM_400000_NS6detail17trampoline_kernelINS0_14default_configENS1_29reduce_by_key_config_selectorIyjN6thrust23THRUST_200600_302600_NS4plusIjEEEEZZNS1_33reduce_by_key_impl_wrapped_configILNS1_25lookback_scan_determinismE0ES3_S9_NS6_6detail15normal_iteratorINS6_10device_ptrIyEEEENSD_INSE_IjEEEESG_SI_PmS8_NS6_8equal_toIyEEEE10hipError_tPvRmT2_T3_mT4_T5_T6_T7_T8_P12ihipStream_tbENKUlT_T0_E_clISt17integral_constantIbLb1EES13_EEDaSY_SZ_EUlSY_E_NS1_11comp_targetILNS1_3genE8ELNS1_11target_archE1030ELNS1_3gpuE2ELNS1_3repE0EEENS1_30default_config_static_selectorELNS0_4arch9wavefront6targetE0EEEvT1_,"axG",@progbits,_ZN7rocprim17ROCPRIM_400000_NS6detail17trampoline_kernelINS0_14default_configENS1_29reduce_by_key_config_selectorIyjN6thrust23THRUST_200600_302600_NS4plusIjEEEEZZNS1_33reduce_by_key_impl_wrapped_configILNS1_25lookback_scan_determinismE0ES3_S9_NS6_6detail15normal_iteratorINS6_10device_ptrIyEEEENSD_INSE_IjEEEESG_SI_PmS8_NS6_8equal_toIyEEEE10hipError_tPvRmT2_T3_mT4_T5_T6_T7_T8_P12ihipStream_tbENKUlT_T0_E_clISt17integral_constantIbLb1EES13_EEDaSY_SZ_EUlSY_E_NS1_11comp_targetILNS1_3genE8ELNS1_11target_archE1030ELNS1_3gpuE2ELNS1_3repE0EEENS1_30default_config_static_selectorELNS0_4arch9wavefront6targetE0EEEvT1_,comdat
.Lfunc_end714:
	.size	_ZN7rocprim17ROCPRIM_400000_NS6detail17trampoline_kernelINS0_14default_configENS1_29reduce_by_key_config_selectorIyjN6thrust23THRUST_200600_302600_NS4plusIjEEEEZZNS1_33reduce_by_key_impl_wrapped_configILNS1_25lookback_scan_determinismE0ES3_S9_NS6_6detail15normal_iteratorINS6_10device_ptrIyEEEENSD_INSE_IjEEEESG_SI_PmS8_NS6_8equal_toIyEEEE10hipError_tPvRmT2_T3_mT4_T5_T6_T7_T8_P12ihipStream_tbENKUlT_T0_E_clISt17integral_constantIbLb1EES13_EEDaSY_SZ_EUlSY_E_NS1_11comp_targetILNS1_3genE8ELNS1_11target_archE1030ELNS1_3gpuE2ELNS1_3repE0EEENS1_30default_config_static_selectorELNS0_4arch9wavefront6targetE0EEEvT1_, .Lfunc_end714-_ZN7rocprim17ROCPRIM_400000_NS6detail17trampoline_kernelINS0_14default_configENS1_29reduce_by_key_config_selectorIyjN6thrust23THRUST_200600_302600_NS4plusIjEEEEZZNS1_33reduce_by_key_impl_wrapped_configILNS1_25lookback_scan_determinismE0ES3_S9_NS6_6detail15normal_iteratorINS6_10device_ptrIyEEEENSD_INSE_IjEEEESG_SI_PmS8_NS6_8equal_toIyEEEE10hipError_tPvRmT2_T3_mT4_T5_T6_T7_T8_P12ihipStream_tbENKUlT_T0_E_clISt17integral_constantIbLb1EES13_EEDaSY_SZ_EUlSY_E_NS1_11comp_targetILNS1_3genE8ELNS1_11target_archE1030ELNS1_3gpuE2ELNS1_3repE0EEENS1_30default_config_static_selectorELNS0_4arch9wavefront6targetE0EEEvT1_
                                        ; -- End function
	.section	.AMDGPU.csdata,"",@progbits
; Kernel info:
; codeLenInByte = 0
; NumSgprs: 0
; NumVgprs: 0
; ScratchSize: 0
; MemoryBound: 0
; FloatMode: 240
; IeeeMode: 1
; LDSByteSize: 0 bytes/workgroup (compile time only)
; SGPRBlocks: 0
; VGPRBlocks: 0
; NumSGPRsForWavesPerEU: 1
; NumVGPRsForWavesPerEU: 1
; Occupancy: 16
; WaveLimiterHint : 0
; COMPUTE_PGM_RSRC2:SCRATCH_EN: 0
; COMPUTE_PGM_RSRC2:USER_SGPR: 15
; COMPUTE_PGM_RSRC2:TRAP_HANDLER: 0
; COMPUTE_PGM_RSRC2:TGID_X_EN: 1
; COMPUTE_PGM_RSRC2:TGID_Y_EN: 0
; COMPUTE_PGM_RSRC2:TGID_Z_EN: 0
; COMPUTE_PGM_RSRC2:TIDIG_COMP_CNT: 0
	.section	.text._ZN7rocprim17ROCPRIM_400000_NS6detail17trampoline_kernelINS0_14default_configENS1_29reduce_by_key_config_selectorIyjN6thrust23THRUST_200600_302600_NS4plusIjEEEEZZNS1_33reduce_by_key_impl_wrapped_configILNS1_25lookback_scan_determinismE0ES3_S9_NS6_6detail15normal_iteratorINS6_10device_ptrIyEEEENSD_INSE_IjEEEESG_SI_PmS8_NS6_8equal_toIyEEEE10hipError_tPvRmT2_T3_mT4_T5_T6_T7_T8_P12ihipStream_tbENKUlT_T0_E_clISt17integral_constantIbLb1EES12_IbLb0EEEEDaSY_SZ_EUlSY_E_NS1_11comp_targetILNS1_3genE0ELNS1_11target_archE4294967295ELNS1_3gpuE0ELNS1_3repE0EEENS1_30default_config_static_selectorELNS0_4arch9wavefront6targetE0EEEvT1_,"axG",@progbits,_ZN7rocprim17ROCPRIM_400000_NS6detail17trampoline_kernelINS0_14default_configENS1_29reduce_by_key_config_selectorIyjN6thrust23THRUST_200600_302600_NS4plusIjEEEEZZNS1_33reduce_by_key_impl_wrapped_configILNS1_25lookback_scan_determinismE0ES3_S9_NS6_6detail15normal_iteratorINS6_10device_ptrIyEEEENSD_INSE_IjEEEESG_SI_PmS8_NS6_8equal_toIyEEEE10hipError_tPvRmT2_T3_mT4_T5_T6_T7_T8_P12ihipStream_tbENKUlT_T0_E_clISt17integral_constantIbLb1EES12_IbLb0EEEEDaSY_SZ_EUlSY_E_NS1_11comp_targetILNS1_3genE0ELNS1_11target_archE4294967295ELNS1_3gpuE0ELNS1_3repE0EEENS1_30default_config_static_selectorELNS0_4arch9wavefront6targetE0EEEvT1_,comdat
	.protected	_ZN7rocprim17ROCPRIM_400000_NS6detail17trampoline_kernelINS0_14default_configENS1_29reduce_by_key_config_selectorIyjN6thrust23THRUST_200600_302600_NS4plusIjEEEEZZNS1_33reduce_by_key_impl_wrapped_configILNS1_25lookback_scan_determinismE0ES3_S9_NS6_6detail15normal_iteratorINS6_10device_ptrIyEEEENSD_INSE_IjEEEESG_SI_PmS8_NS6_8equal_toIyEEEE10hipError_tPvRmT2_T3_mT4_T5_T6_T7_T8_P12ihipStream_tbENKUlT_T0_E_clISt17integral_constantIbLb1EES12_IbLb0EEEEDaSY_SZ_EUlSY_E_NS1_11comp_targetILNS1_3genE0ELNS1_11target_archE4294967295ELNS1_3gpuE0ELNS1_3repE0EEENS1_30default_config_static_selectorELNS0_4arch9wavefront6targetE0EEEvT1_ ; -- Begin function _ZN7rocprim17ROCPRIM_400000_NS6detail17trampoline_kernelINS0_14default_configENS1_29reduce_by_key_config_selectorIyjN6thrust23THRUST_200600_302600_NS4plusIjEEEEZZNS1_33reduce_by_key_impl_wrapped_configILNS1_25lookback_scan_determinismE0ES3_S9_NS6_6detail15normal_iteratorINS6_10device_ptrIyEEEENSD_INSE_IjEEEESG_SI_PmS8_NS6_8equal_toIyEEEE10hipError_tPvRmT2_T3_mT4_T5_T6_T7_T8_P12ihipStream_tbENKUlT_T0_E_clISt17integral_constantIbLb1EES12_IbLb0EEEEDaSY_SZ_EUlSY_E_NS1_11comp_targetILNS1_3genE0ELNS1_11target_archE4294967295ELNS1_3gpuE0ELNS1_3repE0EEENS1_30default_config_static_selectorELNS0_4arch9wavefront6targetE0EEEvT1_
	.globl	_ZN7rocprim17ROCPRIM_400000_NS6detail17trampoline_kernelINS0_14default_configENS1_29reduce_by_key_config_selectorIyjN6thrust23THRUST_200600_302600_NS4plusIjEEEEZZNS1_33reduce_by_key_impl_wrapped_configILNS1_25lookback_scan_determinismE0ES3_S9_NS6_6detail15normal_iteratorINS6_10device_ptrIyEEEENSD_INSE_IjEEEESG_SI_PmS8_NS6_8equal_toIyEEEE10hipError_tPvRmT2_T3_mT4_T5_T6_T7_T8_P12ihipStream_tbENKUlT_T0_E_clISt17integral_constantIbLb1EES12_IbLb0EEEEDaSY_SZ_EUlSY_E_NS1_11comp_targetILNS1_3genE0ELNS1_11target_archE4294967295ELNS1_3gpuE0ELNS1_3repE0EEENS1_30default_config_static_selectorELNS0_4arch9wavefront6targetE0EEEvT1_
	.p2align	8
	.type	_ZN7rocprim17ROCPRIM_400000_NS6detail17trampoline_kernelINS0_14default_configENS1_29reduce_by_key_config_selectorIyjN6thrust23THRUST_200600_302600_NS4plusIjEEEEZZNS1_33reduce_by_key_impl_wrapped_configILNS1_25lookback_scan_determinismE0ES3_S9_NS6_6detail15normal_iteratorINS6_10device_ptrIyEEEENSD_INSE_IjEEEESG_SI_PmS8_NS6_8equal_toIyEEEE10hipError_tPvRmT2_T3_mT4_T5_T6_T7_T8_P12ihipStream_tbENKUlT_T0_E_clISt17integral_constantIbLb1EES12_IbLb0EEEEDaSY_SZ_EUlSY_E_NS1_11comp_targetILNS1_3genE0ELNS1_11target_archE4294967295ELNS1_3gpuE0ELNS1_3repE0EEENS1_30default_config_static_selectorELNS0_4arch9wavefront6targetE0EEEvT1_,@function
_ZN7rocprim17ROCPRIM_400000_NS6detail17trampoline_kernelINS0_14default_configENS1_29reduce_by_key_config_selectorIyjN6thrust23THRUST_200600_302600_NS4plusIjEEEEZZNS1_33reduce_by_key_impl_wrapped_configILNS1_25lookback_scan_determinismE0ES3_S9_NS6_6detail15normal_iteratorINS6_10device_ptrIyEEEENSD_INSE_IjEEEESG_SI_PmS8_NS6_8equal_toIyEEEE10hipError_tPvRmT2_T3_mT4_T5_T6_T7_T8_P12ihipStream_tbENKUlT_T0_E_clISt17integral_constantIbLb1EES12_IbLb0EEEEDaSY_SZ_EUlSY_E_NS1_11comp_targetILNS1_3genE0ELNS1_11target_archE4294967295ELNS1_3gpuE0ELNS1_3repE0EEENS1_30default_config_static_selectorELNS0_4arch9wavefront6targetE0EEEvT1_: ; @_ZN7rocprim17ROCPRIM_400000_NS6detail17trampoline_kernelINS0_14default_configENS1_29reduce_by_key_config_selectorIyjN6thrust23THRUST_200600_302600_NS4plusIjEEEEZZNS1_33reduce_by_key_impl_wrapped_configILNS1_25lookback_scan_determinismE0ES3_S9_NS6_6detail15normal_iteratorINS6_10device_ptrIyEEEENSD_INSE_IjEEEESG_SI_PmS8_NS6_8equal_toIyEEEE10hipError_tPvRmT2_T3_mT4_T5_T6_T7_T8_P12ihipStream_tbENKUlT_T0_E_clISt17integral_constantIbLb1EES12_IbLb0EEEEDaSY_SZ_EUlSY_E_NS1_11comp_targetILNS1_3genE0ELNS1_11target_archE4294967295ELNS1_3gpuE0ELNS1_3repE0EEENS1_30default_config_static_selectorELNS0_4arch9wavefront6targetE0EEEvT1_
; %bb.0:
	.section	.rodata,"a",@progbits
	.p2align	6, 0x0
	.amdhsa_kernel _ZN7rocprim17ROCPRIM_400000_NS6detail17trampoline_kernelINS0_14default_configENS1_29reduce_by_key_config_selectorIyjN6thrust23THRUST_200600_302600_NS4plusIjEEEEZZNS1_33reduce_by_key_impl_wrapped_configILNS1_25lookback_scan_determinismE0ES3_S9_NS6_6detail15normal_iteratorINS6_10device_ptrIyEEEENSD_INSE_IjEEEESG_SI_PmS8_NS6_8equal_toIyEEEE10hipError_tPvRmT2_T3_mT4_T5_T6_T7_T8_P12ihipStream_tbENKUlT_T0_E_clISt17integral_constantIbLb1EES12_IbLb0EEEEDaSY_SZ_EUlSY_E_NS1_11comp_targetILNS1_3genE0ELNS1_11target_archE4294967295ELNS1_3gpuE0ELNS1_3repE0EEENS1_30default_config_static_selectorELNS0_4arch9wavefront6targetE0EEEvT1_
		.amdhsa_group_segment_fixed_size 0
		.amdhsa_private_segment_fixed_size 0
		.amdhsa_kernarg_size 120
		.amdhsa_user_sgpr_count 15
		.amdhsa_user_sgpr_dispatch_ptr 0
		.amdhsa_user_sgpr_queue_ptr 0
		.amdhsa_user_sgpr_kernarg_segment_ptr 1
		.amdhsa_user_sgpr_dispatch_id 0
		.amdhsa_user_sgpr_private_segment_size 0
		.amdhsa_wavefront_size32 1
		.amdhsa_uses_dynamic_stack 0
		.amdhsa_enable_private_segment 0
		.amdhsa_system_sgpr_workgroup_id_x 1
		.amdhsa_system_sgpr_workgroup_id_y 0
		.amdhsa_system_sgpr_workgroup_id_z 0
		.amdhsa_system_sgpr_workgroup_info 0
		.amdhsa_system_vgpr_workitem_id 0
		.amdhsa_next_free_vgpr 1
		.amdhsa_next_free_sgpr 1
		.amdhsa_reserve_vcc 0
		.amdhsa_float_round_mode_32 0
		.amdhsa_float_round_mode_16_64 0
		.amdhsa_float_denorm_mode_32 3
		.amdhsa_float_denorm_mode_16_64 3
		.amdhsa_dx10_clamp 1
		.amdhsa_ieee_mode 1
		.amdhsa_fp16_overflow 0
		.amdhsa_workgroup_processor_mode 1
		.amdhsa_memory_ordered 1
		.amdhsa_forward_progress 0
		.amdhsa_shared_vgpr_count 0
		.amdhsa_exception_fp_ieee_invalid_op 0
		.amdhsa_exception_fp_denorm_src 0
		.amdhsa_exception_fp_ieee_div_zero 0
		.amdhsa_exception_fp_ieee_overflow 0
		.amdhsa_exception_fp_ieee_underflow 0
		.amdhsa_exception_fp_ieee_inexact 0
		.amdhsa_exception_int_div_zero 0
	.end_amdhsa_kernel
	.section	.text._ZN7rocprim17ROCPRIM_400000_NS6detail17trampoline_kernelINS0_14default_configENS1_29reduce_by_key_config_selectorIyjN6thrust23THRUST_200600_302600_NS4plusIjEEEEZZNS1_33reduce_by_key_impl_wrapped_configILNS1_25lookback_scan_determinismE0ES3_S9_NS6_6detail15normal_iteratorINS6_10device_ptrIyEEEENSD_INSE_IjEEEESG_SI_PmS8_NS6_8equal_toIyEEEE10hipError_tPvRmT2_T3_mT4_T5_T6_T7_T8_P12ihipStream_tbENKUlT_T0_E_clISt17integral_constantIbLb1EES12_IbLb0EEEEDaSY_SZ_EUlSY_E_NS1_11comp_targetILNS1_3genE0ELNS1_11target_archE4294967295ELNS1_3gpuE0ELNS1_3repE0EEENS1_30default_config_static_selectorELNS0_4arch9wavefront6targetE0EEEvT1_,"axG",@progbits,_ZN7rocprim17ROCPRIM_400000_NS6detail17trampoline_kernelINS0_14default_configENS1_29reduce_by_key_config_selectorIyjN6thrust23THRUST_200600_302600_NS4plusIjEEEEZZNS1_33reduce_by_key_impl_wrapped_configILNS1_25lookback_scan_determinismE0ES3_S9_NS6_6detail15normal_iteratorINS6_10device_ptrIyEEEENSD_INSE_IjEEEESG_SI_PmS8_NS6_8equal_toIyEEEE10hipError_tPvRmT2_T3_mT4_T5_T6_T7_T8_P12ihipStream_tbENKUlT_T0_E_clISt17integral_constantIbLb1EES12_IbLb0EEEEDaSY_SZ_EUlSY_E_NS1_11comp_targetILNS1_3genE0ELNS1_11target_archE4294967295ELNS1_3gpuE0ELNS1_3repE0EEENS1_30default_config_static_selectorELNS0_4arch9wavefront6targetE0EEEvT1_,comdat
.Lfunc_end715:
	.size	_ZN7rocprim17ROCPRIM_400000_NS6detail17trampoline_kernelINS0_14default_configENS1_29reduce_by_key_config_selectorIyjN6thrust23THRUST_200600_302600_NS4plusIjEEEEZZNS1_33reduce_by_key_impl_wrapped_configILNS1_25lookback_scan_determinismE0ES3_S9_NS6_6detail15normal_iteratorINS6_10device_ptrIyEEEENSD_INSE_IjEEEESG_SI_PmS8_NS6_8equal_toIyEEEE10hipError_tPvRmT2_T3_mT4_T5_T6_T7_T8_P12ihipStream_tbENKUlT_T0_E_clISt17integral_constantIbLb1EES12_IbLb0EEEEDaSY_SZ_EUlSY_E_NS1_11comp_targetILNS1_3genE0ELNS1_11target_archE4294967295ELNS1_3gpuE0ELNS1_3repE0EEENS1_30default_config_static_selectorELNS0_4arch9wavefront6targetE0EEEvT1_, .Lfunc_end715-_ZN7rocprim17ROCPRIM_400000_NS6detail17trampoline_kernelINS0_14default_configENS1_29reduce_by_key_config_selectorIyjN6thrust23THRUST_200600_302600_NS4plusIjEEEEZZNS1_33reduce_by_key_impl_wrapped_configILNS1_25lookback_scan_determinismE0ES3_S9_NS6_6detail15normal_iteratorINS6_10device_ptrIyEEEENSD_INSE_IjEEEESG_SI_PmS8_NS6_8equal_toIyEEEE10hipError_tPvRmT2_T3_mT4_T5_T6_T7_T8_P12ihipStream_tbENKUlT_T0_E_clISt17integral_constantIbLb1EES12_IbLb0EEEEDaSY_SZ_EUlSY_E_NS1_11comp_targetILNS1_3genE0ELNS1_11target_archE4294967295ELNS1_3gpuE0ELNS1_3repE0EEENS1_30default_config_static_selectorELNS0_4arch9wavefront6targetE0EEEvT1_
                                        ; -- End function
	.section	.AMDGPU.csdata,"",@progbits
; Kernel info:
; codeLenInByte = 0
; NumSgprs: 0
; NumVgprs: 0
; ScratchSize: 0
; MemoryBound: 0
; FloatMode: 240
; IeeeMode: 1
; LDSByteSize: 0 bytes/workgroup (compile time only)
; SGPRBlocks: 0
; VGPRBlocks: 0
; NumSGPRsForWavesPerEU: 1
; NumVGPRsForWavesPerEU: 1
; Occupancy: 16
; WaveLimiterHint : 0
; COMPUTE_PGM_RSRC2:SCRATCH_EN: 0
; COMPUTE_PGM_RSRC2:USER_SGPR: 15
; COMPUTE_PGM_RSRC2:TRAP_HANDLER: 0
; COMPUTE_PGM_RSRC2:TGID_X_EN: 1
; COMPUTE_PGM_RSRC2:TGID_Y_EN: 0
; COMPUTE_PGM_RSRC2:TGID_Z_EN: 0
; COMPUTE_PGM_RSRC2:TIDIG_COMP_CNT: 0
	.section	.text._ZN7rocprim17ROCPRIM_400000_NS6detail17trampoline_kernelINS0_14default_configENS1_29reduce_by_key_config_selectorIyjN6thrust23THRUST_200600_302600_NS4plusIjEEEEZZNS1_33reduce_by_key_impl_wrapped_configILNS1_25lookback_scan_determinismE0ES3_S9_NS6_6detail15normal_iteratorINS6_10device_ptrIyEEEENSD_INSE_IjEEEESG_SI_PmS8_NS6_8equal_toIyEEEE10hipError_tPvRmT2_T3_mT4_T5_T6_T7_T8_P12ihipStream_tbENKUlT_T0_E_clISt17integral_constantIbLb1EES12_IbLb0EEEEDaSY_SZ_EUlSY_E_NS1_11comp_targetILNS1_3genE5ELNS1_11target_archE942ELNS1_3gpuE9ELNS1_3repE0EEENS1_30default_config_static_selectorELNS0_4arch9wavefront6targetE0EEEvT1_,"axG",@progbits,_ZN7rocprim17ROCPRIM_400000_NS6detail17trampoline_kernelINS0_14default_configENS1_29reduce_by_key_config_selectorIyjN6thrust23THRUST_200600_302600_NS4plusIjEEEEZZNS1_33reduce_by_key_impl_wrapped_configILNS1_25lookback_scan_determinismE0ES3_S9_NS6_6detail15normal_iteratorINS6_10device_ptrIyEEEENSD_INSE_IjEEEESG_SI_PmS8_NS6_8equal_toIyEEEE10hipError_tPvRmT2_T3_mT4_T5_T6_T7_T8_P12ihipStream_tbENKUlT_T0_E_clISt17integral_constantIbLb1EES12_IbLb0EEEEDaSY_SZ_EUlSY_E_NS1_11comp_targetILNS1_3genE5ELNS1_11target_archE942ELNS1_3gpuE9ELNS1_3repE0EEENS1_30default_config_static_selectorELNS0_4arch9wavefront6targetE0EEEvT1_,comdat
	.protected	_ZN7rocprim17ROCPRIM_400000_NS6detail17trampoline_kernelINS0_14default_configENS1_29reduce_by_key_config_selectorIyjN6thrust23THRUST_200600_302600_NS4plusIjEEEEZZNS1_33reduce_by_key_impl_wrapped_configILNS1_25lookback_scan_determinismE0ES3_S9_NS6_6detail15normal_iteratorINS6_10device_ptrIyEEEENSD_INSE_IjEEEESG_SI_PmS8_NS6_8equal_toIyEEEE10hipError_tPvRmT2_T3_mT4_T5_T6_T7_T8_P12ihipStream_tbENKUlT_T0_E_clISt17integral_constantIbLb1EES12_IbLb0EEEEDaSY_SZ_EUlSY_E_NS1_11comp_targetILNS1_3genE5ELNS1_11target_archE942ELNS1_3gpuE9ELNS1_3repE0EEENS1_30default_config_static_selectorELNS0_4arch9wavefront6targetE0EEEvT1_ ; -- Begin function _ZN7rocprim17ROCPRIM_400000_NS6detail17trampoline_kernelINS0_14default_configENS1_29reduce_by_key_config_selectorIyjN6thrust23THRUST_200600_302600_NS4plusIjEEEEZZNS1_33reduce_by_key_impl_wrapped_configILNS1_25lookback_scan_determinismE0ES3_S9_NS6_6detail15normal_iteratorINS6_10device_ptrIyEEEENSD_INSE_IjEEEESG_SI_PmS8_NS6_8equal_toIyEEEE10hipError_tPvRmT2_T3_mT4_T5_T6_T7_T8_P12ihipStream_tbENKUlT_T0_E_clISt17integral_constantIbLb1EES12_IbLb0EEEEDaSY_SZ_EUlSY_E_NS1_11comp_targetILNS1_3genE5ELNS1_11target_archE942ELNS1_3gpuE9ELNS1_3repE0EEENS1_30default_config_static_selectorELNS0_4arch9wavefront6targetE0EEEvT1_
	.globl	_ZN7rocprim17ROCPRIM_400000_NS6detail17trampoline_kernelINS0_14default_configENS1_29reduce_by_key_config_selectorIyjN6thrust23THRUST_200600_302600_NS4plusIjEEEEZZNS1_33reduce_by_key_impl_wrapped_configILNS1_25lookback_scan_determinismE0ES3_S9_NS6_6detail15normal_iteratorINS6_10device_ptrIyEEEENSD_INSE_IjEEEESG_SI_PmS8_NS6_8equal_toIyEEEE10hipError_tPvRmT2_T3_mT4_T5_T6_T7_T8_P12ihipStream_tbENKUlT_T0_E_clISt17integral_constantIbLb1EES12_IbLb0EEEEDaSY_SZ_EUlSY_E_NS1_11comp_targetILNS1_3genE5ELNS1_11target_archE942ELNS1_3gpuE9ELNS1_3repE0EEENS1_30default_config_static_selectorELNS0_4arch9wavefront6targetE0EEEvT1_
	.p2align	8
	.type	_ZN7rocprim17ROCPRIM_400000_NS6detail17trampoline_kernelINS0_14default_configENS1_29reduce_by_key_config_selectorIyjN6thrust23THRUST_200600_302600_NS4plusIjEEEEZZNS1_33reduce_by_key_impl_wrapped_configILNS1_25lookback_scan_determinismE0ES3_S9_NS6_6detail15normal_iteratorINS6_10device_ptrIyEEEENSD_INSE_IjEEEESG_SI_PmS8_NS6_8equal_toIyEEEE10hipError_tPvRmT2_T3_mT4_T5_T6_T7_T8_P12ihipStream_tbENKUlT_T0_E_clISt17integral_constantIbLb1EES12_IbLb0EEEEDaSY_SZ_EUlSY_E_NS1_11comp_targetILNS1_3genE5ELNS1_11target_archE942ELNS1_3gpuE9ELNS1_3repE0EEENS1_30default_config_static_selectorELNS0_4arch9wavefront6targetE0EEEvT1_,@function
_ZN7rocprim17ROCPRIM_400000_NS6detail17trampoline_kernelINS0_14default_configENS1_29reduce_by_key_config_selectorIyjN6thrust23THRUST_200600_302600_NS4plusIjEEEEZZNS1_33reduce_by_key_impl_wrapped_configILNS1_25lookback_scan_determinismE0ES3_S9_NS6_6detail15normal_iteratorINS6_10device_ptrIyEEEENSD_INSE_IjEEEESG_SI_PmS8_NS6_8equal_toIyEEEE10hipError_tPvRmT2_T3_mT4_T5_T6_T7_T8_P12ihipStream_tbENKUlT_T0_E_clISt17integral_constantIbLb1EES12_IbLb0EEEEDaSY_SZ_EUlSY_E_NS1_11comp_targetILNS1_3genE5ELNS1_11target_archE942ELNS1_3gpuE9ELNS1_3repE0EEENS1_30default_config_static_selectorELNS0_4arch9wavefront6targetE0EEEvT1_: ; @_ZN7rocprim17ROCPRIM_400000_NS6detail17trampoline_kernelINS0_14default_configENS1_29reduce_by_key_config_selectorIyjN6thrust23THRUST_200600_302600_NS4plusIjEEEEZZNS1_33reduce_by_key_impl_wrapped_configILNS1_25lookback_scan_determinismE0ES3_S9_NS6_6detail15normal_iteratorINS6_10device_ptrIyEEEENSD_INSE_IjEEEESG_SI_PmS8_NS6_8equal_toIyEEEE10hipError_tPvRmT2_T3_mT4_T5_T6_T7_T8_P12ihipStream_tbENKUlT_T0_E_clISt17integral_constantIbLb1EES12_IbLb0EEEEDaSY_SZ_EUlSY_E_NS1_11comp_targetILNS1_3genE5ELNS1_11target_archE942ELNS1_3gpuE9ELNS1_3repE0EEENS1_30default_config_static_selectorELNS0_4arch9wavefront6targetE0EEEvT1_
; %bb.0:
	.section	.rodata,"a",@progbits
	.p2align	6, 0x0
	.amdhsa_kernel _ZN7rocprim17ROCPRIM_400000_NS6detail17trampoline_kernelINS0_14default_configENS1_29reduce_by_key_config_selectorIyjN6thrust23THRUST_200600_302600_NS4plusIjEEEEZZNS1_33reduce_by_key_impl_wrapped_configILNS1_25lookback_scan_determinismE0ES3_S9_NS6_6detail15normal_iteratorINS6_10device_ptrIyEEEENSD_INSE_IjEEEESG_SI_PmS8_NS6_8equal_toIyEEEE10hipError_tPvRmT2_T3_mT4_T5_T6_T7_T8_P12ihipStream_tbENKUlT_T0_E_clISt17integral_constantIbLb1EES12_IbLb0EEEEDaSY_SZ_EUlSY_E_NS1_11comp_targetILNS1_3genE5ELNS1_11target_archE942ELNS1_3gpuE9ELNS1_3repE0EEENS1_30default_config_static_selectorELNS0_4arch9wavefront6targetE0EEEvT1_
		.amdhsa_group_segment_fixed_size 0
		.amdhsa_private_segment_fixed_size 0
		.amdhsa_kernarg_size 120
		.amdhsa_user_sgpr_count 15
		.amdhsa_user_sgpr_dispatch_ptr 0
		.amdhsa_user_sgpr_queue_ptr 0
		.amdhsa_user_sgpr_kernarg_segment_ptr 1
		.amdhsa_user_sgpr_dispatch_id 0
		.amdhsa_user_sgpr_private_segment_size 0
		.amdhsa_wavefront_size32 1
		.amdhsa_uses_dynamic_stack 0
		.amdhsa_enable_private_segment 0
		.amdhsa_system_sgpr_workgroup_id_x 1
		.amdhsa_system_sgpr_workgroup_id_y 0
		.amdhsa_system_sgpr_workgroup_id_z 0
		.amdhsa_system_sgpr_workgroup_info 0
		.amdhsa_system_vgpr_workitem_id 0
		.amdhsa_next_free_vgpr 1
		.amdhsa_next_free_sgpr 1
		.amdhsa_reserve_vcc 0
		.amdhsa_float_round_mode_32 0
		.amdhsa_float_round_mode_16_64 0
		.amdhsa_float_denorm_mode_32 3
		.amdhsa_float_denorm_mode_16_64 3
		.amdhsa_dx10_clamp 1
		.amdhsa_ieee_mode 1
		.amdhsa_fp16_overflow 0
		.amdhsa_workgroup_processor_mode 1
		.amdhsa_memory_ordered 1
		.amdhsa_forward_progress 0
		.amdhsa_shared_vgpr_count 0
		.amdhsa_exception_fp_ieee_invalid_op 0
		.amdhsa_exception_fp_denorm_src 0
		.amdhsa_exception_fp_ieee_div_zero 0
		.amdhsa_exception_fp_ieee_overflow 0
		.amdhsa_exception_fp_ieee_underflow 0
		.amdhsa_exception_fp_ieee_inexact 0
		.amdhsa_exception_int_div_zero 0
	.end_amdhsa_kernel
	.section	.text._ZN7rocprim17ROCPRIM_400000_NS6detail17trampoline_kernelINS0_14default_configENS1_29reduce_by_key_config_selectorIyjN6thrust23THRUST_200600_302600_NS4plusIjEEEEZZNS1_33reduce_by_key_impl_wrapped_configILNS1_25lookback_scan_determinismE0ES3_S9_NS6_6detail15normal_iteratorINS6_10device_ptrIyEEEENSD_INSE_IjEEEESG_SI_PmS8_NS6_8equal_toIyEEEE10hipError_tPvRmT2_T3_mT4_T5_T6_T7_T8_P12ihipStream_tbENKUlT_T0_E_clISt17integral_constantIbLb1EES12_IbLb0EEEEDaSY_SZ_EUlSY_E_NS1_11comp_targetILNS1_3genE5ELNS1_11target_archE942ELNS1_3gpuE9ELNS1_3repE0EEENS1_30default_config_static_selectorELNS0_4arch9wavefront6targetE0EEEvT1_,"axG",@progbits,_ZN7rocprim17ROCPRIM_400000_NS6detail17trampoline_kernelINS0_14default_configENS1_29reduce_by_key_config_selectorIyjN6thrust23THRUST_200600_302600_NS4plusIjEEEEZZNS1_33reduce_by_key_impl_wrapped_configILNS1_25lookback_scan_determinismE0ES3_S9_NS6_6detail15normal_iteratorINS6_10device_ptrIyEEEENSD_INSE_IjEEEESG_SI_PmS8_NS6_8equal_toIyEEEE10hipError_tPvRmT2_T3_mT4_T5_T6_T7_T8_P12ihipStream_tbENKUlT_T0_E_clISt17integral_constantIbLb1EES12_IbLb0EEEEDaSY_SZ_EUlSY_E_NS1_11comp_targetILNS1_3genE5ELNS1_11target_archE942ELNS1_3gpuE9ELNS1_3repE0EEENS1_30default_config_static_selectorELNS0_4arch9wavefront6targetE0EEEvT1_,comdat
.Lfunc_end716:
	.size	_ZN7rocprim17ROCPRIM_400000_NS6detail17trampoline_kernelINS0_14default_configENS1_29reduce_by_key_config_selectorIyjN6thrust23THRUST_200600_302600_NS4plusIjEEEEZZNS1_33reduce_by_key_impl_wrapped_configILNS1_25lookback_scan_determinismE0ES3_S9_NS6_6detail15normal_iteratorINS6_10device_ptrIyEEEENSD_INSE_IjEEEESG_SI_PmS8_NS6_8equal_toIyEEEE10hipError_tPvRmT2_T3_mT4_T5_T6_T7_T8_P12ihipStream_tbENKUlT_T0_E_clISt17integral_constantIbLb1EES12_IbLb0EEEEDaSY_SZ_EUlSY_E_NS1_11comp_targetILNS1_3genE5ELNS1_11target_archE942ELNS1_3gpuE9ELNS1_3repE0EEENS1_30default_config_static_selectorELNS0_4arch9wavefront6targetE0EEEvT1_, .Lfunc_end716-_ZN7rocprim17ROCPRIM_400000_NS6detail17trampoline_kernelINS0_14default_configENS1_29reduce_by_key_config_selectorIyjN6thrust23THRUST_200600_302600_NS4plusIjEEEEZZNS1_33reduce_by_key_impl_wrapped_configILNS1_25lookback_scan_determinismE0ES3_S9_NS6_6detail15normal_iteratorINS6_10device_ptrIyEEEENSD_INSE_IjEEEESG_SI_PmS8_NS6_8equal_toIyEEEE10hipError_tPvRmT2_T3_mT4_T5_T6_T7_T8_P12ihipStream_tbENKUlT_T0_E_clISt17integral_constantIbLb1EES12_IbLb0EEEEDaSY_SZ_EUlSY_E_NS1_11comp_targetILNS1_3genE5ELNS1_11target_archE942ELNS1_3gpuE9ELNS1_3repE0EEENS1_30default_config_static_selectorELNS0_4arch9wavefront6targetE0EEEvT1_
                                        ; -- End function
	.section	.AMDGPU.csdata,"",@progbits
; Kernel info:
; codeLenInByte = 0
; NumSgprs: 0
; NumVgprs: 0
; ScratchSize: 0
; MemoryBound: 0
; FloatMode: 240
; IeeeMode: 1
; LDSByteSize: 0 bytes/workgroup (compile time only)
; SGPRBlocks: 0
; VGPRBlocks: 0
; NumSGPRsForWavesPerEU: 1
; NumVGPRsForWavesPerEU: 1
; Occupancy: 16
; WaveLimiterHint : 0
; COMPUTE_PGM_RSRC2:SCRATCH_EN: 0
; COMPUTE_PGM_RSRC2:USER_SGPR: 15
; COMPUTE_PGM_RSRC2:TRAP_HANDLER: 0
; COMPUTE_PGM_RSRC2:TGID_X_EN: 1
; COMPUTE_PGM_RSRC2:TGID_Y_EN: 0
; COMPUTE_PGM_RSRC2:TGID_Z_EN: 0
; COMPUTE_PGM_RSRC2:TIDIG_COMP_CNT: 0
	.section	.text._ZN7rocprim17ROCPRIM_400000_NS6detail17trampoline_kernelINS0_14default_configENS1_29reduce_by_key_config_selectorIyjN6thrust23THRUST_200600_302600_NS4plusIjEEEEZZNS1_33reduce_by_key_impl_wrapped_configILNS1_25lookback_scan_determinismE0ES3_S9_NS6_6detail15normal_iteratorINS6_10device_ptrIyEEEENSD_INSE_IjEEEESG_SI_PmS8_NS6_8equal_toIyEEEE10hipError_tPvRmT2_T3_mT4_T5_T6_T7_T8_P12ihipStream_tbENKUlT_T0_E_clISt17integral_constantIbLb1EES12_IbLb0EEEEDaSY_SZ_EUlSY_E_NS1_11comp_targetILNS1_3genE4ELNS1_11target_archE910ELNS1_3gpuE8ELNS1_3repE0EEENS1_30default_config_static_selectorELNS0_4arch9wavefront6targetE0EEEvT1_,"axG",@progbits,_ZN7rocprim17ROCPRIM_400000_NS6detail17trampoline_kernelINS0_14default_configENS1_29reduce_by_key_config_selectorIyjN6thrust23THRUST_200600_302600_NS4plusIjEEEEZZNS1_33reduce_by_key_impl_wrapped_configILNS1_25lookback_scan_determinismE0ES3_S9_NS6_6detail15normal_iteratorINS6_10device_ptrIyEEEENSD_INSE_IjEEEESG_SI_PmS8_NS6_8equal_toIyEEEE10hipError_tPvRmT2_T3_mT4_T5_T6_T7_T8_P12ihipStream_tbENKUlT_T0_E_clISt17integral_constantIbLb1EES12_IbLb0EEEEDaSY_SZ_EUlSY_E_NS1_11comp_targetILNS1_3genE4ELNS1_11target_archE910ELNS1_3gpuE8ELNS1_3repE0EEENS1_30default_config_static_selectorELNS0_4arch9wavefront6targetE0EEEvT1_,comdat
	.protected	_ZN7rocprim17ROCPRIM_400000_NS6detail17trampoline_kernelINS0_14default_configENS1_29reduce_by_key_config_selectorIyjN6thrust23THRUST_200600_302600_NS4plusIjEEEEZZNS1_33reduce_by_key_impl_wrapped_configILNS1_25lookback_scan_determinismE0ES3_S9_NS6_6detail15normal_iteratorINS6_10device_ptrIyEEEENSD_INSE_IjEEEESG_SI_PmS8_NS6_8equal_toIyEEEE10hipError_tPvRmT2_T3_mT4_T5_T6_T7_T8_P12ihipStream_tbENKUlT_T0_E_clISt17integral_constantIbLb1EES12_IbLb0EEEEDaSY_SZ_EUlSY_E_NS1_11comp_targetILNS1_3genE4ELNS1_11target_archE910ELNS1_3gpuE8ELNS1_3repE0EEENS1_30default_config_static_selectorELNS0_4arch9wavefront6targetE0EEEvT1_ ; -- Begin function _ZN7rocprim17ROCPRIM_400000_NS6detail17trampoline_kernelINS0_14default_configENS1_29reduce_by_key_config_selectorIyjN6thrust23THRUST_200600_302600_NS4plusIjEEEEZZNS1_33reduce_by_key_impl_wrapped_configILNS1_25lookback_scan_determinismE0ES3_S9_NS6_6detail15normal_iteratorINS6_10device_ptrIyEEEENSD_INSE_IjEEEESG_SI_PmS8_NS6_8equal_toIyEEEE10hipError_tPvRmT2_T3_mT4_T5_T6_T7_T8_P12ihipStream_tbENKUlT_T0_E_clISt17integral_constantIbLb1EES12_IbLb0EEEEDaSY_SZ_EUlSY_E_NS1_11comp_targetILNS1_3genE4ELNS1_11target_archE910ELNS1_3gpuE8ELNS1_3repE0EEENS1_30default_config_static_selectorELNS0_4arch9wavefront6targetE0EEEvT1_
	.globl	_ZN7rocprim17ROCPRIM_400000_NS6detail17trampoline_kernelINS0_14default_configENS1_29reduce_by_key_config_selectorIyjN6thrust23THRUST_200600_302600_NS4plusIjEEEEZZNS1_33reduce_by_key_impl_wrapped_configILNS1_25lookback_scan_determinismE0ES3_S9_NS6_6detail15normal_iteratorINS6_10device_ptrIyEEEENSD_INSE_IjEEEESG_SI_PmS8_NS6_8equal_toIyEEEE10hipError_tPvRmT2_T3_mT4_T5_T6_T7_T8_P12ihipStream_tbENKUlT_T0_E_clISt17integral_constantIbLb1EES12_IbLb0EEEEDaSY_SZ_EUlSY_E_NS1_11comp_targetILNS1_3genE4ELNS1_11target_archE910ELNS1_3gpuE8ELNS1_3repE0EEENS1_30default_config_static_selectorELNS0_4arch9wavefront6targetE0EEEvT1_
	.p2align	8
	.type	_ZN7rocprim17ROCPRIM_400000_NS6detail17trampoline_kernelINS0_14default_configENS1_29reduce_by_key_config_selectorIyjN6thrust23THRUST_200600_302600_NS4plusIjEEEEZZNS1_33reduce_by_key_impl_wrapped_configILNS1_25lookback_scan_determinismE0ES3_S9_NS6_6detail15normal_iteratorINS6_10device_ptrIyEEEENSD_INSE_IjEEEESG_SI_PmS8_NS6_8equal_toIyEEEE10hipError_tPvRmT2_T3_mT4_T5_T6_T7_T8_P12ihipStream_tbENKUlT_T0_E_clISt17integral_constantIbLb1EES12_IbLb0EEEEDaSY_SZ_EUlSY_E_NS1_11comp_targetILNS1_3genE4ELNS1_11target_archE910ELNS1_3gpuE8ELNS1_3repE0EEENS1_30default_config_static_selectorELNS0_4arch9wavefront6targetE0EEEvT1_,@function
_ZN7rocprim17ROCPRIM_400000_NS6detail17trampoline_kernelINS0_14default_configENS1_29reduce_by_key_config_selectorIyjN6thrust23THRUST_200600_302600_NS4plusIjEEEEZZNS1_33reduce_by_key_impl_wrapped_configILNS1_25lookback_scan_determinismE0ES3_S9_NS6_6detail15normal_iteratorINS6_10device_ptrIyEEEENSD_INSE_IjEEEESG_SI_PmS8_NS6_8equal_toIyEEEE10hipError_tPvRmT2_T3_mT4_T5_T6_T7_T8_P12ihipStream_tbENKUlT_T0_E_clISt17integral_constantIbLb1EES12_IbLb0EEEEDaSY_SZ_EUlSY_E_NS1_11comp_targetILNS1_3genE4ELNS1_11target_archE910ELNS1_3gpuE8ELNS1_3repE0EEENS1_30default_config_static_selectorELNS0_4arch9wavefront6targetE0EEEvT1_: ; @_ZN7rocprim17ROCPRIM_400000_NS6detail17trampoline_kernelINS0_14default_configENS1_29reduce_by_key_config_selectorIyjN6thrust23THRUST_200600_302600_NS4plusIjEEEEZZNS1_33reduce_by_key_impl_wrapped_configILNS1_25lookback_scan_determinismE0ES3_S9_NS6_6detail15normal_iteratorINS6_10device_ptrIyEEEENSD_INSE_IjEEEESG_SI_PmS8_NS6_8equal_toIyEEEE10hipError_tPvRmT2_T3_mT4_T5_T6_T7_T8_P12ihipStream_tbENKUlT_T0_E_clISt17integral_constantIbLb1EES12_IbLb0EEEEDaSY_SZ_EUlSY_E_NS1_11comp_targetILNS1_3genE4ELNS1_11target_archE910ELNS1_3gpuE8ELNS1_3repE0EEENS1_30default_config_static_selectorELNS0_4arch9wavefront6targetE0EEEvT1_
; %bb.0:
	.section	.rodata,"a",@progbits
	.p2align	6, 0x0
	.amdhsa_kernel _ZN7rocprim17ROCPRIM_400000_NS6detail17trampoline_kernelINS0_14default_configENS1_29reduce_by_key_config_selectorIyjN6thrust23THRUST_200600_302600_NS4plusIjEEEEZZNS1_33reduce_by_key_impl_wrapped_configILNS1_25lookback_scan_determinismE0ES3_S9_NS6_6detail15normal_iteratorINS6_10device_ptrIyEEEENSD_INSE_IjEEEESG_SI_PmS8_NS6_8equal_toIyEEEE10hipError_tPvRmT2_T3_mT4_T5_T6_T7_T8_P12ihipStream_tbENKUlT_T0_E_clISt17integral_constantIbLb1EES12_IbLb0EEEEDaSY_SZ_EUlSY_E_NS1_11comp_targetILNS1_3genE4ELNS1_11target_archE910ELNS1_3gpuE8ELNS1_3repE0EEENS1_30default_config_static_selectorELNS0_4arch9wavefront6targetE0EEEvT1_
		.amdhsa_group_segment_fixed_size 0
		.amdhsa_private_segment_fixed_size 0
		.amdhsa_kernarg_size 120
		.amdhsa_user_sgpr_count 15
		.amdhsa_user_sgpr_dispatch_ptr 0
		.amdhsa_user_sgpr_queue_ptr 0
		.amdhsa_user_sgpr_kernarg_segment_ptr 1
		.amdhsa_user_sgpr_dispatch_id 0
		.amdhsa_user_sgpr_private_segment_size 0
		.amdhsa_wavefront_size32 1
		.amdhsa_uses_dynamic_stack 0
		.amdhsa_enable_private_segment 0
		.amdhsa_system_sgpr_workgroup_id_x 1
		.amdhsa_system_sgpr_workgroup_id_y 0
		.amdhsa_system_sgpr_workgroup_id_z 0
		.amdhsa_system_sgpr_workgroup_info 0
		.amdhsa_system_vgpr_workitem_id 0
		.amdhsa_next_free_vgpr 1
		.amdhsa_next_free_sgpr 1
		.amdhsa_reserve_vcc 0
		.amdhsa_float_round_mode_32 0
		.amdhsa_float_round_mode_16_64 0
		.amdhsa_float_denorm_mode_32 3
		.amdhsa_float_denorm_mode_16_64 3
		.amdhsa_dx10_clamp 1
		.amdhsa_ieee_mode 1
		.amdhsa_fp16_overflow 0
		.amdhsa_workgroup_processor_mode 1
		.amdhsa_memory_ordered 1
		.amdhsa_forward_progress 0
		.amdhsa_shared_vgpr_count 0
		.amdhsa_exception_fp_ieee_invalid_op 0
		.amdhsa_exception_fp_denorm_src 0
		.amdhsa_exception_fp_ieee_div_zero 0
		.amdhsa_exception_fp_ieee_overflow 0
		.amdhsa_exception_fp_ieee_underflow 0
		.amdhsa_exception_fp_ieee_inexact 0
		.amdhsa_exception_int_div_zero 0
	.end_amdhsa_kernel
	.section	.text._ZN7rocprim17ROCPRIM_400000_NS6detail17trampoline_kernelINS0_14default_configENS1_29reduce_by_key_config_selectorIyjN6thrust23THRUST_200600_302600_NS4plusIjEEEEZZNS1_33reduce_by_key_impl_wrapped_configILNS1_25lookback_scan_determinismE0ES3_S9_NS6_6detail15normal_iteratorINS6_10device_ptrIyEEEENSD_INSE_IjEEEESG_SI_PmS8_NS6_8equal_toIyEEEE10hipError_tPvRmT2_T3_mT4_T5_T6_T7_T8_P12ihipStream_tbENKUlT_T0_E_clISt17integral_constantIbLb1EES12_IbLb0EEEEDaSY_SZ_EUlSY_E_NS1_11comp_targetILNS1_3genE4ELNS1_11target_archE910ELNS1_3gpuE8ELNS1_3repE0EEENS1_30default_config_static_selectorELNS0_4arch9wavefront6targetE0EEEvT1_,"axG",@progbits,_ZN7rocprim17ROCPRIM_400000_NS6detail17trampoline_kernelINS0_14default_configENS1_29reduce_by_key_config_selectorIyjN6thrust23THRUST_200600_302600_NS4plusIjEEEEZZNS1_33reduce_by_key_impl_wrapped_configILNS1_25lookback_scan_determinismE0ES3_S9_NS6_6detail15normal_iteratorINS6_10device_ptrIyEEEENSD_INSE_IjEEEESG_SI_PmS8_NS6_8equal_toIyEEEE10hipError_tPvRmT2_T3_mT4_T5_T6_T7_T8_P12ihipStream_tbENKUlT_T0_E_clISt17integral_constantIbLb1EES12_IbLb0EEEEDaSY_SZ_EUlSY_E_NS1_11comp_targetILNS1_3genE4ELNS1_11target_archE910ELNS1_3gpuE8ELNS1_3repE0EEENS1_30default_config_static_selectorELNS0_4arch9wavefront6targetE0EEEvT1_,comdat
.Lfunc_end717:
	.size	_ZN7rocprim17ROCPRIM_400000_NS6detail17trampoline_kernelINS0_14default_configENS1_29reduce_by_key_config_selectorIyjN6thrust23THRUST_200600_302600_NS4plusIjEEEEZZNS1_33reduce_by_key_impl_wrapped_configILNS1_25lookback_scan_determinismE0ES3_S9_NS6_6detail15normal_iteratorINS6_10device_ptrIyEEEENSD_INSE_IjEEEESG_SI_PmS8_NS6_8equal_toIyEEEE10hipError_tPvRmT2_T3_mT4_T5_T6_T7_T8_P12ihipStream_tbENKUlT_T0_E_clISt17integral_constantIbLb1EES12_IbLb0EEEEDaSY_SZ_EUlSY_E_NS1_11comp_targetILNS1_3genE4ELNS1_11target_archE910ELNS1_3gpuE8ELNS1_3repE0EEENS1_30default_config_static_selectorELNS0_4arch9wavefront6targetE0EEEvT1_, .Lfunc_end717-_ZN7rocprim17ROCPRIM_400000_NS6detail17trampoline_kernelINS0_14default_configENS1_29reduce_by_key_config_selectorIyjN6thrust23THRUST_200600_302600_NS4plusIjEEEEZZNS1_33reduce_by_key_impl_wrapped_configILNS1_25lookback_scan_determinismE0ES3_S9_NS6_6detail15normal_iteratorINS6_10device_ptrIyEEEENSD_INSE_IjEEEESG_SI_PmS8_NS6_8equal_toIyEEEE10hipError_tPvRmT2_T3_mT4_T5_T6_T7_T8_P12ihipStream_tbENKUlT_T0_E_clISt17integral_constantIbLb1EES12_IbLb0EEEEDaSY_SZ_EUlSY_E_NS1_11comp_targetILNS1_3genE4ELNS1_11target_archE910ELNS1_3gpuE8ELNS1_3repE0EEENS1_30default_config_static_selectorELNS0_4arch9wavefront6targetE0EEEvT1_
                                        ; -- End function
	.section	.AMDGPU.csdata,"",@progbits
; Kernel info:
; codeLenInByte = 0
; NumSgprs: 0
; NumVgprs: 0
; ScratchSize: 0
; MemoryBound: 0
; FloatMode: 240
; IeeeMode: 1
; LDSByteSize: 0 bytes/workgroup (compile time only)
; SGPRBlocks: 0
; VGPRBlocks: 0
; NumSGPRsForWavesPerEU: 1
; NumVGPRsForWavesPerEU: 1
; Occupancy: 16
; WaveLimiterHint : 0
; COMPUTE_PGM_RSRC2:SCRATCH_EN: 0
; COMPUTE_PGM_RSRC2:USER_SGPR: 15
; COMPUTE_PGM_RSRC2:TRAP_HANDLER: 0
; COMPUTE_PGM_RSRC2:TGID_X_EN: 1
; COMPUTE_PGM_RSRC2:TGID_Y_EN: 0
; COMPUTE_PGM_RSRC2:TGID_Z_EN: 0
; COMPUTE_PGM_RSRC2:TIDIG_COMP_CNT: 0
	.section	.text._ZN7rocprim17ROCPRIM_400000_NS6detail17trampoline_kernelINS0_14default_configENS1_29reduce_by_key_config_selectorIyjN6thrust23THRUST_200600_302600_NS4plusIjEEEEZZNS1_33reduce_by_key_impl_wrapped_configILNS1_25lookback_scan_determinismE0ES3_S9_NS6_6detail15normal_iteratorINS6_10device_ptrIyEEEENSD_INSE_IjEEEESG_SI_PmS8_NS6_8equal_toIyEEEE10hipError_tPvRmT2_T3_mT4_T5_T6_T7_T8_P12ihipStream_tbENKUlT_T0_E_clISt17integral_constantIbLb1EES12_IbLb0EEEEDaSY_SZ_EUlSY_E_NS1_11comp_targetILNS1_3genE3ELNS1_11target_archE908ELNS1_3gpuE7ELNS1_3repE0EEENS1_30default_config_static_selectorELNS0_4arch9wavefront6targetE0EEEvT1_,"axG",@progbits,_ZN7rocprim17ROCPRIM_400000_NS6detail17trampoline_kernelINS0_14default_configENS1_29reduce_by_key_config_selectorIyjN6thrust23THRUST_200600_302600_NS4plusIjEEEEZZNS1_33reduce_by_key_impl_wrapped_configILNS1_25lookback_scan_determinismE0ES3_S9_NS6_6detail15normal_iteratorINS6_10device_ptrIyEEEENSD_INSE_IjEEEESG_SI_PmS8_NS6_8equal_toIyEEEE10hipError_tPvRmT2_T3_mT4_T5_T6_T7_T8_P12ihipStream_tbENKUlT_T0_E_clISt17integral_constantIbLb1EES12_IbLb0EEEEDaSY_SZ_EUlSY_E_NS1_11comp_targetILNS1_3genE3ELNS1_11target_archE908ELNS1_3gpuE7ELNS1_3repE0EEENS1_30default_config_static_selectorELNS0_4arch9wavefront6targetE0EEEvT1_,comdat
	.protected	_ZN7rocprim17ROCPRIM_400000_NS6detail17trampoline_kernelINS0_14default_configENS1_29reduce_by_key_config_selectorIyjN6thrust23THRUST_200600_302600_NS4plusIjEEEEZZNS1_33reduce_by_key_impl_wrapped_configILNS1_25lookback_scan_determinismE0ES3_S9_NS6_6detail15normal_iteratorINS6_10device_ptrIyEEEENSD_INSE_IjEEEESG_SI_PmS8_NS6_8equal_toIyEEEE10hipError_tPvRmT2_T3_mT4_T5_T6_T7_T8_P12ihipStream_tbENKUlT_T0_E_clISt17integral_constantIbLb1EES12_IbLb0EEEEDaSY_SZ_EUlSY_E_NS1_11comp_targetILNS1_3genE3ELNS1_11target_archE908ELNS1_3gpuE7ELNS1_3repE0EEENS1_30default_config_static_selectorELNS0_4arch9wavefront6targetE0EEEvT1_ ; -- Begin function _ZN7rocprim17ROCPRIM_400000_NS6detail17trampoline_kernelINS0_14default_configENS1_29reduce_by_key_config_selectorIyjN6thrust23THRUST_200600_302600_NS4plusIjEEEEZZNS1_33reduce_by_key_impl_wrapped_configILNS1_25lookback_scan_determinismE0ES3_S9_NS6_6detail15normal_iteratorINS6_10device_ptrIyEEEENSD_INSE_IjEEEESG_SI_PmS8_NS6_8equal_toIyEEEE10hipError_tPvRmT2_T3_mT4_T5_T6_T7_T8_P12ihipStream_tbENKUlT_T0_E_clISt17integral_constantIbLb1EES12_IbLb0EEEEDaSY_SZ_EUlSY_E_NS1_11comp_targetILNS1_3genE3ELNS1_11target_archE908ELNS1_3gpuE7ELNS1_3repE0EEENS1_30default_config_static_selectorELNS0_4arch9wavefront6targetE0EEEvT1_
	.globl	_ZN7rocprim17ROCPRIM_400000_NS6detail17trampoline_kernelINS0_14default_configENS1_29reduce_by_key_config_selectorIyjN6thrust23THRUST_200600_302600_NS4plusIjEEEEZZNS1_33reduce_by_key_impl_wrapped_configILNS1_25lookback_scan_determinismE0ES3_S9_NS6_6detail15normal_iteratorINS6_10device_ptrIyEEEENSD_INSE_IjEEEESG_SI_PmS8_NS6_8equal_toIyEEEE10hipError_tPvRmT2_T3_mT4_T5_T6_T7_T8_P12ihipStream_tbENKUlT_T0_E_clISt17integral_constantIbLb1EES12_IbLb0EEEEDaSY_SZ_EUlSY_E_NS1_11comp_targetILNS1_3genE3ELNS1_11target_archE908ELNS1_3gpuE7ELNS1_3repE0EEENS1_30default_config_static_selectorELNS0_4arch9wavefront6targetE0EEEvT1_
	.p2align	8
	.type	_ZN7rocprim17ROCPRIM_400000_NS6detail17trampoline_kernelINS0_14default_configENS1_29reduce_by_key_config_selectorIyjN6thrust23THRUST_200600_302600_NS4plusIjEEEEZZNS1_33reduce_by_key_impl_wrapped_configILNS1_25lookback_scan_determinismE0ES3_S9_NS6_6detail15normal_iteratorINS6_10device_ptrIyEEEENSD_INSE_IjEEEESG_SI_PmS8_NS6_8equal_toIyEEEE10hipError_tPvRmT2_T3_mT4_T5_T6_T7_T8_P12ihipStream_tbENKUlT_T0_E_clISt17integral_constantIbLb1EES12_IbLb0EEEEDaSY_SZ_EUlSY_E_NS1_11comp_targetILNS1_3genE3ELNS1_11target_archE908ELNS1_3gpuE7ELNS1_3repE0EEENS1_30default_config_static_selectorELNS0_4arch9wavefront6targetE0EEEvT1_,@function
_ZN7rocprim17ROCPRIM_400000_NS6detail17trampoline_kernelINS0_14default_configENS1_29reduce_by_key_config_selectorIyjN6thrust23THRUST_200600_302600_NS4plusIjEEEEZZNS1_33reduce_by_key_impl_wrapped_configILNS1_25lookback_scan_determinismE0ES3_S9_NS6_6detail15normal_iteratorINS6_10device_ptrIyEEEENSD_INSE_IjEEEESG_SI_PmS8_NS6_8equal_toIyEEEE10hipError_tPvRmT2_T3_mT4_T5_T6_T7_T8_P12ihipStream_tbENKUlT_T0_E_clISt17integral_constantIbLb1EES12_IbLb0EEEEDaSY_SZ_EUlSY_E_NS1_11comp_targetILNS1_3genE3ELNS1_11target_archE908ELNS1_3gpuE7ELNS1_3repE0EEENS1_30default_config_static_selectorELNS0_4arch9wavefront6targetE0EEEvT1_: ; @_ZN7rocprim17ROCPRIM_400000_NS6detail17trampoline_kernelINS0_14default_configENS1_29reduce_by_key_config_selectorIyjN6thrust23THRUST_200600_302600_NS4plusIjEEEEZZNS1_33reduce_by_key_impl_wrapped_configILNS1_25lookback_scan_determinismE0ES3_S9_NS6_6detail15normal_iteratorINS6_10device_ptrIyEEEENSD_INSE_IjEEEESG_SI_PmS8_NS6_8equal_toIyEEEE10hipError_tPvRmT2_T3_mT4_T5_T6_T7_T8_P12ihipStream_tbENKUlT_T0_E_clISt17integral_constantIbLb1EES12_IbLb0EEEEDaSY_SZ_EUlSY_E_NS1_11comp_targetILNS1_3genE3ELNS1_11target_archE908ELNS1_3gpuE7ELNS1_3repE0EEENS1_30default_config_static_selectorELNS0_4arch9wavefront6targetE0EEEvT1_
; %bb.0:
	.section	.rodata,"a",@progbits
	.p2align	6, 0x0
	.amdhsa_kernel _ZN7rocprim17ROCPRIM_400000_NS6detail17trampoline_kernelINS0_14default_configENS1_29reduce_by_key_config_selectorIyjN6thrust23THRUST_200600_302600_NS4plusIjEEEEZZNS1_33reduce_by_key_impl_wrapped_configILNS1_25lookback_scan_determinismE0ES3_S9_NS6_6detail15normal_iteratorINS6_10device_ptrIyEEEENSD_INSE_IjEEEESG_SI_PmS8_NS6_8equal_toIyEEEE10hipError_tPvRmT2_T3_mT4_T5_T6_T7_T8_P12ihipStream_tbENKUlT_T0_E_clISt17integral_constantIbLb1EES12_IbLb0EEEEDaSY_SZ_EUlSY_E_NS1_11comp_targetILNS1_3genE3ELNS1_11target_archE908ELNS1_3gpuE7ELNS1_3repE0EEENS1_30default_config_static_selectorELNS0_4arch9wavefront6targetE0EEEvT1_
		.amdhsa_group_segment_fixed_size 0
		.amdhsa_private_segment_fixed_size 0
		.amdhsa_kernarg_size 120
		.amdhsa_user_sgpr_count 15
		.amdhsa_user_sgpr_dispatch_ptr 0
		.amdhsa_user_sgpr_queue_ptr 0
		.amdhsa_user_sgpr_kernarg_segment_ptr 1
		.amdhsa_user_sgpr_dispatch_id 0
		.amdhsa_user_sgpr_private_segment_size 0
		.amdhsa_wavefront_size32 1
		.amdhsa_uses_dynamic_stack 0
		.amdhsa_enable_private_segment 0
		.amdhsa_system_sgpr_workgroup_id_x 1
		.amdhsa_system_sgpr_workgroup_id_y 0
		.amdhsa_system_sgpr_workgroup_id_z 0
		.amdhsa_system_sgpr_workgroup_info 0
		.amdhsa_system_vgpr_workitem_id 0
		.amdhsa_next_free_vgpr 1
		.amdhsa_next_free_sgpr 1
		.amdhsa_reserve_vcc 0
		.amdhsa_float_round_mode_32 0
		.amdhsa_float_round_mode_16_64 0
		.amdhsa_float_denorm_mode_32 3
		.amdhsa_float_denorm_mode_16_64 3
		.amdhsa_dx10_clamp 1
		.amdhsa_ieee_mode 1
		.amdhsa_fp16_overflow 0
		.amdhsa_workgroup_processor_mode 1
		.amdhsa_memory_ordered 1
		.amdhsa_forward_progress 0
		.amdhsa_shared_vgpr_count 0
		.amdhsa_exception_fp_ieee_invalid_op 0
		.amdhsa_exception_fp_denorm_src 0
		.amdhsa_exception_fp_ieee_div_zero 0
		.amdhsa_exception_fp_ieee_overflow 0
		.amdhsa_exception_fp_ieee_underflow 0
		.amdhsa_exception_fp_ieee_inexact 0
		.amdhsa_exception_int_div_zero 0
	.end_amdhsa_kernel
	.section	.text._ZN7rocprim17ROCPRIM_400000_NS6detail17trampoline_kernelINS0_14default_configENS1_29reduce_by_key_config_selectorIyjN6thrust23THRUST_200600_302600_NS4plusIjEEEEZZNS1_33reduce_by_key_impl_wrapped_configILNS1_25lookback_scan_determinismE0ES3_S9_NS6_6detail15normal_iteratorINS6_10device_ptrIyEEEENSD_INSE_IjEEEESG_SI_PmS8_NS6_8equal_toIyEEEE10hipError_tPvRmT2_T3_mT4_T5_T6_T7_T8_P12ihipStream_tbENKUlT_T0_E_clISt17integral_constantIbLb1EES12_IbLb0EEEEDaSY_SZ_EUlSY_E_NS1_11comp_targetILNS1_3genE3ELNS1_11target_archE908ELNS1_3gpuE7ELNS1_3repE0EEENS1_30default_config_static_selectorELNS0_4arch9wavefront6targetE0EEEvT1_,"axG",@progbits,_ZN7rocprim17ROCPRIM_400000_NS6detail17trampoline_kernelINS0_14default_configENS1_29reduce_by_key_config_selectorIyjN6thrust23THRUST_200600_302600_NS4plusIjEEEEZZNS1_33reduce_by_key_impl_wrapped_configILNS1_25lookback_scan_determinismE0ES3_S9_NS6_6detail15normal_iteratorINS6_10device_ptrIyEEEENSD_INSE_IjEEEESG_SI_PmS8_NS6_8equal_toIyEEEE10hipError_tPvRmT2_T3_mT4_T5_T6_T7_T8_P12ihipStream_tbENKUlT_T0_E_clISt17integral_constantIbLb1EES12_IbLb0EEEEDaSY_SZ_EUlSY_E_NS1_11comp_targetILNS1_3genE3ELNS1_11target_archE908ELNS1_3gpuE7ELNS1_3repE0EEENS1_30default_config_static_selectorELNS0_4arch9wavefront6targetE0EEEvT1_,comdat
.Lfunc_end718:
	.size	_ZN7rocprim17ROCPRIM_400000_NS6detail17trampoline_kernelINS0_14default_configENS1_29reduce_by_key_config_selectorIyjN6thrust23THRUST_200600_302600_NS4plusIjEEEEZZNS1_33reduce_by_key_impl_wrapped_configILNS1_25lookback_scan_determinismE0ES3_S9_NS6_6detail15normal_iteratorINS6_10device_ptrIyEEEENSD_INSE_IjEEEESG_SI_PmS8_NS6_8equal_toIyEEEE10hipError_tPvRmT2_T3_mT4_T5_T6_T7_T8_P12ihipStream_tbENKUlT_T0_E_clISt17integral_constantIbLb1EES12_IbLb0EEEEDaSY_SZ_EUlSY_E_NS1_11comp_targetILNS1_3genE3ELNS1_11target_archE908ELNS1_3gpuE7ELNS1_3repE0EEENS1_30default_config_static_selectorELNS0_4arch9wavefront6targetE0EEEvT1_, .Lfunc_end718-_ZN7rocprim17ROCPRIM_400000_NS6detail17trampoline_kernelINS0_14default_configENS1_29reduce_by_key_config_selectorIyjN6thrust23THRUST_200600_302600_NS4plusIjEEEEZZNS1_33reduce_by_key_impl_wrapped_configILNS1_25lookback_scan_determinismE0ES3_S9_NS6_6detail15normal_iteratorINS6_10device_ptrIyEEEENSD_INSE_IjEEEESG_SI_PmS8_NS6_8equal_toIyEEEE10hipError_tPvRmT2_T3_mT4_T5_T6_T7_T8_P12ihipStream_tbENKUlT_T0_E_clISt17integral_constantIbLb1EES12_IbLb0EEEEDaSY_SZ_EUlSY_E_NS1_11comp_targetILNS1_3genE3ELNS1_11target_archE908ELNS1_3gpuE7ELNS1_3repE0EEENS1_30default_config_static_selectorELNS0_4arch9wavefront6targetE0EEEvT1_
                                        ; -- End function
	.section	.AMDGPU.csdata,"",@progbits
; Kernel info:
; codeLenInByte = 0
; NumSgprs: 0
; NumVgprs: 0
; ScratchSize: 0
; MemoryBound: 0
; FloatMode: 240
; IeeeMode: 1
; LDSByteSize: 0 bytes/workgroup (compile time only)
; SGPRBlocks: 0
; VGPRBlocks: 0
; NumSGPRsForWavesPerEU: 1
; NumVGPRsForWavesPerEU: 1
; Occupancy: 16
; WaveLimiterHint : 0
; COMPUTE_PGM_RSRC2:SCRATCH_EN: 0
; COMPUTE_PGM_RSRC2:USER_SGPR: 15
; COMPUTE_PGM_RSRC2:TRAP_HANDLER: 0
; COMPUTE_PGM_RSRC2:TGID_X_EN: 1
; COMPUTE_PGM_RSRC2:TGID_Y_EN: 0
; COMPUTE_PGM_RSRC2:TGID_Z_EN: 0
; COMPUTE_PGM_RSRC2:TIDIG_COMP_CNT: 0
	.section	.text._ZN7rocprim17ROCPRIM_400000_NS6detail17trampoline_kernelINS0_14default_configENS1_29reduce_by_key_config_selectorIyjN6thrust23THRUST_200600_302600_NS4plusIjEEEEZZNS1_33reduce_by_key_impl_wrapped_configILNS1_25lookback_scan_determinismE0ES3_S9_NS6_6detail15normal_iteratorINS6_10device_ptrIyEEEENSD_INSE_IjEEEESG_SI_PmS8_NS6_8equal_toIyEEEE10hipError_tPvRmT2_T3_mT4_T5_T6_T7_T8_P12ihipStream_tbENKUlT_T0_E_clISt17integral_constantIbLb1EES12_IbLb0EEEEDaSY_SZ_EUlSY_E_NS1_11comp_targetILNS1_3genE2ELNS1_11target_archE906ELNS1_3gpuE6ELNS1_3repE0EEENS1_30default_config_static_selectorELNS0_4arch9wavefront6targetE0EEEvT1_,"axG",@progbits,_ZN7rocprim17ROCPRIM_400000_NS6detail17trampoline_kernelINS0_14default_configENS1_29reduce_by_key_config_selectorIyjN6thrust23THRUST_200600_302600_NS4plusIjEEEEZZNS1_33reduce_by_key_impl_wrapped_configILNS1_25lookback_scan_determinismE0ES3_S9_NS6_6detail15normal_iteratorINS6_10device_ptrIyEEEENSD_INSE_IjEEEESG_SI_PmS8_NS6_8equal_toIyEEEE10hipError_tPvRmT2_T3_mT4_T5_T6_T7_T8_P12ihipStream_tbENKUlT_T0_E_clISt17integral_constantIbLb1EES12_IbLb0EEEEDaSY_SZ_EUlSY_E_NS1_11comp_targetILNS1_3genE2ELNS1_11target_archE906ELNS1_3gpuE6ELNS1_3repE0EEENS1_30default_config_static_selectorELNS0_4arch9wavefront6targetE0EEEvT1_,comdat
	.protected	_ZN7rocprim17ROCPRIM_400000_NS6detail17trampoline_kernelINS0_14default_configENS1_29reduce_by_key_config_selectorIyjN6thrust23THRUST_200600_302600_NS4plusIjEEEEZZNS1_33reduce_by_key_impl_wrapped_configILNS1_25lookback_scan_determinismE0ES3_S9_NS6_6detail15normal_iteratorINS6_10device_ptrIyEEEENSD_INSE_IjEEEESG_SI_PmS8_NS6_8equal_toIyEEEE10hipError_tPvRmT2_T3_mT4_T5_T6_T7_T8_P12ihipStream_tbENKUlT_T0_E_clISt17integral_constantIbLb1EES12_IbLb0EEEEDaSY_SZ_EUlSY_E_NS1_11comp_targetILNS1_3genE2ELNS1_11target_archE906ELNS1_3gpuE6ELNS1_3repE0EEENS1_30default_config_static_selectorELNS0_4arch9wavefront6targetE0EEEvT1_ ; -- Begin function _ZN7rocprim17ROCPRIM_400000_NS6detail17trampoline_kernelINS0_14default_configENS1_29reduce_by_key_config_selectorIyjN6thrust23THRUST_200600_302600_NS4plusIjEEEEZZNS1_33reduce_by_key_impl_wrapped_configILNS1_25lookback_scan_determinismE0ES3_S9_NS6_6detail15normal_iteratorINS6_10device_ptrIyEEEENSD_INSE_IjEEEESG_SI_PmS8_NS6_8equal_toIyEEEE10hipError_tPvRmT2_T3_mT4_T5_T6_T7_T8_P12ihipStream_tbENKUlT_T0_E_clISt17integral_constantIbLb1EES12_IbLb0EEEEDaSY_SZ_EUlSY_E_NS1_11comp_targetILNS1_3genE2ELNS1_11target_archE906ELNS1_3gpuE6ELNS1_3repE0EEENS1_30default_config_static_selectorELNS0_4arch9wavefront6targetE0EEEvT1_
	.globl	_ZN7rocprim17ROCPRIM_400000_NS6detail17trampoline_kernelINS0_14default_configENS1_29reduce_by_key_config_selectorIyjN6thrust23THRUST_200600_302600_NS4plusIjEEEEZZNS1_33reduce_by_key_impl_wrapped_configILNS1_25lookback_scan_determinismE0ES3_S9_NS6_6detail15normal_iteratorINS6_10device_ptrIyEEEENSD_INSE_IjEEEESG_SI_PmS8_NS6_8equal_toIyEEEE10hipError_tPvRmT2_T3_mT4_T5_T6_T7_T8_P12ihipStream_tbENKUlT_T0_E_clISt17integral_constantIbLb1EES12_IbLb0EEEEDaSY_SZ_EUlSY_E_NS1_11comp_targetILNS1_3genE2ELNS1_11target_archE906ELNS1_3gpuE6ELNS1_3repE0EEENS1_30default_config_static_selectorELNS0_4arch9wavefront6targetE0EEEvT1_
	.p2align	8
	.type	_ZN7rocprim17ROCPRIM_400000_NS6detail17trampoline_kernelINS0_14default_configENS1_29reduce_by_key_config_selectorIyjN6thrust23THRUST_200600_302600_NS4plusIjEEEEZZNS1_33reduce_by_key_impl_wrapped_configILNS1_25lookback_scan_determinismE0ES3_S9_NS6_6detail15normal_iteratorINS6_10device_ptrIyEEEENSD_INSE_IjEEEESG_SI_PmS8_NS6_8equal_toIyEEEE10hipError_tPvRmT2_T3_mT4_T5_T6_T7_T8_P12ihipStream_tbENKUlT_T0_E_clISt17integral_constantIbLb1EES12_IbLb0EEEEDaSY_SZ_EUlSY_E_NS1_11comp_targetILNS1_3genE2ELNS1_11target_archE906ELNS1_3gpuE6ELNS1_3repE0EEENS1_30default_config_static_selectorELNS0_4arch9wavefront6targetE0EEEvT1_,@function
_ZN7rocprim17ROCPRIM_400000_NS6detail17trampoline_kernelINS0_14default_configENS1_29reduce_by_key_config_selectorIyjN6thrust23THRUST_200600_302600_NS4plusIjEEEEZZNS1_33reduce_by_key_impl_wrapped_configILNS1_25lookback_scan_determinismE0ES3_S9_NS6_6detail15normal_iteratorINS6_10device_ptrIyEEEENSD_INSE_IjEEEESG_SI_PmS8_NS6_8equal_toIyEEEE10hipError_tPvRmT2_T3_mT4_T5_T6_T7_T8_P12ihipStream_tbENKUlT_T0_E_clISt17integral_constantIbLb1EES12_IbLb0EEEEDaSY_SZ_EUlSY_E_NS1_11comp_targetILNS1_3genE2ELNS1_11target_archE906ELNS1_3gpuE6ELNS1_3repE0EEENS1_30default_config_static_selectorELNS0_4arch9wavefront6targetE0EEEvT1_: ; @_ZN7rocprim17ROCPRIM_400000_NS6detail17trampoline_kernelINS0_14default_configENS1_29reduce_by_key_config_selectorIyjN6thrust23THRUST_200600_302600_NS4plusIjEEEEZZNS1_33reduce_by_key_impl_wrapped_configILNS1_25lookback_scan_determinismE0ES3_S9_NS6_6detail15normal_iteratorINS6_10device_ptrIyEEEENSD_INSE_IjEEEESG_SI_PmS8_NS6_8equal_toIyEEEE10hipError_tPvRmT2_T3_mT4_T5_T6_T7_T8_P12ihipStream_tbENKUlT_T0_E_clISt17integral_constantIbLb1EES12_IbLb0EEEEDaSY_SZ_EUlSY_E_NS1_11comp_targetILNS1_3genE2ELNS1_11target_archE906ELNS1_3gpuE6ELNS1_3repE0EEENS1_30default_config_static_selectorELNS0_4arch9wavefront6targetE0EEEvT1_
; %bb.0:
	.section	.rodata,"a",@progbits
	.p2align	6, 0x0
	.amdhsa_kernel _ZN7rocprim17ROCPRIM_400000_NS6detail17trampoline_kernelINS0_14default_configENS1_29reduce_by_key_config_selectorIyjN6thrust23THRUST_200600_302600_NS4plusIjEEEEZZNS1_33reduce_by_key_impl_wrapped_configILNS1_25lookback_scan_determinismE0ES3_S9_NS6_6detail15normal_iteratorINS6_10device_ptrIyEEEENSD_INSE_IjEEEESG_SI_PmS8_NS6_8equal_toIyEEEE10hipError_tPvRmT2_T3_mT4_T5_T6_T7_T8_P12ihipStream_tbENKUlT_T0_E_clISt17integral_constantIbLb1EES12_IbLb0EEEEDaSY_SZ_EUlSY_E_NS1_11comp_targetILNS1_3genE2ELNS1_11target_archE906ELNS1_3gpuE6ELNS1_3repE0EEENS1_30default_config_static_selectorELNS0_4arch9wavefront6targetE0EEEvT1_
		.amdhsa_group_segment_fixed_size 0
		.amdhsa_private_segment_fixed_size 0
		.amdhsa_kernarg_size 120
		.amdhsa_user_sgpr_count 15
		.amdhsa_user_sgpr_dispatch_ptr 0
		.amdhsa_user_sgpr_queue_ptr 0
		.amdhsa_user_sgpr_kernarg_segment_ptr 1
		.amdhsa_user_sgpr_dispatch_id 0
		.amdhsa_user_sgpr_private_segment_size 0
		.amdhsa_wavefront_size32 1
		.amdhsa_uses_dynamic_stack 0
		.amdhsa_enable_private_segment 0
		.amdhsa_system_sgpr_workgroup_id_x 1
		.amdhsa_system_sgpr_workgroup_id_y 0
		.amdhsa_system_sgpr_workgroup_id_z 0
		.amdhsa_system_sgpr_workgroup_info 0
		.amdhsa_system_vgpr_workitem_id 0
		.amdhsa_next_free_vgpr 1
		.amdhsa_next_free_sgpr 1
		.amdhsa_reserve_vcc 0
		.amdhsa_float_round_mode_32 0
		.amdhsa_float_round_mode_16_64 0
		.amdhsa_float_denorm_mode_32 3
		.amdhsa_float_denorm_mode_16_64 3
		.amdhsa_dx10_clamp 1
		.amdhsa_ieee_mode 1
		.amdhsa_fp16_overflow 0
		.amdhsa_workgroup_processor_mode 1
		.amdhsa_memory_ordered 1
		.amdhsa_forward_progress 0
		.amdhsa_shared_vgpr_count 0
		.amdhsa_exception_fp_ieee_invalid_op 0
		.amdhsa_exception_fp_denorm_src 0
		.amdhsa_exception_fp_ieee_div_zero 0
		.amdhsa_exception_fp_ieee_overflow 0
		.amdhsa_exception_fp_ieee_underflow 0
		.amdhsa_exception_fp_ieee_inexact 0
		.amdhsa_exception_int_div_zero 0
	.end_amdhsa_kernel
	.section	.text._ZN7rocprim17ROCPRIM_400000_NS6detail17trampoline_kernelINS0_14default_configENS1_29reduce_by_key_config_selectorIyjN6thrust23THRUST_200600_302600_NS4plusIjEEEEZZNS1_33reduce_by_key_impl_wrapped_configILNS1_25lookback_scan_determinismE0ES3_S9_NS6_6detail15normal_iteratorINS6_10device_ptrIyEEEENSD_INSE_IjEEEESG_SI_PmS8_NS6_8equal_toIyEEEE10hipError_tPvRmT2_T3_mT4_T5_T6_T7_T8_P12ihipStream_tbENKUlT_T0_E_clISt17integral_constantIbLb1EES12_IbLb0EEEEDaSY_SZ_EUlSY_E_NS1_11comp_targetILNS1_3genE2ELNS1_11target_archE906ELNS1_3gpuE6ELNS1_3repE0EEENS1_30default_config_static_selectorELNS0_4arch9wavefront6targetE0EEEvT1_,"axG",@progbits,_ZN7rocprim17ROCPRIM_400000_NS6detail17trampoline_kernelINS0_14default_configENS1_29reduce_by_key_config_selectorIyjN6thrust23THRUST_200600_302600_NS4plusIjEEEEZZNS1_33reduce_by_key_impl_wrapped_configILNS1_25lookback_scan_determinismE0ES3_S9_NS6_6detail15normal_iteratorINS6_10device_ptrIyEEEENSD_INSE_IjEEEESG_SI_PmS8_NS6_8equal_toIyEEEE10hipError_tPvRmT2_T3_mT4_T5_T6_T7_T8_P12ihipStream_tbENKUlT_T0_E_clISt17integral_constantIbLb1EES12_IbLb0EEEEDaSY_SZ_EUlSY_E_NS1_11comp_targetILNS1_3genE2ELNS1_11target_archE906ELNS1_3gpuE6ELNS1_3repE0EEENS1_30default_config_static_selectorELNS0_4arch9wavefront6targetE0EEEvT1_,comdat
.Lfunc_end719:
	.size	_ZN7rocprim17ROCPRIM_400000_NS6detail17trampoline_kernelINS0_14default_configENS1_29reduce_by_key_config_selectorIyjN6thrust23THRUST_200600_302600_NS4plusIjEEEEZZNS1_33reduce_by_key_impl_wrapped_configILNS1_25lookback_scan_determinismE0ES3_S9_NS6_6detail15normal_iteratorINS6_10device_ptrIyEEEENSD_INSE_IjEEEESG_SI_PmS8_NS6_8equal_toIyEEEE10hipError_tPvRmT2_T3_mT4_T5_T6_T7_T8_P12ihipStream_tbENKUlT_T0_E_clISt17integral_constantIbLb1EES12_IbLb0EEEEDaSY_SZ_EUlSY_E_NS1_11comp_targetILNS1_3genE2ELNS1_11target_archE906ELNS1_3gpuE6ELNS1_3repE0EEENS1_30default_config_static_selectorELNS0_4arch9wavefront6targetE0EEEvT1_, .Lfunc_end719-_ZN7rocprim17ROCPRIM_400000_NS6detail17trampoline_kernelINS0_14default_configENS1_29reduce_by_key_config_selectorIyjN6thrust23THRUST_200600_302600_NS4plusIjEEEEZZNS1_33reduce_by_key_impl_wrapped_configILNS1_25lookback_scan_determinismE0ES3_S9_NS6_6detail15normal_iteratorINS6_10device_ptrIyEEEENSD_INSE_IjEEEESG_SI_PmS8_NS6_8equal_toIyEEEE10hipError_tPvRmT2_T3_mT4_T5_T6_T7_T8_P12ihipStream_tbENKUlT_T0_E_clISt17integral_constantIbLb1EES12_IbLb0EEEEDaSY_SZ_EUlSY_E_NS1_11comp_targetILNS1_3genE2ELNS1_11target_archE906ELNS1_3gpuE6ELNS1_3repE0EEENS1_30default_config_static_selectorELNS0_4arch9wavefront6targetE0EEEvT1_
                                        ; -- End function
	.section	.AMDGPU.csdata,"",@progbits
; Kernel info:
; codeLenInByte = 0
; NumSgprs: 0
; NumVgprs: 0
; ScratchSize: 0
; MemoryBound: 0
; FloatMode: 240
; IeeeMode: 1
; LDSByteSize: 0 bytes/workgroup (compile time only)
; SGPRBlocks: 0
; VGPRBlocks: 0
; NumSGPRsForWavesPerEU: 1
; NumVGPRsForWavesPerEU: 1
; Occupancy: 16
; WaveLimiterHint : 0
; COMPUTE_PGM_RSRC2:SCRATCH_EN: 0
; COMPUTE_PGM_RSRC2:USER_SGPR: 15
; COMPUTE_PGM_RSRC2:TRAP_HANDLER: 0
; COMPUTE_PGM_RSRC2:TGID_X_EN: 1
; COMPUTE_PGM_RSRC2:TGID_Y_EN: 0
; COMPUTE_PGM_RSRC2:TGID_Z_EN: 0
; COMPUTE_PGM_RSRC2:TIDIG_COMP_CNT: 0
	.section	.text._ZN7rocprim17ROCPRIM_400000_NS6detail17trampoline_kernelINS0_14default_configENS1_29reduce_by_key_config_selectorIyjN6thrust23THRUST_200600_302600_NS4plusIjEEEEZZNS1_33reduce_by_key_impl_wrapped_configILNS1_25lookback_scan_determinismE0ES3_S9_NS6_6detail15normal_iteratorINS6_10device_ptrIyEEEENSD_INSE_IjEEEESG_SI_PmS8_NS6_8equal_toIyEEEE10hipError_tPvRmT2_T3_mT4_T5_T6_T7_T8_P12ihipStream_tbENKUlT_T0_E_clISt17integral_constantIbLb1EES12_IbLb0EEEEDaSY_SZ_EUlSY_E_NS1_11comp_targetILNS1_3genE10ELNS1_11target_archE1201ELNS1_3gpuE5ELNS1_3repE0EEENS1_30default_config_static_selectorELNS0_4arch9wavefront6targetE0EEEvT1_,"axG",@progbits,_ZN7rocprim17ROCPRIM_400000_NS6detail17trampoline_kernelINS0_14default_configENS1_29reduce_by_key_config_selectorIyjN6thrust23THRUST_200600_302600_NS4plusIjEEEEZZNS1_33reduce_by_key_impl_wrapped_configILNS1_25lookback_scan_determinismE0ES3_S9_NS6_6detail15normal_iteratorINS6_10device_ptrIyEEEENSD_INSE_IjEEEESG_SI_PmS8_NS6_8equal_toIyEEEE10hipError_tPvRmT2_T3_mT4_T5_T6_T7_T8_P12ihipStream_tbENKUlT_T0_E_clISt17integral_constantIbLb1EES12_IbLb0EEEEDaSY_SZ_EUlSY_E_NS1_11comp_targetILNS1_3genE10ELNS1_11target_archE1201ELNS1_3gpuE5ELNS1_3repE0EEENS1_30default_config_static_selectorELNS0_4arch9wavefront6targetE0EEEvT1_,comdat
	.protected	_ZN7rocprim17ROCPRIM_400000_NS6detail17trampoline_kernelINS0_14default_configENS1_29reduce_by_key_config_selectorIyjN6thrust23THRUST_200600_302600_NS4plusIjEEEEZZNS1_33reduce_by_key_impl_wrapped_configILNS1_25lookback_scan_determinismE0ES3_S9_NS6_6detail15normal_iteratorINS6_10device_ptrIyEEEENSD_INSE_IjEEEESG_SI_PmS8_NS6_8equal_toIyEEEE10hipError_tPvRmT2_T3_mT4_T5_T6_T7_T8_P12ihipStream_tbENKUlT_T0_E_clISt17integral_constantIbLb1EES12_IbLb0EEEEDaSY_SZ_EUlSY_E_NS1_11comp_targetILNS1_3genE10ELNS1_11target_archE1201ELNS1_3gpuE5ELNS1_3repE0EEENS1_30default_config_static_selectorELNS0_4arch9wavefront6targetE0EEEvT1_ ; -- Begin function _ZN7rocprim17ROCPRIM_400000_NS6detail17trampoline_kernelINS0_14default_configENS1_29reduce_by_key_config_selectorIyjN6thrust23THRUST_200600_302600_NS4plusIjEEEEZZNS1_33reduce_by_key_impl_wrapped_configILNS1_25lookback_scan_determinismE0ES3_S9_NS6_6detail15normal_iteratorINS6_10device_ptrIyEEEENSD_INSE_IjEEEESG_SI_PmS8_NS6_8equal_toIyEEEE10hipError_tPvRmT2_T3_mT4_T5_T6_T7_T8_P12ihipStream_tbENKUlT_T0_E_clISt17integral_constantIbLb1EES12_IbLb0EEEEDaSY_SZ_EUlSY_E_NS1_11comp_targetILNS1_3genE10ELNS1_11target_archE1201ELNS1_3gpuE5ELNS1_3repE0EEENS1_30default_config_static_selectorELNS0_4arch9wavefront6targetE0EEEvT1_
	.globl	_ZN7rocprim17ROCPRIM_400000_NS6detail17trampoline_kernelINS0_14default_configENS1_29reduce_by_key_config_selectorIyjN6thrust23THRUST_200600_302600_NS4plusIjEEEEZZNS1_33reduce_by_key_impl_wrapped_configILNS1_25lookback_scan_determinismE0ES3_S9_NS6_6detail15normal_iteratorINS6_10device_ptrIyEEEENSD_INSE_IjEEEESG_SI_PmS8_NS6_8equal_toIyEEEE10hipError_tPvRmT2_T3_mT4_T5_T6_T7_T8_P12ihipStream_tbENKUlT_T0_E_clISt17integral_constantIbLb1EES12_IbLb0EEEEDaSY_SZ_EUlSY_E_NS1_11comp_targetILNS1_3genE10ELNS1_11target_archE1201ELNS1_3gpuE5ELNS1_3repE0EEENS1_30default_config_static_selectorELNS0_4arch9wavefront6targetE0EEEvT1_
	.p2align	8
	.type	_ZN7rocprim17ROCPRIM_400000_NS6detail17trampoline_kernelINS0_14default_configENS1_29reduce_by_key_config_selectorIyjN6thrust23THRUST_200600_302600_NS4plusIjEEEEZZNS1_33reduce_by_key_impl_wrapped_configILNS1_25lookback_scan_determinismE0ES3_S9_NS6_6detail15normal_iteratorINS6_10device_ptrIyEEEENSD_INSE_IjEEEESG_SI_PmS8_NS6_8equal_toIyEEEE10hipError_tPvRmT2_T3_mT4_T5_T6_T7_T8_P12ihipStream_tbENKUlT_T0_E_clISt17integral_constantIbLb1EES12_IbLb0EEEEDaSY_SZ_EUlSY_E_NS1_11comp_targetILNS1_3genE10ELNS1_11target_archE1201ELNS1_3gpuE5ELNS1_3repE0EEENS1_30default_config_static_selectorELNS0_4arch9wavefront6targetE0EEEvT1_,@function
_ZN7rocprim17ROCPRIM_400000_NS6detail17trampoline_kernelINS0_14default_configENS1_29reduce_by_key_config_selectorIyjN6thrust23THRUST_200600_302600_NS4plusIjEEEEZZNS1_33reduce_by_key_impl_wrapped_configILNS1_25lookback_scan_determinismE0ES3_S9_NS6_6detail15normal_iteratorINS6_10device_ptrIyEEEENSD_INSE_IjEEEESG_SI_PmS8_NS6_8equal_toIyEEEE10hipError_tPvRmT2_T3_mT4_T5_T6_T7_T8_P12ihipStream_tbENKUlT_T0_E_clISt17integral_constantIbLb1EES12_IbLb0EEEEDaSY_SZ_EUlSY_E_NS1_11comp_targetILNS1_3genE10ELNS1_11target_archE1201ELNS1_3gpuE5ELNS1_3repE0EEENS1_30default_config_static_selectorELNS0_4arch9wavefront6targetE0EEEvT1_: ; @_ZN7rocprim17ROCPRIM_400000_NS6detail17trampoline_kernelINS0_14default_configENS1_29reduce_by_key_config_selectorIyjN6thrust23THRUST_200600_302600_NS4plusIjEEEEZZNS1_33reduce_by_key_impl_wrapped_configILNS1_25lookback_scan_determinismE0ES3_S9_NS6_6detail15normal_iteratorINS6_10device_ptrIyEEEENSD_INSE_IjEEEESG_SI_PmS8_NS6_8equal_toIyEEEE10hipError_tPvRmT2_T3_mT4_T5_T6_T7_T8_P12ihipStream_tbENKUlT_T0_E_clISt17integral_constantIbLb1EES12_IbLb0EEEEDaSY_SZ_EUlSY_E_NS1_11comp_targetILNS1_3genE10ELNS1_11target_archE1201ELNS1_3gpuE5ELNS1_3repE0EEENS1_30default_config_static_selectorELNS0_4arch9wavefront6targetE0EEEvT1_
; %bb.0:
	.section	.rodata,"a",@progbits
	.p2align	6, 0x0
	.amdhsa_kernel _ZN7rocprim17ROCPRIM_400000_NS6detail17trampoline_kernelINS0_14default_configENS1_29reduce_by_key_config_selectorIyjN6thrust23THRUST_200600_302600_NS4plusIjEEEEZZNS1_33reduce_by_key_impl_wrapped_configILNS1_25lookback_scan_determinismE0ES3_S9_NS6_6detail15normal_iteratorINS6_10device_ptrIyEEEENSD_INSE_IjEEEESG_SI_PmS8_NS6_8equal_toIyEEEE10hipError_tPvRmT2_T3_mT4_T5_T6_T7_T8_P12ihipStream_tbENKUlT_T0_E_clISt17integral_constantIbLb1EES12_IbLb0EEEEDaSY_SZ_EUlSY_E_NS1_11comp_targetILNS1_3genE10ELNS1_11target_archE1201ELNS1_3gpuE5ELNS1_3repE0EEENS1_30default_config_static_selectorELNS0_4arch9wavefront6targetE0EEEvT1_
		.amdhsa_group_segment_fixed_size 0
		.amdhsa_private_segment_fixed_size 0
		.amdhsa_kernarg_size 120
		.amdhsa_user_sgpr_count 15
		.amdhsa_user_sgpr_dispatch_ptr 0
		.amdhsa_user_sgpr_queue_ptr 0
		.amdhsa_user_sgpr_kernarg_segment_ptr 1
		.amdhsa_user_sgpr_dispatch_id 0
		.amdhsa_user_sgpr_private_segment_size 0
		.amdhsa_wavefront_size32 1
		.amdhsa_uses_dynamic_stack 0
		.amdhsa_enable_private_segment 0
		.amdhsa_system_sgpr_workgroup_id_x 1
		.amdhsa_system_sgpr_workgroup_id_y 0
		.amdhsa_system_sgpr_workgroup_id_z 0
		.amdhsa_system_sgpr_workgroup_info 0
		.amdhsa_system_vgpr_workitem_id 0
		.amdhsa_next_free_vgpr 1
		.amdhsa_next_free_sgpr 1
		.amdhsa_reserve_vcc 0
		.amdhsa_float_round_mode_32 0
		.amdhsa_float_round_mode_16_64 0
		.amdhsa_float_denorm_mode_32 3
		.amdhsa_float_denorm_mode_16_64 3
		.amdhsa_dx10_clamp 1
		.amdhsa_ieee_mode 1
		.amdhsa_fp16_overflow 0
		.amdhsa_workgroup_processor_mode 1
		.amdhsa_memory_ordered 1
		.amdhsa_forward_progress 0
		.amdhsa_shared_vgpr_count 0
		.amdhsa_exception_fp_ieee_invalid_op 0
		.amdhsa_exception_fp_denorm_src 0
		.amdhsa_exception_fp_ieee_div_zero 0
		.amdhsa_exception_fp_ieee_overflow 0
		.amdhsa_exception_fp_ieee_underflow 0
		.amdhsa_exception_fp_ieee_inexact 0
		.amdhsa_exception_int_div_zero 0
	.end_amdhsa_kernel
	.section	.text._ZN7rocprim17ROCPRIM_400000_NS6detail17trampoline_kernelINS0_14default_configENS1_29reduce_by_key_config_selectorIyjN6thrust23THRUST_200600_302600_NS4plusIjEEEEZZNS1_33reduce_by_key_impl_wrapped_configILNS1_25lookback_scan_determinismE0ES3_S9_NS6_6detail15normal_iteratorINS6_10device_ptrIyEEEENSD_INSE_IjEEEESG_SI_PmS8_NS6_8equal_toIyEEEE10hipError_tPvRmT2_T3_mT4_T5_T6_T7_T8_P12ihipStream_tbENKUlT_T0_E_clISt17integral_constantIbLb1EES12_IbLb0EEEEDaSY_SZ_EUlSY_E_NS1_11comp_targetILNS1_3genE10ELNS1_11target_archE1201ELNS1_3gpuE5ELNS1_3repE0EEENS1_30default_config_static_selectorELNS0_4arch9wavefront6targetE0EEEvT1_,"axG",@progbits,_ZN7rocprim17ROCPRIM_400000_NS6detail17trampoline_kernelINS0_14default_configENS1_29reduce_by_key_config_selectorIyjN6thrust23THRUST_200600_302600_NS4plusIjEEEEZZNS1_33reduce_by_key_impl_wrapped_configILNS1_25lookback_scan_determinismE0ES3_S9_NS6_6detail15normal_iteratorINS6_10device_ptrIyEEEENSD_INSE_IjEEEESG_SI_PmS8_NS6_8equal_toIyEEEE10hipError_tPvRmT2_T3_mT4_T5_T6_T7_T8_P12ihipStream_tbENKUlT_T0_E_clISt17integral_constantIbLb1EES12_IbLb0EEEEDaSY_SZ_EUlSY_E_NS1_11comp_targetILNS1_3genE10ELNS1_11target_archE1201ELNS1_3gpuE5ELNS1_3repE0EEENS1_30default_config_static_selectorELNS0_4arch9wavefront6targetE0EEEvT1_,comdat
.Lfunc_end720:
	.size	_ZN7rocprim17ROCPRIM_400000_NS6detail17trampoline_kernelINS0_14default_configENS1_29reduce_by_key_config_selectorIyjN6thrust23THRUST_200600_302600_NS4plusIjEEEEZZNS1_33reduce_by_key_impl_wrapped_configILNS1_25lookback_scan_determinismE0ES3_S9_NS6_6detail15normal_iteratorINS6_10device_ptrIyEEEENSD_INSE_IjEEEESG_SI_PmS8_NS6_8equal_toIyEEEE10hipError_tPvRmT2_T3_mT4_T5_T6_T7_T8_P12ihipStream_tbENKUlT_T0_E_clISt17integral_constantIbLb1EES12_IbLb0EEEEDaSY_SZ_EUlSY_E_NS1_11comp_targetILNS1_3genE10ELNS1_11target_archE1201ELNS1_3gpuE5ELNS1_3repE0EEENS1_30default_config_static_selectorELNS0_4arch9wavefront6targetE0EEEvT1_, .Lfunc_end720-_ZN7rocprim17ROCPRIM_400000_NS6detail17trampoline_kernelINS0_14default_configENS1_29reduce_by_key_config_selectorIyjN6thrust23THRUST_200600_302600_NS4plusIjEEEEZZNS1_33reduce_by_key_impl_wrapped_configILNS1_25lookback_scan_determinismE0ES3_S9_NS6_6detail15normal_iteratorINS6_10device_ptrIyEEEENSD_INSE_IjEEEESG_SI_PmS8_NS6_8equal_toIyEEEE10hipError_tPvRmT2_T3_mT4_T5_T6_T7_T8_P12ihipStream_tbENKUlT_T0_E_clISt17integral_constantIbLb1EES12_IbLb0EEEEDaSY_SZ_EUlSY_E_NS1_11comp_targetILNS1_3genE10ELNS1_11target_archE1201ELNS1_3gpuE5ELNS1_3repE0EEENS1_30default_config_static_selectorELNS0_4arch9wavefront6targetE0EEEvT1_
                                        ; -- End function
	.section	.AMDGPU.csdata,"",@progbits
; Kernel info:
; codeLenInByte = 0
; NumSgprs: 0
; NumVgprs: 0
; ScratchSize: 0
; MemoryBound: 0
; FloatMode: 240
; IeeeMode: 1
; LDSByteSize: 0 bytes/workgroup (compile time only)
; SGPRBlocks: 0
; VGPRBlocks: 0
; NumSGPRsForWavesPerEU: 1
; NumVGPRsForWavesPerEU: 1
; Occupancy: 16
; WaveLimiterHint : 0
; COMPUTE_PGM_RSRC2:SCRATCH_EN: 0
; COMPUTE_PGM_RSRC2:USER_SGPR: 15
; COMPUTE_PGM_RSRC2:TRAP_HANDLER: 0
; COMPUTE_PGM_RSRC2:TGID_X_EN: 1
; COMPUTE_PGM_RSRC2:TGID_Y_EN: 0
; COMPUTE_PGM_RSRC2:TGID_Z_EN: 0
; COMPUTE_PGM_RSRC2:TIDIG_COMP_CNT: 0
	.section	.text._ZN7rocprim17ROCPRIM_400000_NS6detail17trampoline_kernelINS0_14default_configENS1_29reduce_by_key_config_selectorIyjN6thrust23THRUST_200600_302600_NS4plusIjEEEEZZNS1_33reduce_by_key_impl_wrapped_configILNS1_25lookback_scan_determinismE0ES3_S9_NS6_6detail15normal_iteratorINS6_10device_ptrIyEEEENSD_INSE_IjEEEESG_SI_PmS8_NS6_8equal_toIyEEEE10hipError_tPvRmT2_T3_mT4_T5_T6_T7_T8_P12ihipStream_tbENKUlT_T0_E_clISt17integral_constantIbLb1EES12_IbLb0EEEEDaSY_SZ_EUlSY_E_NS1_11comp_targetILNS1_3genE10ELNS1_11target_archE1200ELNS1_3gpuE4ELNS1_3repE0EEENS1_30default_config_static_selectorELNS0_4arch9wavefront6targetE0EEEvT1_,"axG",@progbits,_ZN7rocprim17ROCPRIM_400000_NS6detail17trampoline_kernelINS0_14default_configENS1_29reduce_by_key_config_selectorIyjN6thrust23THRUST_200600_302600_NS4plusIjEEEEZZNS1_33reduce_by_key_impl_wrapped_configILNS1_25lookback_scan_determinismE0ES3_S9_NS6_6detail15normal_iteratorINS6_10device_ptrIyEEEENSD_INSE_IjEEEESG_SI_PmS8_NS6_8equal_toIyEEEE10hipError_tPvRmT2_T3_mT4_T5_T6_T7_T8_P12ihipStream_tbENKUlT_T0_E_clISt17integral_constantIbLb1EES12_IbLb0EEEEDaSY_SZ_EUlSY_E_NS1_11comp_targetILNS1_3genE10ELNS1_11target_archE1200ELNS1_3gpuE4ELNS1_3repE0EEENS1_30default_config_static_selectorELNS0_4arch9wavefront6targetE0EEEvT1_,comdat
	.protected	_ZN7rocprim17ROCPRIM_400000_NS6detail17trampoline_kernelINS0_14default_configENS1_29reduce_by_key_config_selectorIyjN6thrust23THRUST_200600_302600_NS4plusIjEEEEZZNS1_33reduce_by_key_impl_wrapped_configILNS1_25lookback_scan_determinismE0ES3_S9_NS6_6detail15normal_iteratorINS6_10device_ptrIyEEEENSD_INSE_IjEEEESG_SI_PmS8_NS6_8equal_toIyEEEE10hipError_tPvRmT2_T3_mT4_T5_T6_T7_T8_P12ihipStream_tbENKUlT_T0_E_clISt17integral_constantIbLb1EES12_IbLb0EEEEDaSY_SZ_EUlSY_E_NS1_11comp_targetILNS1_3genE10ELNS1_11target_archE1200ELNS1_3gpuE4ELNS1_3repE0EEENS1_30default_config_static_selectorELNS0_4arch9wavefront6targetE0EEEvT1_ ; -- Begin function _ZN7rocprim17ROCPRIM_400000_NS6detail17trampoline_kernelINS0_14default_configENS1_29reduce_by_key_config_selectorIyjN6thrust23THRUST_200600_302600_NS4plusIjEEEEZZNS1_33reduce_by_key_impl_wrapped_configILNS1_25lookback_scan_determinismE0ES3_S9_NS6_6detail15normal_iteratorINS6_10device_ptrIyEEEENSD_INSE_IjEEEESG_SI_PmS8_NS6_8equal_toIyEEEE10hipError_tPvRmT2_T3_mT4_T5_T6_T7_T8_P12ihipStream_tbENKUlT_T0_E_clISt17integral_constantIbLb1EES12_IbLb0EEEEDaSY_SZ_EUlSY_E_NS1_11comp_targetILNS1_3genE10ELNS1_11target_archE1200ELNS1_3gpuE4ELNS1_3repE0EEENS1_30default_config_static_selectorELNS0_4arch9wavefront6targetE0EEEvT1_
	.globl	_ZN7rocprim17ROCPRIM_400000_NS6detail17trampoline_kernelINS0_14default_configENS1_29reduce_by_key_config_selectorIyjN6thrust23THRUST_200600_302600_NS4plusIjEEEEZZNS1_33reduce_by_key_impl_wrapped_configILNS1_25lookback_scan_determinismE0ES3_S9_NS6_6detail15normal_iteratorINS6_10device_ptrIyEEEENSD_INSE_IjEEEESG_SI_PmS8_NS6_8equal_toIyEEEE10hipError_tPvRmT2_T3_mT4_T5_T6_T7_T8_P12ihipStream_tbENKUlT_T0_E_clISt17integral_constantIbLb1EES12_IbLb0EEEEDaSY_SZ_EUlSY_E_NS1_11comp_targetILNS1_3genE10ELNS1_11target_archE1200ELNS1_3gpuE4ELNS1_3repE0EEENS1_30default_config_static_selectorELNS0_4arch9wavefront6targetE0EEEvT1_
	.p2align	8
	.type	_ZN7rocprim17ROCPRIM_400000_NS6detail17trampoline_kernelINS0_14default_configENS1_29reduce_by_key_config_selectorIyjN6thrust23THRUST_200600_302600_NS4plusIjEEEEZZNS1_33reduce_by_key_impl_wrapped_configILNS1_25lookback_scan_determinismE0ES3_S9_NS6_6detail15normal_iteratorINS6_10device_ptrIyEEEENSD_INSE_IjEEEESG_SI_PmS8_NS6_8equal_toIyEEEE10hipError_tPvRmT2_T3_mT4_T5_T6_T7_T8_P12ihipStream_tbENKUlT_T0_E_clISt17integral_constantIbLb1EES12_IbLb0EEEEDaSY_SZ_EUlSY_E_NS1_11comp_targetILNS1_3genE10ELNS1_11target_archE1200ELNS1_3gpuE4ELNS1_3repE0EEENS1_30default_config_static_selectorELNS0_4arch9wavefront6targetE0EEEvT1_,@function
_ZN7rocprim17ROCPRIM_400000_NS6detail17trampoline_kernelINS0_14default_configENS1_29reduce_by_key_config_selectorIyjN6thrust23THRUST_200600_302600_NS4plusIjEEEEZZNS1_33reduce_by_key_impl_wrapped_configILNS1_25lookback_scan_determinismE0ES3_S9_NS6_6detail15normal_iteratorINS6_10device_ptrIyEEEENSD_INSE_IjEEEESG_SI_PmS8_NS6_8equal_toIyEEEE10hipError_tPvRmT2_T3_mT4_T5_T6_T7_T8_P12ihipStream_tbENKUlT_T0_E_clISt17integral_constantIbLb1EES12_IbLb0EEEEDaSY_SZ_EUlSY_E_NS1_11comp_targetILNS1_3genE10ELNS1_11target_archE1200ELNS1_3gpuE4ELNS1_3repE0EEENS1_30default_config_static_selectorELNS0_4arch9wavefront6targetE0EEEvT1_: ; @_ZN7rocprim17ROCPRIM_400000_NS6detail17trampoline_kernelINS0_14default_configENS1_29reduce_by_key_config_selectorIyjN6thrust23THRUST_200600_302600_NS4plusIjEEEEZZNS1_33reduce_by_key_impl_wrapped_configILNS1_25lookback_scan_determinismE0ES3_S9_NS6_6detail15normal_iteratorINS6_10device_ptrIyEEEENSD_INSE_IjEEEESG_SI_PmS8_NS6_8equal_toIyEEEE10hipError_tPvRmT2_T3_mT4_T5_T6_T7_T8_P12ihipStream_tbENKUlT_T0_E_clISt17integral_constantIbLb1EES12_IbLb0EEEEDaSY_SZ_EUlSY_E_NS1_11comp_targetILNS1_3genE10ELNS1_11target_archE1200ELNS1_3gpuE4ELNS1_3repE0EEENS1_30default_config_static_selectorELNS0_4arch9wavefront6targetE0EEEvT1_
; %bb.0:
	.section	.rodata,"a",@progbits
	.p2align	6, 0x0
	.amdhsa_kernel _ZN7rocprim17ROCPRIM_400000_NS6detail17trampoline_kernelINS0_14default_configENS1_29reduce_by_key_config_selectorIyjN6thrust23THRUST_200600_302600_NS4plusIjEEEEZZNS1_33reduce_by_key_impl_wrapped_configILNS1_25lookback_scan_determinismE0ES3_S9_NS6_6detail15normal_iteratorINS6_10device_ptrIyEEEENSD_INSE_IjEEEESG_SI_PmS8_NS6_8equal_toIyEEEE10hipError_tPvRmT2_T3_mT4_T5_T6_T7_T8_P12ihipStream_tbENKUlT_T0_E_clISt17integral_constantIbLb1EES12_IbLb0EEEEDaSY_SZ_EUlSY_E_NS1_11comp_targetILNS1_3genE10ELNS1_11target_archE1200ELNS1_3gpuE4ELNS1_3repE0EEENS1_30default_config_static_selectorELNS0_4arch9wavefront6targetE0EEEvT1_
		.amdhsa_group_segment_fixed_size 0
		.amdhsa_private_segment_fixed_size 0
		.amdhsa_kernarg_size 120
		.amdhsa_user_sgpr_count 15
		.amdhsa_user_sgpr_dispatch_ptr 0
		.amdhsa_user_sgpr_queue_ptr 0
		.amdhsa_user_sgpr_kernarg_segment_ptr 1
		.amdhsa_user_sgpr_dispatch_id 0
		.amdhsa_user_sgpr_private_segment_size 0
		.amdhsa_wavefront_size32 1
		.amdhsa_uses_dynamic_stack 0
		.amdhsa_enable_private_segment 0
		.amdhsa_system_sgpr_workgroup_id_x 1
		.amdhsa_system_sgpr_workgroup_id_y 0
		.amdhsa_system_sgpr_workgroup_id_z 0
		.amdhsa_system_sgpr_workgroup_info 0
		.amdhsa_system_vgpr_workitem_id 0
		.amdhsa_next_free_vgpr 1
		.amdhsa_next_free_sgpr 1
		.amdhsa_reserve_vcc 0
		.amdhsa_float_round_mode_32 0
		.amdhsa_float_round_mode_16_64 0
		.amdhsa_float_denorm_mode_32 3
		.amdhsa_float_denorm_mode_16_64 3
		.amdhsa_dx10_clamp 1
		.amdhsa_ieee_mode 1
		.amdhsa_fp16_overflow 0
		.amdhsa_workgroup_processor_mode 1
		.amdhsa_memory_ordered 1
		.amdhsa_forward_progress 0
		.amdhsa_shared_vgpr_count 0
		.amdhsa_exception_fp_ieee_invalid_op 0
		.amdhsa_exception_fp_denorm_src 0
		.amdhsa_exception_fp_ieee_div_zero 0
		.amdhsa_exception_fp_ieee_overflow 0
		.amdhsa_exception_fp_ieee_underflow 0
		.amdhsa_exception_fp_ieee_inexact 0
		.amdhsa_exception_int_div_zero 0
	.end_amdhsa_kernel
	.section	.text._ZN7rocprim17ROCPRIM_400000_NS6detail17trampoline_kernelINS0_14default_configENS1_29reduce_by_key_config_selectorIyjN6thrust23THRUST_200600_302600_NS4plusIjEEEEZZNS1_33reduce_by_key_impl_wrapped_configILNS1_25lookback_scan_determinismE0ES3_S9_NS6_6detail15normal_iteratorINS6_10device_ptrIyEEEENSD_INSE_IjEEEESG_SI_PmS8_NS6_8equal_toIyEEEE10hipError_tPvRmT2_T3_mT4_T5_T6_T7_T8_P12ihipStream_tbENKUlT_T0_E_clISt17integral_constantIbLb1EES12_IbLb0EEEEDaSY_SZ_EUlSY_E_NS1_11comp_targetILNS1_3genE10ELNS1_11target_archE1200ELNS1_3gpuE4ELNS1_3repE0EEENS1_30default_config_static_selectorELNS0_4arch9wavefront6targetE0EEEvT1_,"axG",@progbits,_ZN7rocprim17ROCPRIM_400000_NS6detail17trampoline_kernelINS0_14default_configENS1_29reduce_by_key_config_selectorIyjN6thrust23THRUST_200600_302600_NS4plusIjEEEEZZNS1_33reduce_by_key_impl_wrapped_configILNS1_25lookback_scan_determinismE0ES3_S9_NS6_6detail15normal_iteratorINS6_10device_ptrIyEEEENSD_INSE_IjEEEESG_SI_PmS8_NS6_8equal_toIyEEEE10hipError_tPvRmT2_T3_mT4_T5_T6_T7_T8_P12ihipStream_tbENKUlT_T0_E_clISt17integral_constantIbLb1EES12_IbLb0EEEEDaSY_SZ_EUlSY_E_NS1_11comp_targetILNS1_3genE10ELNS1_11target_archE1200ELNS1_3gpuE4ELNS1_3repE0EEENS1_30default_config_static_selectorELNS0_4arch9wavefront6targetE0EEEvT1_,comdat
.Lfunc_end721:
	.size	_ZN7rocprim17ROCPRIM_400000_NS6detail17trampoline_kernelINS0_14default_configENS1_29reduce_by_key_config_selectorIyjN6thrust23THRUST_200600_302600_NS4plusIjEEEEZZNS1_33reduce_by_key_impl_wrapped_configILNS1_25lookback_scan_determinismE0ES3_S9_NS6_6detail15normal_iteratorINS6_10device_ptrIyEEEENSD_INSE_IjEEEESG_SI_PmS8_NS6_8equal_toIyEEEE10hipError_tPvRmT2_T3_mT4_T5_T6_T7_T8_P12ihipStream_tbENKUlT_T0_E_clISt17integral_constantIbLb1EES12_IbLb0EEEEDaSY_SZ_EUlSY_E_NS1_11comp_targetILNS1_3genE10ELNS1_11target_archE1200ELNS1_3gpuE4ELNS1_3repE0EEENS1_30default_config_static_selectorELNS0_4arch9wavefront6targetE0EEEvT1_, .Lfunc_end721-_ZN7rocprim17ROCPRIM_400000_NS6detail17trampoline_kernelINS0_14default_configENS1_29reduce_by_key_config_selectorIyjN6thrust23THRUST_200600_302600_NS4plusIjEEEEZZNS1_33reduce_by_key_impl_wrapped_configILNS1_25lookback_scan_determinismE0ES3_S9_NS6_6detail15normal_iteratorINS6_10device_ptrIyEEEENSD_INSE_IjEEEESG_SI_PmS8_NS6_8equal_toIyEEEE10hipError_tPvRmT2_T3_mT4_T5_T6_T7_T8_P12ihipStream_tbENKUlT_T0_E_clISt17integral_constantIbLb1EES12_IbLb0EEEEDaSY_SZ_EUlSY_E_NS1_11comp_targetILNS1_3genE10ELNS1_11target_archE1200ELNS1_3gpuE4ELNS1_3repE0EEENS1_30default_config_static_selectorELNS0_4arch9wavefront6targetE0EEEvT1_
                                        ; -- End function
	.section	.AMDGPU.csdata,"",@progbits
; Kernel info:
; codeLenInByte = 0
; NumSgprs: 0
; NumVgprs: 0
; ScratchSize: 0
; MemoryBound: 0
; FloatMode: 240
; IeeeMode: 1
; LDSByteSize: 0 bytes/workgroup (compile time only)
; SGPRBlocks: 0
; VGPRBlocks: 0
; NumSGPRsForWavesPerEU: 1
; NumVGPRsForWavesPerEU: 1
; Occupancy: 16
; WaveLimiterHint : 0
; COMPUTE_PGM_RSRC2:SCRATCH_EN: 0
; COMPUTE_PGM_RSRC2:USER_SGPR: 15
; COMPUTE_PGM_RSRC2:TRAP_HANDLER: 0
; COMPUTE_PGM_RSRC2:TGID_X_EN: 1
; COMPUTE_PGM_RSRC2:TGID_Y_EN: 0
; COMPUTE_PGM_RSRC2:TGID_Z_EN: 0
; COMPUTE_PGM_RSRC2:TIDIG_COMP_CNT: 0
	.section	.text._ZN7rocprim17ROCPRIM_400000_NS6detail17trampoline_kernelINS0_14default_configENS1_29reduce_by_key_config_selectorIyjN6thrust23THRUST_200600_302600_NS4plusIjEEEEZZNS1_33reduce_by_key_impl_wrapped_configILNS1_25lookback_scan_determinismE0ES3_S9_NS6_6detail15normal_iteratorINS6_10device_ptrIyEEEENSD_INSE_IjEEEESG_SI_PmS8_NS6_8equal_toIyEEEE10hipError_tPvRmT2_T3_mT4_T5_T6_T7_T8_P12ihipStream_tbENKUlT_T0_E_clISt17integral_constantIbLb1EES12_IbLb0EEEEDaSY_SZ_EUlSY_E_NS1_11comp_targetILNS1_3genE9ELNS1_11target_archE1100ELNS1_3gpuE3ELNS1_3repE0EEENS1_30default_config_static_selectorELNS0_4arch9wavefront6targetE0EEEvT1_,"axG",@progbits,_ZN7rocprim17ROCPRIM_400000_NS6detail17trampoline_kernelINS0_14default_configENS1_29reduce_by_key_config_selectorIyjN6thrust23THRUST_200600_302600_NS4plusIjEEEEZZNS1_33reduce_by_key_impl_wrapped_configILNS1_25lookback_scan_determinismE0ES3_S9_NS6_6detail15normal_iteratorINS6_10device_ptrIyEEEENSD_INSE_IjEEEESG_SI_PmS8_NS6_8equal_toIyEEEE10hipError_tPvRmT2_T3_mT4_T5_T6_T7_T8_P12ihipStream_tbENKUlT_T0_E_clISt17integral_constantIbLb1EES12_IbLb0EEEEDaSY_SZ_EUlSY_E_NS1_11comp_targetILNS1_3genE9ELNS1_11target_archE1100ELNS1_3gpuE3ELNS1_3repE0EEENS1_30default_config_static_selectorELNS0_4arch9wavefront6targetE0EEEvT1_,comdat
	.protected	_ZN7rocprim17ROCPRIM_400000_NS6detail17trampoline_kernelINS0_14default_configENS1_29reduce_by_key_config_selectorIyjN6thrust23THRUST_200600_302600_NS4plusIjEEEEZZNS1_33reduce_by_key_impl_wrapped_configILNS1_25lookback_scan_determinismE0ES3_S9_NS6_6detail15normal_iteratorINS6_10device_ptrIyEEEENSD_INSE_IjEEEESG_SI_PmS8_NS6_8equal_toIyEEEE10hipError_tPvRmT2_T3_mT4_T5_T6_T7_T8_P12ihipStream_tbENKUlT_T0_E_clISt17integral_constantIbLb1EES12_IbLb0EEEEDaSY_SZ_EUlSY_E_NS1_11comp_targetILNS1_3genE9ELNS1_11target_archE1100ELNS1_3gpuE3ELNS1_3repE0EEENS1_30default_config_static_selectorELNS0_4arch9wavefront6targetE0EEEvT1_ ; -- Begin function _ZN7rocprim17ROCPRIM_400000_NS6detail17trampoline_kernelINS0_14default_configENS1_29reduce_by_key_config_selectorIyjN6thrust23THRUST_200600_302600_NS4plusIjEEEEZZNS1_33reduce_by_key_impl_wrapped_configILNS1_25lookback_scan_determinismE0ES3_S9_NS6_6detail15normal_iteratorINS6_10device_ptrIyEEEENSD_INSE_IjEEEESG_SI_PmS8_NS6_8equal_toIyEEEE10hipError_tPvRmT2_T3_mT4_T5_T6_T7_T8_P12ihipStream_tbENKUlT_T0_E_clISt17integral_constantIbLb1EES12_IbLb0EEEEDaSY_SZ_EUlSY_E_NS1_11comp_targetILNS1_3genE9ELNS1_11target_archE1100ELNS1_3gpuE3ELNS1_3repE0EEENS1_30default_config_static_selectorELNS0_4arch9wavefront6targetE0EEEvT1_
	.globl	_ZN7rocprim17ROCPRIM_400000_NS6detail17trampoline_kernelINS0_14default_configENS1_29reduce_by_key_config_selectorIyjN6thrust23THRUST_200600_302600_NS4plusIjEEEEZZNS1_33reduce_by_key_impl_wrapped_configILNS1_25lookback_scan_determinismE0ES3_S9_NS6_6detail15normal_iteratorINS6_10device_ptrIyEEEENSD_INSE_IjEEEESG_SI_PmS8_NS6_8equal_toIyEEEE10hipError_tPvRmT2_T3_mT4_T5_T6_T7_T8_P12ihipStream_tbENKUlT_T0_E_clISt17integral_constantIbLb1EES12_IbLb0EEEEDaSY_SZ_EUlSY_E_NS1_11comp_targetILNS1_3genE9ELNS1_11target_archE1100ELNS1_3gpuE3ELNS1_3repE0EEENS1_30default_config_static_selectorELNS0_4arch9wavefront6targetE0EEEvT1_
	.p2align	8
	.type	_ZN7rocprim17ROCPRIM_400000_NS6detail17trampoline_kernelINS0_14default_configENS1_29reduce_by_key_config_selectorIyjN6thrust23THRUST_200600_302600_NS4plusIjEEEEZZNS1_33reduce_by_key_impl_wrapped_configILNS1_25lookback_scan_determinismE0ES3_S9_NS6_6detail15normal_iteratorINS6_10device_ptrIyEEEENSD_INSE_IjEEEESG_SI_PmS8_NS6_8equal_toIyEEEE10hipError_tPvRmT2_T3_mT4_T5_T6_T7_T8_P12ihipStream_tbENKUlT_T0_E_clISt17integral_constantIbLb1EES12_IbLb0EEEEDaSY_SZ_EUlSY_E_NS1_11comp_targetILNS1_3genE9ELNS1_11target_archE1100ELNS1_3gpuE3ELNS1_3repE0EEENS1_30default_config_static_selectorELNS0_4arch9wavefront6targetE0EEEvT1_,@function
_ZN7rocprim17ROCPRIM_400000_NS6detail17trampoline_kernelINS0_14default_configENS1_29reduce_by_key_config_selectorIyjN6thrust23THRUST_200600_302600_NS4plusIjEEEEZZNS1_33reduce_by_key_impl_wrapped_configILNS1_25lookback_scan_determinismE0ES3_S9_NS6_6detail15normal_iteratorINS6_10device_ptrIyEEEENSD_INSE_IjEEEESG_SI_PmS8_NS6_8equal_toIyEEEE10hipError_tPvRmT2_T3_mT4_T5_T6_T7_T8_P12ihipStream_tbENKUlT_T0_E_clISt17integral_constantIbLb1EES12_IbLb0EEEEDaSY_SZ_EUlSY_E_NS1_11comp_targetILNS1_3genE9ELNS1_11target_archE1100ELNS1_3gpuE3ELNS1_3repE0EEENS1_30default_config_static_selectorELNS0_4arch9wavefront6targetE0EEEvT1_: ; @_ZN7rocprim17ROCPRIM_400000_NS6detail17trampoline_kernelINS0_14default_configENS1_29reduce_by_key_config_selectorIyjN6thrust23THRUST_200600_302600_NS4plusIjEEEEZZNS1_33reduce_by_key_impl_wrapped_configILNS1_25lookback_scan_determinismE0ES3_S9_NS6_6detail15normal_iteratorINS6_10device_ptrIyEEEENSD_INSE_IjEEEESG_SI_PmS8_NS6_8equal_toIyEEEE10hipError_tPvRmT2_T3_mT4_T5_T6_T7_T8_P12ihipStream_tbENKUlT_T0_E_clISt17integral_constantIbLb1EES12_IbLb0EEEEDaSY_SZ_EUlSY_E_NS1_11comp_targetILNS1_3genE9ELNS1_11target_archE1100ELNS1_3gpuE3ELNS1_3repE0EEENS1_30default_config_static_selectorELNS0_4arch9wavefront6targetE0EEEvT1_
; %bb.0:
	s_clause 0x4
	s_load_b256 s[20:27], s[0:1], 0x0
	s_load_b256 s[36:43], s[0:1], 0x38
	s_load_b128 s[28:31], s[0:1], 0x20
	s_load_b64 s[34:35], s[0:1], 0x68
	s_load_b128 s[44:47], s[0:1], 0x58
	s_mov_b32 s3, 0
	s_mul_i32 s2, s15, 0xf00
	s_waitcnt lgkmcnt(0)
	s_lshl_b64 s[0:1], s[22:23], 3
	s_mul_i32 s4, s40, s39
	s_add_u32 s6, s20, s0
	s_addc_u32 s7, s21, s1
	s_lshl_b64 s[0:1], s[22:23], 2
	s_mul_hi_u32 s5, s40, s38
	s_add_u32 s9, s24, s0
	s_mul_i32 s8, s41, s38
	s_addc_u32 s10, s25, s1
	s_add_i32 s4, s5, s4
	s_lshl_b64 s[0:1], s[2:3], 3
	s_add_i32 s4, s4, s8
	s_add_u32 s18, s6, s0
	s_addc_u32 s14, s7, s1
	s_lshl_b64 s[0:1], s[2:3], 2
	s_mul_i32 s2, s40, s38
	s_add_u32 s20, s9, s0
	s_addc_u32 s21, s10, s1
	s_add_u32 s16, s2, s15
	s_addc_u32 s17, s4, 0
	s_add_u32 s0, s42, -1
	s_addc_u32 s1, s43, -1
	s_mul_i32 s33, s0, 0xfffff100
	s_cmp_eq_u64 s[16:17], s[0:1]
	s_cselect_b32 s23, -1, 0
	s_cmp_lg_u64 s[16:17], s[0:1]
	s_cselect_b32 s19, -1, 0
	s_and_b32 vcc_lo, exec_lo, s23
	s_cbranch_vccnz .LBB722_2
; %bb.1:
	v_lshlrev_b32_e32 v37, 3, v0
	v_lshlrev_b32_e32 v31, 2, v0
	v_mad_u32_u24 v42, v0, 15, 5
	v_mad_u32_u24 v44, v0, 15, 7
	;; [unrolled: 1-line block ×3, first 2 shown]
	v_add_co_u32 v1, s0, s18, v37
	s_delay_alu instid0(VALU_DEP_1) | instskip(SKIP_1) | instid1(VALU_DEP_3)
	v_add_co_ci_u32_e64 v2, null, s14, 0, s0
	v_add_co_u32 v31, s0, s20, v31
	v_add_co_u32 v3, vcc_lo, 0x1000, v1
	s_delay_alu instid0(VALU_DEP_3)
	v_add_co_ci_u32_e32 v4, vcc_lo, 0, v2, vcc_lo
	v_add_co_u32 v5, vcc_lo, 0x2000, v1
	v_add_co_ci_u32_e32 v6, vcc_lo, 0, v2, vcc_lo
	v_add_co_u32 v7, vcc_lo, 0x3000, v1
	;; [unrolled: 2-line block ×5, first 2 shown]
	v_add_co_ci_u32_e32 v24, vcc_lo, 0, v2, vcc_lo
	s_clause 0x7
	flat_load_b64 v[9:10], v[1:2]
	flat_load_b64 v[11:12], v[1:2] offset:2048
	flat_load_b64 v[13:14], v[3:4]
	flat_load_b64 v[3:4], v[3:4] offset:2048
	;; [unrolled: 2-line block ×4, first 2 shown]
	v_add_co_u32 v1, vcc_lo, 0x7000, v1
	v_add_co_ci_u32_e32 v2, vcc_lo, 0, v2, vcc_lo
	s_clause 0x6
	flat_load_b64 v[25:26], v[19:20]
	flat_load_b64 v[19:20], v[19:20] offset:2048
	flat_load_b64 v[27:28], v[21:22]
	flat_load_b64 v[21:22], v[21:22] offset:2048
	;; [unrolled: 2-line block ×3, first 2 shown]
	flat_load_b64 v[1:2], v[1:2]
	v_add_co_ci_u32_e64 v32, null, s21, 0, s0
	v_add_co_u32 v33, vcc_lo, 0x1000, v31
	v_mad_u32_u24 v46, 0x70, v0, v37
	s_delay_alu instid0(VALU_DEP_3)
	v_add_co_ci_u32_e32 v34, vcc_lo, 0, v32, vcc_lo
	v_add_co_u32 v35, vcc_lo, 0x2000, v31
	v_add_co_ci_u32_e32 v36, vcc_lo, 0, v32, vcc_lo
	v_add_co_u32 v39, vcc_lo, 0x3000, v31
	v_add_co_ci_u32_e32 v40, vcc_lo, 0, v32, vcc_lo
	v_mad_u32_u24 v45, v0, 15, 9
	v_mad_u32_u24 v43, v0, 15, 10
	v_mad_i32_i24 v61, 0xffffff8c, v0, v46
	v_mad_u32_u24 v50, v0, 15, 11
	v_mad_u32_u24 v49, v0, 15, 12
	s_waitcnt vmcnt(13) lgkmcnt(13)
	ds_store_2addr_stride64_b64 v37, v[9:10], v[11:12] offset1:4
	s_waitcnt vmcnt(11) lgkmcnt(12)
	ds_store_2addr_stride64_b64 v37, v[13:14], v[3:4] offset0:8 offset1:12
	s_waitcnt vmcnt(9) lgkmcnt(11)
	ds_store_2addr_stride64_b64 v37, v[15:16], v[5:6] offset0:16 offset1:20
	;; [unrolled: 2-line block ×6, first 2 shown]
	s_waitcnt vmcnt(0) lgkmcnt(7)
	ds_store_b64 v37, v[1:2] offset:28672
	s_waitcnt lgkmcnt(0)
	s_barrier
	buffer_gl0_inv
	ds_load_2addr_b64 v[25:28], v46 offset1:1
	ds_load_2addr_b64 v[21:24], v46 offset0:2 offset1:3
	ds_load_2addr_b64 v[17:20], v46 offset0:4 offset1:5
	;; [unrolled: 1-line block ×6, first 2 shown]
	ds_load_b64 v[37:38], v46 offset:112
	s_waitcnt lgkmcnt(0)
	s_barrier
	buffer_gl0_inv
	s_clause 0xe
	flat_load_b32 v29, v[31:32]
	flat_load_b32 v47, v[31:32] offset:1024
	flat_load_b32 v48, v[31:32] offset:2048
	flat_load_b32 v32, v[31:32] offset:3072
	flat_load_b32 v51, v[33:34]
	flat_load_b32 v52, v[33:34] offset:1024
	flat_load_b32 v53, v[33:34] offset:2048
	flat_load_b32 v54, v[33:34] offset:3072
	;; [unrolled: 4-line block ×3, first 2 shown]
	flat_load_b32 v59, v[39:40]
	flat_load_b32 v60, v[39:40] offset:1024
	flat_load_b32 v39, v[39:40] offset:2048
	v_mul_u32_u24_e32 v30, 15, v0
	v_mad_u32_u24 v34, v0, 15, 1
	v_mad_u32_u24 v33, v0, 15, 2
	;; [unrolled: 1-line block ×7, first 2 shown]
	s_waitcnt vmcnt(13) lgkmcnt(13)
	ds_store_2addr_stride64_b32 v61, v29, v47 offset1:4
	s_waitcnt vmcnt(11) lgkmcnt(12)
	ds_store_2addr_stride64_b32 v61, v48, v32 offset0:8 offset1:12
	s_waitcnt vmcnt(9) lgkmcnt(11)
	ds_store_2addr_stride64_b32 v61, v51, v52 offset0:16 offset1:20
	;; [unrolled: 2-line block ×6, first 2 shown]
	s_waitcnt vmcnt(0) lgkmcnt(7)
	ds_store_b32 v61, v39 offset:14336
	s_waitcnt lgkmcnt(0)
	s_barrier
	s_and_not1_b32 vcc_lo, exec_lo, s3
	s_add_i32 s33, s33, s44
	s_cbranch_vccz .LBB722_3
	s_branch .LBB722_64
.LBB722_2:
                                        ; implicit-def: $vgpr31
                                        ; implicit-def: $vgpr46
                                        ; implicit-def: $vgpr49
                                        ; implicit-def: $vgpr50
                                        ; implicit-def: $vgpr43
                                        ; implicit-def: $vgpr45
                                        ; implicit-def: $vgpr41
                                        ; implicit-def: $vgpr44
                                        ; implicit-def: $vgpr40
                                        ; implicit-def: $vgpr42
                                        ; implicit-def: $vgpr35
                                        ; implicit-def: $vgpr36
                                        ; implicit-def: $vgpr33
                                        ; implicit-def: $vgpr34
                                        ; implicit-def: $vgpr30
                                        ; implicit-def: $vgpr25_vgpr26
                                        ; implicit-def: $vgpr21_vgpr22
                                        ; implicit-def: $vgpr17_vgpr18
                                        ; implicit-def: $vgpr13_vgpr14
                                        ; implicit-def: $vgpr9_vgpr10
                                        ; implicit-def: $vgpr5_vgpr6
                                        ; implicit-def: $vgpr1_vgpr2
                                        ; implicit-def: $vgpr37_vgpr38
	s_add_i32 s33, s33, s44
.LBB722_3:
	s_delay_alu instid0(SALU_CYCLE_1)
	v_cmp_gt_u32_e32 vcc_lo, s33, v0
                                        ; implicit-def: $vgpr1_vgpr2
	s_and_saveexec_b32 s0, vcc_lo
	s_cbranch_execz .LBB722_5
; %bb.4:
	v_lshlrev_b32_e32 v1, 3, v0
	s_delay_alu instid0(VALU_DEP_1) | instskip(NEXT) | instid1(VALU_DEP_1)
	v_add_co_u32 v1, s1, s18, v1
	v_add_co_ci_u32_e64 v2, null, s14, 0, s1
	flat_load_b64 v[1:2], v[1:2]
.LBB722_5:
	s_or_b32 exec_lo, exec_lo, s0
	v_or_b32_e32 v3, 0x100, v0
	s_delay_alu instid0(VALU_DEP_1) | instskip(NEXT) | instid1(VALU_DEP_1)
	v_cmp_gt_u32_e64 s0, s33, v3
                                        ; implicit-def: $vgpr3_vgpr4
	s_and_saveexec_b32 s1, s0
	s_cbranch_execz .LBB722_7
; %bb.6:
	v_lshlrev_b32_e32 v3, 3, v0
	s_delay_alu instid0(VALU_DEP_1) | instskip(NEXT) | instid1(VALU_DEP_1)
	v_add_co_u32 v3, s2, s18, v3
	v_add_co_ci_u32_e64 v4, null, s14, 0, s2
	flat_load_b64 v[3:4], v[3:4] offset:2048
.LBB722_7:
	s_or_b32 exec_lo, exec_lo, s1
	v_or_b32_e32 v7, 0x200, v0
                                        ; implicit-def: $vgpr5_vgpr6
	s_delay_alu instid0(VALU_DEP_1) | instskip(NEXT) | instid1(VALU_DEP_1)
	v_cmp_gt_u32_e64 s1, s33, v7
	s_and_saveexec_b32 s2, s1
	s_cbranch_execz .LBB722_9
; %bb.8:
	v_lshlrev_b32_e32 v5, 3, v7
	s_delay_alu instid0(VALU_DEP_1) | instskip(NEXT) | instid1(VALU_DEP_1)
	v_add_co_u32 v5, s3, s18, v5
	v_add_co_ci_u32_e64 v6, null, s14, 0, s3
	flat_load_b64 v[5:6], v[5:6]
.LBB722_9:
	s_or_b32 exec_lo, exec_lo, s2
	v_or_b32_e32 v9, 0x300, v0
                                        ; implicit-def: $vgpr7_vgpr8
	s_delay_alu instid0(VALU_DEP_1) | instskip(NEXT) | instid1(VALU_DEP_1)
	v_cmp_gt_u32_e64 s2, s33, v9
	s_and_saveexec_b32 s3, s2
	s_cbranch_execz .LBB722_11
; %bb.10:
	v_lshlrev_b32_e32 v7, 3, v9
	s_delay_alu instid0(VALU_DEP_1) | instskip(NEXT) | instid1(VALU_DEP_1)
	v_add_co_u32 v7, s4, s18, v7
	v_add_co_ci_u32_e64 v8, null, s14, 0, s4
	flat_load_b64 v[7:8], v[7:8]
.LBB722_11:
	s_or_b32 exec_lo, exec_lo, s3
	v_or_b32_e32 v33, 0x400, v0
                                        ; implicit-def: $vgpr9_vgpr10
	s_delay_alu instid0(VALU_DEP_1) | instskip(NEXT) | instid1(VALU_DEP_1)
	v_cmp_gt_u32_e64 s3, s33, v33
	s_and_saveexec_b32 s4, s3
	s_cbranch_execz .LBB722_13
; %bb.12:
	v_lshlrev_b32_e32 v9, 3, v33
	s_delay_alu instid0(VALU_DEP_1) | instskip(NEXT) | instid1(VALU_DEP_1)
	v_add_co_u32 v9, s5, s18, v9
	v_add_co_ci_u32_e64 v10, null, s14, 0, s5
	flat_load_b64 v[9:10], v[9:10]
.LBB722_13:
	s_or_b32 exec_lo, exec_lo, s4
	v_or_b32_e32 v34, 0x500, v0
                                        ; implicit-def: $vgpr11_vgpr12
	s_delay_alu instid0(VALU_DEP_1) | instskip(NEXT) | instid1(VALU_DEP_1)
	v_cmp_gt_u32_e64 s4, s33, v34
	s_and_saveexec_b32 s5, s4
	s_cbranch_execz .LBB722_15
; %bb.14:
	v_lshlrev_b32_e32 v11, 3, v34
	s_delay_alu instid0(VALU_DEP_1) | instskip(NEXT) | instid1(VALU_DEP_1)
	v_add_co_u32 v11, s6, s18, v11
	v_add_co_ci_u32_e64 v12, null, s14, 0, s6
	flat_load_b64 v[11:12], v[11:12]
.LBB722_15:
	s_or_b32 exec_lo, exec_lo, s5
	v_or_b32_e32 v35, 0x600, v0
                                        ; implicit-def: $vgpr13_vgpr14
	s_delay_alu instid0(VALU_DEP_1) | instskip(NEXT) | instid1(VALU_DEP_1)
	v_cmp_gt_u32_e64 s5, s33, v35
	s_and_saveexec_b32 s6, s5
	s_cbranch_execz .LBB722_17
; %bb.16:
	v_lshlrev_b32_e32 v13, 3, v35
	s_delay_alu instid0(VALU_DEP_1) | instskip(NEXT) | instid1(VALU_DEP_1)
	v_add_co_u32 v13, s7, s18, v13
	v_add_co_ci_u32_e64 v14, null, s14, 0, s7
	flat_load_b64 v[13:14], v[13:14]
.LBB722_17:
	s_or_b32 exec_lo, exec_lo, s6
	v_or_b32_e32 v36, 0x700, v0
                                        ; implicit-def: $vgpr15_vgpr16
	s_delay_alu instid0(VALU_DEP_1) | instskip(NEXT) | instid1(VALU_DEP_1)
	v_cmp_gt_u32_e64 s6, s33, v36
	s_and_saveexec_b32 s7, s6
	s_cbranch_execz .LBB722_19
; %bb.18:
	v_lshlrev_b32_e32 v15, 3, v36
	s_delay_alu instid0(VALU_DEP_1) | instskip(NEXT) | instid1(VALU_DEP_1)
	v_add_co_u32 v15, s8, s18, v15
	v_add_co_ci_u32_e64 v16, null, s14, 0, s8
	flat_load_b64 v[15:16], v[15:16]
.LBB722_19:
	s_or_b32 exec_lo, exec_lo, s7
	v_or_b32_e32 v40, 0x800, v0
                                        ; implicit-def: $vgpr17_vgpr18
	s_delay_alu instid0(VALU_DEP_1) | instskip(NEXT) | instid1(VALU_DEP_1)
	v_cmp_gt_u32_e64 s7, s33, v40
	s_and_saveexec_b32 s8, s7
	s_cbranch_execz .LBB722_21
; %bb.20:
	v_lshlrev_b32_e32 v17, 3, v40
	s_delay_alu instid0(VALU_DEP_1) | instskip(NEXT) | instid1(VALU_DEP_1)
	v_add_co_u32 v17, s9, s18, v17
	v_add_co_ci_u32_e64 v18, null, s14, 0, s9
	flat_load_b64 v[17:18], v[17:18]
.LBB722_21:
	s_or_b32 exec_lo, exec_lo, s8
	v_or_b32_e32 v41, 0x900, v0
                                        ; implicit-def: $vgpr19_vgpr20
	s_delay_alu instid0(VALU_DEP_1) | instskip(NEXT) | instid1(VALU_DEP_1)
	v_cmp_gt_u32_e64 s8, s33, v41
	s_and_saveexec_b32 s9, s8
	s_cbranch_execz .LBB722_23
; %bb.22:
	v_lshlrev_b32_e32 v19, 3, v41
	s_delay_alu instid0(VALU_DEP_1) | instskip(NEXT) | instid1(VALU_DEP_1)
	v_add_co_u32 v19, s10, s18, v19
	v_add_co_ci_u32_e64 v20, null, s14, 0, s10
	flat_load_b64 v[19:20], v[19:20]
.LBB722_23:
	s_or_b32 exec_lo, exec_lo, s9
	v_or_b32_e32 v42, 0xa00, v0
                                        ; implicit-def: $vgpr21_vgpr22
	s_delay_alu instid0(VALU_DEP_1) | instskip(NEXT) | instid1(VALU_DEP_1)
	v_cmp_gt_u32_e64 s9, s33, v42
	s_and_saveexec_b32 s10, s9
	s_cbranch_execz .LBB722_25
; %bb.24:
	v_lshlrev_b32_e32 v21, 3, v42
	s_delay_alu instid0(VALU_DEP_1) | instskip(NEXT) | instid1(VALU_DEP_1)
	v_add_co_u32 v21, s11, s18, v21
	v_add_co_ci_u32_e64 v22, null, s14, 0, s11
	flat_load_b64 v[21:22], v[21:22]
.LBB722_25:
	s_or_b32 exec_lo, exec_lo, s10
	v_or_b32_e32 v43, 0xb00, v0
                                        ; implicit-def: $vgpr23_vgpr24
	s_delay_alu instid0(VALU_DEP_1) | instskip(NEXT) | instid1(VALU_DEP_1)
	v_cmp_gt_u32_e64 s10, s33, v43
	s_and_saveexec_b32 s11, s10
	s_cbranch_execz .LBB722_27
; %bb.26:
	v_lshlrev_b32_e32 v23, 3, v43
	s_delay_alu instid0(VALU_DEP_1) | instskip(NEXT) | instid1(VALU_DEP_1)
	v_add_co_u32 v23, s12, s18, v23
	v_add_co_ci_u32_e64 v24, null, s14, 0, s12
	flat_load_b64 v[23:24], v[23:24]
.LBB722_27:
	s_or_b32 exec_lo, exec_lo, s11
	v_or_b32_e32 v44, 0xc00, v0
                                        ; implicit-def: $vgpr25_vgpr26
	s_delay_alu instid0(VALU_DEP_1) | instskip(NEXT) | instid1(VALU_DEP_1)
	v_cmp_gt_u32_e64 s11, s33, v44
	s_and_saveexec_b32 s12, s11
	s_cbranch_execz .LBB722_29
; %bb.28:
	v_lshlrev_b32_e32 v25, 3, v44
	s_delay_alu instid0(VALU_DEP_1) | instskip(NEXT) | instid1(VALU_DEP_1)
	v_add_co_u32 v25, s13, s18, v25
	v_add_co_ci_u32_e64 v26, null, s14, 0, s13
	flat_load_b64 v[25:26], v[25:26]
.LBB722_29:
	s_or_b32 exec_lo, exec_lo, s12
	v_or_b32_e32 v45, 0xd00, v0
                                        ; implicit-def: $vgpr27_vgpr28
	s_delay_alu instid0(VALU_DEP_1) | instskip(NEXT) | instid1(VALU_DEP_1)
	v_cmp_gt_u32_e64 s12, s33, v45
	s_and_saveexec_b32 s13, s12
	s_cbranch_execz .LBB722_31
; %bb.30:
	v_lshlrev_b32_e32 v27, 3, v45
	s_delay_alu instid0(VALU_DEP_1) | instskip(NEXT) | instid1(VALU_DEP_1)
	v_add_co_u32 v27, s22, s18, v27
	v_add_co_ci_u32_e64 v28, null, s14, 0, s22
	flat_load_b64 v[27:28], v[27:28]
.LBB722_31:
	s_or_b32 exec_lo, exec_lo, s13
	v_or_b32_e32 v46, 0xe00, v0
                                        ; implicit-def: $vgpr29_vgpr30
	s_delay_alu instid0(VALU_DEP_1) | instskip(NEXT) | instid1(VALU_DEP_1)
	v_cmp_gt_u32_e64 s13, s33, v46
	s_and_saveexec_b32 s22, s13
	s_cbranch_execz .LBB722_33
; %bb.32:
	v_lshlrev_b32_e32 v29, 3, v46
	s_delay_alu instid0(VALU_DEP_1) | instskip(NEXT) | instid1(VALU_DEP_1)
	v_add_co_u32 v29, s24, s18, v29
	v_add_co_ci_u32_e64 v30, null, s14, 0, s24
	flat_load_b64 v[29:30], v[29:30]
.LBB722_33:
	s_or_b32 exec_lo, exec_lo, s22
	v_lshlrev_b32_e32 v32, 3, v0
	s_waitcnt vmcnt(0) lgkmcnt(0)
	ds_store_2addr_stride64_b64 v32, v[1:2], v[3:4] offset1:4
	ds_store_2addr_stride64_b64 v32, v[5:6], v[7:8] offset0:8 offset1:12
	ds_store_2addr_stride64_b64 v32, v[9:10], v[11:12] offset0:16 offset1:20
	ds_store_2addr_stride64_b64 v32, v[13:14], v[15:16] offset0:24 offset1:28
	ds_store_2addr_stride64_b64 v32, v[17:18], v[19:20] offset0:32 offset1:36
	ds_store_2addr_stride64_b64 v32, v[21:22], v[23:24] offset0:40 offset1:44
	ds_store_2addr_stride64_b64 v32, v[25:26], v[27:28] offset0:48 offset1:52
	v_mad_u32_u24 v31, 0x70, v0, v32
	ds_store_b64 v32, v[29:30] offset:28672
	s_waitcnt lgkmcnt(0)
	s_barrier
	buffer_gl0_inv
	ds_load_2addr_b64 v[25:28], v31 offset1:1
	ds_load_2addr_b64 v[21:24], v31 offset0:2 offset1:3
	ds_load_2addr_b64 v[17:20], v31 offset0:4 offset1:5
	;; [unrolled: 1-line block ×6, first 2 shown]
	ds_load_b64 v[37:38], v31 offset:112
	s_waitcnt lgkmcnt(0)
	s_barrier
	buffer_gl0_inv
                                        ; implicit-def: $vgpr29
	s_and_saveexec_b32 s22, vcc_lo
	s_cbranch_execz .LBB722_47
; %bb.34:
	v_lshlrev_b32_e32 v29, 2, v0
	s_delay_alu instid0(VALU_DEP_1) | instskip(NEXT) | instid1(VALU_DEP_1)
	v_add_co_u32 v29, s24, s20, v29
	v_add_co_ci_u32_e64 v30, null, s21, 0, s24
	flat_load_b32 v29, v[29:30]
	s_or_b32 exec_lo, exec_lo, s22
                                        ; implicit-def: $vgpr32
	s_and_saveexec_b32 s22, s0
	s_cbranch_execnz .LBB722_48
.LBB722_35:
	s_or_b32 exec_lo, exec_lo, s22
                                        ; implicit-def: $vgpr39
	s_and_saveexec_b32 s0, s1
	s_cbranch_execz .LBB722_49
.LBB722_36:
	v_lshlrev_b32_e32 v30, 2, v0
	s_delay_alu instid0(VALU_DEP_1) | instskip(NEXT) | instid1(VALU_DEP_1)
	v_add_co_u32 v47, s1, s20, v30
	v_add_co_ci_u32_e64 v48, null, s21, 0, s1
	flat_load_b32 v39, v[47:48] offset:2048
	s_or_b32 exec_lo, exec_lo, s0
                                        ; implicit-def: $vgpr47
	s_and_saveexec_b32 s0, s2
	s_cbranch_execnz .LBB722_50
.LBB722_37:
	s_or_b32 exec_lo, exec_lo, s0
                                        ; implicit-def: $vgpr48
	s_and_saveexec_b32 s0, s3
	s_cbranch_execz .LBB722_51
.LBB722_38:
	v_lshlrev_b32_e32 v30, 2, v33
	s_delay_alu instid0(VALU_DEP_1) | instskip(NEXT) | instid1(VALU_DEP_1)
	v_add_co_u32 v48, s1, s20, v30
	v_add_co_ci_u32_e64 v49, null, s21, 0, s1
	flat_load_b32 v48, v[48:49]
	s_or_b32 exec_lo, exec_lo, s0
                                        ; implicit-def: $vgpr51
	s_and_saveexec_b32 s0, s4
	s_cbranch_execnz .LBB722_52
.LBB722_39:
	s_or_b32 exec_lo, exec_lo, s0
                                        ; implicit-def: $vgpr52
	s_and_saveexec_b32 s0, s5
	s_cbranch_execz .LBB722_53
.LBB722_40:
	v_lshlrev_b32_e32 v30, 2, v35
	s_delay_alu instid0(VALU_DEP_1) | instskip(NEXT) | instid1(VALU_DEP_1)
	v_add_co_u32 v33, s1, s20, v30
	v_add_co_ci_u32_e64 v34, null, s21, 0, s1
	flat_load_b32 v52, v[33:34]
	s_or_b32 exec_lo, exec_lo, s0
                                        ; implicit-def: $vgpr53
	s_and_saveexec_b32 s0, s6
	s_cbranch_execnz .LBB722_54
.LBB722_41:
	s_or_b32 exec_lo, exec_lo, s0
                                        ; implicit-def: $vgpr54
	s_and_saveexec_b32 s0, s7
	s_cbranch_execz .LBB722_55
.LBB722_42:
	v_lshlrev_b32_e32 v30, 2, v40
	s_delay_alu instid0(VALU_DEP_1) | instskip(NEXT) | instid1(VALU_DEP_1)
	v_add_co_u32 v33, s1, s20, v30
	v_add_co_ci_u32_e64 v34, null, s21, 0, s1
	flat_load_b32 v54, v[33:34]
	s_or_b32 exec_lo, exec_lo, s0
                                        ; implicit-def: $vgpr55
	s_and_saveexec_b32 s0, s8
	s_cbranch_execnz .LBB722_56
.LBB722_43:
	s_or_b32 exec_lo, exec_lo, s0
                                        ; implicit-def: $vgpr56
	s_and_saveexec_b32 s0, s9
	s_cbranch_execz .LBB722_57
.LBB722_44:
	v_lshlrev_b32_e32 v30, 2, v42
	s_delay_alu instid0(VALU_DEP_1) | instskip(NEXT) | instid1(VALU_DEP_1)
	v_add_co_u32 v33, s1, s20, v30
	v_add_co_ci_u32_e64 v34, null, s21, 0, s1
	flat_load_b32 v56, v[33:34]
	s_or_b32 exec_lo, exec_lo, s0
                                        ; implicit-def: $vgpr57
	s_and_saveexec_b32 s0, s10
	s_cbranch_execnz .LBB722_58
.LBB722_45:
	s_or_b32 exec_lo, exec_lo, s0
                                        ; implicit-def: $vgpr58
	s_and_saveexec_b32 s0, s11
	s_cbranch_execz .LBB722_59
.LBB722_46:
	v_lshlrev_b32_e32 v30, 2, v44
	s_delay_alu instid0(VALU_DEP_1) | instskip(NEXT) | instid1(VALU_DEP_1)
	v_add_co_u32 v33, s1, s20, v30
	v_add_co_ci_u32_e64 v34, null, s21, 0, s1
	flat_load_b32 v58, v[33:34]
	s_or_b32 exec_lo, exec_lo, s0
                                        ; implicit-def: $vgpr59
	s_and_saveexec_b32 s0, s12
	s_cbranch_execz .LBB722_61
	s_branch .LBB722_60
.LBB722_47:
	s_or_b32 exec_lo, exec_lo, s22
                                        ; implicit-def: $vgpr32
	s_and_saveexec_b32 s22, s0
	s_cbranch_execz .LBB722_35
.LBB722_48:
	v_lshlrev_b32_e32 v30, 2, v0
	s_delay_alu instid0(VALU_DEP_1) | instskip(NEXT) | instid1(VALU_DEP_1)
	v_add_co_u32 v47, s0, s20, v30
	v_add_co_ci_u32_e64 v48, null, s21, 0, s0
	flat_load_b32 v32, v[47:48] offset:1024
	s_or_b32 exec_lo, exec_lo, s22
                                        ; implicit-def: $vgpr39
	s_and_saveexec_b32 s0, s1
	s_cbranch_execnz .LBB722_36
.LBB722_49:
	s_or_b32 exec_lo, exec_lo, s0
                                        ; implicit-def: $vgpr47
	s_and_saveexec_b32 s0, s2
	s_cbranch_execz .LBB722_37
.LBB722_50:
	v_lshlrev_b32_e32 v30, 2, v0
	s_delay_alu instid0(VALU_DEP_1) | instskip(NEXT) | instid1(VALU_DEP_1)
	v_add_co_u32 v47, s1, s20, v30
	v_add_co_ci_u32_e64 v48, null, s21, 0, s1
	flat_load_b32 v47, v[47:48] offset:3072
	s_or_b32 exec_lo, exec_lo, s0
                                        ; implicit-def: $vgpr48
	s_and_saveexec_b32 s0, s3
	s_cbranch_execnz .LBB722_38
.LBB722_51:
	s_or_b32 exec_lo, exec_lo, s0
                                        ; implicit-def: $vgpr51
	s_and_saveexec_b32 s0, s4
	s_cbranch_execz .LBB722_39
.LBB722_52:
	v_lshlrev_b32_e32 v30, 2, v34
	s_delay_alu instid0(VALU_DEP_1) | instskip(NEXT) | instid1(VALU_DEP_1)
	v_add_co_u32 v33, s1, s20, v30
	v_add_co_ci_u32_e64 v34, null, s21, 0, s1
	flat_load_b32 v51, v[33:34]
	s_or_b32 exec_lo, exec_lo, s0
                                        ; implicit-def: $vgpr52
	s_and_saveexec_b32 s0, s5
	s_cbranch_execnz .LBB722_40
.LBB722_53:
	s_or_b32 exec_lo, exec_lo, s0
                                        ; implicit-def: $vgpr53
	s_and_saveexec_b32 s0, s6
	s_cbranch_execz .LBB722_41
.LBB722_54:
	v_lshlrev_b32_e32 v30, 2, v36
	s_delay_alu instid0(VALU_DEP_1) | instskip(NEXT) | instid1(VALU_DEP_1)
	v_add_co_u32 v33, s1, s20, v30
	v_add_co_ci_u32_e64 v34, null, s21, 0, s1
	flat_load_b32 v53, v[33:34]
	s_or_b32 exec_lo, exec_lo, s0
                                        ; implicit-def: $vgpr54
	s_and_saveexec_b32 s0, s7
	s_cbranch_execnz .LBB722_42
.LBB722_55:
	s_or_b32 exec_lo, exec_lo, s0
                                        ; implicit-def: $vgpr55
	s_and_saveexec_b32 s0, s8
	s_cbranch_execz .LBB722_43
.LBB722_56:
	v_lshlrev_b32_e32 v30, 2, v41
	s_delay_alu instid0(VALU_DEP_1) | instskip(NEXT) | instid1(VALU_DEP_1)
	v_add_co_u32 v33, s1, s20, v30
	v_add_co_ci_u32_e64 v34, null, s21, 0, s1
	flat_load_b32 v55, v[33:34]
	s_or_b32 exec_lo, exec_lo, s0
                                        ; implicit-def: $vgpr56
	s_and_saveexec_b32 s0, s9
	s_cbranch_execnz .LBB722_44
.LBB722_57:
	s_or_b32 exec_lo, exec_lo, s0
                                        ; implicit-def: $vgpr57
	s_and_saveexec_b32 s0, s10
	s_cbranch_execz .LBB722_45
.LBB722_58:
	v_lshlrev_b32_e32 v30, 2, v43
	s_delay_alu instid0(VALU_DEP_1) | instskip(NEXT) | instid1(VALU_DEP_1)
	v_add_co_u32 v33, s1, s20, v30
	v_add_co_ci_u32_e64 v34, null, s21, 0, s1
	flat_load_b32 v57, v[33:34]
	s_or_b32 exec_lo, exec_lo, s0
                                        ; implicit-def: $vgpr58
	s_and_saveexec_b32 s0, s11
	s_cbranch_execnz .LBB722_46
.LBB722_59:
	s_or_b32 exec_lo, exec_lo, s0
                                        ; implicit-def: $vgpr59
	s_and_saveexec_b32 s0, s12
	s_cbranch_execz .LBB722_61
.LBB722_60:
	v_lshlrev_b32_e32 v30, 2, v45
	s_delay_alu instid0(VALU_DEP_1) | instskip(NEXT) | instid1(VALU_DEP_1)
	v_add_co_u32 v33, s1, s20, v30
	v_add_co_ci_u32_e64 v34, null, s21, 0, s1
	flat_load_b32 v59, v[33:34]
.LBB722_61:
	s_or_b32 exec_lo, exec_lo, s0
	v_mul_u32_u24_e32 v30, 15, v0
                                        ; implicit-def: $vgpr60
	s_and_saveexec_b32 s0, s13
	s_cbranch_execz .LBB722_63
; %bb.62:
	v_lshlrev_b32_e32 v33, 2, v46
	s_delay_alu instid0(VALU_DEP_1) | instskip(NEXT) | instid1(VALU_DEP_1)
	v_add_co_u32 v33, s1, s20, v33
	v_add_co_ci_u32_e64 v34, null, s21, 0, s1
	flat_load_b32 v60, v[33:34]
.LBB722_63:
	s_or_b32 exec_lo, exec_lo, s0
	s_delay_alu instid0(VALU_DEP_1)
	v_add_nc_u32_e32 v34, 1, v30
	v_add_nc_u32_e32 v33, 2, v30
	;; [unrolled: 1-line block ×10, first 2 shown]
	v_mad_i32_i24 v61, 0xffffff8c, v0, v31
	v_add_nc_u32_e32 v50, 11, v30
	v_add_nc_u32_e32 v49, 12, v30
	;; [unrolled: 1-line block ×4, first 2 shown]
	s_waitcnt vmcnt(0) lgkmcnt(0)
	ds_store_2addr_stride64_b32 v61, v29, v32 offset1:4
	ds_store_2addr_stride64_b32 v61, v39, v47 offset0:8 offset1:12
	ds_store_2addr_stride64_b32 v61, v48, v51 offset0:16 offset1:20
	;; [unrolled: 1-line block ×6, first 2 shown]
	ds_store_b32 v61, v60 offset:14336
	s_waitcnt lgkmcnt(0)
	s_barrier
.LBB722_64:
	v_lshlrev_b32_e32 v29, 2, v30
	v_lshlrev_b32_e32 v30, 2, v34
	;; [unrolled: 1-line block ×5, first 2 shown]
	buffer_gl0_inv
	v_lshlrev_b32_e32 v35, 2, v42
	v_lshlrev_b32_e32 v36, 2, v40
	;; [unrolled: 1-line block ×3, first 2 shown]
	ds_load_b32 v92, v29
	ds_load_b32 v91, v30
	;; [unrolled: 1-line block ×8, first 2 shown]
	v_lshlrev_b32_e32 v29, 2, v41
	v_lshlrev_b32_e32 v30, 2, v45
	;; [unrolled: 1-line block ×7, first 2 shown]
	ds_load_b32 v88, v29
	ds_load_b32 v85, v30
	;; [unrolled: 1-line block ×7, first 2 shown]
	s_cmp_eq_u64 s[16:17], 0
	s_waitcnt lgkmcnt(0)
	s_cselect_b32 s40, -1, 0
	s_cmp_lg_u64 s[16:17], 0
	s_barrier
	s_cselect_b32 s20, -1, 0
	s_and_b32 vcc_lo, exec_lo, s19
	buffer_gl0_inv
	s_cbranch_vccz .LBB722_70
; %bb.65:
	s_and_b32 vcc_lo, exec_lo, s20
	s_cbranch_vccz .LBB722_135
; %bb.66:
	v_add_co_u32 v29, s0, -8, s18
	s_delay_alu instid0(VALU_DEP_1)
	v_add_co_ci_u32_e64 v30, null, -1, s14, s0
	v_cmp_ne_u64_e64 s0, v[3:4], v[37:38]
	v_cmp_ne_u64_e64 s1, v[1:2], v[3:4]
	v_cmp_ne_u64_e64 s2, v[7:8], v[1:2]
	flat_load_b64 v[29:30], v[29:30]
	v_cmp_ne_u64_e64 s3, v[5:6], v[7:8]
	v_cmp_ne_u64_e64 s4, v[11:12], v[5:6]
	;; [unrolled: 1-line block ×10, first 2 shown]
	v_cmp_ne_u64_e32 vcc_lo, v[25:26], v[27:28]
	v_lshlrev_b32_e32 v31, 3, v0
	s_mov_b32 s41, -1
	s_mov_b32 s19, 0
	s_mov_b32 s21, exec_lo
	ds_store_b64 v31, v[37:38]
	s_waitcnt vmcnt(0) lgkmcnt(0)
	s_barrier
	buffer_gl0_inv
	v_cmpx_ne_u32_e32 0, v0
	s_cbranch_execz .LBB722_68
; %bb.67:
	v_add_nc_u32_e32 v29, -8, v31
	ds_load_b64 v[29:30], v29
.LBB722_68:
	s_or_b32 exec_lo, exec_lo, s21
	v_cndmask_b32_e64 v73, 0, 1, s0
	v_cndmask_b32_e64 v67, 0, 1, s1
	;; [unrolled: 1-line block ×13, first 2 shown]
	s_waitcnt lgkmcnt(0)
	v_cmp_ne_u64_e64 s0, v[29:30], v[25:26]
	v_cndmask_b32_e64 v80, 0, 1, vcc_lo
	s_and_b32 vcc_lo, exec_lo, s19
	s_cbranch_vccnz .LBB722_136
.LBB722_69:
                                        ; implicit-def: $sgpr1
	s_branch .LBB722_71
.LBB722_70:
	s_mov_b32 s41, 0
                                        ; implicit-def: $sgpr0
                                        ; implicit-def: $vgpr73
                                        ; implicit-def: $vgpr67
                                        ; implicit-def: $vgpr68
                                        ; implicit-def: $vgpr69
                                        ; implicit-def: $vgpr70
                                        ; implicit-def: $vgpr71
                                        ; implicit-def: $vgpr72
                                        ; implicit-def: $vgpr74
                                        ; implicit-def: $vgpr75
                                        ; implicit-def: $vgpr76
                                        ; implicit-def: $vgpr77
                                        ; implicit-def: $vgpr78
                                        ; implicit-def: $vgpr79
                                        ; implicit-def: $vgpr80
                                        ; implicit-def: $sgpr1
	s_cbranch_execnz .LBB722_139
.LBB722_71:
	v_mov_b32_e32 v93, s1
	s_and_saveexec_b32 s1, s41
.LBB722_72:
	v_cndmask_b32_e64 v93, 0, 1, s0
.LBB722_73:
	s_or_b32 exec_lo, exec_lo, s1
	s_delay_alu instid0(VALU_DEP_1)
	v_add3_u32 v29, v80, v93, v79
	v_cmp_eq_u32_e64 s12, 0, v80
	v_cmp_eq_u32_e64 s11, 0, v79
	;; [unrolled: 1-line block ×4, first 2 shown]
	v_add3_u32 v99, v29, v78, v77
	v_cmp_eq_u32_e64 s8, 0, v76
	v_cmp_eq_u32_e64 s7, 0, v75
	;; [unrolled: 1-line block ×9, first 2 shown]
	v_cmp_eq_u32_e32 vcc_lo, 0, v73
	v_mbcnt_lo_u32_b32 v96, -1, 0
	v_lshrrev_b32_e32 v97, 5, v0
	v_or_b32_e32 v98, 31, v0
	s_cmp_eq_u64 s[38:39], 0
	s_cselect_b32 s16, -1, 0
	s_cmp_lg_u32 s15, 0
	s_cbranch_scc0 .LBB722_104
; %bb.74:
	v_cndmask_b32_e64 v29, 0, v92, s12
	v_add3_u32 v30, v99, v76, v75
	v_and_b32_e32 v32, 15, v96
	s_delay_alu instid0(VALU_DEP_3) | instskip(NEXT) | instid1(VALU_DEP_3)
	v_add_nc_u32_e32 v29, v29, v91
	v_add3_u32 v30, v30, v74, v72
	s_delay_alu instid0(VALU_DEP_3) | instskip(NEXT) | instid1(VALU_DEP_3)
	v_cmp_lt_u32_e64 s13, 1, v32
	v_cndmask_b32_e64 v29, 0, v29, s11
	s_delay_alu instid0(VALU_DEP_3) | instskip(NEXT) | instid1(VALU_DEP_2)
	v_add3_u32 v30, v30, v71, v70
	v_add_nc_u32_e32 v29, v29, v90
	s_delay_alu instid0(VALU_DEP_2) | instskip(NEXT) | instid1(VALU_DEP_2)
	v_add3_u32 v30, v30, v69, v68
	v_cndmask_b32_e64 v29, 0, v29, s10
	s_delay_alu instid0(VALU_DEP_2) | instskip(NEXT) | instid1(VALU_DEP_2)
	v_add3_u32 v30, v30, v67, v73
	v_add_nc_u32_e32 v29, v29, v89
	s_delay_alu instid0(VALU_DEP_2) | instskip(NEXT) | instid1(VALU_DEP_2)
	v_mov_b32_dpp v33, v30 row_shr:1 row_mask:0xf bank_mask:0xf
	v_cndmask_b32_e64 v29, 0, v29, s9
	s_delay_alu instid0(VALU_DEP_1) | instskip(NEXT) | instid1(VALU_DEP_1)
	v_add_nc_u32_e32 v29, v29, v87
	v_cndmask_b32_e64 v29, 0, v29, s8
	s_delay_alu instid0(VALU_DEP_1) | instskip(NEXT) | instid1(VALU_DEP_1)
	v_add_nc_u32_e32 v29, v29, v86
	;; [unrolled: 3-line block ×10, first 2 shown]
	v_cndmask_b32_e32 v29, 0, v29, vcc_lo
	v_cmp_eq_u32_e32 vcc_lo, 0, v30
	s_delay_alu instid0(VALU_DEP_2) | instskip(NEXT) | instid1(VALU_DEP_1)
	v_add_nc_u32_e32 v29, v29, v94
	v_mov_b32_dpp v31, v29 row_shr:1 row_mask:0xf bank_mask:0xf
	s_delay_alu instid0(VALU_DEP_1) | instskip(SKIP_2) | instid1(VALU_DEP_1)
	v_cndmask_b32_e32 v31, 0, v31, vcc_lo
	v_cmp_eq_u32_e32 vcc_lo, 0, v32
	v_cndmask_b32_e64 v33, v33, 0, vcc_lo
	v_add_nc_u32_e32 v30, v33, v30
	s_delay_alu instid0(VALU_DEP_4) | instskip(NEXT) | instid1(VALU_DEP_2)
	v_cndmask_b32_e64 v31, v31, 0, vcc_lo
	v_cmp_eq_u32_e32 vcc_lo, 0, v30
	s_delay_alu instid0(VALU_DEP_2) | instskip(SKIP_2) | instid1(VALU_DEP_2)
	v_add_nc_u32_e32 v29, v31, v29
	v_mov_b32_dpp v31, v30 row_shr:2 row_mask:0xf bank_mask:0xf
	s_and_b32 vcc_lo, s13, vcc_lo
	v_mov_b32_dpp v33, v29 row_shr:2 row_mask:0xf bank_mask:0xf
	s_delay_alu instid0(VALU_DEP_2) | instskip(SKIP_1) | instid1(VALU_DEP_2)
	v_cndmask_b32_e64 v31, 0, v31, s13
	v_cmp_lt_u32_e64 s13, 3, v32
	v_dual_cndmask_b32 v33, 0, v33 :: v_dual_add_nc_u32 v30, v30, v31
	s_delay_alu instid0(VALU_DEP_1) | instskip(NEXT) | instid1(VALU_DEP_2)
	v_add_nc_u32_e32 v29, v33, v29
	v_mov_b32_dpp v31, v30 row_shr:4 row_mask:0xf bank_mask:0xf
	v_cmp_eq_u32_e32 vcc_lo, 0, v30
	s_delay_alu instid0(VALU_DEP_3) | instskip(NEXT) | instid1(VALU_DEP_3)
	v_mov_b32_dpp v33, v29 row_shr:4 row_mask:0xf bank_mask:0xf
	v_cndmask_b32_e64 v31, 0, v31, s13
	s_and_b32 vcc_lo, s13, vcc_lo
	v_cmp_lt_u32_e64 s13, 7, v32
	s_delay_alu instid0(VALU_DEP_2) | instskip(NEXT) | instid1(VALU_DEP_1)
	v_dual_cndmask_b32 v33, 0, v33 :: v_dual_add_nc_u32 v30, v31, v30
	v_add_nc_u32_e32 v29, v29, v33
	s_delay_alu instid0(VALU_DEP_2) | instskip(SKIP_2) | instid1(VALU_DEP_4)
	v_cmp_eq_u32_e32 vcc_lo, 0, v30
	v_mov_b32_dpp v31, v30 row_shr:8 row_mask:0xf bank_mask:0xf
	v_bfe_i32 v33, v96, 4, 1
	v_mov_b32_dpp v32, v29 row_shr:8 row_mask:0xf bank_mask:0xf
	s_and_b32 vcc_lo, s13, vcc_lo
	s_delay_alu instid0(VALU_DEP_3) | instskip(SKIP_1) | instid1(VALU_DEP_2)
	v_cndmask_b32_e64 v31, 0, v31, s13
	s_mov_b32 s13, exec_lo
	v_cndmask_b32_e32 v32, 0, v32, vcc_lo
	s_delay_alu instid0(VALU_DEP_1) | instskip(NEXT) | instid1(VALU_DEP_3)
	v_add_nc_u32_e32 v32, v32, v29
	v_add_nc_u32_e32 v29, v31, v30
	ds_swizzle_b32 v30, v32 offset:swizzle(BROADCAST,32,15)
	ds_swizzle_b32 v31, v29 offset:swizzle(BROADCAST,32,15)
	v_cmp_eq_u32_e32 vcc_lo, 0, v29
	s_waitcnt lgkmcnt(0)
	v_dual_cndmask_b32 v30, 0, v30 :: v_dual_and_b32 v31, v33, v31
	s_delay_alu instid0(VALU_DEP_1) | instskip(NEXT) | instid1(VALU_DEP_2)
	v_and_b32_e32 v30, v33, v30
	v_add_nc_u32_e32 v29, v31, v29
	v_lshlrev_b32_e32 v31, 3, v97
	s_delay_alu instid0(VALU_DEP_3)
	v_add_nc_u32_e32 v30, v30, v32
	v_cmpx_eq_u32_e64 v98, v0
	s_cbranch_execz .LBB722_76
; %bb.75:
	ds_store_b64 v31, v[29:30] offset:4112
.LBB722_76:
	s_or_b32 exec_lo, exec_lo, s13
	s_delay_alu instid0(SALU_CYCLE_1)
	s_mov_b32 s14, exec_lo
	s_waitcnt lgkmcnt(0)
	s_barrier
	buffer_gl0_inv
	v_cmpx_gt_u32_e32 8, v0
	s_cbranch_execz .LBB722_78
; %bb.77:
	v_lshlrev_b32_e32 v34, 3, v0
	v_and_b32_e32 v36, 7, v96
	ds_load_b64 v[32:33], v34 offset:4112
	v_cmp_lt_u32_e64 s13, 1, v36
	s_waitcnt lgkmcnt(0)
	v_mov_b32_dpp v35, v33 row_shr:1 row_mask:0xf bank_mask:0xf
	v_cmp_eq_u32_e32 vcc_lo, 0, v32
	v_mov_b32_dpp v39, v32 row_shr:1 row_mask:0xf bank_mask:0xf
	s_delay_alu instid0(VALU_DEP_3) | instskip(SKIP_1) | instid1(VALU_DEP_3)
	v_cndmask_b32_e32 v35, 0, v35, vcc_lo
	v_cmp_eq_u32_e32 vcc_lo, 0, v36
	v_cndmask_b32_e64 v39, v39, 0, vcc_lo
	s_delay_alu instid0(VALU_DEP_3) | instskip(NEXT) | instid1(VALU_DEP_2)
	v_cndmask_b32_e64 v35, v35, 0, vcc_lo
	v_add_nc_u32_e32 v32, v39, v32
	s_delay_alu instid0(VALU_DEP_2) | instskip(NEXT) | instid1(VALU_DEP_2)
	v_add_nc_u32_e32 v33, v35, v33
	v_mov_b32_dpp v35, v32 row_shr:2 row_mask:0xf bank_mask:0xf
	v_cmp_eq_u32_e32 vcc_lo, 0, v32
	s_delay_alu instid0(VALU_DEP_3) | instskip(NEXT) | instid1(VALU_DEP_3)
	v_mov_b32_dpp v39, v33 row_shr:2 row_mask:0xf bank_mask:0xf
	v_cndmask_b32_e64 v35, 0, v35, s13
	s_and_b32 vcc_lo, s13, vcc_lo
	s_delay_alu instid0(VALU_DEP_2) | instskip(SKIP_1) | instid1(VALU_DEP_3)
	v_cndmask_b32_e32 v39, 0, v39, vcc_lo
	v_cmp_lt_u32_e64 s13, 3, v36
	v_add_nc_u32_e32 v32, v35, v32
	s_delay_alu instid0(VALU_DEP_3) | instskip(NEXT) | instid1(VALU_DEP_2)
	v_add_nc_u32_e32 v33, v39, v33
	v_cmp_eq_u32_e32 vcc_lo, 0, v32
	v_mov_b32_dpp v35, v32 row_shr:4 row_mask:0xf bank_mask:0xf
	s_delay_alu instid0(VALU_DEP_3) | instskip(SKIP_1) | instid1(VALU_DEP_2)
	v_mov_b32_dpp v36, v33 row_shr:4 row_mask:0xf bank_mask:0xf
	s_and_b32 vcc_lo, s13, vcc_lo
	v_cndmask_b32_e64 v35, 0, v35, s13
	s_delay_alu instid0(VALU_DEP_2) | instskip(NEXT) | instid1(VALU_DEP_2)
	v_cndmask_b32_e32 v36, 0, v36, vcc_lo
	v_add_nc_u32_e32 v32, v35, v32
	s_delay_alu instid0(VALU_DEP_2)
	v_add_nc_u32_e32 v33, v36, v33
	ds_store_b64 v34, v[32:33] offset:4112
.LBB722_78:
	s_or_b32 exec_lo, exec_lo, s14
	v_cmp_gt_u32_e32 vcc_lo, 32, v0
	v_dual_mov_b32 v39, 0 :: v_dual_mov_b32 v40, 0
	s_mov_b32 s14, exec_lo
	s_waitcnt lgkmcnt(0)
	s_barrier
	buffer_gl0_inv
	v_cmpx_lt_u32_e32 31, v0
	s_cbranch_execz .LBB722_80
; %bb.79:
	ds_load_b64 v[39:40], v31 offset:4104
	v_cmp_eq_u32_e64 s13, 0, v29
	s_waitcnt lgkmcnt(0)
	s_delay_alu instid0(VALU_DEP_1) | instskip(SKIP_1) | instid1(VALU_DEP_2)
	v_cndmask_b32_e64 v31, 0, v40, s13
	v_add_nc_u32_e32 v29, v39, v29
	v_add_nc_u32_e32 v30, v31, v30
.LBB722_80:
	s_or_b32 exec_lo, exec_lo, s14
	v_add_nc_u32_e32 v31, -1, v96
	s_delay_alu instid0(VALU_DEP_1) | instskip(NEXT) | instid1(VALU_DEP_1)
	v_cmp_gt_i32_e64 s13, 0, v31
	v_cndmask_b32_e64 v31, v31, v96, s13
	v_cmp_eq_u32_e64 s13, 0, v96
	s_delay_alu instid0(VALU_DEP_2)
	v_lshlrev_b32_e32 v31, 2, v31
	ds_bpermute_b32 v45, v31, v29
	ds_bpermute_b32 v46, v31, v30
	s_and_saveexec_b32 s17, vcc_lo
	s_cbranch_execz .LBB722_103
; %bb.81:
	v_mov_b32_e32 v32, 0
	ds_load_b64 v[29:30], v32 offset:4168
	s_waitcnt lgkmcnt(0)
	v_readfirstlane_b32 s18, v30
	s_and_saveexec_b32 s14, s13
	s_cbranch_execz .LBB722_83
; %bb.82:
	s_add_i32 s20, s15, 32
	s_mov_b32 s21, 0
	v_mov_b32_e32 v31, 1
	s_lshl_b64 s[24:25], s[20:21], 4
	s_mov_b32 s38, s21
	s_add_u32 s24, s36, s24
	s_addc_u32 s25, s37, s25
	s_and_b32 s39, s18, 0xff000000
	s_and_b32 s43, s18, 0xff0000
	s_mov_b32 s42, s21
	v_dual_mov_b32 v34, s25 :: v_dual_mov_b32 v33, s24
	s_or_b64 s[38:39], s[42:43], s[38:39]
	s_and_b32 s43, s18, 0xff00
	s_delay_alu instid0(SALU_CYCLE_1) | instskip(SKIP_1) | instid1(SALU_CYCLE_1)
	s_or_b64 s[38:39], s[38:39], s[42:43]
	s_and_b32 s43, s18, 0xff
	s_or_b64 s[20:21], s[38:39], s[42:43]
	s_delay_alu instid0(SALU_CYCLE_1)
	v_mov_b32_e32 v30, s21
	;;#ASMSTART
	global_store_dwordx4 v[33:34], v[29:32] off	
s_waitcnt vmcnt(0)
	;;#ASMEND
.LBB722_83:
	s_or_b32 exec_lo, exec_lo, s14
	v_xad_u32 v41, v96, -1, s15
	s_mov_b32 s19, 0
	s_mov_b32 s14, exec_lo
	s_delay_alu instid0(VALU_DEP_1) | instskip(NEXT) | instid1(VALU_DEP_1)
	v_add_nc_u32_e32 v31, 32, v41
	v_lshlrev_b64 v[30:31], 4, v[31:32]
	s_delay_alu instid0(VALU_DEP_1) | instskip(NEXT) | instid1(VALU_DEP_2)
	v_add_co_u32 v30, vcc_lo, s36, v30
	v_add_co_ci_u32_e32 v31, vcc_lo, s37, v31, vcc_lo
	;;#ASMSTART
	global_load_dwordx4 v[33:36], v[30:31] off glc	
s_waitcnt vmcnt(0)
	;;#ASMEND
	v_and_b32_e32 v32, 0xff, v34
	v_and_b32_e32 v36, 0xff00, v34
	;; [unrolled: 1-line block ×3, first 2 shown]
	v_or3_b32 v33, v33, 0, 0
	v_and_b32_e32 v34, 0xff000000, v34
	s_delay_alu instid0(VALU_DEP_4) | instskip(SKIP_1) | instid1(VALU_DEP_4)
	v_or3_b32 v32, 0, v32, v36
	v_and_b32_e32 v36, 0xff, v35
	v_or3_b32 v33, v33, 0, 0
	s_delay_alu instid0(VALU_DEP_3) | instskip(NEXT) | instid1(VALU_DEP_3)
	v_or3_b32 v34, v32, v42, v34
	v_cmpx_eq_u16_e32 0, v36
	s_cbranch_execz .LBB722_89
; %bb.84:
	s_mov_b32 s20, 1
	.p2align	6
.LBB722_85:                             ; =>This Loop Header: Depth=1
                                        ;     Child Loop BB722_86 Depth 2
	s_delay_alu instid0(SALU_CYCLE_1)
	s_max_u32 s21, s20, 1
.LBB722_86:                             ;   Parent Loop BB722_85 Depth=1
                                        ; =>  This Inner Loop Header: Depth=2
	s_delay_alu instid0(SALU_CYCLE_1)
	s_add_i32 s21, s21, -1
	s_sleep 1
	s_cmp_eq_u32 s21, 0
	s_cbranch_scc0 .LBB722_86
; %bb.87:                               ;   in Loop: Header=BB722_85 Depth=1
	;;#ASMSTART
	global_load_dwordx4 v[33:36], v[30:31] off glc	
s_waitcnt vmcnt(0)
	;;#ASMEND
	v_and_b32_e32 v32, 0xff, v35
	s_cmp_lt_u32 s20, 32
	s_cselect_b32 s21, -1, 0
	s_delay_alu instid0(VALU_DEP_1) | instskip(SKIP_3) | instid1(SALU_CYCLE_1)
	v_cmp_ne_u16_e32 vcc_lo, 0, v32
	s_cmp_lg_u32 s21, 0
	s_addc_u32 s20, s20, 0
	s_or_b32 s19, vcc_lo, s19
	s_and_not1_b32 exec_lo, exec_lo, s19
	s_cbranch_execnz .LBB722_85
; %bb.88:
	s_or_b32 exec_lo, exec_lo, s19
.LBB722_89:
	s_delay_alu instid0(SALU_CYCLE_1)
	s_or_b32 exec_lo, exec_lo, s14
	v_cmp_ne_u32_e32 vcc_lo, 31, v96
	v_and_b32_e32 v31, 0xff, v35
	v_lshlrev_b32_e64 v47, v96, -1
	v_add_nc_u32_e32 v49, 2, v96
	v_add_nc_u32_e32 v51, 4, v96
	v_add_co_ci_u32_e32 v30, vcc_lo, 0, v96, vcc_lo
	v_cmp_eq_u16_e32 vcc_lo, 2, v31
	v_add_nc_u32_e32 v53, 8, v96
	v_add_nc_u32_e32 v55, 16, v96
	v_and_or_b32 v36, vcc_lo, v47, 0x80000000
	v_cmp_gt_u32_e32 vcc_lo, 30, v96
	s_delay_alu instid0(VALU_DEP_2) | instskip(SKIP_2) | instid1(VALU_DEP_3)
	v_ctz_i32_b32_e32 v36, v36
	v_cndmask_b32_e64 v42, 0, 1, vcc_lo
	v_cmp_eq_u32_e32 vcc_lo, 0, v33
	v_cmp_lt_u32_e64 s14, v96, v36
	s_delay_alu instid0(VALU_DEP_3) | instskip(NEXT) | instid1(VALU_DEP_2)
	v_lshlrev_b32_e32 v42, 1, v42
	s_and_b32 vcc_lo, s14, vcc_lo
	v_lshlrev_b32_e32 v30, 2, v30
	s_delay_alu instid0(VALU_DEP_2)
	v_add_lshl_u32 v48, v42, v96, 2
	ds_bpermute_b32 v31, v30, v34
	s_waitcnt lgkmcnt(0)
	v_cndmask_b32_e32 v31, 0, v31, vcc_lo
	ds_bpermute_b32 v32, v30, v33
	v_cmp_gt_u32_e32 vcc_lo, 28, v96
	v_add_nc_u32_e32 v31, v31, v34
	ds_bpermute_b32 v34, v48, v31
	s_waitcnt lgkmcnt(1)
	v_cndmask_b32_e64 v32, 0, v32, s14
	s_delay_alu instid0(VALU_DEP_1) | instskip(SKIP_1) | instid1(VALU_DEP_2)
	v_add_nc_u32_e32 v32, v32, v33
	v_cndmask_b32_e64 v33, 0, 1, vcc_lo
	v_cmp_eq_u32_e32 vcc_lo, 0, v32
	ds_bpermute_b32 v42, v48, v32
	s_waitcnt lgkmcnt(1)
	v_dual_cndmask_b32 v34, 0, v34 :: v_dual_lshlrev_b32 v33, 2, v33
	v_cmp_gt_u32_e32 vcc_lo, v49, v36
	s_delay_alu instid0(VALU_DEP_2) | instskip(NEXT) | instid1(VALU_DEP_3)
	v_add_lshl_u32 v50, v33, v96, 2
	v_cndmask_b32_e64 v34, v34, 0, vcc_lo
	s_delay_alu instid0(VALU_DEP_1) | instskip(SKIP_4) | instid1(VALU_DEP_2)
	v_add_nc_u32_e32 v31, v34, v31
	ds_bpermute_b32 v33, v50, v31
	s_waitcnt lgkmcnt(1)
	v_cndmask_b32_e64 v34, v42, 0, vcc_lo
	v_cmp_gt_u32_e32 vcc_lo, 24, v96
	v_add_nc_u32_e32 v32, v32, v34
	v_cndmask_b32_e64 v42, 0, 1, vcc_lo
	ds_bpermute_b32 v34, v50, v32
	v_cmp_eq_u32_e32 vcc_lo, 0, v32
	v_lshlrev_b32_e32 v42, 3, v42
	s_delay_alu instid0(VALU_DEP_1) | instskip(SKIP_3) | instid1(VALU_DEP_2)
	v_add_lshl_u32 v52, v42, v96, 2
	s_waitcnt lgkmcnt(1)
	v_cndmask_b32_e32 v33, 0, v33, vcc_lo
	v_cmp_gt_u32_e32 vcc_lo, v51, v36
	v_cndmask_b32_e64 v33, v33, 0, vcc_lo
	s_delay_alu instid0(VALU_DEP_1)
	v_add_nc_u32_e32 v31, v31, v33
	s_waitcnt lgkmcnt(0)
	v_cndmask_b32_e64 v34, v34, 0, vcc_lo
	v_cmp_gt_u32_e32 vcc_lo, 16, v96
	ds_bpermute_b32 v33, v52, v31
	v_add_nc_u32_e32 v32, v32, v34
	v_cndmask_b32_e64 v42, 0, 1, vcc_lo
	ds_bpermute_b32 v34, v52, v32
	v_cmp_eq_u32_e32 vcc_lo, 0, v32
	v_lshlrev_b32_e32 v42, 4, v42
	s_delay_alu instid0(VALU_DEP_1) | instskip(SKIP_3) | instid1(VALU_DEP_2)
	v_add_lshl_u32 v54, v42, v96, 2
	s_waitcnt lgkmcnt(1)
	v_dual_mov_b32 v42, 0 :: v_dual_cndmask_b32 v33, 0, v33
	v_cmp_gt_u32_e32 vcc_lo, v53, v36
	v_cndmask_b32_e64 v33, v33, 0, vcc_lo
	s_delay_alu instid0(VALU_DEP_1)
	v_add_nc_u32_e32 v31, v31, v33
	s_waitcnt lgkmcnt(0)
	v_cndmask_b32_e64 v33, v34, 0, vcc_lo
	ds_bpermute_b32 v34, v54, v31
	v_add_nc_u32_e32 v32, v32, v33
	ds_bpermute_b32 v33, v54, v32
	v_cmp_eq_u32_e32 vcc_lo, 0, v32
	s_waitcnt lgkmcnt(1)
	v_cndmask_b32_e32 v34, 0, v34, vcc_lo
	v_cmp_gt_u32_e32 vcc_lo, v55, v36
	s_delay_alu instid0(VALU_DEP_2) | instskip(SKIP_2) | instid1(VALU_DEP_2)
	v_cndmask_b32_e64 v34, v34, 0, vcc_lo
	s_waitcnt lgkmcnt(0)
	v_cndmask_b32_e64 v33, v33, 0, vcc_lo
	v_add_nc_u32_e32 v34, v34, v31
	s_delay_alu instid0(VALU_DEP_2)
	v_add_nc_u32_e32 v33, v33, v32
	s_branch .LBB722_91
.LBB722_90:                             ;   in Loop: Header=BB722_91 Depth=1
	s_or_b32 exec_lo, exec_lo, s14
	v_and_b32_e32 v36, 0xff, v35
	ds_bpermute_b32 v43, v30, v33
	v_subrev_nc_u32_e32 v41, 32, v41
	v_cmp_eq_u16_e32 vcc_lo, 2, v36
	ds_bpermute_b32 v36, v30, v34
	v_and_or_b32 v44, vcc_lo, v47, 0x80000000
	v_cmp_eq_u32_e32 vcc_lo, 0, v33
	s_delay_alu instid0(VALU_DEP_2) | instskip(NEXT) | instid1(VALU_DEP_1)
	v_ctz_i32_b32_e32 v44, v44
	v_cmp_lt_u32_e64 s14, v96, v44
	s_delay_alu instid0(VALU_DEP_1) | instskip(SKIP_4) | instid1(VALU_DEP_2)
	s_and_b32 vcc_lo, s14, vcc_lo
	s_waitcnt lgkmcnt(1)
	v_cndmask_b32_e64 v43, 0, v43, s14
	s_waitcnt lgkmcnt(0)
	v_cndmask_b32_e32 v36, 0, v36, vcc_lo
	v_add_nc_u32_e32 v33, v43, v33
	s_delay_alu instid0(VALU_DEP_2)
	v_add_nc_u32_e32 v34, v36, v34
	ds_bpermute_b32 v43, v48, v33
	ds_bpermute_b32 v36, v48, v34
	v_cmp_eq_u32_e32 vcc_lo, 0, v33
	s_waitcnt lgkmcnt(0)
	v_cndmask_b32_e32 v36, 0, v36, vcc_lo
	v_cmp_gt_u32_e32 vcc_lo, v49, v44
	v_cndmask_b32_e64 v43, v43, 0, vcc_lo
	s_delay_alu instid0(VALU_DEP_1) | instskip(NEXT) | instid1(VALU_DEP_4)
	v_add_nc_u32_e32 v33, v33, v43
	v_cndmask_b32_e64 v36, v36, 0, vcc_lo
	ds_bpermute_b32 v43, v50, v33
	v_add_nc_u32_e32 v34, v36, v34
	v_cmp_eq_u32_e32 vcc_lo, 0, v33
	ds_bpermute_b32 v36, v50, v34
	s_waitcnt lgkmcnt(0)
	v_cndmask_b32_e32 v36, 0, v36, vcc_lo
	v_cmp_gt_u32_e32 vcc_lo, v51, v44
	v_cndmask_b32_e64 v43, v43, 0, vcc_lo
	s_delay_alu instid0(VALU_DEP_1) | instskip(NEXT) | instid1(VALU_DEP_4)
	v_add_nc_u32_e32 v33, v33, v43
	v_cndmask_b32_e64 v36, v36, 0, vcc_lo
	ds_bpermute_b32 v43, v52, v33
	v_add_nc_u32_e32 v34, v34, v36
	v_cmp_eq_u32_e32 vcc_lo, 0, v33
	ds_bpermute_b32 v36, v52, v34
	;; [unrolled: 11-line block ×3, first 2 shown]
	s_waitcnt lgkmcnt(0)
	v_cndmask_b32_e32 v36, 0, v36, vcc_lo
	v_cmp_gt_u32_e32 vcc_lo, v55, v44
	s_delay_alu instid0(VALU_DEP_2) | instskip(NEXT) | instid1(VALU_DEP_1)
	v_cndmask_b32_e64 v36, v36, 0, vcc_lo
	v_add_nc_u32_e32 v34, v36, v34
	v_cndmask_b32_e64 v36, v43, 0, vcc_lo
	v_cmp_eq_u32_e32 vcc_lo, 0, v31
	s_delay_alu instid0(VALU_DEP_2) | instskip(NEXT) | instid1(VALU_DEP_4)
	v_add3_u32 v33, v33, v31, v36
	v_cndmask_b32_e32 v34, 0, v34, vcc_lo
	s_delay_alu instid0(VALU_DEP_1)
	v_add_nc_u32_e32 v34, v34, v32
.LBB722_91:                             ; =>This Loop Header: Depth=1
                                        ;     Child Loop BB722_94 Depth 2
                                        ;       Child Loop BB722_95 Depth 3
	s_delay_alu instid0(VALU_DEP_1) | instskip(NEXT) | instid1(VALU_DEP_1)
	v_dual_mov_b32 v32, v34 :: v_dual_and_b32 v31, 0xff, v35
	v_cmp_ne_u16_e32 vcc_lo, 2, v31
	v_cndmask_b32_e64 v31, 0, 1, vcc_lo
	;;#ASMSTART
	;;#ASMEND
	s_delay_alu instid0(VALU_DEP_1)
	v_cmp_ne_u32_e32 vcc_lo, 0, v31
	v_mov_b32_e32 v31, v33
	s_cmp_lg_u32 vcc_lo, exec_lo
	s_cbranch_scc1 .LBB722_98
; %bb.92:                               ;   in Loop: Header=BB722_91 Depth=1
	v_lshlrev_b64 v[33:34], 4, v[41:42]
	s_mov_b32 s14, exec_lo
	s_delay_alu instid0(VALU_DEP_1) | instskip(NEXT) | instid1(VALU_DEP_2)
	v_add_co_u32 v43, vcc_lo, s36, v33
	v_add_co_ci_u32_e32 v44, vcc_lo, s37, v34, vcc_lo
	;;#ASMSTART
	global_load_dwordx4 v[33:36], v[43:44] off glc	
s_waitcnt vmcnt(0)
	;;#ASMEND
	v_and_b32_e32 v36, 0xff, v34
	v_and_b32_e32 v56, 0xff00, v34
	;; [unrolled: 1-line block ×3, first 2 shown]
	v_or3_b32 v33, v33, 0, 0
	v_and_b32_e32 v34, 0xff000000, v34
	s_delay_alu instid0(VALU_DEP_4) | instskip(SKIP_1) | instid1(VALU_DEP_4)
	v_or3_b32 v36, 0, v36, v56
	v_and_b32_e32 v56, 0xff, v35
	v_or3_b32 v33, v33, 0, 0
	s_delay_alu instid0(VALU_DEP_3) | instskip(NEXT) | instid1(VALU_DEP_3)
	v_or3_b32 v34, v36, v57, v34
	v_cmpx_eq_u16_e32 0, v56
	s_cbranch_execz .LBB722_90
; %bb.93:                               ;   in Loop: Header=BB722_91 Depth=1
	s_mov_b32 s20, 1
	s_mov_b32 s19, 0
	.p2align	6
.LBB722_94:                             ;   Parent Loop BB722_91 Depth=1
                                        ; =>  This Loop Header: Depth=2
                                        ;       Child Loop BB722_95 Depth 3
	s_max_u32 s21, s20, 1
.LBB722_95:                             ;   Parent Loop BB722_91 Depth=1
                                        ;     Parent Loop BB722_94 Depth=2
                                        ; =>    This Inner Loop Header: Depth=3
	s_delay_alu instid0(SALU_CYCLE_1)
	s_add_i32 s21, s21, -1
	s_sleep 1
	s_cmp_eq_u32 s21, 0
	s_cbranch_scc0 .LBB722_95
; %bb.96:                               ;   in Loop: Header=BB722_94 Depth=2
	;;#ASMSTART
	global_load_dwordx4 v[33:36], v[43:44] off glc	
s_waitcnt vmcnt(0)
	;;#ASMEND
	v_and_b32_e32 v36, 0xff, v35
	s_cmp_lt_u32 s20, 32
	s_cselect_b32 s21, -1, 0
	s_delay_alu instid0(SALU_CYCLE_1) | instskip(NEXT) | instid1(VALU_DEP_1)
	s_cmp_lg_u32 s21, 0
	v_cmp_ne_u16_e32 vcc_lo, 0, v36
	s_addc_u32 s20, s20, 0
	s_or_b32 s19, vcc_lo, s19
	s_delay_alu instid0(SALU_CYCLE_1)
	s_and_not1_b32 exec_lo, exec_lo, s19
	s_cbranch_execnz .LBB722_94
; %bb.97:                               ;   in Loop: Header=BB722_91 Depth=1
	s_or_b32 exec_lo, exec_lo, s19
	s_branch .LBB722_90
.LBB722_98:                             ;   in Loop: Header=BB722_91 Depth=1
                                        ; implicit-def: $vgpr34
                                        ; implicit-def: $vgpr33
                                        ; implicit-def: $vgpr35
	s_cbranch_execz .LBB722_91
; %bb.99:
	s_and_saveexec_b32 s14, s13
	s_cbranch_execz .LBB722_101
; %bb.100:
	v_cmp_eq_u32_e32 vcc_lo, 0, v29
	s_mov_b32 s21, 0
	s_add_i32 s20, s15, 32
	v_add_nc_u32_e32 v33, v31, v29
	s_lshl_b64 s[20:21], s[20:21], 4
	v_cndmask_b32_e32 v30, 0, v32, vcc_lo
	s_add_u32 s20, s36, s20
	s_addc_u32 s21, s37, s21
	v_mov_b32_e32 v36, 0
	s_delay_alu instid0(VALU_DEP_2) | instskip(NEXT) | instid1(VALU_DEP_1)
	v_add_nc_u32_e32 v30, s18, v30
	v_and_b32_e32 v34, 0xff000000, v30
	v_and_b32_e32 v35, 0xff0000, v30
	s_delay_alu instid0(VALU_DEP_1) | instskip(SKIP_3) | instid1(VALU_DEP_1)
	v_or_b32_e32 v34, v35, v34
	v_mov_b32_e32 v35, 2
	v_and_b32_e32 v41, 0xff00, v30
	v_and_b32_e32 v30, 0xff, v30
	v_or3_b32 v34, v34, v41, v30
	v_mov_b32_e32 v30, s18
	v_dual_mov_b32 v42, s21 :: v_dual_mov_b32 v41, s20
	;;#ASMSTART
	global_store_dwordx4 v[41:42], v[33:36] off	
s_waitcnt vmcnt(0)
	;;#ASMEND
	ds_store_b128 v36, v[29:32] offset:4096
.LBB722_101:
	s_or_b32 exec_lo, exec_lo, s14
	v_cmp_eq_u32_e32 vcc_lo, 0, v0
	s_and_b32 exec_lo, exec_lo, vcc_lo
	s_cbranch_execz .LBB722_103
; %bb.102:
	v_mov_b32_e32 v29, 0
	ds_store_b64 v29, v[31:32] offset:4168
.LBB722_103:
	s_or_b32 exec_lo, exec_lo, s17
	s_waitcnt lgkmcnt(1)
	v_cndmask_b32_e64 v32, v45, v39, s13
	s_waitcnt lgkmcnt(0)
	s_barrier
	buffer_gl0_inv
	v_cndmask_b32_e64 v33, v46, v40, s13
	v_cmp_eq_u32_e32 vcc_lo, 0, v32
	v_mov_b32_e32 v31, 0
	v_cmp_eq_u32_e64 s13, 0, v93
	ds_load_b64 v[29:30], v31 offset:4168
	s_waitcnt lgkmcnt(0)
	s_barrier
	buffer_gl0_inv
	v_cndmask_b32_e32 v34, 0, v30, vcc_lo
	v_cmp_eq_u32_e32 vcc_lo, 0, v0
	s_delay_alu instid0(VALU_DEP_2) | instskip(NEXT) | instid1(VALU_DEP_1)
	v_add_nc_u32_e32 v33, v34, v33
	v_cndmask_b32_e32 v56, v33, v30, vcc_lo
	s_delay_alu instid0(VALU_DEP_1) | instskip(NEXT) | instid1(VALU_DEP_1)
	v_cndmask_b32_e64 v30, 0, v56, s13
	v_add_nc_u32_e32 v62, v30, v92
	s_delay_alu instid0(VALU_DEP_1) | instskip(NEXT) | instid1(VALU_DEP_1)
	v_cndmask_b32_e64 v30, 0, v62, s12
	v_add_nc_u32_e32 v58, v30, v91
	;; [unrolled: 3-line block ×6, first 2 shown]
	v_cndmask_b32_e64 v30, v32, 0, vcc_lo
	s_delay_alu instid0(VALU_DEP_2) | instskip(NEXT) | instid1(VALU_DEP_2)
	v_cndmask_b32_e64 v32, 0, v42, s7
	v_add_nc_u32_e32 v55, v29, v30
	s_delay_alu instid0(VALU_DEP_2) | instskip(NEXT) | instid1(VALU_DEP_2)
	v_add_nc_u32_e32 v46, v32, v84
	v_add_nc_u32_e32 v61, v55, v93
	s_delay_alu instid0(VALU_DEP_2) | instskip(NEXT) | instid1(VALU_DEP_2)
	v_cndmask_b32_e64 v29, 0, v46, s6
	v_add_nc_u32_e32 v57, v61, v80
	s_delay_alu instid0(VALU_DEP_2) | instskip(NEXT) | instid1(VALU_DEP_2)
	v_add_nc_u32_e32 v50, v29, v82
	v_add_nc_u32_e32 v53, v57, v79
	;; [unrolled: 6-line block ×4, first 2 shown]
	s_delay_alu instid0(VALU_DEP_2) | instskip(NEXT) | instid1(VALU_DEP_2)
	v_cndmask_b32_e64 v29, 0, v36, s3
	v_add_nc_u32_e32 v49, v45, v74
	s_delay_alu instid0(VALU_DEP_2) | instskip(SKIP_3) | instid1(VALU_DEP_2)
	v_add_nc_u32_e32 v40, v29, v83
	ds_load_b128 v[29:32], v31 offset:4096
	v_add_nc_u32_e32 v33, v49, v72
	v_cndmask_b32_e64 v39, 0, v40, s2
	v_add_nc_u32_e32 v35, v33, v71
	s_delay_alu instid0(VALU_DEP_2) | instskip(NEXT) | instid1(VALU_DEP_2)
	v_add_nc_u32_e32 v64, v39, v81
	v_add_nc_u32_e32 v39, v35, v70
	s_delay_alu instid0(VALU_DEP_2) | instskip(NEXT) | instid1(VALU_DEP_2)
	v_cndmask_b32_e64 v51, 0, v64, s1
	v_add_nc_u32_e32 v63, v39, v69
	s_delay_alu instid0(VALU_DEP_2) | instskip(SKIP_2) | instid1(VALU_DEP_3)
	v_add_nc_u32_e32 v60, v51, v66
	s_waitcnt lgkmcnt(0)
	v_cmp_eq_u32_e32 vcc_lo, 0, v29
	v_add_nc_u32_e32 v59, v63, v68
	s_delay_alu instid0(VALU_DEP_3) | instskip(NEXT) | instid1(VALU_DEP_2)
	v_cndmask_b32_e64 v52, 0, v60, s0
	v_dual_cndmask_b32 v32, 0, v32 :: v_dual_add_nc_u32 v51, v59, v67
	s_delay_alu instid0(VALU_DEP_2) | instskip(NEXT) | instid1(VALU_DEP_2)
	v_add_nc_u32_e32 v52, v52, v65
	v_add_nc_u32_e32 v95, v32, v30
	s_branch .LBB722_116
.LBB722_104:
                                        ; implicit-def: $vgpr29
                                        ; implicit-def: $vgpr95
                                        ; implicit-def: $vgpr55_vgpr56
                                        ; implicit-def: $vgpr61_vgpr62
                                        ; implicit-def: $vgpr57_vgpr58
                                        ; implicit-def: $vgpr53_vgpr54
                                        ; implicit-def: $vgpr47_vgpr48
                                        ; implicit-def: $vgpr43_vgpr44
                                        ; implicit-def: $vgpr41_vgpr42
                                        ; implicit-def: $vgpr45_vgpr46
                                        ; implicit-def: $vgpr49_vgpr50
                                        ; implicit-def: $vgpr33_vgpr34
                                        ; implicit-def: $vgpr35_vgpr36
                                        ; implicit-def: $vgpr39_vgpr40
                                        ; implicit-def: $vgpr63_vgpr64
                                        ; implicit-def: $vgpr59_vgpr60
                                        ; implicit-def: $vgpr51_vgpr52
	s_cbranch_execz .LBB722_116
; %bb.105:
	s_and_b32 s0, s16, exec_lo
	v_mov_b32_e32 v51, v92
	s_cselect_b32 s1, 0, s35
	s_cselect_b32 s0, 0, s34
	s_delay_alu instid0(SALU_CYCLE_1)
	s_cmp_eq_u64 s[0:1], 0
	s_cbranch_scc1 .LBB722_107
; %bb.106:
	v_mov_b32_e32 v29, 0
	global_load_b32 v51, v29, s[0:1]
.LBB722_107:
	v_cmp_eq_u32_e64 s6, 0, v80
	v_cmp_eq_u32_e64 s7, 0, v79
	;; [unrolled: 1-line block ×5, first 2 shown]
	v_cndmask_b32_e64 v29, 0, v92, s6
	v_cmp_eq_u32_e64 s11, 0, v75
	v_cmp_eq_u32_e64 s5, 0, v74
	;; [unrolled: 1-line block ×4, first 2 shown]
	v_add_nc_u32_e32 v29, v29, v91
	v_cmp_eq_u32_e64 s2, 0, v70
	v_cmp_eq_u32_e64 s1, 0, v69
	v_cmp_eq_u32_e32 vcc_lo, 0, v68
	v_add3_u32 v30, v99, v76, v75
	v_cndmask_b32_e64 v29, 0, v29, s7
	v_cmp_eq_u32_e64 s0, 0, v67
	v_cmp_eq_u32_e64 s12, 0, v73
	v_and_b32_e32 v32, 15, v96
	v_add3_u32 v30, v30, v74, v72
	v_add_nc_u32_e32 v29, v29, v90
	s_delay_alu instid0(VALU_DEP_3) | instskip(NEXT) | instid1(VALU_DEP_3)
	v_cmp_lt_u32_e64 s13, 1, v32
	v_add3_u32 v30, v30, v71, v70
	s_delay_alu instid0(VALU_DEP_3) | instskip(NEXT) | instid1(VALU_DEP_2)
	v_cndmask_b32_e64 v29, 0, v29, s8
	v_add3_u32 v30, v30, v69, v68
	s_delay_alu instid0(VALU_DEP_2) | instskip(NEXT) | instid1(VALU_DEP_2)
	v_add_nc_u32_e32 v29, v29, v89
	v_add3_u32 v30, v30, v67, v73
	s_delay_alu instid0(VALU_DEP_2) | instskip(NEXT) | instid1(VALU_DEP_2)
	v_cndmask_b32_e64 v29, 0, v29, s9
	v_mov_b32_dpp v33, v30 row_shr:1 row_mask:0xf bank_mask:0xf
	s_delay_alu instid0(VALU_DEP_2) | instskip(NEXT) | instid1(VALU_DEP_1)
	v_add_nc_u32_e32 v29, v29, v87
	v_cndmask_b32_e64 v29, 0, v29, s10
	s_delay_alu instid0(VALU_DEP_1) | instskip(NEXT) | instid1(VALU_DEP_1)
	v_add_nc_u32_e32 v29, v29, v86
	v_cndmask_b32_e64 v29, 0, v29, s11
	s_delay_alu instid0(VALU_DEP_1) | instskip(NEXT) | instid1(VALU_DEP_1)
	;; [unrolled: 3-line block ×7, first 2 shown]
	v_add_nc_u32_e32 v29, v29, v81
	v_cndmask_b32_e32 v29, 0, v29, vcc_lo
	s_delay_alu instid0(VALU_DEP_1) | instskip(NEXT) | instid1(VALU_DEP_1)
	v_add_nc_u32_e32 v29, v29, v66
	v_cndmask_b32_e64 v29, 0, v29, s0
	s_delay_alu instid0(VALU_DEP_1) | instskip(NEXT) | instid1(VALU_DEP_1)
	v_add_nc_u32_e32 v29, v29, v65
	v_cndmask_b32_e64 v29, 0, v29, s12
	v_cmp_eq_u32_e64 s12, 0, v30
	s_delay_alu instid0(VALU_DEP_2) | instskip(NEXT) | instid1(VALU_DEP_1)
	v_add_nc_u32_e32 v29, v29, v94
	v_mov_b32_dpp v31, v29 row_shr:1 row_mask:0xf bank_mask:0xf
	s_delay_alu instid0(VALU_DEP_1) | instskip(SKIP_1) | instid1(VALU_DEP_1)
	v_cndmask_b32_e64 v31, 0, v31, s12
	v_cmp_eq_u32_e64 s12, 0, v32
	v_cndmask_b32_e64 v33, v33, 0, s12
	s_delay_alu instid0(VALU_DEP_3) | instskip(NEXT) | instid1(VALU_DEP_2)
	v_cndmask_b32_e64 v31, v31, 0, s12
	v_add_nc_u32_e32 v30, v33, v30
	s_delay_alu instid0(VALU_DEP_2) | instskip(NEXT) | instid1(VALU_DEP_2)
	v_add_nc_u32_e32 v29, v31, v29
	v_mov_b32_dpp v31, v30 row_shr:2 row_mask:0xf bank_mask:0xf
	v_cmp_eq_u32_e64 s12, 0, v30
	s_delay_alu instid0(VALU_DEP_3) | instskip(NEXT) | instid1(VALU_DEP_3)
	v_mov_b32_dpp v33, v29 row_shr:2 row_mask:0xf bank_mask:0xf
	v_cndmask_b32_e64 v31, 0, v31, s13
	s_delay_alu instid0(VALU_DEP_3) | instskip(SKIP_1) | instid1(VALU_DEP_3)
	s_and_b32 s12, s13, s12
	v_cmp_lt_u32_e64 s13, 3, v32
	v_cndmask_b32_e64 v33, 0, v33, s12
	s_delay_alu instid0(VALU_DEP_3) | instskip(NEXT) | instid1(VALU_DEP_2)
	v_add_nc_u32_e32 v30, v30, v31
	v_add_nc_u32_e32 v29, v33, v29
	s_delay_alu instid0(VALU_DEP_2) | instskip(SKIP_1) | instid1(VALU_DEP_3)
	v_mov_b32_dpp v31, v30 row_shr:4 row_mask:0xf bank_mask:0xf
	v_cmp_eq_u32_e64 s12, 0, v30
	v_mov_b32_dpp v33, v29 row_shr:4 row_mask:0xf bank_mask:0xf
	s_delay_alu instid0(VALU_DEP_3) | instskip(NEXT) | instid1(VALU_DEP_3)
	v_cndmask_b32_e64 v31, 0, v31, s13
	s_and_b32 s12, s13, s12
	v_cmp_lt_u32_e64 s13, 7, v32
	s_delay_alu instid0(VALU_DEP_3) | instskip(NEXT) | instid1(VALU_DEP_3)
	v_cndmask_b32_e64 v33, 0, v33, s12
	v_add_nc_u32_e32 v30, v31, v30
	s_delay_alu instid0(VALU_DEP_2) | instskip(SKIP_1) | instid1(VALU_DEP_3)
	v_add_nc_u32_e32 v29, v29, v33
	v_bfe_i32 v33, v96, 4, 1
	v_cmp_eq_u32_e64 s12, 0, v30
	v_mov_b32_dpp v31, v30 row_shr:8 row_mask:0xf bank_mask:0xf
	s_delay_alu instid0(VALU_DEP_4) | instskip(NEXT) | instid1(VALU_DEP_3)
	v_mov_b32_dpp v32, v29 row_shr:8 row_mask:0xf bank_mask:0xf
	s_and_b32 s12, s13, s12
	s_delay_alu instid0(VALU_DEP_2) | instskip(SKIP_1) | instid1(VALU_DEP_2)
	v_cndmask_b32_e64 v31, 0, v31, s13
	s_mov_b32 s13, exec_lo
	v_cndmask_b32_e64 v32, 0, v32, s12
	s_delay_alu instid0(VALU_DEP_1) | instskip(NEXT) | instid1(VALU_DEP_3)
	v_add_nc_u32_e32 v32, v32, v29
	v_add_nc_u32_e32 v29, v31, v30
	ds_swizzle_b32 v30, v32 offset:swizzle(BROADCAST,32,15)
	ds_swizzle_b32 v31, v29 offset:swizzle(BROADCAST,32,15)
	v_cmp_eq_u32_e64 s12, 0, v29
	s_waitcnt lgkmcnt(1)
	s_delay_alu instid0(VALU_DEP_1) | instskip(SKIP_2) | instid1(VALU_DEP_2)
	v_cndmask_b32_e64 v30, 0, v30, s12
	s_waitcnt lgkmcnt(0)
	v_and_b32_e32 v31, v33, v31
	v_and_b32_e32 v30, v33, v30
	s_delay_alu instid0(VALU_DEP_2) | instskip(NEXT) | instid1(VALU_DEP_2)
	v_add_nc_u32_e32 v29, v31, v29
	v_add_nc_u32_e32 v30, v30, v32
	v_cmpx_eq_u32_e64 v98, v0
	s_cbranch_execz .LBB722_109
; %bb.108:
	v_lshlrev_b32_e32 v31, 3, v97
	ds_store_b64 v31, v[29:30] offset:4112
.LBB722_109:
	s_or_b32 exec_lo, exec_lo, s13
	s_delay_alu instid0(SALU_CYCLE_1)
	s_mov_b32 s14, exec_lo
	s_waitcnt vmcnt(0) lgkmcnt(0)
	s_barrier
	buffer_gl0_inv
	v_cmpx_gt_u32_e32 8, v0
	s_cbranch_execz .LBB722_111
; %bb.110:
	v_lshlrev_b32_e32 v33, 3, v0
	v_and_b32_e32 v35, 7, v96
	ds_load_b64 v[31:32], v33 offset:4112
	v_cmp_lt_u32_e64 s13, 1, v35
	s_waitcnt lgkmcnt(0)
	v_mov_b32_dpp v34, v32 row_shr:1 row_mask:0xf bank_mask:0xf
	v_cmp_eq_u32_e64 s12, 0, v31
	v_mov_b32_dpp v36, v31 row_shr:1 row_mask:0xf bank_mask:0xf
	s_delay_alu instid0(VALU_DEP_2) | instskip(SKIP_1) | instid1(VALU_DEP_1)
	v_cndmask_b32_e64 v34, 0, v34, s12
	v_cmp_eq_u32_e64 s12, 0, v35
	v_cndmask_b32_e64 v36, v36, 0, s12
	s_delay_alu instid0(VALU_DEP_3) | instskip(NEXT) | instid1(VALU_DEP_2)
	v_cndmask_b32_e64 v34, v34, 0, s12
	v_add_nc_u32_e32 v31, v36, v31
	s_delay_alu instid0(VALU_DEP_2) | instskip(NEXT) | instid1(VALU_DEP_2)
	v_add_nc_u32_e32 v32, v34, v32
	v_mov_b32_dpp v34, v31 row_shr:2 row_mask:0xf bank_mask:0xf
	v_cmp_eq_u32_e64 s12, 0, v31
	s_delay_alu instid0(VALU_DEP_3) | instskip(NEXT) | instid1(VALU_DEP_3)
	v_mov_b32_dpp v36, v32 row_shr:2 row_mask:0xf bank_mask:0xf
	v_cndmask_b32_e64 v34, 0, v34, s13
	s_delay_alu instid0(VALU_DEP_3) | instskip(SKIP_1) | instid1(VALU_DEP_3)
	s_and_b32 s12, s13, s12
	v_cmp_lt_u32_e64 s13, 3, v35
	v_cndmask_b32_e64 v36, 0, v36, s12
	s_delay_alu instid0(VALU_DEP_3) | instskip(NEXT) | instid1(VALU_DEP_2)
	v_add_nc_u32_e32 v31, v34, v31
	v_add_nc_u32_e32 v32, v36, v32
	s_delay_alu instid0(VALU_DEP_2) | instskip(SKIP_1) | instid1(VALU_DEP_3)
	v_cmp_eq_u32_e64 s12, 0, v31
	v_mov_b32_dpp v34, v31 row_shr:4 row_mask:0xf bank_mask:0xf
	v_mov_b32_dpp v35, v32 row_shr:4 row_mask:0xf bank_mask:0xf
	s_delay_alu instid0(VALU_DEP_3) | instskip(NEXT) | instid1(VALU_DEP_2)
	s_and_b32 s12, s13, s12
	v_cndmask_b32_e64 v34, 0, v34, s13
	s_delay_alu instid0(VALU_DEP_2) | instskip(NEXT) | instid1(VALU_DEP_2)
	v_cndmask_b32_e64 v35, 0, v35, s12
	v_add_nc_u32_e32 v31, v34, v31
	s_delay_alu instid0(VALU_DEP_2)
	v_add_nc_u32_e32 v32, v35, v32
	ds_store_b64 v33, v[31:32] offset:4112
.LBB722_111:
	s_or_b32 exec_lo, exec_lo, s14
	v_dual_mov_b32 v35, 0 :: v_dual_mov_b32 v32, v51
	v_mov_b32_e32 v31, 0
	s_mov_b32 s13, exec_lo
	s_waitcnt lgkmcnt(0)
	s_barrier
	buffer_gl0_inv
	v_cmpx_lt_u32_e32 31, v0
	s_cbranch_execz .LBB722_113
; %bb.112:
	v_lshlrev_b32_e32 v31, 3, v97
	ds_load_b64 v[31:32], v31 offset:4104
	s_waitcnt lgkmcnt(0)
	v_cmp_eq_u32_e64 s12, 0, v31
	s_delay_alu instid0(VALU_DEP_1) | instskip(NEXT) | instid1(VALU_DEP_1)
	v_cndmask_b32_e64 v33, 0, v51, s12
	v_add_nc_u32_e32 v32, v33, v32
.LBB722_113:
	s_or_b32 exec_lo, exec_lo, s13
	v_add_nc_u32_e32 v33, -1, v96
	v_cmp_eq_u32_e64 s13, 0, v93
	s_delay_alu instid0(VALU_DEP_2) | instskip(NEXT) | instid1(VALU_DEP_1)
	v_cmp_gt_i32_e64 s12, 0, v33
	v_cndmask_b32_e64 v33, v33, v96, s12
	v_cmp_eq_u32_e64 s12, 0, v29
	v_add_nc_u32_e32 v29, v31, v29
	s_delay_alu instid0(VALU_DEP_3) | instskip(NEXT) | instid1(VALU_DEP_3)
	v_lshlrev_b32_e32 v33, 2, v33
	v_cndmask_b32_e64 v34, 0, v32, s12
	v_cmp_eq_u32_e64 s12, 0, v96
	ds_bpermute_b32 v29, v33, v29
	v_add_nc_u32_e32 v30, v34, v30
	ds_bpermute_b32 v30, v33, v30
	s_waitcnt lgkmcnt(1)
	v_cndmask_b32_e64 v29, v29, v31, s12
	s_waitcnt lgkmcnt(0)
	v_cndmask_b32_e64 v30, v30, v32, s12
	v_cmp_eq_u32_e64 s12, 0, v0
	s_delay_alu instid0(VALU_DEP_1) | instskip(SKIP_1) | instid1(VALU_DEP_2)
	v_cndmask_b32_e64 v56, v30, v51, s12
	v_cndmask_b32_e64 v55, v29, 0, s12
	;; [unrolled: 1-line block ×3, first 2 shown]
	s_delay_alu instid0(VALU_DEP_2) | instskip(NEXT) | instid1(VALU_DEP_2)
	v_add_nc_u32_e32 v61, v55, v93
	v_add_nc_u32_e32 v62, v30, v92
	s_delay_alu instid0(VALU_DEP_2) | instskip(NEXT) | instid1(VALU_DEP_2)
	v_add_nc_u32_e32 v57, v61, v80
	v_cndmask_b32_e64 v30, 0, v62, s6
	s_delay_alu instid0(VALU_DEP_2) | instskip(NEXT) | instid1(VALU_DEP_2)
	v_add_nc_u32_e32 v53, v57, v79
	v_add_nc_u32_e32 v58, v30, v91
	s_delay_alu instid0(VALU_DEP_2) | instskip(NEXT) | instid1(VALU_DEP_2)
	v_add_nc_u32_e32 v47, v53, v78
	v_cndmask_b32_e64 v30, 0, v58, s7
	;; [unrolled: 6-line block ×4, first 2 shown]
	s_delay_alu instid0(VALU_DEP_2) | instskip(NEXT) | instid1(VALU_DEP_2)
	v_add_nc_u32_e32 v33, v49, v72
	v_add_nc_u32_e32 v44, v30, v87
	s_delay_alu instid0(VALU_DEP_1) | instskip(NEXT) | instid1(VALU_DEP_1)
	v_cndmask_b32_e64 v30, 0, v44, s10
	v_add_nc_u32_e32 v42, v30, v86
	s_delay_alu instid0(VALU_DEP_1) | instskip(NEXT) | instid1(VALU_DEP_1)
	v_cndmask_b32_e64 v30, 0, v42, s11
	;; [unrolled: 3-line block ×6, first 2 shown]
	v_add_nc_u32_e32 v40, v29, v83
	ds_load_b64 v[29:30], v35 offset:4168
	v_add_nc_u32_e32 v35, v33, v71
	v_cndmask_b32_e64 v31, 0, v40, s1
	s_delay_alu instid0(VALU_DEP_2) | instskip(NEXT) | instid1(VALU_DEP_2)
	v_add_nc_u32_e32 v39, v35, v70
	v_add_nc_u32_e32 v64, v31, v81
	s_delay_alu instid0(VALU_DEP_2) | instskip(NEXT) | instid1(VALU_DEP_2)
	v_add_nc_u32_e32 v63, v39, v69
	v_cndmask_b32_e32 v31, 0, v64, vcc_lo
	s_delay_alu instid0(VALU_DEP_2) | instskip(NEXT) | instid1(VALU_DEP_2)
	v_add_nc_u32_e32 v59, v63, v68
	v_add_nc_u32_e32 v60, v31, v66
	s_waitcnt lgkmcnt(0)
	v_cmp_eq_u32_e32 vcc_lo, 0, v29
	s_delay_alu instid0(VALU_DEP_2) | instskip(SKIP_2) | instid1(VALU_DEP_3)
	v_cndmask_b32_e64 v31, 0, v60, s0
	v_cndmask_b32_e32 v32, 0, v51, vcc_lo
	v_add_nc_u32_e32 v51, v59, v67
	v_add_nc_u32_e32 v52, v31, v65
	s_delay_alu instid0(VALU_DEP_3)
	v_add_nc_u32_e32 v95, v32, v30
	s_and_saveexec_b32 s0, s12
	s_cbranch_execz .LBB722_115
; %bb.114:
	s_delay_alu instid0(VALU_DEP_1)
	v_and_b32_e32 v30, 0xff000000, v95
	v_dual_mov_b32 v32, 0 :: v_dual_and_b32 v31, 0xff0000, v95
	s_add_u32 s2, s36, 0x200
	v_and_b32_e32 v65, 0xff00, v95
	s_addc_u32 s3, s37, 0
	v_and_b32_e32 v66, 0xff, v95
	v_or_b32_e32 v30, v31, v30
	v_mov_b32_e32 v31, 2
	s_delay_alu instid0(VALU_DEP_2)
	v_or3_b32 v30, v30, v65, v66
	v_dual_mov_b32 v66, s3 :: v_dual_mov_b32 v65, s2
	;;#ASMSTART
	global_store_dwordx4 v[65:66], v[29:32] off	
s_waitcnt vmcnt(0)
	;;#ASMEND
.LBB722_115:
	s_or_b32 exec_lo, exec_lo, s0
	v_mov_b32_e32 v31, 0
.LBB722_116:
	v_mov_b32_e32 v65, 0
	s_and_b32 s0, s16, exec_lo
	v_mov_b32_e32 v66, 0
	s_cselect_b32 s1, 0, s47
	s_cselect_b32 s0, 0, s46
	s_delay_alu instid0(SALU_CYCLE_1)
	s_cmp_eq_u64 s[0:1], 0
	s_barrier
	buffer_gl0_inv
	s_cbranch_scc1 .LBB722_118
; %bb.117:
	v_mov_b32_e32 v30, 0
	global_load_b64 v[65:66], v30, s[0:1]
.LBB722_118:
	v_cmp_eq_u32_e32 vcc_lo, 0, v93
	v_cmp_ne_u32_e64 s14, 0, v93
	v_cmp_ne_u32_e64 s13, 0, v80
	v_cmp_ne_u32_e64 s12, 0, v79
	v_cmp_ne_u32_e64 s11, 0, v78
	v_cndmask_b32_e64 v30, 1, 2, vcc_lo
	v_cmp_eq_u32_e32 vcc_lo, 0, v80
	v_cmp_ne_u32_e64 s10, 0, v77
	v_cmp_ne_u32_e64 s9, 0, v76
	;; [unrolled: 1-line block ×4, first 2 shown]
	v_cndmask_b32_e64 v32, 1, 2, vcc_lo
	v_cmp_eq_u32_e32 vcc_lo, 0, v79
	v_cmp_ne_u32_e64 s8, 0, v72
	v_cmp_ne_u32_e64 s6, 0, v71
	;; [unrolled: 1-line block ×3, first 2 shown]
	v_and_b32_e32 v30, v32, v30
	v_cndmask_b32_e64 v81, 1, 2, vcc_lo
	v_cmp_eq_u32_e32 vcc_lo, 0, v78
	v_cmp_ne_u32_e64 s3, 0, v69
	v_cmp_ne_u32_e64 s2, 0, v68
	;; [unrolled: 1-line block ×3, first 2 shown]
	v_and_b32_e32 v30, v30, v81
	v_cndmask_b32_e64 v32, 1, 2, vcc_lo
	v_cmp_eq_u32_e32 vcc_lo, 0, v77
	v_cmp_ne_u32_e64 s0, 0, v73
	s_mov_b32 s16, -1
	s_delay_alu instid0(VALU_DEP_3) | instskip(SKIP_2) | instid1(VALU_DEP_2)
	v_and_b32_e32 v30, v30, v32
	v_cndmask_b32_e64 v81, 1, 2, vcc_lo
	v_cmp_eq_u32_e32 vcc_lo, 0, v76
	v_and_b32_e32 v30, v30, v81
	v_cndmask_b32_e64 v32, 1, 2, vcc_lo
	v_cmp_eq_u32_e32 vcc_lo, 0, v75
	s_waitcnt vmcnt(0)
	v_lshlrev_b64 v[81:82], 3, v[65:66]
	s_delay_alu instid0(VALU_DEP_3) | instskip(SKIP_2) | instid1(VALU_DEP_2)
	v_and_b32_e32 v30, v30, v32
	v_cndmask_b32_e64 v83, 1, 2, vcc_lo
	v_cmp_eq_u32_e32 vcc_lo, 0, v74
	v_and_b32_e32 v30, v30, v83
	v_cndmask_b32_e64 v84, 1, 2, vcc_lo
	v_cmp_eq_u32_e32 vcc_lo, 0, v72
	s_delay_alu instid0(VALU_DEP_2) | instskip(SKIP_2) | instid1(VALU_DEP_2)
	v_and_b32_e32 v30, v30, v84
	v_cndmask_b32_e64 v83, 1, 2, vcc_lo
	v_cmp_eq_u32_e32 vcc_lo, 0, v71
	v_and_b32_e32 v30, v30, v83
	v_cndmask_b32_e64 v84, 1, 2, vcc_lo
	v_cmp_eq_u32_e32 vcc_lo, 0, v70
	s_delay_alu instid0(VALU_DEP_2) | instskip(SKIP_2) | instid1(VALU_DEP_2)
	v_and_b32_e32 v30, v30, v84
	v_cndmask_b32_e64 v83, 1, 2, vcc_lo
	v_cmp_eq_u32_e32 vcc_lo, 0, v69
	v_and_b32_e32 v30, v30, v83
	v_cndmask_b32_e64 v85, 1, 2, vcc_lo
	v_cmp_eq_u32_e32 vcc_lo, 0, v68
	s_delay_alu instid0(VALU_DEP_2) | instskip(SKIP_3) | instid1(VALU_DEP_3)
	v_and_b32_e32 v30, v30, v85
	v_cndmask_b32_e64 v86, 1, 2, vcc_lo
	v_mov_b32_e32 v32, 0
	v_cmp_eq_u32_e32 vcc_lo, 0, v67
	v_and_b32_e32 v85, v30, v86
	s_delay_alu instid0(VALU_DEP_3) | instskip(SKIP_3) | instid1(VALU_DEP_2)
	v_lshlrev_b64 v[83:84], 3, v[31:32]
	v_cndmask_b32_e64 v87, 1, 2, vcc_lo
	v_add_co_u32 v81, vcc_lo, s26, v81
	v_add_co_ci_u32_e32 v82, vcc_lo, s27, v82, vcc_lo
	v_add_co_u32 v30, vcc_lo, v81, v83
	s_delay_alu instid0(VALU_DEP_2) | instskip(SKIP_4) | instid1(VALU_DEP_2)
	v_add_co_ci_u32_e32 v81, vcc_lo, v82, v84, vcc_lo
	v_cmp_eq_u32_e32 vcc_lo, 0, v73
	v_and_b32_e32 v82, v85, v87
	v_cndmask_b32_e64 v83, 1, 2, vcc_lo
	v_cmp_gt_u32_e32 vcc_lo, 0x100, v29
	v_and_b32_e32 v82, v82, v83
	s_delay_alu instid0(VALU_DEP_1)
	v_cmp_gt_i16_e64 s15, 2, v82
	s_cbranch_vccz .LBB722_167
; %bb.119:
	s_delay_alu instid0(VALU_DEP_1)
	s_and_saveexec_b32 s16, s15
	s_cbranch_execz .LBB722_166
; %bb.120:
	s_mov_b32 s17, 0
	s_mov_b32 s15, exec_lo
	v_cmpx_ne_u16_e32 1, v82
	s_xor_b32 s15, exec_lo, s15
	s_cbranch_execz .LBB722_144
; %bb.121:
	s_and_saveexec_b32 s17, s14
	s_cbranch_execz .LBB722_149
; %bb.122:
	v_sub_nc_u32_e32 v83, v55, v31
	v_mov_b32_e32 v84, 0
	s_delay_alu instid0(VALU_DEP_1) | instskip(NEXT) | instid1(VALU_DEP_1)
	v_lshlrev_b64 v[83:84], 3, v[83:84]
	v_add_co_u32 v83, vcc_lo, v30, v83
	s_delay_alu instid0(VALU_DEP_2)
	v_add_co_ci_u32_e32 v84, vcc_lo, v81, v84, vcc_lo
	global_store_b64 v[83:84], v[25:26], off
	s_or_b32 exec_lo, exec_lo, s17
	s_and_saveexec_b32 s17, s13
	s_cbranch_execnz .LBB722_150
.LBB722_123:
	s_or_b32 exec_lo, exec_lo, s17
	s_and_saveexec_b32 s17, s12
	s_cbranch_execz .LBB722_151
.LBB722_124:
	v_sub_nc_u32_e32 v83, v57, v31
	v_mov_b32_e32 v84, 0
	s_delay_alu instid0(VALU_DEP_1) | instskip(NEXT) | instid1(VALU_DEP_1)
	v_lshlrev_b64 v[83:84], 3, v[83:84]
	v_add_co_u32 v83, vcc_lo, v30, v83
	s_delay_alu instid0(VALU_DEP_2)
	v_add_co_ci_u32_e32 v84, vcc_lo, v81, v84, vcc_lo
	global_store_b64 v[83:84], v[21:22], off
	s_or_b32 exec_lo, exec_lo, s17
	s_and_saveexec_b32 s17, s11
	s_cbranch_execnz .LBB722_152
.LBB722_125:
	s_or_b32 exec_lo, exec_lo, s17
	s_and_saveexec_b32 s17, s10
	s_cbranch_execz .LBB722_153
.LBB722_126:
	v_sub_nc_u32_e32 v83, v47, v31
	v_mov_b32_e32 v84, 0
	s_delay_alu instid0(VALU_DEP_1) | instskip(NEXT) | instid1(VALU_DEP_1)
	v_lshlrev_b64 v[83:84], 3, v[83:84]
	v_add_co_u32 v83, vcc_lo, v30, v83
	s_delay_alu instid0(VALU_DEP_2)
	v_add_co_ci_u32_e32 v84, vcc_lo, v81, v84, vcc_lo
	global_store_b64 v[83:84], v[17:18], off
	s_or_b32 exec_lo, exec_lo, s17
	s_and_saveexec_b32 s17, s9
	s_cbranch_execnz .LBB722_154
.LBB722_127:
	s_or_b32 exec_lo, exec_lo, s17
	s_and_saveexec_b32 s17, s7
	s_cbranch_execz .LBB722_155
.LBB722_128:
	v_sub_nc_u32_e32 v83, v41, v31
	v_mov_b32_e32 v84, 0
	s_delay_alu instid0(VALU_DEP_1) | instskip(NEXT) | instid1(VALU_DEP_1)
	v_lshlrev_b64 v[83:84], 3, v[83:84]
	v_add_co_u32 v83, vcc_lo, v30, v83
	s_delay_alu instid0(VALU_DEP_2)
	v_add_co_ci_u32_e32 v84, vcc_lo, v81, v84, vcc_lo
	global_store_b64 v[83:84], v[13:14], off
	s_or_b32 exec_lo, exec_lo, s17
	s_and_saveexec_b32 s17, s5
	s_cbranch_execnz .LBB722_156
.LBB722_129:
	s_or_b32 exec_lo, exec_lo, s17
	s_and_saveexec_b32 s17, s8
	s_cbranch_execz .LBB722_157
.LBB722_130:
	v_sub_nc_u32_e32 v83, v49, v31
	v_mov_b32_e32 v84, 0
	s_delay_alu instid0(VALU_DEP_1) | instskip(NEXT) | instid1(VALU_DEP_1)
	v_lshlrev_b64 v[83:84], 3, v[83:84]
	v_add_co_u32 v83, vcc_lo, v30, v83
	s_delay_alu instid0(VALU_DEP_2)
	v_add_co_ci_u32_e32 v84, vcc_lo, v81, v84, vcc_lo
	global_store_b64 v[83:84], v[9:10], off
	s_or_b32 exec_lo, exec_lo, s17
	s_and_saveexec_b32 s17, s6
	s_cbranch_execnz .LBB722_158
.LBB722_131:
	s_or_b32 exec_lo, exec_lo, s17
	s_and_saveexec_b32 s17, s4
	s_cbranch_execz .LBB722_159
.LBB722_132:
	v_sub_nc_u32_e32 v83, v35, v31
	v_mov_b32_e32 v84, 0
	s_delay_alu instid0(VALU_DEP_1) | instskip(NEXT) | instid1(VALU_DEP_1)
	v_lshlrev_b64 v[83:84], 3, v[83:84]
	v_add_co_u32 v83, vcc_lo, v30, v83
	s_delay_alu instid0(VALU_DEP_2)
	v_add_co_ci_u32_e32 v84, vcc_lo, v81, v84, vcc_lo
	global_store_b64 v[83:84], v[5:6], off
	s_or_b32 exec_lo, exec_lo, s17
	s_and_saveexec_b32 s17, s3
	s_cbranch_execnz .LBB722_160
.LBB722_133:
	s_or_b32 exec_lo, exec_lo, s17
	s_and_saveexec_b32 s17, s2
	s_cbranch_execz .LBB722_161
.LBB722_134:
	v_sub_nc_u32_e32 v83, v63, v31
	v_mov_b32_e32 v84, 0
	s_delay_alu instid0(VALU_DEP_1) | instskip(NEXT) | instid1(VALU_DEP_1)
	v_lshlrev_b64 v[83:84], 3, v[83:84]
	v_add_co_u32 v83, vcc_lo, v30, v83
	s_delay_alu instid0(VALU_DEP_2)
	v_add_co_ci_u32_e32 v84, vcc_lo, v81, v84, vcc_lo
	global_store_b64 v[83:84], v[1:2], off
	s_or_b32 exec_lo, exec_lo, s17
	s_and_saveexec_b32 s17, s1
	s_cbranch_execnz .LBB722_162
	s_branch .LBB722_163
.LBB722_135:
	s_mov_b32 s41, 0
                                        ; implicit-def: $sgpr0
                                        ; implicit-def: $vgpr73
                                        ; implicit-def: $vgpr67
                                        ; implicit-def: $vgpr68
                                        ; implicit-def: $vgpr69
                                        ; implicit-def: $vgpr70
                                        ; implicit-def: $vgpr71
                                        ; implicit-def: $vgpr72
                                        ; implicit-def: $vgpr74
                                        ; implicit-def: $vgpr75
                                        ; implicit-def: $vgpr76
                                        ; implicit-def: $vgpr77
                                        ; implicit-def: $vgpr78
                                        ; implicit-def: $vgpr79
                                        ; implicit-def: $vgpr80
	s_cbranch_execz .LBB722_69
.LBB722_136:
	v_cmp_ne_u64_e32 vcc_lo, v[3:4], v[37:38]
	v_lshlrev_b32_e32 v29, 3, v0
	s_mov_b32 s1, exec_lo
                                        ; implicit-def: $sgpr0
	ds_store_b64 v29, v[37:38]
	v_cndmask_b32_e64 v73, 0, 1, vcc_lo
	v_cmp_ne_u64_e32 vcc_lo, v[1:2], v[3:4]
	s_waitcnt lgkmcnt(0)
	s_barrier
	buffer_gl0_inv
	v_cndmask_b32_e64 v67, 0, 1, vcc_lo
	v_cmp_ne_u64_e32 vcc_lo, v[7:8], v[1:2]
	v_cndmask_b32_e64 v68, 0, 1, vcc_lo
	v_cmp_ne_u64_e32 vcc_lo, v[5:6], v[7:8]
	;; [unrolled: 2-line block ×12, first 2 shown]
	v_cndmask_b32_e64 v80, 0, 1, vcc_lo
	v_cmpx_ne_u32_e32 0, v0
	s_xor_b32 s1, exec_lo, s1
	s_cbranch_execz .LBB722_138
; %bb.137:
	v_add_nc_u32_e32 v29, -8, v29
	s_or_b32 s41, s41, exec_lo
	ds_load_b64 v[29:30], v29
	s_waitcnt lgkmcnt(0)
	v_cmp_ne_u64_e32 vcc_lo, v[29:30], v[25:26]
	s_and_b32 s0, vcc_lo, exec_lo
.LBB722_138:
	s_or_b32 exec_lo, exec_lo, s1
	s_mov_b32 s1, 1
	s_branch .LBB722_71
.LBB722_139:
	s_mul_hi_u32 s0, s16, 0xfffff100
	s_mul_i32 s1, s17, 0xfffff100
	s_sub_i32 s0, s0, s16
	s_mul_i32 s2, s16, 0xfffff100
	s_add_i32 s0, s0, s1
	s_add_u32 s24, s2, s44
	s_addc_u32 s25, s0, s45
	s_and_b32 vcc_lo, exec_lo, s20
	s_cbranch_vccz .LBB722_146
; %bb.140:
	v_add_co_u32 v29, s0, -8, s18
	s_delay_alu instid0(VALU_DEP_1)
	v_add_co_ci_u32_e64 v30, null, -1, s14, s0
	v_mad_u32_u24 v31, v0, 15, 14
	v_mov_b32_e32 v32, 0
	v_cmp_ne_u64_e64 s6, v[3:4], v[37:38]
	flat_load_b64 v[29:30], v[29:30]
	v_cmp_ne_u64_e64 s8, v[7:8], v[1:2]
	v_cmp_ne_u64_e64 s9, v[5:6], v[7:8]
	v_cmp_gt_u64_e32 vcc_lo, s[24:25], v[31:32]
	v_mad_u32_u24 v31, v0, 15, 13
	v_cmp_ne_u64_e64 s10, v[11:12], v[5:6]
	v_lshlrev_b32_e32 v34, 3, v0
	v_mul_u32_u24_e32 v33, 15, v0
	s_mov_b32 s41, -1
	v_cmp_gt_u64_e64 s0, s[24:25], v[31:32]
	v_mad_u32_u24 v31, v0, 15, 12
	s_and_b32 s13, vcc_lo, s6
	v_cmp_ne_u64_e64 s6, v[1:2], v[3:4]
	s_mov_b32 s12, 0
	ds_store_b64 v34, v[37:38]
	v_cmp_gt_u64_e64 s1, s[24:25], v[31:32]
	v_mad_u32_u24 v31, v0, 15, 11
	s_waitcnt vmcnt(0) lgkmcnt(0)
	s_and_b32 s14, s0, s6
	v_cmp_ne_u64_e64 s6, v[19:20], v[13:14]
	s_barrier
	v_cmp_gt_u64_e64 s2, s[24:25], v[31:32]
	v_mad_u32_u24 v31, v0, 15, 10
	s_and_b32 s16, s1, s8
	v_cmp_ne_u64_e64 s1, v[9:10], v[11:12]
	buffer_gl0_inv
	v_cmp_gt_u64_e64 s3, s[24:25], v[31:32]
	v_mad_u32_u24 v31, v0, 15, 9
	s_and_b32 s9, s2, s9
	v_cmp_ne_u64_e64 s2, v[15:16], v[9:10]
	s_delay_alu instid0(VALU_DEP_2) | instskip(SKIP_3) | instid1(VALU_DEP_2)
	v_cmp_gt_u64_e64 s4, s[24:25], v[31:32]
	v_mad_u32_u24 v31, v0, 15, 8
	s_and_b32 s10, s3, s10
	v_cmp_ne_u64_e64 s3, v[13:14], v[15:16]
	v_cmp_gt_u64_e64 s5, s[24:25], v[31:32]
	v_mad_u32_u24 v31, v0, 15, 7
	s_and_b32 s18, s4, s1
	v_cmp_ne_u64_e64 s1, v[17:18], v[19:20]
	v_cmp_ne_u64_e64 s4, v[27:28], v[21:22]
	s_delay_alu instid0(VALU_DEP_3) | instskip(SKIP_3) | instid1(VALU_DEP_2)
	v_cmp_gt_u64_e64 s7, s[24:25], v[31:32]
	v_mad_u32_u24 v31, v0, 15, 6
	s_and_b32 s19, s5, s2
	v_cmp_ne_u64_e64 s2, v[23:24], v[17:18]
	v_cmp_gt_u64_e32 vcc_lo, s[24:25], v[31:32]
	v_mad_u32_u24 v31, v0, 15, 5
	s_and_b32 s7, s7, s3
	v_cmp_ne_u64_e64 s3, v[21:22], v[23:24]
	s_delay_alu instid0(VALU_DEP_2) | instskip(SKIP_3) | instid1(VALU_DEP_2)
	v_cmp_gt_u64_e64 s11, s[24:25], v[31:32]
	v_mad_u32_u24 v31, v0, 15, 4
	s_and_b32 s17, vcc_lo, s6
	v_cmp_ne_u64_e64 s6, v[25:26], v[27:28]
	v_cmp_gt_u64_e64 s0, s[24:25], v[31:32]
	v_mad_u32_u24 v31, v0, 15, 3
	s_and_b32 s11, s11, s1
	s_delay_alu instid0(VALU_DEP_1) | instskip(SKIP_1) | instid1(VALU_DEP_4)
	v_cmp_gt_u64_e64 s8, s[24:25], v[31:32]
	v_mad_u32_u24 v31, v0, 15, 2
	s_and_b32 s0, s0, s2
	s_delay_alu instid0(VALU_DEP_1) | instskip(SKIP_1) | instid1(VALU_DEP_4)
	v_cmp_gt_u64_e32 vcc_lo, s[24:25], v[31:32]
	v_mad_u32_u24 v31, v0, 15, 1
	s_and_b32 s1, s8, s3
	s_delay_alu instid0(VALU_DEP_1) | instskip(SKIP_2) | instid1(VALU_DEP_1)
	v_cmp_gt_u64_e64 s5, s[24:25], v[31:32]
	s_and_b32 s2, vcc_lo, s4
	s_mov_b32 s4, exec_lo
	s_and_b32 s3, s5, s6
	v_cmpx_ne_u32_e32 0, v0
	s_cbranch_execz .LBB722_142
; %bb.141:
	v_add_nc_u32_e32 v29, -8, v34
	ds_load_b64 v[29:30], v29
.LBB722_142:
	s_or_b32 exec_lo, exec_lo, s4
	v_mov_b32_e32 v34, v32
	v_cndmask_b32_e64 v77, 0, 1, s0
	s_waitcnt lgkmcnt(0)
	v_cmp_ne_u64_e64 s0, v[29:30], v[25:26]
	v_cndmask_b32_e64 v73, 0, 1, s13
	v_cndmask_b32_e64 v67, 0, 1, s14
	v_cmp_gt_u64_e32 vcc_lo, s[24:25], v[33:34]
	v_cndmask_b32_e64 v68, 0, 1, s16
	v_cndmask_b32_e64 v69, 0, 1, s9
	;; [unrolled: 1-line block ×11, first 2 shown]
	s_and_b32 s0, vcc_lo, s0
	s_and_b32 vcc_lo, exec_lo, s12
	s_cbranch_vccnz .LBB722_147
.LBB722_143:
                                        ; implicit-def: $sgpr1
	v_mov_b32_e32 v93, s1
	s_and_saveexec_b32 s1, s41
	s_cbranch_execnz .LBB722_72
	s_branch .LBB722_73
.LBB722_144:
	s_and_not1_saveexec_b32 s15, s15
	s_cbranch_execz .LBB722_164
.LBB722_145:
	v_sub_nc_u32_e32 v83, v55, v31
	v_mov_b32_e32 v84, 0
	s_or_b32 s17, s17, exec_lo
	s_delay_alu instid0(VALU_DEP_1) | instskip(SKIP_1) | instid1(VALU_DEP_1)
	v_lshlrev_b64 v[85:86], 3, v[83:84]
	v_sub_nc_u32_e32 v83, v61, v31
	v_lshlrev_b64 v[87:88], 3, v[83:84]
	v_sub_nc_u32_e32 v83, v57, v31
	s_delay_alu instid0(VALU_DEP_4) | instskip(SKIP_1) | instid1(VALU_DEP_3)
	v_add_co_u32 v85, vcc_lo, v30, v85
	v_add_co_ci_u32_e32 v86, vcc_lo, v81, v86, vcc_lo
	v_lshlrev_b64 v[89:90], 3, v[83:84]
	v_sub_nc_u32_e32 v83, v53, v31
	v_add_co_u32 v87, vcc_lo, v30, v87
	v_add_co_ci_u32_e32 v88, vcc_lo, v81, v88, vcc_lo
	global_store_b64 v[85:86], v[25:26], off
	v_lshlrev_b64 v[85:86], 3, v[83:84]
	v_sub_nc_u32_e32 v83, v47, v31
	global_store_b64 v[87:88], v[27:28], off
	v_add_co_u32 v87, vcc_lo, v30, v89
	v_add_co_ci_u32_e32 v88, vcc_lo, v81, v90, vcc_lo
	v_lshlrev_b64 v[89:90], 3, v[83:84]
	v_sub_nc_u32_e32 v83, v43, v31
	v_add_co_u32 v85, vcc_lo, v30, v85
	v_add_co_ci_u32_e32 v86, vcc_lo, v81, v86, vcc_lo
	s_delay_alu instid0(VALU_DEP_3) | instskip(SKIP_3) | instid1(VALU_DEP_3)
	v_lshlrev_b64 v[91:92], 3, v[83:84]
	v_sub_nc_u32_e32 v83, v41, v31
	v_add_co_u32 v89, vcc_lo, v30, v89
	v_add_co_ci_u32_e32 v90, vcc_lo, v81, v90, vcc_lo
	v_lshlrev_b64 v[96:97], 3, v[83:84]
	v_sub_nc_u32_e32 v83, v45, v31
	v_add_co_u32 v91, vcc_lo, v30, v91
	v_add_co_ci_u32_e32 v92, vcc_lo, v81, v92, vcc_lo
	s_clause 0x3
	global_store_b64 v[87:88], v[21:22], off
	global_store_b64 v[85:86], v[23:24], off
	;; [unrolled: 1-line block ×4, first 2 shown]
	v_lshlrev_b64 v[85:86], 3, v[83:84]
	v_sub_nc_u32_e32 v83, v49, v31
	v_add_co_u32 v87, vcc_lo, v30, v96
	v_add_co_ci_u32_e32 v88, vcc_lo, v81, v97, vcc_lo
	s_delay_alu instid0(VALU_DEP_3) | instskip(SKIP_3) | instid1(VALU_DEP_3)
	v_lshlrev_b64 v[89:90], 3, v[83:84]
	v_sub_nc_u32_e32 v83, v33, v31
	v_add_co_u32 v85, vcc_lo, v30, v85
	v_add_co_ci_u32_e32 v86, vcc_lo, v81, v86, vcc_lo
	v_lshlrev_b64 v[91:92], 3, v[83:84]
	v_sub_nc_u32_e32 v83, v35, v31
	v_add_co_u32 v89, vcc_lo, v30, v89
	v_add_co_ci_u32_e32 v90, vcc_lo, v81, v90, vcc_lo
	s_delay_alu instid0(VALU_DEP_3)
	v_lshlrev_b64 v[96:97], 3, v[83:84]
	v_sub_nc_u32_e32 v83, v39, v31
	v_add_co_u32 v91, vcc_lo, v30, v91
	v_add_co_ci_u32_e32 v92, vcc_lo, v81, v92, vcc_lo
	s_clause 0x3
	global_store_b64 v[87:88], v[13:14], off
	global_store_b64 v[85:86], v[15:16], off
	;; [unrolled: 1-line block ×4, first 2 shown]
	v_lshlrev_b64 v[85:86], 3, v[83:84]
	v_sub_nc_u32_e32 v83, v63, v31
	v_add_co_u32 v87, vcc_lo, v30, v96
	v_add_co_ci_u32_e32 v88, vcc_lo, v81, v97, vcc_lo
	s_delay_alu instid0(VALU_DEP_3) | instskip(SKIP_3) | instid1(VALU_DEP_3)
	v_lshlrev_b64 v[89:90], 3, v[83:84]
	v_sub_nc_u32_e32 v83, v59, v31
	v_add_co_u32 v85, vcc_lo, v30, v85
	v_add_co_ci_u32_e32 v86, vcc_lo, v81, v86, vcc_lo
	v_lshlrev_b64 v[83:84], 3, v[83:84]
	v_add_co_u32 v89, vcc_lo, v30, v89
	v_add_co_ci_u32_e32 v90, vcc_lo, v81, v90, vcc_lo
	s_clause 0x2
	global_store_b64 v[87:88], v[5:6], off
	global_store_b64 v[85:86], v[7:8], off
	;; [unrolled: 1-line block ×3, first 2 shown]
	v_add_co_u32 v83, vcc_lo, v30, v83
	v_add_co_ci_u32_e32 v84, vcc_lo, v81, v84, vcc_lo
	global_store_b64 v[83:84], v[3:4], off
	s_or_b32 exec_lo, exec_lo, s15
	s_delay_alu instid0(SALU_CYCLE_1)
	s_and_b32 exec_lo, exec_lo, s17
	s_cbranch_execnz .LBB722_165
	s_branch .LBB722_166
.LBB722_146:
                                        ; implicit-def: $sgpr0
                                        ; implicit-def: $vgpr73
                                        ; implicit-def: $vgpr67
                                        ; implicit-def: $vgpr68
                                        ; implicit-def: $vgpr69
                                        ; implicit-def: $vgpr70
                                        ; implicit-def: $vgpr71
                                        ; implicit-def: $vgpr72
                                        ; implicit-def: $vgpr74
                                        ; implicit-def: $vgpr75
                                        ; implicit-def: $vgpr76
                                        ; implicit-def: $vgpr77
                                        ; implicit-def: $vgpr78
                                        ; implicit-def: $vgpr79
                                        ; implicit-def: $vgpr80
	s_cbranch_execz .LBB722_143
.LBB722_147:
	v_mad_u32_u24 v29, v0, 15, 14
	v_dual_mov_b32 v30, 0 :: v_dual_lshlrev_b32 v31, 3, v0
	v_cmp_ne_u64_e64 s5, v[1:2], v[3:4]
	v_cmp_ne_u64_e64 s4, v[3:4], v[37:38]
	;; [unrolled: 1-line block ×3, first 2 shown]
	s_delay_alu instid0(VALU_DEP_4)
	v_cmp_gt_u64_e32 vcc_lo, s[24:25], v[29:30]
	v_mad_u32_u24 v29, v0, 15, 13
	v_cmp_ne_u64_e64 s8, v[5:6], v[7:8]
	v_cmp_ne_u64_e64 s9, v[11:12], v[5:6]
	;; [unrolled: 1-line block ×4, first 2 shown]
	v_cmp_gt_u64_e64 s0, s[24:25], v[29:30]
	v_mad_u32_u24 v29, v0, 15, 12
	s_and_b32 s4, vcc_lo, s4
	v_cmp_ne_u64_e64 s13, v[13:14], v[15:16]
	v_cmp_ne_u64_e64 s14, v[19:20], v[13:14]
	;; [unrolled: 1-line block ×3, first 2 shown]
	v_cmp_gt_u64_e64 s1, s[24:25], v[29:30]
	v_mad_u32_u24 v29, v0, 15, 11
	s_and_b32 s0, s0, s5
	v_cmp_ne_u64_e64 s17, v[23:24], v[17:18]
	v_cndmask_b32_e64 v67, 0, 1, s0
	v_cmp_ne_u64_e64 s19, v[21:22], v[23:24]
	v_cmp_gt_u64_e64 s2, s[24:25], v[29:30]
	v_mad_u32_u24 v29, v0, 15, 10
	s_and_b32 s0, s1, s6
	v_cmp_ne_u64_e64 s20, v[27:28], v[21:22]
	v_cndmask_b32_e64 v68, 0, 1, s0
	v_cmp_ne_u64_e64 s21, v[25:26], v[27:28]
	v_cmp_gt_u64_e64 s3, s[24:25], v[29:30]
	v_mad_u32_u24 v29, v0, 15, 9
	s_and_b32 s0, s2, s8
	v_cndmask_b32_e64 v73, 0, 1, s4
	v_cndmask_b32_e64 v69, 0, 1, s0
	ds_store_b64 v31, v[37:38]
	v_cmp_gt_u64_e64 s7, s[24:25], v[29:30]
	v_mad_u32_u24 v29, v0, 15, 8
	s_and_b32 s1, s3, s9
	s_waitcnt lgkmcnt(0)
	v_cndmask_b32_e64 v70, 0, 1, s1
	s_barrier
	v_cmp_gt_u64_e64 s12, s[24:25], v[29:30]
	v_mad_u32_u24 v29, v0, 15, 7
	s_and_b32 s1, s7, s10
	buffer_gl0_inv
	v_cndmask_b32_e64 v71, 0, 1, s1
	v_cmp_gt_u64_e64 s18, s[24:25], v[29:30]
	v_mad_u32_u24 v29, v0, 15, 6
	s_and_b32 s2, s12, s11
	s_delay_alu instid0(SALU_CYCLE_1) | instskip(NEXT) | instid1(VALU_DEP_2)
	v_cndmask_b32_e64 v72, 0, 1, s2
	v_cmp_gt_u64_e64 s22, s[24:25], v[29:30]
	v_mad_u32_u24 v29, v0, 15, 5
	s_and_b32 s2, s18, s13
	s_delay_alu instid0(SALU_CYCLE_1) | instskip(NEXT) | instid1(VALU_DEP_2)
	v_cndmask_b32_e64 v74, 0, 1, s2
	v_cmp_gt_u64_e32 vcc_lo, s[24:25], v[29:30]
	v_mad_u32_u24 v29, v0, 15, 4
	s_and_b32 s3, s22, s14
	s_delay_alu instid0(SALU_CYCLE_1) | instskip(NEXT) | instid1(VALU_DEP_2)
	v_cndmask_b32_e64 v75, 0, 1, s3
	v_cmp_gt_u64_e64 s0, s[24:25], v[29:30]
	v_mad_u32_u24 v29, v0, 15, 3
	s_and_b32 s3, vcc_lo, s16
	s_delay_alu instid0(SALU_CYCLE_1) | instskip(NEXT) | instid1(VALU_DEP_2)
	v_cndmask_b32_e64 v76, 0, 1, s3
	v_cmp_gt_u64_e64 s1, s[24:25], v[29:30]
	v_mad_u32_u24 v29, v0, 15, 2
	s_and_b32 s0, s0, s17
	s_delay_alu instid0(SALU_CYCLE_1) | instskip(NEXT) | instid1(VALU_DEP_2)
	v_cndmask_b32_e64 v77, 0, 1, s0
	v_cmp_gt_u64_e64 s2, s[24:25], v[29:30]
	v_mad_u32_u24 v29, v0, 15, 1
	s_and_b32 s0, s1, s19
	s_mov_b32 s1, 1
	v_cndmask_b32_e64 v78, 0, 1, s0
	s_delay_alu instid0(VALU_DEP_2) | instskip(SKIP_4) | instid1(SALU_CYCLE_1)
	v_cmp_gt_u64_e32 vcc_lo, s[24:25], v[29:30]
	s_and_b32 s0, s2, s20
	s_mov_b32 s2, exec_lo
	v_cndmask_b32_e64 v79, 0, 1, s0
	s_and_b32 s0, vcc_lo, s21
	v_cndmask_b32_e64 v80, 0, 1, s0
                                        ; implicit-def: $sgpr0
	v_cmpx_ne_u32_e32 0, v0
	s_cbranch_execz .LBB722_186
; %bb.148:
	v_add_nc_u32_e32 v29, -8, v31
	s_or_b32 s41, s41, exec_lo
	ds_load_b64 v[31:32], v29
	v_mul_u32_u24_e32 v29, 15, v0
	s_delay_alu instid0(VALU_DEP_1) | instskip(SKIP_2) | instid1(VALU_DEP_1)
	v_cmp_gt_u64_e32 vcc_lo, s[24:25], v[29:30]
	s_waitcnt lgkmcnt(0)
	v_cmp_ne_u64_e64 s0, v[31:32], v[25:26]
	s_and_b32 s0, vcc_lo, s0
	s_delay_alu instid0(SALU_CYCLE_1)
	s_and_b32 s0, s0, exec_lo
	s_or_b32 exec_lo, exec_lo, s2
	v_mov_b32_e32 v93, s1
	s_and_saveexec_b32 s1, s41
	s_cbranch_execz .LBB722_73
	s_branch .LBB722_72
.LBB722_149:
	s_or_b32 exec_lo, exec_lo, s17
	s_and_saveexec_b32 s17, s13
	s_cbranch_execz .LBB722_123
.LBB722_150:
	v_sub_nc_u32_e32 v83, v61, v31
	v_mov_b32_e32 v84, 0
	s_delay_alu instid0(VALU_DEP_1) | instskip(NEXT) | instid1(VALU_DEP_1)
	v_lshlrev_b64 v[83:84], 3, v[83:84]
	v_add_co_u32 v83, vcc_lo, v30, v83
	s_delay_alu instid0(VALU_DEP_2)
	v_add_co_ci_u32_e32 v84, vcc_lo, v81, v84, vcc_lo
	global_store_b64 v[83:84], v[27:28], off
	s_or_b32 exec_lo, exec_lo, s17
	s_and_saveexec_b32 s17, s12
	s_cbranch_execnz .LBB722_124
.LBB722_151:
	s_or_b32 exec_lo, exec_lo, s17
	s_and_saveexec_b32 s17, s11
	s_cbranch_execz .LBB722_125
.LBB722_152:
	v_sub_nc_u32_e32 v83, v53, v31
	v_mov_b32_e32 v84, 0
	s_delay_alu instid0(VALU_DEP_1) | instskip(NEXT) | instid1(VALU_DEP_1)
	v_lshlrev_b64 v[83:84], 3, v[83:84]
	v_add_co_u32 v83, vcc_lo, v30, v83
	s_delay_alu instid0(VALU_DEP_2)
	v_add_co_ci_u32_e32 v84, vcc_lo, v81, v84, vcc_lo
	global_store_b64 v[83:84], v[23:24], off
	s_or_b32 exec_lo, exec_lo, s17
	s_and_saveexec_b32 s17, s10
	s_cbranch_execnz .LBB722_126
.LBB722_153:
	s_or_b32 exec_lo, exec_lo, s17
	s_and_saveexec_b32 s17, s9
	s_cbranch_execz .LBB722_127
.LBB722_154:
	v_sub_nc_u32_e32 v83, v43, v31
	v_mov_b32_e32 v84, 0
	s_delay_alu instid0(VALU_DEP_1) | instskip(NEXT) | instid1(VALU_DEP_1)
	v_lshlrev_b64 v[83:84], 3, v[83:84]
	v_add_co_u32 v83, vcc_lo, v30, v83
	s_delay_alu instid0(VALU_DEP_2)
	v_add_co_ci_u32_e32 v84, vcc_lo, v81, v84, vcc_lo
	global_store_b64 v[83:84], v[19:20], off
	s_or_b32 exec_lo, exec_lo, s17
	s_and_saveexec_b32 s17, s7
	s_cbranch_execnz .LBB722_128
.LBB722_155:
	s_or_b32 exec_lo, exec_lo, s17
	s_and_saveexec_b32 s17, s5
	s_cbranch_execz .LBB722_129
.LBB722_156:
	v_sub_nc_u32_e32 v83, v45, v31
	v_mov_b32_e32 v84, 0
	s_delay_alu instid0(VALU_DEP_1) | instskip(NEXT) | instid1(VALU_DEP_1)
	v_lshlrev_b64 v[83:84], 3, v[83:84]
	v_add_co_u32 v83, vcc_lo, v30, v83
	s_delay_alu instid0(VALU_DEP_2)
	v_add_co_ci_u32_e32 v84, vcc_lo, v81, v84, vcc_lo
	global_store_b64 v[83:84], v[15:16], off
	s_or_b32 exec_lo, exec_lo, s17
	s_and_saveexec_b32 s17, s8
	s_cbranch_execnz .LBB722_130
.LBB722_157:
	s_or_b32 exec_lo, exec_lo, s17
	s_and_saveexec_b32 s17, s6
	s_cbranch_execz .LBB722_131
.LBB722_158:
	v_sub_nc_u32_e32 v83, v33, v31
	v_mov_b32_e32 v84, 0
	s_delay_alu instid0(VALU_DEP_1) | instskip(NEXT) | instid1(VALU_DEP_1)
	v_lshlrev_b64 v[83:84], 3, v[83:84]
	v_add_co_u32 v83, vcc_lo, v30, v83
	s_delay_alu instid0(VALU_DEP_2)
	v_add_co_ci_u32_e32 v84, vcc_lo, v81, v84, vcc_lo
	global_store_b64 v[83:84], v[11:12], off
	s_or_b32 exec_lo, exec_lo, s17
	s_and_saveexec_b32 s17, s4
	s_cbranch_execnz .LBB722_132
.LBB722_159:
	s_or_b32 exec_lo, exec_lo, s17
	s_and_saveexec_b32 s17, s3
	s_cbranch_execz .LBB722_133
.LBB722_160:
	v_sub_nc_u32_e32 v83, v39, v31
	v_mov_b32_e32 v84, 0
	s_delay_alu instid0(VALU_DEP_1) | instskip(NEXT) | instid1(VALU_DEP_1)
	v_lshlrev_b64 v[83:84], 3, v[83:84]
	v_add_co_u32 v83, vcc_lo, v30, v83
	s_delay_alu instid0(VALU_DEP_2)
	v_add_co_ci_u32_e32 v84, vcc_lo, v81, v84, vcc_lo
	global_store_b64 v[83:84], v[7:8], off
	s_or_b32 exec_lo, exec_lo, s17
	s_and_saveexec_b32 s17, s2
	s_cbranch_execnz .LBB722_134
.LBB722_161:
	s_or_b32 exec_lo, exec_lo, s17
	s_and_saveexec_b32 s17, s1
	s_cbranch_execz .LBB722_163
.LBB722_162:
	v_sub_nc_u32_e32 v83, v59, v31
	v_mov_b32_e32 v84, 0
	s_delay_alu instid0(VALU_DEP_1) | instskip(NEXT) | instid1(VALU_DEP_1)
	v_lshlrev_b64 v[83:84], 3, v[83:84]
	v_add_co_u32 v83, vcc_lo, v30, v83
	s_delay_alu instid0(VALU_DEP_2)
	v_add_co_ci_u32_e32 v84, vcc_lo, v81, v84, vcc_lo
	global_store_b64 v[83:84], v[3:4], off
.LBB722_163:
	s_or_b32 exec_lo, exec_lo, s17
	s_delay_alu instid0(SALU_CYCLE_1)
	s_and_b32 s17, s0, exec_lo
	s_and_not1_saveexec_b32 s15, s15
	s_cbranch_execnz .LBB722_145
.LBB722_164:
	s_or_b32 exec_lo, exec_lo, s15
	s_delay_alu instid0(SALU_CYCLE_1)
	s_and_b32 exec_lo, exec_lo, s17
	s_cbranch_execz .LBB722_166
.LBB722_165:
	v_sub_nc_u32_e32 v83, v51, v31
	v_mov_b32_e32 v84, 0
	s_delay_alu instid0(VALU_DEP_1) | instskip(NEXT) | instid1(VALU_DEP_1)
	v_lshlrev_b64 v[83:84], 3, v[83:84]
	v_add_co_u32 v83, vcc_lo, v30, v83
	s_delay_alu instid0(VALU_DEP_2)
	v_add_co_ci_u32_e32 v84, vcc_lo, v81, v84, vcc_lo
	global_store_b64 v[83:84], v[37:38], off
.LBB722_166:
	s_or_b32 exec_lo, exec_lo, s16
	s_mov_b32 s16, 0
.LBB722_167:
	s_delay_alu instid0(SALU_CYCLE_1)
	s_and_b32 vcc_lo, exec_lo, s16
	s_cbranch_vccz .LBB722_208
; %bb.168:
	s_mov_b32 s15, exec_lo
	v_cmpx_gt_i16_e32 2, v82
	s_cbranch_execz .LBB722_204
; %bb.169:
	s_mov_b32 s17, 0
	s_mov_b32 s16, exec_lo
	v_cmpx_ne_u16_e32 1, v82
	s_xor_b32 s16, exec_lo, s16
	s_cbranch_execz .LBB722_184
; %bb.170:
	s_and_saveexec_b32 s17, s14
	s_cbranch_execz .LBB722_187
; %bb.171:
	v_sub_nc_u32_e32 v82, v55, v31
	s_delay_alu instid0(VALU_DEP_1)
	v_lshlrev_b32_e32 v82, 3, v82
	ds_store_b64 v82, v[25:26]
	s_or_b32 exec_lo, exec_lo, s17
	s_and_saveexec_b32 s14, s13
	s_cbranch_execnz .LBB722_188
.LBB722_172:
	s_or_b32 exec_lo, exec_lo, s14
	s_and_saveexec_b32 s13, s12
	s_cbranch_execz .LBB722_189
.LBB722_173:
	v_sub_nc_u32_e32 v25, v57, v31
	s_delay_alu instid0(VALU_DEP_1)
	v_lshlrev_b32_e32 v25, 3, v25
	ds_store_b64 v25, v[21:22]
	s_or_b32 exec_lo, exec_lo, s13
	s_and_saveexec_b32 s12, s11
	s_cbranch_execnz .LBB722_190
.LBB722_174:
	s_or_b32 exec_lo, exec_lo, s12
	s_and_saveexec_b32 s11, s10
	s_cbranch_execz .LBB722_191
.LBB722_175:
	v_sub_nc_u32_e32 v21, v47, v31
	s_delay_alu instid0(VALU_DEP_1)
	v_lshlrev_b32_e32 v21, 3, v21
	ds_store_b64 v21, v[17:18]
	s_or_b32 exec_lo, exec_lo, s11
	s_and_saveexec_b32 s10, s9
	s_cbranch_execnz .LBB722_192
.LBB722_176:
	s_or_b32 exec_lo, exec_lo, s10
	s_and_saveexec_b32 s9, s7
	s_cbranch_execz .LBB722_193
.LBB722_177:
	v_sub_nc_u32_e32 v17, v41, v31
	s_delay_alu instid0(VALU_DEP_1)
	v_lshlrev_b32_e32 v17, 3, v17
	ds_store_b64 v17, v[13:14]
	s_or_b32 exec_lo, exec_lo, s9
	s_and_saveexec_b32 s7, s5
	s_cbranch_execnz .LBB722_194
.LBB722_178:
	s_or_b32 exec_lo, exec_lo, s7
	s_and_saveexec_b32 s5, s8
	s_cbranch_execz .LBB722_195
.LBB722_179:
	v_sub_nc_u32_e32 v13, v49, v31
	s_delay_alu instid0(VALU_DEP_1)
	v_lshlrev_b32_e32 v13, 3, v13
	ds_store_b64 v13, v[9:10]
	s_or_b32 exec_lo, exec_lo, s5
	s_and_saveexec_b32 s5, s6
	s_cbranch_execnz .LBB722_196
.LBB722_180:
	s_or_b32 exec_lo, exec_lo, s5
	s_and_saveexec_b32 s5, s4
	s_cbranch_execz .LBB722_197
.LBB722_181:
	v_sub_nc_u32_e32 v9, v35, v31
	s_delay_alu instid0(VALU_DEP_1)
	v_lshlrev_b32_e32 v9, 3, v9
	ds_store_b64 v9, v[5:6]
	s_or_b32 exec_lo, exec_lo, s5
	s_and_saveexec_b32 s4, s3
	s_cbranch_execnz .LBB722_198
.LBB722_182:
	s_or_b32 exec_lo, exec_lo, s4
	s_and_saveexec_b32 s3, s2
	s_cbranch_execz .LBB722_199
.LBB722_183:
	v_sub_nc_u32_e32 v5, v63, v31
	s_delay_alu instid0(VALU_DEP_1)
	v_lshlrev_b32_e32 v5, 3, v5
	ds_store_b64 v5, v[1:2]
	s_or_b32 exec_lo, exec_lo, s3
	s_and_saveexec_b32 s2, s1
	s_cbranch_execnz .LBB722_200
	s_branch .LBB722_201
.LBB722_184:
	s_and_not1_saveexec_b32 s0, s16
	s_cbranch_execz .LBB722_202
.LBB722_185:
	v_sub_nc_u32_e32 v82, v55, v31
	v_sub_nc_u32_e32 v83, v61, v31
	;; [unrolled: 1-line block ×4, first 2 shown]
	s_or_b32 s17, s17, exec_lo
	v_lshlrev_b32_e32 v82, 3, v82
	v_lshlrev_b32_e32 v83, 3, v83
	;; [unrolled: 1-line block ×4, first 2 shown]
	ds_store_b64 v82, v[25:26]
	ds_store_b64 v83, v[27:28]
	;; [unrolled: 1-line block ×3, first 2 shown]
	v_sub_nc_u32_e32 v21, v47, v31
	v_sub_nc_u32_e32 v22, v43, v31
	ds_store_b64 v85, v[23:24]
	v_sub_nc_u32_e32 v23, v41, v31
	v_sub_nc_u32_e32 v24, v45, v31
	v_lshlrev_b32_e32 v21, 3, v21
	v_sub_nc_u32_e32 v25, v49, v31
	v_lshlrev_b32_e32 v22, 3, v22
	v_lshlrev_b32_e32 v23, 3, v23
	;; [unrolled: 1-line block ×3, first 2 shown]
	ds_store_b64 v21, v[17:18]
	v_lshlrev_b32_e32 v17, 3, v25
	ds_store_b64 v22, v[19:20]
	ds_store_b64 v23, v[13:14]
	;; [unrolled: 1-line block ×3, first 2 shown]
	v_sub_nc_u32_e32 v13, v33, v31
	v_sub_nc_u32_e32 v15, v59, v31
	;; [unrolled: 1-line block ×3, first 2 shown]
	ds_store_b64 v17, v[9:10]
	v_sub_nc_u32_e32 v9, v35, v31
	v_lshlrev_b32_e32 v13, 3, v13
	v_sub_nc_u32_e32 v10, v39, v31
	v_lshlrev_b32_e32 v14, 3, v14
	s_delay_alu instid0(VALU_DEP_4)
	v_lshlrev_b32_e32 v9, 3, v9
	ds_store_b64 v13, v[11:12]
	v_lshlrev_b32_e32 v11, 3, v15
	v_lshlrev_b32_e32 v10, 3, v10
	ds_store_b64 v9, v[5:6]
	ds_store_b64 v10, v[7:8]
	;; [unrolled: 1-line block ×4, first 2 shown]
	s_or_b32 exec_lo, exec_lo, s0
	s_delay_alu instid0(SALU_CYCLE_1)
	s_and_b32 exec_lo, exec_lo, s17
	s_cbranch_execnz .LBB722_203
	s_branch .LBB722_204
.LBB722_186:
	s_or_b32 exec_lo, exec_lo, s2
	v_mov_b32_e32 v93, s1
	s_and_saveexec_b32 s1, s41
	s_cbranch_execnz .LBB722_72
	s_branch .LBB722_73
.LBB722_187:
	s_or_b32 exec_lo, exec_lo, s17
	s_and_saveexec_b32 s14, s13
	s_cbranch_execz .LBB722_172
.LBB722_188:
	v_sub_nc_u32_e32 v25, v61, v31
	s_delay_alu instid0(VALU_DEP_1)
	v_lshlrev_b32_e32 v25, 3, v25
	ds_store_b64 v25, v[27:28]
	s_or_b32 exec_lo, exec_lo, s14
	s_and_saveexec_b32 s13, s12
	s_cbranch_execnz .LBB722_173
.LBB722_189:
	s_or_b32 exec_lo, exec_lo, s13
	s_and_saveexec_b32 s12, s11
	s_cbranch_execz .LBB722_174
.LBB722_190:
	v_sub_nc_u32_e32 v21, v53, v31
	s_delay_alu instid0(VALU_DEP_1)
	v_lshlrev_b32_e32 v21, 3, v21
	ds_store_b64 v21, v[23:24]
	s_or_b32 exec_lo, exec_lo, s12
	s_and_saveexec_b32 s11, s10
	s_cbranch_execnz .LBB722_175
.LBB722_191:
	s_or_b32 exec_lo, exec_lo, s11
	s_and_saveexec_b32 s10, s9
	s_cbranch_execz .LBB722_176
.LBB722_192:
	v_sub_nc_u32_e32 v17, v43, v31
	s_delay_alu instid0(VALU_DEP_1)
	v_lshlrev_b32_e32 v17, 3, v17
	ds_store_b64 v17, v[19:20]
	s_or_b32 exec_lo, exec_lo, s10
	s_and_saveexec_b32 s9, s7
	s_cbranch_execnz .LBB722_177
.LBB722_193:
	s_or_b32 exec_lo, exec_lo, s9
	s_and_saveexec_b32 s7, s5
	s_cbranch_execz .LBB722_178
.LBB722_194:
	v_sub_nc_u32_e32 v13, v45, v31
	s_delay_alu instid0(VALU_DEP_1)
	v_lshlrev_b32_e32 v13, 3, v13
	ds_store_b64 v13, v[15:16]
	s_or_b32 exec_lo, exec_lo, s7
	s_and_saveexec_b32 s5, s8
	s_cbranch_execnz .LBB722_179
.LBB722_195:
	s_or_b32 exec_lo, exec_lo, s5
	s_and_saveexec_b32 s5, s6
	s_cbranch_execz .LBB722_180
.LBB722_196:
	v_sub_nc_u32_e32 v9, v33, v31
	s_delay_alu instid0(VALU_DEP_1)
	v_lshlrev_b32_e32 v9, 3, v9
	ds_store_b64 v9, v[11:12]
	s_or_b32 exec_lo, exec_lo, s5
	s_and_saveexec_b32 s5, s4
	s_cbranch_execnz .LBB722_181
.LBB722_197:
	s_or_b32 exec_lo, exec_lo, s5
	s_and_saveexec_b32 s4, s3
	s_cbranch_execz .LBB722_182
.LBB722_198:
	v_sub_nc_u32_e32 v5, v39, v31
	s_delay_alu instid0(VALU_DEP_1)
	v_lshlrev_b32_e32 v5, 3, v5
	ds_store_b64 v5, v[7:8]
	s_or_b32 exec_lo, exec_lo, s4
	s_and_saveexec_b32 s3, s2
	s_cbranch_execnz .LBB722_183
.LBB722_199:
	s_or_b32 exec_lo, exec_lo, s3
	s_and_saveexec_b32 s2, s1
	s_cbranch_execz .LBB722_201
.LBB722_200:
	v_sub_nc_u32_e32 v1, v59, v31
	s_delay_alu instid0(VALU_DEP_1)
	v_lshlrev_b32_e32 v1, 3, v1
	ds_store_b64 v1, v[3:4]
.LBB722_201:
	s_or_b32 exec_lo, exec_lo, s2
	s_delay_alu instid0(SALU_CYCLE_1)
	s_and_b32 s17, s0, exec_lo
                                        ; implicit-def: $vgpr25_vgpr26
                                        ; implicit-def: $vgpr21_vgpr22
                                        ; implicit-def: $vgpr17_vgpr18
                                        ; implicit-def: $vgpr13_vgpr14
                                        ; implicit-def: $vgpr9_vgpr10
                                        ; implicit-def: $vgpr5_vgpr6
                                        ; implicit-def: $vgpr1_vgpr2
	s_and_not1_saveexec_b32 s0, s16
	s_cbranch_execnz .LBB722_185
.LBB722_202:
	s_or_b32 exec_lo, exec_lo, s0
	s_delay_alu instid0(SALU_CYCLE_1)
	s_and_b32 exec_lo, exec_lo, s17
	s_cbranch_execz .LBB722_204
.LBB722_203:
	v_sub_nc_u32_e32 v1, v51, v31
	s_delay_alu instid0(VALU_DEP_1)
	v_lshlrev_b32_e32 v1, 3, v1
	ds_store_b64 v1, v[37:38]
.LBB722_204:
	s_or_b32 exec_lo, exec_lo, s15
	s_delay_alu instid0(SALU_CYCLE_1)
	s_mov_b32 s1, exec_lo
	s_waitcnt lgkmcnt(0)
	s_waitcnt_vscnt null, 0x0
	s_barrier
	buffer_gl0_inv
	v_cmpx_lt_u32_e64 v0, v29
	s_cbranch_execz .LBB722_207
; %bb.205:
	v_dual_mov_b32 v2, 0 :: v_dual_lshlrev_b32 v3, 3, v0
	v_mov_b32_e32 v1, v0
	s_mov_b32 s2, 0
	.p2align	6
.LBB722_206:                            ; =>This Inner Loop Header: Depth=1
	ds_load_b64 v[4:5], v3
	v_lshlrev_b64 v[6:7], 3, v[1:2]
	v_add_nc_u32_e32 v1, 0x100, v1
	v_add_nc_u32_e32 v3, 0x800, v3
	s_delay_alu instid0(VALU_DEP_2) | instskip(NEXT) | instid1(VALU_DEP_4)
	v_cmp_ge_u32_e32 vcc_lo, v1, v29
	v_add_co_u32 v6, s0, v30, v6
	s_delay_alu instid0(VALU_DEP_1)
	v_add_co_ci_u32_e64 v7, s0, v81, v7, s0
	s_or_b32 s2, vcc_lo, s2
	s_waitcnt lgkmcnt(0)
	global_store_b64 v[6:7], v[4:5], off
	s_and_not1_b32 exec_lo, exec_lo, s2
	s_cbranch_execnz .LBB722_206
.LBB722_207:
	s_or_b32 exec_lo, exec_lo, s1
.LBB722_208:
	s_cmpk_lg_i32 s33, 0xf00
	v_cmp_eq_u32_e32 vcc_lo, 0, v0
	s_cselect_b32 s0, -1, 0
	v_cndmask_b32_e64 v8, 0, 1, s40
	s_and_b32 s0, s23, s0
	v_mad_i32_i24 v4, v0, -15, s33
	v_cndmask_b32_e64 v2, 0, 1, s0
	s_mul_hi_u32 s0, s33, 0x88888889
	s_and_b32 s1, vcc_lo, s40
	s_lshr_b32 s0, s0, 3
	v_sub_nc_u32_e32 v1, v29, v8
	v_cndmask_b32_e64 v5, v93, 0, s1
	v_cmp_eq_u32_e32 vcc_lo, s0, v0
	v_cmp_ne_u32_e64 s0, 0, v4
	s_mov_b32 s16, -1
	s_waitcnt_vscnt null, 0x0
	s_barrier
	s_and_b32 vcc_lo, s23, vcc_lo
	v_add_nc_u32_e32 v3, v1, v2
	v_cndmask_b32_e64 v1, 1, v5, s0
	v_cmp_ne_u32_e64 s0, 1, v4
	buffer_gl0_inv
	v_cndmask_b32_e64 v2, 1, v80, s0
	v_cmp_ne_u32_e64 s0, 2, v4
	s_delay_alu instid0(VALU_DEP_2) | instskip(NEXT) | instid1(VALU_DEP_2)
	v_dual_cndmask_b32 v12, v5, v1 :: v_dual_cndmask_b32 v13, v80, v2
	v_cndmask_b32_e64 v6, 1, v79, s0
	v_cmp_ne_u32_e64 s0, 14, v4
	s_delay_alu instid0(VALU_DEP_3) | instskip(NEXT) | instid1(VALU_DEP_4)
	v_cmp_ne_u32_e64 s14, 0, v12
	v_cmp_ne_u32_e64 s13, 0, v13
	s_delay_alu instid0(VALU_DEP_4) | instskip(NEXT) | instid1(VALU_DEP_4)
	v_cndmask_b32_e32 v14, v79, v6, vcc_lo
	v_cndmask_b32_e64 v7, 1, v73, s0
	v_cmp_ne_u32_e64 s0, 3, v4
	s_delay_alu instid0(VALU_DEP_3) | instskip(NEXT) | instid1(VALU_DEP_3)
	v_cmp_ne_u32_e64 s12, 0, v14
	v_cndmask_b32_e32 v11, v73, v7, vcc_lo
	s_delay_alu instid0(VALU_DEP_3) | instskip(SKIP_1) | instid1(VALU_DEP_1)
	v_cndmask_b32_e64 v9, 1, v78, s0
	v_cmp_ne_u32_e64 s0, 4, v4
	v_cndmask_b32_e64 v10, 1, v77, s0
	v_cmp_ne_u32_e64 s0, 5, v4
	s_delay_alu instid0(VALU_DEP_2) | instskip(NEXT) | instid1(VALU_DEP_2)
	v_dual_cndmask_b32 v9, v78, v9 :: v_dual_cndmask_b32 v10, v77, v10
	v_cndmask_b32_e64 v1, 1, v76, s0
	v_cmp_ne_u32_e64 s0, 6, v4
	s_delay_alu instid0(VALU_DEP_3) | instskip(NEXT) | instid1(VALU_DEP_4)
	v_cmp_ne_u32_e64 s11, 0, v9
	v_cmp_ne_u32_e64 s10, 0, v10
	s_delay_alu instid0(VALU_DEP_4) | instskip(NEXT) | instid1(VALU_DEP_4)
	v_cndmask_b32_e32 v18, v76, v1, vcc_lo
	v_cndmask_b32_e64 v2, 1, v75, s0
	v_cmp_eq_u32_e64 s0, 0, v12
	s_delay_alu instid0(VALU_DEP_3) | instskip(NEXT) | instid1(VALU_DEP_3)
	v_cmp_ne_u32_e64 s9, 0, v18
	v_cndmask_b32_e32 v20, v75, v2, vcc_lo
	s_delay_alu instid0(VALU_DEP_3) | instskip(SKIP_1) | instid1(VALU_DEP_3)
	v_cndmask_b32_e64 v5, 1, 2, s0
	v_cmp_eq_u32_e64 s0, 0, v13
	v_cmp_ne_u32_e64 s8, 0, v20
	s_delay_alu instid0(VALU_DEP_2) | instskip(SKIP_1) | instid1(VALU_DEP_2)
	v_cndmask_b32_e64 v7, 1, 2, s0
	v_cmp_ne_u32_e64 s0, 7, v4
	v_and_b32_e32 v5, v7, v5
	s_delay_alu instid0(VALU_DEP_2) | instskip(SKIP_1) | instid1(VALU_DEP_2)
	v_cndmask_b32_e64 v6, 1, v74, s0
	v_cmp_eq_u32_e64 s0, 0, v14
	v_cndmask_b32_e32 v21, v74, v6, vcc_lo
	s_delay_alu instid0(VALU_DEP_2) | instskip(SKIP_1) | instid1(VALU_DEP_3)
	v_cndmask_b32_e64 v7, 1, 2, s0
	v_cmp_ne_u32_e64 s0, 8, v4
	v_cmp_ne_u32_e64 s7, 0, v21
	s_delay_alu instid0(VALU_DEP_3) | instskip(NEXT) | instid1(VALU_DEP_3)
	v_and_b32_e32 v5, v5, v7
	v_cndmask_b32_e64 v15, 1, v72, s0
	v_cmp_ne_u32_e64 s0, 9, v4
	s_delay_alu instid0(VALU_DEP_2) | instskip(NEXT) | instid1(VALU_DEP_2)
	v_cndmask_b32_e32 v15, v72, v15, vcc_lo
	v_cndmask_b32_e64 v16, 1, v71, s0
	v_cmp_eq_u32_e64 s0, 0, v9
	s_delay_alu instid0(VALU_DEP_2) | instskip(NEXT) | instid1(VALU_DEP_2)
	v_cndmask_b32_e32 v16, v71, v16, vcc_lo
	v_cndmask_b32_e64 v7, 1, 2, s0
	v_cmp_ne_u32_e64 s0, 10, v4
	s_delay_alu instid0(VALU_DEP_3) | instskip(NEXT) | instid1(VALU_DEP_3)
	v_cmp_ne_u32_e64 s5, 0, v16
	v_and_b32_e32 v1, v5, v7
	s_delay_alu instid0(VALU_DEP_3) | instskip(SKIP_1) | instid1(VALU_DEP_2)
	v_cndmask_b32_e64 v17, 1, v70, s0
	v_cmp_eq_u32_e64 s0, 0, v10
	v_cndmask_b32_e32 v17, v70, v17, vcc_lo
	s_delay_alu instid0(VALU_DEP_2) | instskip(SKIP_1) | instid1(VALU_DEP_3)
	v_cndmask_b32_e64 v5, 1, 2, s0
	v_cmp_ne_u32_e64 s0, 11, v4
	v_cmp_ne_u32_e64 s4, 0, v17
	s_delay_alu instid0(VALU_DEP_3) | instskip(NEXT) | instid1(VALU_DEP_3)
	v_and_b32_e32 v1, v1, v5
	v_cndmask_b32_e64 v7, 1, v69, s0
	v_cmp_ne_u32_e64 s0, 13, v4
	s_delay_alu instid0(VALU_DEP_2) | instskip(NEXT) | instid1(VALU_DEP_2)
	v_cndmask_b32_e32 v23, v69, v7, vcc_lo
	v_cndmask_b32_e64 v19, 1, v67, s0
	v_cmp_eq_u32_e64 s0, 0, v18
	s_delay_alu instid0(VALU_DEP_1) | instskip(SKIP_1) | instid1(VALU_DEP_2)
	v_cndmask_b32_e64 v5, 1, 2, s0
	v_cmp_ne_u32_e64 s0, 12, v4
	v_and_b32_e32 v1, v1, v5
	s_delay_alu instid0(VALU_DEP_2) | instskip(SKIP_1) | instid1(VALU_DEP_2)
	v_cndmask_b32_e64 v2, 1, v68, s0
	v_cmp_eq_u32_e64 s0, 0, v20
	v_cndmask_b32_e32 v22, v68, v2, vcc_lo
	s_delay_alu instid0(VALU_DEP_2)
	v_cndmask_b32_e64 v4, 1, 2, s0
	v_cmp_eq_u32_e64 s0, 0, v21
	v_cndmask_b32_e32 v19, v67, v19, vcc_lo
	v_cmp_eq_u32_e32 vcc_lo, 0, v15
	v_cmp_ne_u32_e64 s2, 0, v22
	v_and_b32_e32 v6, v1, v4
	v_lshlrev_b64 v[1:2], 2, v[65:66]
	v_cndmask_b32_e64 v7, 1, 2, s0
	v_lshlrev_b64 v[4:5], 2, v[31:32]
	v_cmp_ne_u32_e64 s1, 0, v19
	v_cmp_ne_u32_e64 s0, 0, v11
	s_delay_alu instid0(VALU_DEP_4) | instskip(SKIP_4) | instid1(VALU_DEP_4)
	v_and_b32_e32 v6, v6, v7
	v_cndmask_b32_e64 v7, 1, 2, vcc_lo
	v_add_co_u32 v1, vcc_lo, s28, v1
	v_add_co_ci_u32_e32 v2, vcc_lo, s29, v2, vcc_lo
	v_cmp_eq_u32_e32 vcc_lo, 0, v16
	v_and_b32_e32 v6, v6, v7
	v_cndmask_b32_e64 v7, 1, 2, vcc_lo
	v_add_co_u32 v4, vcc_lo, v1, v4
	v_add_co_ci_u32_e32 v5, vcc_lo, v2, v5, vcc_lo
	v_cmp_eq_u32_e32 vcc_lo, 0, v17
	v_lshlrev_b32_e32 v1, 2, v8
	v_and_b32_e32 v2, v6, v7
	v_cndmask_b32_e64 v6, 1, 2, vcc_lo
	s_delay_alu instid0(VALU_DEP_3) | instskip(SKIP_1) | instid1(VALU_DEP_3)
	v_add_co_u32 v1, vcc_lo, v1, v4
	v_add_co_ci_u32_e32 v7, vcc_lo, 0, v5, vcc_lo
	v_and_b32_e32 v2, v2, v6
	v_cmp_eq_u32_e32 vcc_lo, 0, v23
	v_cmp_ne_u32_e64 s3, 0, v23
	v_cndmask_b32_e64 v24, 1, 2, vcc_lo
	v_add_co_u32 v6, vcc_lo, v1, -4
	v_add_co_ci_u32_e32 v7, vcc_lo, -1, v7, vcc_lo
	v_cmp_eq_u32_e32 vcc_lo, 0, v22
	v_add_nc_u32_e32 v1, v31, v8
	v_and_b32_e32 v2, v2, v24
	v_cmp_ne_u32_e64 s6, 0, v15
	v_cndmask_b32_e64 v8, 1, 2, vcc_lo
	v_cmp_eq_u32_e32 vcc_lo, 0, v19
	s_delay_alu instid0(VALU_DEP_2) | instskip(SKIP_2) | instid1(VALU_DEP_2)
	v_and_b32_e32 v2, v2, v8
	v_cndmask_b32_e64 v8, 1, 2, vcc_lo
	v_cmp_eq_u32_e32 vcc_lo, 0, v11
	v_and_b32_e32 v2, v2, v8
	v_cndmask_b32_e64 v8, 1, 2, vcc_lo
	v_cmp_gt_u32_e32 vcc_lo, 0x100, v3
	s_delay_alu instid0(VALU_DEP_2) | instskip(NEXT) | instid1(VALU_DEP_1)
	v_and_b32_e32 v2, v2, v8
	v_cmp_gt_i16_e64 s15, 2, v2
	s_cbranch_vccz .LBB722_225
; %bb.209:
	s_delay_alu instid0(VALU_DEP_1)
	s_and_saveexec_b32 s16, s15
	s_cbranch_execz .LBB722_263
; %bb.210:
	s_mov_b32 s17, 0
	s_mov_b32 s15, exec_lo
	v_cmpx_ne_u16_e32 1, v2
	s_xor_b32 s15, exec_lo, s15
	s_cbranch_execz .LBB722_242
; %bb.211:
	s_and_saveexec_b32 s17, s14
	s_cbranch_execz .LBB722_246
; %bb.212:
	v_sub_nc_u32_e32 v8, v55, v1
	v_mov_b32_e32 v9, 0
	s_delay_alu instid0(VALU_DEP_1) | instskip(NEXT) | instid1(VALU_DEP_1)
	v_lshlrev_b64 v[8:9], 2, v[8:9]
	v_add_co_u32 v8, vcc_lo, v6, v8
	s_delay_alu instid0(VALU_DEP_2)
	v_add_co_ci_u32_e32 v9, vcc_lo, v7, v9, vcc_lo
	global_store_b32 v[8:9], v56, off
	s_or_b32 exec_lo, exec_lo, s17
	s_and_saveexec_b32 s17, s13
	s_cbranch_execnz .LBB722_247
.LBB722_213:
	s_or_b32 exec_lo, exec_lo, s17
	s_and_saveexec_b32 s17, s12
	s_cbranch_execz .LBB722_248
.LBB722_214:
	v_sub_nc_u32_e32 v8, v57, v1
	v_mov_b32_e32 v9, 0
	s_delay_alu instid0(VALU_DEP_1) | instskip(NEXT) | instid1(VALU_DEP_1)
	v_lshlrev_b64 v[8:9], 2, v[8:9]
	v_add_co_u32 v8, vcc_lo, v6, v8
	s_delay_alu instid0(VALU_DEP_2)
	v_add_co_ci_u32_e32 v9, vcc_lo, v7, v9, vcc_lo
	global_store_b32 v[8:9], v58, off
	s_or_b32 exec_lo, exec_lo, s17
	s_and_saveexec_b32 s17, s11
	s_cbranch_execnz .LBB722_249
.LBB722_215:
	s_or_b32 exec_lo, exec_lo, s17
	s_and_saveexec_b32 s17, s10
	s_cbranch_execz .LBB722_250
.LBB722_216:
	v_sub_nc_u32_e32 v8, v47, v1
	v_mov_b32_e32 v9, 0
	s_delay_alu instid0(VALU_DEP_1) | instskip(NEXT) | instid1(VALU_DEP_1)
	v_lshlrev_b64 v[8:9], 2, v[8:9]
	v_add_co_u32 v8, vcc_lo, v6, v8
	s_delay_alu instid0(VALU_DEP_2)
	v_add_co_ci_u32_e32 v9, vcc_lo, v7, v9, vcc_lo
	global_store_b32 v[8:9], v48, off
	s_or_b32 exec_lo, exec_lo, s17
	s_and_saveexec_b32 s17, s9
	s_cbranch_execnz .LBB722_251
.LBB722_217:
	s_or_b32 exec_lo, exec_lo, s17
	s_and_saveexec_b32 s17, s8
	s_cbranch_execz .LBB722_252
.LBB722_218:
	v_sub_nc_u32_e32 v8, v41, v1
	v_mov_b32_e32 v9, 0
	s_delay_alu instid0(VALU_DEP_1) | instskip(NEXT) | instid1(VALU_DEP_1)
	v_lshlrev_b64 v[8:9], 2, v[8:9]
	v_add_co_u32 v8, vcc_lo, v6, v8
	s_delay_alu instid0(VALU_DEP_2)
	v_add_co_ci_u32_e32 v9, vcc_lo, v7, v9, vcc_lo
	global_store_b32 v[8:9], v42, off
	s_or_b32 exec_lo, exec_lo, s17
	s_and_saveexec_b32 s17, s7
	s_cbranch_execnz .LBB722_253
.LBB722_219:
	s_or_b32 exec_lo, exec_lo, s17
	s_and_saveexec_b32 s17, s6
	s_cbranch_execz .LBB722_254
.LBB722_220:
	v_sub_nc_u32_e32 v8, v49, v1
	v_mov_b32_e32 v9, 0
	s_delay_alu instid0(VALU_DEP_1) | instskip(NEXT) | instid1(VALU_DEP_1)
	v_lshlrev_b64 v[8:9], 2, v[8:9]
	v_add_co_u32 v8, vcc_lo, v6, v8
	s_delay_alu instid0(VALU_DEP_2)
	v_add_co_ci_u32_e32 v9, vcc_lo, v7, v9, vcc_lo
	global_store_b32 v[8:9], v50, off
	s_or_b32 exec_lo, exec_lo, s17
	s_and_saveexec_b32 s17, s5
	s_cbranch_execnz .LBB722_255
.LBB722_221:
	s_or_b32 exec_lo, exec_lo, s17
	s_and_saveexec_b32 s17, s4
	s_cbranch_execz .LBB722_256
.LBB722_222:
	v_sub_nc_u32_e32 v8, v35, v1
	v_mov_b32_e32 v9, 0
	s_delay_alu instid0(VALU_DEP_1) | instskip(NEXT) | instid1(VALU_DEP_1)
	v_lshlrev_b64 v[8:9], 2, v[8:9]
	v_add_co_u32 v8, vcc_lo, v6, v8
	s_delay_alu instid0(VALU_DEP_2)
	v_add_co_ci_u32_e32 v9, vcc_lo, v7, v9, vcc_lo
	global_store_b32 v[8:9], v36, off
	s_or_b32 exec_lo, exec_lo, s17
	s_and_saveexec_b32 s17, s3
	s_cbranch_execnz .LBB722_257
.LBB722_223:
	s_or_b32 exec_lo, exec_lo, s17
	s_and_saveexec_b32 s17, s2
	s_cbranch_execz .LBB722_258
.LBB722_224:
	v_sub_nc_u32_e32 v8, v63, v1
	v_mov_b32_e32 v9, 0
	s_delay_alu instid0(VALU_DEP_1) | instskip(NEXT) | instid1(VALU_DEP_1)
	v_lshlrev_b64 v[8:9], 2, v[8:9]
	v_add_co_u32 v8, vcc_lo, v6, v8
	s_delay_alu instid0(VALU_DEP_2)
	v_add_co_ci_u32_e32 v9, vcc_lo, v7, v9, vcc_lo
	global_store_b32 v[8:9], v64, off
	s_or_b32 exec_lo, exec_lo, s17
	s_and_saveexec_b32 s17, s1
	s_cbranch_execnz .LBB722_259
	s_branch .LBB722_260
.LBB722_225:
	s_and_b32 vcc_lo, exec_lo, s16
	s_cbranch_vccz .LBB722_264
; %bb.226:
	s_mov_b32 s15, exec_lo
	v_cmpx_gt_i16_e32 2, v2
	s_cbranch_execz .LBB722_282
; %bb.227:
	s_mov_b32 s17, 0
	s_mov_b32 s16, exec_lo
	v_cmpx_ne_u16_e32 1, v2
	s_xor_b32 s16, exec_lo, s16
	s_cbranch_execz .LBB722_244
; %bb.228:
	s_and_saveexec_b32 s17, s14
	s_cbranch_execz .LBB722_265
; %bb.229:
	v_sub_nc_u32_e32 v2, v55, v1
	s_delay_alu instid0(VALU_DEP_1)
	v_lshlrev_b32_e32 v2, 2, v2
	ds_store_b32 v2, v56
	s_or_b32 exec_lo, exec_lo, s17
	s_and_saveexec_b32 s14, s13
	s_cbranch_execnz .LBB722_266
.LBB722_230:
	s_or_b32 exec_lo, exec_lo, s14
	s_and_saveexec_b32 s13, s12
	s_cbranch_execz .LBB722_267
.LBB722_231:
	v_sub_nc_u32_e32 v2, v57, v1
	s_delay_alu instid0(VALU_DEP_1)
	v_lshlrev_b32_e32 v2, 2, v2
	ds_store_b32 v2, v58
	s_or_b32 exec_lo, exec_lo, s13
	s_and_saveexec_b32 s12, s11
	s_cbranch_execnz .LBB722_268
.LBB722_232:
	s_or_b32 exec_lo, exec_lo, s12
	s_and_saveexec_b32 s11, s10
	s_cbranch_execz .LBB722_269
.LBB722_233:
	v_sub_nc_u32_e32 v2, v47, v1
	s_delay_alu instid0(VALU_DEP_1)
	v_lshlrev_b32_e32 v2, 2, v2
	ds_store_b32 v2, v48
	s_or_b32 exec_lo, exec_lo, s11
	s_and_saveexec_b32 s10, s9
	s_cbranch_execnz .LBB722_270
.LBB722_234:
	s_or_b32 exec_lo, exec_lo, s10
	s_and_saveexec_b32 s9, s8
	s_cbranch_execz .LBB722_271
.LBB722_235:
	v_sub_nc_u32_e32 v2, v41, v1
	s_delay_alu instid0(VALU_DEP_1)
	v_lshlrev_b32_e32 v2, 2, v2
	ds_store_b32 v2, v42
	s_or_b32 exec_lo, exec_lo, s9
	s_and_saveexec_b32 s8, s7
	s_cbranch_execnz .LBB722_272
.LBB722_236:
	s_or_b32 exec_lo, exec_lo, s8
	s_and_saveexec_b32 s7, s6
	s_cbranch_execz .LBB722_273
.LBB722_237:
	v_sub_nc_u32_e32 v2, v49, v1
	s_delay_alu instid0(VALU_DEP_1)
	v_lshlrev_b32_e32 v2, 2, v2
	ds_store_b32 v2, v50
	s_or_b32 exec_lo, exec_lo, s7
	s_and_saveexec_b32 s6, s5
	s_cbranch_execnz .LBB722_274
.LBB722_238:
	s_or_b32 exec_lo, exec_lo, s6
	s_and_saveexec_b32 s5, s4
	s_cbranch_execz .LBB722_275
.LBB722_239:
	v_sub_nc_u32_e32 v2, v35, v1
	s_delay_alu instid0(VALU_DEP_1)
	v_lshlrev_b32_e32 v2, 2, v2
	ds_store_b32 v2, v36
	s_or_b32 exec_lo, exec_lo, s5
	s_and_saveexec_b32 s4, s3
	s_cbranch_execnz .LBB722_276
.LBB722_240:
	s_or_b32 exec_lo, exec_lo, s4
	s_and_saveexec_b32 s3, s2
	s_cbranch_execz .LBB722_277
.LBB722_241:
	v_sub_nc_u32_e32 v2, v63, v1
	s_delay_alu instid0(VALU_DEP_1)
	v_lshlrev_b32_e32 v2, 2, v2
	ds_store_b32 v2, v64
	s_or_b32 exec_lo, exec_lo, s3
	s_and_saveexec_b32 s2, s1
	s_cbranch_execnz .LBB722_278
	s_branch .LBB722_279
.LBB722_242:
	s_and_not1_saveexec_b32 s15, s15
	s_cbranch_execz .LBB722_261
.LBB722_243:
	v_sub_nc_u32_e32 v8, v55, v1
	v_mov_b32_e32 v9, 0
	s_or_b32 s17, s17, exec_lo
	s_delay_alu instid0(VALU_DEP_1) | instskip(SKIP_1) | instid1(VALU_DEP_1)
	v_lshlrev_b64 v[10:11], 2, v[8:9]
	v_sub_nc_u32_e32 v8, v61, v1
	v_lshlrev_b64 v[12:13], 2, v[8:9]
	v_sub_nc_u32_e32 v8, v57, v1
	s_delay_alu instid0(VALU_DEP_4) | instskip(SKIP_1) | instid1(VALU_DEP_3)
	v_add_co_u32 v10, vcc_lo, v6, v10
	v_add_co_ci_u32_e32 v11, vcc_lo, v7, v11, vcc_lo
	v_lshlrev_b64 v[14:15], 2, v[8:9]
	v_sub_nc_u32_e32 v8, v53, v1
	v_add_co_u32 v12, vcc_lo, v6, v12
	v_add_co_ci_u32_e32 v13, vcc_lo, v7, v13, vcc_lo
	global_store_b32 v[10:11], v56, off
	v_lshlrev_b64 v[10:11], 2, v[8:9]
	v_sub_nc_u32_e32 v8, v47, v1
	global_store_b32 v[12:13], v62, off
	v_add_co_u32 v12, vcc_lo, v6, v14
	v_add_co_ci_u32_e32 v13, vcc_lo, v7, v15, vcc_lo
	v_lshlrev_b64 v[14:15], 2, v[8:9]
	v_sub_nc_u32_e32 v8, v43, v1
	v_add_co_u32 v10, vcc_lo, v6, v10
	v_add_co_ci_u32_e32 v11, vcc_lo, v7, v11, vcc_lo
	s_delay_alu instid0(VALU_DEP_3) | instskip(SKIP_3) | instid1(VALU_DEP_3)
	v_lshlrev_b64 v[16:17], 2, v[8:9]
	v_sub_nc_u32_e32 v8, v41, v1
	v_add_co_u32 v14, vcc_lo, v6, v14
	v_add_co_ci_u32_e32 v15, vcc_lo, v7, v15, vcc_lo
	v_lshlrev_b64 v[18:19], 2, v[8:9]
	v_sub_nc_u32_e32 v8, v45, v1
	v_add_co_u32 v16, vcc_lo, v6, v16
	v_add_co_ci_u32_e32 v17, vcc_lo, v7, v17, vcc_lo
	s_clause 0x3
	global_store_b32 v[12:13], v58, off
	global_store_b32 v[10:11], v54, off
	global_store_b32 v[14:15], v48, off
	global_store_b32 v[16:17], v44, off
	v_lshlrev_b64 v[10:11], 2, v[8:9]
	v_sub_nc_u32_e32 v8, v49, v1
	v_add_co_u32 v12, vcc_lo, v6, v18
	v_add_co_ci_u32_e32 v13, vcc_lo, v7, v19, vcc_lo
	s_delay_alu instid0(VALU_DEP_3) | instskip(SKIP_3) | instid1(VALU_DEP_3)
	v_lshlrev_b64 v[14:15], 2, v[8:9]
	v_sub_nc_u32_e32 v8, v33, v1
	v_add_co_u32 v10, vcc_lo, v6, v10
	v_add_co_ci_u32_e32 v11, vcc_lo, v7, v11, vcc_lo
	v_lshlrev_b64 v[16:17], 2, v[8:9]
	v_sub_nc_u32_e32 v8, v35, v1
	v_add_co_u32 v14, vcc_lo, v6, v14
	v_add_co_ci_u32_e32 v15, vcc_lo, v7, v15, vcc_lo
	s_delay_alu instid0(VALU_DEP_3)
	v_lshlrev_b64 v[18:19], 2, v[8:9]
	v_sub_nc_u32_e32 v8, v39, v1
	v_add_co_u32 v16, vcc_lo, v6, v16
	v_add_co_ci_u32_e32 v17, vcc_lo, v7, v17, vcc_lo
	s_clause 0x3
	global_store_b32 v[12:13], v42, off
	global_store_b32 v[10:11], v46, off
	;; [unrolled: 1-line block ×4, first 2 shown]
	v_lshlrev_b64 v[10:11], 2, v[8:9]
	v_sub_nc_u32_e32 v8, v63, v1
	v_add_co_u32 v12, vcc_lo, v6, v18
	v_add_co_ci_u32_e32 v13, vcc_lo, v7, v19, vcc_lo
	s_delay_alu instid0(VALU_DEP_3) | instskip(SKIP_3) | instid1(VALU_DEP_3)
	v_lshlrev_b64 v[14:15], 2, v[8:9]
	v_sub_nc_u32_e32 v8, v59, v1
	v_add_co_u32 v10, vcc_lo, v6, v10
	v_add_co_ci_u32_e32 v11, vcc_lo, v7, v11, vcc_lo
	v_lshlrev_b64 v[8:9], 2, v[8:9]
	v_add_co_u32 v14, vcc_lo, v6, v14
	v_add_co_ci_u32_e32 v15, vcc_lo, v7, v15, vcc_lo
	s_clause 0x2
	global_store_b32 v[12:13], v36, off
	global_store_b32 v[10:11], v40, off
	;; [unrolled: 1-line block ×3, first 2 shown]
	v_add_co_u32 v8, vcc_lo, v6, v8
	v_add_co_ci_u32_e32 v9, vcc_lo, v7, v9, vcc_lo
	global_store_b32 v[8:9], v60, off
	s_or_b32 exec_lo, exec_lo, s15
	s_delay_alu instid0(SALU_CYCLE_1)
	s_and_b32 exec_lo, exec_lo, s17
	s_cbranch_execnz .LBB722_262
	s_branch .LBB722_263
.LBB722_244:
	s_and_not1_saveexec_b32 s0, s16
	s_cbranch_execz .LBB722_280
.LBB722_245:
	v_sub_nc_u32_e32 v2, v55, v1
	v_sub_nc_u32_e32 v8, v61, v1
	;; [unrolled: 1-line block ×5, first 2 shown]
	v_lshlrev_b32_e32 v2, 2, v2
	v_lshlrev_b32_e32 v8, 2, v8
	;; [unrolled: 1-line block ×4, first 2 shown]
	s_or_b32 s17, s17, exec_lo
	ds_store_b32 v2, v56
	ds_store_b32 v8, v62
	;; [unrolled: 1-line block ×3, first 2 shown]
	v_sub_nc_u32_e32 v2, v47, v1
	v_sub_nc_u32_e32 v8, v43, v1
	;; [unrolled: 1-line block ×3, first 2 shown]
	ds_store_b32 v10, v54
	v_sub_nc_u32_e32 v10, v45, v1
	v_lshlrev_b32_e32 v2, 2, v2
	v_lshlrev_b32_e32 v8, 2, v8
	;; [unrolled: 1-line block ×3, first 2 shown]
	s_delay_alu instid0(VALU_DEP_4)
	v_lshlrev_b32_e32 v10, 2, v10
	ds_store_b32 v2, v48
	v_lshlrev_b32_e32 v2, 2, v11
	ds_store_b32 v8, v44
	ds_store_b32 v9, v42
	;; [unrolled: 1-line block ×3, first 2 shown]
	v_sub_nc_u32_e32 v8, v33, v1
	v_sub_nc_u32_e32 v11, v59, v1
	;; [unrolled: 1-line block ×3, first 2 shown]
	ds_store_b32 v2, v50
	v_sub_nc_u32_e32 v2, v35, v1
	v_lshlrev_b32_e32 v8, 2, v8
	v_sub_nc_u32_e32 v10, v63, v1
	v_lshlrev_b32_e32 v9, 2, v9
	s_delay_alu instid0(VALU_DEP_4)
	v_lshlrev_b32_e32 v2, 2, v2
	ds_store_b32 v8, v34
	v_lshlrev_b32_e32 v8, 2, v11
	v_lshlrev_b32_e32 v10, 2, v10
	ds_store_b32 v2, v36
	ds_store_b32 v9, v40
	;; [unrolled: 1-line block ×4, first 2 shown]
	s_or_b32 exec_lo, exec_lo, s0
	s_delay_alu instid0(SALU_CYCLE_1)
	s_and_b32 exec_lo, exec_lo, s17
	s_cbranch_execnz .LBB722_281
	s_branch .LBB722_282
.LBB722_246:
	s_or_b32 exec_lo, exec_lo, s17
	s_and_saveexec_b32 s17, s13
	s_cbranch_execz .LBB722_213
.LBB722_247:
	v_sub_nc_u32_e32 v8, v61, v1
	v_mov_b32_e32 v9, 0
	s_delay_alu instid0(VALU_DEP_1) | instskip(NEXT) | instid1(VALU_DEP_1)
	v_lshlrev_b64 v[8:9], 2, v[8:9]
	v_add_co_u32 v8, vcc_lo, v6, v8
	s_delay_alu instid0(VALU_DEP_2)
	v_add_co_ci_u32_e32 v9, vcc_lo, v7, v9, vcc_lo
	global_store_b32 v[8:9], v62, off
	s_or_b32 exec_lo, exec_lo, s17
	s_and_saveexec_b32 s17, s12
	s_cbranch_execnz .LBB722_214
.LBB722_248:
	s_or_b32 exec_lo, exec_lo, s17
	s_and_saveexec_b32 s17, s11
	s_cbranch_execz .LBB722_215
.LBB722_249:
	v_sub_nc_u32_e32 v8, v53, v1
	v_mov_b32_e32 v9, 0
	s_delay_alu instid0(VALU_DEP_1) | instskip(NEXT) | instid1(VALU_DEP_1)
	v_lshlrev_b64 v[8:9], 2, v[8:9]
	v_add_co_u32 v8, vcc_lo, v6, v8
	s_delay_alu instid0(VALU_DEP_2)
	v_add_co_ci_u32_e32 v9, vcc_lo, v7, v9, vcc_lo
	global_store_b32 v[8:9], v54, off
	s_or_b32 exec_lo, exec_lo, s17
	s_and_saveexec_b32 s17, s10
	s_cbranch_execnz .LBB722_216
.LBB722_250:
	s_or_b32 exec_lo, exec_lo, s17
	s_and_saveexec_b32 s17, s9
	s_cbranch_execz .LBB722_217
.LBB722_251:
	v_sub_nc_u32_e32 v8, v43, v1
	v_mov_b32_e32 v9, 0
	s_delay_alu instid0(VALU_DEP_1) | instskip(NEXT) | instid1(VALU_DEP_1)
	v_lshlrev_b64 v[8:9], 2, v[8:9]
	v_add_co_u32 v8, vcc_lo, v6, v8
	s_delay_alu instid0(VALU_DEP_2)
	v_add_co_ci_u32_e32 v9, vcc_lo, v7, v9, vcc_lo
	global_store_b32 v[8:9], v44, off
	s_or_b32 exec_lo, exec_lo, s17
	s_and_saveexec_b32 s17, s8
	s_cbranch_execnz .LBB722_218
.LBB722_252:
	s_or_b32 exec_lo, exec_lo, s17
	s_and_saveexec_b32 s17, s7
	s_cbranch_execz .LBB722_219
.LBB722_253:
	v_sub_nc_u32_e32 v8, v45, v1
	v_mov_b32_e32 v9, 0
	s_delay_alu instid0(VALU_DEP_1) | instskip(NEXT) | instid1(VALU_DEP_1)
	v_lshlrev_b64 v[8:9], 2, v[8:9]
	v_add_co_u32 v8, vcc_lo, v6, v8
	s_delay_alu instid0(VALU_DEP_2)
	v_add_co_ci_u32_e32 v9, vcc_lo, v7, v9, vcc_lo
	global_store_b32 v[8:9], v46, off
	s_or_b32 exec_lo, exec_lo, s17
	s_and_saveexec_b32 s17, s6
	s_cbranch_execnz .LBB722_220
.LBB722_254:
	s_or_b32 exec_lo, exec_lo, s17
	s_and_saveexec_b32 s17, s5
	s_cbranch_execz .LBB722_221
.LBB722_255:
	v_sub_nc_u32_e32 v8, v33, v1
	v_mov_b32_e32 v9, 0
	s_delay_alu instid0(VALU_DEP_1) | instskip(NEXT) | instid1(VALU_DEP_1)
	v_lshlrev_b64 v[8:9], 2, v[8:9]
	v_add_co_u32 v8, vcc_lo, v6, v8
	s_delay_alu instid0(VALU_DEP_2)
	v_add_co_ci_u32_e32 v9, vcc_lo, v7, v9, vcc_lo
	global_store_b32 v[8:9], v34, off
	s_or_b32 exec_lo, exec_lo, s17
	s_and_saveexec_b32 s17, s4
	s_cbranch_execnz .LBB722_222
.LBB722_256:
	s_or_b32 exec_lo, exec_lo, s17
	s_and_saveexec_b32 s17, s3
	s_cbranch_execz .LBB722_223
.LBB722_257:
	v_sub_nc_u32_e32 v8, v39, v1
	v_mov_b32_e32 v9, 0
	s_delay_alu instid0(VALU_DEP_1) | instskip(NEXT) | instid1(VALU_DEP_1)
	v_lshlrev_b64 v[8:9], 2, v[8:9]
	v_add_co_u32 v8, vcc_lo, v6, v8
	s_delay_alu instid0(VALU_DEP_2)
	v_add_co_ci_u32_e32 v9, vcc_lo, v7, v9, vcc_lo
	global_store_b32 v[8:9], v40, off
	s_or_b32 exec_lo, exec_lo, s17
	s_and_saveexec_b32 s17, s2
	s_cbranch_execnz .LBB722_224
.LBB722_258:
	s_or_b32 exec_lo, exec_lo, s17
	s_and_saveexec_b32 s17, s1
	s_cbranch_execz .LBB722_260
.LBB722_259:
	v_sub_nc_u32_e32 v8, v59, v1
	v_mov_b32_e32 v9, 0
	s_delay_alu instid0(VALU_DEP_1) | instskip(NEXT) | instid1(VALU_DEP_1)
	v_lshlrev_b64 v[8:9], 2, v[8:9]
	v_add_co_u32 v8, vcc_lo, v6, v8
	s_delay_alu instid0(VALU_DEP_2)
	v_add_co_ci_u32_e32 v9, vcc_lo, v7, v9, vcc_lo
	global_store_b32 v[8:9], v60, off
.LBB722_260:
	s_or_b32 exec_lo, exec_lo, s17
	s_delay_alu instid0(SALU_CYCLE_1)
	s_and_b32 s17, s0, exec_lo
	s_and_not1_saveexec_b32 s15, s15
	s_cbranch_execnz .LBB722_243
.LBB722_261:
	s_or_b32 exec_lo, exec_lo, s15
	s_delay_alu instid0(SALU_CYCLE_1)
	s_and_b32 exec_lo, exec_lo, s17
	s_cbranch_execz .LBB722_263
.LBB722_262:
	v_sub_nc_u32_e32 v8, v51, v1
	v_mov_b32_e32 v9, 0
	s_delay_alu instid0(VALU_DEP_1) | instskip(NEXT) | instid1(VALU_DEP_1)
	v_lshlrev_b64 v[8:9], 2, v[8:9]
	v_add_co_u32 v8, vcc_lo, v6, v8
	s_delay_alu instid0(VALU_DEP_2)
	v_add_co_ci_u32_e32 v9, vcc_lo, v7, v9, vcc_lo
	global_store_b32 v[8:9], v52, off
.LBB722_263:
	s_or_b32 exec_lo, exec_lo, s16
.LBB722_264:
	v_cmp_eq_u32_e32 vcc_lo, 0xff, v0
	s_and_b32 s0, vcc_lo, s23
	s_delay_alu instid0(SALU_CYCLE_1)
	s_and_saveexec_b32 s1, s0
	s_cbranch_execnz .LBB722_286
	s_branch .LBB722_288
.LBB722_265:
	s_or_b32 exec_lo, exec_lo, s17
	s_and_saveexec_b32 s14, s13
	s_cbranch_execz .LBB722_230
.LBB722_266:
	v_sub_nc_u32_e32 v2, v61, v1
	s_delay_alu instid0(VALU_DEP_1)
	v_lshlrev_b32_e32 v2, 2, v2
	ds_store_b32 v2, v62
	s_or_b32 exec_lo, exec_lo, s14
	s_and_saveexec_b32 s13, s12
	s_cbranch_execnz .LBB722_231
.LBB722_267:
	s_or_b32 exec_lo, exec_lo, s13
	s_and_saveexec_b32 s12, s11
	s_cbranch_execz .LBB722_232
.LBB722_268:
	v_sub_nc_u32_e32 v2, v53, v1
	s_delay_alu instid0(VALU_DEP_1)
	v_lshlrev_b32_e32 v2, 2, v2
	ds_store_b32 v2, v54
	s_or_b32 exec_lo, exec_lo, s12
	s_and_saveexec_b32 s11, s10
	s_cbranch_execnz .LBB722_233
.LBB722_269:
	s_or_b32 exec_lo, exec_lo, s11
	s_and_saveexec_b32 s10, s9
	s_cbranch_execz .LBB722_234
.LBB722_270:
	v_sub_nc_u32_e32 v2, v43, v1
	s_delay_alu instid0(VALU_DEP_1)
	v_lshlrev_b32_e32 v2, 2, v2
	ds_store_b32 v2, v44
	s_or_b32 exec_lo, exec_lo, s10
	s_and_saveexec_b32 s9, s8
	s_cbranch_execnz .LBB722_235
.LBB722_271:
	s_or_b32 exec_lo, exec_lo, s9
	s_and_saveexec_b32 s8, s7
	s_cbranch_execz .LBB722_236
.LBB722_272:
	v_sub_nc_u32_e32 v2, v45, v1
	s_delay_alu instid0(VALU_DEP_1)
	v_lshlrev_b32_e32 v2, 2, v2
	ds_store_b32 v2, v46
	s_or_b32 exec_lo, exec_lo, s8
	s_and_saveexec_b32 s7, s6
	s_cbranch_execnz .LBB722_237
.LBB722_273:
	s_or_b32 exec_lo, exec_lo, s7
	s_and_saveexec_b32 s6, s5
	s_cbranch_execz .LBB722_238
.LBB722_274:
	v_sub_nc_u32_e32 v2, v33, v1
	s_delay_alu instid0(VALU_DEP_1)
	v_lshlrev_b32_e32 v2, 2, v2
	ds_store_b32 v2, v34
	s_or_b32 exec_lo, exec_lo, s6
	s_and_saveexec_b32 s5, s4
	s_cbranch_execnz .LBB722_239
.LBB722_275:
	s_or_b32 exec_lo, exec_lo, s5
	s_and_saveexec_b32 s4, s3
	s_cbranch_execz .LBB722_240
.LBB722_276:
	v_sub_nc_u32_e32 v2, v39, v1
	s_delay_alu instid0(VALU_DEP_1)
	v_lshlrev_b32_e32 v2, 2, v2
	ds_store_b32 v2, v40
	s_or_b32 exec_lo, exec_lo, s4
	s_and_saveexec_b32 s3, s2
	s_cbranch_execnz .LBB722_241
.LBB722_277:
	s_or_b32 exec_lo, exec_lo, s3
	s_and_saveexec_b32 s2, s1
	s_cbranch_execz .LBB722_279
.LBB722_278:
	v_sub_nc_u32_e32 v2, v59, v1
	s_delay_alu instid0(VALU_DEP_1)
	v_lshlrev_b32_e32 v2, 2, v2
	ds_store_b32 v2, v60
.LBB722_279:
	s_or_b32 exec_lo, exec_lo, s2
	s_delay_alu instid0(SALU_CYCLE_1)
	s_and_b32 s17, s0, exec_lo
                                        ; implicit-def: $vgpr55_vgpr56
                                        ; implicit-def: $vgpr61_vgpr62
                                        ; implicit-def: $vgpr57_vgpr58
                                        ; implicit-def: $vgpr53_vgpr54
                                        ; implicit-def: $vgpr47_vgpr48
                                        ; implicit-def: $vgpr43_vgpr44
                                        ; implicit-def: $vgpr41_vgpr42
                                        ; implicit-def: $vgpr45_vgpr46
                                        ; implicit-def: $vgpr49_vgpr50
                                        ; implicit-def: $vgpr33_vgpr34
                                        ; implicit-def: $vgpr35_vgpr36
                                        ; implicit-def: $vgpr39_vgpr40
                                        ; implicit-def: $vgpr63_vgpr64
                                        ; implicit-def: $vgpr59_vgpr60
	s_and_not1_saveexec_b32 s0, s16
	s_cbranch_execnz .LBB722_245
.LBB722_280:
	s_or_b32 exec_lo, exec_lo, s0
	s_delay_alu instid0(SALU_CYCLE_1)
	s_and_b32 exec_lo, exec_lo, s17
	s_cbranch_execz .LBB722_282
.LBB722_281:
	v_sub_nc_u32_e32 v1, v51, v1
	s_delay_alu instid0(VALU_DEP_1)
	v_lshlrev_b32_e32 v1, 2, v1
	ds_store_b32 v1, v52
.LBB722_282:
	s_or_b32 exec_lo, exec_lo, s15
	s_delay_alu instid0(SALU_CYCLE_1)
	s_mov_b32 s1, exec_lo
	s_waitcnt lgkmcnt(0)
	s_waitcnt_vscnt null, 0x0
	s_barrier
	buffer_gl0_inv
	v_cmpx_lt_u32_e64 v0, v3
	s_cbranch_execz .LBB722_285
; %bb.283:
	v_dual_mov_b32 v1, v0 :: v_dual_lshlrev_b32 v8, 2, v0
	v_mov_b32_e32 v2, 0
	s_mov_b32 s2, 0
	.p2align	6
.LBB722_284:                            ; =>This Inner Loop Header: Depth=1
	ds_load_b32 v11, v8
	v_lshlrev_b64 v[9:10], 2, v[1:2]
	v_add_nc_u32_e32 v1, 0x100, v1
	v_add_nc_u32_e32 v8, 0x400, v8
	s_delay_alu instid0(VALU_DEP_2) | instskip(NEXT) | instid1(VALU_DEP_4)
	v_cmp_ge_u32_e32 vcc_lo, v1, v3
	v_add_co_u32 v9, s0, v6, v9
	s_delay_alu instid0(VALU_DEP_1)
	v_add_co_ci_u32_e64 v10, s0, v7, v10, s0
	s_or_b32 s2, vcc_lo, s2
	s_waitcnt lgkmcnt(0)
	global_store_b32 v[9:10], v11, off
	s_and_not1_b32 exec_lo, exec_lo, s2
	s_cbranch_execnz .LBB722_284
.LBB722_285:
	s_or_b32 exec_lo, exec_lo, s1
	v_cmp_eq_u32_e32 vcc_lo, 0xff, v0
	s_and_b32 s0, vcc_lo, s23
	s_delay_alu instid0(SALU_CYCLE_1)
	s_and_saveexec_b32 s1, s0
	s_cbranch_execz .LBB722_288
.LBB722_286:
	v_add_co_u32 v0, s0, v29, v31
	s_delay_alu instid0(VALU_DEP_1) | instskip(SKIP_1) | instid1(VALU_DEP_3)
	v_add_co_ci_u32_e64 v1, null, 0, 0, s0
	v_mov_b32_e32 v30, 0
	v_add_co_u32 v0, vcc_lo, v0, v65
	s_delay_alu instid0(VALU_DEP_3)
	v_add_co_ci_u32_e32 v1, vcc_lo, v1, v66, vcc_lo
	s_cmpk_lg_i32 s33, 0xf00
	global_store_b64 v30, v[0:1], s[30:31]
	s_cbranch_scc1 .LBB722_288
; %bb.287:
	v_lshlrev_b64 v[0:1], 2, v[29:30]
	s_delay_alu instid0(VALU_DEP_1) | instskip(NEXT) | instid1(VALU_DEP_2)
	v_add_co_u32 v0, vcc_lo, v4, v0
	v_add_co_ci_u32_e32 v1, vcc_lo, v5, v1, vcc_lo
	global_store_b32 v[0:1], v95, off offset:-4
	s_nop 0
	s_sendmsg sendmsg(MSG_DEALLOC_VGPRS)
	s_endpgm
.LBB722_288:
	s_nop 0
	s_sendmsg sendmsg(MSG_DEALLOC_VGPRS)
	s_endpgm
	.section	.rodata,"a",@progbits
	.p2align	6, 0x0
	.amdhsa_kernel _ZN7rocprim17ROCPRIM_400000_NS6detail17trampoline_kernelINS0_14default_configENS1_29reduce_by_key_config_selectorIyjN6thrust23THRUST_200600_302600_NS4plusIjEEEEZZNS1_33reduce_by_key_impl_wrapped_configILNS1_25lookback_scan_determinismE0ES3_S9_NS6_6detail15normal_iteratorINS6_10device_ptrIyEEEENSD_INSE_IjEEEESG_SI_PmS8_NS6_8equal_toIyEEEE10hipError_tPvRmT2_T3_mT4_T5_T6_T7_T8_P12ihipStream_tbENKUlT_T0_E_clISt17integral_constantIbLb1EES12_IbLb0EEEEDaSY_SZ_EUlSY_E_NS1_11comp_targetILNS1_3genE9ELNS1_11target_archE1100ELNS1_3gpuE3ELNS1_3repE0EEENS1_30default_config_static_selectorELNS0_4arch9wavefront6targetE0EEEvT1_
		.amdhsa_group_segment_fixed_size 30720
		.amdhsa_private_segment_fixed_size 0
		.amdhsa_kernarg_size 120
		.amdhsa_user_sgpr_count 15
		.amdhsa_user_sgpr_dispatch_ptr 0
		.amdhsa_user_sgpr_queue_ptr 0
		.amdhsa_user_sgpr_kernarg_segment_ptr 1
		.amdhsa_user_sgpr_dispatch_id 0
		.amdhsa_user_sgpr_private_segment_size 0
		.amdhsa_wavefront_size32 1
		.amdhsa_uses_dynamic_stack 0
		.amdhsa_enable_private_segment 0
		.amdhsa_system_sgpr_workgroup_id_x 1
		.amdhsa_system_sgpr_workgroup_id_y 0
		.amdhsa_system_sgpr_workgroup_id_z 0
		.amdhsa_system_sgpr_workgroup_info 0
		.amdhsa_system_vgpr_workitem_id 0
		.amdhsa_next_free_vgpr 100
		.amdhsa_next_free_sgpr 48
		.amdhsa_reserve_vcc 1
		.amdhsa_float_round_mode_32 0
		.amdhsa_float_round_mode_16_64 0
		.amdhsa_float_denorm_mode_32 3
		.amdhsa_float_denorm_mode_16_64 3
		.amdhsa_dx10_clamp 1
		.amdhsa_ieee_mode 1
		.amdhsa_fp16_overflow 0
		.amdhsa_workgroup_processor_mode 1
		.amdhsa_memory_ordered 1
		.amdhsa_forward_progress 0
		.amdhsa_shared_vgpr_count 0
		.amdhsa_exception_fp_ieee_invalid_op 0
		.amdhsa_exception_fp_denorm_src 0
		.amdhsa_exception_fp_ieee_div_zero 0
		.amdhsa_exception_fp_ieee_overflow 0
		.amdhsa_exception_fp_ieee_underflow 0
		.amdhsa_exception_fp_ieee_inexact 0
		.amdhsa_exception_int_div_zero 0
	.end_amdhsa_kernel
	.section	.text._ZN7rocprim17ROCPRIM_400000_NS6detail17trampoline_kernelINS0_14default_configENS1_29reduce_by_key_config_selectorIyjN6thrust23THRUST_200600_302600_NS4plusIjEEEEZZNS1_33reduce_by_key_impl_wrapped_configILNS1_25lookback_scan_determinismE0ES3_S9_NS6_6detail15normal_iteratorINS6_10device_ptrIyEEEENSD_INSE_IjEEEESG_SI_PmS8_NS6_8equal_toIyEEEE10hipError_tPvRmT2_T3_mT4_T5_T6_T7_T8_P12ihipStream_tbENKUlT_T0_E_clISt17integral_constantIbLb1EES12_IbLb0EEEEDaSY_SZ_EUlSY_E_NS1_11comp_targetILNS1_3genE9ELNS1_11target_archE1100ELNS1_3gpuE3ELNS1_3repE0EEENS1_30default_config_static_selectorELNS0_4arch9wavefront6targetE0EEEvT1_,"axG",@progbits,_ZN7rocprim17ROCPRIM_400000_NS6detail17trampoline_kernelINS0_14default_configENS1_29reduce_by_key_config_selectorIyjN6thrust23THRUST_200600_302600_NS4plusIjEEEEZZNS1_33reduce_by_key_impl_wrapped_configILNS1_25lookback_scan_determinismE0ES3_S9_NS6_6detail15normal_iteratorINS6_10device_ptrIyEEEENSD_INSE_IjEEEESG_SI_PmS8_NS6_8equal_toIyEEEE10hipError_tPvRmT2_T3_mT4_T5_T6_T7_T8_P12ihipStream_tbENKUlT_T0_E_clISt17integral_constantIbLb1EES12_IbLb0EEEEDaSY_SZ_EUlSY_E_NS1_11comp_targetILNS1_3genE9ELNS1_11target_archE1100ELNS1_3gpuE3ELNS1_3repE0EEENS1_30default_config_static_selectorELNS0_4arch9wavefront6targetE0EEEvT1_,comdat
.Lfunc_end722:
	.size	_ZN7rocprim17ROCPRIM_400000_NS6detail17trampoline_kernelINS0_14default_configENS1_29reduce_by_key_config_selectorIyjN6thrust23THRUST_200600_302600_NS4plusIjEEEEZZNS1_33reduce_by_key_impl_wrapped_configILNS1_25lookback_scan_determinismE0ES3_S9_NS6_6detail15normal_iteratorINS6_10device_ptrIyEEEENSD_INSE_IjEEEESG_SI_PmS8_NS6_8equal_toIyEEEE10hipError_tPvRmT2_T3_mT4_T5_T6_T7_T8_P12ihipStream_tbENKUlT_T0_E_clISt17integral_constantIbLb1EES12_IbLb0EEEEDaSY_SZ_EUlSY_E_NS1_11comp_targetILNS1_3genE9ELNS1_11target_archE1100ELNS1_3gpuE3ELNS1_3repE0EEENS1_30default_config_static_selectorELNS0_4arch9wavefront6targetE0EEEvT1_, .Lfunc_end722-_ZN7rocprim17ROCPRIM_400000_NS6detail17trampoline_kernelINS0_14default_configENS1_29reduce_by_key_config_selectorIyjN6thrust23THRUST_200600_302600_NS4plusIjEEEEZZNS1_33reduce_by_key_impl_wrapped_configILNS1_25lookback_scan_determinismE0ES3_S9_NS6_6detail15normal_iteratorINS6_10device_ptrIyEEEENSD_INSE_IjEEEESG_SI_PmS8_NS6_8equal_toIyEEEE10hipError_tPvRmT2_T3_mT4_T5_T6_T7_T8_P12ihipStream_tbENKUlT_T0_E_clISt17integral_constantIbLb1EES12_IbLb0EEEEDaSY_SZ_EUlSY_E_NS1_11comp_targetILNS1_3genE9ELNS1_11target_archE1100ELNS1_3gpuE3ELNS1_3repE0EEENS1_30default_config_static_selectorELNS0_4arch9wavefront6targetE0EEEvT1_
                                        ; -- End function
	.section	.AMDGPU.csdata,"",@progbits
; Kernel info:
; codeLenInByte = 17796
; NumSgprs: 50
; NumVgprs: 100
; ScratchSize: 0
; MemoryBound: 0
; FloatMode: 240
; IeeeMode: 1
; LDSByteSize: 30720 bytes/workgroup (compile time only)
; SGPRBlocks: 6
; VGPRBlocks: 12
; NumSGPRsForWavesPerEU: 50
; NumVGPRsForWavesPerEU: 100
; Occupancy: 8
; WaveLimiterHint : 1
; COMPUTE_PGM_RSRC2:SCRATCH_EN: 0
; COMPUTE_PGM_RSRC2:USER_SGPR: 15
; COMPUTE_PGM_RSRC2:TRAP_HANDLER: 0
; COMPUTE_PGM_RSRC2:TGID_X_EN: 1
; COMPUTE_PGM_RSRC2:TGID_Y_EN: 0
; COMPUTE_PGM_RSRC2:TGID_Z_EN: 0
; COMPUTE_PGM_RSRC2:TIDIG_COMP_CNT: 0
	.section	.text._ZN7rocprim17ROCPRIM_400000_NS6detail17trampoline_kernelINS0_14default_configENS1_29reduce_by_key_config_selectorIyjN6thrust23THRUST_200600_302600_NS4plusIjEEEEZZNS1_33reduce_by_key_impl_wrapped_configILNS1_25lookback_scan_determinismE0ES3_S9_NS6_6detail15normal_iteratorINS6_10device_ptrIyEEEENSD_INSE_IjEEEESG_SI_PmS8_NS6_8equal_toIyEEEE10hipError_tPvRmT2_T3_mT4_T5_T6_T7_T8_P12ihipStream_tbENKUlT_T0_E_clISt17integral_constantIbLb1EES12_IbLb0EEEEDaSY_SZ_EUlSY_E_NS1_11comp_targetILNS1_3genE8ELNS1_11target_archE1030ELNS1_3gpuE2ELNS1_3repE0EEENS1_30default_config_static_selectorELNS0_4arch9wavefront6targetE0EEEvT1_,"axG",@progbits,_ZN7rocprim17ROCPRIM_400000_NS6detail17trampoline_kernelINS0_14default_configENS1_29reduce_by_key_config_selectorIyjN6thrust23THRUST_200600_302600_NS4plusIjEEEEZZNS1_33reduce_by_key_impl_wrapped_configILNS1_25lookback_scan_determinismE0ES3_S9_NS6_6detail15normal_iteratorINS6_10device_ptrIyEEEENSD_INSE_IjEEEESG_SI_PmS8_NS6_8equal_toIyEEEE10hipError_tPvRmT2_T3_mT4_T5_T6_T7_T8_P12ihipStream_tbENKUlT_T0_E_clISt17integral_constantIbLb1EES12_IbLb0EEEEDaSY_SZ_EUlSY_E_NS1_11comp_targetILNS1_3genE8ELNS1_11target_archE1030ELNS1_3gpuE2ELNS1_3repE0EEENS1_30default_config_static_selectorELNS0_4arch9wavefront6targetE0EEEvT1_,comdat
	.protected	_ZN7rocprim17ROCPRIM_400000_NS6detail17trampoline_kernelINS0_14default_configENS1_29reduce_by_key_config_selectorIyjN6thrust23THRUST_200600_302600_NS4plusIjEEEEZZNS1_33reduce_by_key_impl_wrapped_configILNS1_25lookback_scan_determinismE0ES3_S9_NS6_6detail15normal_iteratorINS6_10device_ptrIyEEEENSD_INSE_IjEEEESG_SI_PmS8_NS6_8equal_toIyEEEE10hipError_tPvRmT2_T3_mT4_T5_T6_T7_T8_P12ihipStream_tbENKUlT_T0_E_clISt17integral_constantIbLb1EES12_IbLb0EEEEDaSY_SZ_EUlSY_E_NS1_11comp_targetILNS1_3genE8ELNS1_11target_archE1030ELNS1_3gpuE2ELNS1_3repE0EEENS1_30default_config_static_selectorELNS0_4arch9wavefront6targetE0EEEvT1_ ; -- Begin function _ZN7rocprim17ROCPRIM_400000_NS6detail17trampoline_kernelINS0_14default_configENS1_29reduce_by_key_config_selectorIyjN6thrust23THRUST_200600_302600_NS4plusIjEEEEZZNS1_33reduce_by_key_impl_wrapped_configILNS1_25lookback_scan_determinismE0ES3_S9_NS6_6detail15normal_iteratorINS6_10device_ptrIyEEEENSD_INSE_IjEEEESG_SI_PmS8_NS6_8equal_toIyEEEE10hipError_tPvRmT2_T3_mT4_T5_T6_T7_T8_P12ihipStream_tbENKUlT_T0_E_clISt17integral_constantIbLb1EES12_IbLb0EEEEDaSY_SZ_EUlSY_E_NS1_11comp_targetILNS1_3genE8ELNS1_11target_archE1030ELNS1_3gpuE2ELNS1_3repE0EEENS1_30default_config_static_selectorELNS0_4arch9wavefront6targetE0EEEvT1_
	.globl	_ZN7rocprim17ROCPRIM_400000_NS6detail17trampoline_kernelINS0_14default_configENS1_29reduce_by_key_config_selectorIyjN6thrust23THRUST_200600_302600_NS4plusIjEEEEZZNS1_33reduce_by_key_impl_wrapped_configILNS1_25lookback_scan_determinismE0ES3_S9_NS6_6detail15normal_iteratorINS6_10device_ptrIyEEEENSD_INSE_IjEEEESG_SI_PmS8_NS6_8equal_toIyEEEE10hipError_tPvRmT2_T3_mT4_T5_T6_T7_T8_P12ihipStream_tbENKUlT_T0_E_clISt17integral_constantIbLb1EES12_IbLb0EEEEDaSY_SZ_EUlSY_E_NS1_11comp_targetILNS1_3genE8ELNS1_11target_archE1030ELNS1_3gpuE2ELNS1_3repE0EEENS1_30default_config_static_selectorELNS0_4arch9wavefront6targetE0EEEvT1_
	.p2align	8
	.type	_ZN7rocprim17ROCPRIM_400000_NS6detail17trampoline_kernelINS0_14default_configENS1_29reduce_by_key_config_selectorIyjN6thrust23THRUST_200600_302600_NS4plusIjEEEEZZNS1_33reduce_by_key_impl_wrapped_configILNS1_25lookback_scan_determinismE0ES3_S9_NS6_6detail15normal_iteratorINS6_10device_ptrIyEEEENSD_INSE_IjEEEESG_SI_PmS8_NS6_8equal_toIyEEEE10hipError_tPvRmT2_T3_mT4_T5_T6_T7_T8_P12ihipStream_tbENKUlT_T0_E_clISt17integral_constantIbLb1EES12_IbLb0EEEEDaSY_SZ_EUlSY_E_NS1_11comp_targetILNS1_3genE8ELNS1_11target_archE1030ELNS1_3gpuE2ELNS1_3repE0EEENS1_30default_config_static_selectorELNS0_4arch9wavefront6targetE0EEEvT1_,@function
_ZN7rocprim17ROCPRIM_400000_NS6detail17trampoline_kernelINS0_14default_configENS1_29reduce_by_key_config_selectorIyjN6thrust23THRUST_200600_302600_NS4plusIjEEEEZZNS1_33reduce_by_key_impl_wrapped_configILNS1_25lookback_scan_determinismE0ES3_S9_NS6_6detail15normal_iteratorINS6_10device_ptrIyEEEENSD_INSE_IjEEEESG_SI_PmS8_NS6_8equal_toIyEEEE10hipError_tPvRmT2_T3_mT4_T5_T6_T7_T8_P12ihipStream_tbENKUlT_T0_E_clISt17integral_constantIbLb1EES12_IbLb0EEEEDaSY_SZ_EUlSY_E_NS1_11comp_targetILNS1_3genE8ELNS1_11target_archE1030ELNS1_3gpuE2ELNS1_3repE0EEENS1_30default_config_static_selectorELNS0_4arch9wavefront6targetE0EEEvT1_: ; @_ZN7rocprim17ROCPRIM_400000_NS6detail17trampoline_kernelINS0_14default_configENS1_29reduce_by_key_config_selectorIyjN6thrust23THRUST_200600_302600_NS4plusIjEEEEZZNS1_33reduce_by_key_impl_wrapped_configILNS1_25lookback_scan_determinismE0ES3_S9_NS6_6detail15normal_iteratorINS6_10device_ptrIyEEEENSD_INSE_IjEEEESG_SI_PmS8_NS6_8equal_toIyEEEE10hipError_tPvRmT2_T3_mT4_T5_T6_T7_T8_P12ihipStream_tbENKUlT_T0_E_clISt17integral_constantIbLb1EES12_IbLb0EEEEDaSY_SZ_EUlSY_E_NS1_11comp_targetILNS1_3genE8ELNS1_11target_archE1030ELNS1_3gpuE2ELNS1_3repE0EEENS1_30default_config_static_selectorELNS0_4arch9wavefront6targetE0EEEvT1_
; %bb.0:
	.section	.rodata,"a",@progbits
	.p2align	6, 0x0
	.amdhsa_kernel _ZN7rocprim17ROCPRIM_400000_NS6detail17trampoline_kernelINS0_14default_configENS1_29reduce_by_key_config_selectorIyjN6thrust23THRUST_200600_302600_NS4plusIjEEEEZZNS1_33reduce_by_key_impl_wrapped_configILNS1_25lookback_scan_determinismE0ES3_S9_NS6_6detail15normal_iteratorINS6_10device_ptrIyEEEENSD_INSE_IjEEEESG_SI_PmS8_NS6_8equal_toIyEEEE10hipError_tPvRmT2_T3_mT4_T5_T6_T7_T8_P12ihipStream_tbENKUlT_T0_E_clISt17integral_constantIbLb1EES12_IbLb0EEEEDaSY_SZ_EUlSY_E_NS1_11comp_targetILNS1_3genE8ELNS1_11target_archE1030ELNS1_3gpuE2ELNS1_3repE0EEENS1_30default_config_static_selectorELNS0_4arch9wavefront6targetE0EEEvT1_
		.amdhsa_group_segment_fixed_size 0
		.amdhsa_private_segment_fixed_size 0
		.amdhsa_kernarg_size 120
		.amdhsa_user_sgpr_count 15
		.amdhsa_user_sgpr_dispatch_ptr 0
		.amdhsa_user_sgpr_queue_ptr 0
		.amdhsa_user_sgpr_kernarg_segment_ptr 1
		.amdhsa_user_sgpr_dispatch_id 0
		.amdhsa_user_sgpr_private_segment_size 0
		.amdhsa_wavefront_size32 1
		.amdhsa_uses_dynamic_stack 0
		.amdhsa_enable_private_segment 0
		.amdhsa_system_sgpr_workgroup_id_x 1
		.amdhsa_system_sgpr_workgroup_id_y 0
		.amdhsa_system_sgpr_workgroup_id_z 0
		.amdhsa_system_sgpr_workgroup_info 0
		.amdhsa_system_vgpr_workitem_id 0
		.amdhsa_next_free_vgpr 1
		.amdhsa_next_free_sgpr 1
		.amdhsa_reserve_vcc 0
		.amdhsa_float_round_mode_32 0
		.amdhsa_float_round_mode_16_64 0
		.amdhsa_float_denorm_mode_32 3
		.amdhsa_float_denorm_mode_16_64 3
		.amdhsa_dx10_clamp 1
		.amdhsa_ieee_mode 1
		.amdhsa_fp16_overflow 0
		.amdhsa_workgroup_processor_mode 1
		.amdhsa_memory_ordered 1
		.amdhsa_forward_progress 0
		.amdhsa_shared_vgpr_count 0
		.amdhsa_exception_fp_ieee_invalid_op 0
		.amdhsa_exception_fp_denorm_src 0
		.amdhsa_exception_fp_ieee_div_zero 0
		.amdhsa_exception_fp_ieee_overflow 0
		.amdhsa_exception_fp_ieee_underflow 0
		.amdhsa_exception_fp_ieee_inexact 0
		.amdhsa_exception_int_div_zero 0
	.end_amdhsa_kernel
	.section	.text._ZN7rocprim17ROCPRIM_400000_NS6detail17trampoline_kernelINS0_14default_configENS1_29reduce_by_key_config_selectorIyjN6thrust23THRUST_200600_302600_NS4plusIjEEEEZZNS1_33reduce_by_key_impl_wrapped_configILNS1_25lookback_scan_determinismE0ES3_S9_NS6_6detail15normal_iteratorINS6_10device_ptrIyEEEENSD_INSE_IjEEEESG_SI_PmS8_NS6_8equal_toIyEEEE10hipError_tPvRmT2_T3_mT4_T5_T6_T7_T8_P12ihipStream_tbENKUlT_T0_E_clISt17integral_constantIbLb1EES12_IbLb0EEEEDaSY_SZ_EUlSY_E_NS1_11comp_targetILNS1_3genE8ELNS1_11target_archE1030ELNS1_3gpuE2ELNS1_3repE0EEENS1_30default_config_static_selectorELNS0_4arch9wavefront6targetE0EEEvT1_,"axG",@progbits,_ZN7rocprim17ROCPRIM_400000_NS6detail17trampoline_kernelINS0_14default_configENS1_29reduce_by_key_config_selectorIyjN6thrust23THRUST_200600_302600_NS4plusIjEEEEZZNS1_33reduce_by_key_impl_wrapped_configILNS1_25lookback_scan_determinismE0ES3_S9_NS6_6detail15normal_iteratorINS6_10device_ptrIyEEEENSD_INSE_IjEEEESG_SI_PmS8_NS6_8equal_toIyEEEE10hipError_tPvRmT2_T3_mT4_T5_T6_T7_T8_P12ihipStream_tbENKUlT_T0_E_clISt17integral_constantIbLb1EES12_IbLb0EEEEDaSY_SZ_EUlSY_E_NS1_11comp_targetILNS1_3genE8ELNS1_11target_archE1030ELNS1_3gpuE2ELNS1_3repE0EEENS1_30default_config_static_selectorELNS0_4arch9wavefront6targetE0EEEvT1_,comdat
.Lfunc_end723:
	.size	_ZN7rocprim17ROCPRIM_400000_NS6detail17trampoline_kernelINS0_14default_configENS1_29reduce_by_key_config_selectorIyjN6thrust23THRUST_200600_302600_NS4plusIjEEEEZZNS1_33reduce_by_key_impl_wrapped_configILNS1_25lookback_scan_determinismE0ES3_S9_NS6_6detail15normal_iteratorINS6_10device_ptrIyEEEENSD_INSE_IjEEEESG_SI_PmS8_NS6_8equal_toIyEEEE10hipError_tPvRmT2_T3_mT4_T5_T6_T7_T8_P12ihipStream_tbENKUlT_T0_E_clISt17integral_constantIbLb1EES12_IbLb0EEEEDaSY_SZ_EUlSY_E_NS1_11comp_targetILNS1_3genE8ELNS1_11target_archE1030ELNS1_3gpuE2ELNS1_3repE0EEENS1_30default_config_static_selectorELNS0_4arch9wavefront6targetE0EEEvT1_, .Lfunc_end723-_ZN7rocprim17ROCPRIM_400000_NS6detail17trampoline_kernelINS0_14default_configENS1_29reduce_by_key_config_selectorIyjN6thrust23THRUST_200600_302600_NS4plusIjEEEEZZNS1_33reduce_by_key_impl_wrapped_configILNS1_25lookback_scan_determinismE0ES3_S9_NS6_6detail15normal_iteratorINS6_10device_ptrIyEEEENSD_INSE_IjEEEESG_SI_PmS8_NS6_8equal_toIyEEEE10hipError_tPvRmT2_T3_mT4_T5_T6_T7_T8_P12ihipStream_tbENKUlT_T0_E_clISt17integral_constantIbLb1EES12_IbLb0EEEEDaSY_SZ_EUlSY_E_NS1_11comp_targetILNS1_3genE8ELNS1_11target_archE1030ELNS1_3gpuE2ELNS1_3repE0EEENS1_30default_config_static_selectorELNS0_4arch9wavefront6targetE0EEEvT1_
                                        ; -- End function
	.section	.AMDGPU.csdata,"",@progbits
; Kernel info:
; codeLenInByte = 0
; NumSgprs: 0
; NumVgprs: 0
; ScratchSize: 0
; MemoryBound: 0
; FloatMode: 240
; IeeeMode: 1
; LDSByteSize: 0 bytes/workgroup (compile time only)
; SGPRBlocks: 0
; VGPRBlocks: 0
; NumSGPRsForWavesPerEU: 1
; NumVGPRsForWavesPerEU: 1
; Occupancy: 16
; WaveLimiterHint : 0
; COMPUTE_PGM_RSRC2:SCRATCH_EN: 0
; COMPUTE_PGM_RSRC2:USER_SGPR: 15
; COMPUTE_PGM_RSRC2:TRAP_HANDLER: 0
; COMPUTE_PGM_RSRC2:TGID_X_EN: 1
; COMPUTE_PGM_RSRC2:TGID_Y_EN: 0
; COMPUTE_PGM_RSRC2:TGID_Z_EN: 0
; COMPUTE_PGM_RSRC2:TIDIG_COMP_CNT: 0
	.section	.text._ZN7rocprim17ROCPRIM_400000_NS6detail17trampoline_kernelINS0_14default_configENS1_29reduce_by_key_config_selectorIyjN6thrust23THRUST_200600_302600_NS4plusIjEEEEZZNS1_33reduce_by_key_impl_wrapped_configILNS1_25lookback_scan_determinismE0ES3_S9_NS6_6detail15normal_iteratorINS6_10device_ptrIyEEEENSD_INSE_IjEEEESG_SI_PmS8_NS6_8equal_toIyEEEE10hipError_tPvRmT2_T3_mT4_T5_T6_T7_T8_P12ihipStream_tbENKUlT_T0_E_clISt17integral_constantIbLb0EES12_IbLb1EEEEDaSY_SZ_EUlSY_E_NS1_11comp_targetILNS1_3genE0ELNS1_11target_archE4294967295ELNS1_3gpuE0ELNS1_3repE0EEENS1_30default_config_static_selectorELNS0_4arch9wavefront6targetE0EEEvT1_,"axG",@progbits,_ZN7rocprim17ROCPRIM_400000_NS6detail17trampoline_kernelINS0_14default_configENS1_29reduce_by_key_config_selectorIyjN6thrust23THRUST_200600_302600_NS4plusIjEEEEZZNS1_33reduce_by_key_impl_wrapped_configILNS1_25lookback_scan_determinismE0ES3_S9_NS6_6detail15normal_iteratorINS6_10device_ptrIyEEEENSD_INSE_IjEEEESG_SI_PmS8_NS6_8equal_toIyEEEE10hipError_tPvRmT2_T3_mT4_T5_T6_T7_T8_P12ihipStream_tbENKUlT_T0_E_clISt17integral_constantIbLb0EES12_IbLb1EEEEDaSY_SZ_EUlSY_E_NS1_11comp_targetILNS1_3genE0ELNS1_11target_archE4294967295ELNS1_3gpuE0ELNS1_3repE0EEENS1_30default_config_static_selectorELNS0_4arch9wavefront6targetE0EEEvT1_,comdat
	.protected	_ZN7rocprim17ROCPRIM_400000_NS6detail17trampoline_kernelINS0_14default_configENS1_29reduce_by_key_config_selectorIyjN6thrust23THRUST_200600_302600_NS4plusIjEEEEZZNS1_33reduce_by_key_impl_wrapped_configILNS1_25lookback_scan_determinismE0ES3_S9_NS6_6detail15normal_iteratorINS6_10device_ptrIyEEEENSD_INSE_IjEEEESG_SI_PmS8_NS6_8equal_toIyEEEE10hipError_tPvRmT2_T3_mT4_T5_T6_T7_T8_P12ihipStream_tbENKUlT_T0_E_clISt17integral_constantIbLb0EES12_IbLb1EEEEDaSY_SZ_EUlSY_E_NS1_11comp_targetILNS1_3genE0ELNS1_11target_archE4294967295ELNS1_3gpuE0ELNS1_3repE0EEENS1_30default_config_static_selectorELNS0_4arch9wavefront6targetE0EEEvT1_ ; -- Begin function _ZN7rocprim17ROCPRIM_400000_NS6detail17trampoline_kernelINS0_14default_configENS1_29reduce_by_key_config_selectorIyjN6thrust23THRUST_200600_302600_NS4plusIjEEEEZZNS1_33reduce_by_key_impl_wrapped_configILNS1_25lookback_scan_determinismE0ES3_S9_NS6_6detail15normal_iteratorINS6_10device_ptrIyEEEENSD_INSE_IjEEEESG_SI_PmS8_NS6_8equal_toIyEEEE10hipError_tPvRmT2_T3_mT4_T5_T6_T7_T8_P12ihipStream_tbENKUlT_T0_E_clISt17integral_constantIbLb0EES12_IbLb1EEEEDaSY_SZ_EUlSY_E_NS1_11comp_targetILNS1_3genE0ELNS1_11target_archE4294967295ELNS1_3gpuE0ELNS1_3repE0EEENS1_30default_config_static_selectorELNS0_4arch9wavefront6targetE0EEEvT1_
	.globl	_ZN7rocprim17ROCPRIM_400000_NS6detail17trampoline_kernelINS0_14default_configENS1_29reduce_by_key_config_selectorIyjN6thrust23THRUST_200600_302600_NS4plusIjEEEEZZNS1_33reduce_by_key_impl_wrapped_configILNS1_25lookback_scan_determinismE0ES3_S9_NS6_6detail15normal_iteratorINS6_10device_ptrIyEEEENSD_INSE_IjEEEESG_SI_PmS8_NS6_8equal_toIyEEEE10hipError_tPvRmT2_T3_mT4_T5_T6_T7_T8_P12ihipStream_tbENKUlT_T0_E_clISt17integral_constantIbLb0EES12_IbLb1EEEEDaSY_SZ_EUlSY_E_NS1_11comp_targetILNS1_3genE0ELNS1_11target_archE4294967295ELNS1_3gpuE0ELNS1_3repE0EEENS1_30default_config_static_selectorELNS0_4arch9wavefront6targetE0EEEvT1_
	.p2align	8
	.type	_ZN7rocprim17ROCPRIM_400000_NS6detail17trampoline_kernelINS0_14default_configENS1_29reduce_by_key_config_selectorIyjN6thrust23THRUST_200600_302600_NS4plusIjEEEEZZNS1_33reduce_by_key_impl_wrapped_configILNS1_25lookback_scan_determinismE0ES3_S9_NS6_6detail15normal_iteratorINS6_10device_ptrIyEEEENSD_INSE_IjEEEESG_SI_PmS8_NS6_8equal_toIyEEEE10hipError_tPvRmT2_T3_mT4_T5_T6_T7_T8_P12ihipStream_tbENKUlT_T0_E_clISt17integral_constantIbLb0EES12_IbLb1EEEEDaSY_SZ_EUlSY_E_NS1_11comp_targetILNS1_3genE0ELNS1_11target_archE4294967295ELNS1_3gpuE0ELNS1_3repE0EEENS1_30default_config_static_selectorELNS0_4arch9wavefront6targetE0EEEvT1_,@function
_ZN7rocprim17ROCPRIM_400000_NS6detail17trampoline_kernelINS0_14default_configENS1_29reduce_by_key_config_selectorIyjN6thrust23THRUST_200600_302600_NS4plusIjEEEEZZNS1_33reduce_by_key_impl_wrapped_configILNS1_25lookback_scan_determinismE0ES3_S9_NS6_6detail15normal_iteratorINS6_10device_ptrIyEEEENSD_INSE_IjEEEESG_SI_PmS8_NS6_8equal_toIyEEEE10hipError_tPvRmT2_T3_mT4_T5_T6_T7_T8_P12ihipStream_tbENKUlT_T0_E_clISt17integral_constantIbLb0EES12_IbLb1EEEEDaSY_SZ_EUlSY_E_NS1_11comp_targetILNS1_3genE0ELNS1_11target_archE4294967295ELNS1_3gpuE0ELNS1_3repE0EEENS1_30default_config_static_selectorELNS0_4arch9wavefront6targetE0EEEvT1_: ; @_ZN7rocprim17ROCPRIM_400000_NS6detail17trampoline_kernelINS0_14default_configENS1_29reduce_by_key_config_selectorIyjN6thrust23THRUST_200600_302600_NS4plusIjEEEEZZNS1_33reduce_by_key_impl_wrapped_configILNS1_25lookback_scan_determinismE0ES3_S9_NS6_6detail15normal_iteratorINS6_10device_ptrIyEEEENSD_INSE_IjEEEESG_SI_PmS8_NS6_8equal_toIyEEEE10hipError_tPvRmT2_T3_mT4_T5_T6_T7_T8_P12ihipStream_tbENKUlT_T0_E_clISt17integral_constantIbLb0EES12_IbLb1EEEEDaSY_SZ_EUlSY_E_NS1_11comp_targetILNS1_3genE0ELNS1_11target_archE4294967295ELNS1_3gpuE0ELNS1_3repE0EEENS1_30default_config_static_selectorELNS0_4arch9wavefront6targetE0EEEvT1_
; %bb.0:
	.section	.rodata,"a",@progbits
	.p2align	6, 0x0
	.amdhsa_kernel _ZN7rocprim17ROCPRIM_400000_NS6detail17trampoline_kernelINS0_14default_configENS1_29reduce_by_key_config_selectorIyjN6thrust23THRUST_200600_302600_NS4plusIjEEEEZZNS1_33reduce_by_key_impl_wrapped_configILNS1_25lookback_scan_determinismE0ES3_S9_NS6_6detail15normal_iteratorINS6_10device_ptrIyEEEENSD_INSE_IjEEEESG_SI_PmS8_NS6_8equal_toIyEEEE10hipError_tPvRmT2_T3_mT4_T5_T6_T7_T8_P12ihipStream_tbENKUlT_T0_E_clISt17integral_constantIbLb0EES12_IbLb1EEEEDaSY_SZ_EUlSY_E_NS1_11comp_targetILNS1_3genE0ELNS1_11target_archE4294967295ELNS1_3gpuE0ELNS1_3repE0EEENS1_30default_config_static_selectorELNS0_4arch9wavefront6targetE0EEEvT1_
		.amdhsa_group_segment_fixed_size 0
		.amdhsa_private_segment_fixed_size 0
		.amdhsa_kernarg_size 120
		.amdhsa_user_sgpr_count 15
		.amdhsa_user_sgpr_dispatch_ptr 0
		.amdhsa_user_sgpr_queue_ptr 0
		.amdhsa_user_sgpr_kernarg_segment_ptr 1
		.amdhsa_user_sgpr_dispatch_id 0
		.amdhsa_user_sgpr_private_segment_size 0
		.amdhsa_wavefront_size32 1
		.amdhsa_uses_dynamic_stack 0
		.amdhsa_enable_private_segment 0
		.amdhsa_system_sgpr_workgroup_id_x 1
		.amdhsa_system_sgpr_workgroup_id_y 0
		.amdhsa_system_sgpr_workgroup_id_z 0
		.amdhsa_system_sgpr_workgroup_info 0
		.amdhsa_system_vgpr_workitem_id 0
		.amdhsa_next_free_vgpr 1
		.amdhsa_next_free_sgpr 1
		.amdhsa_reserve_vcc 0
		.amdhsa_float_round_mode_32 0
		.amdhsa_float_round_mode_16_64 0
		.amdhsa_float_denorm_mode_32 3
		.amdhsa_float_denorm_mode_16_64 3
		.amdhsa_dx10_clamp 1
		.amdhsa_ieee_mode 1
		.amdhsa_fp16_overflow 0
		.amdhsa_workgroup_processor_mode 1
		.amdhsa_memory_ordered 1
		.amdhsa_forward_progress 0
		.amdhsa_shared_vgpr_count 0
		.amdhsa_exception_fp_ieee_invalid_op 0
		.amdhsa_exception_fp_denorm_src 0
		.amdhsa_exception_fp_ieee_div_zero 0
		.amdhsa_exception_fp_ieee_overflow 0
		.amdhsa_exception_fp_ieee_underflow 0
		.amdhsa_exception_fp_ieee_inexact 0
		.amdhsa_exception_int_div_zero 0
	.end_amdhsa_kernel
	.section	.text._ZN7rocprim17ROCPRIM_400000_NS6detail17trampoline_kernelINS0_14default_configENS1_29reduce_by_key_config_selectorIyjN6thrust23THRUST_200600_302600_NS4plusIjEEEEZZNS1_33reduce_by_key_impl_wrapped_configILNS1_25lookback_scan_determinismE0ES3_S9_NS6_6detail15normal_iteratorINS6_10device_ptrIyEEEENSD_INSE_IjEEEESG_SI_PmS8_NS6_8equal_toIyEEEE10hipError_tPvRmT2_T3_mT4_T5_T6_T7_T8_P12ihipStream_tbENKUlT_T0_E_clISt17integral_constantIbLb0EES12_IbLb1EEEEDaSY_SZ_EUlSY_E_NS1_11comp_targetILNS1_3genE0ELNS1_11target_archE4294967295ELNS1_3gpuE0ELNS1_3repE0EEENS1_30default_config_static_selectorELNS0_4arch9wavefront6targetE0EEEvT1_,"axG",@progbits,_ZN7rocprim17ROCPRIM_400000_NS6detail17trampoline_kernelINS0_14default_configENS1_29reduce_by_key_config_selectorIyjN6thrust23THRUST_200600_302600_NS4plusIjEEEEZZNS1_33reduce_by_key_impl_wrapped_configILNS1_25lookback_scan_determinismE0ES3_S9_NS6_6detail15normal_iteratorINS6_10device_ptrIyEEEENSD_INSE_IjEEEESG_SI_PmS8_NS6_8equal_toIyEEEE10hipError_tPvRmT2_T3_mT4_T5_T6_T7_T8_P12ihipStream_tbENKUlT_T0_E_clISt17integral_constantIbLb0EES12_IbLb1EEEEDaSY_SZ_EUlSY_E_NS1_11comp_targetILNS1_3genE0ELNS1_11target_archE4294967295ELNS1_3gpuE0ELNS1_3repE0EEENS1_30default_config_static_selectorELNS0_4arch9wavefront6targetE0EEEvT1_,comdat
.Lfunc_end724:
	.size	_ZN7rocprim17ROCPRIM_400000_NS6detail17trampoline_kernelINS0_14default_configENS1_29reduce_by_key_config_selectorIyjN6thrust23THRUST_200600_302600_NS4plusIjEEEEZZNS1_33reduce_by_key_impl_wrapped_configILNS1_25lookback_scan_determinismE0ES3_S9_NS6_6detail15normal_iteratorINS6_10device_ptrIyEEEENSD_INSE_IjEEEESG_SI_PmS8_NS6_8equal_toIyEEEE10hipError_tPvRmT2_T3_mT4_T5_T6_T7_T8_P12ihipStream_tbENKUlT_T0_E_clISt17integral_constantIbLb0EES12_IbLb1EEEEDaSY_SZ_EUlSY_E_NS1_11comp_targetILNS1_3genE0ELNS1_11target_archE4294967295ELNS1_3gpuE0ELNS1_3repE0EEENS1_30default_config_static_selectorELNS0_4arch9wavefront6targetE0EEEvT1_, .Lfunc_end724-_ZN7rocprim17ROCPRIM_400000_NS6detail17trampoline_kernelINS0_14default_configENS1_29reduce_by_key_config_selectorIyjN6thrust23THRUST_200600_302600_NS4plusIjEEEEZZNS1_33reduce_by_key_impl_wrapped_configILNS1_25lookback_scan_determinismE0ES3_S9_NS6_6detail15normal_iteratorINS6_10device_ptrIyEEEENSD_INSE_IjEEEESG_SI_PmS8_NS6_8equal_toIyEEEE10hipError_tPvRmT2_T3_mT4_T5_T6_T7_T8_P12ihipStream_tbENKUlT_T0_E_clISt17integral_constantIbLb0EES12_IbLb1EEEEDaSY_SZ_EUlSY_E_NS1_11comp_targetILNS1_3genE0ELNS1_11target_archE4294967295ELNS1_3gpuE0ELNS1_3repE0EEENS1_30default_config_static_selectorELNS0_4arch9wavefront6targetE0EEEvT1_
                                        ; -- End function
	.section	.AMDGPU.csdata,"",@progbits
; Kernel info:
; codeLenInByte = 0
; NumSgprs: 0
; NumVgprs: 0
; ScratchSize: 0
; MemoryBound: 0
; FloatMode: 240
; IeeeMode: 1
; LDSByteSize: 0 bytes/workgroup (compile time only)
; SGPRBlocks: 0
; VGPRBlocks: 0
; NumSGPRsForWavesPerEU: 1
; NumVGPRsForWavesPerEU: 1
; Occupancy: 16
; WaveLimiterHint : 0
; COMPUTE_PGM_RSRC2:SCRATCH_EN: 0
; COMPUTE_PGM_RSRC2:USER_SGPR: 15
; COMPUTE_PGM_RSRC2:TRAP_HANDLER: 0
; COMPUTE_PGM_RSRC2:TGID_X_EN: 1
; COMPUTE_PGM_RSRC2:TGID_Y_EN: 0
; COMPUTE_PGM_RSRC2:TGID_Z_EN: 0
; COMPUTE_PGM_RSRC2:TIDIG_COMP_CNT: 0
	.section	.text._ZN7rocprim17ROCPRIM_400000_NS6detail17trampoline_kernelINS0_14default_configENS1_29reduce_by_key_config_selectorIyjN6thrust23THRUST_200600_302600_NS4plusIjEEEEZZNS1_33reduce_by_key_impl_wrapped_configILNS1_25lookback_scan_determinismE0ES3_S9_NS6_6detail15normal_iteratorINS6_10device_ptrIyEEEENSD_INSE_IjEEEESG_SI_PmS8_NS6_8equal_toIyEEEE10hipError_tPvRmT2_T3_mT4_T5_T6_T7_T8_P12ihipStream_tbENKUlT_T0_E_clISt17integral_constantIbLb0EES12_IbLb1EEEEDaSY_SZ_EUlSY_E_NS1_11comp_targetILNS1_3genE5ELNS1_11target_archE942ELNS1_3gpuE9ELNS1_3repE0EEENS1_30default_config_static_selectorELNS0_4arch9wavefront6targetE0EEEvT1_,"axG",@progbits,_ZN7rocprim17ROCPRIM_400000_NS6detail17trampoline_kernelINS0_14default_configENS1_29reduce_by_key_config_selectorIyjN6thrust23THRUST_200600_302600_NS4plusIjEEEEZZNS1_33reduce_by_key_impl_wrapped_configILNS1_25lookback_scan_determinismE0ES3_S9_NS6_6detail15normal_iteratorINS6_10device_ptrIyEEEENSD_INSE_IjEEEESG_SI_PmS8_NS6_8equal_toIyEEEE10hipError_tPvRmT2_T3_mT4_T5_T6_T7_T8_P12ihipStream_tbENKUlT_T0_E_clISt17integral_constantIbLb0EES12_IbLb1EEEEDaSY_SZ_EUlSY_E_NS1_11comp_targetILNS1_3genE5ELNS1_11target_archE942ELNS1_3gpuE9ELNS1_3repE0EEENS1_30default_config_static_selectorELNS0_4arch9wavefront6targetE0EEEvT1_,comdat
	.protected	_ZN7rocprim17ROCPRIM_400000_NS6detail17trampoline_kernelINS0_14default_configENS1_29reduce_by_key_config_selectorIyjN6thrust23THRUST_200600_302600_NS4plusIjEEEEZZNS1_33reduce_by_key_impl_wrapped_configILNS1_25lookback_scan_determinismE0ES3_S9_NS6_6detail15normal_iteratorINS6_10device_ptrIyEEEENSD_INSE_IjEEEESG_SI_PmS8_NS6_8equal_toIyEEEE10hipError_tPvRmT2_T3_mT4_T5_T6_T7_T8_P12ihipStream_tbENKUlT_T0_E_clISt17integral_constantIbLb0EES12_IbLb1EEEEDaSY_SZ_EUlSY_E_NS1_11comp_targetILNS1_3genE5ELNS1_11target_archE942ELNS1_3gpuE9ELNS1_3repE0EEENS1_30default_config_static_selectorELNS0_4arch9wavefront6targetE0EEEvT1_ ; -- Begin function _ZN7rocprim17ROCPRIM_400000_NS6detail17trampoline_kernelINS0_14default_configENS1_29reduce_by_key_config_selectorIyjN6thrust23THRUST_200600_302600_NS4plusIjEEEEZZNS1_33reduce_by_key_impl_wrapped_configILNS1_25lookback_scan_determinismE0ES3_S9_NS6_6detail15normal_iteratorINS6_10device_ptrIyEEEENSD_INSE_IjEEEESG_SI_PmS8_NS6_8equal_toIyEEEE10hipError_tPvRmT2_T3_mT4_T5_T6_T7_T8_P12ihipStream_tbENKUlT_T0_E_clISt17integral_constantIbLb0EES12_IbLb1EEEEDaSY_SZ_EUlSY_E_NS1_11comp_targetILNS1_3genE5ELNS1_11target_archE942ELNS1_3gpuE9ELNS1_3repE0EEENS1_30default_config_static_selectorELNS0_4arch9wavefront6targetE0EEEvT1_
	.globl	_ZN7rocprim17ROCPRIM_400000_NS6detail17trampoline_kernelINS0_14default_configENS1_29reduce_by_key_config_selectorIyjN6thrust23THRUST_200600_302600_NS4plusIjEEEEZZNS1_33reduce_by_key_impl_wrapped_configILNS1_25lookback_scan_determinismE0ES3_S9_NS6_6detail15normal_iteratorINS6_10device_ptrIyEEEENSD_INSE_IjEEEESG_SI_PmS8_NS6_8equal_toIyEEEE10hipError_tPvRmT2_T3_mT4_T5_T6_T7_T8_P12ihipStream_tbENKUlT_T0_E_clISt17integral_constantIbLb0EES12_IbLb1EEEEDaSY_SZ_EUlSY_E_NS1_11comp_targetILNS1_3genE5ELNS1_11target_archE942ELNS1_3gpuE9ELNS1_3repE0EEENS1_30default_config_static_selectorELNS0_4arch9wavefront6targetE0EEEvT1_
	.p2align	8
	.type	_ZN7rocprim17ROCPRIM_400000_NS6detail17trampoline_kernelINS0_14default_configENS1_29reduce_by_key_config_selectorIyjN6thrust23THRUST_200600_302600_NS4plusIjEEEEZZNS1_33reduce_by_key_impl_wrapped_configILNS1_25lookback_scan_determinismE0ES3_S9_NS6_6detail15normal_iteratorINS6_10device_ptrIyEEEENSD_INSE_IjEEEESG_SI_PmS8_NS6_8equal_toIyEEEE10hipError_tPvRmT2_T3_mT4_T5_T6_T7_T8_P12ihipStream_tbENKUlT_T0_E_clISt17integral_constantIbLb0EES12_IbLb1EEEEDaSY_SZ_EUlSY_E_NS1_11comp_targetILNS1_3genE5ELNS1_11target_archE942ELNS1_3gpuE9ELNS1_3repE0EEENS1_30default_config_static_selectorELNS0_4arch9wavefront6targetE0EEEvT1_,@function
_ZN7rocprim17ROCPRIM_400000_NS6detail17trampoline_kernelINS0_14default_configENS1_29reduce_by_key_config_selectorIyjN6thrust23THRUST_200600_302600_NS4plusIjEEEEZZNS1_33reduce_by_key_impl_wrapped_configILNS1_25lookback_scan_determinismE0ES3_S9_NS6_6detail15normal_iteratorINS6_10device_ptrIyEEEENSD_INSE_IjEEEESG_SI_PmS8_NS6_8equal_toIyEEEE10hipError_tPvRmT2_T3_mT4_T5_T6_T7_T8_P12ihipStream_tbENKUlT_T0_E_clISt17integral_constantIbLb0EES12_IbLb1EEEEDaSY_SZ_EUlSY_E_NS1_11comp_targetILNS1_3genE5ELNS1_11target_archE942ELNS1_3gpuE9ELNS1_3repE0EEENS1_30default_config_static_selectorELNS0_4arch9wavefront6targetE0EEEvT1_: ; @_ZN7rocprim17ROCPRIM_400000_NS6detail17trampoline_kernelINS0_14default_configENS1_29reduce_by_key_config_selectorIyjN6thrust23THRUST_200600_302600_NS4plusIjEEEEZZNS1_33reduce_by_key_impl_wrapped_configILNS1_25lookback_scan_determinismE0ES3_S9_NS6_6detail15normal_iteratorINS6_10device_ptrIyEEEENSD_INSE_IjEEEESG_SI_PmS8_NS6_8equal_toIyEEEE10hipError_tPvRmT2_T3_mT4_T5_T6_T7_T8_P12ihipStream_tbENKUlT_T0_E_clISt17integral_constantIbLb0EES12_IbLb1EEEEDaSY_SZ_EUlSY_E_NS1_11comp_targetILNS1_3genE5ELNS1_11target_archE942ELNS1_3gpuE9ELNS1_3repE0EEENS1_30default_config_static_selectorELNS0_4arch9wavefront6targetE0EEEvT1_
; %bb.0:
	.section	.rodata,"a",@progbits
	.p2align	6, 0x0
	.amdhsa_kernel _ZN7rocprim17ROCPRIM_400000_NS6detail17trampoline_kernelINS0_14default_configENS1_29reduce_by_key_config_selectorIyjN6thrust23THRUST_200600_302600_NS4plusIjEEEEZZNS1_33reduce_by_key_impl_wrapped_configILNS1_25lookback_scan_determinismE0ES3_S9_NS6_6detail15normal_iteratorINS6_10device_ptrIyEEEENSD_INSE_IjEEEESG_SI_PmS8_NS6_8equal_toIyEEEE10hipError_tPvRmT2_T3_mT4_T5_T6_T7_T8_P12ihipStream_tbENKUlT_T0_E_clISt17integral_constantIbLb0EES12_IbLb1EEEEDaSY_SZ_EUlSY_E_NS1_11comp_targetILNS1_3genE5ELNS1_11target_archE942ELNS1_3gpuE9ELNS1_3repE0EEENS1_30default_config_static_selectorELNS0_4arch9wavefront6targetE0EEEvT1_
		.amdhsa_group_segment_fixed_size 0
		.amdhsa_private_segment_fixed_size 0
		.amdhsa_kernarg_size 120
		.amdhsa_user_sgpr_count 15
		.amdhsa_user_sgpr_dispatch_ptr 0
		.amdhsa_user_sgpr_queue_ptr 0
		.amdhsa_user_sgpr_kernarg_segment_ptr 1
		.amdhsa_user_sgpr_dispatch_id 0
		.amdhsa_user_sgpr_private_segment_size 0
		.amdhsa_wavefront_size32 1
		.amdhsa_uses_dynamic_stack 0
		.amdhsa_enable_private_segment 0
		.amdhsa_system_sgpr_workgroup_id_x 1
		.amdhsa_system_sgpr_workgroup_id_y 0
		.amdhsa_system_sgpr_workgroup_id_z 0
		.amdhsa_system_sgpr_workgroup_info 0
		.amdhsa_system_vgpr_workitem_id 0
		.amdhsa_next_free_vgpr 1
		.amdhsa_next_free_sgpr 1
		.amdhsa_reserve_vcc 0
		.amdhsa_float_round_mode_32 0
		.amdhsa_float_round_mode_16_64 0
		.amdhsa_float_denorm_mode_32 3
		.amdhsa_float_denorm_mode_16_64 3
		.amdhsa_dx10_clamp 1
		.amdhsa_ieee_mode 1
		.amdhsa_fp16_overflow 0
		.amdhsa_workgroup_processor_mode 1
		.amdhsa_memory_ordered 1
		.amdhsa_forward_progress 0
		.amdhsa_shared_vgpr_count 0
		.amdhsa_exception_fp_ieee_invalid_op 0
		.amdhsa_exception_fp_denorm_src 0
		.amdhsa_exception_fp_ieee_div_zero 0
		.amdhsa_exception_fp_ieee_overflow 0
		.amdhsa_exception_fp_ieee_underflow 0
		.amdhsa_exception_fp_ieee_inexact 0
		.amdhsa_exception_int_div_zero 0
	.end_amdhsa_kernel
	.section	.text._ZN7rocprim17ROCPRIM_400000_NS6detail17trampoline_kernelINS0_14default_configENS1_29reduce_by_key_config_selectorIyjN6thrust23THRUST_200600_302600_NS4plusIjEEEEZZNS1_33reduce_by_key_impl_wrapped_configILNS1_25lookback_scan_determinismE0ES3_S9_NS6_6detail15normal_iteratorINS6_10device_ptrIyEEEENSD_INSE_IjEEEESG_SI_PmS8_NS6_8equal_toIyEEEE10hipError_tPvRmT2_T3_mT4_T5_T6_T7_T8_P12ihipStream_tbENKUlT_T0_E_clISt17integral_constantIbLb0EES12_IbLb1EEEEDaSY_SZ_EUlSY_E_NS1_11comp_targetILNS1_3genE5ELNS1_11target_archE942ELNS1_3gpuE9ELNS1_3repE0EEENS1_30default_config_static_selectorELNS0_4arch9wavefront6targetE0EEEvT1_,"axG",@progbits,_ZN7rocprim17ROCPRIM_400000_NS6detail17trampoline_kernelINS0_14default_configENS1_29reduce_by_key_config_selectorIyjN6thrust23THRUST_200600_302600_NS4plusIjEEEEZZNS1_33reduce_by_key_impl_wrapped_configILNS1_25lookback_scan_determinismE0ES3_S9_NS6_6detail15normal_iteratorINS6_10device_ptrIyEEEENSD_INSE_IjEEEESG_SI_PmS8_NS6_8equal_toIyEEEE10hipError_tPvRmT2_T3_mT4_T5_T6_T7_T8_P12ihipStream_tbENKUlT_T0_E_clISt17integral_constantIbLb0EES12_IbLb1EEEEDaSY_SZ_EUlSY_E_NS1_11comp_targetILNS1_3genE5ELNS1_11target_archE942ELNS1_3gpuE9ELNS1_3repE0EEENS1_30default_config_static_selectorELNS0_4arch9wavefront6targetE0EEEvT1_,comdat
.Lfunc_end725:
	.size	_ZN7rocprim17ROCPRIM_400000_NS6detail17trampoline_kernelINS0_14default_configENS1_29reduce_by_key_config_selectorIyjN6thrust23THRUST_200600_302600_NS4plusIjEEEEZZNS1_33reduce_by_key_impl_wrapped_configILNS1_25lookback_scan_determinismE0ES3_S9_NS6_6detail15normal_iteratorINS6_10device_ptrIyEEEENSD_INSE_IjEEEESG_SI_PmS8_NS6_8equal_toIyEEEE10hipError_tPvRmT2_T3_mT4_T5_T6_T7_T8_P12ihipStream_tbENKUlT_T0_E_clISt17integral_constantIbLb0EES12_IbLb1EEEEDaSY_SZ_EUlSY_E_NS1_11comp_targetILNS1_3genE5ELNS1_11target_archE942ELNS1_3gpuE9ELNS1_3repE0EEENS1_30default_config_static_selectorELNS0_4arch9wavefront6targetE0EEEvT1_, .Lfunc_end725-_ZN7rocprim17ROCPRIM_400000_NS6detail17trampoline_kernelINS0_14default_configENS1_29reduce_by_key_config_selectorIyjN6thrust23THRUST_200600_302600_NS4plusIjEEEEZZNS1_33reduce_by_key_impl_wrapped_configILNS1_25lookback_scan_determinismE0ES3_S9_NS6_6detail15normal_iteratorINS6_10device_ptrIyEEEENSD_INSE_IjEEEESG_SI_PmS8_NS6_8equal_toIyEEEE10hipError_tPvRmT2_T3_mT4_T5_T6_T7_T8_P12ihipStream_tbENKUlT_T0_E_clISt17integral_constantIbLb0EES12_IbLb1EEEEDaSY_SZ_EUlSY_E_NS1_11comp_targetILNS1_3genE5ELNS1_11target_archE942ELNS1_3gpuE9ELNS1_3repE0EEENS1_30default_config_static_selectorELNS0_4arch9wavefront6targetE0EEEvT1_
                                        ; -- End function
	.section	.AMDGPU.csdata,"",@progbits
; Kernel info:
; codeLenInByte = 0
; NumSgprs: 0
; NumVgprs: 0
; ScratchSize: 0
; MemoryBound: 0
; FloatMode: 240
; IeeeMode: 1
; LDSByteSize: 0 bytes/workgroup (compile time only)
; SGPRBlocks: 0
; VGPRBlocks: 0
; NumSGPRsForWavesPerEU: 1
; NumVGPRsForWavesPerEU: 1
; Occupancy: 16
; WaveLimiterHint : 0
; COMPUTE_PGM_RSRC2:SCRATCH_EN: 0
; COMPUTE_PGM_RSRC2:USER_SGPR: 15
; COMPUTE_PGM_RSRC2:TRAP_HANDLER: 0
; COMPUTE_PGM_RSRC2:TGID_X_EN: 1
; COMPUTE_PGM_RSRC2:TGID_Y_EN: 0
; COMPUTE_PGM_RSRC2:TGID_Z_EN: 0
; COMPUTE_PGM_RSRC2:TIDIG_COMP_CNT: 0
	.section	.text._ZN7rocprim17ROCPRIM_400000_NS6detail17trampoline_kernelINS0_14default_configENS1_29reduce_by_key_config_selectorIyjN6thrust23THRUST_200600_302600_NS4plusIjEEEEZZNS1_33reduce_by_key_impl_wrapped_configILNS1_25lookback_scan_determinismE0ES3_S9_NS6_6detail15normal_iteratorINS6_10device_ptrIyEEEENSD_INSE_IjEEEESG_SI_PmS8_NS6_8equal_toIyEEEE10hipError_tPvRmT2_T3_mT4_T5_T6_T7_T8_P12ihipStream_tbENKUlT_T0_E_clISt17integral_constantIbLb0EES12_IbLb1EEEEDaSY_SZ_EUlSY_E_NS1_11comp_targetILNS1_3genE4ELNS1_11target_archE910ELNS1_3gpuE8ELNS1_3repE0EEENS1_30default_config_static_selectorELNS0_4arch9wavefront6targetE0EEEvT1_,"axG",@progbits,_ZN7rocprim17ROCPRIM_400000_NS6detail17trampoline_kernelINS0_14default_configENS1_29reduce_by_key_config_selectorIyjN6thrust23THRUST_200600_302600_NS4plusIjEEEEZZNS1_33reduce_by_key_impl_wrapped_configILNS1_25lookback_scan_determinismE0ES3_S9_NS6_6detail15normal_iteratorINS6_10device_ptrIyEEEENSD_INSE_IjEEEESG_SI_PmS8_NS6_8equal_toIyEEEE10hipError_tPvRmT2_T3_mT4_T5_T6_T7_T8_P12ihipStream_tbENKUlT_T0_E_clISt17integral_constantIbLb0EES12_IbLb1EEEEDaSY_SZ_EUlSY_E_NS1_11comp_targetILNS1_3genE4ELNS1_11target_archE910ELNS1_3gpuE8ELNS1_3repE0EEENS1_30default_config_static_selectorELNS0_4arch9wavefront6targetE0EEEvT1_,comdat
	.protected	_ZN7rocprim17ROCPRIM_400000_NS6detail17trampoline_kernelINS0_14default_configENS1_29reduce_by_key_config_selectorIyjN6thrust23THRUST_200600_302600_NS4plusIjEEEEZZNS1_33reduce_by_key_impl_wrapped_configILNS1_25lookback_scan_determinismE0ES3_S9_NS6_6detail15normal_iteratorINS6_10device_ptrIyEEEENSD_INSE_IjEEEESG_SI_PmS8_NS6_8equal_toIyEEEE10hipError_tPvRmT2_T3_mT4_T5_T6_T7_T8_P12ihipStream_tbENKUlT_T0_E_clISt17integral_constantIbLb0EES12_IbLb1EEEEDaSY_SZ_EUlSY_E_NS1_11comp_targetILNS1_3genE4ELNS1_11target_archE910ELNS1_3gpuE8ELNS1_3repE0EEENS1_30default_config_static_selectorELNS0_4arch9wavefront6targetE0EEEvT1_ ; -- Begin function _ZN7rocprim17ROCPRIM_400000_NS6detail17trampoline_kernelINS0_14default_configENS1_29reduce_by_key_config_selectorIyjN6thrust23THRUST_200600_302600_NS4plusIjEEEEZZNS1_33reduce_by_key_impl_wrapped_configILNS1_25lookback_scan_determinismE0ES3_S9_NS6_6detail15normal_iteratorINS6_10device_ptrIyEEEENSD_INSE_IjEEEESG_SI_PmS8_NS6_8equal_toIyEEEE10hipError_tPvRmT2_T3_mT4_T5_T6_T7_T8_P12ihipStream_tbENKUlT_T0_E_clISt17integral_constantIbLb0EES12_IbLb1EEEEDaSY_SZ_EUlSY_E_NS1_11comp_targetILNS1_3genE4ELNS1_11target_archE910ELNS1_3gpuE8ELNS1_3repE0EEENS1_30default_config_static_selectorELNS0_4arch9wavefront6targetE0EEEvT1_
	.globl	_ZN7rocprim17ROCPRIM_400000_NS6detail17trampoline_kernelINS0_14default_configENS1_29reduce_by_key_config_selectorIyjN6thrust23THRUST_200600_302600_NS4plusIjEEEEZZNS1_33reduce_by_key_impl_wrapped_configILNS1_25lookback_scan_determinismE0ES3_S9_NS6_6detail15normal_iteratorINS6_10device_ptrIyEEEENSD_INSE_IjEEEESG_SI_PmS8_NS6_8equal_toIyEEEE10hipError_tPvRmT2_T3_mT4_T5_T6_T7_T8_P12ihipStream_tbENKUlT_T0_E_clISt17integral_constantIbLb0EES12_IbLb1EEEEDaSY_SZ_EUlSY_E_NS1_11comp_targetILNS1_3genE4ELNS1_11target_archE910ELNS1_3gpuE8ELNS1_3repE0EEENS1_30default_config_static_selectorELNS0_4arch9wavefront6targetE0EEEvT1_
	.p2align	8
	.type	_ZN7rocprim17ROCPRIM_400000_NS6detail17trampoline_kernelINS0_14default_configENS1_29reduce_by_key_config_selectorIyjN6thrust23THRUST_200600_302600_NS4plusIjEEEEZZNS1_33reduce_by_key_impl_wrapped_configILNS1_25lookback_scan_determinismE0ES3_S9_NS6_6detail15normal_iteratorINS6_10device_ptrIyEEEENSD_INSE_IjEEEESG_SI_PmS8_NS6_8equal_toIyEEEE10hipError_tPvRmT2_T3_mT4_T5_T6_T7_T8_P12ihipStream_tbENKUlT_T0_E_clISt17integral_constantIbLb0EES12_IbLb1EEEEDaSY_SZ_EUlSY_E_NS1_11comp_targetILNS1_3genE4ELNS1_11target_archE910ELNS1_3gpuE8ELNS1_3repE0EEENS1_30default_config_static_selectorELNS0_4arch9wavefront6targetE0EEEvT1_,@function
_ZN7rocprim17ROCPRIM_400000_NS6detail17trampoline_kernelINS0_14default_configENS1_29reduce_by_key_config_selectorIyjN6thrust23THRUST_200600_302600_NS4plusIjEEEEZZNS1_33reduce_by_key_impl_wrapped_configILNS1_25lookback_scan_determinismE0ES3_S9_NS6_6detail15normal_iteratorINS6_10device_ptrIyEEEENSD_INSE_IjEEEESG_SI_PmS8_NS6_8equal_toIyEEEE10hipError_tPvRmT2_T3_mT4_T5_T6_T7_T8_P12ihipStream_tbENKUlT_T0_E_clISt17integral_constantIbLb0EES12_IbLb1EEEEDaSY_SZ_EUlSY_E_NS1_11comp_targetILNS1_3genE4ELNS1_11target_archE910ELNS1_3gpuE8ELNS1_3repE0EEENS1_30default_config_static_selectorELNS0_4arch9wavefront6targetE0EEEvT1_: ; @_ZN7rocprim17ROCPRIM_400000_NS6detail17trampoline_kernelINS0_14default_configENS1_29reduce_by_key_config_selectorIyjN6thrust23THRUST_200600_302600_NS4plusIjEEEEZZNS1_33reduce_by_key_impl_wrapped_configILNS1_25lookback_scan_determinismE0ES3_S9_NS6_6detail15normal_iteratorINS6_10device_ptrIyEEEENSD_INSE_IjEEEESG_SI_PmS8_NS6_8equal_toIyEEEE10hipError_tPvRmT2_T3_mT4_T5_T6_T7_T8_P12ihipStream_tbENKUlT_T0_E_clISt17integral_constantIbLb0EES12_IbLb1EEEEDaSY_SZ_EUlSY_E_NS1_11comp_targetILNS1_3genE4ELNS1_11target_archE910ELNS1_3gpuE8ELNS1_3repE0EEENS1_30default_config_static_selectorELNS0_4arch9wavefront6targetE0EEEvT1_
; %bb.0:
	.section	.rodata,"a",@progbits
	.p2align	6, 0x0
	.amdhsa_kernel _ZN7rocprim17ROCPRIM_400000_NS6detail17trampoline_kernelINS0_14default_configENS1_29reduce_by_key_config_selectorIyjN6thrust23THRUST_200600_302600_NS4plusIjEEEEZZNS1_33reduce_by_key_impl_wrapped_configILNS1_25lookback_scan_determinismE0ES3_S9_NS6_6detail15normal_iteratorINS6_10device_ptrIyEEEENSD_INSE_IjEEEESG_SI_PmS8_NS6_8equal_toIyEEEE10hipError_tPvRmT2_T3_mT4_T5_T6_T7_T8_P12ihipStream_tbENKUlT_T0_E_clISt17integral_constantIbLb0EES12_IbLb1EEEEDaSY_SZ_EUlSY_E_NS1_11comp_targetILNS1_3genE4ELNS1_11target_archE910ELNS1_3gpuE8ELNS1_3repE0EEENS1_30default_config_static_selectorELNS0_4arch9wavefront6targetE0EEEvT1_
		.amdhsa_group_segment_fixed_size 0
		.amdhsa_private_segment_fixed_size 0
		.amdhsa_kernarg_size 120
		.amdhsa_user_sgpr_count 15
		.amdhsa_user_sgpr_dispatch_ptr 0
		.amdhsa_user_sgpr_queue_ptr 0
		.amdhsa_user_sgpr_kernarg_segment_ptr 1
		.amdhsa_user_sgpr_dispatch_id 0
		.amdhsa_user_sgpr_private_segment_size 0
		.amdhsa_wavefront_size32 1
		.amdhsa_uses_dynamic_stack 0
		.amdhsa_enable_private_segment 0
		.amdhsa_system_sgpr_workgroup_id_x 1
		.amdhsa_system_sgpr_workgroup_id_y 0
		.amdhsa_system_sgpr_workgroup_id_z 0
		.amdhsa_system_sgpr_workgroup_info 0
		.amdhsa_system_vgpr_workitem_id 0
		.amdhsa_next_free_vgpr 1
		.amdhsa_next_free_sgpr 1
		.amdhsa_reserve_vcc 0
		.amdhsa_float_round_mode_32 0
		.amdhsa_float_round_mode_16_64 0
		.amdhsa_float_denorm_mode_32 3
		.amdhsa_float_denorm_mode_16_64 3
		.amdhsa_dx10_clamp 1
		.amdhsa_ieee_mode 1
		.amdhsa_fp16_overflow 0
		.amdhsa_workgroup_processor_mode 1
		.amdhsa_memory_ordered 1
		.amdhsa_forward_progress 0
		.amdhsa_shared_vgpr_count 0
		.amdhsa_exception_fp_ieee_invalid_op 0
		.amdhsa_exception_fp_denorm_src 0
		.amdhsa_exception_fp_ieee_div_zero 0
		.amdhsa_exception_fp_ieee_overflow 0
		.amdhsa_exception_fp_ieee_underflow 0
		.amdhsa_exception_fp_ieee_inexact 0
		.amdhsa_exception_int_div_zero 0
	.end_amdhsa_kernel
	.section	.text._ZN7rocprim17ROCPRIM_400000_NS6detail17trampoline_kernelINS0_14default_configENS1_29reduce_by_key_config_selectorIyjN6thrust23THRUST_200600_302600_NS4plusIjEEEEZZNS1_33reduce_by_key_impl_wrapped_configILNS1_25lookback_scan_determinismE0ES3_S9_NS6_6detail15normal_iteratorINS6_10device_ptrIyEEEENSD_INSE_IjEEEESG_SI_PmS8_NS6_8equal_toIyEEEE10hipError_tPvRmT2_T3_mT4_T5_T6_T7_T8_P12ihipStream_tbENKUlT_T0_E_clISt17integral_constantIbLb0EES12_IbLb1EEEEDaSY_SZ_EUlSY_E_NS1_11comp_targetILNS1_3genE4ELNS1_11target_archE910ELNS1_3gpuE8ELNS1_3repE0EEENS1_30default_config_static_selectorELNS0_4arch9wavefront6targetE0EEEvT1_,"axG",@progbits,_ZN7rocprim17ROCPRIM_400000_NS6detail17trampoline_kernelINS0_14default_configENS1_29reduce_by_key_config_selectorIyjN6thrust23THRUST_200600_302600_NS4plusIjEEEEZZNS1_33reduce_by_key_impl_wrapped_configILNS1_25lookback_scan_determinismE0ES3_S9_NS6_6detail15normal_iteratorINS6_10device_ptrIyEEEENSD_INSE_IjEEEESG_SI_PmS8_NS6_8equal_toIyEEEE10hipError_tPvRmT2_T3_mT4_T5_T6_T7_T8_P12ihipStream_tbENKUlT_T0_E_clISt17integral_constantIbLb0EES12_IbLb1EEEEDaSY_SZ_EUlSY_E_NS1_11comp_targetILNS1_3genE4ELNS1_11target_archE910ELNS1_3gpuE8ELNS1_3repE0EEENS1_30default_config_static_selectorELNS0_4arch9wavefront6targetE0EEEvT1_,comdat
.Lfunc_end726:
	.size	_ZN7rocprim17ROCPRIM_400000_NS6detail17trampoline_kernelINS0_14default_configENS1_29reduce_by_key_config_selectorIyjN6thrust23THRUST_200600_302600_NS4plusIjEEEEZZNS1_33reduce_by_key_impl_wrapped_configILNS1_25lookback_scan_determinismE0ES3_S9_NS6_6detail15normal_iteratorINS6_10device_ptrIyEEEENSD_INSE_IjEEEESG_SI_PmS8_NS6_8equal_toIyEEEE10hipError_tPvRmT2_T3_mT4_T5_T6_T7_T8_P12ihipStream_tbENKUlT_T0_E_clISt17integral_constantIbLb0EES12_IbLb1EEEEDaSY_SZ_EUlSY_E_NS1_11comp_targetILNS1_3genE4ELNS1_11target_archE910ELNS1_3gpuE8ELNS1_3repE0EEENS1_30default_config_static_selectorELNS0_4arch9wavefront6targetE0EEEvT1_, .Lfunc_end726-_ZN7rocprim17ROCPRIM_400000_NS6detail17trampoline_kernelINS0_14default_configENS1_29reduce_by_key_config_selectorIyjN6thrust23THRUST_200600_302600_NS4plusIjEEEEZZNS1_33reduce_by_key_impl_wrapped_configILNS1_25lookback_scan_determinismE0ES3_S9_NS6_6detail15normal_iteratorINS6_10device_ptrIyEEEENSD_INSE_IjEEEESG_SI_PmS8_NS6_8equal_toIyEEEE10hipError_tPvRmT2_T3_mT4_T5_T6_T7_T8_P12ihipStream_tbENKUlT_T0_E_clISt17integral_constantIbLb0EES12_IbLb1EEEEDaSY_SZ_EUlSY_E_NS1_11comp_targetILNS1_3genE4ELNS1_11target_archE910ELNS1_3gpuE8ELNS1_3repE0EEENS1_30default_config_static_selectorELNS0_4arch9wavefront6targetE0EEEvT1_
                                        ; -- End function
	.section	.AMDGPU.csdata,"",@progbits
; Kernel info:
; codeLenInByte = 0
; NumSgprs: 0
; NumVgprs: 0
; ScratchSize: 0
; MemoryBound: 0
; FloatMode: 240
; IeeeMode: 1
; LDSByteSize: 0 bytes/workgroup (compile time only)
; SGPRBlocks: 0
; VGPRBlocks: 0
; NumSGPRsForWavesPerEU: 1
; NumVGPRsForWavesPerEU: 1
; Occupancy: 16
; WaveLimiterHint : 0
; COMPUTE_PGM_RSRC2:SCRATCH_EN: 0
; COMPUTE_PGM_RSRC2:USER_SGPR: 15
; COMPUTE_PGM_RSRC2:TRAP_HANDLER: 0
; COMPUTE_PGM_RSRC2:TGID_X_EN: 1
; COMPUTE_PGM_RSRC2:TGID_Y_EN: 0
; COMPUTE_PGM_RSRC2:TGID_Z_EN: 0
; COMPUTE_PGM_RSRC2:TIDIG_COMP_CNT: 0
	.section	.text._ZN7rocprim17ROCPRIM_400000_NS6detail17trampoline_kernelINS0_14default_configENS1_29reduce_by_key_config_selectorIyjN6thrust23THRUST_200600_302600_NS4plusIjEEEEZZNS1_33reduce_by_key_impl_wrapped_configILNS1_25lookback_scan_determinismE0ES3_S9_NS6_6detail15normal_iteratorINS6_10device_ptrIyEEEENSD_INSE_IjEEEESG_SI_PmS8_NS6_8equal_toIyEEEE10hipError_tPvRmT2_T3_mT4_T5_T6_T7_T8_P12ihipStream_tbENKUlT_T0_E_clISt17integral_constantIbLb0EES12_IbLb1EEEEDaSY_SZ_EUlSY_E_NS1_11comp_targetILNS1_3genE3ELNS1_11target_archE908ELNS1_3gpuE7ELNS1_3repE0EEENS1_30default_config_static_selectorELNS0_4arch9wavefront6targetE0EEEvT1_,"axG",@progbits,_ZN7rocprim17ROCPRIM_400000_NS6detail17trampoline_kernelINS0_14default_configENS1_29reduce_by_key_config_selectorIyjN6thrust23THRUST_200600_302600_NS4plusIjEEEEZZNS1_33reduce_by_key_impl_wrapped_configILNS1_25lookback_scan_determinismE0ES3_S9_NS6_6detail15normal_iteratorINS6_10device_ptrIyEEEENSD_INSE_IjEEEESG_SI_PmS8_NS6_8equal_toIyEEEE10hipError_tPvRmT2_T3_mT4_T5_T6_T7_T8_P12ihipStream_tbENKUlT_T0_E_clISt17integral_constantIbLb0EES12_IbLb1EEEEDaSY_SZ_EUlSY_E_NS1_11comp_targetILNS1_3genE3ELNS1_11target_archE908ELNS1_3gpuE7ELNS1_3repE0EEENS1_30default_config_static_selectorELNS0_4arch9wavefront6targetE0EEEvT1_,comdat
	.protected	_ZN7rocprim17ROCPRIM_400000_NS6detail17trampoline_kernelINS0_14default_configENS1_29reduce_by_key_config_selectorIyjN6thrust23THRUST_200600_302600_NS4plusIjEEEEZZNS1_33reduce_by_key_impl_wrapped_configILNS1_25lookback_scan_determinismE0ES3_S9_NS6_6detail15normal_iteratorINS6_10device_ptrIyEEEENSD_INSE_IjEEEESG_SI_PmS8_NS6_8equal_toIyEEEE10hipError_tPvRmT2_T3_mT4_T5_T6_T7_T8_P12ihipStream_tbENKUlT_T0_E_clISt17integral_constantIbLb0EES12_IbLb1EEEEDaSY_SZ_EUlSY_E_NS1_11comp_targetILNS1_3genE3ELNS1_11target_archE908ELNS1_3gpuE7ELNS1_3repE0EEENS1_30default_config_static_selectorELNS0_4arch9wavefront6targetE0EEEvT1_ ; -- Begin function _ZN7rocprim17ROCPRIM_400000_NS6detail17trampoline_kernelINS0_14default_configENS1_29reduce_by_key_config_selectorIyjN6thrust23THRUST_200600_302600_NS4plusIjEEEEZZNS1_33reduce_by_key_impl_wrapped_configILNS1_25lookback_scan_determinismE0ES3_S9_NS6_6detail15normal_iteratorINS6_10device_ptrIyEEEENSD_INSE_IjEEEESG_SI_PmS8_NS6_8equal_toIyEEEE10hipError_tPvRmT2_T3_mT4_T5_T6_T7_T8_P12ihipStream_tbENKUlT_T0_E_clISt17integral_constantIbLb0EES12_IbLb1EEEEDaSY_SZ_EUlSY_E_NS1_11comp_targetILNS1_3genE3ELNS1_11target_archE908ELNS1_3gpuE7ELNS1_3repE0EEENS1_30default_config_static_selectorELNS0_4arch9wavefront6targetE0EEEvT1_
	.globl	_ZN7rocprim17ROCPRIM_400000_NS6detail17trampoline_kernelINS0_14default_configENS1_29reduce_by_key_config_selectorIyjN6thrust23THRUST_200600_302600_NS4plusIjEEEEZZNS1_33reduce_by_key_impl_wrapped_configILNS1_25lookback_scan_determinismE0ES3_S9_NS6_6detail15normal_iteratorINS6_10device_ptrIyEEEENSD_INSE_IjEEEESG_SI_PmS8_NS6_8equal_toIyEEEE10hipError_tPvRmT2_T3_mT4_T5_T6_T7_T8_P12ihipStream_tbENKUlT_T0_E_clISt17integral_constantIbLb0EES12_IbLb1EEEEDaSY_SZ_EUlSY_E_NS1_11comp_targetILNS1_3genE3ELNS1_11target_archE908ELNS1_3gpuE7ELNS1_3repE0EEENS1_30default_config_static_selectorELNS0_4arch9wavefront6targetE0EEEvT1_
	.p2align	8
	.type	_ZN7rocprim17ROCPRIM_400000_NS6detail17trampoline_kernelINS0_14default_configENS1_29reduce_by_key_config_selectorIyjN6thrust23THRUST_200600_302600_NS4plusIjEEEEZZNS1_33reduce_by_key_impl_wrapped_configILNS1_25lookback_scan_determinismE0ES3_S9_NS6_6detail15normal_iteratorINS6_10device_ptrIyEEEENSD_INSE_IjEEEESG_SI_PmS8_NS6_8equal_toIyEEEE10hipError_tPvRmT2_T3_mT4_T5_T6_T7_T8_P12ihipStream_tbENKUlT_T0_E_clISt17integral_constantIbLb0EES12_IbLb1EEEEDaSY_SZ_EUlSY_E_NS1_11comp_targetILNS1_3genE3ELNS1_11target_archE908ELNS1_3gpuE7ELNS1_3repE0EEENS1_30default_config_static_selectorELNS0_4arch9wavefront6targetE0EEEvT1_,@function
_ZN7rocprim17ROCPRIM_400000_NS6detail17trampoline_kernelINS0_14default_configENS1_29reduce_by_key_config_selectorIyjN6thrust23THRUST_200600_302600_NS4plusIjEEEEZZNS1_33reduce_by_key_impl_wrapped_configILNS1_25lookback_scan_determinismE0ES3_S9_NS6_6detail15normal_iteratorINS6_10device_ptrIyEEEENSD_INSE_IjEEEESG_SI_PmS8_NS6_8equal_toIyEEEE10hipError_tPvRmT2_T3_mT4_T5_T6_T7_T8_P12ihipStream_tbENKUlT_T0_E_clISt17integral_constantIbLb0EES12_IbLb1EEEEDaSY_SZ_EUlSY_E_NS1_11comp_targetILNS1_3genE3ELNS1_11target_archE908ELNS1_3gpuE7ELNS1_3repE0EEENS1_30default_config_static_selectorELNS0_4arch9wavefront6targetE0EEEvT1_: ; @_ZN7rocprim17ROCPRIM_400000_NS6detail17trampoline_kernelINS0_14default_configENS1_29reduce_by_key_config_selectorIyjN6thrust23THRUST_200600_302600_NS4plusIjEEEEZZNS1_33reduce_by_key_impl_wrapped_configILNS1_25lookback_scan_determinismE0ES3_S9_NS6_6detail15normal_iteratorINS6_10device_ptrIyEEEENSD_INSE_IjEEEESG_SI_PmS8_NS6_8equal_toIyEEEE10hipError_tPvRmT2_T3_mT4_T5_T6_T7_T8_P12ihipStream_tbENKUlT_T0_E_clISt17integral_constantIbLb0EES12_IbLb1EEEEDaSY_SZ_EUlSY_E_NS1_11comp_targetILNS1_3genE3ELNS1_11target_archE908ELNS1_3gpuE7ELNS1_3repE0EEENS1_30default_config_static_selectorELNS0_4arch9wavefront6targetE0EEEvT1_
; %bb.0:
	.section	.rodata,"a",@progbits
	.p2align	6, 0x0
	.amdhsa_kernel _ZN7rocprim17ROCPRIM_400000_NS6detail17trampoline_kernelINS0_14default_configENS1_29reduce_by_key_config_selectorIyjN6thrust23THRUST_200600_302600_NS4plusIjEEEEZZNS1_33reduce_by_key_impl_wrapped_configILNS1_25lookback_scan_determinismE0ES3_S9_NS6_6detail15normal_iteratorINS6_10device_ptrIyEEEENSD_INSE_IjEEEESG_SI_PmS8_NS6_8equal_toIyEEEE10hipError_tPvRmT2_T3_mT4_T5_T6_T7_T8_P12ihipStream_tbENKUlT_T0_E_clISt17integral_constantIbLb0EES12_IbLb1EEEEDaSY_SZ_EUlSY_E_NS1_11comp_targetILNS1_3genE3ELNS1_11target_archE908ELNS1_3gpuE7ELNS1_3repE0EEENS1_30default_config_static_selectorELNS0_4arch9wavefront6targetE0EEEvT1_
		.amdhsa_group_segment_fixed_size 0
		.amdhsa_private_segment_fixed_size 0
		.amdhsa_kernarg_size 120
		.amdhsa_user_sgpr_count 15
		.amdhsa_user_sgpr_dispatch_ptr 0
		.amdhsa_user_sgpr_queue_ptr 0
		.amdhsa_user_sgpr_kernarg_segment_ptr 1
		.amdhsa_user_sgpr_dispatch_id 0
		.amdhsa_user_sgpr_private_segment_size 0
		.amdhsa_wavefront_size32 1
		.amdhsa_uses_dynamic_stack 0
		.amdhsa_enable_private_segment 0
		.amdhsa_system_sgpr_workgroup_id_x 1
		.amdhsa_system_sgpr_workgroup_id_y 0
		.amdhsa_system_sgpr_workgroup_id_z 0
		.amdhsa_system_sgpr_workgroup_info 0
		.amdhsa_system_vgpr_workitem_id 0
		.amdhsa_next_free_vgpr 1
		.amdhsa_next_free_sgpr 1
		.amdhsa_reserve_vcc 0
		.amdhsa_float_round_mode_32 0
		.amdhsa_float_round_mode_16_64 0
		.amdhsa_float_denorm_mode_32 3
		.amdhsa_float_denorm_mode_16_64 3
		.amdhsa_dx10_clamp 1
		.amdhsa_ieee_mode 1
		.amdhsa_fp16_overflow 0
		.amdhsa_workgroup_processor_mode 1
		.amdhsa_memory_ordered 1
		.amdhsa_forward_progress 0
		.amdhsa_shared_vgpr_count 0
		.amdhsa_exception_fp_ieee_invalid_op 0
		.amdhsa_exception_fp_denorm_src 0
		.amdhsa_exception_fp_ieee_div_zero 0
		.amdhsa_exception_fp_ieee_overflow 0
		.amdhsa_exception_fp_ieee_underflow 0
		.amdhsa_exception_fp_ieee_inexact 0
		.amdhsa_exception_int_div_zero 0
	.end_amdhsa_kernel
	.section	.text._ZN7rocprim17ROCPRIM_400000_NS6detail17trampoline_kernelINS0_14default_configENS1_29reduce_by_key_config_selectorIyjN6thrust23THRUST_200600_302600_NS4plusIjEEEEZZNS1_33reduce_by_key_impl_wrapped_configILNS1_25lookback_scan_determinismE0ES3_S9_NS6_6detail15normal_iteratorINS6_10device_ptrIyEEEENSD_INSE_IjEEEESG_SI_PmS8_NS6_8equal_toIyEEEE10hipError_tPvRmT2_T3_mT4_T5_T6_T7_T8_P12ihipStream_tbENKUlT_T0_E_clISt17integral_constantIbLb0EES12_IbLb1EEEEDaSY_SZ_EUlSY_E_NS1_11comp_targetILNS1_3genE3ELNS1_11target_archE908ELNS1_3gpuE7ELNS1_3repE0EEENS1_30default_config_static_selectorELNS0_4arch9wavefront6targetE0EEEvT1_,"axG",@progbits,_ZN7rocprim17ROCPRIM_400000_NS6detail17trampoline_kernelINS0_14default_configENS1_29reduce_by_key_config_selectorIyjN6thrust23THRUST_200600_302600_NS4plusIjEEEEZZNS1_33reduce_by_key_impl_wrapped_configILNS1_25lookback_scan_determinismE0ES3_S9_NS6_6detail15normal_iteratorINS6_10device_ptrIyEEEENSD_INSE_IjEEEESG_SI_PmS8_NS6_8equal_toIyEEEE10hipError_tPvRmT2_T3_mT4_T5_T6_T7_T8_P12ihipStream_tbENKUlT_T0_E_clISt17integral_constantIbLb0EES12_IbLb1EEEEDaSY_SZ_EUlSY_E_NS1_11comp_targetILNS1_3genE3ELNS1_11target_archE908ELNS1_3gpuE7ELNS1_3repE0EEENS1_30default_config_static_selectorELNS0_4arch9wavefront6targetE0EEEvT1_,comdat
.Lfunc_end727:
	.size	_ZN7rocprim17ROCPRIM_400000_NS6detail17trampoline_kernelINS0_14default_configENS1_29reduce_by_key_config_selectorIyjN6thrust23THRUST_200600_302600_NS4plusIjEEEEZZNS1_33reduce_by_key_impl_wrapped_configILNS1_25lookback_scan_determinismE0ES3_S9_NS6_6detail15normal_iteratorINS6_10device_ptrIyEEEENSD_INSE_IjEEEESG_SI_PmS8_NS6_8equal_toIyEEEE10hipError_tPvRmT2_T3_mT4_T5_T6_T7_T8_P12ihipStream_tbENKUlT_T0_E_clISt17integral_constantIbLb0EES12_IbLb1EEEEDaSY_SZ_EUlSY_E_NS1_11comp_targetILNS1_3genE3ELNS1_11target_archE908ELNS1_3gpuE7ELNS1_3repE0EEENS1_30default_config_static_selectorELNS0_4arch9wavefront6targetE0EEEvT1_, .Lfunc_end727-_ZN7rocprim17ROCPRIM_400000_NS6detail17trampoline_kernelINS0_14default_configENS1_29reduce_by_key_config_selectorIyjN6thrust23THRUST_200600_302600_NS4plusIjEEEEZZNS1_33reduce_by_key_impl_wrapped_configILNS1_25lookback_scan_determinismE0ES3_S9_NS6_6detail15normal_iteratorINS6_10device_ptrIyEEEENSD_INSE_IjEEEESG_SI_PmS8_NS6_8equal_toIyEEEE10hipError_tPvRmT2_T3_mT4_T5_T6_T7_T8_P12ihipStream_tbENKUlT_T0_E_clISt17integral_constantIbLb0EES12_IbLb1EEEEDaSY_SZ_EUlSY_E_NS1_11comp_targetILNS1_3genE3ELNS1_11target_archE908ELNS1_3gpuE7ELNS1_3repE0EEENS1_30default_config_static_selectorELNS0_4arch9wavefront6targetE0EEEvT1_
                                        ; -- End function
	.section	.AMDGPU.csdata,"",@progbits
; Kernel info:
; codeLenInByte = 0
; NumSgprs: 0
; NumVgprs: 0
; ScratchSize: 0
; MemoryBound: 0
; FloatMode: 240
; IeeeMode: 1
; LDSByteSize: 0 bytes/workgroup (compile time only)
; SGPRBlocks: 0
; VGPRBlocks: 0
; NumSGPRsForWavesPerEU: 1
; NumVGPRsForWavesPerEU: 1
; Occupancy: 16
; WaveLimiterHint : 0
; COMPUTE_PGM_RSRC2:SCRATCH_EN: 0
; COMPUTE_PGM_RSRC2:USER_SGPR: 15
; COMPUTE_PGM_RSRC2:TRAP_HANDLER: 0
; COMPUTE_PGM_RSRC2:TGID_X_EN: 1
; COMPUTE_PGM_RSRC2:TGID_Y_EN: 0
; COMPUTE_PGM_RSRC2:TGID_Z_EN: 0
; COMPUTE_PGM_RSRC2:TIDIG_COMP_CNT: 0
	.section	.text._ZN7rocprim17ROCPRIM_400000_NS6detail17trampoline_kernelINS0_14default_configENS1_29reduce_by_key_config_selectorIyjN6thrust23THRUST_200600_302600_NS4plusIjEEEEZZNS1_33reduce_by_key_impl_wrapped_configILNS1_25lookback_scan_determinismE0ES3_S9_NS6_6detail15normal_iteratorINS6_10device_ptrIyEEEENSD_INSE_IjEEEESG_SI_PmS8_NS6_8equal_toIyEEEE10hipError_tPvRmT2_T3_mT4_T5_T6_T7_T8_P12ihipStream_tbENKUlT_T0_E_clISt17integral_constantIbLb0EES12_IbLb1EEEEDaSY_SZ_EUlSY_E_NS1_11comp_targetILNS1_3genE2ELNS1_11target_archE906ELNS1_3gpuE6ELNS1_3repE0EEENS1_30default_config_static_selectorELNS0_4arch9wavefront6targetE0EEEvT1_,"axG",@progbits,_ZN7rocprim17ROCPRIM_400000_NS6detail17trampoline_kernelINS0_14default_configENS1_29reduce_by_key_config_selectorIyjN6thrust23THRUST_200600_302600_NS4plusIjEEEEZZNS1_33reduce_by_key_impl_wrapped_configILNS1_25lookback_scan_determinismE0ES3_S9_NS6_6detail15normal_iteratorINS6_10device_ptrIyEEEENSD_INSE_IjEEEESG_SI_PmS8_NS6_8equal_toIyEEEE10hipError_tPvRmT2_T3_mT4_T5_T6_T7_T8_P12ihipStream_tbENKUlT_T0_E_clISt17integral_constantIbLb0EES12_IbLb1EEEEDaSY_SZ_EUlSY_E_NS1_11comp_targetILNS1_3genE2ELNS1_11target_archE906ELNS1_3gpuE6ELNS1_3repE0EEENS1_30default_config_static_selectorELNS0_4arch9wavefront6targetE0EEEvT1_,comdat
	.protected	_ZN7rocprim17ROCPRIM_400000_NS6detail17trampoline_kernelINS0_14default_configENS1_29reduce_by_key_config_selectorIyjN6thrust23THRUST_200600_302600_NS4plusIjEEEEZZNS1_33reduce_by_key_impl_wrapped_configILNS1_25lookback_scan_determinismE0ES3_S9_NS6_6detail15normal_iteratorINS6_10device_ptrIyEEEENSD_INSE_IjEEEESG_SI_PmS8_NS6_8equal_toIyEEEE10hipError_tPvRmT2_T3_mT4_T5_T6_T7_T8_P12ihipStream_tbENKUlT_T0_E_clISt17integral_constantIbLb0EES12_IbLb1EEEEDaSY_SZ_EUlSY_E_NS1_11comp_targetILNS1_3genE2ELNS1_11target_archE906ELNS1_3gpuE6ELNS1_3repE0EEENS1_30default_config_static_selectorELNS0_4arch9wavefront6targetE0EEEvT1_ ; -- Begin function _ZN7rocprim17ROCPRIM_400000_NS6detail17trampoline_kernelINS0_14default_configENS1_29reduce_by_key_config_selectorIyjN6thrust23THRUST_200600_302600_NS4plusIjEEEEZZNS1_33reduce_by_key_impl_wrapped_configILNS1_25lookback_scan_determinismE0ES3_S9_NS6_6detail15normal_iteratorINS6_10device_ptrIyEEEENSD_INSE_IjEEEESG_SI_PmS8_NS6_8equal_toIyEEEE10hipError_tPvRmT2_T3_mT4_T5_T6_T7_T8_P12ihipStream_tbENKUlT_T0_E_clISt17integral_constantIbLb0EES12_IbLb1EEEEDaSY_SZ_EUlSY_E_NS1_11comp_targetILNS1_3genE2ELNS1_11target_archE906ELNS1_3gpuE6ELNS1_3repE0EEENS1_30default_config_static_selectorELNS0_4arch9wavefront6targetE0EEEvT1_
	.globl	_ZN7rocprim17ROCPRIM_400000_NS6detail17trampoline_kernelINS0_14default_configENS1_29reduce_by_key_config_selectorIyjN6thrust23THRUST_200600_302600_NS4plusIjEEEEZZNS1_33reduce_by_key_impl_wrapped_configILNS1_25lookback_scan_determinismE0ES3_S9_NS6_6detail15normal_iteratorINS6_10device_ptrIyEEEENSD_INSE_IjEEEESG_SI_PmS8_NS6_8equal_toIyEEEE10hipError_tPvRmT2_T3_mT4_T5_T6_T7_T8_P12ihipStream_tbENKUlT_T0_E_clISt17integral_constantIbLb0EES12_IbLb1EEEEDaSY_SZ_EUlSY_E_NS1_11comp_targetILNS1_3genE2ELNS1_11target_archE906ELNS1_3gpuE6ELNS1_3repE0EEENS1_30default_config_static_selectorELNS0_4arch9wavefront6targetE0EEEvT1_
	.p2align	8
	.type	_ZN7rocprim17ROCPRIM_400000_NS6detail17trampoline_kernelINS0_14default_configENS1_29reduce_by_key_config_selectorIyjN6thrust23THRUST_200600_302600_NS4plusIjEEEEZZNS1_33reduce_by_key_impl_wrapped_configILNS1_25lookback_scan_determinismE0ES3_S9_NS6_6detail15normal_iteratorINS6_10device_ptrIyEEEENSD_INSE_IjEEEESG_SI_PmS8_NS6_8equal_toIyEEEE10hipError_tPvRmT2_T3_mT4_T5_T6_T7_T8_P12ihipStream_tbENKUlT_T0_E_clISt17integral_constantIbLb0EES12_IbLb1EEEEDaSY_SZ_EUlSY_E_NS1_11comp_targetILNS1_3genE2ELNS1_11target_archE906ELNS1_3gpuE6ELNS1_3repE0EEENS1_30default_config_static_selectorELNS0_4arch9wavefront6targetE0EEEvT1_,@function
_ZN7rocprim17ROCPRIM_400000_NS6detail17trampoline_kernelINS0_14default_configENS1_29reduce_by_key_config_selectorIyjN6thrust23THRUST_200600_302600_NS4plusIjEEEEZZNS1_33reduce_by_key_impl_wrapped_configILNS1_25lookback_scan_determinismE0ES3_S9_NS6_6detail15normal_iteratorINS6_10device_ptrIyEEEENSD_INSE_IjEEEESG_SI_PmS8_NS6_8equal_toIyEEEE10hipError_tPvRmT2_T3_mT4_T5_T6_T7_T8_P12ihipStream_tbENKUlT_T0_E_clISt17integral_constantIbLb0EES12_IbLb1EEEEDaSY_SZ_EUlSY_E_NS1_11comp_targetILNS1_3genE2ELNS1_11target_archE906ELNS1_3gpuE6ELNS1_3repE0EEENS1_30default_config_static_selectorELNS0_4arch9wavefront6targetE0EEEvT1_: ; @_ZN7rocprim17ROCPRIM_400000_NS6detail17trampoline_kernelINS0_14default_configENS1_29reduce_by_key_config_selectorIyjN6thrust23THRUST_200600_302600_NS4plusIjEEEEZZNS1_33reduce_by_key_impl_wrapped_configILNS1_25lookback_scan_determinismE0ES3_S9_NS6_6detail15normal_iteratorINS6_10device_ptrIyEEEENSD_INSE_IjEEEESG_SI_PmS8_NS6_8equal_toIyEEEE10hipError_tPvRmT2_T3_mT4_T5_T6_T7_T8_P12ihipStream_tbENKUlT_T0_E_clISt17integral_constantIbLb0EES12_IbLb1EEEEDaSY_SZ_EUlSY_E_NS1_11comp_targetILNS1_3genE2ELNS1_11target_archE906ELNS1_3gpuE6ELNS1_3repE0EEENS1_30default_config_static_selectorELNS0_4arch9wavefront6targetE0EEEvT1_
; %bb.0:
	.section	.rodata,"a",@progbits
	.p2align	6, 0x0
	.amdhsa_kernel _ZN7rocprim17ROCPRIM_400000_NS6detail17trampoline_kernelINS0_14default_configENS1_29reduce_by_key_config_selectorIyjN6thrust23THRUST_200600_302600_NS4plusIjEEEEZZNS1_33reduce_by_key_impl_wrapped_configILNS1_25lookback_scan_determinismE0ES3_S9_NS6_6detail15normal_iteratorINS6_10device_ptrIyEEEENSD_INSE_IjEEEESG_SI_PmS8_NS6_8equal_toIyEEEE10hipError_tPvRmT2_T3_mT4_T5_T6_T7_T8_P12ihipStream_tbENKUlT_T0_E_clISt17integral_constantIbLb0EES12_IbLb1EEEEDaSY_SZ_EUlSY_E_NS1_11comp_targetILNS1_3genE2ELNS1_11target_archE906ELNS1_3gpuE6ELNS1_3repE0EEENS1_30default_config_static_selectorELNS0_4arch9wavefront6targetE0EEEvT1_
		.amdhsa_group_segment_fixed_size 0
		.amdhsa_private_segment_fixed_size 0
		.amdhsa_kernarg_size 120
		.amdhsa_user_sgpr_count 15
		.amdhsa_user_sgpr_dispatch_ptr 0
		.amdhsa_user_sgpr_queue_ptr 0
		.amdhsa_user_sgpr_kernarg_segment_ptr 1
		.amdhsa_user_sgpr_dispatch_id 0
		.amdhsa_user_sgpr_private_segment_size 0
		.amdhsa_wavefront_size32 1
		.amdhsa_uses_dynamic_stack 0
		.amdhsa_enable_private_segment 0
		.amdhsa_system_sgpr_workgroup_id_x 1
		.amdhsa_system_sgpr_workgroup_id_y 0
		.amdhsa_system_sgpr_workgroup_id_z 0
		.amdhsa_system_sgpr_workgroup_info 0
		.amdhsa_system_vgpr_workitem_id 0
		.amdhsa_next_free_vgpr 1
		.amdhsa_next_free_sgpr 1
		.amdhsa_reserve_vcc 0
		.amdhsa_float_round_mode_32 0
		.amdhsa_float_round_mode_16_64 0
		.amdhsa_float_denorm_mode_32 3
		.amdhsa_float_denorm_mode_16_64 3
		.amdhsa_dx10_clamp 1
		.amdhsa_ieee_mode 1
		.amdhsa_fp16_overflow 0
		.amdhsa_workgroup_processor_mode 1
		.amdhsa_memory_ordered 1
		.amdhsa_forward_progress 0
		.amdhsa_shared_vgpr_count 0
		.amdhsa_exception_fp_ieee_invalid_op 0
		.amdhsa_exception_fp_denorm_src 0
		.amdhsa_exception_fp_ieee_div_zero 0
		.amdhsa_exception_fp_ieee_overflow 0
		.amdhsa_exception_fp_ieee_underflow 0
		.amdhsa_exception_fp_ieee_inexact 0
		.amdhsa_exception_int_div_zero 0
	.end_amdhsa_kernel
	.section	.text._ZN7rocprim17ROCPRIM_400000_NS6detail17trampoline_kernelINS0_14default_configENS1_29reduce_by_key_config_selectorIyjN6thrust23THRUST_200600_302600_NS4plusIjEEEEZZNS1_33reduce_by_key_impl_wrapped_configILNS1_25lookback_scan_determinismE0ES3_S9_NS6_6detail15normal_iteratorINS6_10device_ptrIyEEEENSD_INSE_IjEEEESG_SI_PmS8_NS6_8equal_toIyEEEE10hipError_tPvRmT2_T3_mT4_T5_T6_T7_T8_P12ihipStream_tbENKUlT_T0_E_clISt17integral_constantIbLb0EES12_IbLb1EEEEDaSY_SZ_EUlSY_E_NS1_11comp_targetILNS1_3genE2ELNS1_11target_archE906ELNS1_3gpuE6ELNS1_3repE0EEENS1_30default_config_static_selectorELNS0_4arch9wavefront6targetE0EEEvT1_,"axG",@progbits,_ZN7rocprim17ROCPRIM_400000_NS6detail17trampoline_kernelINS0_14default_configENS1_29reduce_by_key_config_selectorIyjN6thrust23THRUST_200600_302600_NS4plusIjEEEEZZNS1_33reduce_by_key_impl_wrapped_configILNS1_25lookback_scan_determinismE0ES3_S9_NS6_6detail15normal_iteratorINS6_10device_ptrIyEEEENSD_INSE_IjEEEESG_SI_PmS8_NS6_8equal_toIyEEEE10hipError_tPvRmT2_T3_mT4_T5_T6_T7_T8_P12ihipStream_tbENKUlT_T0_E_clISt17integral_constantIbLb0EES12_IbLb1EEEEDaSY_SZ_EUlSY_E_NS1_11comp_targetILNS1_3genE2ELNS1_11target_archE906ELNS1_3gpuE6ELNS1_3repE0EEENS1_30default_config_static_selectorELNS0_4arch9wavefront6targetE0EEEvT1_,comdat
.Lfunc_end728:
	.size	_ZN7rocprim17ROCPRIM_400000_NS6detail17trampoline_kernelINS0_14default_configENS1_29reduce_by_key_config_selectorIyjN6thrust23THRUST_200600_302600_NS4plusIjEEEEZZNS1_33reduce_by_key_impl_wrapped_configILNS1_25lookback_scan_determinismE0ES3_S9_NS6_6detail15normal_iteratorINS6_10device_ptrIyEEEENSD_INSE_IjEEEESG_SI_PmS8_NS6_8equal_toIyEEEE10hipError_tPvRmT2_T3_mT4_T5_T6_T7_T8_P12ihipStream_tbENKUlT_T0_E_clISt17integral_constantIbLb0EES12_IbLb1EEEEDaSY_SZ_EUlSY_E_NS1_11comp_targetILNS1_3genE2ELNS1_11target_archE906ELNS1_3gpuE6ELNS1_3repE0EEENS1_30default_config_static_selectorELNS0_4arch9wavefront6targetE0EEEvT1_, .Lfunc_end728-_ZN7rocprim17ROCPRIM_400000_NS6detail17trampoline_kernelINS0_14default_configENS1_29reduce_by_key_config_selectorIyjN6thrust23THRUST_200600_302600_NS4plusIjEEEEZZNS1_33reduce_by_key_impl_wrapped_configILNS1_25lookback_scan_determinismE0ES3_S9_NS6_6detail15normal_iteratorINS6_10device_ptrIyEEEENSD_INSE_IjEEEESG_SI_PmS8_NS6_8equal_toIyEEEE10hipError_tPvRmT2_T3_mT4_T5_T6_T7_T8_P12ihipStream_tbENKUlT_T0_E_clISt17integral_constantIbLb0EES12_IbLb1EEEEDaSY_SZ_EUlSY_E_NS1_11comp_targetILNS1_3genE2ELNS1_11target_archE906ELNS1_3gpuE6ELNS1_3repE0EEENS1_30default_config_static_selectorELNS0_4arch9wavefront6targetE0EEEvT1_
                                        ; -- End function
	.section	.AMDGPU.csdata,"",@progbits
; Kernel info:
; codeLenInByte = 0
; NumSgprs: 0
; NumVgprs: 0
; ScratchSize: 0
; MemoryBound: 0
; FloatMode: 240
; IeeeMode: 1
; LDSByteSize: 0 bytes/workgroup (compile time only)
; SGPRBlocks: 0
; VGPRBlocks: 0
; NumSGPRsForWavesPerEU: 1
; NumVGPRsForWavesPerEU: 1
; Occupancy: 16
; WaveLimiterHint : 0
; COMPUTE_PGM_RSRC2:SCRATCH_EN: 0
; COMPUTE_PGM_RSRC2:USER_SGPR: 15
; COMPUTE_PGM_RSRC2:TRAP_HANDLER: 0
; COMPUTE_PGM_RSRC2:TGID_X_EN: 1
; COMPUTE_PGM_RSRC2:TGID_Y_EN: 0
; COMPUTE_PGM_RSRC2:TGID_Z_EN: 0
; COMPUTE_PGM_RSRC2:TIDIG_COMP_CNT: 0
	.section	.text._ZN7rocprim17ROCPRIM_400000_NS6detail17trampoline_kernelINS0_14default_configENS1_29reduce_by_key_config_selectorIyjN6thrust23THRUST_200600_302600_NS4plusIjEEEEZZNS1_33reduce_by_key_impl_wrapped_configILNS1_25lookback_scan_determinismE0ES3_S9_NS6_6detail15normal_iteratorINS6_10device_ptrIyEEEENSD_INSE_IjEEEESG_SI_PmS8_NS6_8equal_toIyEEEE10hipError_tPvRmT2_T3_mT4_T5_T6_T7_T8_P12ihipStream_tbENKUlT_T0_E_clISt17integral_constantIbLb0EES12_IbLb1EEEEDaSY_SZ_EUlSY_E_NS1_11comp_targetILNS1_3genE10ELNS1_11target_archE1201ELNS1_3gpuE5ELNS1_3repE0EEENS1_30default_config_static_selectorELNS0_4arch9wavefront6targetE0EEEvT1_,"axG",@progbits,_ZN7rocprim17ROCPRIM_400000_NS6detail17trampoline_kernelINS0_14default_configENS1_29reduce_by_key_config_selectorIyjN6thrust23THRUST_200600_302600_NS4plusIjEEEEZZNS1_33reduce_by_key_impl_wrapped_configILNS1_25lookback_scan_determinismE0ES3_S9_NS6_6detail15normal_iteratorINS6_10device_ptrIyEEEENSD_INSE_IjEEEESG_SI_PmS8_NS6_8equal_toIyEEEE10hipError_tPvRmT2_T3_mT4_T5_T6_T7_T8_P12ihipStream_tbENKUlT_T0_E_clISt17integral_constantIbLb0EES12_IbLb1EEEEDaSY_SZ_EUlSY_E_NS1_11comp_targetILNS1_3genE10ELNS1_11target_archE1201ELNS1_3gpuE5ELNS1_3repE0EEENS1_30default_config_static_selectorELNS0_4arch9wavefront6targetE0EEEvT1_,comdat
	.protected	_ZN7rocprim17ROCPRIM_400000_NS6detail17trampoline_kernelINS0_14default_configENS1_29reduce_by_key_config_selectorIyjN6thrust23THRUST_200600_302600_NS4plusIjEEEEZZNS1_33reduce_by_key_impl_wrapped_configILNS1_25lookback_scan_determinismE0ES3_S9_NS6_6detail15normal_iteratorINS6_10device_ptrIyEEEENSD_INSE_IjEEEESG_SI_PmS8_NS6_8equal_toIyEEEE10hipError_tPvRmT2_T3_mT4_T5_T6_T7_T8_P12ihipStream_tbENKUlT_T0_E_clISt17integral_constantIbLb0EES12_IbLb1EEEEDaSY_SZ_EUlSY_E_NS1_11comp_targetILNS1_3genE10ELNS1_11target_archE1201ELNS1_3gpuE5ELNS1_3repE0EEENS1_30default_config_static_selectorELNS0_4arch9wavefront6targetE0EEEvT1_ ; -- Begin function _ZN7rocprim17ROCPRIM_400000_NS6detail17trampoline_kernelINS0_14default_configENS1_29reduce_by_key_config_selectorIyjN6thrust23THRUST_200600_302600_NS4plusIjEEEEZZNS1_33reduce_by_key_impl_wrapped_configILNS1_25lookback_scan_determinismE0ES3_S9_NS6_6detail15normal_iteratorINS6_10device_ptrIyEEEENSD_INSE_IjEEEESG_SI_PmS8_NS6_8equal_toIyEEEE10hipError_tPvRmT2_T3_mT4_T5_T6_T7_T8_P12ihipStream_tbENKUlT_T0_E_clISt17integral_constantIbLb0EES12_IbLb1EEEEDaSY_SZ_EUlSY_E_NS1_11comp_targetILNS1_3genE10ELNS1_11target_archE1201ELNS1_3gpuE5ELNS1_3repE0EEENS1_30default_config_static_selectorELNS0_4arch9wavefront6targetE0EEEvT1_
	.globl	_ZN7rocprim17ROCPRIM_400000_NS6detail17trampoline_kernelINS0_14default_configENS1_29reduce_by_key_config_selectorIyjN6thrust23THRUST_200600_302600_NS4plusIjEEEEZZNS1_33reduce_by_key_impl_wrapped_configILNS1_25lookback_scan_determinismE0ES3_S9_NS6_6detail15normal_iteratorINS6_10device_ptrIyEEEENSD_INSE_IjEEEESG_SI_PmS8_NS6_8equal_toIyEEEE10hipError_tPvRmT2_T3_mT4_T5_T6_T7_T8_P12ihipStream_tbENKUlT_T0_E_clISt17integral_constantIbLb0EES12_IbLb1EEEEDaSY_SZ_EUlSY_E_NS1_11comp_targetILNS1_3genE10ELNS1_11target_archE1201ELNS1_3gpuE5ELNS1_3repE0EEENS1_30default_config_static_selectorELNS0_4arch9wavefront6targetE0EEEvT1_
	.p2align	8
	.type	_ZN7rocprim17ROCPRIM_400000_NS6detail17trampoline_kernelINS0_14default_configENS1_29reduce_by_key_config_selectorIyjN6thrust23THRUST_200600_302600_NS4plusIjEEEEZZNS1_33reduce_by_key_impl_wrapped_configILNS1_25lookback_scan_determinismE0ES3_S9_NS6_6detail15normal_iteratorINS6_10device_ptrIyEEEENSD_INSE_IjEEEESG_SI_PmS8_NS6_8equal_toIyEEEE10hipError_tPvRmT2_T3_mT4_T5_T6_T7_T8_P12ihipStream_tbENKUlT_T0_E_clISt17integral_constantIbLb0EES12_IbLb1EEEEDaSY_SZ_EUlSY_E_NS1_11comp_targetILNS1_3genE10ELNS1_11target_archE1201ELNS1_3gpuE5ELNS1_3repE0EEENS1_30default_config_static_selectorELNS0_4arch9wavefront6targetE0EEEvT1_,@function
_ZN7rocprim17ROCPRIM_400000_NS6detail17trampoline_kernelINS0_14default_configENS1_29reduce_by_key_config_selectorIyjN6thrust23THRUST_200600_302600_NS4plusIjEEEEZZNS1_33reduce_by_key_impl_wrapped_configILNS1_25lookback_scan_determinismE0ES3_S9_NS6_6detail15normal_iteratorINS6_10device_ptrIyEEEENSD_INSE_IjEEEESG_SI_PmS8_NS6_8equal_toIyEEEE10hipError_tPvRmT2_T3_mT4_T5_T6_T7_T8_P12ihipStream_tbENKUlT_T0_E_clISt17integral_constantIbLb0EES12_IbLb1EEEEDaSY_SZ_EUlSY_E_NS1_11comp_targetILNS1_3genE10ELNS1_11target_archE1201ELNS1_3gpuE5ELNS1_3repE0EEENS1_30default_config_static_selectorELNS0_4arch9wavefront6targetE0EEEvT1_: ; @_ZN7rocprim17ROCPRIM_400000_NS6detail17trampoline_kernelINS0_14default_configENS1_29reduce_by_key_config_selectorIyjN6thrust23THRUST_200600_302600_NS4plusIjEEEEZZNS1_33reduce_by_key_impl_wrapped_configILNS1_25lookback_scan_determinismE0ES3_S9_NS6_6detail15normal_iteratorINS6_10device_ptrIyEEEENSD_INSE_IjEEEESG_SI_PmS8_NS6_8equal_toIyEEEE10hipError_tPvRmT2_T3_mT4_T5_T6_T7_T8_P12ihipStream_tbENKUlT_T0_E_clISt17integral_constantIbLb0EES12_IbLb1EEEEDaSY_SZ_EUlSY_E_NS1_11comp_targetILNS1_3genE10ELNS1_11target_archE1201ELNS1_3gpuE5ELNS1_3repE0EEENS1_30default_config_static_selectorELNS0_4arch9wavefront6targetE0EEEvT1_
; %bb.0:
	.section	.rodata,"a",@progbits
	.p2align	6, 0x0
	.amdhsa_kernel _ZN7rocprim17ROCPRIM_400000_NS6detail17trampoline_kernelINS0_14default_configENS1_29reduce_by_key_config_selectorIyjN6thrust23THRUST_200600_302600_NS4plusIjEEEEZZNS1_33reduce_by_key_impl_wrapped_configILNS1_25lookback_scan_determinismE0ES3_S9_NS6_6detail15normal_iteratorINS6_10device_ptrIyEEEENSD_INSE_IjEEEESG_SI_PmS8_NS6_8equal_toIyEEEE10hipError_tPvRmT2_T3_mT4_T5_T6_T7_T8_P12ihipStream_tbENKUlT_T0_E_clISt17integral_constantIbLb0EES12_IbLb1EEEEDaSY_SZ_EUlSY_E_NS1_11comp_targetILNS1_3genE10ELNS1_11target_archE1201ELNS1_3gpuE5ELNS1_3repE0EEENS1_30default_config_static_selectorELNS0_4arch9wavefront6targetE0EEEvT1_
		.amdhsa_group_segment_fixed_size 0
		.amdhsa_private_segment_fixed_size 0
		.amdhsa_kernarg_size 120
		.amdhsa_user_sgpr_count 15
		.amdhsa_user_sgpr_dispatch_ptr 0
		.amdhsa_user_sgpr_queue_ptr 0
		.amdhsa_user_sgpr_kernarg_segment_ptr 1
		.amdhsa_user_sgpr_dispatch_id 0
		.amdhsa_user_sgpr_private_segment_size 0
		.amdhsa_wavefront_size32 1
		.amdhsa_uses_dynamic_stack 0
		.amdhsa_enable_private_segment 0
		.amdhsa_system_sgpr_workgroup_id_x 1
		.amdhsa_system_sgpr_workgroup_id_y 0
		.amdhsa_system_sgpr_workgroup_id_z 0
		.amdhsa_system_sgpr_workgroup_info 0
		.amdhsa_system_vgpr_workitem_id 0
		.amdhsa_next_free_vgpr 1
		.amdhsa_next_free_sgpr 1
		.amdhsa_reserve_vcc 0
		.amdhsa_float_round_mode_32 0
		.amdhsa_float_round_mode_16_64 0
		.amdhsa_float_denorm_mode_32 3
		.amdhsa_float_denorm_mode_16_64 3
		.amdhsa_dx10_clamp 1
		.amdhsa_ieee_mode 1
		.amdhsa_fp16_overflow 0
		.amdhsa_workgroup_processor_mode 1
		.amdhsa_memory_ordered 1
		.amdhsa_forward_progress 0
		.amdhsa_shared_vgpr_count 0
		.amdhsa_exception_fp_ieee_invalid_op 0
		.amdhsa_exception_fp_denorm_src 0
		.amdhsa_exception_fp_ieee_div_zero 0
		.amdhsa_exception_fp_ieee_overflow 0
		.amdhsa_exception_fp_ieee_underflow 0
		.amdhsa_exception_fp_ieee_inexact 0
		.amdhsa_exception_int_div_zero 0
	.end_amdhsa_kernel
	.section	.text._ZN7rocprim17ROCPRIM_400000_NS6detail17trampoline_kernelINS0_14default_configENS1_29reduce_by_key_config_selectorIyjN6thrust23THRUST_200600_302600_NS4plusIjEEEEZZNS1_33reduce_by_key_impl_wrapped_configILNS1_25lookback_scan_determinismE0ES3_S9_NS6_6detail15normal_iteratorINS6_10device_ptrIyEEEENSD_INSE_IjEEEESG_SI_PmS8_NS6_8equal_toIyEEEE10hipError_tPvRmT2_T3_mT4_T5_T6_T7_T8_P12ihipStream_tbENKUlT_T0_E_clISt17integral_constantIbLb0EES12_IbLb1EEEEDaSY_SZ_EUlSY_E_NS1_11comp_targetILNS1_3genE10ELNS1_11target_archE1201ELNS1_3gpuE5ELNS1_3repE0EEENS1_30default_config_static_selectorELNS0_4arch9wavefront6targetE0EEEvT1_,"axG",@progbits,_ZN7rocprim17ROCPRIM_400000_NS6detail17trampoline_kernelINS0_14default_configENS1_29reduce_by_key_config_selectorIyjN6thrust23THRUST_200600_302600_NS4plusIjEEEEZZNS1_33reduce_by_key_impl_wrapped_configILNS1_25lookback_scan_determinismE0ES3_S9_NS6_6detail15normal_iteratorINS6_10device_ptrIyEEEENSD_INSE_IjEEEESG_SI_PmS8_NS6_8equal_toIyEEEE10hipError_tPvRmT2_T3_mT4_T5_T6_T7_T8_P12ihipStream_tbENKUlT_T0_E_clISt17integral_constantIbLb0EES12_IbLb1EEEEDaSY_SZ_EUlSY_E_NS1_11comp_targetILNS1_3genE10ELNS1_11target_archE1201ELNS1_3gpuE5ELNS1_3repE0EEENS1_30default_config_static_selectorELNS0_4arch9wavefront6targetE0EEEvT1_,comdat
.Lfunc_end729:
	.size	_ZN7rocprim17ROCPRIM_400000_NS6detail17trampoline_kernelINS0_14default_configENS1_29reduce_by_key_config_selectorIyjN6thrust23THRUST_200600_302600_NS4plusIjEEEEZZNS1_33reduce_by_key_impl_wrapped_configILNS1_25lookback_scan_determinismE0ES3_S9_NS6_6detail15normal_iteratorINS6_10device_ptrIyEEEENSD_INSE_IjEEEESG_SI_PmS8_NS6_8equal_toIyEEEE10hipError_tPvRmT2_T3_mT4_T5_T6_T7_T8_P12ihipStream_tbENKUlT_T0_E_clISt17integral_constantIbLb0EES12_IbLb1EEEEDaSY_SZ_EUlSY_E_NS1_11comp_targetILNS1_3genE10ELNS1_11target_archE1201ELNS1_3gpuE5ELNS1_3repE0EEENS1_30default_config_static_selectorELNS0_4arch9wavefront6targetE0EEEvT1_, .Lfunc_end729-_ZN7rocprim17ROCPRIM_400000_NS6detail17trampoline_kernelINS0_14default_configENS1_29reduce_by_key_config_selectorIyjN6thrust23THRUST_200600_302600_NS4plusIjEEEEZZNS1_33reduce_by_key_impl_wrapped_configILNS1_25lookback_scan_determinismE0ES3_S9_NS6_6detail15normal_iteratorINS6_10device_ptrIyEEEENSD_INSE_IjEEEESG_SI_PmS8_NS6_8equal_toIyEEEE10hipError_tPvRmT2_T3_mT4_T5_T6_T7_T8_P12ihipStream_tbENKUlT_T0_E_clISt17integral_constantIbLb0EES12_IbLb1EEEEDaSY_SZ_EUlSY_E_NS1_11comp_targetILNS1_3genE10ELNS1_11target_archE1201ELNS1_3gpuE5ELNS1_3repE0EEENS1_30default_config_static_selectorELNS0_4arch9wavefront6targetE0EEEvT1_
                                        ; -- End function
	.section	.AMDGPU.csdata,"",@progbits
; Kernel info:
; codeLenInByte = 0
; NumSgprs: 0
; NumVgprs: 0
; ScratchSize: 0
; MemoryBound: 0
; FloatMode: 240
; IeeeMode: 1
; LDSByteSize: 0 bytes/workgroup (compile time only)
; SGPRBlocks: 0
; VGPRBlocks: 0
; NumSGPRsForWavesPerEU: 1
; NumVGPRsForWavesPerEU: 1
; Occupancy: 16
; WaveLimiterHint : 0
; COMPUTE_PGM_RSRC2:SCRATCH_EN: 0
; COMPUTE_PGM_RSRC2:USER_SGPR: 15
; COMPUTE_PGM_RSRC2:TRAP_HANDLER: 0
; COMPUTE_PGM_RSRC2:TGID_X_EN: 1
; COMPUTE_PGM_RSRC2:TGID_Y_EN: 0
; COMPUTE_PGM_RSRC2:TGID_Z_EN: 0
; COMPUTE_PGM_RSRC2:TIDIG_COMP_CNT: 0
	.section	.text._ZN7rocprim17ROCPRIM_400000_NS6detail17trampoline_kernelINS0_14default_configENS1_29reduce_by_key_config_selectorIyjN6thrust23THRUST_200600_302600_NS4plusIjEEEEZZNS1_33reduce_by_key_impl_wrapped_configILNS1_25lookback_scan_determinismE0ES3_S9_NS6_6detail15normal_iteratorINS6_10device_ptrIyEEEENSD_INSE_IjEEEESG_SI_PmS8_NS6_8equal_toIyEEEE10hipError_tPvRmT2_T3_mT4_T5_T6_T7_T8_P12ihipStream_tbENKUlT_T0_E_clISt17integral_constantIbLb0EES12_IbLb1EEEEDaSY_SZ_EUlSY_E_NS1_11comp_targetILNS1_3genE10ELNS1_11target_archE1200ELNS1_3gpuE4ELNS1_3repE0EEENS1_30default_config_static_selectorELNS0_4arch9wavefront6targetE0EEEvT1_,"axG",@progbits,_ZN7rocprim17ROCPRIM_400000_NS6detail17trampoline_kernelINS0_14default_configENS1_29reduce_by_key_config_selectorIyjN6thrust23THRUST_200600_302600_NS4plusIjEEEEZZNS1_33reduce_by_key_impl_wrapped_configILNS1_25lookback_scan_determinismE0ES3_S9_NS6_6detail15normal_iteratorINS6_10device_ptrIyEEEENSD_INSE_IjEEEESG_SI_PmS8_NS6_8equal_toIyEEEE10hipError_tPvRmT2_T3_mT4_T5_T6_T7_T8_P12ihipStream_tbENKUlT_T0_E_clISt17integral_constantIbLb0EES12_IbLb1EEEEDaSY_SZ_EUlSY_E_NS1_11comp_targetILNS1_3genE10ELNS1_11target_archE1200ELNS1_3gpuE4ELNS1_3repE0EEENS1_30default_config_static_selectorELNS0_4arch9wavefront6targetE0EEEvT1_,comdat
	.protected	_ZN7rocprim17ROCPRIM_400000_NS6detail17trampoline_kernelINS0_14default_configENS1_29reduce_by_key_config_selectorIyjN6thrust23THRUST_200600_302600_NS4plusIjEEEEZZNS1_33reduce_by_key_impl_wrapped_configILNS1_25lookback_scan_determinismE0ES3_S9_NS6_6detail15normal_iteratorINS6_10device_ptrIyEEEENSD_INSE_IjEEEESG_SI_PmS8_NS6_8equal_toIyEEEE10hipError_tPvRmT2_T3_mT4_T5_T6_T7_T8_P12ihipStream_tbENKUlT_T0_E_clISt17integral_constantIbLb0EES12_IbLb1EEEEDaSY_SZ_EUlSY_E_NS1_11comp_targetILNS1_3genE10ELNS1_11target_archE1200ELNS1_3gpuE4ELNS1_3repE0EEENS1_30default_config_static_selectorELNS0_4arch9wavefront6targetE0EEEvT1_ ; -- Begin function _ZN7rocprim17ROCPRIM_400000_NS6detail17trampoline_kernelINS0_14default_configENS1_29reduce_by_key_config_selectorIyjN6thrust23THRUST_200600_302600_NS4plusIjEEEEZZNS1_33reduce_by_key_impl_wrapped_configILNS1_25lookback_scan_determinismE0ES3_S9_NS6_6detail15normal_iteratorINS6_10device_ptrIyEEEENSD_INSE_IjEEEESG_SI_PmS8_NS6_8equal_toIyEEEE10hipError_tPvRmT2_T3_mT4_T5_T6_T7_T8_P12ihipStream_tbENKUlT_T0_E_clISt17integral_constantIbLb0EES12_IbLb1EEEEDaSY_SZ_EUlSY_E_NS1_11comp_targetILNS1_3genE10ELNS1_11target_archE1200ELNS1_3gpuE4ELNS1_3repE0EEENS1_30default_config_static_selectorELNS0_4arch9wavefront6targetE0EEEvT1_
	.globl	_ZN7rocprim17ROCPRIM_400000_NS6detail17trampoline_kernelINS0_14default_configENS1_29reduce_by_key_config_selectorIyjN6thrust23THRUST_200600_302600_NS4plusIjEEEEZZNS1_33reduce_by_key_impl_wrapped_configILNS1_25lookback_scan_determinismE0ES3_S9_NS6_6detail15normal_iteratorINS6_10device_ptrIyEEEENSD_INSE_IjEEEESG_SI_PmS8_NS6_8equal_toIyEEEE10hipError_tPvRmT2_T3_mT4_T5_T6_T7_T8_P12ihipStream_tbENKUlT_T0_E_clISt17integral_constantIbLb0EES12_IbLb1EEEEDaSY_SZ_EUlSY_E_NS1_11comp_targetILNS1_3genE10ELNS1_11target_archE1200ELNS1_3gpuE4ELNS1_3repE0EEENS1_30default_config_static_selectorELNS0_4arch9wavefront6targetE0EEEvT1_
	.p2align	8
	.type	_ZN7rocprim17ROCPRIM_400000_NS6detail17trampoline_kernelINS0_14default_configENS1_29reduce_by_key_config_selectorIyjN6thrust23THRUST_200600_302600_NS4plusIjEEEEZZNS1_33reduce_by_key_impl_wrapped_configILNS1_25lookback_scan_determinismE0ES3_S9_NS6_6detail15normal_iteratorINS6_10device_ptrIyEEEENSD_INSE_IjEEEESG_SI_PmS8_NS6_8equal_toIyEEEE10hipError_tPvRmT2_T3_mT4_T5_T6_T7_T8_P12ihipStream_tbENKUlT_T0_E_clISt17integral_constantIbLb0EES12_IbLb1EEEEDaSY_SZ_EUlSY_E_NS1_11comp_targetILNS1_3genE10ELNS1_11target_archE1200ELNS1_3gpuE4ELNS1_3repE0EEENS1_30default_config_static_selectorELNS0_4arch9wavefront6targetE0EEEvT1_,@function
_ZN7rocprim17ROCPRIM_400000_NS6detail17trampoline_kernelINS0_14default_configENS1_29reduce_by_key_config_selectorIyjN6thrust23THRUST_200600_302600_NS4plusIjEEEEZZNS1_33reduce_by_key_impl_wrapped_configILNS1_25lookback_scan_determinismE0ES3_S9_NS6_6detail15normal_iteratorINS6_10device_ptrIyEEEENSD_INSE_IjEEEESG_SI_PmS8_NS6_8equal_toIyEEEE10hipError_tPvRmT2_T3_mT4_T5_T6_T7_T8_P12ihipStream_tbENKUlT_T0_E_clISt17integral_constantIbLb0EES12_IbLb1EEEEDaSY_SZ_EUlSY_E_NS1_11comp_targetILNS1_3genE10ELNS1_11target_archE1200ELNS1_3gpuE4ELNS1_3repE0EEENS1_30default_config_static_selectorELNS0_4arch9wavefront6targetE0EEEvT1_: ; @_ZN7rocprim17ROCPRIM_400000_NS6detail17trampoline_kernelINS0_14default_configENS1_29reduce_by_key_config_selectorIyjN6thrust23THRUST_200600_302600_NS4plusIjEEEEZZNS1_33reduce_by_key_impl_wrapped_configILNS1_25lookback_scan_determinismE0ES3_S9_NS6_6detail15normal_iteratorINS6_10device_ptrIyEEEENSD_INSE_IjEEEESG_SI_PmS8_NS6_8equal_toIyEEEE10hipError_tPvRmT2_T3_mT4_T5_T6_T7_T8_P12ihipStream_tbENKUlT_T0_E_clISt17integral_constantIbLb0EES12_IbLb1EEEEDaSY_SZ_EUlSY_E_NS1_11comp_targetILNS1_3genE10ELNS1_11target_archE1200ELNS1_3gpuE4ELNS1_3repE0EEENS1_30default_config_static_selectorELNS0_4arch9wavefront6targetE0EEEvT1_
; %bb.0:
	.section	.rodata,"a",@progbits
	.p2align	6, 0x0
	.amdhsa_kernel _ZN7rocprim17ROCPRIM_400000_NS6detail17trampoline_kernelINS0_14default_configENS1_29reduce_by_key_config_selectorIyjN6thrust23THRUST_200600_302600_NS4plusIjEEEEZZNS1_33reduce_by_key_impl_wrapped_configILNS1_25lookback_scan_determinismE0ES3_S9_NS6_6detail15normal_iteratorINS6_10device_ptrIyEEEENSD_INSE_IjEEEESG_SI_PmS8_NS6_8equal_toIyEEEE10hipError_tPvRmT2_T3_mT4_T5_T6_T7_T8_P12ihipStream_tbENKUlT_T0_E_clISt17integral_constantIbLb0EES12_IbLb1EEEEDaSY_SZ_EUlSY_E_NS1_11comp_targetILNS1_3genE10ELNS1_11target_archE1200ELNS1_3gpuE4ELNS1_3repE0EEENS1_30default_config_static_selectorELNS0_4arch9wavefront6targetE0EEEvT1_
		.amdhsa_group_segment_fixed_size 0
		.amdhsa_private_segment_fixed_size 0
		.amdhsa_kernarg_size 120
		.amdhsa_user_sgpr_count 15
		.amdhsa_user_sgpr_dispatch_ptr 0
		.amdhsa_user_sgpr_queue_ptr 0
		.amdhsa_user_sgpr_kernarg_segment_ptr 1
		.amdhsa_user_sgpr_dispatch_id 0
		.amdhsa_user_sgpr_private_segment_size 0
		.amdhsa_wavefront_size32 1
		.amdhsa_uses_dynamic_stack 0
		.amdhsa_enable_private_segment 0
		.amdhsa_system_sgpr_workgroup_id_x 1
		.amdhsa_system_sgpr_workgroup_id_y 0
		.amdhsa_system_sgpr_workgroup_id_z 0
		.amdhsa_system_sgpr_workgroup_info 0
		.amdhsa_system_vgpr_workitem_id 0
		.amdhsa_next_free_vgpr 1
		.amdhsa_next_free_sgpr 1
		.amdhsa_reserve_vcc 0
		.amdhsa_float_round_mode_32 0
		.amdhsa_float_round_mode_16_64 0
		.amdhsa_float_denorm_mode_32 3
		.amdhsa_float_denorm_mode_16_64 3
		.amdhsa_dx10_clamp 1
		.amdhsa_ieee_mode 1
		.amdhsa_fp16_overflow 0
		.amdhsa_workgroup_processor_mode 1
		.amdhsa_memory_ordered 1
		.amdhsa_forward_progress 0
		.amdhsa_shared_vgpr_count 0
		.amdhsa_exception_fp_ieee_invalid_op 0
		.amdhsa_exception_fp_denorm_src 0
		.amdhsa_exception_fp_ieee_div_zero 0
		.amdhsa_exception_fp_ieee_overflow 0
		.amdhsa_exception_fp_ieee_underflow 0
		.amdhsa_exception_fp_ieee_inexact 0
		.amdhsa_exception_int_div_zero 0
	.end_amdhsa_kernel
	.section	.text._ZN7rocprim17ROCPRIM_400000_NS6detail17trampoline_kernelINS0_14default_configENS1_29reduce_by_key_config_selectorIyjN6thrust23THRUST_200600_302600_NS4plusIjEEEEZZNS1_33reduce_by_key_impl_wrapped_configILNS1_25lookback_scan_determinismE0ES3_S9_NS6_6detail15normal_iteratorINS6_10device_ptrIyEEEENSD_INSE_IjEEEESG_SI_PmS8_NS6_8equal_toIyEEEE10hipError_tPvRmT2_T3_mT4_T5_T6_T7_T8_P12ihipStream_tbENKUlT_T0_E_clISt17integral_constantIbLb0EES12_IbLb1EEEEDaSY_SZ_EUlSY_E_NS1_11comp_targetILNS1_3genE10ELNS1_11target_archE1200ELNS1_3gpuE4ELNS1_3repE0EEENS1_30default_config_static_selectorELNS0_4arch9wavefront6targetE0EEEvT1_,"axG",@progbits,_ZN7rocprim17ROCPRIM_400000_NS6detail17trampoline_kernelINS0_14default_configENS1_29reduce_by_key_config_selectorIyjN6thrust23THRUST_200600_302600_NS4plusIjEEEEZZNS1_33reduce_by_key_impl_wrapped_configILNS1_25lookback_scan_determinismE0ES3_S9_NS6_6detail15normal_iteratorINS6_10device_ptrIyEEEENSD_INSE_IjEEEESG_SI_PmS8_NS6_8equal_toIyEEEE10hipError_tPvRmT2_T3_mT4_T5_T6_T7_T8_P12ihipStream_tbENKUlT_T0_E_clISt17integral_constantIbLb0EES12_IbLb1EEEEDaSY_SZ_EUlSY_E_NS1_11comp_targetILNS1_3genE10ELNS1_11target_archE1200ELNS1_3gpuE4ELNS1_3repE0EEENS1_30default_config_static_selectorELNS0_4arch9wavefront6targetE0EEEvT1_,comdat
.Lfunc_end730:
	.size	_ZN7rocprim17ROCPRIM_400000_NS6detail17trampoline_kernelINS0_14default_configENS1_29reduce_by_key_config_selectorIyjN6thrust23THRUST_200600_302600_NS4plusIjEEEEZZNS1_33reduce_by_key_impl_wrapped_configILNS1_25lookback_scan_determinismE0ES3_S9_NS6_6detail15normal_iteratorINS6_10device_ptrIyEEEENSD_INSE_IjEEEESG_SI_PmS8_NS6_8equal_toIyEEEE10hipError_tPvRmT2_T3_mT4_T5_T6_T7_T8_P12ihipStream_tbENKUlT_T0_E_clISt17integral_constantIbLb0EES12_IbLb1EEEEDaSY_SZ_EUlSY_E_NS1_11comp_targetILNS1_3genE10ELNS1_11target_archE1200ELNS1_3gpuE4ELNS1_3repE0EEENS1_30default_config_static_selectorELNS0_4arch9wavefront6targetE0EEEvT1_, .Lfunc_end730-_ZN7rocprim17ROCPRIM_400000_NS6detail17trampoline_kernelINS0_14default_configENS1_29reduce_by_key_config_selectorIyjN6thrust23THRUST_200600_302600_NS4plusIjEEEEZZNS1_33reduce_by_key_impl_wrapped_configILNS1_25lookback_scan_determinismE0ES3_S9_NS6_6detail15normal_iteratorINS6_10device_ptrIyEEEENSD_INSE_IjEEEESG_SI_PmS8_NS6_8equal_toIyEEEE10hipError_tPvRmT2_T3_mT4_T5_T6_T7_T8_P12ihipStream_tbENKUlT_T0_E_clISt17integral_constantIbLb0EES12_IbLb1EEEEDaSY_SZ_EUlSY_E_NS1_11comp_targetILNS1_3genE10ELNS1_11target_archE1200ELNS1_3gpuE4ELNS1_3repE0EEENS1_30default_config_static_selectorELNS0_4arch9wavefront6targetE0EEEvT1_
                                        ; -- End function
	.section	.AMDGPU.csdata,"",@progbits
; Kernel info:
; codeLenInByte = 0
; NumSgprs: 0
; NumVgprs: 0
; ScratchSize: 0
; MemoryBound: 0
; FloatMode: 240
; IeeeMode: 1
; LDSByteSize: 0 bytes/workgroup (compile time only)
; SGPRBlocks: 0
; VGPRBlocks: 0
; NumSGPRsForWavesPerEU: 1
; NumVGPRsForWavesPerEU: 1
; Occupancy: 16
; WaveLimiterHint : 0
; COMPUTE_PGM_RSRC2:SCRATCH_EN: 0
; COMPUTE_PGM_RSRC2:USER_SGPR: 15
; COMPUTE_PGM_RSRC2:TRAP_HANDLER: 0
; COMPUTE_PGM_RSRC2:TGID_X_EN: 1
; COMPUTE_PGM_RSRC2:TGID_Y_EN: 0
; COMPUTE_PGM_RSRC2:TGID_Z_EN: 0
; COMPUTE_PGM_RSRC2:TIDIG_COMP_CNT: 0
	.section	.text._ZN7rocprim17ROCPRIM_400000_NS6detail17trampoline_kernelINS0_14default_configENS1_29reduce_by_key_config_selectorIyjN6thrust23THRUST_200600_302600_NS4plusIjEEEEZZNS1_33reduce_by_key_impl_wrapped_configILNS1_25lookback_scan_determinismE0ES3_S9_NS6_6detail15normal_iteratorINS6_10device_ptrIyEEEENSD_INSE_IjEEEESG_SI_PmS8_NS6_8equal_toIyEEEE10hipError_tPvRmT2_T3_mT4_T5_T6_T7_T8_P12ihipStream_tbENKUlT_T0_E_clISt17integral_constantIbLb0EES12_IbLb1EEEEDaSY_SZ_EUlSY_E_NS1_11comp_targetILNS1_3genE9ELNS1_11target_archE1100ELNS1_3gpuE3ELNS1_3repE0EEENS1_30default_config_static_selectorELNS0_4arch9wavefront6targetE0EEEvT1_,"axG",@progbits,_ZN7rocprim17ROCPRIM_400000_NS6detail17trampoline_kernelINS0_14default_configENS1_29reduce_by_key_config_selectorIyjN6thrust23THRUST_200600_302600_NS4plusIjEEEEZZNS1_33reduce_by_key_impl_wrapped_configILNS1_25lookback_scan_determinismE0ES3_S9_NS6_6detail15normal_iteratorINS6_10device_ptrIyEEEENSD_INSE_IjEEEESG_SI_PmS8_NS6_8equal_toIyEEEE10hipError_tPvRmT2_T3_mT4_T5_T6_T7_T8_P12ihipStream_tbENKUlT_T0_E_clISt17integral_constantIbLb0EES12_IbLb1EEEEDaSY_SZ_EUlSY_E_NS1_11comp_targetILNS1_3genE9ELNS1_11target_archE1100ELNS1_3gpuE3ELNS1_3repE0EEENS1_30default_config_static_selectorELNS0_4arch9wavefront6targetE0EEEvT1_,comdat
	.protected	_ZN7rocprim17ROCPRIM_400000_NS6detail17trampoline_kernelINS0_14default_configENS1_29reduce_by_key_config_selectorIyjN6thrust23THRUST_200600_302600_NS4plusIjEEEEZZNS1_33reduce_by_key_impl_wrapped_configILNS1_25lookback_scan_determinismE0ES3_S9_NS6_6detail15normal_iteratorINS6_10device_ptrIyEEEENSD_INSE_IjEEEESG_SI_PmS8_NS6_8equal_toIyEEEE10hipError_tPvRmT2_T3_mT4_T5_T6_T7_T8_P12ihipStream_tbENKUlT_T0_E_clISt17integral_constantIbLb0EES12_IbLb1EEEEDaSY_SZ_EUlSY_E_NS1_11comp_targetILNS1_3genE9ELNS1_11target_archE1100ELNS1_3gpuE3ELNS1_3repE0EEENS1_30default_config_static_selectorELNS0_4arch9wavefront6targetE0EEEvT1_ ; -- Begin function _ZN7rocprim17ROCPRIM_400000_NS6detail17trampoline_kernelINS0_14default_configENS1_29reduce_by_key_config_selectorIyjN6thrust23THRUST_200600_302600_NS4plusIjEEEEZZNS1_33reduce_by_key_impl_wrapped_configILNS1_25lookback_scan_determinismE0ES3_S9_NS6_6detail15normal_iteratorINS6_10device_ptrIyEEEENSD_INSE_IjEEEESG_SI_PmS8_NS6_8equal_toIyEEEE10hipError_tPvRmT2_T3_mT4_T5_T6_T7_T8_P12ihipStream_tbENKUlT_T0_E_clISt17integral_constantIbLb0EES12_IbLb1EEEEDaSY_SZ_EUlSY_E_NS1_11comp_targetILNS1_3genE9ELNS1_11target_archE1100ELNS1_3gpuE3ELNS1_3repE0EEENS1_30default_config_static_selectorELNS0_4arch9wavefront6targetE0EEEvT1_
	.globl	_ZN7rocprim17ROCPRIM_400000_NS6detail17trampoline_kernelINS0_14default_configENS1_29reduce_by_key_config_selectorIyjN6thrust23THRUST_200600_302600_NS4plusIjEEEEZZNS1_33reduce_by_key_impl_wrapped_configILNS1_25lookback_scan_determinismE0ES3_S9_NS6_6detail15normal_iteratorINS6_10device_ptrIyEEEENSD_INSE_IjEEEESG_SI_PmS8_NS6_8equal_toIyEEEE10hipError_tPvRmT2_T3_mT4_T5_T6_T7_T8_P12ihipStream_tbENKUlT_T0_E_clISt17integral_constantIbLb0EES12_IbLb1EEEEDaSY_SZ_EUlSY_E_NS1_11comp_targetILNS1_3genE9ELNS1_11target_archE1100ELNS1_3gpuE3ELNS1_3repE0EEENS1_30default_config_static_selectorELNS0_4arch9wavefront6targetE0EEEvT1_
	.p2align	8
	.type	_ZN7rocprim17ROCPRIM_400000_NS6detail17trampoline_kernelINS0_14default_configENS1_29reduce_by_key_config_selectorIyjN6thrust23THRUST_200600_302600_NS4plusIjEEEEZZNS1_33reduce_by_key_impl_wrapped_configILNS1_25lookback_scan_determinismE0ES3_S9_NS6_6detail15normal_iteratorINS6_10device_ptrIyEEEENSD_INSE_IjEEEESG_SI_PmS8_NS6_8equal_toIyEEEE10hipError_tPvRmT2_T3_mT4_T5_T6_T7_T8_P12ihipStream_tbENKUlT_T0_E_clISt17integral_constantIbLb0EES12_IbLb1EEEEDaSY_SZ_EUlSY_E_NS1_11comp_targetILNS1_3genE9ELNS1_11target_archE1100ELNS1_3gpuE3ELNS1_3repE0EEENS1_30default_config_static_selectorELNS0_4arch9wavefront6targetE0EEEvT1_,@function
_ZN7rocprim17ROCPRIM_400000_NS6detail17trampoline_kernelINS0_14default_configENS1_29reduce_by_key_config_selectorIyjN6thrust23THRUST_200600_302600_NS4plusIjEEEEZZNS1_33reduce_by_key_impl_wrapped_configILNS1_25lookback_scan_determinismE0ES3_S9_NS6_6detail15normal_iteratorINS6_10device_ptrIyEEEENSD_INSE_IjEEEESG_SI_PmS8_NS6_8equal_toIyEEEE10hipError_tPvRmT2_T3_mT4_T5_T6_T7_T8_P12ihipStream_tbENKUlT_T0_E_clISt17integral_constantIbLb0EES12_IbLb1EEEEDaSY_SZ_EUlSY_E_NS1_11comp_targetILNS1_3genE9ELNS1_11target_archE1100ELNS1_3gpuE3ELNS1_3repE0EEENS1_30default_config_static_selectorELNS0_4arch9wavefront6targetE0EEEvT1_: ; @_ZN7rocprim17ROCPRIM_400000_NS6detail17trampoline_kernelINS0_14default_configENS1_29reduce_by_key_config_selectorIyjN6thrust23THRUST_200600_302600_NS4plusIjEEEEZZNS1_33reduce_by_key_impl_wrapped_configILNS1_25lookback_scan_determinismE0ES3_S9_NS6_6detail15normal_iteratorINS6_10device_ptrIyEEEENSD_INSE_IjEEEESG_SI_PmS8_NS6_8equal_toIyEEEE10hipError_tPvRmT2_T3_mT4_T5_T6_T7_T8_P12ihipStream_tbENKUlT_T0_E_clISt17integral_constantIbLb0EES12_IbLb1EEEEDaSY_SZ_EUlSY_E_NS1_11comp_targetILNS1_3genE9ELNS1_11target_archE1100ELNS1_3gpuE3ELNS1_3repE0EEENS1_30default_config_static_selectorELNS0_4arch9wavefront6targetE0EEEvT1_
; %bb.0:
	s_clause 0x4
	s_load_b256 s[12:19], s[0:1], 0x0
	s_load_b128 s[28:31], s[0:1], 0x20
	s_load_b256 s[20:27], s[0:1], 0x38
	s_load_b64 s[34:35], s[0:1], 0x68
	s_load_b128 s[36:39], s[0:1], 0x58
	v_cmp_ne_u32_e64 s3, 0, v0
	v_cmp_eq_u32_e64 s2, 0, v0
	s_delay_alu instid0(VALU_DEP_1)
	s_and_saveexec_b32 s4, s2
	s_cbranch_execz .LBB731_4
; %bb.1:
	s_mov_b32 s6, exec_lo
	s_mov_b32 s5, exec_lo
	v_mbcnt_lo_u32_b32 v1, s6, 0
                                        ; implicit-def: $vgpr2
	s_delay_alu instid0(VALU_DEP_1)
	v_cmpx_eq_u32_e32 0, v1
	s_cbranch_execz .LBB731_3
; %bb.2:
	s_load_b64 s[0:1], s[0:1], 0x70
	s_bcnt1_i32_b32 s6, s6
	s_delay_alu instid0(SALU_CYCLE_1)
	v_dual_mov_b32 v2, 0 :: v_dual_mov_b32 v3, s6
	s_waitcnt lgkmcnt(0)
	global_atomic_add_u32 v2, v2, v3, s[0:1] glc
.LBB731_3:
	s_or_b32 exec_lo, exec_lo, s5
	s_waitcnt vmcnt(0)
	v_readfirstlane_b32 s0, v2
	s_delay_alu instid0(VALU_DEP_1)
	v_dual_mov_b32 v2, 0 :: v_dual_add_nc_u32 v1, s0, v1
	ds_store_b32 v2, v1
.LBB731_4:
	s_or_b32 exec_lo, exec_lo, s4
	v_mov_b32_e32 v2, 0
	s_waitcnt lgkmcnt(0)
	s_barrier
	buffer_gl0_inv
	s_lshl_b64 s[0:1], s[14:15], 3
	ds_load_b32 v1, v2
	s_add_u32 s10, s12, s0
	s_addc_u32 s1, s13, s1
	s_lshl_b64 s[4:5], s[14:15], 2
	s_mul_i32 s6, s24, s23
	s_mul_hi_u32 s7, s24, s22
	s_add_u32 s11, s16, s4
	s_mul_i32 s8, s25, s22
	s_addc_u32 s12, s17, s5
	s_add_i32 s4, s7, s6
	s_mul_i32 s9, s24, s22
	s_add_i32 s4, s4, s8
	v_mad_u32_u24 v31, v0, 15, 1
	v_mad_u32_u24 v33, v0, 15, 2
	;; [unrolled: 1-line block ×8, first 2 shown]
	s_waitcnt lgkmcnt(0)
	v_readfirstlane_b32 s33, v1
	v_mul_lo_u32 v1, 0xf00, v1
	v_mad_u32_u24 v49, v0, 15, 9
	v_mad_u32_u24 v51, v0, 15, 10
	;; [unrolled: 1-line block ×3, first 2 shown]
	s_add_u32 s24, s9, s33
	s_addc_u32 s25, s4, 0
	s_add_u32 s4, s26, -1
	s_addc_u32 s5, s27, -1
	v_lshlrev_b64 v[3:4], 3, v[1:2]
	v_lshlrev_b64 v[1:2], 2, v[1:2]
	s_cmp_eq_u64 s[24:25], s[4:5]
	v_mad_u32_u24 v55, v0, 15, 12
	v_mad_u32_u24 v57, v0, 15, 13
	;; [unrolled: 1-line block ×3, first 2 shown]
	v_add_co_u32 v32, vcc_lo, s10, v3
	v_add_co_ci_u32_e32 v30, vcc_lo, s1, v4, vcc_lo
	v_add_co_u32 v34, vcc_lo, s11, v1
	v_add_co_ci_u32_e32 v40, vcc_lo, s12, v2, vcc_lo
	s_cselect_b32 s17, -1, 0
	s_cmp_lg_u64 s[24:25], s[4:5]
	s_mov_b32 s0, 0
	s_cselect_b32 s40, -1, 0
	s_and_b32 vcc_lo, exec_lo, s17
	s_mul_i32 s26, s4, 0xfffff100
	s_barrier
	buffer_gl0_inv
	s_cbranch_vccnz .LBB731_6
; %bb.5:
	v_lshlrev_b32_e32 v38, 3, v0
	v_lshlrev_b32_e32 v42, 2, v0
	v_mul_u32_u24_e32 v46, 15, v0
	s_delay_alu instid0(VALU_DEP_3) | instskip(SKIP_1) | instid1(VALU_DEP_2)
	v_add_co_u32 v1, vcc_lo, v32, v38
	v_add_co_ci_u32_e32 v2, vcc_lo, 0, v30, vcc_lo
	v_add_co_u32 v3, vcc_lo, 0x1000, v1
	s_delay_alu instid0(VALU_DEP_2)
	v_add_co_ci_u32_e32 v4, vcc_lo, 0, v2, vcc_lo
	v_add_co_u32 v5, vcc_lo, 0x2000, v1
	v_add_co_ci_u32_e32 v6, vcc_lo, 0, v2, vcc_lo
	v_add_co_u32 v7, vcc_lo, 0x3000, v1
	;; [unrolled: 2-line block ×5, first 2 shown]
	v_add_co_ci_u32_e32 v24, vcc_lo, 0, v2, vcc_lo
	s_clause 0x7
	flat_load_b64 v[9:10], v[1:2]
	flat_load_b64 v[11:12], v[1:2] offset:2048
	flat_load_b64 v[13:14], v[3:4]
	flat_load_b64 v[3:4], v[3:4] offset:2048
	;; [unrolled: 2-line block ×4, first 2 shown]
	v_add_co_u32 v1, vcc_lo, 0x7000, v1
	v_add_co_ci_u32_e32 v2, vcc_lo, 0, v2, vcc_lo
	s_clause 0x6
	flat_load_b64 v[25:26], v[19:20]
	flat_load_b64 v[19:20], v[19:20] offset:2048
	flat_load_b64 v[27:28], v[21:22]
	flat_load_b64 v[21:22], v[21:22] offset:2048
	flat_load_b64 v[36:37], v[23:24]
	flat_load_b64 v[23:24], v[23:24] offset:2048
	flat_load_b64 v[1:2], v[1:2]
	v_add_co_u32 v58, vcc_lo, v34, v42
	v_add_co_ci_u32_e32 v59, vcc_lo, 0, v40, vcc_lo
	v_mad_u32_u24 v42, 0x70, v0, v38
	s_delay_alu instid0(VALU_DEP_3) | instskip(NEXT) | instid1(VALU_DEP_3)
	v_add_co_u32 v60, vcc_lo, 0x1000, v58
	v_add_co_ci_u32_e32 v61, vcc_lo, 0, v59, vcc_lo
	v_add_co_u32 v62, vcc_lo, 0x2000, v58
	v_add_co_ci_u32_e32 v63, vcc_lo, 0, v59, vcc_lo
	;; [unrolled: 2-line block ×3, first 2 shown]
	s_waitcnt vmcnt(13) lgkmcnt(13)
	ds_store_2addr_stride64_b64 v38, v[9:10], v[11:12] offset1:4
	s_waitcnt vmcnt(11) lgkmcnt(12)
	ds_store_2addr_stride64_b64 v38, v[13:14], v[3:4] offset0:8 offset1:12
	s_waitcnt vmcnt(9) lgkmcnt(11)
	ds_store_2addr_stride64_b64 v38, v[15:16], v[5:6] offset0:16 offset1:20
	;; [unrolled: 2-line block ×6, first 2 shown]
	s_waitcnt vmcnt(0) lgkmcnt(7)
	ds_store_b64 v38, v[1:2] offset:28672
	s_waitcnt lgkmcnt(0)
	s_barrier
	buffer_gl0_inv
	ds_load_2addr_b64 v[25:28], v42 offset1:1
	ds_load_2addr_b64 v[21:24], v42 offset0:2 offset1:3
	ds_load_2addr_b64 v[17:20], v42 offset0:4 offset1:5
	;; [unrolled: 1-line block ×6, first 2 shown]
	ds_load_b64 v[37:38], v42 offset:112
	s_waitcnt lgkmcnt(0)
	s_barrier
	buffer_gl0_inv
	s_clause 0xe
	flat_load_b32 v36, v[58:59]
	flat_load_b32 v44, v[58:59] offset:1024
	flat_load_b32 v48, v[58:59] offset:2048
	flat_load_b32 v50, v[58:59] offset:3072
	flat_load_b32 v52, v[60:61]
	flat_load_b32 v54, v[60:61] offset:1024
	flat_load_b32 v56, v[60:61] offset:2048
	flat_load_b32 v58, v[60:61] offset:3072
	;; [unrolled: 4-line block ×3, first 2 shown]
	flat_load_b32 v63, v[64:65]
	flat_load_b32 v66, v[64:65] offset:1024
	flat_load_b32 v64, v[64:65] offset:2048
	v_mad_i32_i24 v42, 0xffffff8c, v0, v42
	s_waitcnt vmcnt(13) lgkmcnt(13)
	ds_store_2addr_stride64_b32 v42, v36, v44 offset1:4
	s_waitcnt vmcnt(11) lgkmcnt(12)
	ds_store_2addr_stride64_b32 v42, v48, v50 offset0:8 offset1:12
	s_waitcnt vmcnt(9) lgkmcnt(11)
	ds_store_2addr_stride64_b32 v42, v52, v54 offset0:16 offset1:20
	;; [unrolled: 2-line block ×6, first 2 shown]
	s_waitcnt vmcnt(0) lgkmcnt(7)
	ds_store_b32 v42, v64 offset:14336
	s_waitcnt lgkmcnt(0)
	s_barrier
	s_branch .LBB731_7
.LBB731_6:
	s_mov_b32 s0, -1
                                        ; implicit-def: $vgpr46
                                        ; implicit-def: $vgpr25_vgpr26
                                        ; implicit-def: $vgpr21_vgpr22
                                        ; implicit-def: $vgpr17_vgpr18
                                        ; implicit-def: $vgpr13_vgpr14
                                        ; implicit-def: $vgpr9_vgpr10
                                        ; implicit-def: $vgpr5_vgpr6
                                        ; implicit-def: $vgpr1_vgpr2
                                        ; implicit-def: $vgpr37_vgpr38
.LBB731_7:
	v_dual_mov_b32 v42, v29 :: v_dual_mov_b32 v69, v51
	v_dual_mov_b32 v73, v57 :: v_dual_mov_b32 v74, v55
	;; [unrolled: 1-line block ×7, first 2 shown]
	s_and_not1_b32 vcc_lo, exec_lo, s0
	s_add_i32 s26, s26, s36
	s_cbranch_vccnz .LBB731_69
; %bb.8:
	v_cmp_gt_u32_e32 vcc_lo, s26, v0
                                        ; implicit-def: $vgpr1_vgpr2
	s_and_saveexec_b32 s1, vcc_lo
	s_cbranch_execz .LBB731_10
; %bb.9:
	v_lshlrev_b32_e32 v1, 3, v0
	s_delay_alu instid0(VALU_DEP_1) | instskip(NEXT) | instid1(VALU_DEP_1)
	v_add_co_u32 v1, s0, v32, v1
	v_add_co_ci_u32_e64 v2, s0, 0, v30, s0
	flat_load_b64 v[1:2], v[1:2]
.LBB731_10:
	s_or_b32 exec_lo, exec_lo, s1
	v_or_b32_e32 v3, 0x100, v0
	s_delay_alu instid0(VALU_DEP_1) | instskip(NEXT) | instid1(VALU_DEP_1)
	v_cmp_gt_u32_e64 s0, s26, v3
                                        ; implicit-def: $vgpr3_vgpr4
	s_and_saveexec_b32 s4, s0
	s_cbranch_execz .LBB731_12
; %bb.11:
	v_lshlrev_b32_e32 v3, 3, v0
	s_delay_alu instid0(VALU_DEP_1) | instskip(NEXT) | instid1(VALU_DEP_1)
	v_add_co_u32 v3, s1, v32, v3
	v_add_co_ci_u32_e64 v4, s1, 0, v30, s1
	flat_load_b64 v[3:4], v[3:4] offset:2048
.LBB731_12:
	s_or_b32 exec_lo, exec_lo, s4
	v_or_b32_e32 v7, 0x200, v0
                                        ; implicit-def: $vgpr5_vgpr6
	s_delay_alu instid0(VALU_DEP_1) | instskip(NEXT) | instid1(VALU_DEP_1)
	v_cmp_gt_u32_e64 s1, s26, v7
	s_and_saveexec_b32 s5, s1
	s_cbranch_execz .LBB731_14
; %bb.13:
	v_lshlrev_b32_e32 v5, 3, v7
	s_delay_alu instid0(VALU_DEP_1) | instskip(NEXT) | instid1(VALU_DEP_1)
	v_add_co_u32 v5, s4, v32, v5
	v_add_co_ci_u32_e64 v6, s4, 0, v30, s4
	flat_load_b64 v[5:6], v[5:6]
.LBB731_14:
	s_or_b32 exec_lo, exec_lo, s5
	v_or_b32_e32 v9, 0x300, v0
                                        ; implicit-def: $vgpr7_vgpr8
	s_delay_alu instid0(VALU_DEP_1) | instskip(NEXT) | instid1(VALU_DEP_1)
	v_cmp_gt_u32_e64 s4, s26, v9
	s_and_saveexec_b32 s6, s4
	s_cbranch_execz .LBB731_16
; %bb.15:
	v_lshlrev_b32_e32 v7, 3, v9
	s_delay_alu instid0(VALU_DEP_1) | instskip(NEXT) | instid1(VALU_DEP_1)
	v_add_co_u32 v7, s5, v32, v7
	v_add_co_ci_u32_e64 v8, s5, 0, v30, s5
	flat_load_b64 v[7:8], v[7:8]
.LBB731_16:
	s_or_b32 exec_lo, exec_lo, s6
	v_or_b32_e32 v46, 0x400, v0
                                        ; implicit-def: $vgpr9_vgpr10
	s_delay_alu instid0(VALU_DEP_1) | instskip(NEXT) | instid1(VALU_DEP_1)
	v_cmp_gt_u32_e64 s5, s26, v46
	s_and_saveexec_b32 s7, s5
	s_cbranch_execz .LBB731_18
; %bb.17:
	v_lshlrev_b32_e32 v9, 3, v46
	s_delay_alu instid0(VALU_DEP_1) | instskip(NEXT) | instid1(VALU_DEP_1)
	v_add_co_u32 v9, s6, v32, v9
	v_add_co_ci_u32_e64 v10, s6, 0, v30, s6
	flat_load_b64 v[9:10], v[9:10]
.LBB731_18:
	s_or_b32 exec_lo, exec_lo, s7
	v_or_b32_e32 v48, 0x500, v0
                                        ; implicit-def: $vgpr11_vgpr12
	s_delay_alu instid0(VALU_DEP_1) | instskip(NEXT) | instid1(VALU_DEP_1)
	v_cmp_gt_u32_e64 s6, s26, v48
	s_and_saveexec_b32 s8, s6
	s_cbranch_execz .LBB731_20
; %bb.19:
	v_lshlrev_b32_e32 v11, 3, v48
	s_delay_alu instid0(VALU_DEP_1) | instskip(NEXT) | instid1(VALU_DEP_1)
	v_add_co_u32 v11, s7, v32, v11
	v_add_co_ci_u32_e64 v12, s7, 0, v30, s7
	flat_load_b64 v[11:12], v[11:12]
.LBB731_20:
	s_or_b32 exec_lo, exec_lo, s8
	v_or_b32_e32 v50, 0x600, v0
                                        ; implicit-def: $vgpr13_vgpr14
	s_delay_alu instid0(VALU_DEP_1) | instskip(NEXT) | instid1(VALU_DEP_1)
	v_cmp_gt_u32_e64 s7, s26, v50
	s_and_saveexec_b32 s9, s7
	s_cbranch_execz .LBB731_22
; %bb.21:
	v_lshlrev_b32_e32 v13, 3, v50
	s_delay_alu instid0(VALU_DEP_1) | instskip(NEXT) | instid1(VALU_DEP_1)
	v_add_co_u32 v13, s8, v32, v13
	v_add_co_ci_u32_e64 v14, s8, 0, v30, s8
	flat_load_b64 v[13:14], v[13:14]
.LBB731_22:
	s_or_b32 exec_lo, exec_lo, s9
	v_or_b32_e32 v52, 0x700, v0
                                        ; implicit-def: $vgpr15_vgpr16
	s_delay_alu instid0(VALU_DEP_1) | instskip(NEXT) | instid1(VALU_DEP_1)
	v_cmp_gt_u32_e64 s8, s26, v52
	s_and_saveexec_b32 s10, s8
	s_cbranch_execz .LBB731_24
; %bb.23:
	v_lshlrev_b32_e32 v15, 3, v52
	s_delay_alu instid0(VALU_DEP_1) | instskip(NEXT) | instid1(VALU_DEP_1)
	v_add_co_u32 v15, s9, v32, v15
	v_add_co_ci_u32_e64 v16, s9, 0, v30, s9
	flat_load_b64 v[15:16], v[15:16]
.LBB731_24:
	s_or_b32 exec_lo, exec_lo, s10
	v_or_b32_e32 v56, 0x800, v0
                                        ; implicit-def: $vgpr17_vgpr18
	s_delay_alu instid0(VALU_DEP_1) | instskip(NEXT) | instid1(VALU_DEP_1)
	v_cmp_gt_u32_e64 s9, s26, v56
	s_and_saveexec_b32 s11, s9
	s_cbranch_execz .LBB731_26
; %bb.25:
	v_lshlrev_b32_e32 v17, 3, v56
	s_delay_alu instid0(VALU_DEP_1) | instskip(NEXT) | instid1(VALU_DEP_1)
	v_add_co_u32 v17, s10, v32, v17
	v_add_co_ci_u32_e64 v18, s10, 0, v30, s10
	flat_load_b64 v[17:18], v[17:18]
.LBB731_26:
	s_or_b32 exec_lo, exec_lo, s11
	v_or_b32_e32 v58, 0x900, v0
                                        ; implicit-def: $vgpr19_vgpr20
	s_delay_alu instid0(VALU_DEP_1) | instskip(NEXT) | instid1(VALU_DEP_1)
	v_cmp_gt_u32_e64 s10, s26, v58
	s_and_saveexec_b32 s12, s10
	s_cbranch_execz .LBB731_28
; %bb.27:
	v_lshlrev_b32_e32 v19, 3, v58
	s_delay_alu instid0(VALU_DEP_1) | instskip(NEXT) | instid1(VALU_DEP_1)
	v_add_co_u32 v19, s11, v32, v19
	v_add_co_ci_u32_e64 v20, s11, 0, v30, s11
	flat_load_b64 v[19:20], v[19:20]
.LBB731_28:
	s_or_b32 exec_lo, exec_lo, s12
	v_or_b32_e32 v59, 0xa00, v0
                                        ; implicit-def: $vgpr21_vgpr22
	s_delay_alu instid0(VALU_DEP_1) | instskip(NEXT) | instid1(VALU_DEP_1)
	v_cmp_gt_u32_e64 s11, s26, v59
	s_and_saveexec_b32 s13, s11
	s_cbranch_execz .LBB731_30
; %bb.29:
	v_lshlrev_b32_e32 v21, 3, v59
	s_delay_alu instid0(VALU_DEP_1) | instskip(NEXT) | instid1(VALU_DEP_1)
	v_add_co_u32 v21, s12, v32, v21
	v_add_co_ci_u32_e64 v22, s12, 0, v30, s12
	flat_load_b64 v[21:22], v[21:22]
.LBB731_30:
	s_or_b32 exec_lo, exec_lo, s13
	v_or_b32_e32 v60, 0xb00, v0
                                        ; implicit-def: $vgpr23_vgpr24
	s_delay_alu instid0(VALU_DEP_1) | instskip(NEXT) | instid1(VALU_DEP_1)
	v_cmp_gt_u32_e64 s12, s26, v60
	s_and_saveexec_b32 s14, s12
	s_cbranch_execz .LBB731_32
; %bb.31:
	v_lshlrev_b32_e32 v23, 3, v60
	s_delay_alu instid0(VALU_DEP_1) | instskip(NEXT) | instid1(VALU_DEP_1)
	v_add_co_u32 v23, s13, v32, v23
	v_add_co_ci_u32_e64 v24, s13, 0, v30, s13
	flat_load_b64 v[23:24], v[23:24]
.LBB731_32:
	s_or_b32 exec_lo, exec_lo, s14
	v_or_b32_e32 v61, 0xc00, v0
                                        ; implicit-def: $vgpr25_vgpr26
	s_delay_alu instid0(VALU_DEP_1) | instskip(NEXT) | instid1(VALU_DEP_1)
	v_cmp_gt_u32_e64 s13, s26, v61
	s_and_saveexec_b32 s15, s13
	s_cbranch_execz .LBB731_34
; %bb.33:
	v_lshlrev_b32_e32 v25, 3, v61
	s_delay_alu instid0(VALU_DEP_1) | instskip(NEXT) | instid1(VALU_DEP_1)
	v_add_co_u32 v25, s14, v32, v25
	v_add_co_ci_u32_e64 v26, s14, 0, v30, s14
	flat_load_b64 v[25:26], v[25:26]
.LBB731_34:
	s_or_b32 exec_lo, exec_lo, s15
	v_or_b32_e32 v62, 0xd00, v0
                                        ; implicit-def: $vgpr27_vgpr28
	s_delay_alu instid0(VALU_DEP_1) | instskip(NEXT) | instid1(VALU_DEP_1)
	v_cmp_gt_u32_e64 s14, s26, v62
	s_and_saveexec_b32 s16, s14
	s_cbranch_execz .LBB731_36
; %bb.35:
	v_lshlrev_b32_e32 v27, 3, v62
	s_delay_alu instid0(VALU_DEP_1) | instskip(NEXT) | instid1(VALU_DEP_1)
	v_add_co_u32 v27, s15, v32, v27
	v_add_co_ci_u32_e64 v28, s15, 0, v30, s15
	flat_load_b64 v[27:28], v[27:28]
.LBB731_36:
	s_or_b32 exec_lo, exec_lo, s16
	v_or_b32_e32 v63, 0xe00, v0
                                        ; implicit-def: $vgpr36_vgpr37
	s_delay_alu instid0(VALU_DEP_1) | instskip(NEXT) | instid1(VALU_DEP_1)
	v_cmp_gt_u32_e64 s15, s26, v63
	s_and_saveexec_b32 s27, s15
	s_cbranch_execz .LBB731_38
; %bb.37:
	v_lshlrev_b32_e32 v36, 3, v63
	s_delay_alu instid0(VALU_DEP_1) | instskip(NEXT) | instid1(VALU_DEP_1)
	v_add_co_u32 v36, s16, v32, v36
	v_add_co_ci_u32_e64 v37, s16, 0, v30, s16
	flat_load_b64 v[36:37], v[36:37]
.LBB731_38:
	s_or_b32 exec_lo, exec_lo, s27
	v_lshlrev_b32_e32 v38, 3, v0
	s_waitcnt vmcnt(0) lgkmcnt(0)
	ds_store_2addr_stride64_b64 v38, v[1:2], v[3:4] offset1:4
	ds_store_2addr_stride64_b64 v38, v[5:6], v[7:8] offset0:8 offset1:12
	ds_store_2addr_stride64_b64 v38, v[9:10], v[11:12] offset0:16 offset1:20
	;; [unrolled: 1-line block ×6, first 2 shown]
	v_mad_u32_u24 v42, 0x70, v0, v38
	ds_store_b64 v38, v[36:37] offset:28672
	s_waitcnt lgkmcnt(0)
	s_barrier
	buffer_gl0_inv
	ds_load_2addr_b64 v[25:28], v42 offset1:1
	ds_load_2addr_b64 v[21:24], v42 offset0:2 offset1:3
	ds_load_2addr_b64 v[17:20], v42 offset0:4 offset1:5
	;; [unrolled: 1-line block ×6, first 2 shown]
	ds_load_b64 v[37:38], v42 offset:112
	s_waitcnt lgkmcnt(0)
	s_barrier
	buffer_gl0_inv
                                        ; implicit-def: $vgpr36
	s_and_saveexec_b32 s16, vcc_lo
	s_cbranch_execz .LBB731_52
; %bb.39:
	v_lshlrev_b32_e32 v36, 2, v0
	s_delay_alu instid0(VALU_DEP_1)
	v_add_co_u32 v64, vcc_lo, v34, v36
	v_add_co_ci_u32_e32 v65, vcc_lo, 0, v40, vcc_lo
	flat_load_b32 v36, v[64:65]
	s_or_b32 exec_lo, exec_lo, s16
                                        ; implicit-def: $vgpr44
	s_and_saveexec_b32 s16, s0
	s_cbranch_execnz .LBB731_53
.LBB731_40:
	s_or_b32 exec_lo, exec_lo, s16
                                        ; implicit-def: $vgpr54
	s_and_saveexec_b32 s0, s1
	s_cbranch_execz .LBB731_54
.LBB731_41:
	v_lshlrev_b32_e32 v54, 2, v0
	s_delay_alu instid0(VALU_DEP_1)
	v_add_co_u32 v64, vcc_lo, v34, v54
	v_add_co_ci_u32_e32 v65, vcc_lo, 0, v40, vcc_lo
	flat_load_b32 v54, v[64:65] offset:2048
	s_or_b32 exec_lo, exec_lo, s0
                                        ; implicit-def: $vgpr64
	s_and_saveexec_b32 s0, s4
	s_cbranch_execnz .LBB731_55
.LBB731_42:
	s_or_b32 exec_lo, exec_lo, s0
                                        ; implicit-def: $vgpr65
	s_and_saveexec_b32 s0, s5
	s_cbranch_execz .LBB731_56
.LBB731_43:
	v_lshlrev_b32_e32 v46, 2, v46
	s_delay_alu instid0(VALU_DEP_1)
	v_add_co_u32 v65, vcc_lo, v34, v46
	v_add_co_ci_u32_e32 v66, vcc_lo, 0, v40, vcc_lo
	flat_load_b32 v65, v[65:66]
	s_or_b32 exec_lo, exec_lo, s0
                                        ; implicit-def: $vgpr66
	s_and_saveexec_b32 s0, s6
	s_cbranch_execnz .LBB731_57
.LBB731_44:
	s_or_b32 exec_lo, exec_lo, s0
                                        ; implicit-def: $vgpr48
	s_and_saveexec_b32 s0, s7
	s_cbranch_execz .LBB731_58
.LBB731_45:
	v_lshlrev_b32_e32 v46, 2, v50
	s_delay_alu instid0(VALU_DEP_1)
	v_add_co_u32 v67, vcc_lo, v34, v46
	v_add_co_ci_u32_e32 v68, vcc_lo, 0, v40, vcc_lo
	flat_load_b32 v48, v[67:68]
	s_or_b32 exec_lo, exec_lo, s0
                                        ; implicit-def: $vgpr50
	s_and_saveexec_b32 s0, s8
	s_cbranch_execnz .LBB731_59
.LBB731_46:
	s_or_b32 exec_lo, exec_lo, s0
                                        ; implicit-def: $vgpr52
	s_and_saveexec_b32 s0, s9
	s_cbranch_execz .LBB731_60
.LBB731_47:
	v_lshlrev_b32_e32 v46, 2, v56
	s_delay_alu instid0(VALU_DEP_1)
	v_add_co_u32 v67, vcc_lo, v34, v46
	v_add_co_ci_u32_e32 v68, vcc_lo, 0, v40, vcc_lo
	flat_load_b32 v52, v[67:68]
	s_or_b32 exec_lo, exec_lo, s0
                                        ; implicit-def: $vgpr56
	s_and_saveexec_b32 s0, s10
	s_cbranch_execnz .LBB731_61
.LBB731_48:
	s_or_b32 exec_lo, exec_lo, s0
                                        ; implicit-def: $vgpr67
	s_and_saveexec_b32 s0, s11
	s_cbranch_execz .LBB731_62
.LBB731_49:
	v_lshlrev_b32_e32 v46, 2, v59
	s_delay_alu instid0(VALU_DEP_1)
	v_add_co_u32 v58, vcc_lo, v34, v46
	v_add_co_ci_u32_e32 v59, vcc_lo, 0, v40, vcc_lo
	flat_load_b32 v67, v[58:59]
	s_or_b32 exec_lo, exec_lo, s0
                                        ; implicit-def: $vgpr72
	s_and_saveexec_b32 s0, s12
	s_cbranch_execnz .LBB731_63
.LBB731_50:
	s_or_b32 exec_lo, exec_lo, s0
                                        ; implicit-def: $vgpr76
	s_and_saveexec_b32 s0, s13
	s_cbranch_execz .LBB731_64
.LBB731_51:
	v_lshlrev_b32_e32 v46, 2, v61
	s_delay_alu instid0(VALU_DEP_1)
	v_add_co_u32 v58, vcc_lo, v34, v46
	v_add_co_ci_u32_e32 v59, vcc_lo, 0, v40, vcc_lo
	flat_load_b32 v76, v[58:59]
	s_or_b32 exec_lo, exec_lo, s0
                                        ; implicit-def: $vgpr77
	s_and_saveexec_b32 s0, s14
	s_cbranch_execz .LBB731_66
	s_branch .LBB731_65
.LBB731_52:
	s_or_b32 exec_lo, exec_lo, s16
                                        ; implicit-def: $vgpr44
	s_and_saveexec_b32 s16, s0
	s_cbranch_execz .LBB731_40
.LBB731_53:
	v_lshlrev_b32_e32 v44, 2, v0
	s_delay_alu instid0(VALU_DEP_1)
	v_add_co_u32 v64, vcc_lo, v34, v44
	v_add_co_ci_u32_e32 v65, vcc_lo, 0, v40, vcc_lo
	flat_load_b32 v44, v[64:65] offset:1024
	s_or_b32 exec_lo, exec_lo, s16
                                        ; implicit-def: $vgpr54
	s_and_saveexec_b32 s0, s1
	s_cbranch_execnz .LBB731_41
.LBB731_54:
	s_or_b32 exec_lo, exec_lo, s0
                                        ; implicit-def: $vgpr64
	s_and_saveexec_b32 s0, s4
	s_cbranch_execz .LBB731_42
.LBB731_55:
	v_lshlrev_b32_e32 v64, 2, v0
	s_delay_alu instid0(VALU_DEP_1)
	v_add_co_u32 v64, vcc_lo, v34, v64
	v_add_co_ci_u32_e32 v65, vcc_lo, 0, v40, vcc_lo
	flat_load_b32 v64, v[64:65] offset:3072
	s_or_b32 exec_lo, exec_lo, s0
                                        ; implicit-def: $vgpr65
	s_and_saveexec_b32 s0, s5
	s_cbranch_execnz .LBB731_43
.LBB731_56:
	s_or_b32 exec_lo, exec_lo, s0
                                        ; implicit-def: $vgpr66
	s_and_saveexec_b32 s0, s6
	s_cbranch_execz .LBB731_44
.LBB731_57:
	v_lshlrev_b32_e32 v46, 2, v48
	s_delay_alu instid0(VALU_DEP_1)
	v_add_co_u32 v66, vcc_lo, v34, v46
	v_add_co_ci_u32_e32 v67, vcc_lo, 0, v40, vcc_lo
	flat_load_b32 v66, v[66:67]
	s_or_b32 exec_lo, exec_lo, s0
                                        ; implicit-def: $vgpr48
	s_and_saveexec_b32 s0, s7
	s_cbranch_execnz .LBB731_45
.LBB731_58:
	s_or_b32 exec_lo, exec_lo, s0
                                        ; implicit-def: $vgpr50
	s_and_saveexec_b32 s0, s8
	s_cbranch_execz .LBB731_46
.LBB731_59:
	v_lshlrev_b32_e32 v46, 2, v52
	s_delay_alu instid0(VALU_DEP_1)
	v_add_co_u32 v67, vcc_lo, v34, v46
	v_add_co_ci_u32_e32 v68, vcc_lo, 0, v40, vcc_lo
	flat_load_b32 v50, v[67:68]
	s_or_b32 exec_lo, exec_lo, s0
                                        ; implicit-def: $vgpr52
	s_and_saveexec_b32 s0, s9
	s_cbranch_execnz .LBB731_47
.LBB731_60:
	s_or_b32 exec_lo, exec_lo, s0
                                        ; implicit-def: $vgpr56
	s_and_saveexec_b32 s0, s10
	s_cbranch_execz .LBB731_48
.LBB731_61:
	v_lshlrev_b32_e32 v46, 2, v58
	s_delay_alu instid0(VALU_DEP_1)
	v_add_co_u32 v67, vcc_lo, v34, v46
	v_add_co_ci_u32_e32 v68, vcc_lo, 0, v40, vcc_lo
	flat_load_b32 v56, v[67:68]
	s_or_b32 exec_lo, exec_lo, s0
                                        ; implicit-def: $vgpr67
	s_and_saveexec_b32 s0, s11
	s_cbranch_execnz .LBB731_49
.LBB731_62:
	s_or_b32 exec_lo, exec_lo, s0
                                        ; implicit-def: $vgpr72
	s_and_saveexec_b32 s0, s12
	s_cbranch_execz .LBB731_50
.LBB731_63:
	v_lshlrev_b32_e32 v46, 2, v60
	s_delay_alu instid0(VALU_DEP_1)
	v_add_co_u32 v58, vcc_lo, v34, v46
	v_add_co_ci_u32_e32 v59, vcc_lo, 0, v40, vcc_lo
	flat_load_b32 v72, v[58:59]
	s_or_b32 exec_lo, exec_lo, s0
                                        ; implicit-def: $vgpr76
	s_and_saveexec_b32 s0, s13
	s_cbranch_execnz .LBB731_51
.LBB731_64:
	s_or_b32 exec_lo, exec_lo, s0
                                        ; implicit-def: $vgpr77
	s_and_saveexec_b32 s0, s14
	s_cbranch_execz .LBB731_66
.LBB731_65:
	v_lshlrev_b32_e32 v46, 2, v62
	s_delay_alu instid0(VALU_DEP_1)
	v_add_co_u32 v58, vcc_lo, v34, v46
	v_add_co_ci_u32_e32 v59, vcc_lo, 0, v40, vcc_lo
	flat_load_b32 v77, v[58:59]
.LBB731_66:
	s_or_b32 exec_lo, exec_lo, s0
	v_mul_u32_u24_e32 v46, 15, v0
                                        ; implicit-def: $vgpr78
	s_and_saveexec_b32 s0, s15
	s_cbranch_execz .LBB731_68
; %bb.67:
	v_lshlrev_b32_e32 v58, 2, v63
	s_delay_alu instid0(VALU_DEP_1)
	v_add_co_u32 v58, vcc_lo, v34, v58
	v_add_co_ci_u32_e32 v59, vcc_lo, 0, v40, vcc_lo
	flat_load_b32 v78, v[58:59]
.LBB731_68:
	s_or_b32 exec_lo, exec_lo, s0
	s_delay_alu instid0(VALU_DEP_1)
	v_add_nc_u32_e32 v59, 1, v46
	v_add_nc_u32_e32 v58, 2, v46
	;; [unrolled: 1-line block ×10, first 2 shown]
	v_mad_i32_i24 v34, 0xffffff8c, v0, v42
	v_add_nc_u32_e32 v75, 11, v46
	v_add_nc_u32_e32 v74, 12, v46
	;; [unrolled: 1-line block ×4, first 2 shown]
	s_waitcnt vmcnt(0) lgkmcnt(0)
	ds_store_2addr_stride64_b32 v34, v36, v44 offset1:4
	ds_store_2addr_stride64_b32 v34, v54, v64 offset0:8 offset1:12
	ds_store_2addr_stride64_b32 v34, v65, v66 offset0:16 offset1:20
	;; [unrolled: 1-line block ×6, first 2 shown]
	ds_store_b32 v34, v78 offset:14336
	s_waitcnt lgkmcnt(0)
	s_barrier
.LBB731_69:
	v_lshlrev_b32_e32 v34, 2, v46
	v_lshlrev_b32_e32 v36, 2, v59
	;; [unrolled: 1-line block ×5, first 2 shown]
	buffer_gl0_inv
	v_lshlrev_b32_e32 v48, 2, v68
	v_lshlrev_b32_e32 v50, 2, v63
	;; [unrolled: 1-line block ×3, first 2 shown]
	ds_load_b32 v92, v34
	ds_load_b32 v91, v36
	;; [unrolled: 1-line block ×8, first 2 shown]
	v_lshlrev_b32_e32 v34, 2, v62
	v_lshlrev_b32_e32 v36, 2, v70
	;; [unrolled: 1-line block ×7, first 2 shown]
	ds_load_b32 v88, v34
	ds_load_b32 v85, v36
	;; [unrolled: 1-line block ×7, first 2 shown]
	s_cmp_eq_u64 s[24:25], 0
	s_waitcnt lgkmcnt(0)
	s_cselect_b32 s27, -1, 0
	s_cmp_lg_u64 s[24:25], 0
	s_barrier
	s_cselect_b32 s16, -1, 0
	s_and_b32 vcc_lo, exec_lo, s40
	buffer_gl0_inv
	s_cbranch_vccz .LBB731_75
; %bb.70:
	s_and_b32 vcc_lo, exec_lo, s16
	s_cbranch_vccz .LBB731_135
; %bb.71:
	v_add_co_u32 v58, vcc_lo, -8, v32
	v_add_co_ci_u32_e32 v59, vcc_lo, -1, v30, vcc_lo
	v_cmp_ne_u64_e64 s0, v[3:4], v[37:38]
	v_cmp_ne_u64_e64 s1, v[1:2], v[3:4]
	v_cmp_ne_u64_e64 s4, v[7:8], v[1:2]
	flat_load_b64 v[58:59], v[58:59]
	v_cmp_ne_u64_e64 s5, v[5:6], v[7:8]
	v_cmp_ne_u64_e64 s6, v[11:12], v[5:6]
	;; [unrolled: 1-line block ×10, first 2 shown]
	v_cmp_ne_u64_e32 vcc_lo, v[25:26], v[27:28]
	v_lshlrev_b32_e32 v34, 3, v0
	s_mov_b32 s40, -1
	ds_store_b64 v34, v[37:38]
	s_waitcnt vmcnt(0) lgkmcnt(0)
	s_barrier
	buffer_gl0_inv
	s_and_saveexec_b32 s15, s3
	s_cbranch_execz .LBB731_73
; %bb.72:
	v_add_nc_u32_e32 v34, -8, v34
	ds_load_b64 v[58:59], v34
.LBB731_73:
	s_or_b32 exec_lo, exec_lo, s15
	v_cndmask_b32_e64 v72, 0, 1, s0
	v_cndmask_b32_e64 v67, 0, 1, s1
	;; [unrolled: 1-line block ×13, first 2 shown]
	s_waitcnt lgkmcnt(0)
	v_cmp_ne_u64_e64 s0, v[58:59], v[25:26]
	v_cndmask_b32_e64 v80, 0, 1, vcc_lo
.LBB731_74:
                                        ; implicit-def: $sgpr1
	s_branch .LBB731_76
.LBB731_75:
	s_mov_b32 s40, 0
                                        ; implicit-def: $sgpr0
                                        ; implicit-def: $vgpr72
                                        ; implicit-def: $vgpr67
                                        ; implicit-def: $vgpr68
                                        ; implicit-def: $vgpr69
                                        ; implicit-def: $vgpr70
                                        ; implicit-def: $vgpr71
                                        ; implicit-def: $vgpr73
                                        ; implicit-def: $vgpr74
                                        ; implicit-def: $vgpr75
                                        ; implicit-def: $vgpr76
                                        ; implicit-def: $vgpr77
                                        ; implicit-def: $vgpr78
                                        ; implicit-def: $vgpr79
                                        ; implicit-def: $vgpr80
                                        ; implicit-def: $sgpr1
	s_cbranch_execnz .LBB731_139
.LBB731_76:
	v_mov_b32_e32 v93, s1
	s_and_saveexec_b32 s1, s40
.LBB731_77:
	s_delay_alu instid0(VALU_DEP_3)
	v_cndmask_b32_e64 v93, 0, 1, s0
.LBB731_78:
	s_or_b32 exec_lo, exec_lo, s1
	s_delay_alu instid0(VALU_DEP_1)
	v_add3_u32 v29, v80, v93, v79
	v_cmp_eq_u32_e64 s13, 0, v80
	v_cmp_eq_u32_e64 s12, 0, v79
	;; [unrolled: 1-line block ×4, first 2 shown]
	v_add3_u32 v99, v29, v78, v77
	v_cmp_eq_u32_e64 s9, 0, v76
	v_cmp_eq_u32_e64 s8, 0, v75
	;; [unrolled: 1-line block ×9, first 2 shown]
	v_cmp_eq_u32_e32 vcc_lo, 0, v72
	v_mbcnt_lo_u32_b32 v96, -1, 0
	v_lshrrev_b32_e32 v97, 5, v0
	v_or_b32_e32 v98, 31, v0
	s_cmp_eq_u64 s[22:23], 0
	s_cselect_b32 s16, -1, 0
	s_cmp_lg_u32 s33, 0
	s_cbranch_scc0 .LBB731_104
; %bb.79:
	v_cndmask_b32_e64 v29, 0, v92, s13
	v_add3_u32 v30, v99, v76, v75
	v_and_b32_e32 v32, 15, v96
	s_delay_alu instid0(VALU_DEP_3) | instskip(NEXT) | instid1(VALU_DEP_3)
	v_add_nc_u32_e32 v29, v29, v91
	v_add3_u32 v30, v30, v74, v73
	s_delay_alu instid0(VALU_DEP_3) | instskip(NEXT) | instid1(VALU_DEP_3)
	v_cmp_lt_u32_e64 s14, 1, v32
	v_cndmask_b32_e64 v29, 0, v29, s12
	s_delay_alu instid0(VALU_DEP_3) | instskip(NEXT) | instid1(VALU_DEP_2)
	v_add3_u32 v30, v30, v71, v70
	v_add_nc_u32_e32 v29, v29, v90
	s_delay_alu instid0(VALU_DEP_2) | instskip(NEXT) | instid1(VALU_DEP_2)
	v_add3_u32 v30, v30, v69, v68
	v_cndmask_b32_e64 v29, 0, v29, s11
	s_delay_alu instid0(VALU_DEP_2) | instskip(NEXT) | instid1(VALU_DEP_2)
	v_add3_u32 v30, v30, v67, v72
	v_add_nc_u32_e32 v29, v29, v89
	s_delay_alu instid0(VALU_DEP_2) | instskip(NEXT) | instid1(VALU_DEP_2)
	v_mov_b32_dpp v33, v30 row_shr:1 row_mask:0xf bank_mask:0xf
	v_cndmask_b32_e64 v29, 0, v29, s10
	s_delay_alu instid0(VALU_DEP_1) | instskip(NEXT) | instid1(VALU_DEP_1)
	v_add_nc_u32_e32 v29, v29, v87
	v_cndmask_b32_e64 v29, 0, v29, s9
	s_delay_alu instid0(VALU_DEP_1) | instskip(NEXT) | instid1(VALU_DEP_1)
	v_add_nc_u32_e32 v29, v29, v86
	;; [unrolled: 3-line block ×10, first 2 shown]
	v_cndmask_b32_e32 v29, 0, v29, vcc_lo
	v_cmp_eq_u32_e32 vcc_lo, 0, v30
	s_delay_alu instid0(VALU_DEP_2) | instskip(NEXT) | instid1(VALU_DEP_1)
	v_add_nc_u32_e32 v29, v29, v95
	v_mov_b32_dpp v31, v29 row_shr:1 row_mask:0xf bank_mask:0xf
	s_delay_alu instid0(VALU_DEP_1) | instskip(SKIP_2) | instid1(VALU_DEP_1)
	v_cndmask_b32_e32 v31, 0, v31, vcc_lo
	v_cmp_eq_u32_e32 vcc_lo, 0, v32
	v_cndmask_b32_e64 v33, v33, 0, vcc_lo
	v_add_nc_u32_e32 v30, v33, v30
	s_delay_alu instid0(VALU_DEP_4) | instskip(NEXT) | instid1(VALU_DEP_2)
	v_cndmask_b32_e64 v31, v31, 0, vcc_lo
	v_cmp_eq_u32_e32 vcc_lo, 0, v30
	s_delay_alu instid0(VALU_DEP_2) | instskip(SKIP_2) | instid1(VALU_DEP_2)
	v_add_nc_u32_e32 v29, v31, v29
	v_mov_b32_dpp v31, v30 row_shr:2 row_mask:0xf bank_mask:0xf
	s_and_b32 vcc_lo, s14, vcc_lo
	v_mov_b32_dpp v33, v29 row_shr:2 row_mask:0xf bank_mask:0xf
	s_delay_alu instid0(VALU_DEP_2) | instskip(SKIP_1) | instid1(VALU_DEP_2)
	v_cndmask_b32_e64 v31, 0, v31, s14
	v_cmp_lt_u32_e64 s14, 3, v32
	v_dual_cndmask_b32 v33, 0, v33 :: v_dual_add_nc_u32 v30, v30, v31
	s_delay_alu instid0(VALU_DEP_1) | instskip(NEXT) | instid1(VALU_DEP_2)
	v_add_nc_u32_e32 v29, v33, v29
	v_mov_b32_dpp v31, v30 row_shr:4 row_mask:0xf bank_mask:0xf
	v_cmp_eq_u32_e32 vcc_lo, 0, v30
	s_delay_alu instid0(VALU_DEP_3) | instskip(NEXT) | instid1(VALU_DEP_3)
	v_mov_b32_dpp v33, v29 row_shr:4 row_mask:0xf bank_mask:0xf
	v_cndmask_b32_e64 v31, 0, v31, s14
	s_and_b32 vcc_lo, s14, vcc_lo
	v_cmp_lt_u32_e64 s14, 7, v32
	s_delay_alu instid0(VALU_DEP_2) | instskip(NEXT) | instid1(VALU_DEP_1)
	v_dual_cndmask_b32 v33, 0, v33 :: v_dual_add_nc_u32 v30, v31, v30
	v_add_nc_u32_e32 v29, v29, v33
	s_delay_alu instid0(VALU_DEP_2) | instskip(SKIP_2) | instid1(VALU_DEP_4)
	v_cmp_eq_u32_e32 vcc_lo, 0, v30
	v_mov_b32_dpp v31, v30 row_shr:8 row_mask:0xf bank_mask:0xf
	v_bfe_i32 v33, v96, 4, 1
	v_mov_b32_dpp v32, v29 row_shr:8 row_mask:0xf bank_mask:0xf
	s_and_b32 vcc_lo, s14, vcc_lo
	s_delay_alu instid0(VALU_DEP_3) | instskip(SKIP_1) | instid1(VALU_DEP_2)
	v_cndmask_b32_e64 v31, 0, v31, s14
	s_mov_b32 s14, exec_lo
	v_cndmask_b32_e32 v32, 0, v32, vcc_lo
	s_delay_alu instid0(VALU_DEP_1) | instskip(NEXT) | instid1(VALU_DEP_3)
	v_add_nc_u32_e32 v32, v32, v29
	v_add_nc_u32_e32 v29, v31, v30
	ds_swizzle_b32 v30, v32 offset:swizzle(BROADCAST,32,15)
	ds_swizzle_b32 v31, v29 offset:swizzle(BROADCAST,32,15)
	v_cmp_eq_u32_e32 vcc_lo, 0, v29
	s_waitcnt lgkmcnt(0)
	v_dual_cndmask_b32 v30, 0, v30 :: v_dual_and_b32 v31, v33, v31
	s_delay_alu instid0(VALU_DEP_1) | instskip(NEXT) | instid1(VALU_DEP_2)
	v_and_b32_e32 v30, v33, v30
	v_add_nc_u32_e32 v29, v31, v29
	v_lshlrev_b32_e32 v31, 3, v97
	s_delay_alu instid0(VALU_DEP_3)
	v_add_nc_u32_e32 v30, v30, v32
	v_cmpx_eq_u32_e64 v98, v0
	s_cbranch_execz .LBB731_81
; %bb.80:
	ds_store_b64 v31, v[29:30] offset:4112
.LBB731_81:
	s_or_b32 exec_lo, exec_lo, s14
	s_delay_alu instid0(SALU_CYCLE_1)
	s_mov_b32 s15, exec_lo
	s_waitcnt lgkmcnt(0)
	s_barrier
	buffer_gl0_inv
	v_cmpx_gt_u32_e32 8, v0
	s_cbranch_execz .LBB731_83
; %bb.82:
	v_lshlrev_b32_e32 v34, 3, v0
	v_and_b32_e32 v36, 7, v96
	ds_load_b64 v[32:33], v34 offset:4112
	v_cmp_lt_u32_e64 s14, 1, v36
	s_waitcnt lgkmcnt(0)
	v_mov_b32_dpp v35, v33 row_shr:1 row_mask:0xf bank_mask:0xf
	v_cmp_eq_u32_e32 vcc_lo, 0, v32
	v_mov_b32_dpp v39, v32 row_shr:1 row_mask:0xf bank_mask:0xf
	s_delay_alu instid0(VALU_DEP_3) | instskip(SKIP_1) | instid1(VALU_DEP_3)
	v_cndmask_b32_e32 v35, 0, v35, vcc_lo
	v_cmp_eq_u32_e32 vcc_lo, 0, v36
	v_cndmask_b32_e64 v39, v39, 0, vcc_lo
	s_delay_alu instid0(VALU_DEP_3) | instskip(NEXT) | instid1(VALU_DEP_2)
	v_cndmask_b32_e64 v35, v35, 0, vcc_lo
	v_add_nc_u32_e32 v32, v39, v32
	s_delay_alu instid0(VALU_DEP_2) | instskip(NEXT) | instid1(VALU_DEP_2)
	v_add_nc_u32_e32 v33, v35, v33
	v_mov_b32_dpp v35, v32 row_shr:2 row_mask:0xf bank_mask:0xf
	v_cmp_eq_u32_e32 vcc_lo, 0, v32
	s_delay_alu instid0(VALU_DEP_3) | instskip(NEXT) | instid1(VALU_DEP_3)
	v_mov_b32_dpp v39, v33 row_shr:2 row_mask:0xf bank_mask:0xf
	v_cndmask_b32_e64 v35, 0, v35, s14
	s_and_b32 vcc_lo, s14, vcc_lo
	s_delay_alu instid0(VALU_DEP_2) | instskip(SKIP_1) | instid1(VALU_DEP_3)
	v_cndmask_b32_e32 v39, 0, v39, vcc_lo
	v_cmp_lt_u32_e64 s14, 3, v36
	v_add_nc_u32_e32 v32, v35, v32
	s_delay_alu instid0(VALU_DEP_3) | instskip(NEXT) | instid1(VALU_DEP_2)
	v_add_nc_u32_e32 v33, v39, v33
	v_cmp_eq_u32_e32 vcc_lo, 0, v32
	v_mov_b32_dpp v35, v32 row_shr:4 row_mask:0xf bank_mask:0xf
	s_delay_alu instid0(VALU_DEP_3) | instskip(SKIP_1) | instid1(VALU_DEP_2)
	v_mov_b32_dpp v36, v33 row_shr:4 row_mask:0xf bank_mask:0xf
	s_and_b32 vcc_lo, s14, vcc_lo
	v_cndmask_b32_e64 v35, 0, v35, s14
	s_delay_alu instid0(VALU_DEP_2) | instskip(NEXT) | instid1(VALU_DEP_2)
	v_cndmask_b32_e32 v36, 0, v36, vcc_lo
	v_add_nc_u32_e32 v32, v35, v32
	s_delay_alu instid0(VALU_DEP_2)
	v_add_nc_u32_e32 v33, v36, v33
	ds_store_b64 v34, v[32:33] offset:4112
.LBB731_83:
	s_or_b32 exec_lo, exec_lo, s15
	v_cmp_gt_u32_e32 vcc_lo, 32, v0
	v_dual_mov_b32 v39, 0 :: v_dual_mov_b32 v40, 0
	s_mov_b32 s15, exec_lo
	s_waitcnt lgkmcnt(0)
	s_barrier
	buffer_gl0_inv
	v_cmpx_lt_u32_e32 31, v0
	s_cbranch_execz .LBB731_85
; %bb.84:
	ds_load_b64 v[39:40], v31 offset:4104
	v_cmp_eq_u32_e64 s14, 0, v29
	s_waitcnt lgkmcnt(0)
	s_delay_alu instid0(VALU_DEP_1) | instskip(SKIP_1) | instid1(VALU_DEP_2)
	v_cndmask_b32_e64 v31, 0, v40, s14
	v_add_nc_u32_e32 v29, v39, v29
	v_add_nc_u32_e32 v30, v31, v30
.LBB731_85:
	s_or_b32 exec_lo, exec_lo, s15
	v_add_nc_u32_e32 v31, -1, v96
	s_delay_alu instid0(VALU_DEP_1) | instskip(NEXT) | instid1(VALU_DEP_1)
	v_cmp_gt_i32_e64 s14, 0, v31
	v_cndmask_b32_e64 v31, v31, v96, s14
	v_cmp_eq_u32_e64 s14, 0, v96
	s_delay_alu instid0(VALU_DEP_2)
	v_lshlrev_b32_e32 v31, 2, v31
	ds_bpermute_b32 v45, v31, v29
	ds_bpermute_b32 v46, v31, v30
	s_and_saveexec_b32 s22, vcc_lo
	s_cbranch_execz .LBB731_103
; %bb.86:
	v_mov_b32_e32 v32, 0
	ds_load_b64 v[29:30], v32 offset:4168
	s_waitcnt lgkmcnt(0)
	v_readfirstlane_b32 s23, v30
	s_and_saveexec_b32 s15, s14
	s_cbranch_execz .LBB731_88
; %bb.87:
	s_add_i32 s24, s33, 32
	s_mov_b32 s25, 0
	v_mov_b32_e32 v31, 1
	s_lshl_b64 s[36:37], s[24:25], 4
	s_mov_b32 s40, s25
	s_add_u32 s36, s20, s36
	s_addc_u32 s37, s21, s37
	s_and_b32 s41, s23, 0xff000000
	s_and_b32 s43, s23, 0xff0000
	s_mov_b32 s42, s25
	v_dual_mov_b32 v33, s36 :: v_dual_mov_b32 v34, s37
	s_or_b64 s[40:41], s[42:43], s[40:41]
	s_and_b32 s43, s23, 0xff00
	s_delay_alu instid0(SALU_CYCLE_1) | instskip(SKIP_1) | instid1(SALU_CYCLE_1)
	s_or_b64 s[40:41], s[40:41], s[42:43]
	s_and_b32 s43, s23, 0xff
	s_or_b64 s[24:25], s[40:41], s[42:43]
	s_delay_alu instid0(SALU_CYCLE_1)
	v_mov_b32_e32 v30, s25
	;;#ASMSTART
	global_store_dwordx4 v[33:34], v[29:32] off	
s_waitcnt vmcnt(0)
	;;#ASMEND
.LBB731_88:
	s_or_b32 exec_lo, exec_lo, s15
	v_xad_u32 v41, v96, -1, s33
	s_mov_b32 s24, 0
	s_mov_b32 s15, exec_lo
	s_delay_alu instid0(VALU_DEP_1) | instskip(NEXT) | instid1(VALU_DEP_1)
	v_add_nc_u32_e32 v31, 32, v41
	v_lshlrev_b64 v[30:31], 4, v[31:32]
	s_delay_alu instid0(VALU_DEP_1) | instskip(NEXT) | instid1(VALU_DEP_2)
	v_add_co_u32 v30, vcc_lo, s20, v30
	v_add_co_ci_u32_e32 v31, vcc_lo, s21, v31, vcc_lo
	;;#ASMSTART
	global_load_dwordx4 v[33:36], v[30:31] off glc	
s_waitcnt vmcnt(0)
	;;#ASMEND
	v_and_b32_e32 v32, 0xff, v34
	v_and_b32_e32 v36, 0xff00, v34
	;; [unrolled: 1-line block ×3, first 2 shown]
	v_or3_b32 v33, v33, 0, 0
	v_and_b32_e32 v34, 0xff000000, v34
	s_delay_alu instid0(VALU_DEP_4) | instskip(SKIP_1) | instid1(VALU_DEP_4)
	v_or3_b32 v32, 0, v32, v36
	v_and_b32_e32 v36, 0xff, v35
	v_or3_b32 v33, v33, 0, 0
	s_delay_alu instid0(VALU_DEP_3) | instskip(NEXT) | instid1(VALU_DEP_3)
	v_or3_b32 v34, v32, v42, v34
	v_cmpx_eq_u16_e32 0, v36
	s_cbranch_execz .LBB731_91
.LBB731_89:                             ; =>This Inner Loop Header: Depth=1
	;;#ASMSTART
	global_load_dwordx4 v[33:36], v[30:31] off glc	
s_waitcnt vmcnt(0)
	;;#ASMEND
	v_and_b32_e32 v32, 0xff, v35
	s_delay_alu instid0(VALU_DEP_1) | instskip(SKIP_1) | instid1(SALU_CYCLE_1)
	v_cmp_ne_u16_e32 vcc_lo, 0, v32
	s_or_b32 s24, vcc_lo, s24
	s_and_not1_b32 exec_lo, exec_lo, s24
	s_cbranch_execnz .LBB731_89
; %bb.90:
	s_or_b32 exec_lo, exec_lo, s24
.LBB731_91:
	s_delay_alu instid0(SALU_CYCLE_1)
	s_or_b32 exec_lo, exec_lo, s15
	v_cmp_ne_u32_e32 vcc_lo, 31, v96
	v_and_b32_e32 v31, 0xff, v35
	v_lshlrev_b32_e64 v47, v96, -1
	v_add_nc_u32_e32 v49, 2, v96
	v_add_nc_u32_e32 v51, 4, v96
	v_add_co_ci_u32_e32 v30, vcc_lo, 0, v96, vcc_lo
	v_cmp_eq_u16_e32 vcc_lo, 2, v31
	v_add_nc_u32_e32 v53, 8, v96
	v_add_nc_u32_e32 v55, 16, v96
	v_and_or_b32 v36, vcc_lo, v47, 0x80000000
	v_cmp_gt_u32_e32 vcc_lo, 30, v96
	s_delay_alu instid0(VALU_DEP_2) | instskip(SKIP_2) | instid1(VALU_DEP_3)
	v_ctz_i32_b32_e32 v36, v36
	v_cndmask_b32_e64 v42, 0, 1, vcc_lo
	v_cmp_eq_u32_e32 vcc_lo, 0, v33
	v_cmp_lt_u32_e64 s15, v96, v36
	s_delay_alu instid0(VALU_DEP_3) | instskip(NEXT) | instid1(VALU_DEP_2)
	v_lshlrev_b32_e32 v42, 1, v42
	s_and_b32 vcc_lo, s15, vcc_lo
	v_lshlrev_b32_e32 v30, 2, v30
	s_delay_alu instid0(VALU_DEP_2)
	v_add_lshl_u32 v48, v42, v96, 2
	ds_bpermute_b32 v31, v30, v34
	s_waitcnt lgkmcnt(0)
	v_cndmask_b32_e32 v31, 0, v31, vcc_lo
	ds_bpermute_b32 v32, v30, v33
	v_cmp_gt_u32_e32 vcc_lo, 28, v96
	v_add_nc_u32_e32 v31, v31, v34
	ds_bpermute_b32 v34, v48, v31
	s_waitcnt lgkmcnt(1)
	v_cndmask_b32_e64 v32, 0, v32, s15
	s_delay_alu instid0(VALU_DEP_1) | instskip(SKIP_1) | instid1(VALU_DEP_2)
	v_add_nc_u32_e32 v32, v32, v33
	v_cndmask_b32_e64 v33, 0, 1, vcc_lo
	v_cmp_eq_u32_e32 vcc_lo, 0, v32
	ds_bpermute_b32 v42, v48, v32
	s_waitcnt lgkmcnt(1)
	v_dual_cndmask_b32 v34, 0, v34 :: v_dual_lshlrev_b32 v33, 2, v33
	v_cmp_gt_u32_e32 vcc_lo, v49, v36
	s_delay_alu instid0(VALU_DEP_2) | instskip(NEXT) | instid1(VALU_DEP_3)
	v_add_lshl_u32 v50, v33, v96, 2
	v_cndmask_b32_e64 v34, v34, 0, vcc_lo
	s_delay_alu instid0(VALU_DEP_1) | instskip(SKIP_4) | instid1(VALU_DEP_2)
	v_add_nc_u32_e32 v31, v34, v31
	ds_bpermute_b32 v33, v50, v31
	s_waitcnt lgkmcnt(1)
	v_cndmask_b32_e64 v34, v42, 0, vcc_lo
	v_cmp_gt_u32_e32 vcc_lo, 24, v96
	v_add_nc_u32_e32 v32, v32, v34
	v_cndmask_b32_e64 v42, 0, 1, vcc_lo
	ds_bpermute_b32 v34, v50, v32
	v_cmp_eq_u32_e32 vcc_lo, 0, v32
	v_lshlrev_b32_e32 v42, 3, v42
	s_delay_alu instid0(VALU_DEP_1) | instskip(SKIP_3) | instid1(VALU_DEP_2)
	v_add_lshl_u32 v52, v42, v96, 2
	s_waitcnt lgkmcnt(1)
	v_cndmask_b32_e32 v33, 0, v33, vcc_lo
	v_cmp_gt_u32_e32 vcc_lo, v51, v36
	v_cndmask_b32_e64 v33, v33, 0, vcc_lo
	s_delay_alu instid0(VALU_DEP_1)
	v_add_nc_u32_e32 v31, v31, v33
	s_waitcnt lgkmcnt(0)
	v_cndmask_b32_e64 v34, v34, 0, vcc_lo
	v_cmp_gt_u32_e32 vcc_lo, 16, v96
	ds_bpermute_b32 v33, v52, v31
	v_add_nc_u32_e32 v32, v32, v34
	v_cndmask_b32_e64 v42, 0, 1, vcc_lo
	ds_bpermute_b32 v34, v52, v32
	v_cmp_eq_u32_e32 vcc_lo, 0, v32
	v_lshlrev_b32_e32 v42, 4, v42
	s_delay_alu instid0(VALU_DEP_1) | instskip(SKIP_3) | instid1(VALU_DEP_2)
	v_add_lshl_u32 v54, v42, v96, 2
	s_waitcnt lgkmcnt(1)
	v_dual_mov_b32 v42, 0 :: v_dual_cndmask_b32 v33, 0, v33
	v_cmp_gt_u32_e32 vcc_lo, v53, v36
	v_cndmask_b32_e64 v33, v33, 0, vcc_lo
	s_delay_alu instid0(VALU_DEP_1)
	v_add_nc_u32_e32 v31, v31, v33
	s_waitcnt lgkmcnt(0)
	v_cndmask_b32_e64 v33, v34, 0, vcc_lo
	ds_bpermute_b32 v34, v54, v31
	v_add_nc_u32_e32 v32, v32, v33
	ds_bpermute_b32 v33, v54, v32
	v_cmp_eq_u32_e32 vcc_lo, 0, v32
	s_waitcnt lgkmcnt(1)
	v_cndmask_b32_e32 v34, 0, v34, vcc_lo
	v_cmp_gt_u32_e32 vcc_lo, v55, v36
	s_delay_alu instid0(VALU_DEP_2) | instskip(SKIP_2) | instid1(VALU_DEP_2)
	v_cndmask_b32_e64 v34, v34, 0, vcc_lo
	s_waitcnt lgkmcnt(0)
	v_cndmask_b32_e64 v33, v33, 0, vcc_lo
	v_add_nc_u32_e32 v34, v34, v31
	s_delay_alu instid0(VALU_DEP_2)
	v_add_nc_u32_e32 v33, v33, v32
	s_branch .LBB731_93
.LBB731_92:                             ;   in Loop: Header=BB731_93 Depth=1
	s_or_b32 exec_lo, exec_lo, s15
	v_and_b32_e32 v36, 0xff, v35
	ds_bpermute_b32 v43, v30, v33
	v_subrev_nc_u32_e32 v41, 32, v41
	v_cmp_eq_u16_e32 vcc_lo, 2, v36
	ds_bpermute_b32 v36, v30, v34
	v_and_or_b32 v44, vcc_lo, v47, 0x80000000
	v_cmp_eq_u32_e32 vcc_lo, 0, v33
	s_delay_alu instid0(VALU_DEP_2) | instskip(NEXT) | instid1(VALU_DEP_1)
	v_ctz_i32_b32_e32 v44, v44
	v_cmp_lt_u32_e64 s15, v96, v44
	s_delay_alu instid0(VALU_DEP_1) | instskip(SKIP_4) | instid1(VALU_DEP_2)
	s_and_b32 vcc_lo, s15, vcc_lo
	s_waitcnt lgkmcnt(1)
	v_cndmask_b32_e64 v43, 0, v43, s15
	s_waitcnt lgkmcnt(0)
	v_cndmask_b32_e32 v36, 0, v36, vcc_lo
	v_add_nc_u32_e32 v33, v43, v33
	s_delay_alu instid0(VALU_DEP_2)
	v_add_nc_u32_e32 v34, v36, v34
	ds_bpermute_b32 v43, v48, v33
	ds_bpermute_b32 v36, v48, v34
	v_cmp_eq_u32_e32 vcc_lo, 0, v33
	s_waitcnt lgkmcnt(0)
	v_cndmask_b32_e32 v36, 0, v36, vcc_lo
	v_cmp_gt_u32_e32 vcc_lo, v49, v44
	v_cndmask_b32_e64 v43, v43, 0, vcc_lo
	s_delay_alu instid0(VALU_DEP_1) | instskip(NEXT) | instid1(VALU_DEP_4)
	v_add_nc_u32_e32 v33, v33, v43
	v_cndmask_b32_e64 v36, v36, 0, vcc_lo
	ds_bpermute_b32 v43, v50, v33
	v_add_nc_u32_e32 v34, v36, v34
	v_cmp_eq_u32_e32 vcc_lo, 0, v33
	ds_bpermute_b32 v36, v50, v34
	s_waitcnt lgkmcnt(0)
	v_cndmask_b32_e32 v36, 0, v36, vcc_lo
	v_cmp_gt_u32_e32 vcc_lo, v51, v44
	v_cndmask_b32_e64 v43, v43, 0, vcc_lo
	s_delay_alu instid0(VALU_DEP_1) | instskip(NEXT) | instid1(VALU_DEP_4)
	v_add_nc_u32_e32 v33, v33, v43
	v_cndmask_b32_e64 v36, v36, 0, vcc_lo
	ds_bpermute_b32 v43, v52, v33
	v_add_nc_u32_e32 v34, v34, v36
	v_cmp_eq_u32_e32 vcc_lo, 0, v33
	ds_bpermute_b32 v36, v52, v34
	;; [unrolled: 11-line block ×3, first 2 shown]
	s_waitcnt lgkmcnt(0)
	v_cndmask_b32_e32 v36, 0, v36, vcc_lo
	v_cmp_gt_u32_e32 vcc_lo, v55, v44
	s_delay_alu instid0(VALU_DEP_2) | instskip(NEXT) | instid1(VALU_DEP_1)
	v_cndmask_b32_e64 v36, v36, 0, vcc_lo
	v_add_nc_u32_e32 v34, v36, v34
	v_cndmask_b32_e64 v36, v43, 0, vcc_lo
	v_cmp_eq_u32_e32 vcc_lo, 0, v31
	s_delay_alu instid0(VALU_DEP_2) | instskip(NEXT) | instid1(VALU_DEP_4)
	v_add3_u32 v33, v33, v31, v36
	v_cndmask_b32_e32 v34, 0, v34, vcc_lo
	s_delay_alu instid0(VALU_DEP_1)
	v_add_nc_u32_e32 v34, v34, v32
.LBB731_93:                             ; =>This Loop Header: Depth=1
                                        ;     Child Loop BB731_96 Depth 2
	s_delay_alu instid0(VALU_DEP_1) | instskip(NEXT) | instid1(VALU_DEP_1)
	v_dual_mov_b32 v32, v34 :: v_dual_and_b32 v31, 0xff, v35
	v_cmp_ne_u16_e32 vcc_lo, 2, v31
	v_cndmask_b32_e64 v31, 0, 1, vcc_lo
	;;#ASMSTART
	;;#ASMEND
	s_delay_alu instid0(VALU_DEP_1)
	v_cmp_ne_u32_e32 vcc_lo, 0, v31
	v_mov_b32_e32 v31, v33
	s_cmp_lg_u32 vcc_lo, exec_lo
	s_cbranch_scc1 .LBB731_98
; %bb.94:                               ;   in Loop: Header=BB731_93 Depth=1
	v_lshlrev_b64 v[33:34], 4, v[41:42]
	s_mov_b32 s15, exec_lo
	s_delay_alu instid0(VALU_DEP_1) | instskip(NEXT) | instid1(VALU_DEP_2)
	v_add_co_u32 v43, vcc_lo, s20, v33
	v_add_co_ci_u32_e32 v44, vcc_lo, s21, v34, vcc_lo
	;;#ASMSTART
	global_load_dwordx4 v[33:36], v[43:44] off glc	
s_waitcnt vmcnt(0)
	;;#ASMEND
	v_and_b32_e32 v36, 0xff, v34
	v_and_b32_e32 v56, 0xff00, v34
	;; [unrolled: 1-line block ×3, first 2 shown]
	v_or3_b32 v33, v33, 0, 0
	v_and_b32_e32 v34, 0xff000000, v34
	s_delay_alu instid0(VALU_DEP_4) | instskip(SKIP_1) | instid1(VALU_DEP_4)
	v_or3_b32 v36, 0, v36, v56
	v_and_b32_e32 v56, 0xff, v35
	v_or3_b32 v33, v33, 0, 0
	s_delay_alu instid0(VALU_DEP_3) | instskip(NEXT) | instid1(VALU_DEP_3)
	v_or3_b32 v34, v36, v57, v34
	v_cmpx_eq_u16_e32 0, v56
	s_cbranch_execz .LBB731_92
; %bb.95:                               ;   in Loop: Header=BB731_93 Depth=1
	s_mov_b32 s24, 0
.LBB731_96:                             ;   Parent Loop BB731_93 Depth=1
                                        ; =>  This Inner Loop Header: Depth=2
	;;#ASMSTART
	global_load_dwordx4 v[33:36], v[43:44] off glc	
s_waitcnt vmcnt(0)
	;;#ASMEND
	v_and_b32_e32 v36, 0xff, v35
	s_delay_alu instid0(VALU_DEP_1) | instskip(SKIP_1) | instid1(SALU_CYCLE_1)
	v_cmp_ne_u16_e32 vcc_lo, 0, v36
	s_or_b32 s24, vcc_lo, s24
	s_and_not1_b32 exec_lo, exec_lo, s24
	s_cbranch_execnz .LBB731_96
; %bb.97:                               ;   in Loop: Header=BB731_93 Depth=1
	s_or_b32 exec_lo, exec_lo, s24
	s_branch .LBB731_92
.LBB731_98:                             ;   in Loop: Header=BB731_93 Depth=1
                                        ; implicit-def: $vgpr34
                                        ; implicit-def: $vgpr33
                                        ; implicit-def: $vgpr35
	s_cbranch_execz .LBB731_93
; %bb.99:
	s_and_saveexec_b32 s15, s14
	s_cbranch_execz .LBB731_101
; %bb.100:
	v_cmp_eq_u32_e32 vcc_lo, 0, v29
	s_mov_b32 s25, 0
	s_add_i32 s24, s33, 32
	v_add_nc_u32_e32 v33, v31, v29
	s_lshl_b64 s[24:25], s[24:25], 4
	v_cndmask_b32_e32 v30, 0, v32, vcc_lo
	s_add_u32 s24, s20, s24
	s_addc_u32 s25, s21, s25
	v_mov_b32_e32 v36, 0
	s_delay_alu instid0(VALU_DEP_2) | instskip(NEXT) | instid1(VALU_DEP_1)
	v_add_nc_u32_e32 v30, s23, v30
	v_and_b32_e32 v34, 0xff000000, v30
	v_and_b32_e32 v35, 0xff0000, v30
	s_delay_alu instid0(VALU_DEP_1) | instskip(SKIP_3) | instid1(VALU_DEP_1)
	v_or_b32_e32 v34, v35, v34
	v_mov_b32_e32 v35, 2
	v_and_b32_e32 v41, 0xff00, v30
	v_and_b32_e32 v30, 0xff, v30
	v_or3_b32 v34, v34, v41, v30
	v_mov_b32_e32 v30, s23
	v_dual_mov_b32 v42, s25 :: v_dual_mov_b32 v41, s24
	;;#ASMSTART
	global_store_dwordx4 v[41:42], v[33:36] off	
s_waitcnt vmcnt(0)
	;;#ASMEND
	ds_store_b128 v36, v[29:32] offset:4096
.LBB731_101:
	s_or_b32 exec_lo, exec_lo, s15
	s_delay_alu instid0(SALU_CYCLE_1)
	s_and_b32 exec_lo, exec_lo, s2
	s_cbranch_execz .LBB731_103
; %bb.102:
	v_mov_b32_e32 v29, 0
	ds_store_b64 v29, v[31:32] offset:4168
.LBB731_103:
	s_or_b32 exec_lo, exec_lo, s22
	s_waitcnt lgkmcnt(1)
	v_cndmask_b32_e64 v32, v45, v39, s14
	s_waitcnt lgkmcnt(0)
	s_barrier
	buffer_gl0_inv
	v_cndmask_b32_e64 v33, v46, v40, s14
	v_cmp_eq_u32_e32 vcc_lo, 0, v32
	v_mov_b32_e32 v31, 0
	ds_load_b64 v[29:30], v31 offset:4168
	s_waitcnt lgkmcnt(0)
	s_barrier
	buffer_gl0_inv
	v_cndmask_b32_e32 v34, 0, v30, vcc_lo
	v_cmp_eq_u32_e32 vcc_lo, 0, v93
	s_delay_alu instid0(VALU_DEP_2) | instskip(NEXT) | instid1(VALU_DEP_1)
	v_add_nc_u32_e32 v33, v34, v33
	v_cndmask_b32_e64 v56, v33, v30, s2
	s_delay_alu instid0(VALU_DEP_1) | instskip(NEXT) | instid1(VALU_DEP_1)
	v_cndmask_b32_e32 v30, 0, v56, vcc_lo
	v_add_nc_u32_e32 v62, v30, v92
	s_delay_alu instid0(VALU_DEP_1) | instskip(NEXT) | instid1(VALU_DEP_1)
	v_cndmask_b32_e64 v30, 0, v62, s13
	v_add_nc_u32_e32 v58, v30, v91
	s_delay_alu instid0(VALU_DEP_1) | instskip(NEXT) | instid1(VALU_DEP_1)
	v_cndmask_b32_e64 v30, 0, v58, s12
	v_add_nc_u32_e32 v54, v30, v90
	s_delay_alu instid0(VALU_DEP_1) | instskip(NEXT) | instid1(VALU_DEP_1)
	v_cndmask_b32_e64 v30, 0, v54, s11
	v_add_nc_u32_e32 v48, v30, v89
	s_delay_alu instid0(VALU_DEP_1) | instskip(NEXT) | instid1(VALU_DEP_1)
	v_cndmask_b32_e64 v30, 0, v48, s10
	v_add_nc_u32_e32 v44, v30, v87
	s_delay_alu instid0(VALU_DEP_1) | instskip(NEXT) | instid1(VALU_DEP_1)
	v_cndmask_b32_e64 v30, 0, v44, s9
	v_add_nc_u32_e32 v42, v30, v86
	v_cndmask_b32_e64 v30, v32, 0, s2
	s_delay_alu instid0(VALU_DEP_2) | instskip(NEXT) | instid1(VALU_DEP_2)
	v_cndmask_b32_e64 v32, 0, v42, s8
	v_add_nc_u32_e32 v55, v29, v30
	s_delay_alu instid0(VALU_DEP_2) | instskip(NEXT) | instid1(VALU_DEP_1)
	v_add_nc_u32_e32 v46, v32, v84
	v_cndmask_b32_e64 v29, 0, v46, s7
	s_delay_alu instid0(VALU_DEP_1) | instskip(NEXT) | instid1(VALU_DEP_1)
	v_add_nc_u32_e32 v50, v29, v82
	v_cndmask_b32_e64 v29, 0, v50, s6
	s_delay_alu instid0(VALU_DEP_1) | instskip(NEXT) | instid1(VALU_DEP_1)
	;; [unrolled: 3-line block ×3, first 2 shown]
	v_add_nc_u32_e32 v36, v29, v85
	v_cndmask_b32_e64 v29, 0, v36, s4
	s_delay_alu instid0(VALU_DEP_1) | instskip(SKIP_2) | instid1(VALU_DEP_1)
	v_add_nc_u32_e32 v40, v29, v83
	ds_load_b128 v[29:32], v31 offset:4096
	v_cndmask_b32_e64 v39, 0, v40, s3
	v_add_nc_u32_e32 v64, v39, v81
	s_delay_alu instid0(VALU_DEP_1) | instskip(NEXT) | instid1(VALU_DEP_1)
	v_cndmask_b32_e64 v51, 0, v64, s1
	v_add_nc_u32_e32 v60, v51, v66
	s_waitcnt lgkmcnt(0)
	v_cmp_eq_u32_e32 vcc_lo, 0, v29
	s_delay_alu instid0(VALU_DEP_2) | instskip(SKIP_1) | instid1(VALU_DEP_2)
	v_cndmask_b32_e64 v52, 0, v60, s0
	v_dual_cndmask_b32 v32, 0, v32 :: v_dual_add_nc_u32 v61, v55, v93
	v_add_nc_u32_e32 v52, v52, v65
	s_delay_alu instid0(VALU_DEP_2) | instskip(NEXT) | instid1(VALU_DEP_3)
	v_add_nc_u32_e32 v94, v32, v30
	v_add_nc_u32_e32 v57, v61, v80
	s_delay_alu instid0(VALU_DEP_1) | instskip(NEXT) | instid1(VALU_DEP_1)
	v_add_nc_u32_e32 v53, v57, v79
	v_add_nc_u32_e32 v47, v53, v78
	s_delay_alu instid0(VALU_DEP_1) | instskip(NEXT) | instid1(VALU_DEP_1)
	v_add_nc_u32_e32 v43, v47, v77
	v_add_nc_u32_e32 v41, v43, v76
	s_delay_alu instid0(VALU_DEP_1) | instskip(NEXT) | instid1(VALU_DEP_1)
	v_add_nc_u32_e32 v45, v41, v75
	v_add_nc_u32_e32 v49, v45, v74
	s_delay_alu instid0(VALU_DEP_1) | instskip(NEXT) | instid1(VALU_DEP_1)
	v_add_nc_u32_e32 v33, v49, v73
	v_add_nc_u32_e32 v35, v33, v71
	s_delay_alu instid0(VALU_DEP_1) | instskip(NEXT) | instid1(VALU_DEP_1)
	v_add_nc_u32_e32 v39, v35, v70
	v_add_nc_u32_e32 v63, v39, v69
	s_delay_alu instid0(VALU_DEP_1) | instskip(NEXT) | instid1(VALU_DEP_1)
	v_add_nc_u32_e32 v59, v63, v68
	v_add_nc_u32_e32 v51, v59, v67
	s_branch .LBB731_116
.LBB731_104:
                                        ; implicit-def: $vgpr29
                                        ; implicit-def: $vgpr94
                                        ; implicit-def: $vgpr55_vgpr56
                                        ; implicit-def: $vgpr61_vgpr62
                                        ; implicit-def: $vgpr57_vgpr58
                                        ; implicit-def: $vgpr53_vgpr54
                                        ; implicit-def: $vgpr47_vgpr48
                                        ; implicit-def: $vgpr43_vgpr44
                                        ; implicit-def: $vgpr41_vgpr42
                                        ; implicit-def: $vgpr45_vgpr46
                                        ; implicit-def: $vgpr49_vgpr50
                                        ; implicit-def: $vgpr33_vgpr34
                                        ; implicit-def: $vgpr35_vgpr36
                                        ; implicit-def: $vgpr39_vgpr40
                                        ; implicit-def: $vgpr63_vgpr64
                                        ; implicit-def: $vgpr59_vgpr60
                                        ; implicit-def: $vgpr51_vgpr52
	s_cbranch_execz .LBB731_116
; %bb.105:
	s_and_b32 s0, s16, exec_lo
	v_mov_b32_e32 v51, v92
	s_cselect_b32 s1, 0, s35
	s_cselect_b32 s0, 0, s34
	s_delay_alu instid0(SALU_CYCLE_1)
	s_cmp_eq_u64 s[0:1], 0
	s_cbranch_scc1 .LBB731_107
; %bb.106:
	v_mov_b32_e32 v29, 0
	global_load_b32 v51, v29, s[0:1]
.LBB731_107:
	v_cmp_eq_u32_e64 s7, 0, v80
	v_cmp_eq_u32_e64 s8, 0, v79
	;; [unrolled: 1-line block ×5, first 2 shown]
	v_cndmask_b32_e64 v29, 0, v92, s7
	v_cmp_eq_u32_e64 s12, 0, v75
	v_cmp_eq_u32_e64 s6, 0, v74
	;; [unrolled: 1-line block ×4, first 2 shown]
	v_add_nc_u32_e32 v29, v29, v91
	v_cmp_eq_u32_e64 s3, 0, v70
	v_cmp_eq_u32_e64 s1, 0, v69
	v_cmp_eq_u32_e32 vcc_lo, 0, v68
	v_add3_u32 v30, v99, v76, v75
	v_cndmask_b32_e64 v29, 0, v29, s8
	v_cmp_eq_u32_e64 s0, 0, v67
	v_cmp_eq_u32_e64 s13, 0, v72
	v_and_b32_e32 v32, 15, v96
	v_add3_u32 v30, v30, v74, v73
	v_add_nc_u32_e32 v29, v29, v90
	s_delay_alu instid0(VALU_DEP_3) | instskip(NEXT) | instid1(VALU_DEP_3)
	v_cmp_lt_u32_e64 s14, 1, v32
	v_add3_u32 v30, v30, v71, v70
	s_delay_alu instid0(VALU_DEP_3) | instskip(NEXT) | instid1(VALU_DEP_2)
	v_cndmask_b32_e64 v29, 0, v29, s9
	v_add3_u32 v30, v30, v69, v68
	s_delay_alu instid0(VALU_DEP_2) | instskip(NEXT) | instid1(VALU_DEP_2)
	v_add_nc_u32_e32 v29, v29, v89
	v_add3_u32 v30, v30, v67, v72
	s_delay_alu instid0(VALU_DEP_2) | instskip(NEXT) | instid1(VALU_DEP_2)
	v_cndmask_b32_e64 v29, 0, v29, s10
	v_mov_b32_dpp v33, v30 row_shr:1 row_mask:0xf bank_mask:0xf
	s_delay_alu instid0(VALU_DEP_2) | instskip(NEXT) | instid1(VALU_DEP_1)
	v_add_nc_u32_e32 v29, v29, v87
	v_cndmask_b32_e64 v29, 0, v29, s11
	s_delay_alu instid0(VALU_DEP_1) | instskip(NEXT) | instid1(VALU_DEP_1)
	v_add_nc_u32_e32 v29, v29, v86
	v_cndmask_b32_e64 v29, 0, v29, s12
	s_delay_alu instid0(VALU_DEP_1) | instskip(NEXT) | instid1(VALU_DEP_1)
	;; [unrolled: 3-line block ×7, first 2 shown]
	v_add_nc_u32_e32 v29, v29, v81
	v_cndmask_b32_e32 v29, 0, v29, vcc_lo
	s_delay_alu instid0(VALU_DEP_1) | instskip(NEXT) | instid1(VALU_DEP_1)
	v_add_nc_u32_e32 v29, v29, v66
	v_cndmask_b32_e64 v29, 0, v29, s0
	s_delay_alu instid0(VALU_DEP_1) | instskip(NEXT) | instid1(VALU_DEP_1)
	v_add_nc_u32_e32 v29, v29, v65
	v_cndmask_b32_e64 v29, 0, v29, s13
	v_cmp_eq_u32_e64 s13, 0, v30
	s_delay_alu instid0(VALU_DEP_2) | instskip(NEXT) | instid1(VALU_DEP_1)
	v_add_nc_u32_e32 v29, v29, v95
	v_mov_b32_dpp v31, v29 row_shr:1 row_mask:0xf bank_mask:0xf
	s_delay_alu instid0(VALU_DEP_1) | instskip(SKIP_1) | instid1(VALU_DEP_1)
	v_cndmask_b32_e64 v31, 0, v31, s13
	v_cmp_eq_u32_e64 s13, 0, v32
	v_cndmask_b32_e64 v33, v33, 0, s13
	s_delay_alu instid0(VALU_DEP_3) | instskip(NEXT) | instid1(VALU_DEP_2)
	v_cndmask_b32_e64 v31, v31, 0, s13
	v_add_nc_u32_e32 v30, v33, v30
	s_delay_alu instid0(VALU_DEP_2) | instskip(NEXT) | instid1(VALU_DEP_2)
	v_add_nc_u32_e32 v29, v31, v29
	v_mov_b32_dpp v31, v30 row_shr:2 row_mask:0xf bank_mask:0xf
	v_cmp_eq_u32_e64 s13, 0, v30
	s_delay_alu instid0(VALU_DEP_3) | instskip(NEXT) | instid1(VALU_DEP_3)
	v_mov_b32_dpp v33, v29 row_shr:2 row_mask:0xf bank_mask:0xf
	v_cndmask_b32_e64 v31, 0, v31, s14
	s_delay_alu instid0(VALU_DEP_3) | instskip(SKIP_1) | instid1(VALU_DEP_3)
	s_and_b32 s13, s14, s13
	v_cmp_lt_u32_e64 s14, 3, v32
	v_cndmask_b32_e64 v33, 0, v33, s13
	s_delay_alu instid0(VALU_DEP_3) | instskip(NEXT) | instid1(VALU_DEP_2)
	v_add_nc_u32_e32 v30, v30, v31
	v_add_nc_u32_e32 v29, v33, v29
	s_delay_alu instid0(VALU_DEP_2) | instskip(SKIP_1) | instid1(VALU_DEP_3)
	v_mov_b32_dpp v31, v30 row_shr:4 row_mask:0xf bank_mask:0xf
	v_cmp_eq_u32_e64 s13, 0, v30
	v_mov_b32_dpp v33, v29 row_shr:4 row_mask:0xf bank_mask:0xf
	s_delay_alu instid0(VALU_DEP_3) | instskip(NEXT) | instid1(VALU_DEP_3)
	v_cndmask_b32_e64 v31, 0, v31, s14
	s_and_b32 s13, s14, s13
	v_cmp_lt_u32_e64 s14, 7, v32
	s_delay_alu instid0(VALU_DEP_3) | instskip(NEXT) | instid1(VALU_DEP_3)
	v_cndmask_b32_e64 v33, 0, v33, s13
	v_add_nc_u32_e32 v30, v31, v30
	s_delay_alu instid0(VALU_DEP_2) | instskip(SKIP_1) | instid1(VALU_DEP_3)
	v_add_nc_u32_e32 v29, v29, v33
	v_bfe_i32 v33, v96, 4, 1
	v_cmp_eq_u32_e64 s13, 0, v30
	v_mov_b32_dpp v31, v30 row_shr:8 row_mask:0xf bank_mask:0xf
	s_delay_alu instid0(VALU_DEP_4) | instskip(NEXT) | instid1(VALU_DEP_3)
	v_mov_b32_dpp v32, v29 row_shr:8 row_mask:0xf bank_mask:0xf
	s_and_b32 s13, s14, s13
	s_delay_alu instid0(VALU_DEP_2) | instskip(SKIP_1) | instid1(VALU_DEP_2)
	v_cndmask_b32_e64 v31, 0, v31, s14
	s_mov_b32 s14, exec_lo
	v_cndmask_b32_e64 v32, 0, v32, s13
	s_delay_alu instid0(VALU_DEP_1) | instskip(NEXT) | instid1(VALU_DEP_3)
	v_add_nc_u32_e32 v32, v32, v29
	v_add_nc_u32_e32 v29, v31, v30
	ds_swizzle_b32 v30, v32 offset:swizzle(BROADCAST,32,15)
	ds_swizzle_b32 v31, v29 offset:swizzle(BROADCAST,32,15)
	v_cmp_eq_u32_e64 s13, 0, v29
	s_waitcnt lgkmcnt(1)
	s_delay_alu instid0(VALU_DEP_1) | instskip(SKIP_2) | instid1(VALU_DEP_2)
	v_cndmask_b32_e64 v30, 0, v30, s13
	s_waitcnt lgkmcnt(0)
	v_and_b32_e32 v31, v33, v31
	v_and_b32_e32 v30, v33, v30
	s_delay_alu instid0(VALU_DEP_2) | instskip(NEXT) | instid1(VALU_DEP_2)
	v_add_nc_u32_e32 v29, v31, v29
	v_add_nc_u32_e32 v30, v30, v32
	v_lshlrev_b32_e32 v32, 3, v97
	v_cmpx_eq_u32_e64 v98, v0
	s_cbranch_execz .LBB731_109
; %bb.108:
	ds_store_b64 v32, v[29:30] offset:4112
.LBB731_109:
	s_or_b32 exec_lo, exec_lo, s14
	s_delay_alu instid0(SALU_CYCLE_1)
	s_mov_b32 s15, exec_lo
	s_waitcnt vmcnt(0) lgkmcnt(0)
	s_barrier
	buffer_gl0_inv
	v_cmpx_gt_u32_e32 8, v0
	s_cbranch_execz .LBB731_111
; %bb.110:
	v_lshlrev_b32_e32 v31, 3, v0
	v_and_b32_e32 v36, 7, v96
	ds_load_b64 v[33:34], v31 offset:4112
	v_cmp_lt_u32_e64 s14, 1, v36
	s_waitcnt lgkmcnt(0)
	v_mov_b32_dpp v35, v34 row_shr:1 row_mask:0xf bank_mask:0xf
	v_cmp_eq_u32_e64 s13, 0, v33
	v_mov_b32_dpp v39, v33 row_shr:1 row_mask:0xf bank_mask:0xf
	s_delay_alu instid0(VALU_DEP_2) | instskip(SKIP_1) | instid1(VALU_DEP_1)
	v_cndmask_b32_e64 v35, 0, v35, s13
	v_cmp_eq_u32_e64 s13, 0, v36
	v_cndmask_b32_e64 v39, v39, 0, s13
	s_delay_alu instid0(VALU_DEP_3) | instskip(NEXT) | instid1(VALU_DEP_2)
	v_cndmask_b32_e64 v35, v35, 0, s13
	v_add_nc_u32_e32 v33, v39, v33
	s_delay_alu instid0(VALU_DEP_2) | instskip(NEXT) | instid1(VALU_DEP_2)
	v_add_nc_u32_e32 v34, v35, v34
	v_mov_b32_dpp v35, v33 row_shr:2 row_mask:0xf bank_mask:0xf
	v_cmp_eq_u32_e64 s13, 0, v33
	s_delay_alu instid0(VALU_DEP_3) | instskip(NEXT) | instid1(VALU_DEP_3)
	v_mov_b32_dpp v39, v34 row_shr:2 row_mask:0xf bank_mask:0xf
	v_cndmask_b32_e64 v35, 0, v35, s14
	s_delay_alu instid0(VALU_DEP_3) | instskip(SKIP_1) | instid1(VALU_DEP_3)
	s_and_b32 s13, s14, s13
	v_cmp_lt_u32_e64 s14, 3, v36
	v_cndmask_b32_e64 v39, 0, v39, s13
	s_delay_alu instid0(VALU_DEP_3) | instskip(NEXT) | instid1(VALU_DEP_2)
	v_add_nc_u32_e32 v33, v35, v33
	v_add_nc_u32_e32 v34, v39, v34
	s_delay_alu instid0(VALU_DEP_2) | instskip(SKIP_1) | instid1(VALU_DEP_3)
	v_cmp_eq_u32_e64 s13, 0, v33
	v_mov_b32_dpp v35, v33 row_shr:4 row_mask:0xf bank_mask:0xf
	v_mov_b32_dpp v36, v34 row_shr:4 row_mask:0xf bank_mask:0xf
	s_delay_alu instid0(VALU_DEP_3) | instskip(NEXT) | instid1(VALU_DEP_2)
	s_and_b32 s13, s14, s13
	v_cndmask_b32_e64 v35, 0, v35, s14
	s_delay_alu instid0(VALU_DEP_2) | instskip(NEXT) | instid1(VALU_DEP_2)
	v_cndmask_b32_e64 v36, 0, v36, s13
	v_add_nc_u32_e32 v33, v35, v33
	s_delay_alu instid0(VALU_DEP_2)
	v_add_nc_u32_e32 v34, v36, v34
	ds_store_b64 v31, v[33:34] offset:4112
.LBB731_111:
	s_or_b32 exec_lo, exec_lo, s15
	v_mov_b32_e32 v35, 0
	v_mov_b32_e32 v31, 0
	;; [unrolled: 1-line block ×3, first 2 shown]
	s_mov_b32 s14, exec_lo
	s_waitcnt lgkmcnt(0)
	s_barrier
	buffer_gl0_inv
	v_cmpx_lt_u32_e32 31, v0
	s_cbranch_execz .LBB731_113
; %bb.112:
	ds_load_b64 v[31:32], v32 offset:4104
	s_waitcnt lgkmcnt(0)
	v_cmp_eq_u32_e64 s13, 0, v31
	s_delay_alu instid0(VALU_DEP_1) | instskip(NEXT) | instid1(VALU_DEP_1)
	v_cndmask_b32_e64 v33, 0, v51, s13
	v_add_nc_u32_e32 v33, v33, v32
.LBB731_113:
	s_or_b32 exec_lo, exec_lo, s14
	v_add_nc_u32_e32 v32, -1, v96
	s_delay_alu instid0(VALU_DEP_1) | instskip(NEXT) | instid1(VALU_DEP_1)
	v_cmp_gt_i32_e64 s13, 0, v32
	v_cndmask_b32_e64 v32, v32, v96, s13
	v_cmp_eq_u32_e64 s13, 0, v29
	v_add_nc_u32_e32 v29, v31, v29
	s_delay_alu instid0(VALU_DEP_3) | instskip(NEXT) | instid1(VALU_DEP_3)
	v_lshlrev_b32_e32 v32, 2, v32
	v_cndmask_b32_e64 v34, 0, v33, s13
	v_cmp_eq_u32_e64 s13, 0, v96
	ds_bpermute_b32 v29, v32, v29
	v_add_nc_u32_e32 v30, v34, v30
	ds_bpermute_b32 v30, v32, v30
	s_waitcnt lgkmcnt(1)
	v_cndmask_b32_e64 v29, v29, v31, s13
	s_delay_alu instid0(VALU_DEP_1) | instskip(SKIP_3) | instid1(VALU_DEP_3)
	v_cndmask_b32_e64 v55, v29, 0, s2
	s_waitcnt lgkmcnt(0)
	v_cndmask_b32_e64 v30, v30, v33, s13
	v_cmp_eq_u32_e64 s13, 0, v93
	v_add_nc_u32_e32 v61, v55, v93
	s_delay_alu instid0(VALU_DEP_3) | instskip(NEXT) | instid1(VALU_DEP_2)
	v_cndmask_b32_e64 v56, v30, v51, s2
	v_add_nc_u32_e32 v57, v61, v80
	s_delay_alu instid0(VALU_DEP_2) | instskip(NEXT) | instid1(VALU_DEP_2)
	v_cndmask_b32_e64 v30, 0, v56, s13
	v_add_nc_u32_e32 v53, v57, v79
	s_delay_alu instid0(VALU_DEP_2) | instskip(NEXT) | instid1(VALU_DEP_2)
	v_add_nc_u32_e32 v62, v30, v92
	v_add_nc_u32_e32 v47, v53, v78
	s_delay_alu instid0(VALU_DEP_2) | instskip(NEXT) | instid1(VALU_DEP_2)
	v_cndmask_b32_e64 v30, 0, v62, s7
	v_add_nc_u32_e32 v43, v47, v77
	s_delay_alu instid0(VALU_DEP_2) | instskip(NEXT) | instid1(VALU_DEP_2)
	v_add_nc_u32_e32 v58, v30, v91
	;; [unrolled: 6-line block ×3, first 2 shown]
	v_add_nc_u32_e32 v49, v45, v74
	s_delay_alu instid0(VALU_DEP_2) | instskip(NEXT) | instid1(VALU_DEP_2)
	v_cndmask_b32_e64 v30, 0, v54, s9
	v_add_nc_u32_e32 v33, v49, v73
	s_delay_alu instid0(VALU_DEP_2) | instskip(NEXT) | instid1(VALU_DEP_1)
	v_add_nc_u32_e32 v48, v30, v89
	v_cndmask_b32_e64 v30, 0, v48, s10
	s_delay_alu instid0(VALU_DEP_1) | instskip(NEXT) | instid1(VALU_DEP_1)
	v_add_nc_u32_e32 v44, v30, v87
	v_cndmask_b32_e64 v30, 0, v44, s11
	s_delay_alu instid0(VALU_DEP_1) | instskip(NEXT) | instid1(VALU_DEP_1)
	;; [unrolled: 3-line block ×6, first 2 shown]
	v_add_nc_u32_e32 v36, v29, v85
	v_cndmask_b32_e64 v29, 0, v36, s3
	s_delay_alu instid0(VALU_DEP_1) | instskip(SKIP_3) | instid1(VALU_DEP_2)
	v_add_nc_u32_e32 v40, v29, v83
	ds_load_b64 v[29:30], v35 offset:4168
	v_add_nc_u32_e32 v35, v33, v71
	v_cndmask_b32_e64 v31, 0, v40, s1
	v_add_nc_u32_e32 v39, v35, v70
	s_delay_alu instid0(VALU_DEP_2) | instskip(NEXT) | instid1(VALU_DEP_2)
	v_add_nc_u32_e32 v64, v31, v81
	v_add_nc_u32_e32 v63, v39, v69
	s_delay_alu instid0(VALU_DEP_2) | instskip(NEXT) | instid1(VALU_DEP_2)
	v_cndmask_b32_e32 v31, 0, v64, vcc_lo
	v_add_nc_u32_e32 v59, v63, v68
	s_delay_alu instid0(VALU_DEP_2) | instskip(SKIP_2) | instid1(VALU_DEP_2)
	v_add_nc_u32_e32 v60, v31, v66
	s_waitcnt lgkmcnt(0)
	v_cmp_eq_u32_e32 vcc_lo, 0, v29
	v_cndmask_b32_e64 v31, 0, v60, s0
	v_cndmask_b32_e32 v32, 0, v51, vcc_lo
	v_add_nc_u32_e32 v51, v59, v67
	s_delay_alu instid0(VALU_DEP_3) | instskip(NEXT) | instid1(VALU_DEP_3)
	v_add_nc_u32_e32 v52, v31, v65
	v_add_nc_u32_e32 v94, v32, v30
	s_and_saveexec_b32 s0, s2
	s_cbranch_execz .LBB731_115
; %bb.114:
	s_delay_alu instid0(VALU_DEP_1)
	v_and_b32_e32 v30, 0xff000000, v94
	v_dual_mov_b32 v32, 0 :: v_dual_and_b32 v31, 0xff0000, v94
	s_add_u32 s4, s20, 0x200
	v_and_b32_e32 v65, 0xff00, v94
	s_addc_u32 s5, s21, 0
	v_and_b32_e32 v66, 0xff, v94
	v_or_b32_e32 v30, v31, v30
	v_mov_b32_e32 v31, 2
	s_delay_alu instid0(VALU_DEP_2)
	v_or3_b32 v30, v30, v65, v66
	v_dual_mov_b32 v66, s5 :: v_dual_mov_b32 v65, s4
	;;#ASMSTART
	global_store_dwordx4 v[65:66], v[29:32] off	
s_waitcnt vmcnt(0)
	;;#ASMEND
.LBB731_115:
	s_or_b32 exec_lo, exec_lo, s0
	v_mov_b32_e32 v31, 0
.LBB731_116:
	v_mov_b32_e32 v65, 0
	s_and_b32 s0, s16, exec_lo
	v_mov_b32_e32 v66, 0
	s_cselect_b32 s1, 0, s39
	s_cselect_b32 s0, 0, s38
	s_delay_alu instid0(SALU_CYCLE_1)
	s_cmp_eq_u64 s[0:1], 0
	s_barrier
	buffer_gl0_inv
	s_cbranch_scc1 .LBB731_118
; %bb.117:
	v_mov_b32_e32 v30, 0
	global_load_b64 v[65:66], v30, s[0:1]
.LBB731_118:
	v_cmp_eq_u32_e32 vcc_lo, 0, v93
	v_cmp_ne_u32_e64 s15, 0, v93
	v_cmp_ne_u32_e64 s14, 0, v80
	v_cmp_ne_u32_e64 s13, 0, v79
	v_cmp_ne_u32_e64 s12, 0, v78
	v_cndmask_b32_e64 v30, 1, 2, vcc_lo
	v_cmp_eq_u32_e32 vcc_lo, 0, v80
	v_cmp_ne_u32_e64 s11, 0, v77
	v_cmp_ne_u32_e64 s10, 0, v76
	;; [unrolled: 1-line block ×4, first 2 shown]
	v_cndmask_b32_e64 v32, 1, 2, vcc_lo
	v_cmp_eq_u32_e32 vcc_lo, 0, v79
	v_cmp_ne_u32_e64 s9, 0, v73
	v_cmp_ne_u32_e64 s7, 0, v71
	;; [unrolled: 1-line block ×3, first 2 shown]
	v_and_b32_e32 v30, v32, v30
	v_cndmask_b32_e64 v81, 1, 2, vcc_lo
	v_cmp_eq_u32_e32 vcc_lo, 0, v78
	v_cmp_ne_u32_e64 s4, 0, v69
	v_cmp_ne_u32_e64 s3, 0, v68
	;; [unrolled: 1-line block ×3, first 2 shown]
	v_and_b32_e32 v30, v30, v81
	v_cndmask_b32_e64 v32, 1, 2, vcc_lo
	v_cmp_eq_u32_e32 vcc_lo, 0, v77
	v_cmp_ne_u32_e64 s0, 0, v72
	s_delay_alu instid0(VALU_DEP_3) | instskip(SKIP_2) | instid1(VALU_DEP_2)
	v_and_b32_e32 v30, v30, v32
	v_cndmask_b32_e64 v81, 1, 2, vcc_lo
	v_cmp_eq_u32_e32 vcc_lo, 0, v76
	v_and_b32_e32 v30, v30, v81
	v_cndmask_b32_e64 v32, 1, 2, vcc_lo
	v_cmp_eq_u32_e32 vcc_lo, 0, v75
	s_waitcnt vmcnt(0)
	v_lshlrev_b64 v[81:82], 3, v[65:66]
	s_delay_alu instid0(VALU_DEP_3) | instskip(SKIP_2) | instid1(VALU_DEP_2)
	v_and_b32_e32 v30, v30, v32
	v_cndmask_b32_e64 v83, 1, 2, vcc_lo
	v_cmp_eq_u32_e32 vcc_lo, 0, v74
	v_and_b32_e32 v30, v30, v83
	v_cndmask_b32_e64 v84, 1, 2, vcc_lo
	v_cmp_eq_u32_e32 vcc_lo, 0, v73
	s_delay_alu instid0(VALU_DEP_2) | instskip(SKIP_2) | instid1(VALU_DEP_2)
	v_and_b32_e32 v30, v30, v84
	v_cndmask_b32_e64 v83, 1, 2, vcc_lo
	v_cmp_eq_u32_e32 vcc_lo, 0, v71
	v_and_b32_e32 v30, v30, v83
	v_cndmask_b32_e64 v84, 1, 2, vcc_lo
	v_cmp_eq_u32_e32 vcc_lo, 0, v70
	s_delay_alu instid0(VALU_DEP_2) | instskip(SKIP_2) | instid1(VALU_DEP_2)
	v_and_b32_e32 v30, v30, v84
	v_cndmask_b32_e64 v83, 1, 2, vcc_lo
	v_cmp_eq_u32_e32 vcc_lo, 0, v69
	v_and_b32_e32 v30, v30, v83
	v_cndmask_b32_e64 v85, 1, 2, vcc_lo
	v_cmp_eq_u32_e32 vcc_lo, 0, v68
	s_delay_alu instid0(VALU_DEP_2) | instskip(SKIP_3) | instid1(VALU_DEP_3)
	v_and_b32_e32 v30, v30, v85
	v_cndmask_b32_e64 v86, 1, 2, vcc_lo
	v_mov_b32_e32 v32, 0
	v_cmp_eq_u32_e32 vcc_lo, 0, v67
	v_and_b32_e32 v85, v30, v86
	s_delay_alu instid0(VALU_DEP_3) | instskip(SKIP_4) | instid1(VALU_DEP_2)
	v_lshlrev_b64 v[83:84], 3, v[31:32]
	v_cndmask_b32_e64 v87, 1, 2, vcc_lo
	v_add_co_u32 v81, vcc_lo, s18, v81
	v_add_co_ci_u32_e32 v82, vcc_lo, s19, v82, vcc_lo
	s_mov_b32 s18, -1
	v_add_co_u32 v30, vcc_lo, v81, v83
	s_delay_alu instid0(VALU_DEP_2) | instskip(SKIP_4) | instid1(VALU_DEP_2)
	v_add_co_ci_u32_e32 v81, vcc_lo, v82, v84, vcc_lo
	v_cmp_eq_u32_e32 vcc_lo, 0, v72
	v_and_b32_e32 v82, v85, v87
	v_cndmask_b32_e64 v83, 1, 2, vcc_lo
	v_cmp_gt_u32_e32 vcc_lo, 0x100, v29
	v_and_b32_e32 v82, v82, v83
	s_delay_alu instid0(VALU_DEP_1)
	v_cmp_gt_i16_e64 s16, 2, v82
	s_cbranch_vccz .LBB731_167
; %bb.119:
	s_delay_alu instid0(VALU_DEP_1)
	s_and_saveexec_b32 s18, s16
	s_cbranch_execz .LBB731_166
; %bb.120:
	s_mov_b32 s19, 0
	s_mov_b32 s16, exec_lo
	v_cmpx_ne_u16_e32 1, v82
	s_xor_b32 s16, exec_lo, s16
	s_cbranch_execz .LBB731_144
; %bb.121:
	s_and_saveexec_b32 s19, s15
	s_cbranch_execz .LBB731_149
; %bb.122:
	v_sub_nc_u32_e32 v83, v55, v31
	v_mov_b32_e32 v84, 0
	s_delay_alu instid0(VALU_DEP_1) | instskip(NEXT) | instid1(VALU_DEP_1)
	v_lshlrev_b64 v[83:84], 3, v[83:84]
	v_add_co_u32 v83, vcc_lo, v30, v83
	s_delay_alu instid0(VALU_DEP_2)
	v_add_co_ci_u32_e32 v84, vcc_lo, v81, v84, vcc_lo
	global_store_b64 v[83:84], v[25:26], off
	s_or_b32 exec_lo, exec_lo, s19
	s_and_saveexec_b32 s19, s14
	s_cbranch_execnz .LBB731_150
.LBB731_123:
	s_or_b32 exec_lo, exec_lo, s19
	s_and_saveexec_b32 s19, s13
	s_cbranch_execz .LBB731_151
.LBB731_124:
	v_sub_nc_u32_e32 v83, v57, v31
	v_mov_b32_e32 v84, 0
	s_delay_alu instid0(VALU_DEP_1) | instskip(NEXT) | instid1(VALU_DEP_1)
	v_lshlrev_b64 v[83:84], 3, v[83:84]
	v_add_co_u32 v83, vcc_lo, v30, v83
	s_delay_alu instid0(VALU_DEP_2)
	v_add_co_ci_u32_e32 v84, vcc_lo, v81, v84, vcc_lo
	global_store_b64 v[83:84], v[21:22], off
	s_or_b32 exec_lo, exec_lo, s19
	s_and_saveexec_b32 s19, s12
	s_cbranch_execnz .LBB731_152
.LBB731_125:
	s_or_b32 exec_lo, exec_lo, s19
	s_and_saveexec_b32 s19, s11
	s_cbranch_execz .LBB731_153
.LBB731_126:
	v_sub_nc_u32_e32 v83, v47, v31
	v_mov_b32_e32 v84, 0
	s_delay_alu instid0(VALU_DEP_1) | instskip(NEXT) | instid1(VALU_DEP_1)
	v_lshlrev_b64 v[83:84], 3, v[83:84]
	v_add_co_u32 v83, vcc_lo, v30, v83
	s_delay_alu instid0(VALU_DEP_2)
	v_add_co_ci_u32_e32 v84, vcc_lo, v81, v84, vcc_lo
	global_store_b64 v[83:84], v[17:18], off
	s_or_b32 exec_lo, exec_lo, s19
	s_and_saveexec_b32 s19, s10
	s_cbranch_execnz .LBB731_154
.LBB731_127:
	s_or_b32 exec_lo, exec_lo, s19
	s_and_saveexec_b32 s19, s8
	s_cbranch_execz .LBB731_155
.LBB731_128:
	v_sub_nc_u32_e32 v83, v41, v31
	v_mov_b32_e32 v84, 0
	s_delay_alu instid0(VALU_DEP_1) | instskip(NEXT) | instid1(VALU_DEP_1)
	v_lshlrev_b64 v[83:84], 3, v[83:84]
	v_add_co_u32 v83, vcc_lo, v30, v83
	s_delay_alu instid0(VALU_DEP_2)
	v_add_co_ci_u32_e32 v84, vcc_lo, v81, v84, vcc_lo
	global_store_b64 v[83:84], v[13:14], off
	s_or_b32 exec_lo, exec_lo, s19
	s_and_saveexec_b32 s19, s6
	s_cbranch_execnz .LBB731_156
.LBB731_129:
	s_or_b32 exec_lo, exec_lo, s19
	s_and_saveexec_b32 s19, s9
	s_cbranch_execz .LBB731_157
.LBB731_130:
	v_sub_nc_u32_e32 v83, v49, v31
	v_mov_b32_e32 v84, 0
	s_delay_alu instid0(VALU_DEP_1) | instskip(NEXT) | instid1(VALU_DEP_1)
	v_lshlrev_b64 v[83:84], 3, v[83:84]
	v_add_co_u32 v83, vcc_lo, v30, v83
	s_delay_alu instid0(VALU_DEP_2)
	v_add_co_ci_u32_e32 v84, vcc_lo, v81, v84, vcc_lo
	global_store_b64 v[83:84], v[9:10], off
	s_or_b32 exec_lo, exec_lo, s19
	s_and_saveexec_b32 s19, s7
	s_cbranch_execnz .LBB731_158
.LBB731_131:
	s_or_b32 exec_lo, exec_lo, s19
	s_and_saveexec_b32 s19, s5
	s_cbranch_execz .LBB731_159
.LBB731_132:
	v_sub_nc_u32_e32 v83, v35, v31
	v_mov_b32_e32 v84, 0
	s_delay_alu instid0(VALU_DEP_1) | instskip(NEXT) | instid1(VALU_DEP_1)
	v_lshlrev_b64 v[83:84], 3, v[83:84]
	v_add_co_u32 v83, vcc_lo, v30, v83
	s_delay_alu instid0(VALU_DEP_2)
	v_add_co_ci_u32_e32 v84, vcc_lo, v81, v84, vcc_lo
	global_store_b64 v[83:84], v[5:6], off
	s_or_b32 exec_lo, exec_lo, s19
	s_and_saveexec_b32 s19, s4
	s_cbranch_execnz .LBB731_160
.LBB731_133:
	s_or_b32 exec_lo, exec_lo, s19
	s_and_saveexec_b32 s19, s3
	s_cbranch_execz .LBB731_161
.LBB731_134:
	v_sub_nc_u32_e32 v83, v63, v31
	v_mov_b32_e32 v84, 0
	s_delay_alu instid0(VALU_DEP_1) | instskip(NEXT) | instid1(VALU_DEP_1)
	v_lshlrev_b64 v[83:84], 3, v[83:84]
	v_add_co_u32 v83, vcc_lo, v30, v83
	s_delay_alu instid0(VALU_DEP_2)
	v_add_co_ci_u32_e32 v84, vcc_lo, v81, v84, vcc_lo
	global_store_b64 v[83:84], v[1:2], off
	s_or_b32 exec_lo, exec_lo, s19
	s_and_saveexec_b32 s19, s1
	s_cbranch_execnz .LBB731_162
	s_branch .LBB731_163
.LBB731_135:
	s_mov_b32 s40, 0
                                        ; implicit-def: $sgpr0
                                        ; implicit-def: $vgpr72
                                        ; implicit-def: $vgpr67
                                        ; implicit-def: $vgpr68
                                        ; implicit-def: $vgpr69
                                        ; implicit-def: $vgpr70
                                        ; implicit-def: $vgpr71
                                        ; implicit-def: $vgpr73
                                        ; implicit-def: $vgpr74
                                        ; implicit-def: $vgpr75
                                        ; implicit-def: $vgpr76
                                        ; implicit-def: $vgpr77
                                        ; implicit-def: $vgpr78
                                        ; implicit-def: $vgpr79
                                        ; implicit-def: $vgpr80
	s_cbranch_execz .LBB731_74
; %bb.136:
	v_cmp_ne_u64_e32 vcc_lo, v[3:4], v[37:38]
	v_lshlrev_b32_e32 v34, 3, v0
                                        ; implicit-def: $sgpr0
	ds_store_b64 v34, v[37:38]
	v_cndmask_b32_e64 v72, 0, 1, vcc_lo
	v_cmp_ne_u64_e32 vcc_lo, v[1:2], v[3:4]
	s_waitcnt lgkmcnt(0)
	s_barrier
	buffer_gl0_inv
	v_cndmask_b32_e64 v67, 0, 1, vcc_lo
	v_cmp_ne_u64_e32 vcc_lo, v[7:8], v[1:2]
	v_cndmask_b32_e64 v68, 0, 1, vcc_lo
	v_cmp_ne_u64_e32 vcc_lo, v[5:6], v[7:8]
	;; [unrolled: 2-line block ×12, first 2 shown]
	v_cndmask_b32_e64 v80, 0, 1, vcc_lo
	s_and_saveexec_b32 s1, s3
	s_delay_alu instid0(SALU_CYCLE_1)
	s_xor_b32 s1, exec_lo, s1
	s_cbranch_execz .LBB731_138
; %bb.137:
	v_add_nc_u32_e32 v34, -8, v34
	s_or_b32 s40, s40, exec_lo
	ds_load_b64 v[58:59], v34
	s_waitcnt lgkmcnt(0)
	v_cmp_ne_u64_e32 vcc_lo, v[58:59], v[25:26]
	s_and_b32 s0, vcc_lo, exec_lo
.LBB731_138:
	s_or_b32 exec_lo, exec_lo, s1
	s_mov_b32 s1, 1
	s_branch .LBB731_76
.LBB731_139:
	s_mul_hi_u32 s0, s24, 0xfffff100
	s_mul_i32 s1, s25, 0xfffff100
	s_sub_i32 s0, s0, s24
	s_mul_i32 s4, s24, 0xfffff100
	s_add_i32 s0, s0, s1
	s_add_u32 s24, s4, s36
	s_addc_u32 s25, s0, s37
	v_cmp_ne_u64_e64 s14, v[3:4], v[37:38]
	v_cmp_ne_u64_e64 s15, v[1:2], v[3:4]
	;; [unrolled: 1-line block ×14, first 2 shown]
	s_and_b32 vcc_lo, exec_lo, s16
	s_cbranch_vccz .LBB731_146
; %bb.140:
	v_add_co_u32 v58, vcc_lo, -8, v32
	v_add_co_ci_u32_e32 v59, vcc_lo, -1, v30, vcc_lo
	v_mov_b32_e32 v30, 0
	v_lshlrev_b32_e32 v62, 3, v0
	v_mul_u32_u24_e32 v61, 15, v0
	flat_load_b64 v[59:60], v[58:59]
	s_mov_b32 s40, -1
	v_cmp_gt_u64_e32 vcc_lo, s[24:25], v[29:30]
	v_mov_b32_e32 v58, v30
	v_mov_b32_e32 v56, v30
	;; [unrolled: 1-line block ×5, first 2 shown]
	v_cmp_gt_u64_e64 s16, s[24:25], v[57:58]
	s_and_b32 s37, vcc_lo, s14
	v_cmp_gt_u64_e32 vcc_lo, s[24:25], v[55:56]
	v_mov_b32_e32 v48, v30
	v_mov_b32_e32 v46, v30
	v_cmp_gt_u64_e64 s14, s[24:25], v[53:54]
	s_and_b32 s41, s16, s15
	v_mov_b32_e32 v44, v30
	s_and_b32 s42, vcc_lo, s13
	v_cmp_gt_u64_e32 vcc_lo, s[24:25], v[51:52]
	v_cmp_gt_u64_e64 s13, s[24:25], v[49:50]
	v_cmp_gt_u64_e64 s15, s[24:25], v[47:48]
	;; [unrolled: 1-line block ×3, first 2 shown]
	v_mov_b32_e32 v42, v30
	v_mov_b32_e32 v40, v30
	;; [unrolled: 1-line block ×5, first 2 shown]
	s_and_b32 s14, s14, s12
	s_and_b32 s43, vcc_lo, s8
	s_and_b32 s44, s13, s9
	s_and_b32 s15, s15, s10
	;; [unrolled: 1-line block ×3, first 2 shown]
	v_cmp_gt_u64_e32 vcc_lo, s[24:25], v[43:44]
	v_cmp_gt_u64_e64 s8, s[24:25], v[41:42]
	v_cmp_gt_u64_e64 s9, s[24:25], v[39:40]
	;; [unrolled: 1-line block ×5, first 2 shown]
	s_mov_b32 s36, 0
	s_and_b32 s0, vcc_lo, s0
	s_and_b32 s8, s8, s1
	s_and_b32 s9, s9, s4
	;; [unrolled: 1-line block ×5, first 2 shown]
	ds_store_b64 v62, v[37:38]
	s_waitcnt vmcnt(0) lgkmcnt(0)
	s_barrier
	buffer_gl0_inv
	s_and_saveexec_b32 s6, s3
	s_cbranch_execz .LBB731_142
; %bb.141:
	v_add_nc_u32_e32 v32, -8, v62
	ds_load_b64 v[59:60], v32
.LBB731_142:
	s_or_b32 exec_lo, exec_lo, s6
	v_mov_b32_e32 v62, v30
	v_cndmask_b32_e64 v75, 0, 1, s0
	s_waitcnt lgkmcnt(0)
	v_cmp_ne_u64_e64 s0, v[59:60], v[25:26]
	v_cndmask_b32_e64 v72, 0, 1, s37
	v_cndmask_b32_e64 v67, 0, 1, s41
	v_cmp_gt_u64_e32 vcc_lo, s[24:25], v[61:62]
	v_cndmask_b32_e64 v68, 0, 1, s42
	v_cndmask_b32_e64 v69, 0, 1, s14
	;; [unrolled: 1-line block ×11, first 2 shown]
	s_and_b32 s0, vcc_lo, s0
	s_and_b32 vcc_lo, exec_lo, s36
	s_cbranch_vccnz .LBB731_147
.LBB731_143:
                                        ; implicit-def: $sgpr1
	v_mov_b32_e32 v93, s1
	s_and_saveexec_b32 s1, s40
	s_cbranch_execnz .LBB731_77
	s_branch .LBB731_78
.LBB731_144:
	s_and_not1_saveexec_b32 s16, s16
	s_cbranch_execz .LBB731_164
.LBB731_145:
	v_sub_nc_u32_e32 v83, v55, v31
	v_mov_b32_e32 v84, 0
	s_or_b32 s19, s19, exec_lo
	s_delay_alu instid0(VALU_DEP_1) | instskip(SKIP_1) | instid1(VALU_DEP_1)
	v_lshlrev_b64 v[85:86], 3, v[83:84]
	v_sub_nc_u32_e32 v83, v61, v31
	v_lshlrev_b64 v[87:88], 3, v[83:84]
	v_sub_nc_u32_e32 v83, v57, v31
	s_delay_alu instid0(VALU_DEP_4) | instskip(SKIP_1) | instid1(VALU_DEP_3)
	v_add_co_u32 v85, vcc_lo, v30, v85
	v_add_co_ci_u32_e32 v86, vcc_lo, v81, v86, vcc_lo
	v_lshlrev_b64 v[89:90], 3, v[83:84]
	v_sub_nc_u32_e32 v83, v53, v31
	v_add_co_u32 v87, vcc_lo, v30, v87
	v_add_co_ci_u32_e32 v88, vcc_lo, v81, v88, vcc_lo
	global_store_b64 v[85:86], v[25:26], off
	v_lshlrev_b64 v[85:86], 3, v[83:84]
	v_sub_nc_u32_e32 v83, v47, v31
	global_store_b64 v[87:88], v[27:28], off
	v_add_co_u32 v87, vcc_lo, v30, v89
	v_add_co_ci_u32_e32 v88, vcc_lo, v81, v90, vcc_lo
	v_lshlrev_b64 v[89:90], 3, v[83:84]
	v_sub_nc_u32_e32 v83, v43, v31
	v_add_co_u32 v85, vcc_lo, v30, v85
	v_add_co_ci_u32_e32 v86, vcc_lo, v81, v86, vcc_lo
	s_delay_alu instid0(VALU_DEP_3) | instskip(SKIP_3) | instid1(VALU_DEP_3)
	v_lshlrev_b64 v[91:92], 3, v[83:84]
	v_sub_nc_u32_e32 v83, v41, v31
	v_add_co_u32 v89, vcc_lo, v30, v89
	v_add_co_ci_u32_e32 v90, vcc_lo, v81, v90, vcc_lo
	v_lshlrev_b64 v[95:96], 3, v[83:84]
	v_sub_nc_u32_e32 v83, v45, v31
	v_add_co_u32 v91, vcc_lo, v30, v91
	v_add_co_ci_u32_e32 v92, vcc_lo, v81, v92, vcc_lo
	s_clause 0x3
	global_store_b64 v[87:88], v[21:22], off
	global_store_b64 v[85:86], v[23:24], off
	;; [unrolled: 1-line block ×4, first 2 shown]
	v_lshlrev_b64 v[85:86], 3, v[83:84]
	v_sub_nc_u32_e32 v83, v49, v31
	v_add_co_u32 v87, vcc_lo, v30, v95
	v_add_co_ci_u32_e32 v88, vcc_lo, v81, v96, vcc_lo
	s_delay_alu instid0(VALU_DEP_3) | instskip(SKIP_3) | instid1(VALU_DEP_3)
	v_lshlrev_b64 v[89:90], 3, v[83:84]
	v_sub_nc_u32_e32 v83, v33, v31
	v_add_co_u32 v85, vcc_lo, v30, v85
	v_add_co_ci_u32_e32 v86, vcc_lo, v81, v86, vcc_lo
	v_lshlrev_b64 v[91:92], 3, v[83:84]
	v_sub_nc_u32_e32 v83, v35, v31
	v_add_co_u32 v89, vcc_lo, v30, v89
	v_add_co_ci_u32_e32 v90, vcc_lo, v81, v90, vcc_lo
	s_delay_alu instid0(VALU_DEP_3)
	v_lshlrev_b64 v[95:96], 3, v[83:84]
	v_sub_nc_u32_e32 v83, v39, v31
	v_add_co_u32 v91, vcc_lo, v30, v91
	v_add_co_ci_u32_e32 v92, vcc_lo, v81, v92, vcc_lo
	s_clause 0x3
	global_store_b64 v[87:88], v[13:14], off
	global_store_b64 v[85:86], v[15:16], off
	;; [unrolled: 1-line block ×4, first 2 shown]
	v_lshlrev_b64 v[85:86], 3, v[83:84]
	v_sub_nc_u32_e32 v83, v63, v31
	v_add_co_u32 v87, vcc_lo, v30, v95
	v_add_co_ci_u32_e32 v88, vcc_lo, v81, v96, vcc_lo
	s_delay_alu instid0(VALU_DEP_3) | instskip(SKIP_3) | instid1(VALU_DEP_3)
	v_lshlrev_b64 v[89:90], 3, v[83:84]
	v_sub_nc_u32_e32 v83, v59, v31
	v_add_co_u32 v85, vcc_lo, v30, v85
	v_add_co_ci_u32_e32 v86, vcc_lo, v81, v86, vcc_lo
	v_lshlrev_b64 v[83:84], 3, v[83:84]
	v_add_co_u32 v89, vcc_lo, v30, v89
	v_add_co_ci_u32_e32 v90, vcc_lo, v81, v90, vcc_lo
	s_clause 0x2
	global_store_b64 v[87:88], v[5:6], off
	global_store_b64 v[85:86], v[7:8], off
	;; [unrolled: 1-line block ×3, first 2 shown]
	v_add_co_u32 v83, vcc_lo, v30, v83
	v_add_co_ci_u32_e32 v84, vcc_lo, v81, v84, vcc_lo
	global_store_b64 v[83:84], v[3:4], off
	s_or_b32 exec_lo, exec_lo, s16
	s_delay_alu instid0(SALU_CYCLE_1)
	s_and_b32 exec_lo, exec_lo, s19
	s_cbranch_execnz .LBB731_165
	s_branch .LBB731_166
.LBB731_146:
                                        ; implicit-def: $sgpr0
                                        ; implicit-def: $vgpr72
                                        ; implicit-def: $vgpr67
                                        ; implicit-def: $vgpr68
                                        ; implicit-def: $vgpr69
                                        ; implicit-def: $vgpr70
                                        ; implicit-def: $vgpr71
                                        ; implicit-def: $vgpr73
                                        ; implicit-def: $vgpr74
                                        ; implicit-def: $vgpr75
                                        ; implicit-def: $vgpr76
                                        ; implicit-def: $vgpr77
                                        ; implicit-def: $vgpr78
                                        ; implicit-def: $vgpr79
                                        ; implicit-def: $vgpr80
	s_cbranch_execz .LBB731_143
.LBB731_147:
	v_dual_mov_b32 v30, 0 :: v_dual_lshlrev_b32 v59, 3, v0
	v_cmp_ne_u64_e64 s0, v[1:2], v[3:4]
	v_cmp_ne_u64_e32 vcc_lo, v[3:4], v[37:38]
	v_cmp_ne_u64_e64 s4, v[7:8], v[1:2]
	s_delay_alu instid0(VALU_DEP_4)
	v_mov_b32_e32 v58, v30
	v_mov_b32_e32 v56, v30
	v_cmp_gt_u64_e64 s1, s[24:25], v[29:30]
	v_mov_b32_e32 v52, v30
	v_mov_b32_e32 v54, v30
	v_cmp_gt_u64_e64 s5, s[24:25], v[57:58]
	v_cmp_gt_u64_e64 s6, s[24:25], v[55:56]
	v_mov_b32_e32 v48, v30
	s_and_b32 s1, s1, vcc_lo
	v_cmp_gt_u64_e64 s7, s[24:25], v[53:54]
	v_cndmask_b32_e64 v72, 0, 1, s1
	s_and_b32 s0, s5, s0
	v_cmp_ne_u64_e64 s1, v[11:12], v[5:6]
	v_cndmask_b32_e64 v67, 0, 1, s0
	s_and_b32 s0, s6, s4
	v_cmp_ne_u64_e32 vcc_lo, v[5:6], v[7:8]
	v_cndmask_b32_e64 v68, 0, 1, s0
	v_cmp_gt_u64_e64 s0, s[24:25], v[51:52]
	v_mov_b32_e32 v50, v30
	v_mov_b32_e32 v44, v30
	;; [unrolled: 1-line block ×3, first 2 shown]
	s_and_b32 s4, s7, vcc_lo
	v_mov_b32_e32 v46, v30
	s_and_b32 s0, s0, s1
	v_cmp_ne_u64_e64 s1, v[15:16], v[9:10]
	v_cndmask_b32_e64 v70, 0, 1, s0
	v_cmp_gt_u64_e64 s0, s[24:25], v[47:48]
	v_cndmask_b32_e64 v69, 0, 1, s4
	v_cmp_gt_u64_e32 vcc_lo, s[24:25], v[49:50]
	v_cmp_ne_u64_e64 s4, v[9:10], v[11:12]
	v_cmp_gt_u64_e64 s5, s[24:25], v[41:42]
	v_cmp_ne_u64_e64 s6, v[17:18], v[19:20]
	s_and_b32 s0, s0, s1
	v_cmp_ne_u64_e64 s1, v[19:20], v[13:14]
	v_cndmask_b32_e64 v73, 0, 1, s0
	v_cmp_gt_u64_e64 s0, s[24:25], v[43:44]
	s_and_b32 s4, vcc_lo, s4
	v_cmp_gt_u64_e32 vcc_lo, s[24:25], v[45:46]
	v_cndmask_b32_e64 v71, 0, 1, s4
	v_cmp_ne_u64_e64 s4, v[13:14], v[15:16]
	v_mov_b32_e32 v40, v30
	s_and_b32 s0, s0, s1
	v_mov_b32_e32 v36, v30
	v_cndmask_b32_e64 v75, 0, 1, s0
	s_and_b32 s0, s5, s6
	v_mov_b32_e32 v34, v30
	s_and_b32 s4, vcc_lo, s4
	v_cndmask_b32_e64 v76, 0, 1, s0
	v_cmp_gt_u64_e32 vcc_lo, s[24:25], v[39:40]
	v_cmp_ne_u64_e64 s0, v[23:24], v[17:18]
	v_mov_b32_e32 v32, v30
	v_cndmask_b32_e64 v74, 0, 1, s4
	v_cmp_gt_u64_e64 s1, s[24:25], v[35:36]
	v_cmp_ne_u64_e64 s4, v[21:22], v[23:24]
	v_cmp_gt_u64_e64 s5, s[24:25], v[33:34]
	v_cmp_ne_u64_e64 s6, v[27:28], v[21:22]
	;; [unrolled: 2-line block ×3, first 2 shown]
	s_and_b32 s0, vcc_lo, s0
	ds_store_b64 v59, v[37:38]
	v_cndmask_b32_e64 v77, 0, 1, s0
	s_and_b32 s0, s1, s4
	s_mov_b32 s1, 1
	v_cndmask_b32_e64 v78, 0, 1, s0
	s_and_b32 s0, s5, s6
	s_waitcnt lgkmcnt(0)
	v_cndmask_b32_e64 v79, 0, 1, s0
	s_and_b32 s0, s7, s8
	s_barrier
	v_cndmask_b32_e64 v80, 0, 1, s0
	buffer_gl0_inv
                                        ; implicit-def: $sgpr0
	s_and_saveexec_b32 s4, s3
	s_cbranch_execz .LBB731_186
; %bb.148:
	v_add_nc_u32_e32 v29, -8, v59
	s_or_b32 s40, s40, exec_lo
	ds_load_b64 v[31:32], v29
	v_mul_u32_u24_e32 v29, 15, v0
	s_delay_alu instid0(VALU_DEP_1) | instskip(SKIP_2) | instid1(VALU_DEP_1)
	v_cmp_gt_u64_e32 vcc_lo, s[24:25], v[29:30]
	s_waitcnt lgkmcnt(0)
	v_cmp_ne_u64_e64 s0, v[31:32], v[25:26]
	s_and_b32 s0, vcc_lo, s0
	s_delay_alu instid0(SALU_CYCLE_1)
	s_and_b32 s0, s0, exec_lo
	s_or_b32 exec_lo, exec_lo, s4
	v_mov_b32_e32 v93, s1
	s_and_saveexec_b32 s1, s40
	s_cbranch_execz .LBB731_78
	s_branch .LBB731_77
.LBB731_149:
	s_or_b32 exec_lo, exec_lo, s19
	s_and_saveexec_b32 s19, s14
	s_cbranch_execz .LBB731_123
.LBB731_150:
	v_sub_nc_u32_e32 v83, v61, v31
	v_mov_b32_e32 v84, 0
	s_delay_alu instid0(VALU_DEP_1) | instskip(NEXT) | instid1(VALU_DEP_1)
	v_lshlrev_b64 v[83:84], 3, v[83:84]
	v_add_co_u32 v83, vcc_lo, v30, v83
	s_delay_alu instid0(VALU_DEP_2)
	v_add_co_ci_u32_e32 v84, vcc_lo, v81, v84, vcc_lo
	global_store_b64 v[83:84], v[27:28], off
	s_or_b32 exec_lo, exec_lo, s19
	s_and_saveexec_b32 s19, s13
	s_cbranch_execnz .LBB731_124
.LBB731_151:
	s_or_b32 exec_lo, exec_lo, s19
	s_and_saveexec_b32 s19, s12
	s_cbranch_execz .LBB731_125
.LBB731_152:
	v_sub_nc_u32_e32 v83, v53, v31
	v_mov_b32_e32 v84, 0
	s_delay_alu instid0(VALU_DEP_1) | instskip(NEXT) | instid1(VALU_DEP_1)
	v_lshlrev_b64 v[83:84], 3, v[83:84]
	v_add_co_u32 v83, vcc_lo, v30, v83
	s_delay_alu instid0(VALU_DEP_2)
	v_add_co_ci_u32_e32 v84, vcc_lo, v81, v84, vcc_lo
	global_store_b64 v[83:84], v[23:24], off
	s_or_b32 exec_lo, exec_lo, s19
	s_and_saveexec_b32 s19, s11
	s_cbranch_execnz .LBB731_126
.LBB731_153:
	s_or_b32 exec_lo, exec_lo, s19
	s_and_saveexec_b32 s19, s10
	s_cbranch_execz .LBB731_127
.LBB731_154:
	v_sub_nc_u32_e32 v83, v43, v31
	v_mov_b32_e32 v84, 0
	s_delay_alu instid0(VALU_DEP_1) | instskip(NEXT) | instid1(VALU_DEP_1)
	v_lshlrev_b64 v[83:84], 3, v[83:84]
	v_add_co_u32 v83, vcc_lo, v30, v83
	s_delay_alu instid0(VALU_DEP_2)
	v_add_co_ci_u32_e32 v84, vcc_lo, v81, v84, vcc_lo
	global_store_b64 v[83:84], v[19:20], off
	s_or_b32 exec_lo, exec_lo, s19
	s_and_saveexec_b32 s19, s8
	s_cbranch_execnz .LBB731_128
.LBB731_155:
	s_or_b32 exec_lo, exec_lo, s19
	s_and_saveexec_b32 s19, s6
	s_cbranch_execz .LBB731_129
.LBB731_156:
	v_sub_nc_u32_e32 v83, v45, v31
	v_mov_b32_e32 v84, 0
	s_delay_alu instid0(VALU_DEP_1) | instskip(NEXT) | instid1(VALU_DEP_1)
	v_lshlrev_b64 v[83:84], 3, v[83:84]
	v_add_co_u32 v83, vcc_lo, v30, v83
	s_delay_alu instid0(VALU_DEP_2)
	v_add_co_ci_u32_e32 v84, vcc_lo, v81, v84, vcc_lo
	global_store_b64 v[83:84], v[15:16], off
	s_or_b32 exec_lo, exec_lo, s19
	s_and_saveexec_b32 s19, s9
	s_cbranch_execnz .LBB731_130
.LBB731_157:
	s_or_b32 exec_lo, exec_lo, s19
	s_and_saveexec_b32 s19, s7
	s_cbranch_execz .LBB731_131
.LBB731_158:
	v_sub_nc_u32_e32 v83, v33, v31
	v_mov_b32_e32 v84, 0
	s_delay_alu instid0(VALU_DEP_1) | instskip(NEXT) | instid1(VALU_DEP_1)
	v_lshlrev_b64 v[83:84], 3, v[83:84]
	v_add_co_u32 v83, vcc_lo, v30, v83
	s_delay_alu instid0(VALU_DEP_2)
	v_add_co_ci_u32_e32 v84, vcc_lo, v81, v84, vcc_lo
	global_store_b64 v[83:84], v[11:12], off
	s_or_b32 exec_lo, exec_lo, s19
	s_and_saveexec_b32 s19, s5
	s_cbranch_execnz .LBB731_132
.LBB731_159:
	s_or_b32 exec_lo, exec_lo, s19
	s_and_saveexec_b32 s19, s4
	s_cbranch_execz .LBB731_133
.LBB731_160:
	v_sub_nc_u32_e32 v83, v39, v31
	v_mov_b32_e32 v84, 0
	s_delay_alu instid0(VALU_DEP_1) | instskip(NEXT) | instid1(VALU_DEP_1)
	v_lshlrev_b64 v[83:84], 3, v[83:84]
	v_add_co_u32 v83, vcc_lo, v30, v83
	s_delay_alu instid0(VALU_DEP_2)
	v_add_co_ci_u32_e32 v84, vcc_lo, v81, v84, vcc_lo
	global_store_b64 v[83:84], v[7:8], off
	s_or_b32 exec_lo, exec_lo, s19
	s_and_saveexec_b32 s19, s3
	s_cbranch_execnz .LBB731_134
.LBB731_161:
	s_or_b32 exec_lo, exec_lo, s19
	s_and_saveexec_b32 s19, s1
	s_cbranch_execz .LBB731_163
.LBB731_162:
	v_sub_nc_u32_e32 v83, v59, v31
	v_mov_b32_e32 v84, 0
	s_delay_alu instid0(VALU_DEP_1) | instskip(NEXT) | instid1(VALU_DEP_1)
	v_lshlrev_b64 v[83:84], 3, v[83:84]
	v_add_co_u32 v83, vcc_lo, v30, v83
	s_delay_alu instid0(VALU_DEP_2)
	v_add_co_ci_u32_e32 v84, vcc_lo, v81, v84, vcc_lo
	global_store_b64 v[83:84], v[3:4], off
.LBB731_163:
	s_or_b32 exec_lo, exec_lo, s19
	s_delay_alu instid0(SALU_CYCLE_1)
	s_and_b32 s19, s0, exec_lo
	s_and_not1_saveexec_b32 s16, s16
	s_cbranch_execnz .LBB731_145
.LBB731_164:
	s_or_b32 exec_lo, exec_lo, s16
	s_delay_alu instid0(SALU_CYCLE_1)
	s_and_b32 exec_lo, exec_lo, s19
	s_cbranch_execz .LBB731_166
.LBB731_165:
	v_sub_nc_u32_e32 v83, v51, v31
	v_mov_b32_e32 v84, 0
	s_delay_alu instid0(VALU_DEP_1) | instskip(NEXT) | instid1(VALU_DEP_1)
	v_lshlrev_b64 v[83:84], 3, v[83:84]
	v_add_co_u32 v83, vcc_lo, v30, v83
	s_delay_alu instid0(VALU_DEP_2)
	v_add_co_ci_u32_e32 v84, vcc_lo, v81, v84, vcc_lo
	global_store_b64 v[83:84], v[37:38], off
.LBB731_166:
	s_or_b32 exec_lo, exec_lo, s18
	s_mov_b32 s18, 0
.LBB731_167:
	s_delay_alu instid0(SALU_CYCLE_1)
	s_and_b32 vcc_lo, exec_lo, s18
	s_cbranch_vccz .LBB731_208
; %bb.168:
	s_mov_b32 s16, exec_lo
	v_cmpx_gt_i16_e32 2, v82
	s_cbranch_execz .LBB731_204
; %bb.169:
	s_mov_b32 s19, 0
	s_mov_b32 s18, exec_lo
	v_cmpx_ne_u16_e32 1, v82
	s_xor_b32 s18, exec_lo, s18
	s_cbranch_execz .LBB731_184
; %bb.170:
	s_and_saveexec_b32 s19, s15
	s_cbranch_execz .LBB731_187
; %bb.171:
	v_sub_nc_u32_e32 v82, v55, v31
	s_delay_alu instid0(VALU_DEP_1)
	v_lshlrev_b32_e32 v82, 3, v82
	ds_store_b64 v82, v[25:26]
	s_or_b32 exec_lo, exec_lo, s19
	s_and_saveexec_b32 s15, s14
	s_cbranch_execnz .LBB731_188
.LBB731_172:
	s_or_b32 exec_lo, exec_lo, s15
	s_and_saveexec_b32 s14, s13
	s_cbranch_execz .LBB731_189
.LBB731_173:
	v_sub_nc_u32_e32 v25, v57, v31
	s_delay_alu instid0(VALU_DEP_1)
	v_lshlrev_b32_e32 v25, 3, v25
	ds_store_b64 v25, v[21:22]
	s_or_b32 exec_lo, exec_lo, s14
	s_and_saveexec_b32 s13, s12
	s_cbranch_execnz .LBB731_190
.LBB731_174:
	s_or_b32 exec_lo, exec_lo, s13
	s_and_saveexec_b32 s12, s11
	s_cbranch_execz .LBB731_191
.LBB731_175:
	v_sub_nc_u32_e32 v21, v47, v31
	s_delay_alu instid0(VALU_DEP_1)
	v_lshlrev_b32_e32 v21, 3, v21
	ds_store_b64 v21, v[17:18]
	s_or_b32 exec_lo, exec_lo, s12
	s_and_saveexec_b32 s11, s10
	s_cbranch_execnz .LBB731_192
.LBB731_176:
	s_or_b32 exec_lo, exec_lo, s11
	s_and_saveexec_b32 s10, s8
	s_cbranch_execz .LBB731_193
.LBB731_177:
	v_sub_nc_u32_e32 v17, v41, v31
	s_delay_alu instid0(VALU_DEP_1)
	v_lshlrev_b32_e32 v17, 3, v17
	ds_store_b64 v17, v[13:14]
	s_or_b32 exec_lo, exec_lo, s10
	s_and_saveexec_b32 s8, s6
	s_cbranch_execnz .LBB731_194
.LBB731_178:
	s_or_b32 exec_lo, exec_lo, s8
	s_and_saveexec_b32 s6, s9
	s_cbranch_execz .LBB731_195
.LBB731_179:
	v_sub_nc_u32_e32 v13, v49, v31
	s_delay_alu instid0(VALU_DEP_1)
	v_lshlrev_b32_e32 v13, 3, v13
	ds_store_b64 v13, v[9:10]
	s_or_b32 exec_lo, exec_lo, s6
	s_and_saveexec_b32 s6, s7
	s_cbranch_execnz .LBB731_196
.LBB731_180:
	s_or_b32 exec_lo, exec_lo, s6
	s_and_saveexec_b32 s6, s5
	s_cbranch_execz .LBB731_197
.LBB731_181:
	v_sub_nc_u32_e32 v9, v35, v31
	s_delay_alu instid0(VALU_DEP_1)
	v_lshlrev_b32_e32 v9, 3, v9
	ds_store_b64 v9, v[5:6]
	s_or_b32 exec_lo, exec_lo, s6
	s_and_saveexec_b32 s5, s4
	s_cbranch_execnz .LBB731_198
.LBB731_182:
	s_or_b32 exec_lo, exec_lo, s5
	s_and_saveexec_b32 s4, s3
	s_cbranch_execz .LBB731_199
.LBB731_183:
	v_sub_nc_u32_e32 v5, v63, v31
	s_delay_alu instid0(VALU_DEP_1)
	v_lshlrev_b32_e32 v5, 3, v5
	ds_store_b64 v5, v[1:2]
	s_or_b32 exec_lo, exec_lo, s4
	s_and_saveexec_b32 s3, s1
	s_cbranch_execnz .LBB731_200
	s_branch .LBB731_201
.LBB731_184:
	s_and_not1_saveexec_b32 s0, s18
	s_cbranch_execz .LBB731_202
.LBB731_185:
	v_sub_nc_u32_e32 v82, v55, v31
	v_sub_nc_u32_e32 v83, v61, v31
	v_sub_nc_u32_e32 v85, v53, v31
	v_sub_nc_u32_e32 v84, v57, v31
	s_or_b32 s19, s19, exec_lo
	v_lshlrev_b32_e32 v82, 3, v82
	v_lshlrev_b32_e32 v83, 3, v83
	;; [unrolled: 1-line block ×4, first 2 shown]
	ds_store_b64 v82, v[25:26]
	ds_store_b64 v83, v[27:28]
	;; [unrolled: 1-line block ×3, first 2 shown]
	v_sub_nc_u32_e32 v21, v47, v31
	v_sub_nc_u32_e32 v22, v43, v31
	ds_store_b64 v85, v[23:24]
	v_sub_nc_u32_e32 v23, v41, v31
	v_sub_nc_u32_e32 v24, v45, v31
	v_lshlrev_b32_e32 v21, 3, v21
	v_sub_nc_u32_e32 v25, v49, v31
	v_lshlrev_b32_e32 v22, 3, v22
	v_lshlrev_b32_e32 v23, 3, v23
	;; [unrolled: 1-line block ×3, first 2 shown]
	ds_store_b64 v21, v[17:18]
	v_lshlrev_b32_e32 v17, 3, v25
	ds_store_b64 v22, v[19:20]
	ds_store_b64 v23, v[13:14]
	;; [unrolled: 1-line block ×3, first 2 shown]
	v_sub_nc_u32_e32 v13, v33, v31
	v_sub_nc_u32_e32 v15, v59, v31
	;; [unrolled: 1-line block ×3, first 2 shown]
	ds_store_b64 v17, v[9:10]
	v_sub_nc_u32_e32 v9, v35, v31
	v_lshlrev_b32_e32 v13, 3, v13
	v_sub_nc_u32_e32 v10, v39, v31
	v_lshlrev_b32_e32 v14, 3, v14
	s_delay_alu instid0(VALU_DEP_4)
	v_lshlrev_b32_e32 v9, 3, v9
	ds_store_b64 v13, v[11:12]
	v_lshlrev_b32_e32 v11, 3, v15
	v_lshlrev_b32_e32 v10, 3, v10
	ds_store_b64 v9, v[5:6]
	ds_store_b64 v10, v[7:8]
	;; [unrolled: 1-line block ×4, first 2 shown]
	s_or_b32 exec_lo, exec_lo, s0
	s_delay_alu instid0(SALU_CYCLE_1)
	s_and_b32 exec_lo, exec_lo, s19
	s_cbranch_execnz .LBB731_203
	s_branch .LBB731_204
.LBB731_186:
	s_or_b32 exec_lo, exec_lo, s4
	v_mov_b32_e32 v93, s1
	s_and_saveexec_b32 s1, s40
	s_cbranch_execnz .LBB731_77
	s_branch .LBB731_78
.LBB731_187:
	s_or_b32 exec_lo, exec_lo, s19
	s_and_saveexec_b32 s15, s14
	s_cbranch_execz .LBB731_172
.LBB731_188:
	v_sub_nc_u32_e32 v25, v61, v31
	s_delay_alu instid0(VALU_DEP_1)
	v_lshlrev_b32_e32 v25, 3, v25
	ds_store_b64 v25, v[27:28]
	s_or_b32 exec_lo, exec_lo, s15
	s_and_saveexec_b32 s14, s13
	s_cbranch_execnz .LBB731_173
.LBB731_189:
	s_or_b32 exec_lo, exec_lo, s14
	s_and_saveexec_b32 s13, s12
	s_cbranch_execz .LBB731_174
.LBB731_190:
	v_sub_nc_u32_e32 v21, v53, v31
	s_delay_alu instid0(VALU_DEP_1)
	v_lshlrev_b32_e32 v21, 3, v21
	ds_store_b64 v21, v[23:24]
	s_or_b32 exec_lo, exec_lo, s13
	s_and_saveexec_b32 s12, s11
	s_cbranch_execnz .LBB731_175
.LBB731_191:
	s_or_b32 exec_lo, exec_lo, s12
	s_and_saveexec_b32 s11, s10
	s_cbranch_execz .LBB731_176
.LBB731_192:
	v_sub_nc_u32_e32 v17, v43, v31
	s_delay_alu instid0(VALU_DEP_1)
	v_lshlrev_b32_e32 v17, 3, v17
	ds_store_b64 v17, v[19:20]
	s_or_b32 exec_lo, exec_lo, s11
	s_and_saveexec_b32 s10, s8
	s_cbranch_execnz .LBB731_177
.LBB731_193:
	s_or_b32 exec_lo, exec_lo, s10
	s_and_saveexec_b32 s8, s6
	s_cbranch_execz .LBB731_178
.LBB731_194:
	v_sub_nc_u32_e32 v13, v45, v31
	s_delay_alu instid0(VALU_DEP_1)
	v_lshlrev_b32_e32 v13, 3, v13
	ds_store_b64 v13, v[15:16]
	s_or_b32 exec_lo, exec_lo, s8
	s_and_saveexec_b32 s6, s9
	s_cbranch_execnz .LBB731_179
.LBB731_195:
	s_or_b32 exec_lo, exec_lo, s6
	s_and_saveexec_b32 s6, s7
	s_cbranch_execz .LBB731_180
.LBB731_196:
	v_sub_nc_u32_e32 v9, v33, v31
	s_delay_alu instid0(VALU_DEP_1)
	v_lshlrev_b32_e32 v9, 3, v9
	ds_store_b64 v9, v[11:12]
	s_or_b32 exec_lo, exec_lo, s6
	s_and_saveexec_b32 s6, s5
	s_cbranch_execnz .LBB731_181
.LBB731_197:
	s_or_b32 exec_lo, exec_lo, s6
	s_and_saveexec_b32 s5, s4
	s_cbranch_execz .LBB731_182
.LBB731_198:
	v_sub_nc_u32_e32 v5, v39, v31
	s_delay_alu instid0(VALU_DEP_1)
	v_lshlrev_b32_e32 v5, 3, v5
	ds_store_b64 v5, v[7:8]
	s_or_b32 exec_lo, exec_lo, s5
	s_and_saveexec_b32 s4, s3
	s_cbranch_execnz .LBB731_183
.LBB731_199:
	s_or_b32 exec_lo, exec_lo, s4
	s_and_saveexec_b32 s3, s1
	s_cbranch_execz .LBB731_201
.LBB731_200:
	v_sub_nc_u32_e32 v1, v59, v31
	s_delay_alu instid0(VALU_DEP_1)
	v_lshlrev_b32_e32 v1, 3, v1
	ds_store_b64 v1, v[3:4]
.LBB731_201:
	s_or_b32 exec_lo, exec_lo, s3
	s_delay_alu instid0(SALU_CYCLE_1)
	s_and_b32 s19, s0, exec_lo
                                        ; implicit-def: $vgpr25_vgpr26
                                        ; implicit-def: $vgpr21_vgpr22
                                        ; implicit-def: $vgpr17_vgpr18
                                        ; implicit-def: $vgpr13_vgpr14
                                        ; implicit-def: $vgpr9_vgpr10
                                        ; implicit-def: $vgpr5_vgpr6
                                        ; implicit-def: $vgpr1_vgpr2
	s_and_not1_saveexec_b32 s0, s18
	s_cbranch_execnz .LBB731_185
.LBB731_202:
	s_or_b32 exec_lo, exec_lo, s0
	s_delay_alu instid0(SALU_CYCLE_1)
	s_and_b32 exec_lo, exec_lo, s19
	s_cbranch_execz .LBB731_204
.LBB731_203:
	v_sub_nc_u32_e32 v1, v51, v31
	s_delay_alu instid0(VALU_DEP_1)
	v_lshlrev_b32_e32 v1, 3, v1
	ds_store_b64 v1, v[37:38]
.LBB731_204:
	s_or_b32 exec_lo, exec_lo, s16
	s_delay_alu instid0(SALU_CYCLE_1)
	s_mov_b32 s1, exec_lo
	s_waitcnt lgkmcnt(0)
	s_waitcnt_vscnt null, 0x0
	s_barrier
	buffer_gl0_inv
	v_cmpx_lt_u32_e64 v0, v29
	s_cbranch_execz .LBB731_207
; %bb.205:
	v_dual_mov_b32 v2, 0 :: v_dual_lshlrev_b32 v3, 3, v0
	v_mov_b32_e32 v1, v0
	s_mov_b32 s3, 0
	.p2align	6
.LBB731_206:                            ; =>This Inner Loop Header: Depth=1
	ds_load_b64 v[4:5], v3
	v_lshlrev_b64 v[6:7], 3, v[1:2]
	v_add_nc_u32_e32 v1, 0x100, v1
	v_add_nc_u32_e32 v3, 0x800, v3
	s_delay_alu instid0(VALU_DEP_2) | instskip(NEXT) | instid1(VALU_DEP_4)
	v_cmp_ge_u32_e32 vcc_lo, v1, v29
	v_add_co_u32 v6, s0, v30, v6
	s_delay_alu instid0(VALU_DEP_1)
	v_add_co_ci_u32_e64 v7, s0, v81, v7, s0
	s_or_b32 s3, vcc_lo, s3
	s_waitcnt lgkmcnt(0)
	global_store_b64 v[6:7], v[4:5], off
	s_and_not1_b32 exec_lo, exec_lo, s3
	s_cbranch_execnz .LBB731_206
.LBB731_207:
	s_or_b32 exec_lo, exec_lo, s1
.LBB731_208:
	s_cmpk_lg_i32 s26, 0xf00
	v_cndmask_b32_e64 v8, 0, 1, s27
	s_cselect_b32 s0, -1, 0
	v_mad_i32_i24 v4, v0, -15, s26
	s_and_b32 s0, s0, s17
	s_and_b32 s1, s2, s27
	v_cndmask_b32_e64 v2, 0, 1, s0
	s_mul_hi_u32 s0, s26, 0x88888889
	v_sub_nc_u32_e32 v1, v29, v8
	s_lshr_b32 s0, s0, 3
	v_cndmask_b32_e64 v5, v93, 0, s1
	v_cmp_eq_u32_e32 vcc_lo, s0, v0
	v_cmp_ne_u32_e64 s0, 0, v4
	s_mov_b32 s16, -1
	s_waitcnt_vscnt null, 0x0
	s_barrier
	s_and_b32 vcc_lo, vcc_lo, s17
	v_add_nc_u32_e32 v3, v1, v2
	v_cndmask_b32_e64 v1, 1, v5, s0
	v_cmp_ne_u32_e64 s0, 1, v4
	buffer_gl0_inv
	v_cndmask_b32_e32 v12, v5, v1, vcc_lo
	v_cndmask_b32_e64 v2, 1, v80, s0
	v_cmp_ne_u32_e64 s0, 2, v4
	s_delay_alu instid0(VALU_DEP_3) | instskip(NEXT) | instid1(VALU_DEP_3)
	v_cmp_ne_u32_e64 s14, 0, v12
	v_cndmask_b32_e32 v13, v80, v2, vcc_lo
	s_delay_alu instid0(VALU_DEP_3) | instskip(SKIP_1) | instid1(VALU_DEP_1)
	v_cndmask_b32_e64 v6, 1, v79, s0
	v_cmp_ne_u32_e64 s0, 14, v4
	v_cndmask_b32_e64 v7, 1, v72, s0
	v_cmp_ne_u32_e64 s0, 3, v4
	s_delay_alu instid0(VALU_DEP_2) | instskip(NEXT) | instid1(VALU_DEP_2)
	v_cndmask_b32_e32 v11, v72, v7, vcc_lo
	v_cndmask_b32_e64 v9, 1, v78, s0
	v_cmp_ne_u32_e64 s0, 4, v4
	s_delay_alu instid0(VALU_DEP_2) | instskip(NEXT) | instid1(VALU_DEP_2)
	v_dual_cndmask_b32 v14, v79, v6 :: v_dual_cndmask_b32 v9, v78, v9
	v_cndmask_b32_e64 v10, 1, v77, s0
	v_cmp_ne_u32_e64 s0, 5, v4
	s_delay_alu instid0(VALU_DEP_3) | instskip(NEXT) | instid1(VALU_DEP_4)
	v_cmp_ne_u32_e64 s12, 0, v14
	v_cmp_ne_u32_e64 s11, 0, v9
	s_delay_alu instid0(VALU_DEP_4) | instskip(NEXT) | instid1(VALU_DEP_4)
	v_cndmask_b32_e32 v10, v77, v10, vcc_lo
	v_cndmask_b32_e64 v1, 1, v76, s0
	v_cmp_ne_u32_e64 s0, 6, v4
	s_delay_alu instid0(VALU_DEP_3) | instskip(NEXT) | instid1(VALU_DEP_3)
	v_cmp_ne_u32_e64 s10, 0, v10
	v_cndmask_b32_e32 v18, v76, v1, vcc_lo
	s_delay_alu instid0(VALU_DEP_3) | instskip(SKIP_1) | instid1(VALU_DEP_3)
	v_cndmask_b32_e64 v2, 1, v75, s0
	v_cmp_eq_u32_e64 s0, 0, v12
	v_cmp_ne_u32_e64 s9, 0, v18
	s_delay_alu instid0(VALU_DEP_3) | instskip(NEXT) | instid1(VALU_DEP_3)
	v_cndmask_b32_e32 v20, v75, v2, vcc_lo
	v_cndmask_b32_e64 v5, 1, 2, s0
	v_cmp_eq_u32_e64 s0, 0, v13
	s_delay_alu instid0(VALU_DEP_3) | instskip(NEXT) | instid1(VALU_DEP_2)
	v_cmp_ne_u32_e64 s8, 0, v20
	v_cndmask_b32_e64 v7, 1, 2, s0
	v_cmp_ne_u32_e64 s0, 7, v4
	s_delay_alu instid0(VALU_DEP_2) | instskip(NEXT) | instid1(VALU_DEP_2)
	v_and_b32_e32 v5, v7, v5
	v_cndmask_b32_e64 v6, 1, v74, s0
	v_cmp_eq_u32_e64 s0, 0, v14
	s_delay_alu instid0(VALU_DEP_2) | instskip(NEXT) | instid1(VALU_DEP_2)
	v_cndmask_b32_e32 v21, v74, v6, vcc_lo
	v_cndmask_b32_e64 v7, 1, 2, s0
	v_cmp_ne_u32_e64 s0, 8, v4
	s_delay_alu instid0(VALU_DEP_3) | instskip(NEXT) | instid1(VALU_DEP_3)
	v_cmp_ne_u32_e64 s7, 0, v21
	v_and_b32_e32 v5, v5, v7
	s_delay_alu instid0(VALU_DEP_3) | instskip(SKIP_1) | instid1(VALU_DEP_2)
	v_cndmask_b32_e64 v15, 1, v73, s0
	v_cmp_ne_u32_e64 s0, 9, v4
	v_cndmask_b32_e32 v15, v73, v15, vcc_lo
	s_delay_alu instid0(VALU_DEP_2) | instskip(SKIP_1) | instid1(VALU_DEP_2)
	v_cndmask_b32_e64 v16, 1, v71, s0
	v_cmp_eq_u32_e64 s0, 0, v9
	v_cndmask_b32_e32 v16, v71, v16, vcc_lo
	s_delay_alu instid0(VALU_DEP_2) | instskip(SKIP_1) | instid1(VALU_DEP_3)
	v_cndmask_b32_e64 v7, 1, 2, s0
	v_cmp_ne_u32_e64 s0, 10, v4
	v_cmp_ne_u32_e64 s5, 0, v16
	s_delay_alu instid0(VALU_DEP_3) | instskip(NEXT) | instid1(VALU_DEP_3)
	v_and_b32_e32 v1, v5, v7
	v_cndmask_b32_e64 v17, 1, v70, s0
	v_cmp_eq_u32_e64 s0, 0, v10
	s_delay_alu instid0(VALU_DEP_2) | instskip(NEXT) | instid1(VALU_DEP_2)
	v_cndmask_b32_e32 v17, v70, v17, vcc_lo
	v_cndmask_b32_e64 v5, 1, 2, s0
	v_cmp_ne_u32_e64 s0, 11, v4
	s_delay_alu instid0(VALU_DEP_3) | instskip(NEXT) | instid1(VALU_DEP_3)
	v_cmp_ne_u32_e64 s4, 0, v17
	v_and_b32_e32 v1, v1, v5
	s_delay_alu instid0(VALU_DEP_3) | instskip(SKIP_1) | instid1(VALU_DEP_2)
	v_cndmask_b32_e64 v7, 1, v69, s0
	v_cmp_ne_u32_e64 s0, 13, v4
	v_cndmask_b32_e32 v23, v69, v7, vcc_lo
	s_delay_alu instid0(VALU_DEP_2) | instskip(SKIP_1) | instid1(VALU_DEP_2)
	v_cndmask_b32_e64 v19, 1, v67, s0
	v_cmp_eq_u32_e64 s0, 0, v18
	v_cndmask_b32_e32 v19, v67, v19, vcc_lo
	s_delay_alu instid0(VALU_DEP_2) | instskip(SKIP_1) | instid1(VALU_DEP_2)
	v_cndmask_b32_e64 v5, 1, 2, s0
	v_cmp_ne_u32_e64 s0, 12, v4
	v_and_b32_e32 v1, v1, v5
	s_delay_alu instid0(VALU_DEP_2) | instskip(SKIP_1) | instid1(VALU_DEP_2)
	v_cndmask_b32_e64 v2, 1, v68, s0
	v_cmp_eq_u32_e64 s0, 0, v20
	v_cndmask_b32_e32 v22, v68, v2, vcc_lo
	s_delay_alu instid0(VALU_DEP_2) | instskip(SKIP_2) | instid1(VALU_DEP_4)
	v_cndmask_b32_e64 v4, 1, 2, s0
	v_cmp_eq_u32_e64 s0, 0, v21
	v_cmp_eq_u32_e32 vcc_lo, 0, v15
	v_cmp_ne_u32_e64 s2, 0, v22
	s_delay_alu instid0(VALU_DEP_4)
	v_and_b32_e32 v6, v1, v4
	v_lshlrev_b64 v[1:2], 2, v[65:66]
	v_cndmask_b32_e64 v7, 1, 2, s0
	v_lshlrev_b64 v[4:5], 2, v[31:32]
	v_cmp_ne_u32_e64 s13, 0, v13
	v_cmp_ne_u32_e64 s0, 0, v11
	s_delay_alu instid0(VALU_DEP_4) | instskip(SKIP_4) | instid1(VALU_DEP_4)
	v_and_b32_e32 v6, v6, v7
	v_cndmask_b32_e64 v7, 1, 2, vcc_lo
	v_add_co_u32 v1, vcc_lo, s28, v1
	v_add_co_ci_u32_e32 v2, vcc_lo, s29, v2, vcc_lo
	v_cmp_eq_u32_e32 vcc_lo, 0, v16
	v_and_b32_e32 v6, v6, v7
	v_cndmask_b32_e64 v7, 1, 2, vcc_lo
	v_add_co_u32 v4, vcc_lo, v1, v4
	v_add_co_ci_u32_e32 v5, vcc_lo, v2, v5, vcc_lo
	v_lshlrev_b32_e32 v1, 2, v8
	v_cmp_eq_u32_e32 vcc_lo, 0, v17
	v_and_b32_e32 v2, v6, v7
	v_cndmask_b32_e64 v6, 1, 2, vcc_lo
	s_delay_alu instid0(VALU_DEP_4) | instskip(SKIP_1) | instid1(VALU_DEP_3)
	v_add_co_u32 v1, vcc_lo, v1, v4
	v_add_co_ci_u32_e32 v7, vcc_lo, 0, v5, vcc_lo
	v_and_b32_e32 v2, v2, v6
	v_cmp_eq_u32_e32 vcc_lo, 0, v23
	v_cmp_ne_u32_e64 s1, 0, v19
	v_cndmask_b32_e64 v24, 1, 2, vcc_lo
	v_add_co_u32 v6, vcc_lo, v1, -4
	v_add_co_ci_u32_e32 v7, vcc_lo, -1, v7, vcc_lo
	v_cmp_eq_u32_e32 vcc_lo, 0, v22
	v_add_nc_u32_e32 v1, v31, v8
	v_and_b32_e32 v2, v2, v24
	v_cmp_ne_u32_e64 s3, 0, v23
	v_cndmask_b32_e64 v8, 1, 2, vcc_lo
	v_cmp_eq_u32_e32 vcc_lo, 0, v19
	s_delay_alu instid0(VALU_DEP_2) | instskip(SKIP_3) | instid1(VALU_DEP_3)
	v_and_b32_e32 v2, v2, v8
	v_cndmask_b32_e64 v8, 1, 2, vcc_lo
	v_cmp_eq_u32_e32 vcc_lo, 0, v11
	v_cmp_ne_u32_e64 s6, 0, v15
	v_and_b32_e32 v2, v2, v8
	v_cndmask_b32_e64 v8, 1, 2, vcc_lo
	v_cmp_gt_u32_e32 vcc_lo, 0x100, v3
	s_delay_alu instid0(VALU_DEP_2) | instskip(NEXT) | instid1(VALU_DEP_1)
	v_and_b32_e32 v2, v2, v8
	v_cmp_gt_i16_e64 s15, 2, v2
	s_cbranch_vccz .LBB731_225
; %bb.209:
	s_delay_alu instid0(VALU_DEP_1)
	s_and_saveexec_b32 s16, s15
	s_cbranch_execz .LBB731_263
; %bb.210:
	s_mov_b32 s18, 0
	s_mov_b32 s15, exec_lo
	v_cmpx_ne_u16_e32 1, v2
	s_xor_b32 s15, exec_lo, s15
	s_cbranch_execz .LBB731_242
; %bb.211:
	s_and_saveexec_b32 s18, s14
	s_cbranch_execz .LBB731_246
; %bb.212:
	v_sub_nc_u32_e32 v8, v55, v1
	v_mov_b32_e32 v9, 0
	s_delay_alu instid0(VALU_DEP_1) | instskip(NEXT) | instid1(VALU_DEP_1)
	v_lshlrev_b64 v[8:9], 2, v[8:9]
	v_add_co_u32 v8, vcc_lo, v6, v8
	s_delay_alu instid0(VALU_DEP_2)
	v_add_co_ci_u32_e32 v9, vcc_lo, v7, v9, vcc_lo
	global_store_b32 v[8:9], v56, off
	s_or_b32 exec_lo, exec_lo, s18
	s_and_saveexec_b32 s18, s13
	s_cbranch_execnz .LBB731_247
.LBB731_213:
	s_or_b32 exec_lo, exec_lo, s18
	s_and_saveexec_b32 s18, s12
	s_cbranch_execz .LBB731_248
.LBB731_214:
	v_sub_nc_u32_e32 v8, v57, v1
	v_mov_b32_e32 v9, 0
	s_delay_alu instid0(VALU_DEP_1) | instskip(NEXT) | instid1(VALU_DEP_1)
	v_lshlrev_b64 v[8:9], 2, v[8:9]
	v_add_co_u32 v8, vcc_lo, v6, v8
	s_delay_alu instid0(VALU_DEP_2)
	v_add_co_ci_u32_e32 v9, vcc_lo, v7, v9, vcc_lo
	global_store_b32 v[8:9], v58, off
	s_or_b32 exec_lo, exec_lo, s18
	s_and_saveexec_b32 s18, s11
	s_cbranch_execnz .LBB731_249
.LBB731_215:
	s_or_b32 exec_lo, exec_lo, s18
	s_and_saveexec_b32 s18, s10
	s_cbranch_execz .LBB731_250
.LBB731_216:
	v_sub_nc_u32_e32 v8, v47, v1
	v_mov_b32_e32 v9, 0
	s_delay_alu instid0(VALU_DEP_1) | instskip(NEXT) | instid1(VALU_DEP_1)
	v_lshlrev_b64 v[8:9], 2, v[8:9]
	v_add_co_u32 v8, vcc_lo, v6, v8
	s_delay_alu instid0(VALU_DEP_2)
	v_add_co_ci_u32_e32 v9, vcc_lo, v7, v9, vcc_lo
	global_store_b32 v[8:9], v48, off
	s_or_b32 exec_lo, exec_lo, s18
	s_and_saveexec_b32 s18, s9
	s_cbranch_execnz .LBB731_251
.LBB731_217:
	s_or_b32 exec_lo, exec_lo, s18
	s_and_saveexec_b32 s18, s8
	s_cbranch_execz .LBB731_252
.LBB731_218:
	v_sub_nc_u32_e32 v8, v41, v1
	v_mov_b32_e32 v9, 0
	s_delay_alu instid0(VALU_DEP_1) | instskip(NEXT) | instid1(VALU_DEP_1)
	v_lshlrev_b64 v[8:9], 2, v[8:9]
	v_add_co_u32 v8, vcc_lo, v6, v8
	s_delay_alu instid0(VALU_DEP_2)
	v_add_co_ci_u32_e32 v9, vcc_lo, v7, v9, vcc_lo
	global_store_b32 v[8:9], v42, off
	s_or_b32 exec_lo, exec_lo, s18
	s_and_saveexec_b32 s18, s7
	s_cbranch_execnz .LBB731_253
.LBB731_219:
	s_or_b32 exec_lo, exec_lo, s18
	s_and_saveexec_b32 s18, s6
	s_cbranch_execz .LBB731_254
.LBB731_220:
	v_sub_nc_u32_e32 v8, v49, v1
	v_mov_b32_e32 v9, 0
	s_delay_alu instid0(VALU_DEP_1) | instskip(NEXT) | instid1(VALU_DEP_1)
	v_lshlrev_b64 v[8:9], 2, v[8:9]
	v_add_co_u32 v8, vcc_lo, v6, v8
	s_delay_alu instid0(VALU_DEP_2)
	v_add_co_ci_u32_e32 v9, vcc_lo, v7, v9, vcc_lo
	global_store_b32 v[8:9], v50, off
	s_or_b32 exec_lo, exec_lo, s18
	s_and_saveexec_b32 s18, s5
	s_cbranch_execnz .LBB731_255
.LBB731_221:
	s_or_b32 exec_lo, exec_lo, s18
	s_and_saveexec_b32 s18, s4
	s_cbranch_execz .LBB731_256
.LBB731_222:
	v_sub_nc_u32_e32 v8, v35, v1
	v_mov_b32_e32 v9, 0
	s_delay_alu instid0(VALU_DEP_1) | instskip(NEXT) | instid1(VALU_DEP_1)
	v_lshlrev_b64 v[8:9], 2, v[8:9]
	v_add_co_u32 v8, vcc_lo, v6, v8
	s_delay_alu instid0(VALU_DEP_2)
	v_add_co_ci_u32_e32 v9, vcc_lo, v7, v9, vcc_lo
	global_store_b32 v[8:9], v36, off
	s_or_b32 exec_lo, exec_lo, s18
	s_and_saveexec_b32 s18, s3
	s_cbranch_execnz .LBB731_257
.LBB731_223:
	s_or_b32 exec_lo, exec_lo, s18
	s_and_saveexec_b32 s18, s2
	s_cbranch_execz .LBB731_258
.LBB731_224:
	v_sub_nc_u32_e32 v8, v63, v1
	v_mov_b32_e32 v9, 0
	s_delay_alu instid0(VALU_DEP_1) | instskip(NEXT) | instid1(VALU_DEP_1)
	v_lshlrev_b64 v[8:9], 2, v[8:9]
	v_add_co_u32 v8, vcc_lo, v6, v8
	s_delay_alu instid0(VALU_DEP_2)
	v_add_co_ci_u32_e32 v9, vcc_lo, v7, v9, vcc_lo
	global_store_b32 v[8:9], v64, off
	s_or_b32 exec_lo, exec_lo, s18
	s_and_saveexec_b32 s18, s1
	s_cbranch_execnz .LBB731_259
	s_branch .LBB731_260
.LBB731_225:
	s_and_b32 vcc_lo, exec_lo, s16
	s_cbranch_vccz .LBB731_264
; %bb.226:
	s_mov_b32 s15, exec_lo
	v_cmpx_gt_i16_e32 2, v2
	s_cbranch_execz .LBB731_282
; %bb.227:
	s_mov_b32 s18, 0
	s_mov_b32 s16, exec_lo
	v_cmpx_ne_u16_e32 1, v2
	s_xor_b32 s16, exec_lo, s16
	s_cbranch_execz .LBB731_244
; %bb.228:
	s_and_saveexec_b32 s18, s14
	s_cbranch_execz .LBB731_265
; %bb.229:
	v_sub_nc_u32_e32 v2, v55, v1
	s_delay_alu instid0(VALU_DEP_1)
	v_lshlrev_b32_e32 v2, 2, v2
	ds_store_b32 v2, v56
	s_or_b32 exec_lo, exec_lo, s18
	s_and_saveexec_b32 s14, s13
	s_cbranch_execnz .LBB731_266
.LBB731_230:
	s_or_b32 exec_lo, exec_lo, s14
	s_and_saveexec_b32 s13, s12
	s_cbranch_execz .LBB731_267
.LBB731_231:
	v_sub_nc_u32_e32 v2, v57, v1
	s_delay_alu instid0(VALU_DEP_1)
	v_lshlrev_b32_e32 v2, 2, v2
	ds_store_b32 v2, v58
	s_or_b32 exec_lo, exec_lo, s13
	s_and_saveexec_b32 s12, s11
	s_cbranch_execnz .LBB731_268
.LBB731_232:
	s_or_b32 exec_lo, exec_lo, s12
	s_and_saveexec_b32 s11, s10
	s_cbranch_execz .LBB731_269
.LBB731_233:
	v_sub_nc_u32_e32 v2, v47, v1
	s_delay_alu instid0(VALU_DEP_1)
	v_lshlrev_b32_e32 v2, 2, v2
	ds_store_b32 v2, v48
	s_or_b32 exec_lo, exec_lo, s11
	s_and_saveexec_b32 s10, s9
	s_cbranch_execnz .LBB731_270
.LBB731_234:
	s_or_b32 exec_lo, exec_lo, s10
	s_and_saveexec_b32 s9, s8
	s_cbranch_execz .LBB731_271
.LBB731_235:
	v_sub_nc_u32_e32 v2, v41, v1
	s_delay_alu instid0(VALU_DEP_1)
	v_lshlrev_b32_e32 v2, 2, v2
	ds_store_b32 v2, v42
	s_or_b32 exec_lo, exec_lo, s9
	s_and_saveexec_b32 s8, s7
	s_cbranch_execnz .LBB731_272
.LBB731_236:
	s_or_b32 exec_lo, exec_lo, s8
	s_and_saveexec_b32 s7, s6
	s_cbranch_execz .LBB731_273
.LBB731_237:
	v_sub_nc_u32_e32 v2, v49, v1
	s_delay_alu instid0(VALU_DEP_1)
	v_lshlrev_b32_e32 v2, 2, v2
	ds_store_b32 v2, v50
	s_or_b32 exec_lo, exec_lo, s7
	s_and_saveexec_b32 s6, s5
	s_cbranch_execnz .LBB731_274
.LBB731_238:
	s_or_b32 exec_lo, exec_lo, s6
	s_and_saveexec_b32 s5, s4
	s_cbranch_execz .LBB731_275
.LBB731_239:
	v_sub_nc_u32_e32 v2, v35, v1
	s_delay_alu instid0(VALU_DEP_1)
	v_lshlrev_b32_e32 v2, 2, v2
	ds_store_b32 v2, v36
	s_or_b32 exec_lo, exec_lo, s5
	s_and_saveexec_b32 s4, s3
	s_cbranch_execnz .LBB731_276
.LBB731_240:
	s_or_b32 exec_lo, exec_lo, s4
	s_and_saveexec_b32 s3, s2
	s_cbranch_execz .LBB731_277
.LBB731_241:
	v_sub_nc_u32_e32 v2, v63, v1
	s_delay_alu instid0(VALU_DEP_1)
	v_lshlrev_b32_e32 v2, 2, v2
	ds_store_b32 v2, v64
	s_or_b32 exec_lo, exec_lo, s3
	s_and_saveexec_b32 s2, s1
	s_cbranch_execnz .LBB731_278
	s_branch .LBB731_279
.LBB731_242:
	s_and_not1_saveexec_b32 s15, s15
	s_cbranch_execz .LBB731_261
.LBB731_243:
	v_sub_nc_u32_e32 v8, v55, v1
	v_mov_b32_e32 v9, 0
	s_or_b32 s18, s18, exec_lo
	s_delay_alu instid0(VALU_DEP_1) | instskip(SKIP_1) | instid1(VALU_DEP_1)
	v_lshlrev_b64 v[10:11], 2, v[8:9]
	v_sub_nc_u32_e32 v8, v61, v1
	v_lshlrev_b64 v[12:13], 2, v[8:9]
	v_sub_nc_u32_e32 v8, v57, v1
	s_delay_alu instid0(VALU_DEP_4) | instskip(SKIP_1) | instid1(VALU_DEP_3)
	v_add_co_u32 v10, vcc_lo, v6, v10
	v_add_co_ci_u32_e32 v11, vcc_lo, v7, v11, vcc_lo
	v_lshlrev_b64 v[14:15], 2, v[8:9]
	v_sub_nc_u32_e32 v8, v53, v1
	v_add_co_u32 v12, vcc_lo, v6, v12
	v_add_co_ci_u32_e32 v13, vcc_lo, v7, v13, vcc_lo
	global_store_b32 v[10:11], v56, off
	v_lshlrev_b64 v[10:11], 2, v[8:9]
	v_sub_nc_u32_e32 v8, v47, v1
	global_store_b32 v[12:13], v62, off
	v_add_co_u32 v12, vcc_lo, v6, v14
	v_add_co_ci_u32_e32 v13, vcc_lo, v7, v15, vcc_lo
	v_lshlrev_b64 v[14:15], 2, v[8:9]
	v_sub_nc_u32_e32 v8, v43, v1
	v_add_co_u32 v10, vcc_lo, v6, v10
	v_add_co_ci_u32_e32 v11, vcc_lo, v7, v11, vcc_lo
	s_delay_alu instid0(VALU_DEP_3) | instskip(SKIP_3) | instid1(VALU_DEP_3)
	v_lshlrev_b64 v[16:17], 2, v[8:9]
	v_sub_nc_u32_e32 v8, v41, v1
	v_add_co_u32 v14, vcc_lo, v6, v14
	v_add_co_ci_u32_e32 v15, vcc_lo, v7, v15, vcc_lo
	v_lshlrev_b64 v[18:19], 2, v[8:9]
	v_sub_nc_u32_e32 v8, v45, v1
	v_add_co_u32 v16, vcc_lo, v6, v16
	v_add_co_ci_u32_e32 v17, vcc_lo, v7, v17, vcc_lo
	s_clause 0x3
	global_store_b32 v[12:13], v58, off
	global_store_b32 v[10:11], v54, off
	;; [unrolled: 1-line block ×4, first 2 shown]
	v_lshlrev_b64 v[10:11], 2, v[8:9]
	v_sub_nc_u32_e32 v8, v49, v1
	v_add_co_u32 v12, vcc_lo, v6, v18
	v_add_co_ci_u32_e32 v13, vcc_lo, v7, v19, vcc_lo
	s_delay_alu instid0(VALU_DEP_3) | instskip(SKIP_3) | instid1(VALU_DEP_3)
	v_lshlrev_b64 v[14:15], 2, v[8:9]
	v_sub_nc_u32_e32 v8, v33, v1
	v_add_co_u32 v10, vcc_lo, v6, v10
	v_add_co_ci_u32_e32 v11, vcc_lo, v7, v11, vcc_lo
	v_lshlrev_b64 v[16:17], 2, v[8:9]
	v_sub_nc_u32_e32 v8, v35, v1
	v_add_co_u32 v14, vcc_lo, v6, v14
	v_add_co_ci_u32_e32 v15, vcc_lo, v7, v15, vcc_lo
	s_delay_alu instid0(VALU_DEP_3)
	v_lshlrev_b64 v[18:19], 2, v[8:9]
	v_sub_nc_u32_e32 v8, v39, v1
	v_add_co_u32 v16, vcc_lo, v6, v16
	v_add_co_ci_u32_e32 v17, vcc_lo, v7, v17, vcc_lo
	s_clause 0x3
	global_store_b32 v[12:13], v42, off
	global_store_b32 v[10:11], v46, off
	;; [unrolled: 1-line block ×4, first 2 shown]
	v_lshlrev_b64 v[10:11], 2, v[8:9]
	v_sub_nc_u32_e32 v8, v63, v1
	v_add_co_u32 v12, vcc_lo, v6, v18
	v_add_co_ci_u32_e32 v13, vcc_lo, v7, v19, vcc_lo
	s_delay_alu instid0(VALU_DEP_3) | instskip(SKIP_3) | instid1(VALU_DEP_3)
	v_lshlrev_b64 v[14:15], 2, v[8:9]
	v_sub_nc_u32_e32 v8, v59, v1
	v_add_co_u32 v10, vcc_lo, v6, v10
	v_add_co_ci_u32_e32 v11, vcc_lo, v7, v11, vcc_lo
	v_lshlrev_b64 v[8:9], 2, v[8:9]
	v_add_co_u32 v14, vcc_lo, v6, v14
	v_add_co_ci_u32_e32 v15, vcc_lo, v7, v15, vcc_lo
	s_clause 0x2
	global_store_b32 v[12:13], v36, off
	global_store_b32 v[10:11], v40, off
	;; [unrolled: 1-line block ×3, first 2 shown]
	v_add_co_u32 v8, vcc_lo, v6, v8
	v_add_co_ci_u32_e32 v9, vcc_lo, v7, v9, vcc_lo
	global_store_b32 v[8:9], v60, off
	s_or_b32 exec_lo, exec_lo, s15
	s_delay_alu instid0(SALU_CYCLE_1)
	s_and_b32 exec_lo, exec_lo, s18
	s_cbranch_execnz .LBB731_262
	s_branch .LBB731_263
.LBB731_244:
	s_and_not1_saveexec_b32 s0, s16
	s_cbranch_execz .LBB731_280
.LBB731_245:
	v_sub_nc_u32_e32 v2, v55, v1
	v_sub_nc_u32_e32 v8, v61, v1
	;; [unrolled: 1-line block ×5, first 2 shown]
	v_lshlrev_b32_e32 v2, 2, v2
	v_lshlrev_b32_e32 v8, 2, v8
	;; [unrolled: 1-line block ×4, first 2 shown]
	s_or_b32 s18, s18, exec_lo
	ds_store_b32 v2, v56
	ds_store_b32 v8, v62
	;; [unrolled: 1-line block ×3, first 2 shown]
	v_sub_nc_u32_e32 v2, v47, v1
	v_sub_nc_u32_e32 v8, v43, v1
	;; [unrolled: 1-line block ×3, first 2 shown]
	ds_store_b32 v10, v54
	v_sub_nc_u32_e32 v10, v45, v1
	v_lshlrev_b32_e32 v2, 2, v2
	v_lshlrev_b32_e32 v8, 2, v8
	;; [unrolled: 1-line block ×3, first 2 shown]
	s_delay_alu instid0(VALU_DEP_4)
	v_lshlrev_b32_e32 v10, 2, v10
	ds_store_b32 v2, v48
	v_lshlrev_b32_e32 v2, 2, v11
	ds_store_b32 v8, v44
	ds_store_b32 v9, v42
	;; [unrolled: 1-line block ×3, first 2 shown]
	v_sub_nc_u32_e32 v8, v33, v1
	v_sub_nc_u32_e32 v11, v59, v1
	;; [unrolled: 1-line block ×3, first 2 shown]
	ds_store_b32 v2, v50
	v_sub_nc_u32_e32 v2, v35, v1
	v_lshlrev_b32_e32 v8, 2, v8
	v_sub_nc_u32_e32 v10, v63, v1
	v_lshlrev_b32_e32 v9, 2, v9
	s_delay_alu instid0(VALU_DEP_4)
	v_lshlrev_b32_e32 v2, 2, v2
	ds_store_b32 v8, v34
	v_lshlrev_b32_e32 v8, 2, v11
	v_lshlrev_b32_e32 v10, 2, v10
	ds_store_b32 v2, v36
	ds_store_b32 v9, v40
	ds_store_b32 v10, v64
	ds_store_b32 v8, v60
	s_or_b32 exec_lo, exec_lo, s0
	s_delay_alu instid0(SALU_CYCLE_1)
	s_and_b32 exec_lo, exec_lo, s18
	s_cbranch_execnz .LBB731_281
	s_branch .LBB731_282
.LBB731_246:
	s_or_b32 exec_lo, exec_lo, s18
	s_and_saveexec_b32 s18, s13
	s_cbranch_execz .LBB731_213
.LBB731_247:
	v_sub_nc_u32_e32 v8, v61, v1
	v_mov_b32_e32 v9, 0
	s_delay_alu instid0(VALU_DEP_1) | instskip(NEXT) | instid1(VALU_DEP_1)
	v_lshlrev_b64 v[8:9], 2, v[8:9]
	v_add_co_u32 v8, vcc_lo, v6, v8
	s_delay_alu instid0(VALU_DEP_2)
	v_add_co_ci_u32_e32 v9, vcc_lo, v7, v9, vcc_lo
	global_store_b32 v[8:9], v62, off
	s_or_b32 exec_lo, exec_lo, s18
	s_and_saveexec_b32 s18, s12
	s_cbranch_execnz .LBB731_214
.LBB731_248:
	s_or_b32 exec_lo, exec_lo, s18
	s_and_saveexec_b32 s18, s11
	s_cbranch_execz .LBB731_215
.LBB731_249:
	v_sub_nc_u32_e32 v8, v53, v1
	v_mov_b32_e32 v9, 0
	s_delay_alu instid0(VALU_DEP_1) | instskip(NEXT) | instid1(VALU_DEP_1)
	v_lshlrev_b64 v[8:9], 2, v[8:9]
	v_add_co_u32 v8, vcc_lo, v6, v8
	s_delay_alu instid0(VALU_DEP_2)
	v_add_co_ci_u32_e32 v9, vcc_lo, v7, v9, vcc_lo
	global_store_b32 v[8:9], v54, off
	s_or_b32 exec_lo, exec_lo, s18
	s_and_saveexec_b32 s18, s10
	s_cbranch_execnz .LBB731_216
.LBB731_250:
	s_or_b32 exec_lo, exec_lo, s18
	s_and_saveexec_b32 s18, s9
	s_cbranch_execz .LBB731_217
.LBB731_251:
	v_sub_nc_u32_e32 v8, v43, v1
	v_mov_b32_e32 v9, 0
	s_delay_alu instid0(VALU_DEP_1) | instskip(NEXT) | instid1(VALU_DEP_1)
	v_lshlrev_b64 v[8:9], 2, v[8:9]
	v_add_co_u32 v8, vcc_lo, v6, v8
	s_delay_alu instid0(VALU_DEP_2)
	v_add_co_ci_u32_e32 v9, vcc_lo, v7, v9, vcc_lo
	global_store_b32 v[8:9], v44, off
	s_or_b32 exec_lo, exec_lo, s18
	s_and_saveexec_b32 s18, s8
	s_cbranch_execnz .LBB731_218
.LBB731_252:
	s_or_b32 exec_lo, exec_lo, s18
	s_and_saveexec_b32 s18, s7
	s_cbranch_execz .LBB731_219
.LBB731_253:
	v_sub_nc_u32_e32 v8, v45, v1
	v_mov_b32_e32 v9, 0
	s_delay_alu instid0(VALU_DEP_1) | instskip(NEXT) | instid1(VALU_DEP_1)
	v_lshlrev_b64 v[8:9], 2, v[8:9]
	v_add_co_u32 v8, vcc_lo, v6, v8
	s_delay_alu instid0(VALU_DEP_2)
	v_add_co_ci_u32_e32 v9, vcc_lo, v7, v9, vcc_lo
	global_store_b32 v[8:9], v46, off
	s_or_b32 exec_lo, exec_lo, s18
	s_and_saveexec_b32 s18, s6
	s_cbranch_execnz .LBB731_220
.LBB731_254:
	s_or_b32 exec_lo, exec_lo, s18
	s_and_saveexec_b32 s18, s5
	s_cbranch_execz .LBB731_221
.LBB731_255:
	v_sub_nc_u32_e32 v8, v33, v1
	v_mov_b32_e32 v9, 0
	s_delay_alu instid0(VALU_DEP_1) | instskip(NEXT) | instid1(VALU_DEP_1)
	v_lshlrev_b64 v[8:9], 2, v[8:9]
	v_add_co_u32 v8, vcc_lo, v6, v8
	s_delay_alu instid0(VALU_DEP_2)
	v_add_co_ci_u32_e32 v9, vcc_lo, v7, v9, vcc_lo
	global_store_b32 v[8:9], v34, off
	s_or_b32 exec_lo, exec_lo, s18
	s_and_saveexec_b32 s18, s4
	s_cbranch_execnz .LBB731_222
.LBB731_256:
	s_or_b32 exec_lo, exec_lo, s18
	s_and_saveexec_b32 s18, s3
	s_cbranch_execz .LBB731_223
.LBB731_257:
	v_sub_nc_u32_e32 v8, v39, v1
	v_mov_b32_e32 v9, 0
	s_delay_alu instid0(VALU_DEP_1) | instskip(NEXT) | instid1(VALU_DEP_1)
	v_lshlrev_b64 v[8:9], 2, v[8:9]
	v_add_co_u32 v8, vcc_lo, v6, v8
	s_delay_alu instid0(VALU_DEP_2)
	v_add_co_ci_u32_e32 v9, vcc_lo, v7, v9, vcc_lo
	global_store_b32 v[8:9], v40, off
	s_or_b32 exec_lo, exec_lo, s18
	s_and_saveexec_b32 s18, s2
	s_cbranch_execnz .LBB731_224
.LBB731_258:
	s_or_b32 exec_lo, exec_lo, s18
	s_and_saveexec_b32 s18, s1
	s_cbranch_execz .LBB731_260
.LBB731_259:
	v_sub_nc_u32_e32 v8, v59, v1
	v_mov_b32_e32 v9, 0
	s_delay_alu instid0(VALU_DEP_1) | instskip(NEXT) | instid1(VALU_DEP_1)
	v_lshlrev_b64 v[8:9], 2, v[8:9]
	v_add_co_u32 v8, vcc_lo, v6, v8
	s_delay_alu instid0(VALU_DEP_2)
	v_add_co_ci_u32_e32 v9, vcc_lo, v7, v9, vcc_lo
	global_store_b32 v[8:9], v60, off
.LBB731_260:
	s_or_b32 exec_lo, exec_lo, s18
	s_delay_alu instid0(SALU_CYCLE_1)
	s_and_b32 s18, s0, exec_lo
	s_and_not1_saveexec_b32 s15, s15
	s_cbranch_execnz .LBB731_243
.LBB731_261:
	s_or_b32 exec_lo, exec_lo, s15
	s_delay_alu instid0(SALU_CYCLE_1)
	s_and_b32 exec_lo, exec_lo, s18
	s_cbranch_execz .LBB731_263
.LBB731_262:
	v_sub_nc_u32_e32 v8, v51, v1
	v_mov_b32_e32 v9, 0
	s_delay_alu instid0(VALU_DEP_1) | instskip(NEXT) | instid1(VALU_DEP_1)
	v_lshlrev_b64 v[8:9], 2, v[8:9]
	v_add_co_u32 v8, vcc_lo, v6, v8
	s_delay_alu instid0(VALU_DEP_2)
	v_add_co_ci_u32_e32 v9, vcc_lo, v7, v9, vcc_lo
	global_store_b32 v[8:9], v52, off
.LBB731_263:
	s_or_b32 exec_lo, exec_lo, s16
.LBB731_264:
	v_cmp_eq_u32_e32 vcc_lo, 0xff, v0
	s_and_b32 s0, vcc_lo, s17
	s_delay_alu instid0(SALU_CYCLE_1)
	s_and_saveexec_b32 s1, s0
	s_cbranch_execnz .LBB731_286
	s_branch .LBB731_288
.LBB731_265:
	s_or_b32 exec_lo, exec_lo, s18
	s_and_saveexec_b32 s14, s13
	s_cbranch_execz .LBB731_230
.LBB731_266:
	v_sub_nc_u32_e32 v2, v61, v1
	s_delay_alu instid0(VALU_DEP_1)
	v_lshlrev_b32_e32 v2, 2, v2
	ds_store_b32 v2, v62
	s_or_b32 exec_lo, exec_lo, s14
	s_and_saveexec_b32 s13, s12
	s_cbranch_execnz .LBB731_231
.LBB731_267:
	s_or_b32 exec_lo, exec_lo, s13
	s_and_saveexec_b32 s12, s11
	s_cbranch_execz .LBB731_232
.LBB731_268:
	v_sub_nc_u32_e32 v2, v53, v1
	s_delay_alu instid0(VALU_DEP_1)
	v_lshlrev_b32_e32 v2, 2, v2
	ds_store_b32 v2, v54
	s_or_b32 exec_lo, exec_lo, s12
	s_and_saveexec_b32 s11, s10
	s_cbranch_execnz .LBB731_233
.LBB731_269:
	s_or_b32 exec_lo, exec_lo, s11
	s_and_saveexec_b32 s10, s9
	s_cbranch_execz .LBB731_234
.LBB731_270:
	v_sub_nc_u32_e32 v2, v43, v1
	s_delay_alu instid0(VALU_DEP_1)
	v_lshlrev_b32_e32 v2, 2, v2
	ds_store_b32 v2, v44
	s_or_b32 exec_lo, exec_lo, s10
	s_and_saveexec_b32 s9, s8
	s_cbranch_execnz .LBB731_235
.LBB731_271:
	s_or_b32 exec_lo, exec_lo, s9
	s_and_saveexec_b32 s8, s7
	s_cbranch_execz .LBB731_236
.LBB731_272:
	v_sub_nc_u32_e32 v2, v45, v1
	s_delay_alu instid0(VALU_DEP_1)
	v_lshlrev_b32_e32 v2, 2, v2
	ds_store_b32 v2, v46
	s_or_b32 exec_lo, exec_lo, s8
	s_and_saveexec_b32 s7, s6
	s_cbranch_execnz .LBB731_237
.LBB731_273:
	s_or_b32 exec_lo, exec_lo, s7
	s_and_saveexec_b32 s6, s5
	s_cbranch_execz .LBB731_238
.LBB731_274:
	v_sub_nc_u32_e32 v2, v33, v1
	s_delay_alu instid0(VALU_DEP_1)
	v_lshlrev_b32_e32 v2, 2, v2
	ds_store_b32 v2, v34
	s_or_b32 exec_lo, exec_lo, s6
	s_and_saveexec_b32 s5, s4
	s_cbranch_execnz .LBB731_239
.LBB731_275:
	s_or_b32 exec_lo, exec_lo, s5
	s_and_saveexec_b32 s4, s3
	s_cbranch_execz .LBB731_240
.LBB731_276:
	v_sub_nc_u32_e32 v2, v39, v1
	s_delay_alu instid0(VALU_DEP_1)
	v_lshlrev_b32_e32 v2, 2, v2
	ds_store_b32 v2, v40
	s_or_b32 exec_lo, exec_lo, s4
	s_and_saveexec_b32 s3, s2
	s_cbranch_execnz .LBB731_241
.LBB731_277:
	s_or_b32 exec_lo, exec_lo, s3
	s_and_saveexec_b32 s2, s1
	s_cbranch_execz .LBB731_279
.LBB731_278:
	v_sub_nc_u32_e32 v2, v59, v1
	s_delay_alu instid0(VALU_DEP_1)
	v_lshlrev_b32_e32 v2, 2, v2
	ds_store_b32 v2, v60
.LBB731_279:
	s_or_b32 exec_lo, exec_lo, s2
	s_delay_alu instid0(SALU_CYCLE_1)
	s_and_b32 s18, s0, exec_lo
                                        ; implicit-def: $vgpr55_vgpr56
                                        ; implicit-def: $vgpr61_vgpr62
                                        ; implicit-def: $vgpr57_vgpr58
                                        ; implicit-def: $vgpr53_vgpr54
                                        ; implicit-def: $vgpr47_vgpr48
                                        ; implicit-def: $vgpr43_vgpr44
                                        ; implicit-def: $vgpr41_vgpr42
                                        ; implicit-def: $vgpr45_vgpr46
                                        ; implicit-def: $vgpr49_vgpr50
                                        ; implicit-def: $vgpr33_vgpr34
                                        ; implicit-def: $vgpr35_vgpr36
                                        ; implicit-def: $vgpr39_vgpr40
                                        ; implicit-def: $vgpr63_vgpr64
                                        ; implicit-def: $vgpr59_vgpr60
	s_and_not1_saveexec_b32 s0, s16
	s_cbranch_execnz .LBB731_245
.LBB731_280:
	s_or_b32 exec_lo, exec_lo, s0
	s_delay_alu instid0(SALU_CYCLE_1)
	s_and_b32 exec_lo, exec_lo, s18
	s_cbranch_execz .LBB731_282
.LBB731_281:
	v_sub_nc_u32_e32 v1, v51, v1
	s_delay_alu instid0(VALU_DEP_1)
	v_lshlrev_b32_e32 v1, 2, v1
	ds_store_b32 v1, v52
.LBB731_282:
	s_or_b32 exec_lo, exec_lo, s15
	s_delay_alu instid0(SALU_CYCLE_1)
	s_mov_b32 s1, exec_lo
	s_waitcnt lgkmcnt(0)
	s_waitcnt_vscnt null, 0x0
	s_barrier
	buffer_gl0_inv
	v_cmpx_lt_u32_e64 v0, v3
	s_cbranch_execz .LBB731_285
; %bb.283:
	v_dual_mov_b32 v1, v0 :: v_dual_lshlrev_b32 v8, 2, v0
	v_mov_b32_e32 v2, 0
	s_mov_b32 s2, 0
	.p2align	6
.LBB731_284:                            ; =>This Inner Loop Header: Depth=1
	ds_load_b32 v11, v8
	v_lshlrev_b64 v[9:10], 2, v[1:2]
	v_add_nc_u32_e32 v1, 0x100, v1
	v_add_nc_u32_e32 v8, 0x400, v8
	s_delay_alu instid0(VALU_DEP_2) | instskip(NEXT) | instid1(VALU_DEP_4)
	v_cmp_ge_u32_e32 vcc_lo, v1, v3
	v_add_co_u32 v9, s0, v6, v9
	s_delay_alu instid0(VALU_DEP_1)
	v_add_co_ci_u32_e64 v10, s0, v7, v10, s0
	s_or_b32 s2, vcc_lo, s2
	s_waitcnt lgkmcnt(0)
	global_store_b32 v[9:10], v11, off
	s_and_not1_b32 exec_lo, exec_lo, s2
	s_cbranch_execnz .LBB731_284
.LBB731_285:
	s_or_b32 exec_lo, exec_lo, s1
	v_cmp_eq_u32_e32 vcc_lo, 0xff, v0
	s_and_b32 s0, vcc_lo, s17
	s_delay_alu instid0(SALU_CYCLE_1)
	s_and_saveexec_b32 s1, s0
	s_cbranch_execz .LBB731_288
.LBB731_286:
	v_add_co_u32 v0, s0, v29, v31
	s_delay_alu instid0(VALU_DEP_1) | instskip(SKIP_1) | instid1(VALU_DEP_3)
	v_add_co_ci_u32_e64 v1, null, 0, 0, s0
	v_mov_b32_e32 v30, 0
	v_add_co_u32 v0, vcc_lo, v0, v65
	s_delay_alu instid0(VALU_DEP_3)
	v_add_co_ci_u32_e32 v1, vcc_lo, v1, v66, vcc_lo
	s_cmpk_lg_i32 s26, 0xf00
	global_store_b64 v30, v[0:1], s[30:31]
	s_cbranch_scc1 .LBB731_288
; %bb.287:
	v_lshlrev_b64 v[0:1], 2, v[29:30]
	s_delay_alu instid0(VALU_DEP_1) | instskip(NEXT) | instid1(VALU_DEP_2)
	v_add_co_u32 v0, vcc_lo, v4, v0
	v_add_co_ci_u32_e32 v1, vcc_lo, v5, v1, vcc_lo
	global_store_b32 v[0:1], v94, off offset:-4
	s_nop 0
	s_sendmsg sendmsg(MSG_DEALLOC_VGPRS)
	s_endpgm
.LBB731_288:
	s_nop 0
	s_sendmsg sendmsg(MSG_DEALLOC_VGPRS)
	s_endpgm
	.section	.rodata,"a",@progbits
	.p2align	6, 0x0
	.amdhsa_kernel _ZN7rocprim17ROCPRIM_400000_NS6detail17trampoline_kernelINS0_14default_configENS1_29reduce_by_key_config_selectorIyjN6thrust23THRUST_200600_302600_NS4plusIjEEEEZZNS1_33reduce_by_key_impl_wrapped_configILNS1_25lookback_scan_determinismE0ES3_S9_NS6_6detail15normal_iteratorINS6_10device_ptrIyEEEENSD_INSE_IjEEEESG_SI_PmS8_NS6_8equal_toIyEEEE10hipError_tPvRmT2_T3_mT4_T5_T6_T7_T8_P12ihipStream_tbENKUlT_T0_E_clISt17integral_constantIbLb0EES12_IbLb1EEEEDaSY_SZ_EUlSY_E_NS1_11comp_targetILNS1_3genE9ELNS1_11target_archE1100ELNS1_3gpuE3ELNS1_3repE0EEENS1_30default_config_static_selectorELNS0_4arch9wavefront6targetE0EEEvT1_
		.amdhsa_group_segment_fixed_size 30720
		.amdhsa_private_segment_fixed_size 0
		.amdhsa_kernarg_size 120
		.amdhsa_user_sgpr_count 15
		.amdhsa_user_sgpr_dispatch_ptr 0
		.amdhsa_user_sgpr_queue_ptr 0
		.amdhsa_user_sgpr_kernarg_segment_ptr 1
		.amdhsa_user_sgpr_dispatch_id 0
		.amdhsa_user_sgpr_private_segment_size 0
		.amdhsa_wavefront_size32 1
		.amdhsa_uses_dynamic_stack 0
		.amdhsa_enable_private_segment 0
		.amdhsa_system_sgpr_workgroup_id_x 1
		.amdhsa_system_sgpr_workgroup_id_y 0
		.amdhsa_system_sgpr_workgroup_id_z 0
		.amdhsa_system_sgpr_workgroup_info 0
		.amdhsa_system_vgpr_workitem_id 0
		.amdhsa_next_free_vgpr 100
		.amdhsa_next_free_sgpr 45
		.amdhsa_reserve_vcc 1
		.amdhsa_float_round_mode_32 0
		.amdhsa_float_round_mode_16_64 0
		.amdhsa_float_denorm_mode_32 3
		.amdhsa_float_denorm_mode_16_64 3
		.amdhsa_dx10_clamp 1
		.amdhsa_ieee_mode 1
		.amdhsa_fp16_overflow 0
		.amdhsa_workgroup_processor_mode 1
		.amdhsa_memory_ordered 1
		.amdhsa_forward_progress 0
		.amdhsa_shared_vgpr_count 0
		.amdhsa_exception_fp_ieee_invalid_op 0
		.amdhsa_exception_fp_denorm_src 0
		.amdhsa_exception_fp_ieee_div_zero 0
		.amdhsa_exception_fp_ieee_overflow 0
		.amdhsa_exception_fp_ieee_underflow 0
		.amdhsa_exception_fp_ieee_inexact 0
		.amdhsa_exception_int_div_zero 0
	.end_amdhsa_kernel
	.section	.text._ZN7rocprim17ROCPRIM_400000_NS6detail17trampoline_kernelINS0_14default_configENS1_29reduce_by_key_config_selectorIyjN6thrust23THRUST_200600_302600_NS4plusIjEEEEZZNS1_33reduce_by_key_impl_wrapped_configILNS1_25lookback_scan_determinismE0ES3_S9_NS6_6detail15normal_iteratorINS6_10device_ptrIyEEEENSD_INSE_IjEEEESG_SI_PmS8_NS6_8equal_toIyEEEE10hipError_tPvRmT2_T3_mT4_T5_T6_T7_T8_P12ihipStream_tbENKUlT_T0_E_clISt17integral_constantIbLb0EES12_IbLb1EEEEDaSY_SZ_EUlSY_E_NS1_11comp_targetILNS1_3genE9ELNS1_11target_archE1100ELNS1_3gpuE3ELNS1_3repE0EEENS1_30default_config_static_selectorELNS0_4arch9wavefront6targetE0EEEvT1_,"axG",@progbits,_ZN7rocprim17ROCPRIM_400000_NS6detail17trampoline_kernelINS0_14default_configENS1_29reduce_by_key_config_selectorIyjN6thrust23THRUST_200600_302600_NS4plusIjEEEEZZNS1_33reduce_by_key_impl_wrapped_configILNS1_25lookback_scan_determinismE0ES3_S9_NS6_6detail15normal_iteratorINS6_10device_ptrIyEEEENSD_INSE_IjEEEESG_SI_PmS8_NS6_8equal_toIyEEEE10hipError_tPvRmT2_T3_mT4_T5_T6_T7_T8_P12ihipStream_tbENKUlT_T0_E_clISt17integral_constantIbLb0EES12_IbLb1EEEEDaSY_SZ_EUlSY_E_NS1_11comp_targetILNS1_3genE9ELNS1_11target_archE1100ELNS1_3gpuE3ELNS1_3repE0EEENS1_30default_config_static_selectorELNS0_4arch9wavefront6targetE0EEEvT1_,comdat
.Lfunc_end731:
	.size	_ZN7rocprim17ROCPRIM_400000_NS6detail17trampoline_kernelINS0_14default_configENS1_29reduce_by_key_config_selectorIyjN6thrust23THRUST_200600_302600_NS4plusIjEEEEZZNS1_33reduce_by_key_impl_wrapped_configILNS1_25lookback_scan_determinismE0ES3_S9_NS6_6detail15normal_iteratorINS6_10device_ptrIyEEEENSD_INSE_IjEEEESG_SI_PmS8_NS6_8equal_toIyEEEE10hipError_tPvRmT2_T3_mT4_T5_T6_T7_T8_P12ihipStream_tbENKUlT_T0_E_clISt17integral_constantIbLb0EES12_IbLb1EEEEDaSY_SZ_EUlSY_E_NS1_11comp_targetILNS1_3genE9ELNS1_11target_archE1100ELNS1_3gpuE3ELNS1_3repE0EEENS1_30default_config_static_selectorELNS0_4arch9wavefront6targetE0EEEvT1_, .Lfunc_end731-_ZN7rocprim17ROCPRIM_400000_NS6detail17trampoline_kernelINS0_14default_configENS1_29reduce_by_key_config_selectorIyjN6thrust23THRUST_200600_302600_NS4plusIjEEEEZZNS1_33reduce_by_key_impl_wrapped_configILNS1_25lookback_scan_determinismE0ES3_S9_NS6_6detail15normal_iteratorINS6_10device_ptrIyEEEENSD_INSE_IjEEEESG_SI_PmS8_NS6_8equal_toIyEEEE10hipError_tPvRmT2_T3_mT4_T5_T6_T7_T8_P12ihipStream_tbENKUlT_T0_E_clISt17integral_constantIbLb0EES12_IbLb1EEEEDaSY_SZ_EUlSY_E_NS1_11comp_targetILNS1_3genE9ELNS1_11target_archE1100ELNS1_3gpuE3ELNS1_3repE0EEENS1_30default_config_static_selectorELNS0_4arch9wavefront6targetE0EEEvT1_
                                        ; -- End function
	.section	.AMDGPU.csdata,"",@progbits
; Kernel info:
; codeLenInByte = 17640
; NumSgprs: 47
; NumVgprs: 100
; ScratchSize: 0
; MemoryBound: 0
; FloatMode: 240
; IeeeMode: 1
; LDSByteSize: 30720 bytes/workgroup (compile time only)
; SGPRBlocks: 5
; VGPRBlocks: 12
; NumSGPRsForWavesPerEU: 47
; NumVGPRsForWavesPerEU: 100
; Occupancy: 8
; WaveLimiterHint : 1
; COMPUTE_PGM_RSRC2:SCRATCH_EN: 0
; COMPUTE_PGM_RSRC2:USER_SGPR: 15
; COMPUTE_PGM_RSRC2:TRAP_HANDLER: 0
; COMPUTE_PGM_RSRC2:TGID_X_EN: 1
; COMPUTE_PGM_RSRC2:TGID_Y_EN: 0
; COMPUTE_PGM_RSRC2:TGID_Z_EN: 0
; COMPUTE_PGM_RSRC2:TIDIG_COMP_CNT: 0
	.section	.text._ZN7rocprim17ROCPRIM_400000_NS6detail17trampoline_kernelINS0_14default_configENS1_29reduce_by_key_config_selectorIyjN6thrust23THRUST_200600_302600_NS4plusIjEEEEZZNS1_33reduce_by_key_impl_wrapped_configILNS1_25lookback_scan_determinismE0ES3_S9_NS6_6detail15normal_iteratorINS6_10device_ptrIyEEEENSD_INSE_IjEEEESG_SI_PmS8_NS6_8equal_toIyEEEE10hipError_tPvRmT2_T3_mT4_T5_T6_T7_T8_P12ihipStream_tbENKUlT_T0_E_clISt17integral_constantIbLb0EES12_IbLb1EEEEDaSY_SZ_EUlSY_E_NS1_11comp_targetILNS1_3genE8ELNS1_11target_archE1030ELNS1_3gpuE2ELNS1_3repE0EEENS1_30default_config_static_selectorELNS0_4arch9wavefront6targetE0EEEvT1_,"axG",@progbits,_ZN7rocprim17ROCPRIM_400000_NS6detail17trampoline_kernelINS0_14default_configENS1_29reduce_by_key_config_selectorIyjN6thrust23THRUST_200600_302600_NS4plusIjEEEEZZNS1_33reduce_by_key_impl_wrapped_configILNS1_25lookback_scan_determinismE0ES3_S9_NS6_6detail15normal_iteratorINS6_10device_ptrIyEEEENSD_INSE_IjEEEESG_SI_PmS8_NS6_8equal_toIyEEEE10hipError_tPvRmT2_T3_mT4_T5_T6_T7_T8_P12ihipStream_tbENKUlT_T0_E_clISt17integral_constantIbLb0EES12_IbLb1EEEEDaSY_SZ_EUlSY_E_NS1_11comp_targetILNS1_3genE8ELNS1_11target_archE1030ELNS1_3gpuE2ELNS1_3repE0EEENS1_30default_config_static_selectorELNS0_4arch9wavefront6targetE0EEEvT1_,comdat
	.protected	_ZN7rocprim17ROCPRIM_400000_NS6detail17trampoline_kernelINS0_14default_configENS1_29reduce_by_key_config_selectorIyjN6thrust23THRUST_200600_302600_NS4plusIjEEEEZZNS1_33reduce_by_key_impl_wrapped_configILNS1_25lookback_scan_determinismE0ES3_S9_NS6_6detail15normal_iteratorINS6_10device_ptrIyEEEENSD_INSE_IjEEEESG_SI_PmS8_NS6_8equal_toIyEEEE10hipError_tPvRmT2_T3_mT4_T5_T6_T7_T8_P12ihipStream_tbENKUlT_T0_E_clISt17integral_constantIbLb0EES12_IbLb1EEEEDaSY_SZ_EUlSY_E_NS1_11comp_targetILNS1_3genE8ELNS1_11target_archE1030ELNS1_3gpuE2ELNS1_3repE0EEENS1_30default_config_static_selectorELNS0_4arch9wavefront6targetE0EEEvT1_ ; -- Begin function _ZN7rocprim17ROCPRIM_400000_NS6detail17trampoline_kernelINS0_14default_configENS1_29reduce_by_key_config_selectorIyjN6thrust23THRUST_200600_302600_NS4plusIjEEEEZZNS1_33reduce_by_key_impl_wrapped_configILNS1_25lookback_scan_determinismE0ES3_S9_NS6_6detail15normal_iteratorINS6_10device_ptrIyEEEENSD_INSE_IjEEEESG_SI_PmS8_NS6_8equal_toIyEEEE10hipError_tPvRmT2_T3_mT4_T5_T6_T7_T8_P12ihipStream_tbENKUlT_T0_E_clISt17integral_constantIbLb0EES12_IbLb1EEEEDaSY_SZ_EUlSY_E_NS1_11comp_targetILNS1_3genE8ELNS1_11target_archE1030ELNS1_3gpuE2ELNS1_3repE0EEENS1_30default_config_static_selectorELNS0_4arch9wavefront6targetE0EEEvT1_
	.globl	_ZN7rocprim17ROCPRIM_400000_NS6detail17trampoline_kernelINS0_14default_configENS1_29reduce_by_key_config_selectorIyjN6thrust23THRUST_200600_302600_NS4plusIjEEEEZZNS1_33reduce_by_key_impl_wrapped_configILNS1_25lookback_scan_determinismE0ES3_S9_NS6_6detail15normal_iteratorINS6_10device_ptrIyEEEENSD_INSE_IjEEEESG_SI_PmS8_NS6_8equal_toIyEEEE10hipError_tPvRmT2_T3_mT4_T5_T6_T7_T8_P12ihipStream_tbENKUlT_T0_E_clISt17integral_constantIbLb0EES12_IbLb1EEEEDaSY_SZ_EUlSY_E_NS1_11comp_targetILNS1_3genE8ELNS1_11target_archE1030ELNS1_3gpuE2ELNS1_3repE0EEENS1_30default_config_static_selectorELNS0_4arch9wavefront6targetE0EEEvT1_
	.p2align	8
	.type	_ZN7rocprim17ROCPRIM_400000_NS6detail17trampoline_kernelINS0_14default_configENS1_29reduce_by_key_config_selectorIyjN6thrust23THRUST_200600_302600_NS4plusIjEEEEZZNS1_33reduce_by_key_impl_wrapped_configILNS1_25lookback_scan_determinismE0ES3_S9_NS6_6detail15normal_iteratorINS6_10device_ptrIyEEEENSD_INSE_IjEEEESG_SI_PmS8_NS6_8equal_toIyEEEE10hipError_tPvRmT2_T3_mT4_T5_T6_T7_T8_P12ihipStream_tbENKUlT_T0_E_clISt17integral_constantIbLb0EES12_IbLb1EEEEDaSY_SZ_EUlSY_E_NS1_11comp_targetILNS1_3genE8ELNS1_11target_archE1030ELNS1_3gpuE2ELNS1_3repE0EEENS1_30default_config_static_selectorELNS0_4arch9wavefront6targetE0EEEvT1_,@function
_ZN7rocprim17ROCPRIM_400000_NS6detail17trampoline_kernelINS0_14default_configENS1_29reduce_by_key_config_selectorIyjN6thrust23THRUST_200600_302600_NS4plusIjEEEEZZNS1_33reduce_by_key_impl_wrapped_configILNS1_25lookback_scan_determinismE0ES3_S9_NS6_6detail15normal_iteratorINS6_10device_ptrIyEEEENSD_INSE_IjEEEESG_SI_PmS8_NS6_8equal_toIyEEEE10hipError_tPvRmT2_T3_mT4_T5_T6_T7_T8_P12ihipStream_tbENKUlT_T0_E_clISt17integral_constantIbLb0EES12_IbLb1EEEEDaSY_SZ_EUlSY_E_NS1_11comp_targetILNS1_3genE8ELNS1_11target_archE1030ELNS1_3gpuE2ELNS1_3repE0EEENS1_30default_config_static_selectorELNS0_4arch9wavefront6targetE0EEEvT1_: ; @_ZN7rocprim17ROCPRIM_400000_NS6detail17trampoline_kernelINS0_14default_configENS1_29reduce_by_key_config_selectorIyjN6thrust23THRUST_200600_302600_NS4plusIjEEEEZZNS1_33reduce_by_key_impl_wrapped_configILNS1_25lookback_scan_determinismE0ES3_S9_NS6_6detail15normal_iteratorINS6_10device_ptrIyEEEENSD_INSE_IjEEEESG_SI_PmS8_NS6_8equal_toIyEEEE10hipError_tPvRmT2_T3_mT4_T5_T6_T7_T8_P12ihipStream_tbENKUlT_T0_E_clISt17integral_constantIbLb0EES12_IbLb1EEEEDaSY_SZ_EUlSY_E_NS1_11comp_targetILNS1_3genE8ELNS1_11target_archE1030ELNS1_3gpuE2ELNS1_3repE0EEENS1_30default_config_static_selectorELNS0_4arch9wavefront6targetE0EEEvT1_
; %bb.0:
	.section	.rodata,"a",@progbits
	.p2align	6, 0x0
	.amdhsa_kernel _ZN7rocprim17ROCPRIM_400000_NS6detail17trampoline_kernelINS0_14default_configENS1_29reduce_by_key_config_selectorIyjN6thrust23THRUST_200600_302600_NS4plusIjEEEEZZNS1_33reduce_by_key_impl_wrapped_configILNS1_25lookback_scan_determinismE0ES3_S9_NS6_6detail15normal_iteratorINS6_10device_ptrIyEEEENSD_INSE_IjEEEESG_SI_PmS8_NS6_8equal_toIyEEEE10hipError_tPvRmT2_T3_mT4_T5_T6_T7_T8_P12ihipStream_tbENKUlT_T0_E_clISt17integral_constantIbLb0EES12_IbLb1EEEEDaSY_SZ_EUlSY_E_NS1_11comp_targetILNS1_3genE8ELNS1_11target_archE1030ELNS1_3gpuE2ELNS1_3repE0EEENS1_30default_config_static_selectorELNS0_4arch9wavefront6targetE0EEEvT1_
		.amdhsa_group_segment_fixed_size 0
		.amdhsa_private_segment_fixed_size 0
		.amdhsa_kernarg_size 120
		.amdhsa_user_sgpr_count 15
		.amdhsa_user_sgpr_dispatch_ptr 0
		.amdhsa_user_sgpr_queue_ptr 0
		.amdhsa_user_sgpr_kernarg_segment_ptr 1
		.amdhsa_user_sgpr_dispatch_id 0
		.amdhsa_user_sgpr_private_segment_size 0
		.amdhsa_wavefront_size32 1
		.amdhsa_uses_dynamic_stack 0
		.amdhsa_enable_private_segment 0
		.amdhsa_system_sgpr_workgroup_id_x 1
		.amdhsa_system_sgpr_workgroup_id_y 0
		.amdhsa_system_sgpr_workgroup_id_z 0
		.amdhsa_system_sgpr_workgroup_info 0
		.amdhsa_system_vgpr_workitem_id 0
		.amdhsa_next_free_vgpr 1
		.amdhsa_next_free_sgpr 1
		.amdhsa_reserve_vcc 0
		.amdhsa_float_round_mode_32 0
		.amdhsa_float_round_mode_16_64 0
		.amdhsa_float_denorm_mode_32 3
		.amdhsa_float_denorm_mode_16_64 3
		.amdhsa_dx10_clamp 1
		.amdhsa_ieee_mode 1
		.amdhsa_fp16_overflow 0
		.amdhsa_workgroup_processor_mode 1
		.amdhsa_memory_ordered 1
		.amdhsa_forward_progress 0
		.amdhsa_shared_vgpr_count 0
		.amdhsa_exception_fp_ieee_invalid_op 0
		.amdhsa_exception_fp_denorm_src 0
		.amdhsa_exception_fp_ieee_div_zero 0
		.amdhsa_exception_fp_ieee_overflow 0
		.amdhsa_exception_fp_ieee_underflow 0
		.amdhsa_exception_fp_ieee_inexact 0
		.amdhsa_exception_int_div_zero 0
	.end_amdhsa_kernel
	.section	.text._ZN7rocprim17ROCPRIM_400000_NS6detail17trampoline_kernelINS0_14default_configENS1_29reduce_by_key_config_selectorIyjN6thrust23THRUST_200600_302600_NS4plusIjEEEEZZNS1_33reduce_by_key_impl_wrapped_configILNS1_25lookback_scan_determinismE0ES3_S9_NS6_6detail15normal_iteratorINS6_10device_ptrIyEEEENSD_INSE_IjEEEESG_SI_PmS8_NS6_8equal_toIyEEEE10hipError_tPvRmT2_T3_mT4_T5_T6_T7_T8_P12ihipStream_tbENKUlT_T0_E_clISt17integral_constantIbLb0EES12_IbLb1EEEEDaSY_SZ_EUlSY_E_NS1_11comp_targetILNS1_3genE8ELNS1_11target_archE1030ELNS1_3gpuE2ELNS1_3repE0EEENS1_30default_config_static_selectorELNS0_4arch9wavefront6targetE0EEEvT1_,"axG",@progbits,_ZN7rocprim17ROCPRIM_400000_NS6detail17trampoline_kernelINS0_14default_configENS1_29reduce_by_key_config_selectorIyjN6thrust23THRUST_200600_302600_NS4plusIjEEEEZZNS1_33reduce_by_key_impl_wrapped_configILNS1_25lookback_scan_determinismE0ES3_S9_NS6_6detail15normal_iteratorINS6_10device_ptrIyEEEENSD_INSE_IjEEEESG_SI_PmS8_NS6_8equal_toIyEEEE10hipError_tPvRmT2_T3_mT4_T5_T6_T7_T8_P12ihipStream_tbENKUlT_T0_E_clISt17integral_constantIbLb0EES12_IbLb1EEEEDaSY_SZ_EUlSY_E_NS1_11comp_targetILNS1_3genE8ELNS1_11target_archE1030ELNS1_3gpuE2ELNS1_3repE0EEENS1_30default_config_static_selectorELNS0_4arch9wavefront6targetE0EEEvT1_,comdat
.Lfunc_end732:
	.size	_ZN7rocprim17ROCPRIM_400000_NS6detail17trampoline_kernelINS0_14default_configENS1_29reduce_by_key_config_selectorIyjN6thrust23THRUST_200600_302600_NS4plusIjEEEEZZNS1_33reduce_by_key_impl_wrapped_configILNS1_25lookback_scan_determinismE0ES3_S9_NS6_6detail15normal_iteratorINS6_10device_ptrIyEEEENSD_INSE_IjEEEESG_SI_PmS8_NS6_8equal_toIyEEEE10hipError_tPvRmT2_T3_mT4_T5_T6_T7_T8_P12ihipStream_tbENKUlT_T0_E_clISt17integral_constantIbLb0EES12_IbLb1EEEEDaSY_SZ_EUlSY_E_NS1_11comp_targetILNS1_3genE8ELNS1_11target_archE1030ELNS1_3gpuE2ELNS1_3repE0EEENS1_30default_config_static_selectorELNS0_4arch9wavefront6targetE0EEEvT1_, .Lfunc_end732-_ZN7rocprim17ROCPRIM_400000_NS6detail17trampoline_kernelINS0_14default_configENS1_29reduce_by_key_config_selectorIyjN6thrust23THRUST_200600_302600_NS4plusIjEEEEZZNS1_33reduce_by_key_impl_wrapped_configILNS1_25lookback_scan_determinismE0ES3_S9_NS6_6detail15normal_iteratorINS6_10device_ptrIyEEEENSD_INSE_IjEEEESG_SI_PmS8_NS6_8equal_toIyEEEE10hipError_tPvRmT2_T3_mT4_T5_T6_T7_T8_P12ihipStream_tbENKUlT_T0_E_clISt17integral_constantIbLb0EES12_IbLb1EEEEDaSY_SZ_EUlSY_E_NS1_11comp_targetILNS1_3genE8ELNS1_11target_archE1030ELNS1_3gpuE2ELNS1_3repE0EEENS1_30default_config_static_selectorELNS0_4arch9wavefront6targetE0EEEvT1_
                                        ; -- End function
	.section	.AMDGPU.csdata,"",@progbits
; Kernel info:
; codeLenInByte = 0
; NumSgprs: 0
; NumVgprs: 0
; ScratchSize: 0
; MemoryBound: 0
; FloatMode: 240
; IeeeMode: 1
; LDSByteSize: 0 bytes/workgroup (compile time only)
; SGPRBlocks: 0
; VGPRBlocks: 0
; NumSGPRsForWavesPerEU: 1
; NumVGPRsForWavesPerEU: 1
; Occupancy: 16
; WaveLimiterHint : 0
; COMPUTE_PGM_RSRC2:SCRATCH_EN: 0
; COMPUTE_PGM_RSRC2:USER_SGPR: 15
; COMPUTE_PGM_RSRC2:TRAP_HANDLER: 0
; COMPUTE_PGM_RSRC2:TGID_X_EN: 1
; COMPUTE_PGM_RSRC2:TGID_Y_EN: 0
; COMPUTE_PGM_RSRC2:TGID_Z_EN: 0
; COMPUTE_PGM_RSRC2:TIDIG_COMP_CNT: 0
	.section	.text._ZN7rocprim17ROCPRIM_400000_NS6detail17trampoline_kernelINS0_14default_configENS1_29reduce_by_key_config_selectorItjN6thrust23THRUST_200600_302600_NS4plusIjEEEEZZNS1_33reduce_by_key_impl_wrapped_configILNS1_25lookback_scan_determinismE0ES3_S9_NS6_6detail15normal_iteratorINS6_10device_ptrItEEEENSD_INSE_IjEEEESG_SI_PmS8_NS6_8equal_toItEEEE10hipError_tPvRmT2_T3_mT4_T5_T6_T7_T8_P12ihipStream_tbENKUlT_T0_E_clISt17integral_constantIbLb0EES13_EEDaSY_SZ_EUlSY_E_NS1_11comp_targetILNS1_3genE0ELNS1_11target_archE4294967295ELNS1_3gpuE0ELNS1_3repE0EEENS1_30default_config_static_selectorELNS0_4arch9wavefront6targetE0EEEvT1_,"axG",@progbits,_ZN7rocprim17ROCPRIM_400000_NS6detail17trampoline_kernelINS0_14default_configENS1_29reduce_by_key_config_selectorItjN6thrust23THRUST_200600_302600_NS4plusIjEEEEZZNS1_33reduce_by_key_impl_wrapped_configILNS1_25lookback_scan_determinismE0ES3_S9_NS6_6detail15normal_iteratorINS6_10device_ptrItEEEENSD_INSE_IjEEEESG_SI_PmS8_NS6_8equal_toItEEEE10hipError_tPvRmT2_T3_mT4_T5_T6_T7_T8_P12ihipStream_tbENKUlT_T0_E_clISt17integral_constantIbLb0EES13_EEDaSY_SZ_EUlSY_E_NS1_11comp_targetILNS1_3genE0ELNS1_11target_archE4294967295ELNS1_3gpuE0ELNS1_3repE0EEENS1_30default_config_static_selectorELNS0_4arch9wavefront6targetE0EEEvT1_,comdat
	.protected	_ZN7rocprim17ROCPRIM_400000_NS6detail17trampoline_kernelINS0_14default_configENS1_29reduce_by_key_config_selectorItjN6thrust23THRUST_200600_302600_NS4plusIjEEEEZZNS1_33reduce_by_key_impl_wrapped_configILNS1_25lookback_scan_determinismE0ES3_S9_NS6_6detail15normal_iteratorINS6_10device_ptrItEEEENSD_INSE_IjEEEESG_SI_PmS8_NS6_8equal_toItEEEE10hipError_tPvRmT2_T3_mT4_T5_T6_T7_T8_P12ihipStream_tbENKUlT_T0_E_clISt17integral_constantIbLb0EES13_EEDaSY_SZ_EUlSY_E_NS1_11comp_targetILNS1_3genE0ELNS1_11target_archE4294967295ELNS1_3gpuE0ELNS1_3repE0EEENS1_30default_config_static_selectorELNS0_4arch9wavefront6targetE0EEEvT1_ ; -- Begin function _ZN7rocprim17ROCPRIM_400000_NS6detail17trampoline_kernelINS0_14default_configENS1_29reduce_by_key_config_selectorItjN6thrust23THRUST_200600_302600_NS4plusIjEEEEZZNS1_33reduce_by_key_impl_wrapped_configILNS1_25lookback_scan_determinismE0ES3_S9_NS6_6detail15normal_iteratorINS6_10device_ptrItEEEENSD_INSE_IjEEEESG_SI_PmS8_NS6_8equal_toItEEEE10hipError_tPvRmT2_T3_mT4_T5_T6_T7_T8_P12ihipStream_tbENKUlT_T0_E_clISt17integral_constantIbLb0EES13_EEDaSY_SZ_EUlSY_E_NS1_11comp_targetILNS1_3genE0ELNS1_11target_archE4294967295ELNS1_3gpuE0ELNS1_3repE0EEENS1_30default_config_static_selectorELNS0_4arch9wavefront6targetE0EEEvT1_
	.globl	_ZN7rocprim17ROCPRIM_400000_NS6detail17trampoline_kernelINS0_14default_configENS1_29reduce_by_key_config_selectorItjN6thrust23THRUST_200600_302600_NS4plusIjEEEEZZNS1_33reduce_by_key_impl_wrapped_configILNS1_25lookback_scan_determinismE0ES3_S9_NS6_6detail15normal_iteratorINS6_10device_ptrItEEEENSD_INSE_IjEEEESG_SI_PmS8_NS6_8equal_toItEEEE10hipError_tPvRmT2_T3_mT4_T5_T6_T7_T8_P12ihipStream_tbENKUlT_T0_E_clISt17integral_constantIbLb0EES13_EEDaSY_SZ_EUlSY_E_NS1_11comp_targetILNS1_3genE0ELNS1_11target_archE4294967295ELNS1_3gpuE0ELNS1_3repE0EEENS1_30default_config_static_selectorELNS0_4arch9wavefront6targetE0EEEvT1_
	.p2align	8
	.type	_ZN7rocprim17ROCPRIM_400000_NS6detail17trampoline_kernelINS0_14default_configENS1_29reduce_by_key_config_selectorItjN6thrust23THRUST_200600_302600_NS4plusIjEEEEZZNS1_33reduce_by_key_impl_wrapped_configILNS1_25lookback_scan_determinismE0ES3_S9_NS6_6detail15normal_iteratorINS6_10device_ptrItEEEENSD_INSE_IjEEEESG_SI_PmS8_NS6_8equal_toItEEEE10hipError_tPvRmT2_T3_mT4_T5_T6_T7_T8_P12ihipStream_tbENKUlT_T0_E_clISt17integral_constantIbLb0EES13_EEDaSY_SZ_EUlSY_E_NS1_11comp_targetILNS1_3genE0ELNS1_11target_archE4294967295ELNS1_3gpuE0ELNS1_3repE0EEENS1_30default_config_static_selectorELNS0_4arch9wavefront6targetE0EEEvT1_,@function
_ZN7rocprim17ROCPRIM_400000_NS6detail17trampoline_kernelINS0_14default_configENS1_29reduce_by_key_config_selectorItjN6thrust23THRUST_200600_302600_NS4plusIjEEEEZZNS1_33reduce_by_key_impl_wrapped_configILNS1_25lookback_scan_determinismE0ES3_S9_NS6_6detail15normal_iteratorINS6_10device_ptrItEEEENSD_INSE_IjEEEESG_SI_PmS8_NS6_8equal_toItEEEE10hipError_tPvRmT2_T3_mT4_T5_T6_T7_T8_P12ihipStream_tbENKUlT_T0_E_clISt17integral_constantIbLb0EES13_EEDaSY_SZ_EUlSY_E_NS1_11comp_targetILNS1_3genE0ELNS1_11target_archE4294967295ELNS1_3gpuE0ELNS1_3repE0EEENS1_30default_config_static_selectorELNS0_4arch9wavefront6targetE0EEEvT1_: ; @_ZN7rocprim17ROCPRIM_400000_NS6detail17trampoline_kernelINS0_14default_configENS1_29reduce_by_key_config_selectorItjN6thrust23THRUST_200600_302600_NS4plusIjEEEEZZNS1_33reduce_by_key_impl_wrapped_configILNS1_25lookback_scan_determinismE0ES3_S9_NS6_6detail15normal_iteratorINS6_10device_ptrItEEEENSD_INSE_IjEEEESG_SI_PmS8_NS6_8equal_toItEEEE10hipError_tPvRmT2_T3_mT4_T5_T6_T7_T8_P12ihipStream_tbENKUlT_T0_E_clISt17integral_constantIbLb0EES13_EEDaSY_SZ_EUlSY_E_NS1_11comp_targetILNS1_3genE0ELNS1_11target_archE4294967295ELNS1_3gpuE0ELNS1_3repE0EEENS1_30default_config_static_selectorELNS0_4arch9wavefront6targetE0EEEvT1_
; %bb.0:
	.section	.rodata,"a",@progbits
	.p2align	6, 0x0
	.amdhsa_kernel _ZN7rocprim17ROCPRIM_400000_NS6detail17trampoline_kernelINS0_14default_configENS1_29reduce_by_key_config_selectorItjN6thrust23THRUST_200600_302600_NS4plusIjEEEEZZNS1_33reduce_by_key_impl_wrapped_configILNS1_25lookback_scan_determinismE0ES3_S9_NS6_6detail15normal_iteratorINS6_10device_ptrItEEEENSD_INSE_IjEEEESG_SI_PmS8_NS6_8equal_toItEEEE10hipError_tPvRmT2_T3_mT4_T5_T6_T7_T8_P12ihipStream_tbENKUlT_T0_E_clISt17integral_constantIbLb0EES13_EEDaSY_SZ_EUlSY_E_NS1_11comp_targetILNS1_3genE0ELNS1_11target_archE4294967295ELNS1_3gpuE0ELNS1_3repE0EEENS1_30default_config_static_selectorELNS0_4arch9wavefront6targetE0EEEvT1_
		.amdhsa_group_segment_fixed_size 0
		.amdhsa_private_segment_fixed_size 0
		.amdhsa_kernarg_size 120
		.amdhsa_user_sgpr_count 15
		.amdhsa_user_sgpr_dispatch_ptr 0
		.amdhsa_user_sgpr_queue_ptr 0
		.amdhsa_user_sgpr_kernarg_segment_ptr 1
		.amdhsa_user_sgpr_dispatch_id 0
		.amdhsa_user_sgpr_private_segment_size 0
		.amdhsa_wavefront_size32 1
		.amdhsa_uses_dynamic_stack 0
		.amdhsa_enable_private_segment 0
		.amdhsa_system_sgpr_workgroup_id_x 1
		.amdhsa_system_sgpr_workgroup_id_y 0
		.amdhsa_system_sgpr_workgroup_id_z 0
		.amdhsa_system_sgpr_workgroup_info 0
		.amdhsa_system_vgpr_workitem_id 0
		.amdhsa_next_free_vgpr 1
		.amdhsa_next_free_sgpr 1
		.amdhsa_reserve_vcc 0
		.amdhsa_float_round_mode_32 0
		.amdhsa_float_round_mode_16_64 0
		.amdhsa_float_denorm_mode_32 3
		.amdhsa_float_denorm_mode_16_64 3
		.amdhsa_dx10_clamp 1
		.amdhsa_ieee_mode 1
		.amdhsa_fp16_overflow 0
		.amdhsa_workgroup_processor_mode 1
		.amdhsa_memory_ordered 1
		.amdhsa_forward_progress 0
		.amdhsa_shared_vgpr_count 0
		.amdhsa_exception_fp_ieee_invalid_op 0
		.amdhsa_exception_fp_denorm_src 0
		.amdhsa_exception_fp_ieee_div_zero 0
		.amdhsa_exception_fp_ieee_overflow 0
		.amdhsa_exception_fp_ieee_underflow 0
		.amdhsa_exception_fp_ieee_inexact 0
		.amdhsa_exception_int_div_zero 0
	.end_amdhsa_kernel
	.section	.text._ZN7rocprim17ROCPRIM_400000_NS6detail17trampoline_kernelINS0_14default_configENS1_29reduce_by_key_config_selectorItjN6thrust23THRUST_200600_302600_NS4plusIjEEEEZZNS1_33reduce_by_key_impl_wrapped_configILNS1_25lookback_scan_determinismE0ES3_S9_NS6_6detail15normal_iteratorINS6_10device_ptrItEEEENSD_INSE_IjEEEESG_SI_PmS8_NS6_8equal_toItEEEE10hipError_tPvRmT2_T3_mT4_T5_T6_T7_T8_P12ihipStream_tbENKUlT_T0_E_clISt17integral_constantIbLb0EES13_EEDaSY_SZ_EUlSY_E_NS1_11comp_targetILNS1_3genE0ELNS1_11target_archE4294967295ELNS1_3gpuE0ELNS1_3repE0EEENS1_30default_config_static_selectorELNS0_4arch9wavefront6targetE0EEEvT1_,"axG",@progbits,_ZN7rocprim17ROCPRIM_400000_NS6detail17trampoline_kernelINS0_14default_configENS1_29reduce_by_key_config_selectorItjN6thrust23THRUST_200600_302600_NS4plusIjEEEEZZNS1_33reduce_by_key_impl_wrapped_configILNS1_25lookback_scan_determinismE0ES3_S9_NS6_6detail15normal_iteratorINS6_10device_ptrItEEEENSD_INSE_IjEEEESG_SI_PmS8_NS6_8equal_toItEEEE10hipError_tPvRmT2_T3_mT4_T5_T6_T7_T8_P12ihipStream_tbENKUlT_T0_E_clISt17integral_constantIbLb0EES13_EEDaSY_SZ_EUlSY_E_NS1_11comp_targetILNS1_3genE0ELNS1_11target_archE4294967295ELNS1_3gpuE0ELNS1_3repE0EEENS1_30default_config_static_selectorELNS0_4arch9wavefront6targetE0EEEvT1_,comdat
.Lfunc_end733:
	.size	_ZN7rocprim17ROCPRIM_400000_NS6detail17trampoline_kernelINS0_14default_configENS1_29reduce_by_key_config_selectorItjN6thrust23THRUST_200600_302600_NS4plusIjEEEEZZNS1_33reduce_by_key_impl_wrapped_configILNS1_25lookback_scan_determinismE0ES3_S9_NS6_6detail15normal_iteratorINS6_10device_ptrItEEEENSD_INSE_IjEEEESG_SI_PmS8_NS6_8equal_toItEEEE10hipError_tPvRmT2_T3_mT4_T5_T6_T7_T8_P12ihipStream_tbENKUlT_T0_E_clISt17integral_constantIbLb0EES13_EEDaSY_SZ_EUlSY_E_NS1_11comp_targetILNS1_3genE0ELNS1_11target_archE4294967295ELNS1_3gpuE0ELNS1_3repE0EEENS1_30default_config_static_selectorELNS0_4arch9wavefront6targetE0EEEvT1_, .Lfunc_end733-_ZN7rocprim17ROCPRIM_400000_NS6detail17trampoline_kernelINS0_14default_configENS1_29reduce_by_key_config_selectorItjN6thrust23THRUST_200600_302600_NS4plusIjEEEEZZNS1_33reduce_by_key_impl_wrapped_configILNS1_25lookback_scan_determinismE0ES3_S9_NS6_6detail15normal_iteratorINS6_10device_ptrItEEEENSD_INSE_IjEEEESG_SI_PmS8_NS6_8equal_toItEEEE10hipError_tPvRmT2_T3_mT4_T5_T6_T7_T8_P12ihipStream_tbENKUlT_T0_E_clISt17integral_constantIbLb0EES13_EEDaSY_SZ_EUlSY_E_NS1_11comp_targetILNS1_3genE0ELNS1_11target_archE4294967295ELNS1_3gpuE0ELNS1_3repE0EEENS1_30default_config_static_selectorELNS0_4arch9wavefront6targetE0EEEvT1_
                                        ; -- End function
	.section	.AMDGPU.csdata,"",@progbits
; Kernel info:
; codeLenInByte = 0
; NumSgprs: 0
; NumVgprs: 0
; ScratchSize: 0
; MemoryBound: 0
; FloatMode: 240
; IeeeMode: 1
; LDSByteSize: 0 bytes/workgroup (compile time only)
; SGPRBlocks: 0
; VGPRBlocks: 0
; NumSGPRsForWavesPerEU: 1
; NumVGPRsForWavesPerEU: 1
; Occupancy: 16
; WaveLimiterHint : 0
; COMPUTE_PGM_RSRC2:SCRATCH_EN: 0
; COMPUTE_PGM_RSRC2:USER_SGPR: 15
; COMPUTE_PGM_RSRC2:TRAP_HANDLER: 0
; COMPUTE_PGM_RSRC2:TGID_X_EN: 1
; COMPUTE_PGM_RSRC2:TGID_Y_EN: 0
; COMPUTE_PGM_RSRC2:TGID_Z_EN: 0
; COMPUTE_PGM_RSRC2:TIDIG_COMP_CNT: 0
	.section	.text._ZN7rocprim17ROCPRIM_400000_NS6detail17trampoline_kernelINS0_14default_configENS1_29reduce_by_key_config_selectorItjN6thrust23THRUST_200600_302600_NS4plusIjEEEEZZNS1_33reduce_by_key_impl_wrapped_configILNS1_25lookback_scan_determinismE0ES3_S9_NS6_6detail15normal_iteratorINS6_10device_ptrItEEEENSD_INSE_IjEEEESG_SI_PmS8_NS6_8equal_toItEEEE10hipError_tPvRmT2_T3_mT4_T5_T6_T7_T8_P12ihipStream_tbENKUlT_T0_E_clISt17integral_constantIbLb0EES13_EEDaSY_SZ_EUlSY_E_NS1_11comp_targetILNS1_3genE5ELNS1_11target_archE942ELNS1_3gpuE9ELNS1_3repE0EEENS1_30default_config_static_selectorELNS0_4arch9wavefront6targetE0EEEvT1_,"axG",@progbits,_ZN7rocprim17ROCPRIM_400000_NS6detail17trampoline_kernelINS0_14default_configENS1_29reduce_by_key_config_selectorItjN6thrust23THRUST_200600_302600_NS4plusIjEEEEZZNS1_33reduce_by_key_impl_wrapped_configILNS1_25lookback_scan_determinismE0ES3_S9_NS6_6detail15normal_iteratorINS6_10device_ptrItEEEENSD_INSE_IjEEEESG_SI_PmS8_NS6_8equal_toItEEEE10hipError_tPvRmT2_T3_mT4_T5_T6_T7_T8_P12ihipStream_tbENKUlT_T0_E_clISt17integral_constantIbLb0EES13_EEDaSY_SZ_EUlSY_E_NS1_11comp_targetILNS1_3genE5ELNS1_11target_archE942ELNS1_3gpuE9ELNS1_3repE0EEENS1_30default_config_static_selectorELNS0_4arch9wavefront6targetE0EEEvT1_,comdat
	.protected	_ZN7rocprim17ROCPRIM_400000_NS6detail17trampoline_kernelINS0_14default_configENS1_29reduce_by_key_config_selectorItjN6thrust23THRUST_200600_302600_NS4plusIjEEEEZZNS1_33reduce_by_key_impl_wrapped_configILNS1_25lookback_scan_determinismE0ES3_S9_NS6_6detail15normal_iteratorINS6_10device_ptrItEEEENSD_INSE_IjEEEESG_SI_PmS8_NS6_8equal_toItEEEE10hipError_tPvRmT2_T3_mT4_T5_T6_T7_T8_P12ihipStream_tbENKUlT_T0_E_clISt17integral_constantIbLb0EES13_EEDaSY_SZ_EUlSY_E_NS1_11comp_targetILNS1_3genE5ELNS1_11target_archE942ELNS1_3gpuE9ELNS1_3repE0EEENS1_30default_config_static_selectorELNS0_4arch9wavefront6targetE0EEEvT1_ ; -- Begin function _ZN7rocprim17ROCPRIM_400000_NS6detail17trampoline_kernelINS0_14default_configENS1_29reduce_by_key_config_selectorItjN6thrust23THRUST_200600_302600_NS4plusIjEEEEZZNS1_33reduce_by_key_impl_wrapped_configILNS1_25lookback_scan_determinismE0ES3_S9_NS6_6detail15normal_iteratorINS6_10device_ptrItEEEENSD_INSE_IjEEEESG_SI_PmS8_NS6_8equal_toItEEEE10hipError_tPvRmT2_T3_mT4_T5_T6_T7_T8_P12ihipStream_tbENKUlT_T0_E_clISt17integral_constantIbLb0EES13_EEDaSY_SZ_EUlSY_E_NS1_11comp_targetILNS1_3genE5ELNS1_11target_archE942ELNS1_3gpuE9ELNS1_3repE0EEENS1_30default_config_static_selectorELNS0_4arch9wavefront6targetE0EEEvT1_
	.globl	_ZN7rocprim17ROCPRIM_400000_NS6detail17trampoline_kernelINS0_14default_configENS1_29reduce_by_key_config_selectorItjN6thrust23THRUST_200600_302600_NS4plusIjEEEEZZNS1_33reduce_by_key_impl_wrapped_configILNS1_25lookback_scan_determinismE0ES3_S9_NS6_6detail15normal_iteratorINS6_10device_ptrItEEEENSD_INSE_IjEEEESG_SI_PmS8_NS6_8equal_toItEEEE10hipError_tPvRmT2_T3_mT4_T5_T6_T7_T8_P12ihipStream_tbENKUlT_T0_E_clISt17integral_constantIbLb0EES13_EEDaSY_SZ_EUlSY_E_NS1_11comp_targetILNS1_3genE5ELNS1_11target_archE942ELNS1_3gpuE9ELNS1_3repE0EEENS1_30default_config_static_selectorELNS0_4arch9wavefront6targetE0EEEvT1_
	.p2align	8
	.type	_ZN7rocprim17ROCPRIM_400000_NS6detail17trampoline_kernelINS0_14default_configENS1_29reduce_by_key_config_selectorItjN6thrust23THRUST_200600_302600_NS4plusIjEEEEZZNS1_33reduce_by_key_impl_wrapped_configILNS1_25lookback_scan_determinismE0ES3_S9_NS6_6detail15normal_iteratorINS6_10device_ptrItEEEENSD_INSE_IjEEEESG_SI_PmS8_NS6_8equal_toItEEEE10hipError_tPvRmT2_T3_mT4_T5_T6_T7_T8_P12ihipStream_tbENKUlT_T0_E_clISt17integral_constantIbLb0EES13_EEDaSY_SZ_EUlSY_E_NS1_11comp_targetILNS1_3genE5ELNS1_11target_archE942ELNS1_3gpuE9ELNS1_3repE0EEENS1_30default_config_static_selectorELNS0_4arch9wavefront6targetE0EEEvT1_,@function
_ZN7rocprim17ROCPRIM_400000_NS6detail17trampoline_kernelINS0_14default_configENS1_29reduce_by_key_config_selectorItjN6thrust23THRUST_200600_302600_NS4plusIjEEEEZZNS1_33reduce_by_key_impl_wrapped_configILNS1_25lookback_scan_determinismE0ES3_S9_NS6_6detail15normal_iteratorINS6_10device_ptrItEEEENSD_INSE_IjEEEESG_SI_PmS8_NS6_8equal_toItEEEE10hipError_tPvRmT2_T3_mT4_T5_T6_T7_T8_P12ihipStream_tbENKUlT_T0_E_clISt17integral_constantIbLb0EES13_EEDaSY_SZ_EUlSY_E_NS1_11comp_targetILNS1_3genE5ELNS1_11target_archE942ELNS1_3gpuE9ELNS1_3repE0EEENS1_30default_config_static_selectorELNS0_4arch9wavefront6targetE0EEEvT1_: ; @_ZN7rocprim17ROCPRIM_400000_NS6detail17trampoline_kernelINS0_14default_configENS1_29reduce_by_key_config_selectorItjN6thrust23THRUST_200600_302600_NS4plusIjEEEEZZNS1_33reduce_by_key_impl_wrapped_configILNS1_25lookback_scan_determinismE0ES3_S9_NS6_6detail15normal_iteratorINS6_10device_ptrItEEEENSD_INSE_IjEEEESG_SI_PmS8_NS6_8equal_toItEEEE10hipError_tPvRmT2_T3_mT4_T5_T6_T7_T8_P12ihipStream_tbENKUlT_T0_E_clISt17integral_constantIbLb0EES13_EEDaSY_SZ_EUlSY_E_NS1_11comp_targetILNS1_3genE5ELNS1_11target_archE942ELNS1_3gpuE9ELNS1_3repE0EEENS1_30default_config_static_selectorELNS0_4arch9wavefront6targetE0EEEvT1_
; %bb.0:
	.section	.rodata,"a",@progbits
	.p2align	6, 0x0
	.amdhsa_kernel _ZN7rocprim17ROCPRIM_400000_NS6detail17trampoline_kernelINS0_14default_configENS1_29reduce_by_key_config_selectorItjN6thrust23THRUST_200600_302600_NS4plusIjEEEEZZNS1_33reduce_by_key_impl_wrapped_configILNS1_25lookback_scan_determinismE0ES3_S9_NS6_6detail15normal_iteratorINS6_10device_ptrItEEEENSD_INSE_IjEEEESG_SI_PmS8_NS6_8equal_toItEEEE10hipError_tPvRmT2_T3_mT4_T5_T6_T7_T8_P12ihipStream_tbENKUlT_T0_E_clISt17integral_constantIbLb0EES13_EEDaSY_SZ_EUlSY_E_NS1_11comp_targetILNS1_3genE5ELNS1_11target_archE942ELNS1_3gpuE9ELNS1_3repE0EEENS1_30default_config_static_selectorELNS0_4arch9wavefront6targetE0EEEvT1_
		.amdhsa_group_segment_fixed_size 0
		.amdhsa_private_segment_fixed_size 0
		.amdhsa_kernarg_size 120
		.amdhsa_user_sgpr_count 15
		.amdhsa_user_sgpr_dispatch_ptr 0
		.amdhsa_user_sgpr_queue_ptr 0
		.amdhsa_user_sgpr_kernarg_segment_ptr 1
		.amdhsa_user_sgpr_dispatch_id 0
		.amdhsa_user_sgpr_private_segment_size 0
		.amdhsa_wavefront_size32 1
		.amdhsa_uses_dynamic_stack 0
		.amdhsa_enable_private_segment 0
		.amdhsa_system_sgpr_workgroup_id_x 1
		.amdhsa_system_sgpr_workgroup_id_y 0
		.amdhsa_system_sgpr_workgroup_id_z 0
		.amdhsa_system_sgpr_workgroup_info 0
		.amdhsa_system_vgpr_workitem_id 0
		.amdhsa_next_free_vgpr 1
		.amdhsa_next_free_sgpr 1
		.amdhsa_reserve_vcc 0
		.amdhsa_float_round_mode_32 0
		.amdhsa_float_round_mode_16_64 0
		.amdhsa_float_denorm_mode_32 3
		.amdhsa_float_denorm_mode_16_64 3
		.amdhsa_dx10_clamp 1
		.amdhsa_ieee_mode 1
		.amdhsa_fp16_overflow 0
		.amdhsa_workgroup_processor_mode 1
		.amdhsa_memory_ordered 1
		.amdhsa_forward_progress 0
		.amdhsa_shared_vgpr_count 0
		.amdhsa_exception_fp_ieee_invalid_op 0
		.amdhsa_exception_fp_denorm_src 0
		.amdhsa_exception_fp_ieee_div_zero 0
		.amdhsa_exception_fp_ieee_overflow 0
		.amdhsa_exception_fp_ieee_underflow 0
		.amdhsa_exception_fp_ieee_inexact 0
		.amdhsa_exception_int_div_zero 0
	.end_amdhsa_kernel
	.section	.text._ZN7rocprim17ROCPRIM_400000_NS6detail17trampoline_kernelINS0_14default_configENS1_29reduce_by_key_config_selectorItjN6thrust23THRUST_200600_302600_NS4plusIjEEEEZZNS1_33reduce_by_key_impl_wrapped_configILNS1_25lookback_scan_determinismE0ES3_S9_NS6_6detail15normal_iteratorINS6_10device_ptrItEEEENSD_INSE_IjEEEESG_SI_PmS8_NS6_8equal_toItEEEE10hipError_tPvRmT2_T3_mT4_T5_T6_T7_T8_P12ihipStream_tbENKUlT_T0_E_clISt17integral_constantIbLb0EES13_EEDaSY_SZ_EUlSY_E_NS1_11comp_targetILNS1_3genE5ELNS1_11target_archE942ELNS1_3gpuE9ELNS1_3repE0EEENS1_30default_config_static_selectorELNS0_4arch9wavefront6targetE0EEEvT1_,"axG",@progbits,_ZN7rocprim17ROCPRIM_400000_NS6detail17trampoline_kernelINS0_14default_configENS1_29reduce_by_key_config_selectorItjN6thrust23THRUST_200600_302600_NS4plusIjEEEEZZNS1_33reduce_by_key_impl_wrapped_configILNS1_25lookback_scan_determinismE0ES3_S9_NS6_6detail15normal_iteratorINS6_10device_ptrItEEEENSD_INSE_IjEEEESG_SI_PmS8_NS6_8equal_toItEEEE10hipError_tPvRmT2_T3_mT4_T5_T6_T7_T8_P12ihipStream_tbENKUlT_T0_E_clISt17integral_constantIbLb0EES13_EEDaSY_SZ_EUlSY_E_NS1_11comp_targetILNS1_3genE5ELNS1_11target_archE942ELNS1_3gpuE9ELNS1_3repE0EEENS1_30default_config_static_selectorELNS0_4arch9wavefront6targetE0EEEvT1_,comdat
.Lfunc_end734:
	.size	_ZN7rocprim17ROCPRIM_400000_NS6detail17trampoline_kernelINS0_14default_configENS1_29reduce_by_key_config_selectorItjN6thrust23THRUST_200600_302600_NS4plusIjEEEEZZNS1_33reduce_by_key_impl_wrapped_configILNS1_25lookback_scan_determinismE0ES3_S9_NS6_6detail15normal_iteratorINS6_10device_ptrItEEEENSD_INSE_IjEEEESG_SI_PmS8_NS6_8equal_toItEEEE10hipError_tPvRmT2_T3_mT4_T5_T6_T7_T8_P12ihipStream_tbENKUlT_T0_E_clISt17integral_constantIbLb0EES13_EEDaSY_SZ_EUlSY_E_NS1_11comp_targetILNS1_3genE5ELNS1_11target_archE942ELNS1_3gpuE9ELNS1_3repE0EEENS1_30default_config_static_selectorELNS0_4arch9wavefront6targetE0EEEvT1_, .Lfunc_end734-_ZN7rocprim17ROCPRIM_400000_NS6detail17trampoline_kernelINS0_14default_configENS1_29reduce_by_key_config_selectorItjN6thrust23THRUST_200600_302600_NS4plusIjEEEEZZNS1_33reduce_by_key_impl_wrapped_configILNS1_25lookback_scan_determinismE0ES3_S9_NS6_6detail15normal_iteratorINS6_10device_ptrItEEEENSD_INSE_IjEEEESG_SI_PmS8_NS6_8equal_toItEEEE10hipError_tPvRmT2_T3_mT4_T5_T6_T7_T8_P12ihipStream_tbENKUlT_T0_E_clISt17integral_constantIbLb0EES13_EEDaSY_SZ_EUlSY_E_NS1_11comp_targetILNS1_3genE5ELNS1_11target_archE942ELNS1_3gpuE9ELNS1_3repE0EEENS1_30default_config_static_selectorELNS0_4arch9wavefront6targetE0EEEvT1_
                                        ; -- End function
	.section	.AMDGPU.csdata,"",@progbits
; Kernel info:
; codeLenInByte = 0
; NumSgprs: 0
; NumVgprs: 0
; ScratchSize: 0
; MemoryBound: 0
; FloatMode: 240
; IeeeMode: 1
; LDSByteSize: 0 bytes/workgroup (compile time only)
; SGPRBlocks: 0
; VGPRBlocks: 0
; NumSGPRsForWavesPerEU: 1
; NumVGPRsForWavesPerEU: 1
; Occupancy: 16
; WaveLimiterHint : 0
; COMPUTE_PGM_RSRC2:SCRATCH_EN: 0
; COMPUTE_PGM_RSRC2:USER_SGPR: 15
; COMPUTE_PGM_RSRC2:TRAP_HANDLER: 0
; COMPUTE_PGM_RSRC2:TGID_X_EN: 1
; COMPUTE_PGM_RSRC2:TGID_Y_EN: 0
; COMPUTE_PGM_RSRC2:TGID_Z_EN: 0
; COMPUTE_PGM_RSRC2:TIDIG_COMP_CNT: 0
	.section	.text._ZN7rocprim17ROCPRIM_400000_NS6detail17trampoline_kernelINS0_14default_configENS1_29reduce_by_key_config_selectorItjN6thrust23THRUST_200600_302600_NS4plusIjEEEEZZNS1_33reduce_by_key_impl_wrapped_configILNS1_25lookback_scan_determinismE0ES3_S9_NS6_6detail15normal_iteratorINS6_10device_ptrItEEEENSD_INSE_IjEEEESG_SI_PmS8_NS6_8equal_toItEEEE10hipError_tPvRmT2_T3_mT4_T5_T6_T7_T8_P12ihipStream_tbENKUlT_T0_E_clISt17integral_constantIbLb0EES13_EEDaSY_SZ_EUlSY_E_NS1_11comp_targetILNS1_3genE4ELNS1_11target_archE910ELNS1_3gpuE8ELNS1_3repE0EEENS1_30default_config_static_selectorELNS0_4arch9wavefront6targetE0EEEvT1_,"axG",@progbits,_ZN7rocprim17ROCPRIM_400000_NS6detail17trampoline_kernelINS0_14default_configENS1_29reduce_by_key_config_selectorItjN6thrust23THRUST_200600_302600_NS4plusIjEEEEZZNS1_33reduce_by_key_impl_wrapped_configILNS1_25lookback_scan_determinismE0ES3_S9_NS6_6detail15normal_iteratorINS6_10device_ptrItEEEENSD_INSE_IjEEEESG_SI_PmS8_NS6_8equal_toItEEEE10hipError_tPvRmT2_T3_mT4_T5_T6_T7_T8_P12ihipStream_tbENKUlT_T0_E_clISt17integral_constantIbLb0EES13_EEDaSY_SZ_EUlSY_E_NS1_11comp_targetILNS1_3genE4ELNS1_11target_archE910ELNS1_3gpuE8ELNS1_3repE0EEENS1_30default_config_static_selectorELNS0_4arch9wavefront6targetE0EEEvT1_,comdat
	.protected	_ZN7rocprim17ROCPRIM_400000_NS6detail17trampoline_kernelINS0_14default_configENS1_29reduce_by_key_config_selectorItjN6thrust23THRUST_200600_302600_NS4plusIjEEEEZZNS1_33reduce_by_key_impl_wrapped_configILNS1_25lookback_scan_determinismE0ES3_S9_NS6_6detail15normal_iteratorINS6_10device_ptrItEEEENSD_INSE_IjEEEESG_SI_PmS8_NS6_8equal_toItEEEE10hipError_tPvRmT2_T3_mT4_T5_T6_T7_T8_P12ihipStream_tbENKUlT_T0_E_clISt17integral_constantIbLb0EES13_EEDaSY_SZ_EUlSY_E_NS1_11comp_targetILNS1_3genE4ELNS1_11target_archE910ELNS1_3gpuE8ELNS1_3repE0EEENS1_30default_config_static_selectorELNS0_4arch9wavefront6targetE0EEEvT1_ ; -- Begin function _ZN7rocprim17ROCPRIM_400000_NS6detail17trampoline_kernelINS0_14default_configENS1_29reduce_by_key_config_selectorItjN6thrust23THRUST_200600_302600_NS4plusIjEEEEZZNS1_33reduce_by_key_impl_wrapped_configILNS1_25lookback_scan_determinismE0ES3_S9_NS6_6detail15normal_iteratorINS6_10device_ptrItEEEENSD_INSE_IjEEEESG_SI_PmS8_NS6_8equal_toItEEEE10hipError_tPvRmT2_T3_mT4_T5_T6_T7_T8_P12ihipStream_tbENKUlT_T0_E_clISt17integral_constantIbLb0EES13_EEDaSY_SZ_EUlSY_E_NS1_11comp_targetILNS1_3genE4ELNS1_11target_archE910ELNS1_3gpuE8ELNS1_3repE0EEENS1_30default_config_static_selectorELNS0_4arch9wavefront6targetE0EEEvT1_
	.globl	_ZN7rocprim17ROCPRIM_400000_NS6detail17trampoline_kernelINS0_14default_configENS1_29reduce_by_key_config_selectorItjN6thrust23THRUST_200600_302600_NS4plusIjEEEEZZNS1_33reduce_by_key_impl_wrapped_configILNS1_25lookback_scan_determinismE0ES3_S9_NS6_6detail15normal_iteratorINS6_10device_ptrItEEEENSD_INSE_IjEEEESG_SI_PmS8_NS6_8equal_toItEEEE10hipError_tPvRmT2_T3_mT4_T5_T6_T7_T8_P12ihipStream_tbENKUlT_T0_E_clISt17integral_constantIbLb0EES13_EEDaSY_SZ_EUlSY_E_NS1_11comp_targetILNS1_3genE4ELNS1_11target_archE910ELNS1_3gpuE8ELNS1_3repE0EEENS1_30default_config_static_selectorELNS0_4arch9wavefront6targetE0EEEvT1_
	.p2align	8
	.type	_ZN7rocprim17ROCPRIM_400000_NS6detail17trampoline_kernelINS0_14default_configENS1_29reduce_by_key_config_selectorItjN6thrust23THRUST_200600_302600_NS4plusIjEEEEZZNS1_33reduce_by_key_impl_wrapped_configILNS1_25lookback_scan_determinismE0ES3_S9_NS6_6detail15normal_iteratorINS6_10device_ptrItEEEENSD_INSE_IjEEEESG_SI_PmS8_NS6_8equal_toItEEEE10hipError_tPvRmT2_T3_mT4_T5_T6_T7_T8_P12ihipStream_tbENKUlT_T0_E_clISt17integral_constantIbLb0EES13_EEDaSY_SZ_EUlSY_E_NS1_11comp_targetILNS1_3genE4ELNS1_11target_archE910ELNS1_3gpuE8ELNS1_3repE0EEENS1_30default_config_static_selectorELNS0_4arch9wavefront6targetE0EEEvT1_,@function
_ZN7rocprim17ROCPRIM_400000_NS6detail17trampoline_kernelINS0_14default_configENS1_29reduce_by_key_config_selectorItjN6thrust23THRUST_200600_302600_NS4plusIjEEEEZZNS1_33reduce_by_key_impl_wrapped_configILNS1_25lookback_scan_determinismE0ES3_S9_NS6_6detail15normal_iteratorINS6_10device_ptrItEEEENSD_INSE_IjEEEESG_SI_PmS8_NS6_8equal_toItEEEE10hipError_tPvRmT2_T3_mT4_T5_T6_T7_T8_P12ihipStream_tbENKUlT_T0_E_clISt17integral_constantIbLb0EES13_EEDaSY_SZ_EUlSY_E_NS1_11comp_targetILNS1_3genE4ELNS1_11target_archE910ELNS1_3gpuE8ELNS1_3repE0EEENS1_30default_config_static_selectorELNS0_4arch9wavefront6targetE0EEEvT1_: ; @_ZN7rocprim17ROCPRIM_400000_NS6detail17trampoline_kernelINS0_14default_configENS1_29reduce_by_key_config_selectorItjN6thrust23THRUST_200600_302600_NS4plusIjEEEEZZNS1_33reduce_by_key_impl_wrapped_configILNS1_25lookback_scan_determinismE0ES3_S9_NS6_6detail15normal_iteratorINS6_10device_ptrItEEEENSD_INSE_IjEEEESG_SI_PmS8_NS6_8equal_toItEEEE10hipError_tPvRmT2_T3_mT4_T5_T6_T7_T8_P12ihipStream_tbENKUlT_T0_E_clISt17integral_constantIbLb0EES13_EEDaSY_SZ_EUlSY_E_NS1_11comp_targetILNS1_3genE4ELNS1_11target_archE910ELNS1_3gpuE8ELNS1_3repE0EEENS1_30default_config_static_selectorELNS0_4arch9wavefront6targetE0EEEvT1_
; %bb.0:
	.section	.rodata,"a",@progbits
	.p2align	6, 0x0
	.amdhsa_kernel _ZN7rocprim17ROCPRIM_400000_NS6detail17trampoline_kernelINS0_14default_configENS1_29reduce_by_key_config_selectorItjN6thrust23THRUST_200600_302600_NS4plusIjEEEEZZNS1_33reduce_by_key_impl_wrapped_configILNS1_25lookback_scan_determinismE0ES3_S9_NS6_6detail15normal_iteratorINS6_10device_ptrItEEEENSD_INSE_IjEEEESG_SI_PmS8_NS6_8equal_toItEEEE10hipError_tPvRmT2_T3_mT4_T5_T6_T7_T8_P12ihipStream_tbENKUlT_T0_E_clISt17integral_constantIbLb0EES13_EEDaSY_SZ_EUlSY_E_NS1_11comp_targetILNS1_3genE4ELNS1_11target_archE910ELNS1_3gpuE8ELNS1_3repE0EEENS1_30default_config_static_selectorELNS0_4arch9wavefront6targetE0EEEvT1_
		.amdhsa_group_segment_fixed_size 0
		.amdhsa_private_segment_fixed_size 0
		.amdhsa_kernarg_size 120
		.amdhsa_user_sgpr_count 15
		.amdhsa_user_sgpr_dispatch_ptr 0
		.amdhsa_user_sgpr_queue_ptr 0
		.amdhsa_user_sgpr_kernarg_segment_ptr 1
		.amdhsa_user_sgpr_dispatch_id 0
		.amdhsa_user_sgpr_private_segment_size 0
		.amdhsa_wavefront_size32 1
		.amdhsa_uses_dynamic_stack 0
		.amdhsa_enable_private_segment 0
		.amdhsa_system_sgpr_workgroup_id_x 1
		.amdhsa_system_sgpr_workgroup_id_y 0
		.amdhsa_system_sgpr_workgroup_id_z 0
		.amdhsa_system_sgpr_workgroup_info 0
		.amdhsa_system_vgpr_workitem_id 0
		.amdhsa_next_free_vgpr 1
		.amdhsa_next_free_sgpr 1
		.amdhsa_reserve_vcc 0
		.amdhsa_float_round_mode_32 0
		.amdhsa_float_round_mode_16_64 0
		.amdhsa_float_denorm_mode_32 3
		.amdhsa_float_denorm_mode_16_64 3
		.amdhsa_dx10_clamp 1
		.amdhsa_ieee_mode 1
		.amdhsa_fp16_overflow 0
		.amdhsa_workgroup_processor_mode 1
		.amdhsa_memory_ordered 1
		.amdhsa_forward_progress 0
		.amdhsa_shared_vgpr_count 0
		.amdhsa_exception_fp_ieee_invalid_op 0
		.amdhsa_exception_fp_denorm_src 0
		.amdhsa_exception_fp_ieee_div_zero 0
		.amdhsa_exception_fp_ieee_overflow 0
		.amdhsa_exception_fp_ieee_underflow 0
		.amdhsa_exception_fp_ieee_inexact 0
		.amdhsa_exception_int_div_zero 0
	.end_amdhsa_kernel
	.section	.text._ZN7rocprim17ROCPRIM_400000_NS6detail17trampoline_kernelINS0_14default_configENS1_29reduce_by_key_config_selectorItjN6thrust23THRUST_200600_302600_NS4plusIjEEEEZZNS1_33reduce_by_key_impl_wrapped_configILNS1_25lookback_scan_determinismE0ES3_S9_NS6_6detail15normal_iteratorINS6_10device_ptrItEEEENSD_INSE_IjEEEESG_SI_PmS8_NS6_8equal_toItEEEE10hipError_tPvRmT2_T3_mT4_T5_T6_T7_T8_P12ihipStream_tbENKUlT_T0_E_clISt17integral_constantIbLb0EES13_EEDaSY_SZ_EUlSY_E_NS1_11comp_targetILNS1_3genE4ELNS1_11target_archE910ELNS1_3gpuE8ELNS1_3repE0EEENS1_30default_config_static_selectorELNS0_4arch9wavefront6targetE0EEEvT1_,"axG",@progbits,_ZN7rocprim17ROCPRIM_400000_NS6detail17trampoline_kernelINS0_14default_configENS1_29reduce_by_key_config_selectorItjN6thrust23THRUST_200600_302600_NS4plusIjEEEEZZNS1_33reduce_by_key_impl_wrapped_configILNS1_25lookback_scan_determinismE0ES3_S9_NS6_6detail15normal_iteratorINS6_10device_ptrItEEEENSD_INSE_IjEEEESG_SI_PmS8_NS6_8equal_toItEEEE10hipError_tPvRmT2_T3_mT4_T5_T6_T7_T8_P12ihipStream_tbENKUlT_T0_E_clISt17integral_constantIbLb0EES13_EEDaSY_SZ_EUlSY_E_NS1_11comp_targetILNS1_3genE4ELNS1_11target_archE910ELNS1_3gpuE8ELNS1_3repE0EEENS1_30default_config_static_selectorELNS0_4arch9wavefront6targetE0EEEvT1_,comdat
.Lfunc_end735:
	.size	_ZN7rocprim17ROCPRIM_400000_NS6detail17trampoline_kernelINS0_14default_configENS1_29reduce_by_key_config_selectorItjN6thrust23THRUST_200600_302600_NS4plusIjEEEEZZNS1_33reduce_by_key_impl_wrapped_configILNS1_25lookback_scan_determinismE0ES3_S9_NS6_6detail15normal_iteratorINS6_10device_ptrItEEEENSD_INSE_IjEEEESG_SI_PmS8_NS6_8equal_toItEEEE10hipError_tPvRmT2_T3_mT4_T5_T6_T7_T8_P12ihipStream_tbENKUlT_T0_E_clISt17integral_constantIbLb0EES13_EEDaSY_SZ_EUlSY_E_NS1_11comp_targetILNS1_3genE4ELNS1_11target_archE910ELNS1_3gpuE8ELNS1_3repE0EEENS1_30default_config_static_selectorELNS0_4arch9wavefront6targetE0EEEvT1_, .Lfunc_end735-_ZN7rocprim17ROCPRIM_400000_NS6detail17trampoline_kernelINS0_14default_configENS1_29reduce_by_key_config_selectorItjN6thrust23THRUST_200600_302600_NS4plusIjEEEEZZNS1_33reduce_by_key_impl_wrapped_configILNS1_25lookback_scan_determinismE0ES3_S9_NS6_6detail15normal_iteratorINS6_10device_ptrItEEEENSD_INSE_IjEEEESG_SI_PmS8_NS6_8equal_toItEEEE10hipError_tPvRmT2_T3_mT4_T5_T6_T7_T8_P12ihipStream_tbENKUlT_T0_E_clISt17integral_constantIbLb0EES13_EEDaSY_SZ_EUlSY_E_NS1_11comp_targetILNS1_3genE4ELNS1_11target_archE910ELNS1_3gpuE8ELNS1_3repE0EEENS1_30default_config_static_selectorELNS0_4arch9wavefront6targetE0EEEvT1_
                                        ; -- End function
	.section	.AMDGPU.csdata,"",@progbits
; Kernel info:
; codeLenInByte = 0
; NumSgprs: 0
; NumVgprs: 0
; ScratchSize: 0
; MemoryBound: 0
; FloatMode: 240
; IeeeMode: 1
; LDSByteSize: 0 bytes/workgroup (compile time only)
; SGPRBlocks: 0
; VGPRBlocks: 0
; NumSGPRsForWavesPerEU: 1
; NumVGPRsForWavesPerEU: 1
; Occupancy: 16
; WaveLimiterHint : 0
; COMPUTE_PGM_RSRC2:SCRATCH_EN: 0
; COMPUTE_PGM_RSRC2:USER_SGPR: 15
; COMPUTE_PGM_RSRC2:TRAP_HANDLER: 0
; COMPUTE_PGM_RSRC2:TGID_X_EN: 1
; COMPUTE_PGM_RSRC2:TGID_Y_EN: 0
; COMPUTE_PGM_RSRC2:TGID_Z_EN: 0
; COMPUTE_PGM_RSRC2:TIDIG_COMP_CNT: 0
	.section	.text._ZN7rocprim17ROCPRIM_400000_NS6detail17trampoline_kernelINS0_14default_configENS1_29reduce_by_key_config_selectorItjN6thrust23THRUST_200600_302600_NS4plusIjEEEEZZNS1_33reduce_by_key_impl_wrapped_configILNS1_25lookback_scan_determinismE0ES3_S9_NS6_6detail15normal_iteratorINS6_10device_ptrItEEEENSD_INSE_IjEEEESG_SI_PmS8_NS6_8equal_toItEEEE10hipError_tPvRmT2_T3_mT4_T5_T6_T7_T8_P12ihipStream_tbENKUlT_T0_E_clISt17integral_constantIbLb0EES13_EEDaSY_SZ_EUlSY_E_NS1_11comp_targetILNS1_3genE3ELNS1_11target_archE908ELNS1_3gpuE7ELNS1_3repE0EEENS1_30default_config_static_selectorELNS0_4arch9wavefront6targetE0EEEvT1_,"axG",@progbits,_ZN7rocprim17ROCPRIM_400000_NS6detail17trampoline_kernelINS0_14default_configENS1_29reduce_by_key_config_selectorItjN6thrust23THRUST_200600_302600_NS4plusIjEEEEZZNS1_33reduce_by_key_impl_wrapped_configILNS1_25lookback_scan_determinismE0ES3_S9_NS6_6detail15normal_iteratorINS6_10device_ptrItEEEENSD_INSE_IjEEEESG_SI_PmS8_NS6_8equal_toItEEEE10hipError_tPvRmT2_T3_mT4_T5_T6_T7_T8_P12ihipStream_tbENKUlT_T0_E_clISt17integral_constantIbLb0EES13_EEDaSY_SZ_EUlSY_E_NS1_11comp_targetILNS1_3genE3ELNS1_11target_archE908ELNS1_3gpuE7ELNS1_3repE0EEENS1_30default_config_static_selectorELNS0_4arch9wavefront6targetE0EEEvT1_,comdat
	.protected	_ZN7rocprim17ROCPRIM_400000_NS6detail17trampoline_kernelINS0_14default_configENS1_29reduce_by_key_config_selectorItjN6thrust23THRUST_200600_302600_NS4plusIjEEEEZZNS1_33reduce_by_key_impl_wrapped_configILNS1_25lookback_scan_determinismE0ES3_S9_NS6_6detail15normal_iteratorINS6_10device_ptrItEEEENSD_INSE_IjEEEESG_SI_PmS8_NS6_8equal_toItEEEE10hipError_tPvRmT2_T3_mT4_T5_T6_T7_T8_P12ihipStream_tbENKUlT_T0_E_clISt17integral_constantIbLb0EES13_EEDaSY_SZ_EUlSY_E_NS1_11comp_targetILNS1_3genE3ELNS1_11target_archE908ELNS1_3gpuE7ELNS1_3repE0EEENS1_30default_config_static_selectorELNS0_4arch9wavefront6targetE0EEEvT1_ ; -- Begin function _ZN7rocprim17ROCPRIM_400000_NS6detail17trampoline_kernelINS0_14default_configENS1_29reduce_by_key_config_selectorItjN6thrust23THRUST_200600_302600_NS4plusIjEEEEZZNS1_33reduce_by_key_impl_wrapped_configILNS1_25lookback_scan_determinismE0ES3_S9_NS6_6detail15normal_iteratorINS6_10device_ptrItEEEENSD_INSE_IjEEEESG_SI_PmS8_NS6_8equal_toItEEEE10hipError_tPvRmT2_T3_mT4_T5_T6_T7_T8_P12ihipStream_tbENKUlT_T0_E_clISt17integral_constantIbLb0EES13_EEDaSY_SZ_EUlSY_E_NS1_11comp_targetILNS1_3genE3ELNS1_11target_archE908ELNS1_3gpuE7ELNS1_3repE0EEENS1_30default_config_static_selectorELNS0_4arch9wavefront6targetE0EEEvT1_
	.globl	_ZN7rocprim17ROCPRIM_400000_NS6detail17trampoline_kernelINS0_14default_configENS1_29reduce_by_key_config_selectorItjN6thrust23THRUST_200600_302600_NS4plusIjEEEEZZNS1_33reduce_by_key_impl_wrapped_configILNS1_25lookback_scan_determinismE0ES3_S9_NS6_6detail15normal_iteratorINS6_10device_ptrItEEEENSD_INSE_IjEEEESG_SI_PmS8_NS6_8equal_toItEEEE10hipError_tPvRmT2_T3_mT4_T5_T6_T7_T8_P12ihipStream_tbENKUlT_T0_E_clISt17integral_constantIbLb0EES13_EEDaSY_SZ_EUlSY_E_NS1_11comp_targetILNS1_3genE3ELNS1_11target_archE908ELNS1_3gpuE7ELNS1_3repE0EEENS1_30default_config_static_selectorELNS0_4arch9wavefront6targetE0EEEvT1_
	.p2align	8
	.type	_ZN7rocprim17ROCPRIM_400000_NS6detail17trampoline_kernelINS0_14default_configENS1_29reduce_by_key_config_selectorItjN6thrust23THRUST_200600_302600_NS4plusIjEEEEZZNS1_33reduce_by_key_impl_wrapped_configILNS1_25lookback_scan_determinismE0ES3_S9_NS6_6detail15normal_iteratorINS6_10device_ptrItEEEENSD_INSE_IjEEEESG_SI_PmS8_NS6_8equal_toItEEEE10hipError_tPvRmT2_T3_mT4_T5_T6_T7_T8_P12ihipStream_tbENKUlT_T0_E_clISt17integral_constantIbLb0EES13_EEDaSY_SZ_EUlSY_E_NS1_11comp_targetILNS1_3genE3ELNS1_11target_archE908ELNS1_3gpuE7ELNS1_3repE0EEENS1_30default_config_static_selectorELNS0_4arch9wavefront6targetE0EEEvT1_,@function
_ZN7rocprim17ROCPRIM_400000_NS6detail17trampoline_kernelINS0_14default_configENS1_29reduce_by_key_config_selectorItjN6thrust23THRUST_200600_302600_NS4plusIjEEEEZZNS1_33reduce_by_key_impl_wrapped_configILNS1_25lookback_scan_determinismE0ES3_S9_NS6_6detail15normal_iteratorINS6_10device_ptrItEEEENSD_INSE_IjEEEESG_SI_PmS8_NS6_8equal_toItEEEE10hipError_tPvRmT2_T3_mT4_T5_T6_T7_T8_P12ihipStream_tbENKUlT_T0_E_clISt17integral_constantIbLb0EES13_EEDaSY_SZ_EUlSY_E_NS1_11comp_targetILNS1_3genE3ELNS1_11target_archE908ELNS1_3gpuE7ELNS1_3repE0EEENS1_30default_config_static_selectorELNS0_4arch9wavefront6targetE0EEEvT1_: ; @_ZN7rocprim17ROCPRIM_400000_NS6detail17trampoline_kernelINS0_14default_configENS1_29reduce_by_key_config_selectorItjN6thrust23THRUST_200600_302600_NS4plusIjEEEEZZNS1_33reduce_by_key_impl_wrapped_configILNS1_25lookback_scan_determinismE0ES3_S9_NS6_6detail15normal_iteratorINS6_10device_ptrItEEEENSD_INSE_IjEEEESG_SI_PmS8_NS6_8equal_toItEEEE10hipError_tPvRmT2_T3_mT4_T5_T6_T7_T8_P12ihipStream_tbENKUlT_T0_E_clISt17integral_constantIbLb0EES13_EEDaSY_SZ_EUlSY_E_NS1_11comp_targetILNS1_3genE3ELNS1_11target_archE908ELNS1_3gpuE7ELNS1_3repE0EEENS1_30default_config_static_selectorELNS0_4arch9wavefront6targetE0EEEvT1_
; %bb.0:
	.section	.rodata,"a",@progbits
	.p2align	6, 0x0
	.amdhsa_kernel _ZN7rocprim17ROCPRIM_400000_NS6detail17trampoline_kernelINS0_14default_configENS1_29reduce_by_key_config_selectorItjN6thrust23THRUST_200600_302600_NS4plusIjEEEEZZNS1_33reduce_by_key_impl_wrapped_configILNS1_25lookback_scan_determinismE0ES3_S9_NS6_6detail15normal_iteratorINS6_10device_ptrItEEEENSD_INSE_IjEEEESG_SI_PmS8_NS6_8equal_toItEEEE10hipError_tPvRmT2_T3_mT4_T5_T6_T7_T8_P12ihipStream_tbENKUlT_T0_E_clISt17integral_constantIbLb0EES13_EEDaSY_SZ_EUlSY_E_NS1_11comp_targetILNS1_3genE3ELNS1_11target_archE908ELNS1_3gpuE7ELNS1_3repE0EEENS1_30default_config_static_selectorELNS0_4arch9wavefront6targetE0EEEvT1_
		.amdhsa_group_segment_fixed_size 0
		.amdhsa_private_segment_fixed_size 0
		.amdhsa_kernarg_size 120
		.amdhsa_user_sgpr_count 15
		.amdhsa_user_sgpr_dispatch_ptr 0
		.amdhsa_user_sgpr_queue_ptr 0
		.amdhsa_user_sgpr_kernarg_segment_ptr 1
		.amdhsa_user_sgpr_dispatch_id 0
		.amdhsa_user_sgpr_private_segment_size 0
		.amdhsa_wavefront_size32 1
		.amdhsa_uses_dynamic_stack 0
		.amdhsa_enable_private_segment 0
		.amdhsa_system_sgpr_workgroup_id_x 1
		.amdhsa_system_sgpr_workgroup_id_y 0
		.amdhsa_system_sgpr_workgroup_id_z 0
		.amdhsa_system_sgpr_workgroup_info 0
		.amdhsa_system_vgpr_workitem_id 0
		.amdhsa_next_free_vgpr 1
		.amdhsa_next_free_sgpr 1
		.amdhsa_reserve_vcc 0
		.amdhsa_float_round_mode_32 0
		.amdhsa_float_round_mode_16_64 0
		.amdhsa_float_denorm_mode_32 3
		.amdhsa_float_denorm_mode_16_64 3
		.amdhsa_dx10_clamp 1
		.amdhsa_ieee_mode 1
		.amdhsa_fp16_overflow 0
		.amdhsa_workgroup_processor_mode 1
		.amdhsa_memory_ordered 1
		.amdhsa_forward_progress 0
		.amdhsa_shared_vgpr_count 0
		.amdhsa_exception_fp_ieee_invalid_op 0
		.amdhsa_exception_fp_denorm_src 0
		.amdhsa_exception_fp_ieee_div_zero 0
		.amdhsa_exception_fp_ieee_overflow 0
		.amdhsa_exception_fp_ieee_underflow 0
		.amdhsa_exception_fp_ieee_inexact 0
		.amdhsa_exception_int_div_zero 0
	.end_amdhsa_kernel
	.section	.text._ZN7rocprim17ROCPRIM_400000_NS6detail17trampoline_kernelINS0_14default_configENS1_29reduce_by_key_config_selectorItjN6thrust23THRUST_200600_302600_NS4plusIjEEEEZZNS1_33reduce_by_key_impl_wrapped_configILNS1_25lookback_scan_determinismE0ES3_S9_NS6_6detail15normal_iteratorINS6_10device_ptrItEEEENSD_INSE_IjEEEESG_SI_PmS8_NS6_8equal_toItEEEE10hipError_tPvRmT2_T3_mT4_T5_T6_T7_T8_P12ihipStream_tbENKUlT_T0_E_clISt17integral_constantIbLb0EES13_EEDaSY_SZ_EUlSY_E_NS1_11comp_targetILNS1_3genE3ELNS1_11target_archE908ELNS1_3gpuE7ELNS1_3repE0EEENS1_30default_config_static_selectorELNS0_4arch9wavefront6targetE0EEEvT1_,"axG",@progbits,_ZN7rocprim17ROCPRIM_400000_NS6detail17trampoline_kernelINS0_14default_configENS1_29reduce_by_key_config_selectorItjN6thrust23THRUST_200600_302600_NS4plusIjEEEEZZNS1_33reduce_by_key_impl_wrapped_configILNS1_25lookback_scan_determinismE0ES3_S9_NS6_6detail15normal_iteratorINS6_10device_ptrItEEEENSD_INSE_IjEEEESG_SI_PmS8_NS6_8equal_toItEEEE10hipError_tPvRmT2_T3_mT4_T5_T6_T7_T8_P12ihipStream_tbENKUlT_T0_E_clISt17integral_constantIbLb0EES13_EEDaSY_SZ_EUlSY_E_NS1_11comp_targetILNS1_3genE3ELNS1_11target_archE908ELNS1_3gpuE7ELNS1_3repE0EEENS1_30default_config_static_selectorELNS0_4arch9wavefront6targetE0EEEvT1_,comdat
.Lfunc_end736:
	.size	_ZN7rocprim17ROCPRIM_400000_NS6detail17trampoline_kernelINS0_14default_configENS1_29reduce_by_key_config_selectorItjN6thrust23THRUST_200600_302600_NS4plusIjEEEEZZNS1_33reduce_by_key_impl_wrapped_configILNS1_25lookback_scan_determinismE0ES3_S9_NS6_6detail15normal_iteratorINS6_10device_ptrItEEEENSD_INSE_IjEEEESG_SI_PmS8_NS6_8equal_toItEEEE10hipError_tPvRmT2_T3_mT4_T5_T6_T7_T8_P12ihipStream_tbENKUlT_T0_E_clISt17integral_constantIbLb0EES13_EEDaSY_SZ_EUlSY_E_NS1_11comp_targetILNS1_3genE3ELNS1_11target_archE908ELNS1_3gpuE7ELNS1_3repE0EEENS1_30default_config_static_selectorELNS0_4arch9wavefront6targetE0EEEvT1_, .Lfunc_end736-_ZN7rocprim17ROCPRIM_400000_NS6detail17trampoline_kernelINS0_14default_configENS1_29reduce_by_key_config_selectorItjN6thrust23THRUST_200600_302600_NS4plusIjEEEEZZNS1_33reduce_by_key_impl_wrapped_configILNS1_25lookback_scan_determinismE0ES3_S9_NS6_6detail15normal_iteratorINS6_10device_ptrItEEEENSD_INSE_IjEEEESG_SI_PmS8_NS6_8equal_toItEEEE10hipError_tPvRmT2_T3_mT4_T5_T6_T7_T8_P12ihipStream_tbENKUlT_T0_E_clISt17integral_constantIbLb0EES13_EEDaSY_SZ_EUlSY_E_NS1_11comp_targetILNS1_3genE3ELNS1_11target_archE908ELNS1_3gpuE7ELNS1_3repE0EEENS1_30default_config_static_selectorELNS0_4arch9wavefront6targetE0EEEvT1_
                                        ; -- End function
	.section	.AMDGPU.csdata,"",@progbits
; Kernel info:
; codeLenInByte = 0
; NumSgprs: 0
; NumVgprs: 0
; ScratchSize: 0
; MemoryBound: 0
; FloatMode: 240
; IeeeMode: 1
; LDSByteSize: 0 bytes/workgroup (compile time only)
; SGPRBlocks: 0
; VGPRBlocks: 0
; NumSGPRsForWavesPerEU: 1
; NumVGPRsForWavesPerEU: 1
; Occupancy: 16
; WaveLimiterHint : 0
; COMPUTE_PGM_RSRC2:SCRATCH_EN: 0
; COMPUTE_PGM_RSRC2:USER_SGPR: 15
; COMPUTE_PGM_RSRC2:TRAP_HANDLER: 0
; COMPUTE_PGM_RSRC2:TGID_X_EN: 1
; COMPUTE_PGM_RSRC2:TGID_Y_EN: 0
; COMPUTE_PGM_RSRC2:TGID_Z_EN: 0
; COMPUTE_PGM_RSRC2:TIDIG_COMP_CNT: 0
	.section	.text._ZN7rocprim17ROCPRIM_400000_NS6detail17trampoline_kernelINS0_14default_configENS1_29reduce_by_key_config_selectorItjN6thrust23THRUST_200600_302600_NS4plusIjEEEEZZNS1_33reduce_by_key_impl_wrapped_configILNS1_25lookback_scan_determinismE0ES3_S9_NS6_6detail15normal_iteratorINS6_10device_ptrItEEEENSD_INSE_IjEEEESG_SI_PmS8_NS6_8equal_toItEEEE10hipError_tPvRmT2_T3_mT4_T5_T6_T7_T8_P12ihipStream_tbENKUlT_T0_E_clISt17integral_constantIbLb0EES13_EEDaSY_SZ_EUlSY_E_NS1_11comp_targetILNS1_3genE2ELNS1_11target_archE906ELNS1_3gpuE6ELNS1_3repE0EEENS1_30default_config_static_selectorELNS0_4arch9wavefront6targetE0EEEvT1_,"axG",@progbits,_ZN7rocprim17ROCPRIM_400000_NS6detail17trampoline_kernelINS0_14default_configENS1_29reduce_by_key_config_selectorItjN6thrust23THRUST_200600_302600_NS4plusIjEEEEZZNS1_33reduce_by_key_impl_wrapped_configILNS1_25lookback_scan_determinismE0ES3_S9_NS6_6detail15normal_iteratorINS6_10device_ptrItEEEENSD_INSE_IjEEEESG_SI_PmS8_NS6_8equal_toItEEEE10hipError_tPvRmT2_T3_mT4_T5_T6_T7_T8_P12ihipStream_tbENKUlT_T0_E_clISt17integral_constantIbLb0EES13_EEDaSY_SZ_EUlSY_E_NS1_11comp_targetILNS1_3genE2ELNS1_11target_archE906ELNS1_3gpuE6ELNS1_3repE0EEENS1_30default_config_static_selectorELNS0_4arch9wavefront6targetE0EEEvT1_,comdat
	.protected	_ZN7rocprim17ROCPRIM_400000_NS6detail17trampoline_kernelINS0_14default_configENS1_29reduce_by_key_config_selectorItjN6thrust23THRUST_200600_302600_NS4plusIjEEEEZZNS1_33reduce_by_key_impl_wrapped_configILNS1_25lookback_scan_determinismE0ES3_S9_NS6_6detail15normal_iteratorINS6_10device_ptrItEEEENSD_INSE_IjEEEESG_SI_PmS8_NS6_8equal_toItEEEE10hipError_tPvRmT2_T3_mT4_T5_T6_T7_T8_P12ihipStream_tbENKUlT_T0_E_clISt17integral_constantIbLb0EES13_EEDaSY_SZ_EUlSY_E_NS1_11comp_targetILNS1_3genE2ELNS1_11target_archE906ELNS1_3gpuE6ELNS1_3repE0EEENS1_30default_config_static_selectorELNS0_4arch9wavefront6targetE0EEEvT1_ ; -- Begin function _ZN7rocprim17ROCPRIM_400000_NS6detail17trampoline_kernelINS0_14default_configENS1_29reduce_by_key_config_selectorItjN6thrust23THRUST_200600_302600_NS4plusIjEEEEZZNS1_33reduce_by_key_impl_wrapped_configILNS1_25lookback_scan_determinismE0ES3_S9_NS6_6detail15normal_iteratorINS6_10device_ptrItEEEENSD_INSE_IjEEEESG_SI_PmS8_NS6_8equal_toItEEEE10hipError_tPvRmT2_T3_mT4_T5_T6_T7_T8_P12ihipStream_tbENKUlT_T0_E_clISt17integral_constantIbLb0EES13_EEDaSY_SZ_EUlSY_E_NS1_11comp_targetILNS1_3genE2ELNS1_11target_archE906ELNS1_3gpuE6ELNS1_3repE0EEENS1_30default_config_static_selectorELNS0_4arch9wavefront6targetE0EEEvT1_
	.globl	_ZN7rocprim17ROCPRIM_400000_NS6detail17trampoline_kernelINS0_14default_configENS1_29reduce_by_key_config_selectorItjN6thrust23THRUST_200600_302600_NS4plusIjEEEEZZNS1_33reduce_by_key_impl_wrapped_configILNS1_25lookback_scan_determinismE0ES3_S9_NS6_6detail15normal_iteratorINS6_10device_ptrItEEEENSD_INSE_IjEEEESG_SI_PmS8_NS6_8equal_toItEEEE10hipError_tPvRmT2_T3_mT4_T5_T6_T7_T8_P12ihipStream_tbENKUlT_T0_E_clISt17integral_constantIbLb0EES13_EEDaSY_SZ_EUlSY_E_NS1_11comp_targetILNS1_3genE2ELNS1_11target_archE906ELNS1_3gpuE6ELNS1_3repE0EEENS1_30default_config_static_selectorELNS0_4arch9wavefront6targetE0EEEvT1_
	.p2align	8
	.type	_ZN7rocprim17ROCPRIM_400000_NS6detail17trampoline_kernelINS0_14default_configENS1_29reduce_by_key_config_selectorItjN6thrust23THRUST_200600_302600_NS4plusIjEEEEZZNS1_33reduce_by_key_impl_wrapped_configILNS1_25lookback_scan_determinismE0ES3_S9_NS6_6detail15normal_iteratorINS6_10device_ptrItEEEENSD_INSE_IjEEEESG_SI_PmS8_NS6_8equal_toItEEEE10hipError_tPvRmT2_T3_mT4_T5_T6_T7_T8_P12ihipStream_tbENKUlT_T0_E_clISt17integral_constantIbLb0EES13_EEDaSY_SZ_EUlSY_E_NS1_11comp_targetILNS1_3genE2ELNS1_11target_archE906ELNS1_3gpuE6ELNS1_3repE0EEENS1_30default_config_static_selectorELNS0_4arch9wavefront6targetE0EEEvT1_,@function
_ZN7rocprim17ROCPRIM_400000_NS6detail17trampoline_kernelINS0_14default_configENS1_29reduce_by_key_config_selectorItjN6thrust23THRUST_200600_302600_NS4plusIjEEEEZZNS1_33reduce_by_key_impl_wrapped_configILNS1_25lookback_scan_determinismE0ES3_S9_NS6_6detail15normal_iteratorINS6_10device_ptrItEEEENSD_INSE_IjEEEESG_SI_PmS8_NS6_8equal_toItEEEE10hipError_tPvRmT2_T3_mT4_T5_T6_T7_T8_P12ihipStream_tbENKUlT_T0_E_clISt17integral_constantIbLb0EES13_EEDaSY_SZ_EUlSY_E_NS1_11comp_targetILNS1_3genE2ELNS1_11target_archE906ELNS1_3gpuE6ELNS1_3repE0EEENS1_30default_config_static_selectorELNS0_4arch9wavefront6targetE0EEEvT1_: ; @_ZN7rocprim17ROCPRIM_400000_NS6detail17trampoline_kernelINS0_14default_configENS1_29reduce_by_key_config_selectorItjN6thrust23THRUST_200600_302600_NS4plusIjEEEEZZNS1_33reduce_by_key_impl_wrapped_configILNS1_25lookback_scan_determinismE0ES3_S9_NS6_6detail15normal_iteratorINS6_10device_ptrItEEEENSD_INSE_IjEEEESG_SI_PmS8_NS6_8equal_toItEEEE10hipError_tPvRmT2_T3_mT4_T5_T6_T7_T8_P12ihipStream_tbENKUlT_T0_E_clISt17integral_constantIbLb0EES13_EEDaSY_SZ_EUlSY_E_NS1_11comp_targetILNS1_3genE2ELNS1_11target_archE906ELNS1_3gpuE6ELNS1_3repE0EEENS1_30default_config_static_selectorELNS0_4arch9wavefront6targetE0EEEvT1_
; %bb.0:
	.section	.rodata,"a",@progbits
	.p2align	6, 0x0
	.amdhsa_kernel _ZN7rocprim17ROCPRIM_400000_NS6detail17trampoline_kernelINS0_14default_configENS1_29reduce_by_key_config_selectorItjN6thrust23THRUST_200600_302600_NS4plusIjEEEEZZNS1_33reduce_by_key_impl_wrapped_configILNS1_25lookback_scan_determinismE0ES3_S9_NS6_6detail15normal_iteratorINS6_10device_ptrItEEEENSD_INSE_IjEEEESG_SI_PmS8_NS6_8equal_toItEEEE10hipError_tPvRmT2_T3_mT4_T5_T6_T7_T8_P12ihipStream_tbENKUlT_T0_E_clISt17integral_constantIbLb0EES13_EEDaSY_SZ_EUlSY_E_NS1_11comp_targetILNS1_3genE2ELNS1_11target_archE906ELNS1_3gpuE6ELNS1_3repE0EEENS1_30default_config_static_selectorELNS0_4arch9wavefront6targetE0EEEvT1_
		.amdhsa_group_segment_fixed_size 0
		.amdhsa_private_segment_fixed_size 0
		.amdhsa_kernarg_size 120
		.amdhsa_user_sgpr_count 15
		.amdhsa_user_sgpr_dispatch_ptr 0
		.amdhsa_user_sgpr_queue_ptr 0
		.amdhsa_user_sgpr_kernarg_segment_ptr 1
		.amdhsa_user_sgpr_dispatch_id 0
		.amdhsa_user_sgpr_private_segment_size 0
		.amdhsa_wavefront_size32 1
		.amdhsa_uses_dynamic_stack 0
		.amdhsa_enable_private_segment 0
		.amdhsa_system_sgpr_workgroup_id_x 1
		.amdhsa_system_sgpr_workgroup_id_y 0
		.amdhsa_system_sgpr_workgroup_id_z 0
		.amdhsa_system_sgpr_workgroup_info 0
		.amdhsa_system_vgpr_workitem_id 0
		.amdhsa_next_free_vgpr 1
		.amdhsa_next_free_sgpr 1
		.amdhsa_reserve_vcc 0
		.amdhsa_float_round_mode_32 0
		.amdhsa_float_round_mode_16_64 0
		.amdhsa_float_denorm_mode_32 3
		.amdhsa_float_denorm_mode_16_64 3
		.amdhsa_dx10_clamp 1
		.amdhsa_ieee_mode 1
		.amdhsa_fp16_overflow 0
		.amdhsa_workgroup_processor_mode 1
		.amdhsa_memory_ordered 1
		.amdhsa_forward_progress 0
		.amdhsa_shared_vgpr_count 0
		.amdhsa_exception_fp_ieee_invalid_op 0
		.amdhsa_exception_fp_denorm_src 0
		.amdhsa_exception_fp_ieee_div_zero 0
		.amdhsa_exception_fp_ieee_overflow 0
		.amdhsa_exception_fp_ieee_underflow 0
		.amdhsa_exception_fp_ieee_inexact 0
		.amdhsa_exception_int_div_zero 0
	.end_amdhsa_kernel
	.section	.text._ZN7rocprim17ROCPRIM_400000_NS6detail17trampoline_kernelINS0_14default_configENS1_29reduce_by_key_config_selectorItjN6thrust23THRUST_200600_302600_NS4plusIjEEEEZZNS1_33reduce_by_key_impl_wrapped_configILNS1_25lookback_scan_determinismE0ES3_S9_NS6_6detail15normal_iteratorINS6_10device_ptrItEEEENSD_INSE_IjEEEESG_SI_PmS8_NS6_8equal_toItEEEE10hipError_tPvRmT2_T3_mT4_T5_T6_T7_T8_P12ihipStream_tbENKUlT_T0_E_clISt17integral_constantIbLb0EES13_EEDaSY_SZ_EUlSY_E_NS1_11comp_targetILNS1_3genE2ELNS1_11target_archE906ELNS1_3gpuE6ELNS1_3repE0EEENS1_30default_config_static_selectorELNS0_4arch9wavefront6targetE0EEEvT1_,"axG",@progbits,_ZN7rocprim17ROCPRIM_400000_NS6detail17trampoline_kernelINS0_14default_configENS1_29reduce_by_key_config_selectorItjN6thrust23THRUST_200600_302600_NS4plusIjEEEEZZNS1_33reduce_by_key_impl_wrapped_configILNS1_25lookback_scan_determinismE0ES3_S9_NS6_6detail15normal_iteratorINS6_10device_ptrItEEEENSD_INSE_IjEEEESG_SI_PmS8_NS6_8equal_toItEEEE10hipError_tPvRmT2_T3_mT4_T5_T6_T7_T8_P12ihipStream_tbENKUlT_T0_E_clISt17integral_constantIbLb0EES13_EEDaSY_SZ_EUlSY_E_NS1_11comp_targetILNS1_3genE2ELNS1_11target_archE906ELNS1_3gpuE6ELNS1_3repE0EEENS1_30default_config_static_selectorELNS0_4arch9wavefront6targetE0EEEvT1_,comdat
.Lfunc_end737:
	.size	_ZN7rocprim17ROCPRIM_400000_NS6detail17trampoline_kernelINS0_14default_configENS1_29reduce_by_key_config_selectorItjN6thrust23THRUST_200600_302600_NS4plusIjEEEEZZNS1_33reduce_by_key_impl_wrapped_configILNS1_25lookback_scan_determinismE0ES3_S9_NS6_6detail15normal_iteratorINS6_10device_ptrItEEEENSD_INSE_IjEEEESG_SI_PmS8_NS6_8equal_toItEEEE10hipError_tPvRmT2_T3_mT4_T5_T6_T7_T8_P12ihipStream_tbENKUlT_T0_E_clISt17integral_constantIbLb0EES13_EEDaSY_SZ_EUlSY_E_NS1_11comp_targetILNS1_3genE2ELNS1_11target_archE906ELNS1_3gpuE6ELNS1_3repE0EEENS1_30default_config_static_selectorELNS0_4arch9wavefront6targetE0EEEvT1_, .Lfunc_end737-_ZN7rocprim17ROCPRIM_400000_NS6detail17trampoline_kernelINS0_14default_configENS1_29reduce_by_key_config_selectorItjN6thrust23THRUST_200600_302600_NS4plusIjEEEEZZNS1_33reduce_by_key_impl_wrapped_configILNS1_25lookback_scan_determinismE0ES3_S9_NS6_6detail15normal_iteratorINS6_10device_ptrItEEEENSD_INSE_IjEEEESG_SI_PmS8_NS6_8equal_toItEEEE10hipError_tPvRmT2_T3_mT4_T5_T6_T7_T8_P12ihipStream_tbENKUlT_T0_E_clISt17integral_constantIbLb0EES13_EEDaSY_SZ_EUlSY_E_NS1_11comp_targetILNS1_3genE2ELNS1_11target_archE906ELNS1_3gpuE6ELNS1_3repE0EEENS1_30default_config_static_selectorELNS0_4arch9wavefront6targetE0EEEvT1_
                                        ; -- End function
	.section	.AMDGPU.csdata,"",@progbits
; Kernel info:
; codeLenInByte = 0
; NumSgprs: 0
; NumVgprs: 0
; ScratchSize: 0
; MemoryBound: 0
; FloatMode: 240
; IeeeMode: 1
; LDSByteSize: 0 bytes/workgroup (compile time only)
; SGPRBlocks: 0
; VGPRBlocks: 0
; NumSGPRsForWavesPerEU: 1
; NumVGPRsForWavesPerEU: 1
; Occupancy: 16
; WaveLimiterHint : 0
; COMPUTE_PGM_RSRC2:SCRATCH_EN: 0
; COMPUTE_PGM_RSRC2:USER_SGPR: 15
; COMPUTE_PGM_RSRC2:TRAP_HANDLER: 0
; COMPUTE_PGM_RSRC2:TGID_X_EN: 1
; COMPUTE_PGM_RSRC2:TGID_Y_EN: 0
; COMPUTE_PGM_RSRC2:TGID_Z_EN: 0
; COMPUTE_PGM_RSRC2:TIDIG_COMP_CNT: 0
	.section	.text._ZN7rocprim17ROCPRIM_400000_NS6detail17trampoline_kernelINS0_14default_configENS1_29reduce_by_key_config_selectorItjN6thrust23THRUST_200600_302600_NS4plusIjEEEEZZNS1_33reduce_by_key_impl_wrapped_configILNS1_25lookback_scan_determinismE0ES3_S9_NS6_6detail15normal_iteratorINS6_10device_ptrItEEEENSD_INSE_IjEEEESG_SI_PmS8_NS6_8equal_toItEEEE10hipError_tPvRmT2_T3_mT4_T5_T6_T7_T8_P12ihipStream_tbENKUlT_T0_E_clISt17integral_constantIbLb0EES13_EEDaSY_SZ_EUlSY_E_NS1_11comp_targetILNS1_3genE10ELNS1_11target_archE1201ELNS1_3gpuE5ELNS1_3repE0EEENS1_30default_config_static_selectorELNS0_4arch9wavefront6targetE0EEEvT1_,"axG",@progbits,_ZN7rocprim17ROCPRIM_400000_NS6detail17trampoline_kernelINS0_14default_configENS1_29reduce_by_key_config_selectorItjN6thrust23THRUST_200600_302600_NS4plusIjEEEEZZNS1_33reduce_by_key_impl_wrapped_configILNS1_25lookback_scan_determinismE0ES3_S9_NS6_6detail15normal_iteratorINS6_10device_ptrItEEEENSD_INSE_IjEEEESG_SI_PmS8_NS6_8equal_toItEEEE10hipError_tPvRmT2_T3_mT4_T5_T6_T7_T8_P12ihipStream_tbENKUlT_T0_E_clISt17integral_constantIbLb0EES13_EEDaSY_SZ_EUlSY_E_NS1_11comp_targetILNS1_3genE10ELNS1_11target_archE1201ELNS1_3gpuE5ELNS1_3repE0EEENS1_30default_config_static_selectorELNS0_4arch9wavefront6targetE0EEEvT1_,comdat
	.protected	_ZN7rocprim17ROCPRIM_400000_NS6detail17trampoline_kernelINS0_14default_configENS1_29reduce_by_key_config_selectorItjN6thrust23THRUST_200600_302600_NS4plusIjEEEEZZNS1_33reduce_by_key_impl_wrapped_configILNS1_25lookback_scan_determinismE0ES3_S9_NS6_6detail15normal_iteratorINS6_10device_ptrItEEEENSD_INSE_IjEEEESG_SI_PmS8_NS6_8equal_toItEEEE10hipError_tPvRmT2_T3_mT4_T5_T6_T7_T8_P12ihipStream_tbENKUlT_T0_E_clISt17integral_constantIbLb0EES13_EEDaSY_SZ_EUlSY_E_NS1_11comp_targetILNS1_3genE10ELNS1_11target_archE1201ELNS1_3gpuE5ELNS1_3repE0EEENS1_30default_config_static_selectorELNS0_4arch9wavefront6targetE0EEEvT1_ ; -- Begin function _ZN7rocprim17ROCPRIM_400000_NS6detail17trampoline_kernelINS0_14default_configENS1_29reduce_by_key_config_selectorItjN6thrust23THRUST_200600_302600_NS4plusIjEEEEZZNS1_33reduce_by_key_impl_wrapped_configILNS1_25lookback_scan_determinismE0ES3_S9_NS6_6detail15normal_iteratorINS6_10device_ptrItEEEENSD_INSE_IjEEEESG_SI_PmS8_NS6_8equal_toItEEEE10hipError_tPvRmT2_T3_mT4_T5_T6_T7_T8_P12ihipStream_tbENKUlT_T0_E_clISt17integral_constantIbLb0EES13_EEDaSY_SZ_EUlSY_E_NS1_11comp_targetILNS1_3genE10ELNS1_11target_archE1201ELNS1_3gpuE5ELNS1_3repE0EEENS1_30default_config_static_selectorELNS0_4arch9wavefront6targetE0EEEvT1_
	.globl	_ZN7rocprim17ROCPRIM_400000_NS6detail17trampoline_kernelINS0_14default_configENS1_29reduce_by_key_config_selectorItjN6thrust23THRUST_200600_302600_NS4plusIjEEEEZZNS1_33reduce_by_key_impl_wrapped_configILNS1_25lookback_scan_determinismE0ES3_S9_NS6_6detail15normal_iteratorINS6_10device_ptrItEEEENSD_INSE_IjEEEESG_SI_PmS8_NS6_8equal_toItEEEE10hipError_tPvRmT2_T3_mT4_T5_T6_T7_T8_P12ihipStream_tbENKUlT_T0_E_clISt17integral_constantIbLb0EES13_EEDaSY_SZ_EUlSY_E_NS1_11comp_targetILNS1_3genE10ELNS1_11target_archE1201ELNS1_3gpuE5ELNS1_3repE0EEENS1_30default_config_static_selectorELNS0_4arch9wavefront6targetE0EEEvT1_
	.p2align	8
	.type	_ZN7rocprim17ROCPRIM_400000_NS6detail17trampoline_kernelINS0_14default_configENS1_29reduce_by_key_config_selectorItjN6thrust23THRUST_200600_302600_NS4plusIjEEEEZZNS1_33reduce_by_key_impl_wrapped_configILNS1_25lookback_scan_determinismE0ES3_S9_NS6_6detail15normal_iteratorINS6_10device_ptrItEEEENSD_INSE_IjEEEESG_SI_PmS8_NS6_8equal_toItEEEE10hipError_tPvRmT2_T3_mT4_T5_T6_T7_T8_P12ihipStream_tbENKUlT_T0_E_clISt17integral_constantIbLb0EES13_EEDaSY_SZ_EUlSY_E_NS1_11comp_targetILNS1_3genE10ELNS1_11target_archE1201ELNS1_3gpuE5ELNS1_3repE0EEENS1_30default_config_static_selectorELNS0_4arch9wavefront6targetE0EEEvT1_,@function
_ZN7rocprim17ROCPRIM_400000_NS6detail17trampoline_kernelINS0_14default_configENS1_29reduce_by_key_config_selectorItjN6thrust23THRUST_200600_302600_NS4plusIjEEEEZZNS1_33reduce_by_key_impl_wrapped_configILNS1_25lookback_scan_determinismE0ES3_S9_NS6_6detail15normal_iteratorINS6_10device_ptrItEEEENSD_INSE_IjEEEESG_SI_PmS8_NS6_8equal_toItEEEE10hipError_tPvRmT2_T3_mT4_T5_T6_T7_T8_P12ihipStream_tbENKUlT_T0_E_clISt17integral_constantIbLb0EES13_EEDaSY_SZ_EUlSY_E_NS1_11comp_targetILNS1_3genE10ELNS1_11target_archE1201ELNS1_3gpuE5ELNS1_3repE0EEENS1_30default_config_static_selectorELNS0_4arch9wavefront6targetE0EEEvT1_: ; @_ZN7rocprim17ROCPRIM_400000_NS6detail17trampoline_kernelINS0_14default_configENS1_29reduce_by_key_config_selectorItjN6thrust23THRUST_200600_302600_NS4plusIjEEEEZZNS1_33reduce_by_key_impl_wrapped_configILNS1_25lookback_scan_determinismE0ES3_S9_NS6_6detail15normal_iteratorINS6_10device_ptrItEEEENSD_INSE_IjEEEESG_SI_PmS8_NS6_8equal_toItEEEE10hipError_tPvRmT2_T3_mT4_T5_T6_T7_T8_P12ihipStream_tbENKUlT_T0_E_clISt17integral_constantIbLb0EES13_EEDaSY_SZ_EUlSY_E_NS1_11comp_targetILNS1_3genE10ELNS1_11target_archE1201ELNS1_3gpuE5ELNS1_3repE0EEENS1_30default_config_static_selectorELNS0_4arch9wavefront6targetE0EEEvT1_
; %bb.0:
	.section	.rodata,"a",@progbits
	.p2align	6, 0x0
	.amdhsa_kernel _ZN7rocprim17ROCPRIM_400000_NS6detail17trampoline_kernelINS0_14default_configENS1_29reduce_by_key_config_selectorItjN6thrust23THRUST_200600_302600_NS4plusIjEEEEZZNS1_33reduce_by_key_impl_wrapped_configILNS1_25lookback_scan_determinismE0ES3_S9_NS6_6detail15normal_iteratorINS6_10device_ptrItEEEENSD_INSE_IjEEEESG_SI_PmS8_NS6_8equal_toItEEEE10hipError_tPvRmT2_T3_mT4_T5_T6_T7_T8_P12ihipStream_tbENKUlT_T0_E_clISt17integral_constantIbLb0EES13_EEDaSY_SZ_EUlSY_E_NS1_11comp_targetILNS1_3genE10ELNS1_11target_archE1201ELNS1_3gpuE5ELNS1_3repE0EEENS1_30default_config_static_selectorELNS0_4arch9wavefront6targetE0EEEvT1_
		.amdhsa_group_segment_fixed_size 0
		.amdhsa_private_segment_fixed_size 0
		.amdhsa_kernarg_size 120
		.amdhsa_user_sgpr_count 15
		.amdhsa_user_sgpr_dispatch_ptr 0
		.amdhsa_user_sgpr_queue_ptr 0
		.amdhsa_user_sgpr_kernarg_segment_ptr 1
		.amdhsa_user_sgpr_dispatch_id 0
		.amdhsa_user_sgpr_private_segment_size 0
		.amdhsa_wavefront_size32 1
		.amdhsa_uses_dynamic_stack 0
		.amdhsa_enable_private_segment 0
		.amdhsa_system_sgpr_workgroup_id_x 1
		.amdhsa_system_sgpr_workgroup_id_y 0
		.amdhsa_system_sgpr_workgroup_id_z 0
		.amdhsa_system_sgpr_workgroup_info 0
		.amdhsa_system_vgpr_workitem_id 0
		.amdhsa_next_free_vgpr 1
		.amdhsa_next_free_sgpr 1
		.amdhsa_reserve_vcc 0
		.amdhsa_float_round_mode_32 0
		.amdhsa_float_round_mode_16_64 0
		.amdhsa_float_denorm_mode_32 3
		.amdhsa_float_denorm_mode_16_64 3
		.amdhsa_dx10_clamp 1
		.amdhsa_ieee_mode 1
		.amdhsa_fp16_overflow 0
		.amdhsa_workgroup_processor_mode 1
		.amdhsa_memory_ordered 1
		.amdhsa_forward_progress 0
		.amdhsa_shared_vgpr_count 0
		.amdhsa_exception_fp_ieee_invalid_op 0
		.amdhsa_exception_fp_denorm_src 0
		.amdhsa_exception_fp_ieee_div_zero 0
		.amdhsa_exception_fp_ieee_overflow 0
		.amdhsa_exception_fp_ieee_underflow 0
		.amdhsa_exception_fp_ieee_inexact 0
		.amdhsa_exception_int_div_zero 0
	.end_amdhsa_kernel
	.section	.text._ZN7rocprim17ROCPRIM_400000_NS6detail17trampoline_kernelINS0_14default_configENS1_29reduce_by_key_config_selectorItjN6thrust23THRUST_200600_302600_NS4plusIjEEEEZZNS1_33reduce_by_key_impl_wrapped_configILNS1_25lookback_scan_determinismE0ES3_S9_NS6_6detail15normal_iteratorINS6_10device_ptrItEEEENSD_INSE_IjEEEESG_SI_PmS8_NS6_8equal_toItEEEE10hipError_tPvRmT2_T3_mT4_T5_T6_T7_T8_P12ihipStream_tbENKUlT_T0_E_clISt17integral_constantIbLb0EES13_EEDaSY_SZ_EUlSY_E_NS1_11comp_targetILNS1_3genE10ELNS1_11target_archE1201ELNS1_3gpuE5ELNS1_3repE0EEENS1_30default_config_static_selectorELNS0_4arch9wavefront6targetE0EEEvT1_,"axG",@progbits,_ZN7rocprim17ROCPRIM_400000_NS6detail17trampoline_kernelINS0_14default_configENS1_29reduce_by_key_config_selectorItjN6thrust23THRUST_200600_302600_NS4plusIjEEEEZZNS1_33reduce_by_key_impl_wrapped_configILNS1_25lookback_scan_determinismE0ES3_S9_NS6_6detail15normal_iteratorINS6_10device_ptrItEEEENSD_INSE_IjEEEESG_SI_PmS8_NS6_8equal_toItEEEE10hipError_tPvRmT2_T3_mT4_T5_T6_T7_T8_P12ihipStream_tbENKUlT_T0_E_clISt17integral_constantIbLb0EES13_EEDaSY_SZ_EUlSY_E_NS1_11comp_targetILNS1_3genE10ELNS1_11target_archE1201ELNS1_3gpuE5ELNS1_3repE0EEENS1_30default_config_static_selectorELNS0_4arch9wavefront6targetE0EEEvT1_,comdat
.Lfunc_end738:
	.size	_ZN7rocprim17ROCPRIM_400000_NS6detail17trampoline_kernelINS0_14default_configENS1_29reduce_by_key_config_selectorItjN6thrust23THRUST_200600_302600_NS4plusIjEEEEZZNS1_33reduce_by_key_impl_wrapped_configILNS1_25lookback_scan_determinismE0ES3_S9_NS6_6detail15normal_iteratorINS6_10device_ptrItEEEENSD_INSE_IjEEEESG_SI_PmS8_NS6_8equal_toItEEEE10hipError_tPvRmT2_T3_mT4_T5_T6_T7_T8_P12ihipStream_tbENKUlT_T0_E_clISt17integral_constantIbLb0EES13_EEDaSY_SZ_EUlSY_E_NS1_11comp_targetILNS1_3genE10ELNS1_11target_archE1201ELNS1_3gpuE5ELNS1_3repE0EEENS1_30default_config_static_selectorELNS0_4arch9wavefront6targetE0EEEvT1_, .Lfunc_end738-_ZN7rocprim17ROCPRIM_400000_NS6detail17trampoline_kernelINS0_14default_configENS1_29reduce_by_key_config_selectorItjN6thrust23THRUST_200600_302600_NS4plusIjEEEEZZNS1_33reduce_by_key_impl_wrapped_configILNS1_25lookback_scan_determinismE0ES3_S9_NS6_6detail15normal_iteratorINS6_10device_ptrItEEEENSD_INSE_IjEEEESG_SI_PmS8_NS6_8equal_toItEEEE10hipError_tPvRmT2_T3_mT4_T5_T6_T7_T8_P12ihipStream_tbENKUlT_T0_E_clISt17integral_constantIbLb0EES13_EEDaSY_SZ_EUlSY_E_NS1_11comp_targetILNS1_3genE10ELNS1_11target_archE1201ELNS1_3gpuE5ELNS1_3repE0EEENS1_30default_config_static_selectorELNS0_4arch9wavefront6targetE0EEEvT1_
                                        ; -- End function
	.section	.AMDGPU.csdata,"",@progbits
; Kernel info:
; codeLenInByte = 0
; NumSgprs: 0
; NumVgprs: 0
; ScratchSize: 0
; MemoryBound: 0
; FloatMode: 240
; IeeeMode: 1
; LDSByteSize: 0 bytes/workgroup (compile time only)
; SGPRBlocks: 0
; VGPRBlocks: 0
; NumSGPRsForWavesPerEU: 1
; NumVGPRsForWavesPerEU: 1
; Occupancy: 16
; WaveLimiterHint : 0
; COMPUTE_PGM_RSRC2:SCRATCH_EN: 0
; COMPUTE_PGM_RSRC2:USER_SGPR: 15
; COMPUTE_PGM_RSRC2:TRAP_HANDLER: 0
; COMPUTE_PGM_RSRC2:TGID_X_EN: 1
; COMPUTE_PGM_RSRC2:TGID_Y_EN: 0
; COMPUTE_PGM_RSRC2:TGID_Z_EN: 0
; COMPUTE_PGM_RSRC2:TIDIG_COMP_CNT: 0
	.section	.text._ZN7rocprim17ROCPRIM_400000_NS6detail17trampoline_kernelINS0_14default_configENS1_29reduce_by_key_config_selectorItjN6thrust23THRUST_200600_302600_NS4plusIjEEEEZZNS1_33reduce_by_key_impl_wrapped_configILNS1_25lookback_scan_determinismE0ES3_S9_NS6_6detail15normal_iteratorINS6_10device_ptrItEEEENSD_INSE_IjEEEESG_SI_PmS8_NS6_8equal_toItEEEE10hipError_tPvRmT2_T3_mT4_T5_T6_T7_T8_P12ihipStream_tbENKUlT_T0_E_clISt17integral_constantIbLb0EES13_EEDaSY_SZ_EUlSY_E_NS1_11comp_targetILNS1_3genE10ELNS1_11target_archE1200ELNS1_3gpuE4ELNS1_3repE0EEENS1_30default_config_static_selectorELNS0_4arch9wavefront6targetE0EEEvT1_,"axG",@progbits,_ZN7rocprim17ROCPRIM_400000_NS6detail17trampoline_kernelINS0_14default_configENS1_29reduce_by_key_config_selectorItjN6thrust23THRUST_200600_302600_NS4plusIjEEEEZZNS1_33reduce_by_key_impl_wrapped_configILNS1_25lookback_scan_determinismE0ES3_S9_NS6_6detail15normal_iteratorINS6_10device_ptrItEEEENSD_INSE_IjEEEESG_SI_PmS8_NS6_8equal_toItEEEE10hipError_tPvRmT2_T3_mT4_T5_T6_T7_T8_P12ihipStream_tbENKUlT_T0_E_clISt17integral_constantIbLb0EES13_EEDaSY_SZ_EUlSY_E_NS1_11comp_targetILNS1_3genE10ELNS1_11target_archE1200ELNS1_3gpuE4ELNS1_3repE0EEENS1_30default_config_static_selectorELNS0_4arch9wavefront6targetE0EEEvT1_,comdat
	.protected	_ZN7rocprim17ROCPRIM_400000_NS6detail17trampoline_kernelINS0_14default_configENS1_29reduce_by_key_config_selectorItjN6thrust23THRUST_200600_302600_NS4plusIjEEEEZZNS1_33reduce_by_key_impl_wrapped_configILNS1_25lookback_scan_determinismE0ES3_S9_NS6_6detail15normal_iteratorINS6_10device_ptrItEEEENSD_INSE_IjEEEESG_SI_PmS8_NS6_8equal_toItEEEE10hipError_tPvRmT2_T3_mT4_T5_T6_T7_T8_P12ihipStream_tbENKUlT_T0_E_clISt17integral_constantIbLb0EES13_EEDaSY_SZ_EUlSY_E_NS1_11comp_targetILNS1_3genE10ELNS1_11target_archE1200ELNS1_3gpuE4ELNS1_3repE0EEENS1_30default_config_static_selectorELNS0_4arch9wavefront6targetE0EEEvT1_ ; -- Begin function _ZN7rocprim17ROCPRIM_400000_NS6detail17trampoline_kernelINS0_14default_configENS1_29reduce_by_key_config_selectorItjN6thrust23THRUST_200600_302600_NS4plusIjEEEEZZNS1_33reduce_by_key_impl_wrapped_configILNS1_25lookback_scan_determinismE0ES3_S9_NS6_6detail15normal_iteratorINS6_10device_ptrItEEEENSD_INSE_IjEEEESG_SI_PmS8_NS6_8equal_toItEEEE10hipError_tPvRmT2_T3_mT4_T5_T6_T7_T8_P12ihipStream_tbENKUlT_T0_E_clISt17integral_constantIbLb0EES13_EEDaSY_SZ_EUlSY_E_NS1_11comp_targetILNS1_3genE10ELNS1_11target_archE1200ELNS1_3gpuE4ELNS1_3repE0EEENS1_30default_config_static_selectorELNS0_4arch9wavefront6targetE0EEEvT1_
	.globl	_ZN7rocprim17ROCPRIM_400000_NS6detail17trampoline_kernelINS0_14default_configENS1_29reduce_by_key_config_selectorItjN6thrust23THRUST_200600_302600_NS4plusIjEEEEZZNS1_33reduce_by_key_impl_wrapped_configILNS1_25lookback_scan_determinismE0ES3_S9_NS6_6detail15normal_iteratorINS6_10device_ptrItEEEENSD_INSE_IjEEEESG_SI_PmS8_NS6_8equal_toItEEEE10hipError_tPvRmT2_T3_mT4_T5_T6_T7_T8_P12ihipStream_tbENKUlT_T0_E_clISt17integral_constantIbLb0EES13_EEDaSY_SZ_EUlSY_E_NS1_11comp_targetILNS1_3genE10ELNS1_11target_archE1200ELNS1_3gpuE4ELNS1_3repE0EEENS1_30default_config_static_selectorELNS0_4arch9wavefront6targetE0EEEvT1_
	.p2align	8
	.type	_ZN7rocprim17ROCPRIM_400000_NS6detail17trampoline_kernelINS0_14default_configENS1_29reduce_by_key_config_selectorItjN6thrust23THRUST_200600_302600_NS4plusIjEEEEZZNS1_33reduce_by_key_impl_wrapped_configILNS1_25lookback_scan_determinismE0ES3_S9_NS6_6detail15normal_iteratorINS6_10device_ptrItEEEENSD_INSE_IjEEEESG_SI_PmS8_NS6_8equal_toItEEEE10hipError_tPvRmT2_T3_mT4_T5_T6_T7_T8_P12ihipStream_tbENKUlT_T0_E_clISt17integral_constantIbLb0EES13_EEDaSY_SZ_EUlSY_E_NS1_11comp_targetILNS1_3genE10ELNS1_11target_archE1200ELNS1_3gpuE4ELNS1_3repE0EEENS1_30default_config_static_selectorELNS0_4arch9wavefront6targetE0EEEvT1_,@function
_ZN7rocprim17ROCPRIM_400000_NS6detail17trampoline_kernelINS0_14default_configENS1_29reduce_by_key_config_selectorItjN6thrust23THRUST_200600_302600_NS4plusIjEEEEZZNS1_33reduce_by_key_impl_wrapped_configILNS1_25lookback_scan_determinismE0ES3_S9_NS6_6detail15normal_iteratorINS6_10device_ptrItEEEENSD_INSE_IjEEEESG_SI_PmS8_NS6_8equal_toItEEEE10hipError_tPvRmT2_T3_mT4_T5_T6_T7_T8_P12ihipStream_tbENKUlT_T0_E_clISt17integral_constantIbLb0EES13_EEDaSY_SZ_EUlSY_E_NS1_11comp_targetILNS1_3genE10ELNS1_11target_archE1200ELNS1_3gpuE4ELNS1_3repE0EEENS1_30default_config_static_selectorELNS0_4arch9wavefront6targetE0EEEvT1_: ; @_ZN7rocprim17ROCPRIM_400000_NS6detail17trampoline_kernelINS0_14default_configENS1_29reduce_by_key_config_selectorItjN6thrust23THRUST_200600_302600_NS4plusIjEEEEZZNS1_33reduce_by_key_impl_wrapped_configILNS1_25lookback_scan_determinismE0ES3_S9_NS6_6detail15normal_iteratorINS6_10device_ptrItEEEENSD_INSE_IjEEEESG_SI_PmS8_NS6_8equal_toItEEEE10hipError_tPvRmT2_T3_mT4_T5_T6_T7_T8_P12ihipStream_tbENKUlT_T0_E_clISt17integral_constantIbLb0EES13_EEDaSY_SZ_EUlSY_E_NS1_11comp_targetILNS1_3genE10ELNS1_11target_archE1200ELNS1_3gpuE4ELNS1_3repE0EEENS1_30default_config_static_selectorELNS0_4arch9wavefront6targetE0EEEvT1_
; %bb.0:
	.section	.rodata,"a",@progbits
	.p2align	6, 0x0
	.amdhsa_kernel _ZN7rocprim17ROCPRIM_400000_NS6detail17trampoline_kernelINS0_14default_configENS1_29reduce_by_key_config_selectorItjN6thrust23THRUST_200600_302600_NS4plusIjEEEEZZNS1_33reduce_by_key_impl_wrapped_configILNS1_25lookback_scan_determinismE0ES3_S9_NS6_6detail15normal_iteratorINS6_10device_ptrItEEEENSD_INSE_IjEEEESG_SI_PmS8_NS6_8equal_toItEEEE10hipError_tPvRmT2_T3_mT4_T5_T6_T7_T8_P12ihipStream_tbENKUlT_T0_E_clISt17integral_constantIbLb0EES13_EEDaSY_SZ_EUlSY_E_NS1_11comp_targetILNS1_3genE10ELNS1_11target_archE1200ELNS1_3gpuE4ELNS1_3repE0EEENS1_30default_config_static_selectorELNS0_4arch9wavefront6targetE0EEEvT1_
		.amdhsa_group_segment_fixed_size 0
		.amdhsa_private_segment_fixed_size 0
		.amdhsa_kernarg_size 120
		.amdhsa_user_sgpr_count 15
		.amdhsa_user_sgpr_dispatch_ptr 0
		.amdhsa_user_sgpr_queue_ptr 0
		.amdhsa_user_sgpr_kernarg_segment_ptr 1
		.amdhsa_user_sgpr_dispatch_id 0
		.amdhsa_user_sgpr_private_segment_size 0
		.amdhsa_wavefront_size32 1
		.amdhsa_uses_dynamic_stack 0
		.amdhsa_enable_private_segment 0
		.amdhsa_system_sgpr_workgroup_id_x 1
		.amdhsa_system_sgpr_workgroup_id_y 0
		.amdhsa_system_sgpr_workgroup_id_z 0
		.amdhsa_system_sgpr_workgroup_info 0
		.amdhsa_system_vgpr_workitem_id 0
		.amdhsa_next_free_vgpr 1
		.amdhsa_next_free_sgpr 1
		.amdhsa_reserve_vcc 0
		.amdhsa_float_round_mode_32 0
		.amdhsa_float_round_mode_16_64 0
		.amdhsa_float_denorm_mode_32 3
		.amdhsa_float_denorm_mode_16_64 3
		.amdhsa_dx10_clamp 1
		.amdhsa_ieee_mode 1
		.amdhsa_fp16_overflow 0
		.amdhsa_workgroup_processor_mode 1
		.amdhsa_memory_ordered 1
		.amdhsa_forward_progress 0
		.amdhsa_shared_vgpr_count 0
		.amdhsa_exception_fp_ieee_invalid_op 0
		.amdhsa_exception_fp_denorm_src 0
		.amdhsa_exception_fp_ieee_div_zero 0
		.amdhsa_exception_fp_ieee_overflow 0
		.amdhsa_exception_fp_ieee_underflow 0
		.amdhsa_exception_fp_ieee_inexact 0
		.amdhsa_exception_int_div_zero 0
	.end_amdhsa_kernel
	.section	.text._ZN7rocprim17ROCPRIM_400000_NS6detail17trampoline_kernelINS0_14default_configENS1_29reduce_by_key_config_selectorItjN6thrust23THRUST_200600_302600_NS4plusIjEEEEZZNS1_33reduce_by_key_impl_wrapped_configILNS1_25lookback_scan_determinismE0ES3_S9_NS6_6detail15normal_iteratorINS6_10device_ptrItEEEENSD_INSE_IjEEEESG_SI_PmS8_NS6_8equal_toItEEEE10hipError_tPvRmT2_T3_mT4_T5_T6_T7_T8_P12ihipStream_tbENKUlT_T0_E_clISt17integral_constantIbLb0EES13_EEDaSY_SZ_EUlSY_E_NS1_11comp_targetILNS1_3genE10ELNS1_11target_archE1200ELNS1_3gpuE4ELNS1_3repE0EEENS1_30default_config_static_selectorELNS0_4arch9wavefront6targetE0EEEvT1_,"axG",@progbits,_ZN7rocprim17ROCPRIM_400000_NS6detail17trampoline_kernelINS0_14default_configENS1_29reduce_by_key_config_selectorItjN6thrust23THRUST_200600_302600_NS4plusIjEEEEZZNS1_33reduce_by_key_impl_wrapped_configILNS1_25lookback_scan_determinismE0ES3_S9_NS6_6detail15normal_iteratorINS6_10device_ptrItEEEENSD_INSE_IjEEEESG_SI_PmS8_NS6_8equal_toItEEEE10hipError_tPvRmT2_T3_mT4_T5_T6_T7_T8_P12ihipStream_tbENKUlT_T0_E_clISt17integral_constantIbLb0EES13_EEDaSY_SZ_EUlSY_E_NS1_11comp_targetILNS1_3genE10ELNS1_11target_archE1200ELNS1_3gpuE4ELNS1_3repE0EEENS1_30default_config_static_selectorELNS0_4arch9wavefront6targetE0EEEvT1_,comdat
.Lfunc_end739:
	.size	_ZN7rocprim17ROCPRIM_400000_NS6detail17trampoline_kernelINS0_14default_configENS1_29reduce_by_key_config_selectorItjN6thrust23THRUST_200600_302600_NS4plusIjEEEEZZNS1_33reduce_by_key_impl_wrapped_configILNS1_25lookback_scan_determinismE0ES3_S9_NS6_6detail15normal_iteratorINS6_10device_ptrItEEEENSD_INSE_IjEEEESG_SI_PmS8_NS6_8equal_toItEEEE10hipError_tPvRmT2_T3_mT4_T5_T6_T7_T8_P12ihipStream_tbENKUlT_T0_E_clISt17integral_constantIbLb0EES13_EEDaSY_SZ_EUlSY_E_NS1_11comp_targetILNS1_3genE10ELNS1_11target_archE1200ELNS1_3gpuE4ELNS1_3repE0EEENS1_30default_config_static_selectorELNS0_4arch9wavefront6targetE0EEEvT1_, .Lfunc_end739-_ZN7rocprim17ROCPRIM_400000_NS6detail17trampoline_kernelINS0_14default_configENS1_29reduce_by_key_config_selectorItjN6thrust23THRUST_200600_302600_NS4plusIjEEEEZZNS1_33reduce_by_key_impl_wrapped_configILNS1_25lookback_scan_determinismE0ES3_S9_NS6_6detail15normal_iteratorINS6_10device_ptrItEEEENSD_INSE_IjEEEESG_SI_PmS8_NS6_8equal_toItEEEE10hipError_tPvRmT2_T3_mT4_T5_T6_T7_T8_P12ihipStream_tbENKUlT_T0_E_clISt17integral_constantIbLb0EES13_EEDaSY_SZ_EUlSY_E_NS1_11comp_targetILNS1_3genE10ELNS1_11target_archE1200ELNS1_3gpuE4ELNS1_3repE0EEENS1_30default_config_static_selectorELNS0_4arch9wavefront6targetE0EEEvT1_
                                        ; -- End function
	.section	.AMDGPU.csdata,"",@progbits
; Kernel info:
; codeLenInByte = 0
; NumSgprs: 0
; NumVgprs: 0
; ScratchSize: 0
; MemoryBound: 0
; FloatMode: 240
; IeeeMode: 1
; LDSByteSize: 0 bytes/workgroup (compile time only)
; SGPRBlocks: 0
; VGPRBlocks: 0
; NumSGPRsForWavesPerEU: 1
; NumVGPRsForWavesPerEU: 1
; Occupancy: 16
; WaveLimiterHint : 0
; COMPUTE_PGM_RSRC2:SCRATCH_EN: 0
; COMPUTE_PGM_RSRC2:USER_SGPR: 15
; COMPUTE_PGM_RSRC2:TRAP_HANDLER: 0
; COMPUTE_PGM_RSRC2:TGID_X_EN: 1
; COMPUTE_PGM_RSRC2:TGID_Y_EN: 0
; COMPUTE_PGM_RSRC2:TGID_Z_EN: 0
; COMPUTE_PGM_RSRC2:TIDIG_COMP_CNT: 0
	.section	.text._ZN7rocprim17ROCPRIM_400000_NS6detail17trampoline_kernelINS0_14default_configENS1_29reduce_by_key_config_selectorItjN6thrust23THRUST_200600_302600_NS4plusIjEEEEZZNS1_33reduce_by_key_impl_wrapped_configILNS1_25lookback_scan_determinismE0ES3_S9_NS6_6detail15normal_iteratorINS6_10device_ptrItEEEENSD_INSE_IjEEEESG_SI_PmS8_NS6_8equal_toItEEEE10hipError_tPvRmT2_T3_mT4_T5_T6_T7_T8_P12ihipStream_tbENKUlT_T0_E_clISt17integral_constantIbLb0EES13_EEDaSY_SZ_EUlSY_E_NS1_11comp_targetILNS1_3genE9ELNS1_11target_archE1100ELNS1_3gpuE3ELNS1_3repE0EEENS1_30default_config_static_selectorELNS0_4arch9wavefront6targetE0EEEvT1_,"axG",@progbits,_ZN7rocprim17ROCPRIM_400000_NS6detail17trampoline_kernelINS0_14default_configENS1_29reduce_by_key_config_selectorItjN6thrust23THRUST_200600_302600_NS4plusIjEEEEZZNS1_33reduce_by_key_impl_wrapped_configILNS1_25lookback_scan_determinismE0ES3_S9_NS6_6detail15normal_iteratorINS6_10device_ptrItEEEENSD_INSE_IjEEEESG_SI_PmS8_NS6_8equal_toItEEEE10hipError_tPvRmT2_T3_mT4_T5_T6_T7_T8_P12ihipStream_tbENKUlT_T0_E_clISt17integral_constantIbLb0EES13_EEDaSY_SZ_EUlSY_E_NS1_11comp_targetILNS1_3genE9ELNS1_11target_archE1100ELNS1_3gpuE3ELNS1_3repE0EEENS1_30default_config_static_selectorELNS0_4arch9wavefront6targetE0EEEvT1_,comdat
	.protected	_ZN7rocprim17ROCPRIM_400000_NS6detail17trampoline_kernelINS0_14default_configENS1_29reduce_by_key_config_selectorItjN6thrust23THRUST_200600_302600_NS4plusIjEEEEZZNS1_33reduce_by_key_impl_wrapped_configILNS1_25lookback_scan_determinismE0ES3_S9_NS6_6detail15normal_iteratorINS6_10device_ptrItEEEENSD_INSE_IjEEEESG_SI_PmS8_NS6_8equal_toItEEEE10hipError_tPvRmT2_T3_mT4_T5_T6_T7_T8_P12ihipStream_tbENKUlT_T0_E_clISt17integral_constantIbLb0EES13_EEDaSY_SZ_EUlSY_E_NS1_11comp_targetILNS1_3genE9ELNS1_11target_archE1100ELNS1_3gpuE3ELNS1_3repE0EEENS1_30default_config_static_selectorELNS0_4arch9wavefront6targetE0EEEvT1_ ; -- Begin function _ZN7rocprim17ROCPRIM_400000_NS6detail17trampoline_kernelINS0_14default_configENS1_29reduce_by_key_config_selectorItjN6thrust23THRUST_200600_302600_NS4plusIjEEEEZZNS1_33reduce_by_key_impl_wrapped_configILNS1_25lookback_scan_determinismE0ES3_S9_NS6_6detail15normal_iteratorINS6_10device_ptrItEEEENSD_INSE_IjEEEESG_SI_PmS8_NS6_8equal_toItEEEE10hipError_tPvRmT2_T3_mT4_T5_T6_T7_T8_P12ihipStream_tbENKUlT_T0_E_clISt17integral_constantIbLb0EES13_EEDaSY_SZ_EUlSY_E_NS1_11comp_targetILNS1_3genE9ELNS1_11target_archE1100ELNS1_3gpuE3ELNS1_3repE0EEENS1_30default_config_static_selectorELNS0_4arch9wavefront6targetE0EEEvT1_
	.globl	_ZN7rocprim17ROCPRIM_400000_NS6detail17trampoline_kernelINS0_14default_configENS1_29reduce_by_key_config_selectorItjN6thrust23THRUST_200600_302600_NS4plusIjEEEEZZNS1_33reduce_by_key_impl_wrapped_configILNS1_25lookback_scan_determinismE0ES3_S9_NS6_6detail15normal_iteratorINS6_10device_ptrItEEEENSD_INSE_IjEEEESG_SI_PmS8_NS6_8equal_toItEEEE10hipError_tPvRmT2_T3_mT4_T5_T6_T7_T8_P12ihipStream_tbENKUlT_T0_E_clISt17integral_constantIbLb0EES13_EEDaSY_SZ_EUlSY_E_NS1_11comp_targetILNS1_3genE9ELNS1_11target_archE1100ELNS1_3gpuE3ELNS1_3repE0EEENS1_30default_config_static_selectorELNS0_4arch9wavefront6targetE0EEEvT1_
	.p2align	8
	.type	_ZN7rocprim17ROCPRIM_400000_NS6detail17trampoline_kernelINS0_14default_configENS1_29reduce_by_key_config_selectorItjN6thrust23THRUST_200600_302600_NS4plusIjEEEEZZNS1_33reduce_by_key_impl_wrapped_configILNS1_25lookback_scan_determinismE0ES3_S9_NS6_6detail15normal_iteratorINS6_10device_ptrItEEEENSD_INSE_IjEEEESG_SI_PmS8_NS6_8equal_toItEEEE10hipError_tPvRmT2_T3_mT4_T5_T6_T7_T8_P12ihipStream_tbENKUlT_T0_E_clISt17integral_constantIbLb0EES13_EEDaSY_SZ_EUlSY_E_NS1_11comp_targetILNS1_3genE9ELNS1_11target_archE1100ELNS1_3gpuE3ELNS1_3repE0EEENS1_30default_config_static_selectorELNS0_4arch9wavefront6targetE0EEEvT1_,@function
_ZN7rocprim17ROCPRIM_400000_NS6detail17trampoline_kernelINS0_14default_configENS1_29reduce_by_key_config_selectorItjN6thrust23THRUST_200600_302600_NS4plusIjEEEEZZNS1_33reduce_by_key_impl_wrapped_configILNS1_25lookback_scan_determinismE0ES3_S9_NS6_6detail15normal_iteratorINS6_10device_ptrItEEEENSD_INSE_IjEEEESG_SI_PmS8_NS6_8equal_toItEEEE10hipError_tPvRmT2_T3_mT4_T5_T6_T7_T8_P12ihipStream_tbENKUlT_T0_E_clISt17integral_constantIbLb0EES13_EEDaSY_SZ_EUlSY_E_NS1_11comp_targetILNS1_3genE9ELNS1_11target_archE1100ELNS1_3gpuE3ELNS1_3repE0EEENS1_30default_config_static_selectorELNS0_4arch9wavefront6targetE0EEEvT1_: ; @_ZN7rocprim17ROCPRIM_400000_NS6detail17trampoline_kernelINS0_14default_configENS1_29reduce_by_key_config_selectorItjN6thrust23THRUST_200600_302600_NS4plusIjEEEEZZNS1_33reduce_by_key_impl_wrapped_configILNS1_25lookback_scan_determinismE0ES3_S9_NS6_6detail15normal_iteratorINS6_10device_ptrItEEEENSD_INSE_IjEEEESG_SI_PmS8_NS6_8equal_toItEEEE10hipError_tPvRmT2_T3_mT4_T5_T6_T7_T8_P12ihipStream_tbENKUlT_T0_E_clISt17integral_constantIbLb0EES13_EEDaSY_SZ_EUlSY_E_NS1_11comp_targetILNS1_3genE9ELNS1_11target_archE1100ELNS1_3gpuE3ELNS1_3repE0EEENS1_30default_config_static_selectorELNS0_4arch9wavefront6targetE0EEEvT1_
; %bb.0:
	s_clause 0x4
	s_load_b256 s[16:23], s[0:1], 0x0
	s_load_b256 s[24:31], s[0:1], 0x38
	s_load_b128 s[36:39], s[0:1], 0x20
	s_load_b64 s[34:35], s[0:1], 0x68
	s_load_b128 s[40:43], s[0:1], 0x58
	s_mov_b32 s3, 0
	s_mul_i32 s2, s15, 0xf00
	v_mad_u32_u24 v5, v0, 15, 1
	v_mad_u32_u24 v7, v0, 15, 3
	;; [unrolled: 1-line block ×7, first 2 shown]
	s_waitcnt lgkmcnt(0)
	s_lshl_b64 s[0:1], s[18:19], 1
	s_mul_i32 s4, s28, s27
	s_add_u32 s6, s16, s0
	s_addc_u32 s7, s17, s1
	s_lshl_b64 s[0:1], s[18:19], 2
	s_mul_hi_u32 s5, s28, s26
	s_add_u32 s9, s20, s0
	s_mul_i32 s8, s29, s26
	s_addc_u32 s10, s21, s1
	s_add_i32 s4, s5, s4
	s_lshl_b64 s[0:1], s[2:3], 1
	s_add_i32 s4, s4, s8
	s_add_u32 s21, s6, s0
	s_addc_u32 s14, s7, s1
	s_lshl_b64 s[0:1], s[2:3], 2
	s_mul_i32 s2, s28, s26
	s_add_u32 s20, s9, s0
	s_addc_u32 s29, s10, s1
	s_add_u32 s16, s2, s15
	s_addc_u32 s17, s4, 0
	s_add_u32 s0, s30, -1
	s_addc_u32 s1, s31, -1
	s_mul_i32 s19, s0, 0xfffff100
	s_cmp_eq_u64 s[16:17], s[0:1]
	s_cselect_b32 s18, -1, 0
	s_cmp_lg_u64 s[16:17], s[0:1]
	s_cselect_b32 s28, -1, 0
	s_and_b32 vcc_lo, exec_lo, s18
	s_cbranch_vccnz .LBB740_2
; %bb.1:
	v_lshlrev_b32_e32 v6, 1, v0
	s_delay_alu instid0(VALU_DEP_1) | instskip(NEXT) | instid1(VALU_DEP_1)
	v_add_co_u32 v1, s0, s21, v6
	v_add_co_ci_u32_e64 v2, null, s14, 0, s0
	v_mad_u32_u24 v33, v0, 28, v6
	s_delay_alu instid0(VALU_DEP_3) | instskip(NEXT) | instid1(VALU_DEP_3)
	v_add_co_u32 v3, vcc_lo, 0x1000, v1
	v_add_co_ci_u32_e32 v4, vcc_lo, 0, v2, vcc_lo
	s_clause 0xe
	flat_load_u16 v8, v[1:2]
	flat_load_u16 v10, v[1:2] offset:512
	flat_load_u16 v12, v[1:2] offset:1024
	flat_load_u16 v13, v[1:2] offset:1536
	flat_load_u16 v14, v[1:2] offset:2048
	flat_load_u16 v15, v[1:2] offset:2560
	flat_load_u16 v19, v[1:2] offset:3072
	flat_load_u16 v1, v[1:2] offset:3584
	flat_load_u16 v2, v[3:4]
	flat_load_u16 v21, v[3:4] offset:512
	flat_load_u16 v29, v[3:4] offset:1024
	;; [unrolled: 1-line block ×6, first 2 shown]
	v_lshlrev_b32_e32 v4, 2, v0
	s_waitcnt vmcnt(14) lgkmcnt(14)
	ds_store_b16 v6, v8
	s_waitcnt vmcnt(13) lgkmcnt(14)
	ds_store_b16 v6, v10 offset:512
	s_waitcnt vmcnt(12) lgkmcnt(14)
	ds_store_b16 v6, v12 offset:1024
	;; [unrolled: 2-line block ×14, first 2 shown]
	v_add_co_u32 v16, s0, s20, v4
	s_delay_alu instid0(VALU_DEP_1) | instskip(SKIP_1) | instid1(VALU_DEP_2)
	v_add_co_ci_u32_e64 v17, null, s29, 0, s0
	s_waitcnt lgkmcnt(0)
	v_add_co_u32 v23, vcc_lo, 0x1000, v16
	s_delay_alu instid0(VALU_DEP_2)
	v_add_co_ci_u32_e32 v24, vcc_lo, 0, v17, vcc_lo
	v_add_co_u32 v25, vcc_lo, 0x2000, v16
	v_add_co_ci_u32_e32 v26, vcc_lo, 0, v17, vcc_lo
	v_add_co_u32 v27, vcc_lo, 0x3000, v16
	v_add_co_ci_u32_e32 v28, vcc_lo, 0, v17, vcc_lo
	s_barrier
	buffer_gl0_inv
	ds_load_u16 v56, v33
	ds_load_b128 v[1:4], v33 offset:2
	ds_load_b96 v[13:15], v33 offset:18
	s_waitcnt lgkmcnt(0)
	s_barrier
	buffer_gl0_inv
	s_clause 0xe
	flat_load_b32 v6, v[16:17]
	flat_load_b32 v8, v[16:17] offset:1024
	flat_load_b32 v12, v[16:17] offset:2048
	flat_load_b32 v16, v[16:17] offset:3072
	flat_load_b32 v17, v[23:24]
	flat_load_b32 v19, v[23:24] offset:1024
	flat_load_b32 v21, v[23:24] offset:2048
	flat_load_b32 v23, v[23:24] offset:3072
	;; [unrolled: 4-line block ×3, first 2 shown]
	flat_load_b32 v26, v[27:28]
	flat_load_b32 v31, v[27:28] offset:1024
	flat_load_b32 v27, v[27:28] offset:2048
	v_mad_i32_i24 v28, 0xffffffe6, v0, v33
	v_mul_u32_u24_e32 v10, 15, v0
	s_waitcnt vmcnt(13) lgkmcnt(13)
	ds_store_2addr_stride64_b32 v28, v6, v8 offset1:4
	s_waitcnt vmcnt(11) lgkmcnt(12)
	ds_store_2addr_stride64_b32 v28, v12, v16 offset0:8 offset1:12
	s_waitcnt vmcnt(9) lgkmcnt(11)
	ds_store_2addr_stride64_b32 v28, v17, v19 offset0:16 offset1:20
	;; [unrolled: 2-line block ×6, first 2 shown]
	s_waitcnt vmcnt(0) lgkmcnt(7)
	ds_store_b32 v28, v27 offset:14336
	s_waitcnt lgkmcnt(0)
	s_barrier
	s_branch .LBB740_3
.LBB740_2:
	s_mov_b32 s3, -1
                                        ; implicit-def: $vgpr1
                                        ; implicit-def: $vgpr13
                                        ; implicit-def: $vgpr10
                                        ; implicit-def: $vgpr56
.LBB740_3:
	v_dual_mov_b32 v19, v22 :: v_dual_mov_b32 v26, v20
	v_dual_mov_b32 v35, v18 :: v_dual_mov_b32 v38, v11
	;; [unrolled: 1-line block ×3, first 2 shown]
	v_mov_b32_e32 v23, v5
	s_and_not1_b32 vcc_lo, exec_lo, s3
	s_add_i32 s19, s19, s40
	s_cbranch_vccnz .LBB740_65
; %bb.4:
	v_cmp_gt_u32_e32 vcc_lo, s19, v0
                                        ; implicit-def: $vgpr1
	s_and_saveexec_b32 s0, vcc_lo
	s_cbranch_execz .LBB740_6
; %bb.5:
	v_lshlrev_b32_e32 v1, 1, v0
	s_delay_alu instid0(VALU_DEP_1) | instskip(NEXT) | instid1(VALU_DEP_1)
	v_add_co_u32 v1, s1, s21, v1
	v_add_co_ci_u32_e64 v2, null, s14, 0, s1
	flat_load_u16 v1, v[1:2]
.LBB740_6:
	s_or_b32 exec_lo, exec_lo, s0
	v_or_b32_e32 v2, 0x100, v0
	s_delay_alu instid0(VALU_DEP_1) | instskip(NEXT) | instid1(VALU_DEP_1)
	v_cmp_gt_u32_e64 s0, s19, v2
                                        ; implicit-def: $vgpr2
	s_and_saveexec_b32 s1, s0
	s_cbranch_execz .LBB740_8
; %bb.7:
	v_lshlrev_b32_e32 v2, 1, v0
	s_delay_alu instid0(VALU_DEP_1) | instskip(NEXT) | instid1(VALU_DEP_1)
	v_add_co_u32 v2, s2, s21, v2
	v_add_co_ci_u32_e64 v3, null, s14, 0, s2
	flat_load_u16 v2, v[2:3] offset:512
.LBB740_8:
	s_or_b32 exec_lo, exec_lo, s1
	v_or_b32_e32 v3, 0x200, v0
	s_delay_alu instid0(VALU_DEP_1) | instskip(NEXT) | instid1(VALU_DEP_1)
	v_cmp_gt_u32_e64 s1, s19, v3
                                        ; implicit-def: $vgpr3
	s_and_saveexec_b32 s2, s1
	s_cbranch_execz .LBB740_10
; %bb.9:
	v_lshlrev_b32_e32 v3, 1, v0
	s_delay_alu instid0(VALU_DEP_1) | instskip(NEXT) | instid1(VALU_DEP_1)
	v_add_co_u32 v3, s3, s21, v3
	v_add_co_ci_u32_e64 v4, null, s14, 0, s3
	flat_load_u16 v3, v[3:4] offset:1024
.LBB740_10:
	s_or_b32 exec_lo, exec_lo, s2
	v_or_b32_e32 v4, 0x300, v0
	s_delay_alu instid0(VALU_DEP_1) | instskip(NEXT) | instid1(VALU_DEP_1)
	v_cmp_gt_u32_e64 s2, s19, v4
                                        ; implicit-def: $vgpr4
	s_and_saveexec_b32 s3, s2
	s_cbranch_execz .LBB740_12
; %bb.11:
	v_lshlrev_b32_e32 v4, 1, v0
	s_delay_alu instid0(VALU_DEP_1) | instskip(NEXT) | instid1(VALU_DEP_1)
	v_add_co_u32 v12, s4, s21, v4
	v_add_co_ci_u32_e64 v13, null, s14, 0, s4
	flat_load_u16 v4, v[12:13] offset:1536
.LBB740_12:
	s_or_b32 exec_lo, exec_lo, s3
	v_or_b32_e32 v6, 0x400, v0
                                        ; implicit-def: $vgpr13
	s_delay_alu instid0(VALU_DEP_1) | instskip(NEXT) | instid1(VALU_DEP_1)
	v_cmp_gt_u32_e64 s3, s19, v6
	s_and_saveexec_b32 s4, s3
	s_cbranch_execz .LBB740_14
; %bb.13:
	v_lshlrev_b32_e32 v8, 1, v0
	s_delay_alu instid0(VALU_DEP_1) | instskip(NEXT) | instid1(VALU_DEP_1)
	v_add_co_u32 v12, s5, s21, v8
	v_add_co_ci_u32_e64 v13, null, s14, 0, s5
	flat_load_u16 v13, v[12:13] offset:2048
.LBB740_14:
	s_or_b32 exec_lo, exec_lo, s4
	v_or_b32_e32 v8, 0x500, v0
                                        ; implicit-def: $vgpr14
	s_delay_alu instid0(VALU_DEP_1) | instskip(NEXT) | instid1(VALU_DEP_1)
	v_cmp_gt_u32_e64 s4, s19, v8
	s_and_saveexec_b32 s5, s4
	s_cbranch_execz .LBB740_16
; %bb.15:
	v_lshlrev_b32_e32 v10, 1, v0
	s_delay_alu instid0(VALU_DEP_1) | instskip(NEXT) | instid1(VALU_DEP_1)
	v_add_co_u32 v14, s6, s21, v10
	v_add_co_ci_u32_e64 v15, null, s14, 0, s6
	flat_load_u16 v14, v[14:15] offset:2560
.LBB740_16:
	s_or_b32 exec_lo, exec_lo, s5
	v_or_b32_e32 v10, 0x600, v0
                                        ; implicit-def: $vgpr15
	s_delay_alu instid0(VALU_DEP_1) | instskip(NEXT) | instid1(VALU_DEP_1)
	v_cmp_gt_u32_e64 s5, s19, v10
	s_and_saveexec_b32 s6, s5
	s_cbranch_execz .LBB740_18
; %bb.17:
	v_lshlrev_b32_e32 v12, 1, v0
	s_delay_alu instid0(VALU_DEP_1) | instskip(NEXT) | instid1(VALU_DEP_1)
	v_add_co_u32 v15, s7, s21, v12
	v_add_co_ci_u32_e64 v16, null, s14, 0, s7
	flat_load_u16 v15, v[15:16] offset:3072
.LBB740_18:
	s_or_b32 exec_lo, exec_lo, s6
	v_or_b32_e32 v12, 0x700, v0
                                        ; implicit-def: $vgpr26
	s_delay_alu instid0(VALU_DEP_1) | instskip(NEXT) | instid1(VALU_DEP_1)
	v_cmp_gt_u32_e64 s6, s19, v12
	s_and_saveexec_b32 s7, s6
	s_cbranch_execz .LBB740_20
; %bb.19:
	v_lshlrev_b32_e32 v16, 1, v0
	s_delay_alu instid0(VALU_DEP_1) | instskip(NEXT) | instid1(VALU_DEP_1)
	v_add_co_u32 v16, s8, s21, v16
	v_add_co_ci_u32_e64 v17, null, s14, 0, s8
	flat_load_u16 v26, v[16:17] offset:3584
.LBB740_20:
	s_or_b32 exec_lo, exec_lo, s7
	v_or_b32_e32 v16, 0x800, v0
                                        ; implicit-def: $vgpr27
	s_delay_alu instid0(VALU_DEP_1) | instskip(NEXT) | instid1(VALU_DEP_1)
	v_cmp_gt_u32_e64 s7, s19, v16
	s_and_saveexec_b32 s8, s7
	s_cbranch_execz .LBB740_22
; %bb.21:
	v_lshlrev_b32_e32 v17, 1, v16
	s_delay_alu instid0(VALU_DEP_1) | instskip(NEXT) | instid1(VALU_DEP_1)
	v_add_co_u32 v23, s9, s21, v17
	v_add_co_ci_u32_e64 v24, null, s14, 0, s9
	flat_load_u16 v27, v[23:24]
.LBB740_22:
	s_or_b32 exec_lo, exec_lo, s8
	v_or_b32_e32 v17, 0x900, v0
                                        ; implicit-def: $vgpr28
	s_delay_alu instid0(VALU_DEP_1) | instskip(NEXT) | instid1(VALU_DEP_1)
	v_cmp_gt_u32_e64 s8, s19, v17
	s_and_saveexec_b32 s9, s8
	s_cbranch_execz .LBB740_24
; %bb.23:
	v_lshlrev_b32_e32 v19, 1, v17
	s_delay_alu instid0(VALU_DEP_1) | instskip(NEXT) | instid1(VALU_DEP_1)
	v_add_co_u32 v23, s10, s21, v19
	v_add_co_ci_u32_e64 v24, null, s14, 0, s10
	flat_load_u16 v28, v[23:24]
.LBB740_24:
	s_or_b32 exec_lo, exec_lo, s9
	v_or_b32_e32 v19, 0xa00, v0
                                        ; implicit-def: $vgpr29
	s_delay_alu instid0(VALU_DEP_1) | instskip(NEXT) | instid1(VALU_DEP_1)
	v_cmp_gt_u32_e64 s9, s19, v19
	s_and_saveexec_b32 s10, s9
	s_cbranch_execz .LBB740_26
; %bb.25:
	v_lshlrev_b32_e32 v21, 1, v19
	s_delay_alu instid0(VALU_DEP_1) | instskip(NEXT) | instid1(VALU_DEP_1)
	v_add_co_u32 v23, s11, s21, v21
	v_add_co_ci_u32_e64 v24, null, s14, 0, s11
	flat_load_u16 v29, v[23:24]
.LBB740_26:
	s_or_b32 exec_lo, exec_lo, s10
	v_or_b32_e32 v21, 0xb00, v0
                                        ; implicit-def: $vgpr30
	s_delay_alu instid0(VALU_DEP_1) | instskip(NEXT) | instid1(VALU_DEP_1)
	v_cmp_gt_u32_e64 s10, s19, v21
	s_and_saveexec_b32 s11, s10
	s_cbranch_execz .LBB740_28
; %bb.27:
	v_lshlrev_b32_e32 v23, 1, v21
	s_delay_alu instid0(VALU_DEP_1) | instskip(NEXT) | instid1(VALU_DEP_1)
	v_add_co_u32 v23, s12, s21, v23
	v_add_co_ci_u32_e64 v24, null, s14, 0, s12
	flat_load_u16 v30, v[23:24]
.LBB740_28:
	s_or_b32 exec_lo, exec_lo, s11
	v_or_b32_e32 v23, 0xc00, v0
                                        ; implicit-def: $vgpr31
	s_delay_alu instid0(VALU_DEP_1) | instskip(NEXT) | instid1(VALU_DEP_1)
	v_cmp_gt_u32_e64 s11, s19, v23
	s_and_saveexec_b32 s12, s11
	s_cbranch_execz .LBB740_30
; %bb.29:
	v_lshlrev_b32_e32 v24, 1, v23
	s_delay_alu instid0(VALU_DEP_1) | instskip(NEXT) | instid1(VALU_DEP_1)
	v_add_co_u32 v24, s13, s21, v24
	v_add_co_ci_u32_e64 v25, null, s14, 0, s13
	flat_load_u16 v31, v[24:25]
.LBB740_30:
	s_or_b32 exec_lo, exec_lo, s12
	v_or_b32_e32 v24, 0xd00, v0
                                        ; implicit-def: $vgpr32
	s_delay_alu instid0(VALU_DEP_1) | instskip(NEXT) | instid1(VALU_DEP_1)
	v_cmp_gt_u32_e64 s12, s19, v24
	s_and_saveexec_b32 s13, s12
	s_cbranch_execz .LBB740_32
; %bb.31:
	v_lshlrev_b32_e32 v25, 1, v24
	s_delay_alu instid0(VALU_DEP_1) | instskip(NEXT) | instid1(VALU_DEP_1)
	v_add_co_u32 v32, s30, s21, v25
	v_add_co_ci_u32_e64 v33, null, s14, 0, s30
	flat_load_u16 v32, v[32:33]
.LBB740_32:
	s_or_b32 exec_lo, exec_lo, s13
	v_or_b32_e32 v25, 0xe00, v0
                                        ; implicit-def: $vgpr33
	s_delay_alu instid0(VALU_DEP_1) | instskip(NEXT) | instid1(VALU_DEP_1)
	v_cmp_gt_u32_e64 s13, s19, v25
	s_and_saveexec_b32 s30, s13
	s_cbranch_execz .LBB740_34
; %bb.33:
	v_lshlrev_b32_e32 v33, 1, v25
	s_delay_alu instid0(VALU_DEP_1) | instskip(NEXT) | instid1(VALU_DEP_1)
	v_add_co_u32 v33, s31, s21, v33
	v_add_co_ci_u32_e64 v34, null, s14, 0, s31
	flat_load_u16 v33, v[33:34]
.LBB740_34:
	s_or_b32 exec_lo, exec_lo, s30
	v_lshlrev_b32_e32 v34, 1, v0
	s_waitcnt vmcnt(0) lgkmcnt(0)
	ds_store_b16 v34, v1
	ds_store_b16 v34, v2 offset:512
	ds_store_b16 v34, v3 offset:1024
	;; [unrolled: 1-line block ×7, first 2 shown]
	v_mad_u32_u24 v26, v0, 28, v34
	ds_store_b16 v34, v27 offset:4096
	ds_store_b16 v34, v28 offset:4608
	;; [unrolled: 1-line block ×7, first 2 shown]
	s_waitcnt lgkmcnt(0)
	s_barrier
	buffer_gl0_inv
	ds_load_u16 v56, v26
	ds_load_b128 v[1:4], v26 offset:2
	ds_load_b96 v[13:15], v26 offset:18
	s_waitcnt lgkmcnt(0)
	s_barrier
	buffer_gl0_inv
                                        ; implicit-def: $vgpr27
	s_and_saveexec_b32 s30, vcc_lo
	s_cbranch_execz .LBB740_48
; %bb.35:
	v_lshlrev_b32_e32 v27, 2, v0
	s_delay_alu instid0(VALU_DEP_1) | instskip(NEXT) | instid1(VALU_DEP_1)
	v_add_co_u32 v27, s31, s20, v27
	v_add_co_ci_u32_e64 v28, null, s29, 0, s31
	flat_load_b32 v27, v[27:28]
	s_or_b32 exec_lo, exec_lo, s30
                                        ; implicit-def: $vgpr28
	s_and_saveexec_b32 s30, s0
	s_cbranch_execnz .LBB740_49
.LBB740_36:
	s_or_b32 exec_lo, exec_lo, s30
                                        ; implicit-def: $vgpr29
	s_and_saveexec_b32 s0, s1
	s_cbranch_execz .LBB740_50
.LBB740_37:
	v_lshlrev_b32_e32 v29, 2, v0
	s_delay_alu instid0(VALU_DEP_1) | instskip(NEXT) | instid1(VALU_DEP_1)
	v_add_co_u32 v29, s1, s20, v29
	v_add_co_ci_u32_e64 v30, null, s29, 0, s1
	flat_load_b32 v29, v[29:30] offset:2048
	s_or_b32 exec_lo, exec_lo, s0
                                        ; implicit-def: $vgpr30
	s_and_saveexec_b32 s0, s2
	s_cbranch_execnz .LBB740_51
.LBB740_38:
	s_or_b32 exec_lo, exec_lo, s0
                                        ; implicit-def: $vgpr31
	s_and_saveexec_b32 s0, s3
	s_cbranch_execz .LBB740_52
.LBB740_39:
	v_lshlrev_b32_e32 v6, 2, v6
	s_delay_alu instid0(VALU_DEP_1) | instskip(NEXT) | instid1(VALU_DEP_1)
	v_add_co_u32 v31, s1, s20, v6
	v_add_co_ci_u32_e64 v32, null, s29, 0, s1
	flat_load_b32 v31, v[31:32]
	s_or_b32 exec_lo, exec_lo, s0
                                        ; implicit-def: $vgpr6
	s_and_saveexec_b32 s0, s4
	s_cbranch_execnz .LBB740_53
.LBB740_40:
	s_or_b32 exec_lo, exec_lo, s0
                                        ; implicit-def: $vgpr8
	s_and_saveexec_b32 s0, s5
	s_cbranch_execz .LBB740_54
.LBB740_41:
	v_lshlrev_b32_e32 v8, 2, v10
	s_delay_alu instid0(VALU_DEP_1) | instskip(NEXT) | instid1(VALU_DEP_1)
	v_add_co_u32 v32, s1, s20, v8
	v_add_co_ci_u32_e64 v33, null, s29, 0, s1
	flat_load_b32 v8, v[32:33]
	s_or_b32 exec_lo, exec_lo, s0
                                        ; implicit-def: $vgpr32
	s_and_saveexec_b32 s0, s6
	s_cbranch_execnz .LBB740_55
.LBB740_42:
	s_or_b32 exec_lo, exec_lo, s0
                                        ; implicit-def: $vgpr12
	s_and_saveexec_b32 s0, s7
	s_cbranch_execz .LBB740_56
.LBB740_43:
	v_lshlrev_b32_e32 v10, 2, v16
	s_delay_alu instid0(VALU_DEP_1) | instskip(NEXT) | instid1(VALU_DEP_1)
	v_add_co_u32 v33, s1, s20, v10
	v_add_co_ci_u32_e64 v34, null, s29, 0, s1
	flat_load_b32 v12, v[33:34]
	s_or_b32 exec_lo, exec_lo, s0
                                        ; implicit-def: $vgpr16
	s_and_saveexec_b32 s0, s8
	s_cbranch_execnz .LBB740_57
.LBB740_44:
	s_or_b32 exec_lo, exec_lo, s0
                                        ; implicit-def: $vgpr17
	s_and_saveexec_b32 s0, s9
	s_cbranch_execz .LBB740_58
.LBB740_45:
	v_lshlrev_b32_e32 v10, 2, v19
	s_delay_alu instid0(VALU_DEP_1) | instskip(NEXT) | instid1(VALU_DEP_1)
	v_add_co_u32 v33, s1, s20, v10
	v_add_co_ci_u32_e64 v34, null, s29, 0, s1
	flat_load_b32 v17, v[33:34]
	s_or_b32 exec_lo, exec_lo, s0
                                        ; implicit-def: $vgpr33
	s_and_saveexec_b32 s0, s10
	s_cbranch_execnz .LBB740_59
.LBB740_46:
	s_or_b32 exec_lo, exec_lo, s0
                                        ; implicit-def: $vgpr36
	s_and_saveexec_b32 s0, s11
	s_cbranch_execz .LBB740_60
.LBB740_47:
	v_lshlrev_b32_e32 v10, 2, v23
	s_delay_alu instid0(VALU_DEP_1) | instskip(NEXT) | instid1(VALU_DEP_1)
	v_add_co_u32 v34, s1, s20, v10
	v_add_co_ci_u32_e64 v35, null, s29, 0, s1
	flat_load_b32 v36, v[34:35]
	s_or_b32 exec_lo, exec_lo, s0
                                        ; implicit-def: $vgpr37
	s_and_saveexec_b32 s0, s12
	s_cbranch_execz .LBB740_62
	s_branch .LBB740_61
.LBB740_48:
	s_or_b32 exec_lo, exec_lo, s30
                                        ; implicit-def: $vgpr28
	s_and_saveexec_b32 s30, s0
	s_cbranch_execz .LBB740_36
.LBB740_49:
	v_lshlrev_b32_e32 v28, 2, v0
	s_delay_alu instid0(VALU_DEP_1) | instskip(NEXT) | instid1(VALU_DEP_1)
	v_add_co_u32 v28, s0, s20, v28
	v_add_co_ci_u32_e64 v29, null, s29, 0, s0
	flat_load_b32 v28, v[28:29] offset:1024
	s_or_b32 exec_lo, exec_lo, s30
                                        ; implicit-def: $vgpr29
	s_and_saveexec_b32 s0, s1
	s_cbranch_execnz .LBB740_37
.LBB740_50:
	s_or_b32 exec_lo, exec_lo, s0
                                        ; implicit-def: $vgpr30
	s_and_saveexec_b32 s0, s2
	s_cbranch_execz .LBB740_38
.LBB740_51:
	v_lshlrev_b32_e32 v30, 2, v0
	s_delay_alu instid0(VALU_DEP_1) | instskip(NEXT) | instid1(VALU_DEP_1)
	v_add_co_u32 v30, s1, s20, v30
	v_add_co_ci_u32_e64 v31, null, s29, 0, s1
	flat_load_b32 v30, v[30:31] offset:3072
	s_or_b32 exec_lo, exec_lo, s0
                                        ; implicit-def: $vgpr31
	s_and_saveexec_b32 s0, s3
	s_cbranch_execnz .LBB740_39
.LBB740_52:
	s_or_b32 exec_lo, exec_lo, s0
                                        ; implicit-def: $vgpr6
	s_and_saveexec_b32 s0, s4
	s_cbranch_execz .LBB740_40
.LBB740_53:
	v_lshlrev_b32_e32 v6, 2, v8
	s_delay_alu instid0(VALU_DEP_1) | instskip(NEXT) | instid1(VALU_DEP_1)
	v_add_co_u32 v32, s1, s20, v6
	v_add_co_ci_u32_e64 v33, null, s29, 0, s1
	flat_load_b32 v6, v[32:33]
	s_or_b32 exec_lo, exec_lo, s0
                                        ; implicit-def: $vgpr8
	s_and_saveexec_b32 s0, s5
	s_cbranch_execnz .LBB740_41
.LBB740_54:
	s_or_b32 exec_lo, exec_lo, s0
                                        ; implicit-def: $vgpr32
	s_and_saveexec_b32 s0, s6
	s_cbranch_execz .LBB740_42
.LBB740_55:
	v_lshlrev_b32_e32 v10, 2, v12
	s_delay_alu instid0(VALU_DEP_1) | instskip(NEXT) | instid1(VALU_DEP_1)
	v_add_co_u32 v32, s1, s20, v10
	v_add_co_ci_u32_e64 v33, null, s29, 0, s1
	flat_load_b32 v32, v[32:33]
	s_or_b32 exec_lo, exec_lo, s0
                                        ; implicit-def: $vgpr12
	s_and_saveexec_b32 s0, s7
	s_cbranch_execnz .LBB740_43
.LBB740_56:
	s_or_b32 exec_lo, exec_lo, s0
                                        ; implicit-def: $vgpr16
	s_and_saveexec_b32 s0, s8
	s_cbranch_execz .LBB740_44
.LBB740_57:
	v_lshlrev_b32_e32 v10, 2, v17
	s_delay_alu instid0(VALU_DEP_1) | instskip(NEXT) | instid1(VALU_DEP_1)
	v_add_co_u32 v16, s1, s20, v10
	v_add_co_ci_u32_e64 v17, null, s29, 0, s1
	flat_load_b32 v16, v[16:17]
	s_or_b32 exec_lo, exec_lo, s0
                                        ; implicit-def: $vgpr17
	s_and_saveexec_b32 s0, s9
	s_cbranch_execnz .LBB740_45
.LBB740_58:
	s_or_b32 exec_lo, exec_lo, s0
                                        ; implicit-def: $vgpr33
	s_and_saveexec_b32 s0, s10
	s_cbranch_execz .LBB740_46
.LBB740_59:
	v_lshlrev_b32_e32 v10, 2, v21
	s_delay_alu instid0(VALU_DEP_1) | instskip(NEXT) | instid1(VALU_DEP_1)
	v_add_co_u32 v33, s1, s20, v10
	v_add_co_ci_u32_e64 v34, null, s29, 0, s1
	flat_load_b32 v33, v[33:34]
	s_or_b32 exec_lo, exec_lo, s0
                                        ; implicit-def: $vgpr36
	s_and_saveexec_b32 s0, s11
	s_cbranch_execnz .LBB740_47
.LBB740_60:
	s_or_b32 exec_lo, exec_lo, s0
                                        ; implicit-def: $vgpr37
	s_and_saveexec_b32 s0, s12
	s_cbranch_execz .LBB740_62
.LBB740_61:
	v_lshlrev_b32_e32 v10, 2, v24
	s_delay_alu instid0(VALU_DEP_1) | instskip(NEXT) | instid1(VALU_DEP_1)
	v_add_co_u32 v23, s1, s20, v10
	v_add_co_ci_u32_e64 v24, null, s29, 0, s1
	flat_load_b32 v37, v[23:24]
.LBB740_62:
	s_or_b32 exec_lo, exec_lo, s0
	v_mul_u32_u24_e32 v10, 15, v0
                                        ; implicit-def: $vgpr24
	s_and_saveexec_b32 s0, s13
	s_cbranch_execz .LBB740_64
; %bb.63:
	v_lshlrev_b32_e32 v19, 2, v25
	s_delay_alu instid0(VALU_DEP_1) | instskip(NEXT) | instid1(VALU_DEP_1)
	v_add_co_u32 v23, s1, s20, v19
	v_add_co_ci_u32_e64 v24, null, s29, 0, s1
	flat_load_b32 v24, v[23:24]
.LBB740_64:
	s_or_b32 exec_lo, exec_lo, s0
	s_delay_alu instid0(VALU_DEP_1)
	v_add_nc_u32_e32 v23, 1, v10
	v_add_nc_u32_e32 v34, 3, v10
	;; [unrolled: 1-line block ×3, first 2 shown]
	v_mad_i32_i24 v25, 0xffffffe6, v0, v26
	v_add_nc_u32_e32 v38, 7, v10
	v_add_nc_u32_e32 v35, 9, v10
	;; [unrolled: 1-line block ×4, first 2 shown]
	s_waitcnt vmcnt(0) lgkmcnt(0)
	ds_store_2addr_stride64_b32 v25, v27, v28 offset1:4
	ds_store_2addr_stride64_b32 v25, v29, v30 offset0:8 offset1:12
	ds_store_2addr_stride64_b32 v25, v31, v6 offset0:16 offset1:20
	;; [unrolled: 1-line block ×6, first 2 shown]
	ds_store_b32 v25, v24 offset:14336
	s_waitcnt lgkmcnt(0)
	s_barrier
.LBB740_65:
	v_lshlrev_b32_e32 v6, 2, v10
	buffer_gl0_inv
	v_lshlrev_b32_e32 v8, 2, v34
	v_lshlrev_b32_e32 v10, 2, v21
	;; [unrolled: 1-line block ×3, first 2 shown]
	ds_load_2addr_b32 v[48:49], v6 offset1:2
	ds_load_2addr_b32 v[36:37], v6 offset0:4 offset1:6
	ds_load_2addr_b32 v[24:25], v6 offset0:8 offset1:10
	ds_load_2addr_b32 v[16:17], v6 offset0:12 offset1:14
	v_lshlrev_b32_e32 v6, 2, v23
	v_lshlrev_b32_e32 v21, 2, v35
	;; [unrolled: 1-line block ×4, first 2 shown]
	ds_load_b32 v73, v6
	ds_load_b32 v72, v8
	;; [unrolled: 1-line block ×7, first 2 shown]
	s_cmp_eq_u64 s[16:17], 0
	s_waitcnt lgkmcnt(0)
	s_cselect_b32 s20, -1, 0
	s_cmp_lg_u64 s[16:17], 0
	s_barrier
	s_cselect_b32 s29, -1, 0
	s_and_b32 vcc_lo, exec_lo, s28
	buffer_gl0_inv
	s_cbranch_vccz .LBB740_71
; %bb.66:
	s_and_b32 vcc_lo, exec_lo, s29
	s_cbranch_vccz .LBB740_131
; %bb.67:
	v_add_co_u32 v26, s0, -2, s21
	s_delay_alu instid0(VALU_DEP_1)
	v_add_co_ci_u32_e64 v27, null, -1, s14, s0
	v_lshlrev_b32_e32 v8, 1, v0
	v_lshrrev_b32_e32 v10, 16, v15
	v_lshrrev_b32_e32 v12, 16, v14
	flat_load_u16 v6, v[26:27]
	v_lshrrev_b32_e32 v19, 16, v13
	v_cmp_ne_u16_e64 s12, v56, v1
	ds_store_b16 v8, v10
	v_cmp_ne_u16_e32 vcc_lo, v15, v10
	v_lshrrev_b32_e32 v10, 16, v4
	v_cmp_ne_u16_e64 s0, v12, v15
	v_cmp_ne_u16_e64 s1, v14, v12
	;; [unrolled: 1-line block ×4, first 2 shown]
	v_lshrrev_b32_e32 v12, 16, v3
	v_cmp_ne_u16_e64 s4, v10, v13
	v_lshrrev_b32_e32 v19, 16, v2
	v_cmp_ne_u16_e64 s5, v4, v10
	;; [unrolled: 2-line block ×3, first 2 shown]
	v_cmp_ne_u16_e64 s7, v3, v12
	v_cmp_ne_u16_e64 s8, v19, v3
	;; [unrolled: 1-line block ×5, first 2 shown]
	s_mov_b32 s28, -1
	s_mov_b32 s30, 0
	s_mov_b32 s31, exec_lo
	s_waitcnt vmcnt(0) lgkmcnt(0)
	s_barrier
	buffer_gl0_inv
	v_cmpx_ne_u32_e32 0, v0
	s_cbranch_execz .LBB740_69
; %bb.68:
	v_add_nc_u32_e32 v6, -2, v8
	ds_load_u16 v6, v6
.LBB740_69:
	s_or_b32 exec_lo, exec_lo, s31
	v_cndmask_b32_e64 v55, 0, 1, vcc_lo
	v_cndmask_b32_e64 v50, 0, 1, s0
	v_cndmask_b32_e64 v51, 0, 1, s1
	v_cndmask_b32_e64 v52, 0, 1, s2
	v_cndmask_b32_e64 v53, 0, 1, s3
	v_cndmask_b32_e64 v54, 0, 1, s4
	v_cndmask_b32_e64 v57, 0, 1, s5
	v_cndmask_b32_e64 v58, 0, 1, s6
	v_cndmask_b32_e64 v59, 0, 1, s7
	v_cndmask_b32_e64 v60, 0, 1, s8
	v_cndmask_b32_e64 v61, 0, 1, s9
	v_cndmask_b32_e64 v62, 0, 1, s10
	v_cndmask_b32_e64 v63, 0, 1, s11
	v_cndmask_b32_e64 v64, 0, 1, s12
	s_waitcnt lgkmcnt(0)
	v_cmp_ne_u16_e64 s0, v6, v56
	s_and_b32 vcc_lo, exec_lo, s30
	s_cbranch_vccnz .LBB740_132
.LBB740_70:
                                        ; implicit-def: $sgpr5
	s_branch .LBB740_72
.LBB740_71:
	s_mov_b32 s28, 0
                                        ; implicit-def: $sgpr0
                                        ; implicit-def: $vgpr55
                                        ; implicit-def: $vgpr50
                                        ; implicit-def: $vgpr51
                                        ; implicit-def: $vgpr52
                                        ; implicit-def: $vgpr53
                                        ; implicit-def: $vgpr54
                                        ; implicit-def: $vgpr57
                                        ; implicit-def: $vgpr58
                                        ; implicit-def: $vgpr59
                                        ; implicit-def: $vgpr60
                                        ; implicit-def: $vgpr61
                                        ; implicit-def: $vgpr62
                                        ; implicit-def: $vgpr63
                                        ; implicit-def: $vgpr64
                                        ; implicit-def: $sgpr5
	s_cbranch_execnz .LBB740_135
.LBB740_72:
	v_mov_b32_e32 v65, s5
	s_and_saveexec_b32 s1, s28
.LBB740_73:
	v_cndmask_b32_e64 v65, 0, 1, s0
.LBB740_74:
	s_or_b32 exec_lo, exec_lo, s1
	s_delay_alu instid0(VALU_DEP_1)
	v_add3_u32 v5, v64, v65, v63
	v_cmp_eq_u32_e64 s12, 0, v64
	v_cmp_eq_u32_e64 s11, 0, v63
	;; [unrolled: 1-line block ×4, first 2 shown]
	v_add3_u32 v77, v5, v62, v61
	v_cmp_eq_u32_e64 s8, 0, v60
	v_cmp_eq_u32_e64 s7, 0, v59
	;; [unrolled: 1-line block ×9, first 2 shown]
	v_cmp_eq_u32_e32 vcc_lo, 0, v55
	v_mbcnt_lo_u32_b32 v74, -1, 0
	v_lshrrev_b32_e32 v75, 5, v0
	v_or_b32_e32 v76, 31, v0
	s_cmp_eq_u64 s[26:27], 0
	s_cselect_b32 s16, -1, 0
	s_cmp_lg_u32 s15, 0
	s_cbranch_scc0 .LBB740_100
; %bb.75:
	v_cndmask_b32_e64 v5, 0, v48, s12
	v_add3_u32 v6, v77, v60, v59
	v_and_b32_e32 v8, 15, v74
	s_delay_alu instid0(VALU_DEP_3) | instskip(NEXT) | instid1(VALU_DEP_3)
	v_add_nc_u32_e32 v5, v5, v73
	v_add3_u32 v6, v6, v58, v57
	s_delay_alu instid0(VALU_DEP_3) | instskip(NEXT) | instid1(VALU_DEP_3)
	v_cmp_lt_u32_e64 s13, 1, v8
	v_cndmask_b32_e64 v5, 0, v5, s11
	s_delay_alu instid0(VALU_DEP_3) | instskip(NEXT) | instid1(VALU_DEP_2)
	v_add3_u32 v6, v6, v54, v53
	v_add_nc_u32_e32 v5, v5, v49
	s_delay_alu instid0(VALU_DEP_2) | instskip(NEXT) | instid1(VALU_DEP_2)
	v_add3_u32 v6, v6, v52, v51
	v_cndmask_b32_e64 v5, 0, v5, s10
	s_delay_alu instid0(VALU_DEP_2) | instskip(NEXT) | instid1(VALU_DEP_2)
	v_add3_u32 v6, v6, v50, v55
	v_add_nc_u32_e32 v5, v5, v72
	s_delay_alu instid0(VALU_DEP_2) | instskip(NEXT) | instid1(VALU_DEP_2)
	v_mov_b32_dpp v9, v6 row_shr:1 row_mask:0xf bank_mask:0xf
	v_cndmask_b32_e64 v5, 0, v5, s9
	s_delay_alu instid0(VALU_DEP_1) | instskip(NEXT) | instid1(VALU_DEP_1)
	v_add_nc_u32_e32 v5, v5, v36
	v_cndmask_b32_e64 v5, 0, v5, s8
	s_delay_alu instid0(VALU_DEP_1) | instskip(NEXT) | instid1(VALU_DEP_1)
	v_add_nc_u32_e32 v5, v5, v71
	;; [unrolled: 3-line block ×10, first 2 shown]
	v_cndmask_b32_e32 v5, 0, v5, vcc_lo
	v_cmp_eq_u32_e32 vcc_lo, 0, v6
	s_delay_alu instid0(VALU_DEP_2) | instskip(NEXT) | instid1(VALU_DEP_1)
	v_add_nc_u32_e32 v5, v5, v17
	v_mov_b32_dpp v7, v5 row_shr:1 row_mask:0xf bank_mask:0xf
	s_delay_alu instid0(VALU_DEP_1) | instskip(SKIP_2) | instid1(VALU_DEP_1)
	v_cndmask_b32_e32 v7, 0, v7, vcc_lo
	v_cmp_eq_u32_e32 vcc_lo, 0, v8
	v_cndmask_b32_e64 v9, v9, 0, vcc_lo
	v_add_nc_u32_e32 v6, v9, v6
	s_delay_alu instid0(VALU_DEP_4) | instskip(NEXT) | instid1(VALU_DEP_2)
	v_cndmask_b32_e64 v7, v7, 0, vcc_lo
	v_cmp_eq_u32_e32 vcc_lo, 0, v6
	s_delay_alu instid0(VALU_DEP_2) | instskip(SKIP_2) | instid1(VALU_DEP_2)
	v_add_nc_u32_e32 v5, v7, v5
	v_mov_b32_dpp v7, v6 row_shr:2 row_mask:0xf bank_mask:0xf
	s_and_b32 vcc_lo, s13, vcc_lo
	v_mov_b32_dpp v9, v5 row_shr:2 row_mask:0xf bank_mask:0xf
	s_delay_alu instid0(VALU_DEP_2) | instskip(SKIP_1) | instid1(VALU_DEP_2)
	v_cndmask_b32_e64 v7, 0, v7, s13
	v_cmp_lt_u32_e64 s13, 3, v8
	v_dual_cndmask_b32 v9, 0, v9 :: v_dual_add_nc_u32 v6, v6, v7
	s_delay_alu instid0(VALU_DEP_1) | instskip(NEXT) | instid1(VALU_DEP_2)
	v_add_nc_u32_e32 v5, v9, v5
	v_mov_b32_dpp v7, v6 row_shr:4 row_mask:0xf bank_mask:0xf
	v_cmp_eq_u32_e32 vcc_lo, 0, v6
	s_delay_alu instid0(VALU_DEP_3) | instskip(NEXT) | instid1(VALU_DEP_3)
	v_mov_b32_dpp v9, v5 row_shr:4 row_mask:0xf bank_mask:0xf
	v_cndmask_b32_e64 v7, 0, v7, s13
	s_and_b32 vcc_lo, s13, vcc_lo
	v_cmp_lt_u32_e64 s13, 7, v8
	s_delay_alu instid0(VALU_DEP_2) | instskip(NEXT) | instid1(VALU_DEP_1)
	v_dual_cndmask_b32 v9, 0, v9 :: v_dual_add_nc_u32 v6, v7, v6
	v_add_nc_u32_e32 v5, v5, v9
	s_delay_alu instid0(VALU_DEP_2) | instskip(SKIP_2) | instid1(VALU_DEP_4)
	v_cmp_eq_u32_e32 vcc_lo, 0, v6
	v_mov_b32_dpp v7, v6 row_shr:8 row_mask:0xf bank_mask:0xf
	v_bfe_i32 v9, v74, 4, 1
	v_mov_b32_dpp v8, v5 row_shr:8 row_mask:0xf bank_mask:0xf
	s_and_b32 vcc_lo, s13, vcc_lo
	s_delay_alu instid0(VALU_DEP_3) | instskip(SKIP_1) | instid1(VALU_DEP_2)
	v_cndmask_b32_e64 v7, 0, v7, s13
	s_mov_b32 s13, exec_lo
	v_cndmask_b32_e32 v8, 0, v8, vcc_lo
	s_delay_alu instid0(VALU_DEP_1) | instskip(NEXT) | instid1(VALU_DEP_3)
	v_add_nc_u32_e32 v8, v8, v5
	v_add_nc_u32_e32 v5, v7, v6
	ds_swizzle_b32 v6, v8 offset:swizzle(BROADCAST,32,15)
	ds_swizzle_b32 v7, v5 offset:swizzle(BROADCAST,32,15)
	v_cmp_eq_u32_e32 vcc_lo, 0, v5
	s_waitcnt lgkmcnt(0)
	v_dual_cndmask_b32 v6, 0, v6 :: v_dual_and_b32 v7, v9, v7
	s_delay_alu instid0(VALU_DEP_1) | instskip(NEXT) | instid1(VALU_DEP_2)
	v_and_b32_e32 v6, v9, v6
	v_add_nc_u32_e32 v5, v7, v5
	v_lshlrev_b32_e32 v7, 3, v75
	s_delay_alu instid0(VALU_DEP_3)
	v_add_nc_u32_e32 v6, v6, v8
	v_cmpx_eq_u32_e64 v76, v0
	s_cbranch_execz .LBB740_77
; %bb.76:
	ds_store_b64 v7, v[5:6] offset:1040
.LBB740_77:
	s_or_b32 exec_lo, exec_lo, s13
	s_delay_alu instid0(SALU_CYCLE_1)
	s_mov_b32 s14, exec_lo
	s_waitcnt lgkmcnt(0)
	s_barrier
	buffer_gl0_inv
	v_cmpx_gt_u32_e32 8, v0
	s_cbranch_execz .LBB740_79
; %bb.78:
	v_lshlrev_b32_e32 v10, 3, v0
	v_and_b32_e32 v12, 7, v74
	ds_load_b64 v[8:9], v10 offset:1040
	v_cmp_lt_u32_e64 s13, 1, v12
	s_waitcnt lgkmcnt(0)
	v_mov_b32_dpp v11, v9 row_shr:1 row_mask:0xf bank_mask:0xf
	v_cmp_eq_u32_e32 vcc_lo, 0, v8
	v_mov_b32_dpp v18, v8 row_shr:1 row_mask:0xf bank_mask:0xf
	s_delay_alu instid0(VALU_DEP_3) | instskip(SKIP_1) | instid1(VALU_DEP_3)
	v_cndmask_b32_e32 v11, 0, v11, vcc_lo
	v_cmp_eq_u32_e32 vcc_lo, 0, v12
	v_cndmask_b32_e64 v18, v18, 0, vcc_lo
	s_delay_alu instid0(VALU_DEP_3) | instskip(NEXT) | instid1(VALU_DEP_2)
	v_cndmask_b32_e64 v11, v11, 0, vcc_lo
	v_add_nc_u32_e32 v8, v18, v8
	s_delay_alu instid0(VALU_DEP_1) | instskip(SKIP_1) | instid1(VALU_DEP_3)
	v_cmp_eq_u32_e32 vcc_lo, 0, v8
	s_and_b32 vcc_lo, s13, vcc_lo
	v_add_nc_u32_e32 v9, v11, v9
	v_mov_b32_dpp v11, v8 row_shr:2 row_mask:0xf bank_mask:0xf
	s_delay_alu instid0(VALU_DEP_2) | instskip(NEXT) | instid1(VALU_DEP_2)
	v_mov_b32_dpp v18, v9 row_shr:2 row_mask:0xf bank_mask:0xf
	v_cndmask_b32_e64 v11, 0, v11, s13
	v_cmp_lt_u32_e64 s13, 3, v12
	s_delay_alu instid0(VALU_DEP_3) | instskip(NEXT) | instid1(VALU_DEP_3)
	v_cndmask_b32_e32 v18, 0, v18, vcc_lo
	v_add_nc_u32_e32 v8, v11, v8
	s_delay_alu instid0(VALU_DEP_1) | instskip(SKIP_3) | instid1(VALU_DEP_2)
	v_cmp_eq_u32_e32 vcc_lo, 0, v8
	v_mov_b32_dpp v11, v8 row_shr:4 row_mask:0xf bank_mask:0xf
	s_and_b32 vcc_lo, s13, vcc_lo
	v_add_nc_u32_e32 v9, v18, v9
	v_cndmask_b32_e64 v11, 0, v11, s13
	s_delay_alu instid0(VALU_DEP_2) | instskip(NEXT) | instid1(VALU_DEP_2)
	v_mov_b32_dpp v12, v9 row_shr:4 row_mask:0xf bank_mask:0xf
	v_add_nc_u32_e32 v8, v11, v8
	s_delay_alu instid0(VALU_DEP_2) | instskip(NEXT) | instid1(VALU_DEP_1)
	v_cndmask_b32_e32 v12, 0, v12, vcc_lo
	v_add_nc_u32_e32 v9, v12, v9
	ds_store_b64 v10, v[8:9] offset:1040
.LBB740_79:
	s_or_b32 exec_lo, exec_lo, s14
	v_cmp_gt_u32_e32 vcc_lo, 32, v0
	v_dual_mov_b32 v18, 0 :: v_dual_mov_b32 v19, 0
	s_mov_b32 s14, exec_lo
	s_waitcnt lgkmcnt(0)
	s_barrier
	buffer_gl0_inv
	v_cmpx_lt_u32_e32 31, v0
	s_cbranch_execz .LBB740_81
; %bb.80:
	ds_load_b64 v[18:19], v7 offset:1032
	v_cmp_eq_u32_e64 s13, 0, v5
	s_waitcnt lgkmcnt(0)
	s_delay_alu instid0(VALU_DEP_1) | instskip(SKIP_1) | instid1(VALU_DEP_2)
	v_cndmask_b32_e64 v7, 0, v19, s13
	v_add_nc_u32_e32 v5, v18, v5
	v_add_nc_u32_e32 v6, v7, v6
.LBB740_81:
	s_or_b32 exec_lo, exec_lo, s14
	v_add_nc_u32_e32 v7, -1, v74
	s_delay_alu instid0(VALU_DEP_1) | instskip(NEXT) | instid1(VALU_DEP_1)
	v_cmp_gt_i32_e64 s13, 0, v7
	v_cndmask_b32_e64 v7, v7, v74, s13
	v_cmp_eq_u32_e64 s13, 0, v74
	s_delay_alu instid0(VALU_DEP_2)
	v_lshlrev_b32_e32 v7, 2, v7
	ds_bpermute_b32 v26, v7, v5
	ds_bpermute_b32 v27, v7, v6
	s_and_saveexec_b32 s17, vcc_lo
	s_cbranch_execz .LBB740_99
; %bb.82:
	v_mov_b32_e32 v8, 0
	ds_load_b64 v[5:6], v8 offset:1096
	s_waitcnt lgkmcnt(0)
	v_readfirstlane_b32 s21, v6
	s_and_saveexec_b32 s14, s13
	s_cbranch_execz .LBB740_84
; %bb.83:
	s_add_i32 s26, s15, 32
	s_mov_b32 s27, 0
	v_mov_b32_e32 v7, 1
	s_lshl_b64 s[28:29], s[26:27], 4
	s_mov_b32 s30, s27
	s_add_u32 s28, s24, s28
	s_addc_u32 s29, s25, s29
	s_and_b32 s31, s21, 0xff000000
	s_and_b32 s41, s21, 0xff0000
	s_mov_b32 s40, s27
	v_dual_mov_b32 v9, s28 :: v_dual_mov_b32 v10, s29
	s_or_b64 s[30:31], s[40:41], s[30:31]
	s_and_b32 s41, s21, 0xff00
	s_delay_alu instid0(SALU_CYCLE_1) | instskip(SKIP_1) | instid1(SALU_CYCLE_1)
	s_or_b64 s[30:31], s[30:31], s[40:41]
	s_and_b32 s41, s21, 0xff
	s_or_b64 s[26:27], s[30:31], s[40:41]
	s_delay_alu instid0(SALU_CYCLE_1)
	v_mov_b32_e32 v6, s27
	;;#ASMSTART
	global_store_dwordx4 v[9:10], v[5:8] off	
s_waitcnt vmcnt(0)
	;;#ASMEND
.LBB740_84:
	s_or_b32 exec_lo, exec_lo, s14
	v_xad_u32 v20, v74, -1, s15
	s_mov_b32 s26, 0
	s_mov_b32 s14, exec_lo
	s_delay_alu instid0(VALU_DEP_1) | instskip(NEXT) | instid1(VALU_DEP_1)
	v_add_nc_u32_e32 v7, 32, v20
	v_lshlrev_b64 v[6:7], 4, v[7:8]
	s_delay_alu instid0(VALU_DEP_1) | instskip(NEXT) | instid1(VALU_DEP_2)
	v_add_co_u32 v6, vcc_lo, s24, v6
	v_add_co_ci_u32_e32 v7, vcc_lo, s25, v7, vcc_lo
	;;#ASMSTART
	global_load_dwordx4 v[9:12], v[6:7] off glc	
s_waitcnt vmcnt(0)
	;;#ASMEND
	v_and_b32_e32 v8, 0xff, v10
	v_and_b32_e32 v12, 0xff00, v10
	;; [unrolled: 1-line block ×3, first 2 shown]
	v_or3_b32 v9, v9, 0, 0
	v_and_b32_e32 v10, 0xff000000, v10
	s_delay_alu instid0(VALU_DEP_4) | instskip(SKIP_1) | instid1(VALU_DEP_4)
	v_or3_b32 v8, 0, v8, v12
	v_and_b32_e32 v12, 0xff, v11
	v_or3_b32 v9, v9, 0, 0
	s_delay_alu instid0(VALU_DEP_3) | instskip(NEXT) | instid1(VALU_DEP_3)
	v_or3_b32 v10, v8, v21, v10
	v_cmpx_eq_u16_e32 0, v12
	s_cbranch_execz .LBB740_87
.LBB740_85:                             ; =>This Inner Loop Header: Depth=1
	;;#ASMSTART
	global_load_dwordx4 v[9:12], v[6:7] off glc	
s_waitcnt vmcnt(0)
	;;#ASMEND
	v_and_b32_e32 v8, 0xff, v11
	s_delay_alu instid0(VALU_DEP_1) | instskip(SKIP_1) | instid1(SALU_CYCLE_1)
	v_cmp_ne_u16_e32 vcc_lo, 0, v8
	s_or_b32 s26, vcc_lo, s26
	s_and_not1_b32 exec_lo, exec_lo, s26
	s_cbranch_execnz .LBB740_85
; %bb.86:
	s_or_b32 exec_lo, exec_lo, s26
.LBB740_87:
	s_delay_alu instid0(SALU_CYCLE_1)
	s_or_b32 exec_lo, exec_lo, s14
	v_cmp_ne_u32_e32 vcc_lo, 31, v74
	v_and_b32_e32 v7, 0xff, v11
	v_lshlrev_b32_e64 v28, v74, -1
	v_add_nc_u32_e32 v30, 2, v74
	v_add_nc_u32_e32 v32, 4, v74
	v_add_co_ci_u32_e32 v6, vcc_lo, 0, v74, vcc_lo
	v_cmp_eq_u16_e32 vcc_lo, 2, v7
	v_add_nc_u32_e32 v34, 8, v74
	v_add_nc_u32_e32 v38, 16, v74
	v_and_or_b32 v12, vcc_lo, v28, 0x80000000
	v_cmp_gt_u32_e32 vcc_lo, 30, v74
	s_delay_alu instid0(VALU_DEP_2) | instskip(SKIP_2) | instid1(VALU_DEP_3)
	v_ctz_i32_b32_e32 v12, v12
	v_cndmask_b32_e64 v21, 0, 1, vcc_lo
	v_cmp_eq_u32_e32 vcc_lo, 0, v9
	v_cmp_lt_u32_e64 s14, v74, v12
	s_delay_alu instid0(VALU_DEP_3) | instskip(NEXT) | instid1(VALU_DEP_2)
	v_lshlrev_b32_e32 v21, 1, v21
	s_and_b32 vcc_lo, s14, vcc_lo
	v_lshlrev_b32_e32 v6, 2, v6
	s_delay_alu instid0(VALU_DEP_2)
	v_add_lshl_u32 v29, v21, v74, 2
	ds_bpermute_b32 v7, v6, v10
	s_waitcnt lgkmcnt(0)
	v_cndmask_b32_e32 v7, 0, v7, vcc_lo
	ds_bpermute_b32 v8, v6, v9
	v_cmp_gt_u32_e32 vcc_lo, 28, v74
	v_add_nc_u32_e32 v7, v7, v10
	ds_bpermute_b32 v10, v29, v7
	s_waitcnt lgkmcnt(1)
	v_cndmask_b32_e64 v8, 0, v8, s14
	s_delay_alu instid0(VALU_DEP_1) | instskip(SKIP_1) | instid1(VALU_DEP_2)
	v_add_nc_u32_e32 v8, v8, v9
	v_cndmask_b32_e64 v9, 0, 1, vcc_lo
	v_cmp_eq_u32_e32 vcc_lo, 0, v8
	ds_bpermute_b32 v21, v29, v8
	s_waitcnt lgkmcnt(1)
	v_dual_cndmask_b32 v10, 0, v10 :: v_dual_lshlrev_b32 v9, 2, v9
	v_cmp_gt_u32_e32 vcc_lo, v30, v12
	s_delay_alu instid0(VALU_DEP_2) | instskip(NEXT) | instid1(VALU_DEP_3)
	v_add_lshl_u32 v31, v9, v74, 2
	v_cndmask_b32_e64 v10, v10, 0, vcc_lo
	s_delay_alu instid0(VALU_DEP_1) | instskip(SKIP_4) | instid1(VALU_DEP_2)
	v_add_nc_u32_e32 v7, v10, v7
	ds_bpermute_b32 v9, v31, v7
	s_waitcnt lgkmcnt(1)
	v_cndmask_b32_e64 v10, v21, 0, vcc_lo
	v_cmp_gt_u32_e32 vcc_lo, 24, v74
	v_add_nc_u32_e32 v8, v8, v10
	v_cndmask_b32_e64 v21, 0, 1, vcc_lo
	ds_bpermute_b32 v10, v31, v8
	v_cmp_eq_u32_e32 vcc_lo, 0, v8
	v_lshlrev_b32_e32 v21, 3, v21
	s_delay_alu instid0(VALU_DEP_1) | instskip(SKIP_3) | instid1(VALU_DEP_2)
	v_add_lshl_u32 v33, v21, v74, 2
	s_waitcnt lgkmcnt(1)
	v_cndmask_b32_e32 v9, 0, v9, vcc_lo
	v_cmp_gt_u32_e32 vcc_lo, v32, v12
	v_cndmask_b32_e64 v9, v9, 0, vcc_lo
	s_delay_alu instid0(VALU_DEP_1)
	v_add_nc_u32_e32 v7, v7, v9
	s_waitcnt lgkmcnt(0)
	v_cndmask_b32_e64 v10, v10, 0, vcc_lo
	v_cmp_gt_u32_e32 vcc_lo, 16, v74
	ds_bpermute_b32 v9, v33, v7
	v_add_nc_u32_e32 v8, v8, v10
	v_cndmask_b32_e64 v21, 0, 1, vcc_lo
	ds_bpermute_b32 v10, v33, v8
	v_cmp_eq_u32_e32 vcc_lo, 0, v8
	v_lshlrev_b32_e32 v21, 4, v21
	s_delay_alu instid0(VALU_DEP_1) | instskip(SKIP_4) | instid1(VALU_DEP_2)
	v_add_lshl_u32 v35, v21, v74, 2
	v_mov_b32_e32 v21, 0
	s_waitcnt lgkmcnt(1)
	v_cndmask_b32_e32 v9, 0, v9, vcc_lo
	v_cmp_gt_u32_e32 vcc_lo, v34, v12
	v_cndmask_b32_e64 v9, v9, 0, vcc_lo
	s_delay_alu instid0(VALU_DEP_1)
	v_add_nc_u32_e32 v7, v7, v9
	s_waitcnt lgkmcnt(0)
	v_cndmask_b32_e64 v9, v10, 0, vcc_lo
	ds_bpermute_b32 v10, v35, v7
	v_add_nc_u32_e32 v8, v8, v9
	ds_bpermute_b32 v9, v35, v8
	v_cmp_eq_u32_e32 vcc_lo, 0, v8
	s_waitcnt lgkmcnt(1)
	v_cndmask_b32_e32 v10, 0, v10, vcc_lo
	v_cmp_gt_u32_e32 vcc_lo, v38, v12
	s_delay_alu instid0(VALU_DEP_2) | instskip(SKIP_2) | instid1(VALU_DEP_2)
	v_cndmask_b32_e64 v10, v10, 0, vcc_lo
	s_waitcnt lgkmcnt(0)
	v_cndmask_b32_e64 v9, v9, 0, vcc_lo
	v_add_nc_u32_e32 v10, v10, v7
	s_delay_alu instid0(VALU_DEP_2)
	v_add_nc_u32_e32 v9, v9, v8
	s_branch .LBB740_89
.LBB740_88:                             ;   in Loop: Header=BB740_89 Depth=1
	s_or_b32 exec_lo, exec_lo, s14
	v_and_b32_e32 v12, 0xff, v11
	ds_bpermute_b32 v22, v6, v9
	v_subrev_nc_u32_e32 v20, 32, v20
	v_cmp_eq_u16_e32 vcc_lo, 2, v12
	ds_bpermute_b32 v12, v6, v10
	v_and_or_b32 v23, vcc_lo, v28, 0x80000000
	v_cmp_eq_u32_e32 vcc_lo, 0, v9
	s_delay_alu instid0(VALU_DEP_2) | instskip(NEXT) | instid1(VALU_DEP_1)
	v_ctz_i32_b32_e32 v23, v23
	v_cmp_lt_u32_e64 s14, v74, v23
	s_delay_alu instid0(VALU_DEP_1) | instskip(SKIP_4) | instid1(VALU_DEP_2)
	s_and_b32 vcc_lo, s14, vcc_lo
	s_waitcnt lgkmcnt(1)
	v_cndmask_b32_e64 v22, 0, v22, s14
	s_waitcnt lgkmcnt(0)
	v_cndmask_b32_e32 v12, 0, v12, vcc_lo
	v_add_nc_u32_e32 v9, v22, v9
	s_delay_alu instid0(VALU_DEP_2)
	v_add_nc_u32_e32 v10, v12, v10
	ds_bpermute_b32 v22, v29, v9
	ds_bpermute_b32 v12, v29, v10
	v_cmp_eq_u32_e32 vcc_lo, 0, v9
	s_waitcnt lgkmcnt(0)
	v_cndmask_b32_e32 v12, 0, v12, vcc_lo
	v_cmp_gt_u32_e32 vcc_lo, v30, v23
	v_cndmask_b32_e64 v22, v22, 0, vcc_lo
	s_delay_alu instid0(VALU_DEP_1) | instskip(NEXT) | instid1(VALU_DEP_4)
	v_add_nc_u32_e32 v9, v9, v22
	v_cndmask_b32_e64 v12, v12, 0, vcc_lo
	ds_bpermute_b32 v22, v31, v9
	v_add_nc_u32_e32 v10, v12, v10
	v_cmp_eq_u32_e32 vcc_lo, 0, v9
	ds_bpermute_b32 v12, v31, v10
	s_waitcnt lgkmcnt(0)
	v_cndmask_b32_e32 v12, 0, v12, vcc_lo
	v_cmp_gt_u32_e32 vcc_lo, v32, v23
	v_cndmask_b32_e64 v22, v22, 0, vcc_lo
	s_delay_alu instid0(VALU_DEP_1) | instskip(NEXT) | instid1(VALU_DEP_4)
	v_add_nc_u32_e32 v9, v9, v22
	v_cndmask_b32_e64 v12, v12, 0, vcc_lo
	ds_bpermute_b32 v22, v33, v9
	v_add_nc_u32_e32 v10, v10, v12
	v_cmp_eq_u32_e32 vcc_lo, 0, v9
	ds_bpermute_b32 v12, v33, v10
	;; [unrolled: 11-line block ×3, first 2 shown]
	s_waitcnt lgkmcnt(0)
	v_cndmask_b32_e32 v12, 0, v12, vcc_lo
	v_cmp_gt_u32_e32 vcc_lo, v38, v23
	s_delay_alu instid0(VALU_DEP_2) | instskip(NEXT) | instid1(VALU_DEP_1)
	v_cndmask_b32_e64 v12, v12, 0, vcc_lo
	v_add_nc_u32_e32 v10, v12, v10
	v_cndmask_b32_e64 v12, v22, 0, vcc_lo
	v_cmp_eq_u32_e32 vcc_lo, 0, v7
	s_delay_alu instid0(VALU_DEP_2) | instskip(NEXT) | instid1(VALU_DEP_4)
	v_add3_u32 v9, v9, v7, v12
	v_cndmask_b32_e32 v10, 0, v10, vcc_lo
	s_delay_alu instid0(VALU_DEP_1)
	v_add_nc_u32_e32 v10, v10, v8
.LBB740_89:                             ; =>This Loop Header: Depth=1
                                        ;     Child Loop BB740_92 Depth 2
	s_delay_alu instid0(VALU_DEP_1) | instskip(NEXT) | instid1(VALU_DEP_1)
	v_dual_mov_b32 v8, v10 :: v_dual_and_b32 v7, 0xff, v11
	v_cmp_ne_u16_e32 vcc_lo, 2, v7
	v_cndmask_b32_e64 v7, 0, 1, vcc_lo
	;;#ASMSTART
	;;#ASMEND
	s_delay_alu instid0(VALU_DEP_1)
	v_cmp_ne_u32_e32 vcc_lo, 0, v7
	v_mov_b32_e32 v7, v9
	s_cmp_lg_u32 vcc_lo, exec_lo
	s_cbranch_scc1 .LBB740_94
; %bb.90:                               ;   in Loop: Header=BB740_89 Depth=1
	v_lshlrev_b64 v[9:10], 4, v[20:21]
	s_mov_b32 s14, exec_lo
	s_delay_alu instid0(VALU_DEP_1) | instskip(NEXT) | instid1(VALU_DEP_2)
	v_add_co_u32 v22, vcc_lo, s24, v9
	v_add_co_ci_u32_e32 v23, vcc_lo, s25, v10, vcc_lo
	;;#ASMSTART
	global_load_dwordx4 v[9:12], v[22:23] off glc	
s_waitcnt vmcnt(0)
	;;#ASMEND
	v_and_b32_e32 v12, 0xff, v10
	v_and_b32_e32 v39, 0xff00, v10
	v_and_b32_e32 v40, 0xff0000, v10
	v_or3_b32 v9, v9, 0, 0
	v_and_b32_e32 v10, 0xff000000, v10
	s_delay_alu instid0(VALU_DEP_4) | instskip(SKIP_1) | instid1(VALU_DEP_4)
	v_or3_b32 v12, 0, v12, v39
	v_and_b32_e32 v39, 0xff, v11
	v_or3_b32 v9, v9, 0, 0
	s_delay_alu instid0(VALU_DEP_3) | instskip(NEXT) | instid1(VALU_DEP_3)
	v_or3_b32 v10, v12, v40, v10
	v_cmpx_eq_u16_e32 0, v39
	s_cbranch_execz .LBB740_88
; %bb.91:                               ;   in Loop: Header=BB740_89 Depth=1
	s_mov_b32 s26, 0
.LBB740_92:                             ;   Parent Loop BB740_89 Depth=1
                                        ; =>  This Inner Loop Header: Depth=2
	;;#ASMSTART
	global_load_dwordx4 v[9:12], v[22:23] off glc	
s_waitcnt vmcnt(0)
	;;#ASMEND
	v_and_b32_e32 v12, 0xff, v11
	s_delay_alu instid0(VALU_DEP_1) | instskip(SKIP_1) | instid1(SALU_CYCLE_1)
	v_cmp_ne_u16_e32 vcc_lo, 0, v12
	s_or_b32 s26, vcc_lo, s26
	s_and_not1_b32 exec_lo, exec_lo, s26
	s_cbranch_execnz .LBB740_92
; %bb.93:                               ;   in Loop: Header=BB740_89 Depth=1
	s_or_b32 exec_lo, exec_lo, s26
	s_branch .LBB740_88
.LBB740_94:                             ;   in Loop: Header=BB740_89 Depth=1
                                        ; implicit-def: $vgpr10
                                        ; implicit-def: $vgpr9
                                        ; implicit-def: $vgpr11
	s_cbranch_execz .LBB740_89
; %bb.95:
	s_and_saveexec_b32 s14, s13
	s_cbranch_execz .LBB740_97
; %bb.96:
	v_cmp_eq_u32_e32 vcc_lo, 0, v5
	s_mov_b32 s27, 0
	s_add_i32 s26, s15, 32
	v_add_nc_u32_e32 v9, v7, v5
	s_lshl_b64 s[26:27], s[26:27], 4
	v_cndmask_b32_e32 v6, 0, v8, vcc_lo
	s_add_u32 s26, s24, s26
	s_addc_u32 s27, s25, s27
	v_mov_b32_e32 v12, 0
	s_delay_alu instid0(VALU_DEP_2) | instskip(NEXT) | instid1(VALU_DEP_1)
	v_add_nc_u32_e32 v6, s21, v6
	v_and_b32_e32 v10, 0xff000000, v6
	v_and_b32_e32 v11, 0xff0000, v6
	s_delay_alu instid0(VALU_DEP_1) | instskip(SKIP_2) | instid1(VALU_DEP_1)
	v_or_b32_e32 v10, v11, v10
	v_dual_mov_b32 v11, 2 :: v_dual_and_b32 v20, 0xff00, v6
	v_and_b32_e32 v6, 0xff, v6
	v_or3_b32 v10, v10, v20, v6
	v_mov_b32_e32 v6, s21
	v_dual_mov_b32 v20, s26 :: v_dual_mov_b32 v21, s27
	;;#ASMSTART
	global_store_dwordx4 v[20:21], v[9:12] off	
s_waitcnt vmcnt(0)
	;;#ASMEND
	ds_store_b128 v12, v[5:8] offset:1024
.LBB740_97:
	s_or_b32 exec_lo, exec_lo, s14
	v_cmp_eq_u32_e32 vcc_lo, 0, v0
	s_and_b32 exec_lo, exec_lo, vcc_lo
	s_cbranch_execz .LBB740_99
; %bb.98:
	v_mov_b32_e32 v5, 0
	ds_store_b64 v5, v[7:8] offset:1096
.LBB740_99:
	s_or_b32 exec_lo, exec_lo, s17
	s_waitcnt lgkmcnt(1)
	v_cndmask_b32_e64 v8, v26, v18, s13
	s_waitcnt lgkmcnt(0)
	s_barrier
	buffer_gl0_inv
	v_cndmask_b32_e64 v9, v27, v19, s13
	v_cmp_eq_u32_e32 vcc_lo, 0, v8
	v_mov_b32_e32 v7, 0
	v_cmp_eq_u32_e64 s13, 0, v65
	ds_load_b64 v[5:6], v7 offset:1096
	s_waitcnt lgkmcnt(0)
	s_barrier
	buffer_gl0_inv
	v_cndmask_b32_e32 v10, 0, v6, vcc_lo
	v_cmp_eq_u32_e32 vcc_lo, 0, v0
	s_delay_alu instid0(VALU_DEP_2) | instskip(NEXT) | instid1(VALU_DEP_1)
	v_add_nc_u32_e32 v9, v10, v9
	v_cndmask_b32_e32 v39, v9, v6, vcc_lo
	s_delay_alu instid0(VALU_DEP_1) | instskip(NEXT) | instid1(VALU_DEP_1)
	v_cndmask_b32_e64 v6, 0, v39, s13
	v_add_nc_u32_e32 v45, v6, v48
	s_delay_alu instid0(VALU_DEP_1) | instskip(NEXT) | instid1(VALU_DEP_1)
	v_cndmask_b32_e64 v6, 0, v45, s12
	v_add_nc_u32_e32 v41, v6, v73
	;; [unrolled: 3-line block ×6, first 2 shown]
	v_cndmask_b32_e64 v6, v8, 0, vcc_lo
	s_delay_alu instid0(VALU_DEP_2) | instskip(NEXT) | instid1(VALU_DEP_2)
	v_cndmask_b32_e64 v8, 0, v21, s7
	v_add_nc_u32_e32 v38, v5, v6
	s_delay_alu instid0(VALU_DEP_2) | instskip(NEXT) | instid1(VALU_DEP_2)
	v_add_nc_u32_e32 v27, v8, v37
	v_add_nc_u32_e32 v44, v38, v65
	s_delay_alu instid0(VALU_DEP_2) | instskip(NEXT) | instid1(VALU_DEP_2)
	v_cndmask_b32_e64 v5, 0, v27, s6
	v_add_nc_u32_e32 v40, v44, v64
	s_delay_alu instid0(VALU_DEP_2) | instskip(NEXT) | instid1(VALU_DEP_2)
	v_add_nc_u32_e32 v31, v5, v70
	v_add_nc_u32_e32 v34, v40, v63
	;; [unrolled: 6-line block ×4, first 2 shown]
	s_delay_alu instid0(VALU_DEP_2) | instskip(NEXT) | instid1(VALU_DEP_2)
	v_cndmask_b32_e64 v5, 0, v12, s3
	v_add_nc_u32_e32 v30, v26, v58
	s_delay_alu instid0(VALU_DEP_2) | instskip(SKIP_3) | instid1(VALU_DEP_2)
	v_add_nc_u32_e32 v19, v5, v25
	ds_load_b128 v[5:8], v7 offset:1024
	v_add_nc_u32_e32 v9, v30, v57
	v_cndmask_b32_e64 v18, 0, v19, s2
	v_add_nc_u32_e32 v11, v9, v54
	s_delay_alu instid0(VALU_DEP_2) | instskip(NEXT) | instid1(VALU_DEP_2)
	v_add_nc_u32_e32 v47, v18, v68
	v_add_nc_u32_e32 v18, v11, v53
	s_delay_alu instid0(VALU_DEP_2) | instskip(NEXT) | instid1(VALU_DEP_2)
	v_cndmask_b32_e64 v32, 0, v47, s1
	v_add_nc_u32_e32 v46, v18, v52
	s_delay_alu instid0(VALU_DEP_2) | instskip(SKIP_2) | instid1(VALU_DEP_3)
	v_add_nc_u32_e32 v43, v32, v16
	s_waitcnt lgkmcnt(0)
	v_cmp_eq_u32_e32 vcc_lo, 0, v5
	v_add_nc_u32_e32 v42, v46, v51
	s_delay_alu instid0(VALU_DEP_3) | instskip(SKIP_1) | instid1(VALU_DEP_3)
	v_cndmask_b32_e64 v33, 0, v43, s0
	v_cndmask_b32_e32 v8, 0, v8, vcc_lo
	v_add_nc_u32_e32 v32, v42, v50
	s_delay_alu instid0(VALU_DEP_3) | instskip(NEXT) | instid1(VALU_DEP_3)
	v_add_nc_u32_e32 v33, v33, v67
	v_add_nc_u32_e32 v66, v8, v6
	s_branch .LBB740_112
.LBB740_100:
                                        ; implicit-def: $vgpr5
                                        ; implicit-def: $vgpr66
                                        ; implicit-def: $vgpr38_vgpr39
                                        ; implicit-def: $vgpr44_vgpr45
                                        ; implicit-def: $vgpr40_vgpr41
                                        ; implicit-def: $vgpr34_vgpr35
                                        ; implicit-def: $vgpr28_vgpr29
                                        ; implicit-def: $vgpr22_vgpr23
                                        ; implicit-def: $vgpr20_vgpr21
                                        ; implicit-def: $vgpr26_vgpr27
                                        ; implicit-def: $vgpr30_vgpr31
                                        ; implicit-def: $vgpr9_vgpr10
                                        ; implicit-def: $vgpr11_vgpr12
                                        ; implicit-def: $vgpr18_vgpr19
                                        ; implicit-def: $vgpr46_vgpr47
                                        ; implicit-def: $vgpr42_vgpr43
                                        ; implicit-def: $vgpr32_vgpr33
	s_cbranch_execz .LBB740_112
; %bb.101:
	s_and_b32 s0, s16, exec_lo
	v_mov_b32_e32 v32, v48
	s_cselect_b32 s1, 0, s35
	s_cselect_b32 s0, 0, s34
	s_delay_alu instid0(SALU_CYCLE_1)
	s_cmp_eq_u64 s[0:1], 0
	s_cbranch_scc1 .LBB740_103
; %bb.102:
	v_mov_b32_e32 v5, 0
	global_load_b32 v32, v5, s[0:1]
.LBB740_103:
	v_cmp_eq_u32_e64 s6, 0, v64
	v_cmp_eq_u32_e64 s7, 0, v63
	;; [unrolled: 1-line block ×5, first 2 shown]
	v_cndmask_b32_e64 v5, 0, v48, s6
	v_cmp_eq_u32_e64 s11, 0, v59
	v_cmp_eq_u32_e64 s5, 0, v58
	;; [unrolled: 1-line block ×4, first 2 shown]
	v_add_nc_u32_e32 v5, v5, v73
	v_cmp_eq_u32_e64 s2, 0, v53
	v_cmp_eq_u32_e64 s1, 0, v52
	v_cmp_eq_u32_e32 vcc_lo, 0, v51
	v_add3_u32 v6, v77, v60, v59
	v_cndmask_b32_e64 v5, 0, v5, s7
	v_cmp_eq_u32_e64 s0, 0, v50
	v_cmp_eq_u32_e64 s12, 0, v55
	v_and_b32_e32 v8, 15, v74
	v_add3_u32 v6, v6, v58, v57
	v_add_nc_u32_e32 v5, v5, v49
	s_delay_alu instid0(VALU_DEP_3) | instskip(NEXT) | instid1(VALU_DEP_3)
	v_cmp_lt_u32_e64 s13, 1, v8
	v_add3_u32 v6, v6, v54, v53
	s_delay_alu instid0(VALU_DEP_3) | instskip(NEXT) | instid1(VALU_DEP_2)
	v_cndmask_b32_e64 v5, 0, v5, s8
	v_add3_u32 v6, v6, v52, v51
	s_delay_alu instid0(VALU_DEP_2) | instskip(NEXT) | instid1(VALU_DEP_2)
	v_add_nc_u32_e32 v5, v5, v72
	v_add3_u32 v6, v6, v50, v55
	s_delay_alu instid0(VALU_DEP_2) | instskip(NEXT) | instid1(VALU_DEP_2)
	v_cndmask_b32_e64 v5, 0, v5, s9
	v_mov_b32_dpp v9, v6 row_shr:1 row_mask:0xf bank_mask:0xf
	s_delay_alu instid0(VALU_DEP_2) | instskip(NEXT) | instid1(VALU_DEP_1)
	v_add_nc_u32_e32 v5, v5, v36
	v_cndmask_b32_e64 v5, 0, v5, s10
	s_delay_alu instid0(VALU_DEP_1) | instskip(NEXT) | instid1(VALU_DEP_1)
	v_add_nc_u32_e32 v5, v5, v71
	v_cndmask_b32_e64 v5, 0, v5, s11
	s_delay_alu instid0(VALU_DEP_1) | instskip(NEXT) | instid1(VALU_DEP_1)
	;; [unrolled: 3-line block ×7, first 2 shown]
	v_add_nc_u32_e32 v5, v5, v68
	v_cndmask_b32_e32 v5, 0, v5, vcc_lo
	s_delay_alu instid0(VALU_DEP_1) | instskip(NEXT) | instid1(VALU_DEP_1)
	v_add_nc_u32_e32 v5, v5, v16
	v_cndmask_b32_e64 v5, 0, v5, s0
	s_delay_alu instid0(VALU_DEP_1) | instskip(NEXT) | instid1(VALU_DEP_1)
	v_add_nc_u32_e32 v5, v5, v67
	v_cndmask_b32_e64 v5, 0, v5, s12
	v_cmp_eq_u32_e64 s12, 0, v6
	s_delay_alu instid0(VALU_DEP_2) | instskip(NEXT) | instid1(VALU_DEP_1)
	v_add_nc_u32_e32 v5, v5, v17
	v_mov_b32_dpp v7, v5 row_shr:1 row_mask:0xf bank_mask:0xf
	s_delay_alu instid0(VALU_DEP_1) | instskip(SKIP_1) | instid1(VALU_DEP_1)
	v_cndmask_b32_e64 v7, 0, v7, s12
	v_cmp_eq_u32_e64 s12, 0, v8
	v_cndmask_b32_e64 v9, v9, 0, s12
	s_delay_alu instid0(VALU_DEP_3) | instskip(NEXT) | instid1(VALU_DEP_2)
	v_cndmask_b32_e64 v7, v7, 0, s12
	v_add_nc_u32_e32 v6, v9, v6
	s_delay_alu instid0(VALU_DEP_2) | instskip(NEXT) | instid1(VALU_DEP_2)
	v_add_nc_u32_e32 v5, v7, v5
	v_mov_b32_dpp v7, v6 row_shr:2 row_mask:0xf bank_mask:0xf
	v_cmp_eq_u32_e64 s12, 0, v6
	s_delay_alu instid0(VALU_DEP_3) | instskip(NEXT) | instid1(VALU_DEP_3)
	v_mov_b32_dpp v9, v5 row_shr:2 row_mask:0xf bank_mask:0xf
	v_cndmask_b32_e64 v7, 0, v7, s13
	s_delay_alu instid0(VALU_DEP_3) | instskip(SKIP_1) | instid1(VALU_DEP_3)
	s_and_b32 s12, s13, s12
	v_cmp_lt_u32_e64 s13, 3, v8
	v_cndmask_b32_e64 v9, 0, v9, s12
	s_delay_alu instid0(VALU_DEP_3) | instskip(NEXT) | instid1(VALU_DEP_2)
	v_add_nc_u32_e32 v6, v6, v7
	v_add_nc_u32_e32 v5, v9, v5
	s_delay_alu instid0(VALU_DEP_2) | instskip(SKIP_1) | instid1(VALU_DEP_3)
	v_mov_b32_dpp v7, v6 row_shr:4 row_mask:0xf bank_mask:0xf
	v_cmp_eq_u32_e64 s12, 0, v6
	v_mov_b32_dpp v9, v5 row_shr:4 row_mask:0xf bank_mask:0xf
	s_delay_alu instid0(VALU_DEP_3) | instskip(NEXT) | instid1(VALU_DEP_3)
	v_cndmask_b32_e64 v7, 0, v7, s13
	s_and_b32 s12, s13, s12
	v_cmp_lt_u32_e64 s13, 7, v8
	s_delay_alu instid0(VALU_DEP_3) | instskip(NEXT) | instid1(VALU_DEP_3)
	v_cndmask_b32_e64 v9, 0, v9, s12
	v_add_nc_u32_e32 v6, v7, v6
	s_delay_alu instid0(VALU_DEP_2) | instskip(SKIP_1) | instid1(VALU_DEP_3)
	v_add_nc_u32_e32 v5, v5, v9
	v_bfe_i32 v9, v74, 4, 1
	v_cmp_eq_u32_e64 s12, 0, v6
	v_mov_b32_dpp v7, v6 row_shr:8 row_mask:0xf bank_mask:0xf
	s_delay_alu instid0(VALU_DEP_4) | instskip(NEXT) | instid1(VALU_DEP_3)
	v_mov_b32_dpp v8, v5 row_shr:8 row_mask:0xf bank_mask:0xf
	s_and_b32 s12, s13, s12
	s_delay_alu instid0(VALU_DEP_2) | instskip(SKIP_1) | instid1(VALU_DEP_2)
	v_cndmask_b32_e64 v7, 0, v7, s13
	s_mov_b32 s13, exec_lo
	v_cndmask_b32_e64 v8, 0, v8, s12
	s_delay_alu instid0(VALU_DEP_1) | instskip(NEXT) | instid1(VALU_DEP_3)
	v_add_nc_u32_e32 v8, v8, v5
	v_add_nc_u32_e32 v5, v7, v6
	ds_swizzle_b32 v6, v8 offset:swizzle(BROADCAST,32,15)
	ds_swizzle_b32 v7, v5 offset:swizzle(BROADCAST,32,15)
	v_cmp_eq_u32_e64 s12, 0, v5
	s_waitcnt lgkmcnt(1)
	s_delay_alu instid0(VALU_DEP_1) | instskip(SKIP_2) | instid1(VALU_DEP_2)
	v_cndmask_b32_e64 v6, 0, v6, s12
	s_waitcnt lgkmcnt(0)
	v_and_b32_e32 v7, v9, v7
	v_and_b32_e32 v6, v9, v6
	s_delay_alu instid0(VALU_DEP_2) | instskip(NEXT) | instid1(VALU_DEP_2)
	v_add_nc_u32_e32 v5, v7, v5
	v_add_nc_u32_e32 v6, v6, v8
	v_lshlrev_b32_e32 v8, 3, v75
	v_cmpx_eq_u32_e64 v76, v0
	s_cbranch_execz .LBB740_105
; %bb.104:
	ds_store_b64 v8, v[5:6] offset:1040
.LBB740_105:
	s_or_b32 exec_lo, exec_lo, s13
	s_delay_alu instid0(SALU_CYCLE_1)
	s_mov_b32 s14, exec_lo
	s_waitcnt vmcnt(0) lgkmcnt(0)
	s_barrier
	buffer_gl0_inv
	v_cmpx_gt_u32_e32 8, v0
	s_cbranch_execz .LBB740_107
; %bb.106:
	v_lshlrev_b32_e32 v7, 3, v0
	v_and_b32_e32 v12, 7, v74
	ds_load_b64 v[9:10], v7 offset:1040
	v_cmp_lt_u32_e64 s13, 1, v12
	s_waitcnt lgkmcnt(0)
	v_mov_b32_dpp v11, v10 row_shr:1 row_mask:0xf bank_mask:0xf
	v_cmp_eq_u32_e64 s12, 0, v9
	v_mov_b32_dpp v17, v9 row_shr:1 row_mask:0xf bank_mask:0xf
	s_delay_alu instid0(VALU_DEP_2) | instskip(SKIP_1) | instid1(VALU_DEP_1)
	v_cndmask_b32_e64 v11, 0, v11, s12
	v_cmp_eq_u32_e64 s12, 0, v12
	v_cndmask_b32_e64 v17, v17, 0, s12
	s_delay_alu instid0(VALU_DEP_3) | instskip(NEXT) | instid1(VALU_DEP_2)
	v_cndmask_b32_e64 v11, v11, 0, s12
	v_add_nc_u32_e32 v9, v17, v9
	s_delay_alu instid0(VALU_DEP_2) | instskip(NEXT) | instid1(VALU_DEP_2)
	v_add_nc_u32_e32 v10, v11, v10
	v_mov_b32_dpp v11, v9 row_shr:2 row_mask:0xf bank_mask:0xf
	v_cmp_eq_u32_e64 s12, 0, v9
	s_delay_alu instid0(VALU_DEP_3) | instskip(NEXT) | instid1(VALU_DEP_3)
	v_mov_b32_dpp v17, v10 row_shr:2 row_mask:0xf bank_mask:0xf
	v_cndmask_b32_e64 v11, 0, v11, s13
	s_delay_alu instid0(VALU_DEP_3) | instskip(SKIP_1) | instid1(VALU_DEP_3)
	s_and_b32 s12, s13, s12
	v_cmp_lt_u32_e64 s13, 3, v12
	v_cndmask_b32_e64 v17, 0, v17, s12
	s_delay_alu instid0(VALU_DEP_3) | instskip(NEXT) | instid1(VALU_DEP_2)
	v_add_nc_u32_e32 v9, v11, v9
	v_add_nc_u32_e32 v10, v17, v10
	s_delay_alu instid0(VALU_DEP_2) | instskip(SKIP_1) | instid1(VALU_DEP_3)
	v_cmp_eq_u32_e64 s12, 0, v9
	v_mov_b32_dpp v11, v9 row_shr:4 row_mask:0xf bank_mask:0xf
	v_mov_b32_dpp v12, v10 row_shr:4 row_mask:0xf bank_mask:0xf
	s_delay_alu instid0(VALU_DEP_3) | instskip(NEXT) | instid1(VALU_DEP_2)
	s_and_b32 s12, s13, s12
	v_cndmask_b32_e64 v11, 0, v11, s13
	s_delay_alu instid0(VALU_DEP_2) | instskip(NEXT) | instid1(VALU_DEP_2)
	v_cndmask_b32_e64 v12, 0, v12, s12
	v_add_nc_u32_e32 v9, v11, v9
	s_delay_alu instid0(VALU_DEP_2)
	v_add_nc_u32_e32 v10, v12, v10
	ds_store_b64 v7, v[9:10] offset:1040
.LBB740_107:
	s_or_b32 exec_lo, exec_lo, s14
	v_mov_b32_e32 v11, 0
	v_mov_b32_e32 v7, 0
	;; [unrolled: 1-line block ×3, first 2 shown]
	s_mov_b32 s13, exec_lo
	s_waitcnt lgkmcnt(0)
	s_barrier
	buffer_gl0_inv
	v_cmpx_lt_u32_e32 31, v0
	s_cbranch_execz .LBB740_109
; %bb.108:
	ds_load_b64 v[7:8], v8 offset:1032
	s_waitcnt lgkmcnt(0)
	v_cmp_eq_u32_e64 s12, 0, v7
	s_delay_alu instid0(VALU_DEP_1) | instskip(NEXT) | instid1(VALU_DEP_1)
	v_cndmask_b32_e64 v9, 0, v32, s12
	v_add_nc_u32_e32 v9, v9, v8
.LBB740_109:
	s_or_b32 exec_lo, exec_lo, s13
	v_add_nc_u32_e32 v8, -1, v74
	v_cmp_eq_u32_e64 s13, 0, v65
	s_delay_alu instid0(VALU_DEP_2) | instskip(NEXT) | instid1(VALU_DEP_1)
	v_cmp_gt_i32_e64 s12, 0, v8
	v_cndmask_b32_e64 v8, v8, v74, s12
	v_cmp_eq_u32_e64 s12, 0, v5
	v_add_nc_u32_e32 v5, v7, v5
	s_delay_alu instid0(VALU_DEP_3) | instskip(NEXT) | instid1(VALU_DEP_3)
	v_lshlrev_b32_e32 v8, 2, v8
	v_cndmask_b32_e64 v10, 0, v9, s12
	v_cmp_eq_u32_e64 s12, 0, v74
	ds_bpermute_b32 v5, v8, v5
	v_add_nc_u32_e32 v6, v10, v6
	ds_bpermute_b32 v6, v8, v6
	s_waitcnt lgkmcnt(1)
	v_cndmask_b32_e64 v5, v5, v7, s12
	s_waitcnt lgkmcnt(0)
	v_cndmask_b32_e64 v6, v6, v9, s12
	v_cmp_eq_u32_e64 s12, 0, v0
	s_delay_alu instid0(VALU_DEP_1) | instskip(SKIP_1) | instid1(VALU_DEP_2)
	v_cndmask_b32_e64 v39, v6, v32, s12
	v_cndmask_b32_e64 v38, v5, 0, s12
	;; [unrolled: 1-line block ×3, first 2 shown]
	s_delay_alu instid0(VALU_DEP_2) | instskip(NEXT) | instid1(VALU_DEP_2)
	v_add_nc_u32_e32 v44, v38, v65
	v_add_nc_u32_e32 v45, v6, v48
	s_delay_alu instid0(VALU_DEP_2) | instskip(NEXT) | instid1(VALU_DEP_2)
	v_add_nc_u32_e32 v40, v44, v64
	v_cndmask_b32_e64 v6, 0, v45, s6
	s_delay_alu instid0(VALU_DEP_2) | instskip(NEXT) | instid1(VALU_DEP_2)
	v_add_nc_u32_e32 v34, v40, v63
	v_add_nc_u32_e32 v41, v6, v73
	s_delay_alu instid0(VALU_DEP_2) | instskip(NEXT) | instid1(VALU_DEP_2)
	v_add_nc_u32_e32 v28, v34, v62
	v_cndmask_b32_e64 v6, 0, v41, s7
	;; [unrolled: 6-line block ×4, first 2 shown]
	s_delay_alu instid0(VALU_DEP_2) | instskip(NEXT) | instid1(VALU_DEP_2)
	v_add_nc_u32_e32 v9, v30, v57
	v_add_nc_u32_e32 v23, v6, v36
	s_delay_alu instid0(VALU_DEP_1) | instskip(NEXT) | instid1(VALU_DEP_1)
	v_cndmask_b32_e64 v6, 0, v23, s10
	v_add_nc_u32_e32 v21, v6, v71
	s_delay_alu instid0(VALU_DEP_1) | instskip(NEXT) | instid1(VALU_DEP_1)
	v_cndmask_b32_e64 v6, 0, v21, s11
	;; [unrolled: 3-line block ×6, first 2 shown]
	v_add_nc_u32_e32 v19, v5, v25
	ds_load_b64 v[5:6], v11 offset:1096
	v_add_nc_u32_e32 v11, v9, v54
	v_cndmask_b32_e64 v7, 0, v19, s1
	s_delay_alu instid0(VALU_DEP_2) | instskip(NEXT) | instid1(VALU_DEP_2)
	v_add_nc_u32_e32 v18, v11, v53
	v_add_nc_u32_e32 v47, v7, v68
	s_delay_alu instid0(VALU_DEP_1) | instskip(NEXT) | instid1(VALU_DEP_1)
	v_dual_cndmask_b32 v7, 0, v47 :: v_dual_add_nc_u32 v46, v18, v52
	v_add_nc_u32_e32 v42, v46, v51
	s_delay_alu instid0(VALU_DEP_2) | instskip(SKIP_2) | instid1(VALU_DEP_2)
	v_add_nc_u32_e32 v43, v7, v16
	s_waitcnt lgkmcnt(0)
	v_cmp_eq_u32_e32 vcc_lo, 0, v5
	v_cndmask_b32_e64 v7, 0, v43, s0
	v_cndmask_b32_e32 v8, 0, v32, vcc_lo
	v_add_nc_u32_e32 v32, v42, v50
	s_delay_alu instid0(VALU_DEP_3) | instskip(NEXT) | instid1(VALU_DEP_3)
	v_add_nc_u32_e32 v33, v7, v67
	v_add_nc_u32_e32 v66, v8, v6
	s_and_saveexec_b32 s0, s12
	s_cbranch_execz .LBB740_111
; %bb.110:
	s_delay_alu instid0(VALU_DEP_1)
	v_and_b32_e32 v6, 0xff000000, v66
	v_dual_mov_b32 v8, 0 :: v_dual_and_b32 v7, 0xff0000, v66
	s_add_u32 s2, s24, 0x200
	v_and_b32_e32 v16, 0xff00, v66
	s_addc_u32 s3, s25, 0
	v_and_b32_e32 v17, 0xff, v66
	v_or_b32_e32 v6, v7, v6
	v_mov_b32_e32 v7, 2
	s_delay_alu instid0(VALU_DEP_2)
	v_or3_b32 v6, v6, v16, v17
	v_dual_mov_b32 v17, s3 :: v_dual_mov_b32 v16, s2
	;;#ASMSTART
	global_store_dwordx4 v[16:17], v[5:8] off	
s_waitcnt vmcnt(0)
	;;#ASMEND
.LBB740_111:
	s_or_b32 exec_lo, exec_lo, s0
	v_mov_b32_e32 v7, 0
.LBB740_112:
	v_mov_b32_e32 v16, 0
	s_and_b32 s0, s16, exec_lo
	v_mov_b32_e32 v17, 0
	s_cselect_b32 s1, 0, s43
	s_cselect_b32 s0, 0, s42
	s_delay_alu instid0(SALU_CYCLE_1)
	s_cmp_eq_u64 s[0:1], 0
	s_barrier
	buffer_gl0_inv
	s_cbranch_scc1 .LBB740_114
; %bb.113:
	v_mov_b32_e32 v6, 0
	global_load_b64 v[16:17], v6, s[0:1]
.LBB740_114:
	v_cmp_eq_u32_e32 vcc_lo, 0, v65
	v_cmp_ne_u32_e64 s14, 0, v65
	v_cmp_ne_u32_e64 s13, 0, v64
	;; [unrolled: 1-line block ×4, first 2 shown]
	v_cndmask_b32_e64 v6, 1, 2, vcc_lo
	v_cmp_eq_u32_e32 vcc_lo, 0, v64
	v_cmp_ne_u32_e64 s10, 0, v61
	v_cmp_ne_u32_e64 s9, 0, v60
	;; [unrolled: 1-line block ×4, first 2 shown]
	v_cndmask_b32_e64 v8, 1, 2, vcc_lo
	v_cmp_eq_u32_e32 vcc_lo, 0, v63
	v_cmp_ne_u32_e64 s8, 0, v57
	v_cmp_ne_u32_e64 s6, 0, v54
	;; [unrolled: 1-line block ×3, first 2 shown]
	v_and_b32_e32 v6, v8, v6
	v_cndmask_b32_e64 v24, 1, 2, vcc_lo
	v_cmp_eq_u32_e32 vcc_lo, 0, v62
	v_cmp_ne_u32_e64 s3, 0, v52
	v_cmp_ne_u32_e64 s2, 0, v51
	;; [unrolled: 1-line block ×3, first 2 shown]
	v_and_b32_e32 v6, v6, v24
	v_cndmask_b32_e64 v8, 1, 2, vcc_lo
	v_cmp_eq_u32_e32 vcc_lo, 0, v61
	v_cmp_ne_u32_e64 s0, 0, v55
	s_mov_b32 s16, -1
	s_delay_alu instid0(VALU_DEP_3) | instskip(SKIP_2) | instid1(VALU_DEP_2)
	v_and_b32_e32 v6, v6, v8
	v_cndmask_b32_e64 v24, 1, 2, vcc_lo
	v_cmp_eq_u32_e32 vcc_lo, 0, v60
	v_and_b32_e32 v6, v6, v24
	v_cndmask_b32_e64 v8, 1, 2, vcc_lo
	v_cmp_eq_u32_e32 vcc_lo, 0, v59
	s_waitcnt vmcnt(0)
	v_lshlrev_b64 v[24:25], 1, v[16:17]
	s_delay_alu instid0(VALU_DEP_3) | instskip(SKIP_2) | instid1(VALU_DEP_2)
	v_and_b32_e32 v6, v6, v8
	v_cndmask_b32_e64 v36, 1, 2, vcc_lo
	v_cmp_eq_u32_e32 vcc_lo, 0, v58
	v_and_b32_e32 v6, v6, v36
	v_cndmask_b32_e64 v37, 1, 2, vcc_lo
	v_cmp_eq_u32_e32 vcc_lo, 0, v57
	s_delay_alu instid0(VALU_DEP_2) | instskip(SKIP_2) | instid1(VALU_DEP_2)
	v_and_b32_e32 v6, v6, v37
	v_cndmask_b32_e64 v36, 1, 2, vcc_lo
	v_cmp_eq_u32_e32 vcc_lo, 0, v54
	v_and_b32_e32 v6, v6, v36
	v_cndmask_b32_e64 v37, 1, 2, vcc_lo
	v_cmp_eq_u32_e32 vcc_lo, 0, v53
	s_delay_alu instid0(VALU_DEP_2) | instskip(SKIP_2) | instid1(VALU_DEP_2)
	;; [unrolled: 7-line block ×3, first 2 shown]
	v_and_b32_e32 v6, v6, v48
	v_cndmask_b32_e64 v49, 1, 2, vcc_lo
	v_cmp_eq_u32_e32 vcc_lo, 0, v50
	v_and_b32_e32 v48, v6, v49
	v_cndmask_b32_e64 v67, 1, 2, vcc_lo
	v_mov_b32_e32 v8, 0
	v_add_co_u32 v24, vcc_lo, s22, v24
	v_add_co_ci_u32_e32 v25, vcc_lo, s23, v25, vcc_lo
	s_delay_alu instid0(VALU_DEP_3) | instskip(NEXT) | instid1(VALU_DEP_1)
	v_lshlrev_b64 v[36:37], 1, v[7:8]
	v_add_co_u32 v6, vcc_lo, v24, v36
	s_delay_alu instid0(VALU_DEP_2) | instskip(SKIP_4) | instid1(VALU_DEP_2)
	v_add_co_ci_u32_e32 v24, vcc_lo, v25, v37, vcc_lo
	v_and_b32_e32 v25, v48, v67
	v_cmp_eq_u32_e32 vcc_lo, 0, v55
	v_cndmask_b32_e64 v36, 1, 2, vcc_lo
	v_cmp_gt_u32_e32 vcc_lo, 0x100, v5
	v_and_b32_e32 v25, v25, v36
	s_delay_alu instid0(VALU_DEP_1)
	v_cmp_gt_i16_e64 s15, 2, v25
	s_cbranch_vccz .LBB740_163
; %bb.115:
	s_delay_alu instid0(VALU_DEP_1)
	s_and_saveexec_b32 s16, s15
	s_cbranch_execz .LBB740_162
; %bb.116:
	s_mov_b32 s17, 0
	s_mov_b32 s15, exec_lo
	v_cmpx_ne_u16_e32 1, v25
	s_xor_b32 s15, exec_lo, s15
	s_cbranch_execz .LBB740_140
; %bb.117:
	s_and_saveexec_b32 s17, s14
	s_cbranch_execz .LBB740_145
; %bb.118:
	v_sub_nc_u32_e32 v36, v38, v7
	v_mov_b32_e32 v37, 0
	s_delay_alu instid0(VALU_DEP_1) | instskip(NEXT) | instid1(VALU_DEP_1)
	v_lshlrev_b64 v[36:37], 1, v[36:37]
	v_add_co_u32 v36, vcc_lo, v6, v36
	s_delay_alu instid0(VALU_DEP_2)
	v_add_co_ci_u32_e32 v37, vcc_lo, v24, v37, vcc_lo
	global_store_b16 v[36:37], v56, off
	s_or_b32 exec_lo, exec_lo, s17
	s_and_saveexec_b32 s17, s13
	s_cbranch_execnz .LBB740_146
.LBB740_119:
	s_or_b32 exec_lo, exec_lo, s17
	s_and_saveexec_b32 s17, s12
	s_cbranch_execz .LBB740_147
.LBB740_120:
	v_sub_nc_u32_e32 v36, v40, v7
	v_mov_b32_e32 v37, 0
	s_delay_alu instid0(VALU_DEP_1) | instskip(NEXT) | instid1(VALU_DEP_1)
	v_lshlrev_b64 v[36:37], 1, v[36:37]
	v_add_co_u32 v36, vcc_lo, v6, v36
	s_delay_alu instid0(VALU_DEP_2)
	v_add_co_ci_u32_e32 v37, vcc_lo, v24, v37, vcc_lo
	global_store_d16_hi_b16 v[36:37], v1, off
	s_or_b32 exec_lo, exec_lo, s17
	s_and_saveexec_b32 s17, s11
	s_cbranch_execnz .LBB740_148
.LBB740_121:
	s_or_b32 exec_lo, exec_lo, s17
	s_and_saveexec_b32 s17, s10
	s_cbranch_execz .LBB740_149
.LBB740_122:
	v_sub_nc_u32_e32 v36, v28, v7
	v_mov_b32_e32 v37, 0
	s_delay_alu instid0(VALU_DEP_1) | instskip(NEXT) | instid1(VALU_DEP_1)
	v_lshlrev_b64 v[36:37], 1, v[36:37]
	v_add_co_u32 v36, vcc_lo, v6, v36
	s_delay_alu instid0(VALU_DEP_2)
	v_add_co_ci_u32_e32 v37, vcc_lo, v24, v37, vcc_lo
	global_store_d16_hi_b16 v[36:37], v2, off
	s_or_b32 exec_lo, exec_lo, s17
	s_and_saveexec_b32 s17, s9
	s_cbranch_execnz .LBB740_150
.LBB740_123:
	s_or_b32 exec_lo, exec_lo, s17
	s_and_saveexec_b32 s17, s7
	s_cbranch_execz .LBB740_151
.LBB740_124:
	v_sub_nc_u32_e32 v36, v20, v7
	v_mov_b32_e32 v37, 0
	s_delay_alu instid0(VALU_DEP_1) | instskip(NEXT) | instid1(VALU_DEP_1)
	v_lshlrev_b64 v[36:37], 1, v[36:37]
	v_add_co_u32 v36, vcc_lo, v6, v36
	s_delay_alu instid0(VALU_DEP_2)
	v_add_co_ci_u32_e32 v37, vcc_lo, v24, v37, vcc_lo
	global_store_d16_hi_b16 v[36:37], v3, off
	s_or_b32 exec_lo, exec_lo, s17
	s_and_saveexec_b32 s17, s5
	s_cbranch_execnz .LBB740_152
.LBB740_125:
	s_or_b32 exec_lo, exec_lo, s17
	s_and_saveexec_b32 s17, s8
	s_cbranch_execz .LBB740_153
.LBB740_126:
	v_sub_nc_u32_e32 v36, v30, v7
	v_mov_b32_e32 v37, 0
	s_delay_alu instid0(VALU_DEP_1) | instskip(NEXT) | instid1(VALU_DEP_1)
	v_lshlrev_b64 v[36:37], 1, v[36:37]
	v_add_co_u32 v36, vcc_lo, v6, v36
	s_delay_alu instid0(VALU_DEP_2)
	v_add_co_ci_u32_e32 v37, vcc_lo, v24, v37, vcc_lo
	global_store_d16_hi_b16 v[36:37], v4, off
	s_or_b32 exec_lo, exec_lo, s17
	s_and_saveexec_b32 s17, s6
	s_cbranch_execnz .LBB740_154
.LBB740_127:
	s_or_b32 exec_lo, exec_lo, s17
	s_and_saveexec_b32 s17, s4
	s_cbranch_execz .LBB740_155
.LBB740_128:
	v_sub_nc_u32_e32 v36, v11, v7
	v_mov_b32_e32 v37, 0
	s_delay_alu instid0(VALU_DEP_1) | instskip(NEXT) | instid1(VALU_DEP_1)
	v_lshlrev_b64 v[36:37], 1, v[36:37]
	v_add_co_u32 v36, vcc_lo, v6, v36
	s_delay_alu instid0(VALU_DEP_2)
	v_add_co_ci_u32_e32 v37, vcc_lo, v24, v37, vcc_lo
	global_store_d16_hi_b16 v[36:37], v13, off
	s_or_b32 exec_lo, exec_lo, s17
	s_and_saveexec_b32 s17, s3
	s_cbranch_execnz .LBB740_156
.LBB740_129:
	s_or_b32 exec_lo, exec_lo, s17
	s_and_saveexec_b32 s17, s2
	s_cbranch_execz .LBB740_157
.LBB740_130:
	v_sub_nc_u32_e32 v36, v46, v7
	v_mov_b32_e32 v37, 0
	s_delay_alu instid0(VALU_DEP_1) | instskip(NEXT) | instid1(VALU_DEP_1)
	v_lshlrev_b64 v[36:37], 1, v[36:37]
	v_add_co_u32 v36, vcc_lo, v6, v36
	s_delay_alu instid0(VALU_DEP_2)
	v_add_co_ci_u32_e32 v37, vcc_lo, v24, v37, vcc_lo
	global_store_d16_hi_b16 v[36:37], v14, off
	s_or_b32 exec_lo, exec_lo, s17
	s_and_saveexec_b32 s17, s1
	s_cbranch_execnz .LBB740_158
	s_branch .LBB740_159
.LBB740_131:
	s_mov_b32 s28, 0
                                        ; implicit-def: $sgpr0
                                        ; implicit-def: $vgpr55
                                        ; implicit-def: $vgpr50
                                        ; implicit-def: $vgpr51
                                        ; implicit-def: $vgpr52
                                        ; implicit-def: $vgpr53
                                        ; implicit-def: $vgpr54
                                        ; implicit-def: $vgpr57
                                        ; implicit-def: $vgpr58
                                        ; implicit-def: $vgpr59
                                        ; implicit-def: $vgpr60
                                        ; implicit-def: $vgpr61
                                        ; implicit-def: $vgpr62
                                        ; implicit-def: $vgpr63
                                        ; implicit-def: $vgpr64
	s_cbranch_execz .LBB740_70
.LBB740_132:
	v_lshrrev_b32_e32 v8, 16, v15
	v_lshrrev_b32_e32 v10, 16, v14
	;; [unrolled: 1-line block ×3, first 2 shown]
	v_lshlrev_b32_e32 v6, 1, v0
	s_mov_b32 s5, 1
	v_cmp_ne_u16_e32 vcc_lo, v15, v8
	s_mov_b32 s1, exec_lo
                                        ; implicit-def: $sgpr0
	ds_store_b16 v6, v8
	s_waitcnt lgkmcnt(0)
	v_cndmask_b32_e64 v55, 0, 1, vcc_lo
	v_cmp_ne_u16_e32 vcc_lo, v10, v15
	s_barrier
	buffer_gl0_inv
	v_cndmask_b32_e64 v50, 0, 1, vcc_lo
	v_cmp_ne_u16_e32 vcc_lo, v14, v10
	v_lshrrev_b32_e32 v10, 16, v4
	v_cndmask_b32_e64 v51, 0, 1, vcc_lo
	v_cmp_ne_u16_e32 vcc_lo, v12, v14
	v_cndmask_b32_e64 v52, 0, 1, vcc_lo
	v_cmp_ne_u16_e32 vcc_lo, v13, v12
	v_lshrrev_b32_e32 v12, 16, v3
	v_cndmask_b32_e64 v53, 0, 1, vcc_lo
	v_cmp_ne_u16_e32 vcc_lo, v10, v13
	;; [unrolled: 5-line block ×4, first 2 shown]
	v_cndmask_b32_e64 v60, 0, 1, vcc_lo
	v_cmp_ne_u16_e32 vcc_lo, v2, v10
	v_cndmask_b32_e64 v61, 0, 1, vcc_lo
	v_cmp_ne_u16_e32 vcc_lo, v12, v2
	;; [unrolled: 2-line block ×4, first 2 shown]
	v_cndmask_b32_e64 v64, 0, 1, vcc_lo
	v_cmpx_ne_u32_e32 0, v0
	s_xor_b32 s1, exec_lo, s1
	s_cbranch_execz .LBB740_134
; %bb.133:
	v_add_nc_u32_e32 v6, -2, v6
	s_or_b32 s28, s28, exec_lo
	ds_load_u16 v6, v6
	s_waitcnt lgkmcnt(0)
	v_cmp_ne_u16_e32 vcc_lo, v6, v56
	s_and_b32 s0, vcc_lo, exec_lo
.LBB740_134:
	s_or_b32 exec_lo, exec_lo, s1
	s_branch .LBB740_72
.LBB740_135:
	s_mul_hi_u32 s0, s16, 0xfffff100
	s_mul_i32 s1, s17, 0xfffff100
	s_sub_i32 s0, s0, s16
	s_mul_i32 s2, s16, 0xfffff100
	s_add_i32 s0, s0, s1
	s_add_u32 s12, s2, s40
	s_addc_u32 s13, s0, s41
	v_lshrrev_b32_e32 v44, 16, v15
	v_mad_u32_u24 v26, v0, 15, 14
	v_lshrrev_b32_e32 v74, 16, v14
	v_mad_u32_u24 v40, v0, 15, 12
	;; [unrolled: 2-line block ×7, first 2 shown]
	v_cmp_ne_u16_e64 s1, v56, v1
	v_cmp_ne_u32_e64 s0, 0, v0
	s_and_b32 vcc_lo, exec_lo, s29
	s_cbranch_vccz .LBB740_142
; %bb.136:
	v_add_co_u32 v41, s2, -2, s21
	s_delay_alu instid0(VALU_DEP_1)
	v_add_co_ci_u32_e64 v42, null, -1, s14, s2
	v_mov_b32_e32 v27, 0
	v_cmp_ne_u16_e64 s2, v15, v44
	v_cmp_ne_u16_e64 s4, v74, v15
	flat_load_u16 v63, v[41:42]
	v_dual_mov_b32 v12, v27 :: v_dual_lshlrev_b32 v43, 1, v0
	v_mov_b32_e32 v23, v27
	v_cmp_gt_u64_e32 vcc_lo, s[12:13], v[26:27]
	v_mov_b32_e32 v41, v27
	v_mov_b32_e32 v21, v27
	;; [unrolled: 1-line block ×3, first 2 shown]
	v_cmp_gt_u64_e64 s3, s[12:13], v[22:23]
	v_cmp_ne_u16_e64 s6, v13, v66
	s_and_b32 s16, vcc_lo, s2
	v_cmp_gt_u64_e32 vcc_lo, s[12:13], v[40:41]
	v_cmp_gt_u64_e64 s5, s[12:13], v[38:39]
	v_cmp_ne_u16_e64 s2, v14, v74
	s_and_b32 s17, s3, s4
	v_cmp_gt_u64_e64 s3, s[12:13], v[20:21]
	v_cmp_ne_u16_e64 s4, v66, v14
	v_mov_b32_e32 v19, v27
	v_mov_b32_e32 v35, v27
	s_and_b32 s21, vcc_lo, s2
	s_and_b32 s30, s5, s6
	s_and_b32 s29, s3, s4
	v_cmp_gt_u64_e32 vcc_lo, s[12:13], v[18:19]
	v_cmp_gt_u64_e64 s3, s[12:13], v[34:35]
	v_cmp_gt_u64_e64 s5, s[12:13], v[11:12]
	v_cmp_ne_u16_e64 s2, v65, v13
	v_cmp_ne_u16_e64 s4, v4, v65
	;; [unrolled: 1-line block ×3, first 2 shown]
	v_mov_b32_e32 v33, v27
	v_mov_b32_e32 v10, v27
	;; [unrolled: 1-line block ×6, first 2 shown]
	s_and_b32 s31, vcc_lo, s2
	s_and_b32 s33, s3, s4
	s_and_b32 s40, s5, s6
	v_cmp_gt_u64_e32 vcc_lo, s[12:13], v[32:33]
	v_cmp_gt_u64_e64 s3, s[12:13], v[9:10]
	v_cmp_gt_u64_e64 s5, s[12:13], v[30:31]
	v_cmp_gt_u64_e64 s7, s[12:13], v[7:8]
	v_cmp_gt_u64_e64 s9, s[12:13], v[28:29]
	v_cmp_gt_u64_e64 s11, s[12:13], v[5:6]
	v_cmp_ne_u16_e64 s2, v3, v47
	v_cmp_ne_u16_e64 s4, v46, v3
	;; [unrolled: 1-line block ×5, first 2 shown]
	v_mul_u32_u24_e32 v42, 15, v0
	s_mov_b32 s28, -1
	s_mov_b32 s14, 0
	s_and_b32 s41, vcc_lo, s2
	s_and_b32 s3, s3, s4
	s_and_b32 s4, s5, s6
	;; [unrolled: 1-line block ×5, first 2 shown]
	ds_store_b16 v43, v44
	s_waitcnt vmcnt(0) lgkmcnt(0)
	s_barrier
	buffer_gl0_inv
	s_and_saveexec_b32 s6, s0
	s_cbranch_execz .LBB740_138
; %bb.137:
	v_add_nc_u32_e32 v6, -2, v43
	ds_load_u16 v63, v6
.LBB740_138:
	s_or_b32 exec_lo, exec_lo, s6
	v_mov_b32_e32 v43, v27
	s_waitcnt lgkmcnt(0)
	v_cmp_ne_u16_e64 s0, v63, v56
	v_cndmask_b32_e64 v55, 0, 1, s16
	v_cndmask_b32_e64 v50, 0, 1, s17
	v_cndmask_b32_e64 v51, 0, 1, s21
	v_cmp_gt_u64_e32 vcc_lo, s[12:13], v[42:43]
	v_cndmask_b32_e64 v52, 0, 1, s29
	v_cndmask_b32_e64 v53, 0, 1, s30
	;; [unrolled: 1-line block ×11, first 2 shown]
	s_and_b32 s0, vcc_lo, s0
	s_and_b32 vcc_lo, exec_lo, s14
	s_cbranch_vccnz .LBB740_143
.LBB740_139:
                                        ; implicit-def: $sgpr5
	v_mov_b32_e32 v65, s5
	s_and_saveexec_b32 s1, s28
	s_cbranch_execnz .LBB740_73
	s_branch .LBB740_74
.LBB740_140:
	s_and_not1_saveexec_b32 s15, s15
	s_cbranch_execz .LBB740_160
.LBB740_141:
	v_sub_nc_u32_e32 v36, v38, v7
	v_mov_b32_e32 v37, 0
	s_or_b32 s17, s17, exec_lo
	s_delay_alu instid0(VALU_DEP_1) | instskip(SKIP_1) | instid1(VALU_DEP_1)
	v_lshlrev_b64 v[48:49], 1, v[36:37]
	v_sub_nc_u32_e32 v36, v44, v7
	v_lshlrev_b64 v[67:68], 1, v[36:37]
	v_sub_nc_u32_e32 v36, v40, v7
	s_delay_alu instid0(VALU_DEP_4) | instskip(SKIP_1) | instid1(VALU_DEP_3)
	v_add_co_u32 v48, vcc_lo, v6, v48
	v_add_co_ci_u32_e32 v49, vcc_lo, v24, v49, vcc_lo
	v_lshlrev_b64 v[69:70], 1, v[36:37]
	v_sub_nc_u32_e32 v36, v34, v7
	v_add_co_u32 v67, vcc_lo, v6, v67
	v_add_co_ci_u32_e32 v68, vcc_lo, v24, v68, vcc_lo
	global_store_b16 v[48:49], v56, off
	v_lshlrev_b64 v[48:49], 1, v[36:37]
	v_sub_nc_u32_e32 v36, v28, v7
	global_store_b16 v[67:68], v1, off
	v_add_co_u32 v67, vcc_lo, v6, v69
	v_add_co_ci_u32_e32 v68, vcc_lo, v24, v70, vcc_lo
	v_lshlrev_b64 v[69:70], 1, v[36:37]
	v_sub_nc_u32_e32 v36, v22, v7
	v_add_co_u32 v48, vcc_lo, v6, v48
	v_add_co_ci_u32_e32 v49, vcc_lo, v24, v49, vcc_lo
	s_delay_alu instid0(VALU_DEP_3) | instskip(SKIP_3) | instid1(VALU_DEP_3)
	v_lshlrev_b64 v[71:72], 1, v[36:37]
	v_sub_nc_u32_e32 v36, v20, v7
	v_add_co_u32 v69, vcc_lo, v6, v69
	v_add_co_ci_u32_e32 v70, vcc_lo, v24, v70, vcc_lo
	v_lshlrev_b64 v[73:74], 1, v[36:37]
	v_sub_nc_u32_e32 v36, v26, v7
	v_add_co_u32 v71, vcc_lo, v6, v71
	v_add_co_ci_u32_e32 v72, vcc_lo, v24, v72, vcc_lo
	s_clause 0x3
	global_store_d16_hi_b16 v[67:68], v1, off
	global_store_b16 v[48:49], v2, off
	global_store_d16_hi_b16 v[69:70], v2, off
	global_store_b16 v[71:72], v3, off
	v_lshlrev_b64 v[48:49], 1, v[36:37]
	v_sub_nc_u32_e32 v36, v30, v7
	v_add_co_u32 v67, vcc_lo, v6, v73
	v_add_co_ci_u32_e32 v68, vcc_lo, v24, v74, vcc_lo
	s_delay_alu instid0(VALU_DEP_3) | instskip(SKIP_3) | instid1(VALU_DEP_3)
	v_lshlrev_b64 v[69:70], 1, v[36:37]
	v_sub_nc_u32_e32 v36, v9, v7
	v_add_co_u32 v48, vcc_lo, v6, v48
	v_add_co_ci_u32_e32 v49, vcc_lo, v24, v49, vcc_lo
	v_lshlrev_b64 v[71:72], 1, v[36:37]
	v_sub_nc_u32_e32 v36, v11, v7
	v_add_co_u32 v69, vcc_lo, v6, v69
	v_add_co_ci_u32_e32 v70, vcc_lo, v24, v70, vcc_lo
	s_delay_alu instid0(VALU_DEP_3)
	v_lshlrev_b64 v[73:74], 1, v[36:37]
	v_sub_nc_u32_e32 v36, v18, v7
	v_add_co_u32 v71, vcc_lo, v6, v71
	v_add_co_ci_u32_e32 v72, vcc_lo, v24, v72, vcc_lo
	s_clause 0x3
	global_store_d16_hi_b16 v[67:68], v3, off
	global_store_b16 v[48:49], v4, off
	global_store_d16_hi_b16 v[69:70], v4, off
	global_store_b16 v[71:72], v13, off
	v_lshlrev_b64 v[48:49], 1, v[36:37]
	v_sub_nc_u32_e32 v36, v46, v7
	v_add_co_u32 v67, vcc_lo, v6, v73
	v_add_co_ci_u32_e32 v68, vcc_lo, v24, v74, vcc_lo
	s_delay_alu instid0(VALU_DEP_3) | instskip(SKIP_3) | instid1(VALU_DEP_3)
	v_lshlrev_b64 v[69:70], 1, v[36:37]
	v_sub_nc_u32_e32 v36, v42, v7
	v_add_co_u32 v48, vcc_lo, v6, v48
	v_add_co_ci_u32_e32 v49, vcc_lo, v24, v49, vcc_lo
	v_lshlrev_b64 v[36:37], 1, v[36:37]
	v_add_co_u32 v69, vcc_lo, v6, v69
	v_add_co_ci_u32_e32 v70, vcc_lo, v24, v70, vcc_lo
	s_clause 0x2
	global_store_d16_hi_b16 v[67:68], v13, off
	global_store_b16 v[48:49], v14, off
	global_store_d16_hi_b16 v[69:70], v14, off
	v_add_co_u32 v36, vcc_lo, v6, v36
	v_add_co_ci_u32_e32 v37, vcc_lo, v24, v37, vcc_lo
	global_store_b16 v[36:37], v15, off
	s_or_b32 exec_lo, exec_lo, s15
	s_delay_alu instid0(SALU_CYCLE_1)
	s_and_b32 exec_lo, exec_lo, s17
	s_cbranch_execnz .LBB740_161
	s_branch .LBB740_162
.LBB740_142:
                                        ; implicit-def: $sgpr0
                                        ; implicit-def: $vgpr55
                                        ; implicit-def: $vgpr50
                                        ; implicit-def: $vgpr51
                                        ; implicit-def: $vgpr52
                                        ; implicit-def: $vgpr53
                                        ; implicit-def: $vgpr54
                                        ; implicit-def: $vgpr57
                                        ; implicit-def: $vgpr58
                                        ; implicit-def: $vgpr59
                                        ; implicit-def: $vgpr60
                                        ; implicit-def: $vgpr61
                                        ; implicit-def: $vgpr62
                                        ; implicit-def: $vgpr63
                                        ; implicit-def: $vgpr64
	s_cbranch_execz .LBB740_139
.LBB740_143:
	v_dual_mov_b32 v27, 0 :: v_dual_lshlrev_b32 v42, 1, v0
	v_cmp_ne_u16_e32 vcc_lo, v15, v44
	v_cmp_ne_u16_e64 s2, v14, v74
	v_cmp_ne_u16_e64 s0, v74, v15
	s_delay_alu instid0(VALU_DEP_4)
	v_mov_b32_e32 v41, v27
	v_mov_b32_e32 v23, v27
	v_cmp_gt_u64_e64 s1, s[12:13], v[26:27]
	v_mov_b32_e32 v39, v27
	v_mov_b32_e32 v21, v27
	v_cmp_gt_u64_e64 s4, s[12:13], v[40:41]
	v_cmp_gt_u64_e64 s3, s[12:13], v[22:23]
	v_mov_b32_e32 v19, v27
	s_and_b32 s1, s1, vcc_lo
	v_cmp_gt_u64_e32 vcc_lo, s[12:13], v[20:21]
	v_cndmask_b32_e64 v55, 0, 1, s1
	s_and_b32 s1, s4, s2
	s_and_b32 s0, s3, s0
	v_cndmask_b32_e64 v51, 0, 1, s1
	v_cmp_gt_u64_e64 s1, s[12:13], v[38:39]
	v_cmp_ne_u16_e64 s2, v13, v66
	v_cndmask_b32_e64 v50, 0, 1, s0
	v_cmp_ne_u16_e64 s0, v66, v14
	v_mov_b32_e32 v35, v27
	v_mov_b32_e32 v12, v27
	s_and_b32 s1, s1, s2
	v_cmp_ne_u16_e64 s2, v4, v65
	s_and_b32 s0, vcc_lo, s0
	v_cmp_gt_u64_e32 vcc_lo, s[12:13], v[18:19]
	v_cndmask_b32_e64 v53, 0, 1, s1
	v_cmp_gt_u64_e64 s1, s[12:13], v[34:35]
	v_cndmask_b32_e64 v52, 0, 1, s0
	v_cmp_ne_u16_e64 s0, v65, v13
	v_mov_b32_e32 v33, v27
	v_mov_b32_e32 v10, v27
	;; [unrolled: 1-line block ×3, first 2 shown]
	s_and_b32 s1, s1, s2
	s_and_b32 s0, vcc_lo, s0
	v_cmp_gt_u64_e32 vcc_lo, s[12:13], v[11:12]
	v_cndmask_b32_e64 v54, 0, 1, s0
	v_cmp_ne_u16_e64 s0, v47, v4
	v_cndmask_b32_e64 v57, 0, 1, s1
	v_cmp_gt_u64_e64 s1, s[12:13], v[32:33]
	v_cmp_ne_u16_e64 s2, v3, v47
	v_mov_b32_e32 v8, v27
	s_and_b32 s0, vcc_lo, s0
	v_cmp_gt_u64_e32 vcc_lo, s[12:13], v[9:10]
	v_cndmask_b32_e64 v58, 0, 1, s0
	s_and_b32 s1, s1, s2
	v_cmp_ne_u16_e64 s0, v46, v3
	v_cndmask_b32_e64 v59, 0, 1, s1
	v_cmp_gt_u64_e64 s1, s[12:13], v[30:31]
	v_cmp_ne_u16_e64 s2, v2, v46
	v_mov_b32_e32 v29, v27
	s_and_b32 s0, vcc_lo, s0
	v_mov_b32_e32 v6, v27
	v_cndmask_b32_e64 v60, 0, 1, s0
	s_and_b32 s0, s1, s2
	v_cmp_gt_u64_e32 vcc_lo, s[12:13], v[7:8]
	v_cndmask_b32_e64 v61, 0, 1, s0
	v_cmp_ne_u16_e64 s0, v45, v2
	v_cmp_gt_u64_e64 s1, s[12:13], v[28:29]
	v_cmp_ne_u16_e64 s2, v1, v45
	v_cmp_gt_u64_e64 s3, s[12:13], v[5:6]
	v_cmp_ne_u16_e64 s4, v56, v1
	s_and_b32 s0, vcc_lo, s0
	s_mov_b32 s5, 1
	v_cndmask_b32_e64 v62, 0, 1, s0
	s_and_b32 s0, s1, s2
	s_mov_b32 s1, exec_lo
	v_cndmask_b32_e64 v63, 0, 1, s0
	s_and_b32 s0, s3, s4
	ds_store_b16 v42, v44
	v_cndmask_b32_e64 v64, 0, 1, s0
	s_waitcnt lgkmcnt(0)
	s_barrier
	buffer_gl0_inv
                                        ; implicit-def: $sgpr0
	v_cmpx_ne_u32_e32 0, v0
	s_cbranch_execz .LBB740_182
; %bb.144:
	v_add_nc_u32_e32 v5, -2, v42
	v_mul_u32_u24_e32 v26, 15, v0
	s_or_b32 s28, s28, exec_lo
	ds_load_u16 v5, v5
	v_cmp_gt_u64_e32 vcc_lo, s[12:13], v[26:27]
	s_waitcnt lgkmcnt(0)
	v_cmp_ne_u16_e64 s0, v5, v56
	s_delay_alu instid0(VALU_DEP_1) | instskip(NEXT) | instid1(SALU_CYCLE_1)
	s_and_b32 s0, vcc_lo, s0
	s_and_b32 s0, s0, exec_lo
	s_or_b32 exec_lo, exec_lo, s1
	v_mov_b32_e32 v65, s5
	s_and_saveexec_b32 s1, s28
	s_cbranch_execz .LBB740_74
	s_branch .LBB740_73
.LBB740_145:
	s_or_b32 exec_lo, exec_lo, s17
	s_and_saveexec_b32 s17, s13
	s_cbranch_execz .LBB740_119
.LBB740_146:
	v_sub_nc_u32_e32 v36, v44, v7
	v_mov_b32_e32 v37, 0
	s_delay_alu instid0(VALU_DEP_1) | instskip(NEXT) | instid1(VALU_DEP_1)
	v_lshlrev_b64 v[36:37], 1, v[36:37]
	v_add_co_u32 v36, vcc_lo, v6, v36
	s_delay_alu instid0(VALU_DEP_2)
	v_add_co_ci_u32_e32 v37, vcc_lo, v24, v37, vcc_lo
	global_store_b16 v[36:37], v1, off
	s_or_b32 exec_lo, exec_lo, s17
	s_and_saveexec_b32 s17, s12
	s_cbranch_execnz .LBB740_120
.LBB740_147:
	s_or_b32 exec_lo, exec_lo, s17
	s_and_saveexec_b32 s17, s11
	s_cbranch_execz .LBB740_121
.LBB740_148:
	v_sub_nc_u32_e32 v36, v34, v7
	v_mov_b32_e32 v37, 0
	s_delay_alu instid0(VALU_DEP_1) | instskip(NEXT) | instid1(VALU_DEP_1)
	v_lshlrev_b64 v[36:37], 1, v[36:37]
	v_add_co_u32 v36, vcc_lo, v6, v36
	s_delay_alu instid0(VALU_DEP_2)
	v_add_co_ci_u32_e32 v37, vcc_lo, v24, v37, vcc_lo
	global_store_b16 v[36:37], v2, off
	s_or_b32 exec_lo, exec_lo, s17
	s_and_saveexec_b32 s17, s10
	s_cbranch_execnz .LBB740_122
.LBB740_149:
	s_or_b32 exec_lo, exec_lo, s17
	s_and_saveexec_b32 s17, s9
	s_cbranch_execz .LBB740_123
.LBB740_150:
	v_sub_nc_u32_e32 v36, v22, v7
	v_mov_b32_e32 v37, 0
	s_delay_alu instid0(VALU_DEP_1) | instskip(NEXT) | instid1(VALU_DEP_1)
	v_lshlrev_b64 v[36:37], 1, v[36:37]
	v_add_co_u32 v36, vcc_lo, v6, v36
	s_delay_alu instid0(VALU_DEP_2)
	v_add_co_ci_u32_e32 v37, vcc_lo, v24, v37, vcc_lo
	global_store_b16 v[36:37], v3, off
	s_or_b32 exec_lo, exec_lo, s17
	s_and_saveexec_b32 s17, s7
	s_cbranch_execnz .LBB740_124
.LBB740_151:
	s_or_b32 exec_lo, exec_lo, s17
	s_and_saveexec_b32 s17, s5
	s_cbranch_execz .LBB740_125
.LBB740_152:
	v_sub_nc_u32_e32 v36, v26, v7
	v_mov_b32_e32 v37, 0
	s_delay_alu instid0(VALU_DEP_1) | instskip(NEXT) | instid1(VALU_DEP_1)
	v_lshlrev_b64 v[36:37], 1, v[36:37]
	v_add_co_u32 v36, vcc_lo, v6, v36
	s_delay_alu instid0(VALU_DEP_2)
	v_add_co_ci_u32_e32 v37, vcc_lo, v24, v37, vcc_lo
	global_store_b16 v[36:37], v4, off
	s_or_b32 exec_lo, exec_lo, s17
	s_and_saveexec_b32 s17, s8
	s_cbranch_execnz .LBB740_126
.LBB740_153:
	s_or_b32 exec_lo, exec_lo, s17
	s_and_saveexec_b32 s17, s6
	s_cbranch_execz .LBB740_127
.LBB740_154:
	v_sub_nc_u32_e32 v36, v9, v7
	v_mov_b32_e32 v37, 0
	s_delay_alu instid0(VALU_DEP_1) | instskip(NEXT) | instid1(VALU_DEP_1)
	v_lshlrev_b64 v[36:37], 1, v[36:37]
	v_add_co_u32 v36, vcc_lo, v6, v36
	s_delay_alu instid0(VALU_DEP_2)
	v_add_co_ci_u32_e32 v37, vcc_lo, v24, v37, vcc_lo
	global_store_b16 v[36:37], v13, off
	s_or_b32 exec_lo, exec_lo, s17
	s_and_saveexec_b32 s17, s4
	s_cbranch_execnz .LBB740_128
.LBB740_155:
	s_or_b32 exec_lo, exec_lo, s17
	s_and_saveexec_b32 s17, s3
	s_cbranch_execz .LBB740_129
.LBB740_156:
	v_sub_nc_u32_e32 v36, v18, v7
	v_mov_b32_e32 v37, 0
	s_delay_alu instid0(VALU_DEP_1) | instskip(NEXT) | instid1(VALU_DEP_1)
	v_lshlrev_b64 v[36:37], 1, v[36:37]
	v_add_co_u32 v36, vcc_lo, v6, v36
	s_delay_alu instid0(VALU_DEP_2)
	v_add_co_ci_u32_e32 v37, vcc_lo, v24, v37, vcc_lo
	global_store_b16 v[36:37], v14, off
	s_or_b32 exec_lo, exec_lo, s17
	s_and_saveexec_b32 s17, s2
	s_cbranch_execnz .LBB740_130
.LBB740_157:
	s_or_b32 exec_lo, exec_lo, s17
	s_and_saveexec_b32 s17, s1
	s_cbranch_execz .LBB740_159
.LBB740_158:
	v_sub_nc_u32_e32 v36, v42, v7
	v_mov_b32_e32 v37, 0
	s_delay_alu instid0(VALU_DEP_1) | instskip(NEXT) | instid1(VALU_DEP_1)
	v_lshlrev_b64 v[36:37], 1, v[36:37]
	v_add_co_u32 v36, vcc_lo, v6, v36
	s_delay_alu instid0(VALU_DEP_2)
	v_add_co_ci_u32_e32 v37, vcc_lo, v24, v37, vcc_lo
	global_store_b16 v[36:37], v15, off
.LBB740_159:
	s_or_b32 exec_lo, exec_lo, s17
	s_delay_alu instid0(SALU_CYCLE_1)
	s_and_b32 s17, s0, exec_lo
	s_and_not1_saveexec_b32 s15, s15
	s_cbranch_execnz .LBB740_141
.LBB740_160:
	s_or_b32 exec_lo, exec_lo, s15
	s_delay_alu instid0(SALU_CYCLE_1)
	s_and_b32 exec_lo, exec_lo, s17
	s_cbranch_execz .LBB740_162
.LBB740_161:
	v_sub_nc_u32_e32 v36, v32, v7
	v_mov_b32_e32 v37, 0
	s_delay_alu instid0(VALU_DEP_1) | instskip(NEXT) | instid1(VALU_DEP_1)
	v_lshlrev_b64 v[36:37], 1, v[36:37]
	v_add_co_u32 v36, vcc_lo, v6, v36
	s_delay_alu instid0(VALU_DEP_2)
	v_add_co_ci_u32_e32 v37, vcc_lo, v24, v37, vcc_lo
	global_store_d16_hi_b16 v[36:37], v15, off
.LBB740_162:
	s_or_b32 exec_lo, exec_lo, s16
	s_mov_b32 s16, 0
.LBB740_163:
	s_delay_alu instid0(SALU_CYCLE_1)
	s_and_b32 vcc_lo, exec_lo, s16
	s_cbranch_vccz .LBB740_216
; %bb.164:
	s_mov_b32 s15, exec_lo
	v_cmpx_gt_i16_e32 2, v25
	s_cbranch_execz .LBB740_200
; %bb.165:
	s_mov_b32 s17, 0
	s_mov_b32 s16, exec_lo
	v_cmpx_ne_u16_e32 1, v25
	s_xor_b32 s16, exec_lo, s16
	s_cbranch_execz .LBB740_180
; %bb.166:
	s_and_saveexec_b32 s17, s14
	s_cbranch_execz .LBB740_183
; %bb.167:
	v_sub_nc_u32_e32 v25, v38, v7
	s_delay_alu instid0(VALU_DEP_1)
	v_lshlrev_b32_e32 v25, 1, v25
	ds_store_b16 v25, v56
	s_or_b32 exec_lo, exec_lo, s17
	s_and_saveexec_b32 s14, s13
	s_cbranch_execnz .LBB740_184
.LBB740_168:
	s_or_b32 exec_lo, exec_lo, s14
	s_and_saveexec_b32 s13, s12
	s_cbranch_execz .LBB740_185
.LBB740_169:
	v_sub_nc_u32_e32 v25, v40, v7
	s_delay_alu instid0(VALU_DEP_1)
	v_lshlrev_b32_e32 v25, 1, v25
	ds_store_b16_d16_hi v25, v1
	s_or_b32 exec_lo, exec_lo, s13
	s_and_saveexec_b32 s12, s11
	s_cbranch_execnz .LBB740_186
.LBB740_170:
	s_or_b32 exec_lo, exec_lo, s12
	s_and_saveexec_b32 s11, s10
	s_cbranch_execz .LBB740_187
.LBB740_171:
	v_sub_nc_u32_e32 v1, v28, v7
	s_delay_alu instid0(VALU_DEP_1)
	v_lshlrev_b32_e32 v1, 1, v1
	ds_store_b16_d16_hi v1, v2
	s_or_b32 exec_lo, exec_lo, s11
	s_and_saveexec_b32 s10, s9
	s_cbranch_execnz .LBB740_188
.LBB740_172:
	s_or_b32 exec_lo, exec_lo, s10
	s_and_saveexec_b32 s9, s7
	s_cbranch_execz .LBB740_189
.LBB740_173:
	v_sub_nc_u32_e32 v1, v20, v7
	s_delay_alu instid0(VALU_DEP_1)
	v_lshlrev_b32_e32 v1, 1, v1
	ds_store_b16_d16_hi v1, v3
	s_or_b32 exec_lo, exec_lo, s9
	s_and_saveexec_b32 s7, s5
	s_cbranch_execnz .LBB740_190
.LBB740_174:
	s_or_b32 exec_lo, exec_lo, s7
	s_and_saveexec_b32 s5, s8
	s_cbranch_execz .LBB740_191
.LBB740_175:
	v_sub_nc_u32_e32 v1, v30, v7
	s_delay_alu instid0(VALU_DEP_1)
	v_lshlrev_b32_e32 v1, 1, v1
	ds_store_b16_d16_hi v1, v4
	s_or_b32 exec_lo, exec_lo, s5
	s_and_saveexec_b32 s5, s6
	s_cbranch_execnz .LBB740_192
.LBB740_176:
	s_or_b32 exec_lo, exec_lo, s5
	s_and_saveexec_b32 s5, s4
	s_cbranch_execz .LBB740_193
.LBB740_177:
	v_sub_nc_u32_e32 v1, v11, v7
	s_delay_alu instid0(VALU_DEP_1)
	v_lshlrev_b32_e32 v1, 1, v1
	ds_store_b16_d16_hi v1, v13
	s_or_b32 exec_lo, exec_lo, s5
	s_and_saveexec_b32 s4, s3
	s_cbranch_execnz .LBB740_194
.LBB740_178:
	s_or_b32 exec_lo, exec_lo, s4
	s_and_saveexec_b32 s3, s2
	s_cbranch_execz .LBB740_195
.LBB740_179:
	v_sub_nc_u32_e32 v1, v46, v7
	s_delay_alu instid0(VALU_DEP_1)
	v_lshlrev_b32_e32 v1, 1, v1
	ds_store_b16_d16_hi v1, v14
	s_or_b32 exec_lo, exec_lo, s3
	s_and_saveexec_b32 s2, s1
	s_cbranch_execnz .LBB740_196
	s_branch .LBB740_197
.LBB740_180:
	s_and_not1_saveexec_b32 s0, s16
	s_cbranch_execz .LBB740_198
.LBB740_181:
	v_sub_nc_u32_e32 v25, v38, v7
	v_sub_nc_u32_e32 v36, v44, v7
	v_sub_nc_u32_e32 v37, v40, v7
	v_sub_nc_u32_e32 v48, v34, v7
	s_or_b32 s17, s17, exec_lo
	v_lshlrev_b32_e32 v25, 1, v25
	v_lshlrev_b32_e32 v36, 1, v36
	;; [unrolled: 1-line block ×4, first 2 shown]
	ds_store_b16 v25, v56
	ds_store_b16 v36, v1
	ds_store_b16_d16_hi v37, v1
	v_sub_nc_u32_e32 v1, v28, v7
	v_sub_nc_u32_e32 v25, v22, v7
	ds_store_b16 v48, v2
	v_sub_nc_u32_e32 v48, v30, v7
	v_sub_nc_u32_e32 v36, v20, v7
	v_lshlrev_b32_e32 v1, 1, v1
	v_sub_nc_u32_e32 v37, v26, v7
	v_lshlrev_b32_e32 v25, 1, v25
	s_delay_alu instid0(VALU_DEP_4)
	v_lshlrev_b32_e32 v36, 1, v36
	ds_store_b16_d16_hi v1, v2
	v_lshlrev_b32_e32 v1, 1, v48
	v_sub_nc_u32_e32 v2, v9, v7
	v_lshlrev_b32_e32 v37, 1, v37
	ds_store_b16 v25, v3
	ds_store_b16_d16_hi v36, v3
	ds_store_b16 v37, v4
	ds_store_b16_d16_hi v1, v4
	v_sub_nc_u32_e32 v1, v11, v7
	v_lshlrev_b32_e32 v2, 1, v2
	v_sub_nc_u32_e32 v25, v42, v7
	v_sub_nc_u32_e32 v3, v18, v7
	v_sub_nc_u32_e32 v4, v46, v7
	v_lshlrev_b32_e32 v1, 1, v1
	ds_store_b16 v2, v13
	v_lshlrev_b32_e32 v2, 1, v25
	v_lshlrev_b32_e32 v3, 1, v3
	;; [unrolled: 1-line block ×3, first 2 shown]
	ds_store_b16_d16_hi v1, v13
	ds_store_b16 v3, v14
	ds_store_b16_d16_hi v4, v14
	ds_store_b16 v2, v15
	s_or_b32 exec_lo, exec_lo, s0
	s_delay_alu instid0(SALU_CYCLE_1)
	s_and_b32 exec_lo, exec_lo, s17
	s_cbranch_execnz .LBB740_199
	s_branch .LBB740_200
.LBB740_182:
	s_or_b32 exec_lo, exec_lo, s1
	v_mov_b32_e32 v65, s5
	s_and_saveexec_b32 s1, s28
	s_cbranch_execnz .LBB740_73
	s_branch .LBB740_74
.LBB740_183:
	s_or_b32 exec_lo, exec_lo, s17
	s_and_saveexec_b32 s14, s13
	s_cbranch_execz .LBB740_168
.LBB740_184:
	v_sub_nc_u32_e32 v25, v44, v7
	s_delay_alu instid0(VALU_DEP_1)
	v_lshlrev_b32_e32 v25, 1, v25
	ds_store_b16 v25, v1
	s_or_b32 exec_lo, exec_lo, s14
	s_and_saveexec_b32 s13, s12
	s_cbranch_execnz .LBB740_169
.LBB740_185:
	s_or_b32 exec_lo, exec_lo, s13
	s_and_saveexec_b32 s12, s11
	s_cbranch_execz .LBB740_170
.LBB740_186:
	v_sub_nc_u32_e32 v1, v34, v7
	s_delay_alu instid0(VALU_DEP_1)
	v_lshlrev_b32_e32 v1, 1, v1
	ds_store_b16 v1, v2
	s_or_b32 exec_lo, exec_lo, s12
	s_and_saveexec_b32 s11, s10
	s_cbranch_execnz .LBB740_171
.LBB740_187:
	s_or_b32 exec_lo, exec_lo, s11
	s_and_saveexec_b32 s10, s9
	s_cbranch_execz .LBB740_172
.LBB740_188:
	v_sub_nc_u32_e32 v1, v22, v7
	s_delay_alu instid0(VALU_DEP_1)
	v_lshlrev_b32_e32 v1, 1, v1
	ds_store_b16 v1, v3
	s_or_b32 exec_lo, exec_lo, s10
	s_and_saveexec_b32 s9, s7
	s_cbranch_execnz .LBB740_173
.LBB740_189:
	s_or_b32 exec_lo, exec_lo, s9
	s_and_saveexec_b32 s7, s5
	s_cbranch_execz .LBB740_174
.LBB740_190:
	v_sub_nc_u32_e32 v1, v26, v7
	s_delay_alu instid0(VALU_DEP_1)
	v_lshlrev_b32_e32 v1, 1, v1
	ds_store_b16 v1, v4
	s_or_b32 exec_lo, exec_lo, s7
	s_and_saveexec_b32 s5, s8
	s_cbranch_execnz .LBB740_175
.LBB740_191:
	s_or_b32 exec_lo, exec_lo, s5
	s_and_saveexec_b32 s5, s6
	s_cbranch_execz .LBB740_176
.LBB740_192:
	v_sub_nc_u32_e32 v1, v9, v7
	s_delay_alu instid0(VALU_DEP_1)
	v_lshlrev_b32_e32 v1, 1, v1
	ds_store_b16 v1, v13
	s_or_b32 exec_lo, exec_lo, s5
	s_and_saveexec_b32 s5, s4
	s_cbranch_execnz .LBB740_177
.LBB740_193:
	s_or_b32 exec_lo, exec_lo, s5
	s_and_saveexec_b32 s4, s3
	s_cbranch_execz .LBB740_178
.LBB740_194:
	v_sub_nc_u32_e32 v1, v18, v7
	s_delay_alu instid0(VALU_DEP_1)
	v_lshlrev_b32_e32 v1, 1, v1
	ds_store_b16 v1, v14
	s_or_b32 exec_lo, exec_lo, s4
	s_and_saveexec_b32 s3, s2
	s_cbranch_execnz .LBB740_179
.LBB740_195:
	s_or_b32 exec_lo, exec_lo, s3
	s_and_saveexec_b32 s2, s1
	s_cbranch_execz .LBB740_197
.LBB740_196:
	v_sub_nc_u32_e32 v1, v42, v7
	s_delay_alu instid0(VALU_DEP_1)
	v_lshlrev_b32_e32 v1, 1, v1
	ds_store_b16 v1, v15
.LBB740_197:
	s_or_b32 exec_lo, exec_lo, s2
	s_delay_alu instid0(SALU_CYCLE_1)
	s_and_b32 s17, s0, exec_lo
                                        ; implicit-def: $vgpr56
                                        ; implicit-def: $vgpr1
	s_and_not1_saveexec_b32 s0, s16
	s_cbranch_execnz .LBB740_181
.LBB740_198:
	s_or_b32 exec_lo, exec_lo, s0
	s_delay_alu instid0(SALU_CYCLE_1)
	s_and_b32 exec_lo, exec_lo, s17
	s_cbranch_execz .LBB740_200
.LBB740_199:
	v_sub_nc_u32_e32 v1, v32, v7
	s_delay_alu instid0(VALU_DEP_1)
	v_lshlrev_b32_e32 v1, 1, v1
	ds_store_b16_d16_hi v1, v15
.LBB740_200:
	s_or_b32 exec_lo, exec_lo, s15
	s_delay_alu instid0(SALU_CYCLE_1)
	s_mov_b32 s1, exec_lo
	s_waitcnt lgkmcnt(0)
	s_waitcnt_vscnt null, 0x0
	s_barrier
	buffer_gl0_inv
	v_cmpx_lt_u32_e64 v0, v5
	s_cbranch_execz .LBB740_215
; %bb.201:
	v_xad_u32 v2, v0, -1, v5
	v_mov_b32_e32 v1, v0
	s_mov_b32 s0, -1
	s_mov_b32 s3, exec_lo
	s_delay_alu instid0(VALU_DEP_2)
	v_cmp_gt_u32_e64 s2, 0x1900, v2
	v_cmpx_lt_u32_e32 0x18ff, v2
	s_cbranch_execz .LBB740_212
; %bb.202:
	v_sub_nc_u32_e32 v1, v0, v5
	s_delay_alu instid0(VALU_DEP_1) | instskip(NEXT) | instid1(VALU_DEP_1)
	v_or_b32_e32 v1, 0xff, v1
	v_cmp_ge_u32_e32 vcc_lo, v1, v0
	v_mov_b32_e32 v1, v0
	s_and_saveexec_b32 s4, vcc_lo
	s_cbranch_execz .LBB740_211
; %bb.203:
	v_lshrrev_b32_e32 v4, 8, v2
	v_or_b32_e32 v1, 0x100, v0
	v_dual_mov_b32 v48, 0 :: v_dual_lshlrev_b32 v15, 1, v0
	s_delay_alu instid0(VALU_DEP_3) | instskip(NEXT) | instid1(VALU_DEP_1)
	v_add_nc_u32_e32 v2, -1, v4
	v_lshrrev_b32_e32 v3, 1, v2
	v_cmp_lt_u32_e32 vcc_lo, 13, v2
	s_delay_alu instid0(VALU_DEP_2)
	v_add_nc_u32_e32 v25, 1, v3
	v_dual_mov_b32 v3, v1 :: v_dual_mov_b32 v2, v0
	s_and_saveexec_b32 s0, vcc_lo
	s_cbranch_execz .LBB740_207
; %bb.204:
	v_dual_mov_b32 v14, 0 :: v_dual_mov_b32 v3, v1
	v_dual_mov_b32 v37, v15 :: v_dual_and_b32 v36, -8, v25
	v_mov_b32_e32 v2, v0
	s_mov_b32 s5, 0
	s_mov_b32 s6, 0
.LBB740_205:                            ; =>This Inner Loop Header: Depth=1
	s_delay_alu instid0(VALU_DEP_1) | instskip(SKIP_2) | instid1(VALU_DEP_3)
	v_dual_mov_b32 v13, v2 :: v_dual_add_nc_u32 v36, -8, v36
	v_dual_mov_b32 v68, v14 :: v_dual_add_nc_u32 v67, 0x200, v3
	v_dual_mov_b32 v70, v14 :: v_dual_add_nc_u32 v69, 0x400, v3
	v_lshlrev_b64 v[81:82], 1, v[13:14]
	s_delay_alu instid0(VALU_DEP_4) | instskip(NEXT) | instid1(VALU_DEP_4)
	v_cmp_eq_u32_e32 vcc_lo, 0, v36
	v_lshlrev_b64 v[67:68], 1, v[67:68]
	v_dual_mov_b32 v72, v14 :: v_dual_add_nc_u32 v71, 0x600, v3
	s_add_i32 s6, s6, 16
	v_lshlrev_b64 v[69:70], 1, v[69:70]
	s_or_b32 s5, vcc_lo, s5
	v_add_co_u32 v81, vcc_lo, v6, v81
	v_dual_mov_b32 v74, v14 :: v_dual_add_nc_u32 v73, 0x800, v3
	v_add_co_ci_u32_e32 v82, vcc_lo, v24, v82, vcc_lo
	v_lshlrev_b64 v[71:72], 1, v[71:72]
	v_add_co_u32 v67, vcc_lo, v6, v67
	v_dual_mov_b32 v76, v14 :: v_dual_add_nc_u32 v75, 0xa00, v3
	v_add_co_ci_u32_e32 v68, vcc_lo, v24, v68, vcc_lo
	v_lshlrev_b64 v[73:74], 1, v[73:74]
	;; [unrolled: 4-line block ×3, first 2 shown]
	v_add_co_u32 v71, vcc_lo, v6, v71
	v_dual_mov_b32 v80, v14 :: v_dual_add_nc_u32 v79, 0xe00, v3
	v_mov_b32_e32 v13, v3
	v_add_co_ci_u32_e32 v72, vcc_lo, v24, v72, vcc_lo
	v_lshlrev_b64 v[77:78], 1, v[77:78]
	v_add_co_u32 v73, vcc_lo, v6, v73
	ds_load_u16 v1, v37
	ds_load_u16 v49, v37 offset:512
	ds_load_u16 v56, v37 offset:1024
	;; [unrolled: 1-line block ×7, first 2 shown]
	v_add_co_ci_u32_e32 v74, vcc_lo, v24, v74, vcc_lo
	v_lshlrev_b64 v[79:80], 1, v[79:80]
	v_add_co_u32 v75, vcc_lo, v6, v75
	v_lshlrev_b64 v[83:84], 1, v[13:14]
	v_add_nc_u32_e32 v13, 0x200, v2
	v_add_co_ci_u32_e32 v76, vcc_lo, v24, v76, vcc_lo
	v_add_co_u32 v77, vcc_lo, v6, v77
	v_add_co_ci_u32_e32 v78, vcc_lo, v24, v78, vcc_lo
	v_add_co_u32 v79, vcc_lo, v6, v79
	v_lshlrev_b64 v[85:86], 1, v[13:14]
	v_add_nc_u32_e32 v13, 0x400, v2
	v_add_co_ci_u32_e32 v80, vcc_lo, v24, v80, vcc_lo
	v_add_co_u32 v83, vcc_lo, v6, v83
	ds_load_u16 v92, v37 offset:4096
	ds_load_u16 v93, v37 offset:4608
	;; [unrolled: 1-line block ×8, first 2 shown]
	v_add_co_ci_u32_e32 v84, vcc_lo, v24, v84, vcc_lo
	s_waitcnt lgkmcnt(15)
	global_store_b16 v[81:82], v1, off
	v_lshlrev_b64 v[81:82], 1, v[13:14]
	v_add_nc_u32_e32 v13, 0x600, v2
	v_add_co_u32 v85, vcc_lo, v6, v85
	v_add_co_ci_u32_e32 v86, vcc_lo, v24, v86, vcc_lo
	s_waitcnt lgkmcnt(14)
	global_store_b16 v[83:84], v49, off
	v_lshlrev_b64 v[83:84], 1, v[13:14]
	v_add_nc_u32_e32 v13, 0x800, v2
	s_waitcnt lgkmcnt(13)
	global_store_b16 v[85:86], v56, off
	s_waitcnt lgkmcnt(12)
	global_store_b16 v[67:68], v87, off
	v_add_co_u32 v67, vcc_lo, v6, v81
	v_add_co_ci_u32_e32 v68, vcc_lo, v24, v82, vcc_lo
	v_lshlrev_b64 v[81:82], 1, v[13:14]
	v_add_nc_u32_e32 v13, 0xa00, v2
	v_add_co_u32 v83, vcc_lo, v6, v83
	v_add_co_ci_u32_e32 v84, vcc_lo, v24, v84, vcc_lo
	s_waitcnt lgkmcnt(11)
	global_store_b16 v[67:68], v88, off
	s_waitcnt lgkmcnt(10)
	global_store_b16 v[69:70], v89, off
	v_lshlrev_b64 v[67:68], 1, v[13:14]
	v_add_nc_u32_e32 v13, 0xc00, v2
	v_add_co_u32 v69, vcc_lo, v6, v81
	s_waitcnt lgkmcnt(9)
	global_store_b16 v[83:84], v90, off
	s_waitcnt lgkmcnt(8)
	global_store_b16 v[71:72], v91, off
	v_add_co_ci_u32_e32 v70, vcc_lo, v24, v82, vcc_lo
	v_lshlrev_b64 v[71:72], 1, v[13:14]
	v_add_nc_u32_e32 v13, 0xe00, v2
	v_add_nc_u32_e32 v2, 0x1000, v2
	v_add_co_u32 v67, vcc_lo, v6, v67
	v_add_co_ci_u32_e32 v68, vcc_lo, v24, v68, vcc_lo
	s_waitcnt lgkmcnt(7)
	global_store_b16 v[69:70], v92, off
	s_waitcnt lgkmcnt(6)
	global_store_b16 v[73:74], v93, off
	v_lshlrev_b64 v[69:70], 1, v[13:14]
	v_dual_mov_b32 v48, s6 :: v_dual_add_nc_u32 v37, 0x2000, v37
	s_waitcnt lgkmcnt(5)
	global_store_b16 v[67:68], v94, off
	v_add_co_u32 v67, vcc_lo, v6, v71
	v_add_nc_u32_e32 v3, 0x1000, v3
	v_add_co_ci_u32_e32 v68, vcc_lo, v24, v72, vcc_lo
	v_add_co_u32 v69, vcc_lo, v6, v69
	v_add_co_ci_u32_e32 v70, vcc_lo, v24, v70, vcc_lo
	s_waitcnt lgkmcnt(4)
	global_store_b16 v[75:76], v95, off
	s_waitcnt lgkmcnt(3)
	global_store_b16 v[67:68], v96, off
	;; [unrolled: 2-line block ×5, first 2 shown]
	s_and_not1_b32 exec_lo, exec_lo, s5
	s_cbranch_execnz .LBB740_205
; %bb.206:
	s_or_b32 exec_lo, exec_lo, s5
.LBB740_207:
	s_delay_alu instid0(SALU_CYCLE_1) | instskip(SKIP_3) | instid1(VALU_DEP_1)
	s_or_b32 exec_lo, exec_lo, s0
	v_and_b32_e32 v1, 7, v25
	s_mov_b32 s6, 0
	s_mov_b32 s5, exec_lo
	v_cmpx_ne_u32_e32 0, v1
	s_cbranch_execz .LBB740_210
; %bb.208:
	v_lshl_or_b32 v15, v48, 9, v15
	v_mov_b32_e32 v14, 0
	s_set_inst_prefetch_distance 0x1
	.p2align	6
.LBB740_209:                            ; =>This Inner Loop Header: Depth=1
	v_dual_mov_b32 v13, v2 :: v_dual_add_nc_u32 v2, 0x200, v2
	ds_load_u16 v25, v15
	ds_load_u16 v56, v15 offset:512
	v_add_nc_u32_e32 v1, -1, v1
	v_add_nc_u32_e32 v15, 0x400, v15
	v_lshlrev_b64 v[36:37], 1, v[13:14]
	v_mov_b32_e32 v13, v3
	v_add_nc_u32_e32 v3, 0x200, v3
	v_cmp_eq_u32_e32 vcc_lo, 0, v1
	s_delay_alu instid0(VALU_DEP_3) | instskip(SKIP_1) | instid1(VALU_DEP_1)
	v_lshlrev_b64 v[48:49], 1, v[13:14]
	v_add_co_u32 v36, s0, v6, v36
	v_add_co_ci_u32_e64 v37, s0, v24, v37, s0
	s_or_b32 s6, vcc_lo, s6
	s_delay_alu instid0(VALU_DEP_3) | instskip(NEXT) | instid1(VALU_DEP_1)
	v_add_co_u32 v48, s0, v6, v48
	v_add_co_ci_u32_e64 v49, s0, v24, v49, s0
	s_waitcnt lgkmcnt(1)
	global_store_b16 v[36:37], v25, off
	s_waitcnt lgkmcnt(0)
	global_store_b16 v[48:49], v56, off
	s_and_not1_b32 exec_lo, exec_lo, s6
	s_cbranch_execnz .LBB740_209
.LBB740_210:
	s_set_inst_prefetch_distance 0x2
	s_or_b32 exec_lo, exec_lo, s5
	v_add_nc_u32_e32 v1, 1, v4
	s_delay_alu instid0(VALU_DEP_1) | instskip(NEXT) | instid1(VALU_DEP_1)
	v_and_b32_e32 v2, 0x1fffffe, v1
	v_cmp_ne_u32_e32 vcc_lo, v1, v2
	v_lshl_or_b32 v1, v2, 8, v0
	s_or_not1_b32 s0, vcc_lo, exec_lo
.LBB740_211:
	s_or_b32 exec_lo, exec_lo, s4
	s_delay_alu instid0(SALU_CYCLE_1) | instskip(SKIP_1) | instid1(SALU_CYCLE_1)
	s_and_not1_b32 s2, s2, exec_lo
	s_and_b32 s0, s0, exec_lo
	s_or_b32 s2, s2, s0
.LBB740_212:
	s_or_b32 exec_lo, exec_lo, s3
	s_delay_alu instid0(VALU_DEP_2) | instid1(SALU_CYCLE_1)
	s_and_b32 exec_lo, exec_lo, s2
	s_cbranch_execz .LBB740_215
; %bb.213:
	v_dual_mov_b32 v2, 0 :: v_dual_lshlrev_b32 v3, 1, v1
	s_mov_b32 s2, 0
	.p2align	6
.LBB740_214:                            ; =>This Inner Loop Header: Depth=1
	ds_load_u16 v4, v3
	v_lshlrev_b64 v[13:14], 1, v[1:2]
	v_add_nc_u32_e32 v1, 0x100, v1
	v_add_nc_u32_e32 v3, 0x200, v3
	s_delay_alu instid0(VALU_DEP_2) | instskip(NEXT) | instid1(VALU_DEP_4)
	v_cmp_ge_u32_e32 vcc_lo, v1, v5
	v_add_co_u32 v13, s0, v6, v13
	s_delay_alu instid0(VALU_DEP_1)
	v_add_co_ci_u32_e64 v14, s0, v24, v14, s0
	s_or_b32 s2, vcc_lo, s2
	s_waitcnt lgkmcnt(0)
	global_store_b16 v[13:14], v4, off
	s_and_not1_b32 exec_lo, exec_lo, s2
	s_cbranch_execnz .LBB740_214
.LBB740_215:
	s_or_b32 exec_lo, exec_lo, s1
.LBB740_216:
	s_cmpk_lg_i32 s19, 0xf00
	v_cmp_eq_u32_e32 vcc_lo, 0, v0
	s_cselect_b32 s0, -1, 0
	v_cndmask_b32_e64 v15, 0, 1, s20
	s_and_b32 s0, s18, s0
	v_mad_i32_i24 v4, v0, -15, s19
	v_cndmask_b32_e64 v2, 0, 1, s0
	s_mul_hi_u32 s0, s19, 0x88888889
	s_and_b32 s1, vcc_lo, s20
	s_lshr_b32 s0, s0, 3
	v_sub_nc_u32_e32 v1, v5, v15
	v_cndmask_b32_e64 v6, v65, 0, s1
	v_cmp_eq_u32_e32 vcc_lo, s0, v0
	v_cmp_ne_u32_e64 s0, 0, v4
	s_mov_b32 s16, -1
	s_waitcnt_vscnt null, 0x0
	s_barrier
	s_and_b32 vcc_lo, s18, vcc_lo
	v_add_nc_u32_e32 v3, v1, v2
	v_cndmask_b32_e64 v1, 1, v6, s0
	v_cmp_ne_u32_e64 s0, 1, v4
	buffer_gl0_inv
	v_cndmask_b32_e32 v37, v6, v1, vcc_lo
	v_cndmask_b32_e64 v2, 1, v64, s0
	v_cmp_ne_u32_e64 s0, 2, v4
	s_delay_alu instid0(VALU_DEP_3) | instskip(NEXT) | instid1(VALU_DEP_2)
	v_cmp_ne_u32_e64 s14, 0, v37
	v_cndmask_b32_e64 v13, 1, v63, s0
	v_cmp_ne_u32_e64 s0, 14, v4
	s_delay_alu instid0(VALU_DEP_2) | instskip(NEXT) | instid1(VALU_DEP_2)
	v_dual_cndmask_b32 v48, v64, v2 :: v_dual_cndmask_b32 v49, v63, v13
	v_cndmask_b32_e64 v14, 1, v55, s0
	v_cmp_ne_u32_e64 s0, 3, v4
	s_delay_alu instid0(VALU_DEP_3) | instskip(NEXT) | instid1(VALU_DEP_4)
	v_cmp_ne_u32_e64 s13, 0, v48
	v_cmp_ne_u32_e64 s12, 0, v49
	s_delay_alu instid0(VALU_DEP_4) | instskip(NEXT) | instid1(VALU_DEP_4)
	v_cndmask_b32_e32 v36, v55, v14, vcc_lo
	v_cndmask_b32_e64 v24, 1, v62, s0
	v_cmp_ne_u32_e64 s0, 4, v4
	s_delay_alu instid0(VALU_DEP_2) | instskip(NEXT) | instid1(VALU_DEP_2)
	v_cndmask_b32_e32 v24, v62, v24, vcc_lo
	v_cndmask_b32_e64 v25, 1, v61, s0
	v_cmp_ne_u32_e64 s0, 5, v4
	s_delay_alu instid0(VALU_DEP_3) | instskip(NEXT) | instid1(VALU_DEP_3)
	v_cmp_ne_u32_e64 s11, 0, v24
	v_cndmask_b32_e32 v25, v61, v25, vcc_lo
	s_delay_alu instid0(VALU_DEP_3) | instskip(SKIP_1) | instid1(VALU_DEP_3)
	v_cndmask_b32_e64 v1, 1, v60, s0
	v_cmp_ne_u32_e64 s0, 6, v4
	v_cmp_ne_u32_e64 s10, 0, v25
	s_delay_alu instid0(VALU_DEP_2) | instskip(SKIP_1) | instid1(VALU_DEP_1)
	v_cndmask_b32_e64 v2, 1, v59, s0
	v_cmp_eq_u32_e64 s0, 0, v37
	v_cndmask_b32_e64 v6, 1, 2, s0
	v_cmp_eq_u32_e64 s0, 0, v48
	s_delay_alu instid0(VALU_DEP_1) | instskip(SKIP_1) | instid1(VALU_DEP_2)
	v_cndmask_b32_e64 v14, 1, 2, s0
	v_cmp_ne_u32_e64 s0, 7, v4
	v_and_b32_e32 v6, v14, v6
	s_delay_alu instid0(VALU_DEP_2) | instskip(SKIP_1) | instid1(VALU_DEP_2)
	v_cndmask_b32_e64 v13, 1, v58, s0
	v_cmp_eq_u32_e64 s0, 0, v49
	v_cndmask_b32_e32 v58, v58, v13, vcc_lo
	s_delay_alu instid0(VALU_DEP_2) | instskip(SKIP_1) | instid1(VALU_DEP_3)
	v_cndmask_b32_e64 v14, 1, 2, s0
	v_cmp_ne_u32_e64 s0, 8, v4
	v_cmp_ne_u32_e64 s7, 0, v58
	s_delay_alu instid0(VALU_DEP_3) | instskip(NEXT) | instid1(VALU_DEP_3)
	v_and_b32_e32 v6, v6, v14
	v_cndmask_b32_e64 v55, 1, v57, s0
	v_cmp_ne_u32_e64 s0, 9, v4
	s_delay_alu instid0(VALU_DEP_2) | instskip(NEXT) | instid1(VALU_DEP_2)
	v_cndmask_b32_e32 v55, v57, v55, vcc_lo
	v_cndmask_b32_e64 v56, 1, v54, s0
	v_cmp_eq_u32_e64 s0, 0, v24
	s_delay_alu instid0(VALU_DEP_3) | instskip(NEXT) | instid1(VALU_DEP_3)
	v_cmp_ne_u32_e64 s6, 0, v55
	v_cndmask_b32_e32 v54, v54, v56, vcc_lo
	s_delay_alu instid0(VALU_DEP_3) | instskip(SKIP_1) | instid1(VALU_DEP_3)
	v_cndmask_b32_e64 v14, 1, 2, s0
	v_cmp_ne_u32_e64 s0, 10, v4
	v_cmp_ne_u32_e64 s5, 0, v54
	s_delay_alu instid0(VALU_DEP_2) | instskip(SKIP_1) | instid1(VALU_DEP_2)
	v_cndmask_b32_e64 v61, 1, v53, s0
	v_cmp_eq_u32_e64 s0, 0, v25
	v_cndmask_b32_e32 v53, v53, v61, vcc_lo
	v_dual_cndmask_b32 v60, v60, v1 :: v_dual_and_b32 v1, v6, v14
	s_delay_alu instid0(VALU_DEP_3) | instskip(SKIP_1) | instid1(VALU_DEP_4)
	v_cndmask_b32_e64 v6, 1, 2, s0
	v_cmp_ne_u32_e64 s0, 11, v4
	v_cmp_ne_u32_e64 s4, 0, v53
	s_delay_alu instid0(VALU_DEP_4) | instskip(NEXT) | instid1(VALU_DEP_4)
	v_cmp_ne_u32_e64 s9, 0, v60
	v_and_b32_e32 v1, v1, v6
	s_delay_alu instid0(VALU_DEP_4) | instskip(SKIP_1) | instid1(VALU_DEP_2)
	v_cndmask_b32_e64 v14, 1, v52, s0
	v_cmp_ne_u32_e64 s0, 13, v4
	v_cndmask_b32_e32 v52, v52, v14, vcc_lo
	s_delay_alu instid0(VALU_DEP_2) | instskip(SKIP_2) | instid1(VALU_DEP_3)
	v_cndmask_b32_e64 v62, 1, v50, s0
	v_cmp_eq_u32_e64 s0, 0, v60
	v_lshlrev_b64 v[13:14], 2, v[7:8]
	v_cndmask_b32_e32 v50, v50, v62, vcc_lo
	s_delay_alu instid0(VALU_DEP_3) | instskip(SKIP_1) | instid1(VALU_DEP_3)
	v_cndmask_b32_e64 v6, 1, 2, s0
	v_cmp_ne_u32_e64 s0, 12, v4
	v_cmp_ne_u32_e64 s1, 0, v50
	s_delay_alu instid0(VALU_DEP_3) | instskip(SKIP_1) | instid1(VALU_DEP_4)
	v_and_b32_e32 v1, v1, v6
	v_cndmask_b32_e32 v59, v59, v2, vcc_lo
	v_cndmask_b32_e64 v2, 1, v51, s0
	s_delay_alu instid0(VALU_DEP_2) | instskip(NEXT) | instid1(VALU_DEP_2)
	v_cmp_eq_u32_e64 s0, 0, v59
	v_cndmask_b32_e32 v51, v51, v2, vcc_lo
	v_cmp_eq_u32_e32 vcc_lo, 0, v55
	s_delay_alu instid0(VALU_DEP_3) | instskip(SKIP_1) | instid1(VALU_DEP_2)
	v_cndmask_b32_e64 v4, 1, 2, s0
	v_cmp_eq_u32_e64 s0, 0, v58
	v_and_b32_e32 v4, v1, v4
	v_lshlrev_b64 v[1:2], 2, v[16:17]
	s_delay_alu instid0(VALU_DEP_3) | instskip(SKIP_2) | instid1(VALU_DEP_3)
	v_cndmask_b32_e64 v6, 1, 2, s0
	v_cmp_ne_u32_e64 s8, 0, v59
	v_cmp_ne_u32_e64 s0, 0, v36
	v_and_b32_e32 v4, v4, v6
	v_cndmask_b32_e64 v6, 1, 2, vcc_lo
	v_add_co_u32 v1, vcc_lo, s36, v1
	v_add_co_ci_u32_e32 v2, vcc_lo, s37, v2, vcc_lo
	v_cmp_eq_u32_e32 vcc_lo, 0, v54
	s_delay_alu instid0(VALU_DEP_4) | instskip(SKIP_3) | instid1(VALU_DEP_3)
	v_and_b32_e32 v6, v4, v6
	v_cndmask_b32_e64 v56, 1, 2, vcc_lo
	v_add_co_u32 v4, vcc_lo, v1, v13
	v_add_co_ci_u32_e32 v8, vcc_lo, v2, v14, vcc_lo
	v_and_b32_e32 v2, v6, v56
	v_lshlrev_b32_e32 v1, 2, v15
	v_cmp_eq_u32_e32 vcc_lo, 0, v53
	v_cmp_ne_u32_e64 s3, 0, v52
	v_cmp_ne_u32_e64 s2, 0, v51
	v_cndmask_b32_e64 v6, 1, 2, vcc_lo
	v_add_co_u32 v1, vcc_lo, v1, v4
	v_add_co_ci_u32_e32 v13, vcc_lo, 0, v8, vcc_lo
	v_cmp_eq_u32_e32 vcc_lo, 0, v52
	s_delay_alu instid0(VALU_DEP_4) | instskip(SKIP_4) | instid1(VALU_DEP_4)
	v_and_b32_e32 v2, v2, v6
	v_cndmask_b32_e64 v14, 1, 2, vcc_lo
	v_add_co_u32 v6, vcc_lo, v1, -4
	v_add_co_ci_u32_e32 v13, vcc_lo, -1, v13, vcc_lo
	v_cmp_eq_u32_e32 vcc_lo, 0, v51
	v_and_b32_e32 v2, v2, v14
	v_add_nc_u32_e32 v1, v7, v15
	v_cndmask_b32_e64 v14, 1, 2, vcc_lo
	v_cmp_eq_u32_e32 vcc_lo, 0, v50
	s_delay_alu instid0(VALU_DEP_2) | instskip(SKIP_2) | instid1(VALU_DEP_2)
	v_and_b32_e32 v2, v2, v14
	v_cndmask_b32_e64 v14, 1, 2, vcc_lo
	v_cmp_eq_u32_e32 vcc_lo, 0, v36
	v_and_b32_e32 v2, v2, v14
	v_cndmask_b32_e64 v14, 1, 2, vcc_lo
	v_cmp_gt_u32_e32 vcc_lo, 0x100, v3
	s_delay_alu instid0(VALU_DEP_2) | instskip(NEXT) | instid1(VALU_DEP_1)
	v_and_b32_e32 v2, v2, v14
	v_cmp_gt_i16_e64 s15, 2, v2
	s_cbranch_vccz .LBB740_233
; %bb.217:
	s_delay_alu instid0(VALU_DEP_1)
	s_and_saveexec_b32 s16, s15
	s_cbranch_execz .LBB740_271
; %bb.218:
	s_mov_b32 s17, 0
	s_mov_b32 s15, exec_lo
	v_cmpx_ne_u16_e32 1, v2
	s_xor_b32 s15, exec_lo, s15
	s_cbranch_execz .LBB740_250
; %bb.219:
	s_and_saveexec_b32 s17, s14
	s_cbranch_execz .LBB740_254
; %bb.220:
	v_sub_nc_u32_e32 v14, v38, v1
	v_mov_b32_e32 v15, 0
	s_delay_alu instid0(VALU_DEP_1) | instskip(NEXT) | instid1(VALU_DEP_1)
	v_lshlrev_b64 v[14:15], 2, v[14:15]
	v_add_co_u32 v14, vcc_lo, v6, v14
	s_delay_alu instid0(VALU_DEP_2)
	v_add_co_ci_u32_e32 v15, vcc_lo, v13, v15, vcc_lo
	global_store_b32 v[14:15], v39, off
	s_or_b32 exec_lo, exec_lo, s17
	s_and_saveexec_b32 s17, s13
	s_cbranch_execnz .LBB740_255
.LBB740_221:
	s_or_b32 exec_lo, exec_lo, s17
	s_and_saveexec_b32 s17, s12
	s_cbranch_execz .LBB740_256
.LBB740_222:
	v_sub_nc_u32_e32 v14, v40, v1
	v_mov_b32_e32 v15, 0
	s_delay_alu instid0(VALU_DEP_1) | instskip(NEXT) | instid1(VALU_DEP_1)
	v_lshlrev_b64 v[14:15], 2, v[14:15]
	v_add_co_u32 v14, vcc_lo, v6, v14
	s_delay_alu instid0(VALU_DEP_2)
	v_add_co_ci_u32_e32 v15, vcc_lo, v13, v15, vcc_lo
	global_store_b32 v[14:15], v41, off
	s_or_b32 exec_lo, exec_lo, s17
	s_and_saveexec_b32 s17, s11
	s_cbranch_execnz .LBB740_257
.LBB740_223:
	s_or_b32 exec_lo, exec_lo, s17
	s_and_saveexec_b32 s17, s10
	s_cbranch_execz .LBB740_258
.LBB740_224:
	v_sub_nc_u32_e32 v14, v28, v1
	v_mov_b32_e32 v15, 0
	s_delay_alu instid0(VALU_DEP_1) | instskip(NEXT) | instid1(VALU_DEP_1)
	v_lshlrev_b64 v[14:15], 2, v[14:15]
	v_add_co_u32 v14, vcc_lo, v6, v14
	s_delay_alu instid0(VALU_DEP_2)
	v_add_co_ci_u32_e32 v15, vcc_lo, v13, v15, vcc_lo
	global_store_b32 v[14:15], v29, off
	s_or_b32 exec_lo, exec_lo, s17
	s_and_saveexec_b32 s17, s9
	s_cbranch_execnz .LBB740_259
.LBB740_225:
	s_or_b32 exec_lo, exec_lo, s17
	s_and_saveexec_b32 s17, s8
	s_cbranch_execz .LBB740_260
.LBB740_226:
	v_sub_nc_u32_e32 v14, v20, v1
	v_mov_b32_e32 v15, 0
	s_delay_alu instid0(VALU_DEP_1) | instskip(NEXT) | instid1(VALU_DEP_1)
	v_lshlrev_b64 v[14:15], 2, v[14:15]
	v_add_co_u32 v14, vcc_lo, v6, v14
	s_delay_alu instid0(VALU_DEP_2)
	v_add_co_ci_u32_e32 v15, vcc_lo, v13, v15, vcc_lo
	global_store_b32 v[14:15], v21, off
	s_or_b32 exec_lo, exec_lo, s17
	s_and_saveexec_b32 s17, s7
	s_cbranch_execnz .LBB740_261
.LBB740_227:
	s_or_b32 exec_lo, exec_lo, s17
	s_and_saveexec_b32 s17, s6
	s_cbranch_execz .LBB740_262
.LBB740_228:
	v_sub_nc_u32_e32 v14, v30, v1
	v_mov_b32_e32 v15, 0
	s_delay_alu instid0(VALU_DEP_1) | instskip(NEXT) | instid1(VALU_DEP_1)
	v_lshlrev_b64 v[14:15], 2, v[14:15]
	v_add_co_u32 v14, vcc_lo, v6, v14
	s_delay_alu instid0(VALU_DEP_2)
	v_add_co_ci_u32_e32 v15, vcc_lo, v13, v15, vcc_lo
	global_store_b32 v[14:15], v31, off
	s_or_b32 exec_lo, exec_lo, s17
	s_and_saveexec_b32 s17, s5
	s_cbranch_execnz .LBB740_263
.LBB740_229:
	s_or_b32 exec_lo, exec_lo, s17
	s_and_saveexec_b32 s17, s4
	s_cbranch_execz .LBB740_264
.LBB740_230:
	v_sub_nc_u32_e32 v14, v11, v1
	v_mov_b32_e32 v15, 0
	s_delay_alu instid0(VALU_DEP_1) | instskip(NEXT) | instid1(VALU_DEP_1)
	v_lshlrev_b64 v[14:15], 2, v[14:15]
	v_add_co_u32 v14, vcc_lo, v6, v14
	s_delay_alu instid0(VALU_DEP_2)
	v_add_co_ci_u32_e32 v15, vcc_lo, v13, v15, vcc_lo
	global_store_b32 v[14:15], v12, off
	s_or_b32 exec_lo, exec_lo, s17
	s_and_saveexec_b32 s17, s3
	s_cbranch_execnz .LBB740_265
.LBB740_231:
	s_or_b32 exec_lo, exec_lo, s17
	s_and_saveexec_b32 s17, s2
	s_cbranch_execz .LBB740_266
.LBB740_232:
	v_sub_nc_u32_e32 v14, v46, v1
	v_mov_b32_e32 v15, 0
	s_delay_alu instid0(VALU_DEP_1) | instskip(NEXT) | instid1(VALU_DEP_1)
	v_lshlrev_b64 v[14:15], 2, v[14:15]
	v_add_co_u32 v14, vcc_lo, v6, v14
	s_delay_alu instid0(VALU_DEP_2)
	v_add_co_ci_u32_e32 v15, vcc_lo, v13, v15, vcc_lo
	global_store_b32 v[14:15], v47, off
	s_or_b32 exec_lo, exec_lo, s17
	s_and_saveexec_b32 s17, s1
	s_cbranch_execnz .LBB740_267
	s_branch .LBB740_268
.LBB740_233:
	s_and_b32 vcc_lo, exec_lo, s16
	s_cbranch_vccz .LBB740_272
; %bb.234:
	s_mov_b32 s15, exec_lo
	v_cmpx_gt_i16_e32 2, v2
	s_cbranch_execz .LBB740_290
; %bb.235:
	s_mov_b32 s17, 0
	s_mov_b32 s16, exec_lo
	v_cmpx_ne_u16_e32 1, v2
	s_xor_b32 s16, exec_lo, s16
	s_cbranch_execz .LBB740_252
; %bb.236:
	s_and_saveexec_b32 s17, s14
	s_cbranch_execz .LBB740_273
; %bb.237:
	v_sub_nc_u32_e32 v2, v38, v1
	s_delay_alu instid0(VALU_DEP_1)
	v_lshlrev_b32_e32 v2, 2, v2
	ds_store_b32 v2, v39
	s_or_b32 exec_lo, exec_lo, s17
	s_and_saveexec_b32 s14, s13
	s_cbranch_execnz .LBB740_274
.LBB740_238:
	s_or_b32 exec_lo, exec_lo, s14
	s_and_saveexec_b32 s13, s12
	s_cbranch_execz .LBB740_275
.LBB740_239:
	v_sub_nc_u32_e32 v2, v40, v1
	s_delay_alu instid0(VALU_DEP_1)
	v_lshlrev_b32_e32 v2, 2, v2
	ds_store_b32 v2, v41
	s_or_b32 exec_lo, exec_lo, s13
	s_and_saveexec_b32 s12, s11
	s_cbranch_execnz .LBB740_276
.LBB740_240:
	s_or_b32 exec_lo, exec_lo, s12
	s_and_saveexec_b32 s11, s10
	s_cbranch_execz .LBB740_277
.LBB740_241:
	v_sub_nc_u32_e32 v2, v28, v1
	s_delay_alu instid0(VALU_DEP_1)
	v_lshlrev_b32_e32 v2, 2, v2
	ds_store_b32 v2, v29
	s_or_b32 exec_lo, exec_lo, s11
	s_and_saveexec_b32 s10, s9
	s_cbranch_execnz .LBB740_278
.LBB740_242:
	s_or_b32 exec_lo, exec_lo, s10
	s_and_saveexec_b32 s9, s8
	s_cbranch_execz .LBB740_279
.LBB740_243:
	v_sub_nc_u32_e32 v2, v20, v1
	s_delay_alu instid0(VALU_DEP_1)
	v_lshlrev_b32_e32 v2, 2, v2
	ds_store_b32 v2, v21
	s_or_b32 exec_lo, exec_lo, s9
	s_and_saveexec_b32 s8, s7
	s_cbranch_execnz .LBB740_280
.LBB740_244:
	s_or_b32 exec_lo, exec_lo, s8
	s_and_saveexec_b32 s7, s6
	s_cbranch_execz .LBB740_281
.LBB740_245:
	v_sub_nc_u32_e32 v2, v30, v1
	s_delay_alu instid0(VALU_DEP_1)
	v_lshlrev_b32_e32 v2, 2, v2
	ds_store_b32 v2, v31
	s_or_b32 exec_lo, exec_lo, s7
	s_and_saveexec_b32 s6, s5
	s_cbranch_execnz .LBB740_282
.LBB740_246:
	s_or_b32 exec_lo, exec_lo, s6
	s_and_saveexec_b32 s5, s4
	s_cbranch_execz .LBB740_283
.LBB740_247:
	v_sub_nc_u32_e32 v2, v11, v1
	s_delay_alu instid0(VALU_DEP_1)
	v_lshlrev_b32_e32 v2, 2, v2
	ds_store_b32 v2, v12
	s_or_b32 exec_lo, exec_lo, s5
	s_and_saveexec_b32 s4, s3
	s_cbranch_execnz .LBB740_284
.LBB740_248:
	s_or_b32 exec_lo, exec_lo, s4
	s_and_saveexec_b32 s3, s2
	s_cbranch_execz .LBB740_285
.LBB740_249:
	v_sub_nc_u32_e32 v2, v46, v1
	s_delay_alu instid0(VALU_DEP_1)
	v_lshlrev_b32_e32 v2, 2, v2
	ds_store_b32 v2, v47
	s_or_b32 exec_lo, exec_lo, s3
	s_and_saveexec_b32 s2, s1
	s_cbranch_execnz .LBB740_286
	s_branch .LBB740_287
.LBB740_250:
	s_and_not1_saveexec_b32 s15, s15
	s_cbranch_execz .LBB740_269
.LBB740_251:
	v_sub_nc_u32_e32 v14, v38, v1
	v_mov_b32_e32 v15, 0
	s_or_b32 s17, s17, exec_lo
	s_delay_alu instid0(VALU_DEP_1) | instskip(SKIP_1) | instid1(VALU_DEP_1)
	v_lshlrev_b64 v[24:25], 2, v[14:15]
	v_sub_nc_u32_e32 v14, v44, v1
	v_lshlrev_b64 v[36:37], 2, v[14:15]
	v_sub_nc_u32_e32 v14, v40, v1
	s_delay_alu instid0(VALU_DEP_4) | instskip(SKIP_1) | instid1(VALU_DEP_3)
	v_add_co_u32 v24, vcc_lo, v6, v24
	v_add_co_ci_u32_e32 v25, vcc_lo, v13, v25, vcc_lo
	v_lshlrev_b64 v[48:49], 2, v[14:15]
	v_sub_nc_u32_e32 v14, v34, v1
	v_add_co_u32 v36, vcc_lo, v6, v36
	v_add_co_ci_u32_e32 v37, vcc_lo, v13, v37, vcc_lo
	global_store_b32 v[24:25], v39, off
	v_lshlrev_b64 v[24:25], 2, v[14:15]
	v_sub_nc_u32_e32 v14, v28, v1
	global_store_b32 v[36:37], v45, off
	v_add_co_u32 v36, vcc_lo, v6, v48
	v_add_co_ci_u32_e32 v37, vcc_lo, v13, v49, vcc_lo
	v_lshlrev_b64 v[48:49], 2, v[14:15]
	v_sub_nc_u32_e32 v14, v22, v1
	v_add_co_u32 v24, vcc_lo, v6, v24
	v_add_co_ci_u32_e32 v25, vcc_lo, v13, v25, vcc_lo
	s_delay_alu instid0(VALU_DEP_3) | instskip(SKIP_3) | instid1(VALU_DEP_3)
	v_lshlrev_b64 v[50:51], 2, v[14:15]
	v_sub_nc_u32_e32 v14, v20, v1
	v_add_co_u32 v48, vcc_lo, v6, v48
	v_add_co_ci_u32_e32 v49, vcc_lo, v13, v49, vcc_lo
	v_lshlrev_b64 v[52:53], 2, v[14:15]
	v_sub_nc_u32_e32 v14, v26, v1
	v_add_co_u32 v50, vcc_lo, v6, v50
	v_add_co_ci_u32_e32 v51, vcc_lo, v13, v51, vcc_lo
	s_clause 0x3
	global_store_b32 v[36:37], v41, off
	global_store_b32 v[24:25], v35, off
	;; [unrolled: 1-line block ×4, first 2 shown]
	v_lshlrev_b64 v[24:25], 2, v[14:15]
	v_sub_nc_u32_e32 v14, v30, v1
	v_add_co_u32 v36, vcc_lo, v6, v52
	v_add_co_ci_u32_e32 v37, vcc_lo, v13, v53, vcc_lo
	s_delay_alu instid0(VALU_DEP_3) | instskip(SKIP_3) | instid1(VALU_DEP_3)
	v_lshlrev_b64 v[48:49], 2, v[14:15]
	v_sub_nc_u32_e32 v14, v9, v1
	v_add_co_u32 v24, vcc_lo, v6, v24
	v_add_co_ci_u32_e32 v25, vcc_lo, v13, v25, vcc_lo
	v_lshlrev_b64 v[50:51], 2, v[14:15]
	v_sub_nc_u32_e32 v14, v11, v1
	v_add_co_u32 v48, vcc_lo, v6, v48
	v_add_co_ci_u32_e32 v49, vcc_lo, v13, v49, vcc_lo
	s_delay_alu instid0(VALU_DEP_3)
	v_lshlrev_b64 v[52:53], 2, v[14:15]
	v_sub_nc_u32_e32 v14, v18, v1
	v_add_co_u32 v50, vcc_lo, v6, v50
	v_add_co_ci_u32_e32 v51, vcc_lo, v13, v51, vcc_lo
	s_clause 0x3
	global_store_b32 v[36:37], v21, off
	global_store_b32 v[24:25], v27, off
	;; [unrolled: 1-line block ×4, first 2 shown]
	v_lshlrev_b64 v[24:25], 2, v[14:15]
	v_sub_nc_u32_e32 v14, v46, v1
	v_add_co_u32 v36, vcc_lo, v6, v52
	v_add_co_ci_u32_e32 v37, vcc_lo, v13, v53, vcc_lo
	s_delay_alu instid0(VALU_DEP_3) | instskip(SKIP_3) | instid1(VALU_DEP_3)
	v_lshlrev_b64 v[48:49], 2, v[14:15]
	v_sub_nc_u32_e32 v14, v42, v1
	v_add_co_u32 v24, vcc_lo, v6, v24
	v_add_co_ci_u32_e32 v25, vcc_lo, v13, v25, vcc_lo
	v_lshlrev_b64 v[14:15], 2, v[14:15]
	v_add_co_u32 v48, vcc_lo, v6, v48
	v_add_co_ci_u32_e32 v49, vcc_lo, v13, v49, vcc_lo
	s_clause 0x2
	global_store_b32 v[36:37], v12, off
	global_store_b32 v[24:25], v19, off
	global_store_b32 v[48:49], v47, off
	v_add_co_u32 v14, vcc_lo, v6, v14
	v_add_co_ci_u32_e32 v15, vcc_lo, v13, v15, vcc_lo
	global_store_b32 v[14:15], v43, off
	s_or_b32 exec_lo, exec_lo, s15
	s_delay_alu instid0(SALU_CYCLE_1)
	s_and_b32 exec_lo, exec_lo, s17
	s_cbranch_execnz .LBB740_270
	s_branch .LBB740_271
.LBB740_252:
	s_and_not1_saveexec_b32 s0, s16
	s_cbranch_execz .LBB740_288
.LBB740_253:
	v_sub_nc_u32_e32 v2, v38, v1
	v_sub_nc_u32_e32 v14, v44, v1
	;; [unrolled: 1-line block ×5, first 2 shown]
	v_lshlrev_b32_e32 v2, 2, v2
	v_lshlrev_b32_e32 v14, 2, v14
	;; [unrolled: 1-line block ×5, first 2 shown]
	ds_store_b32 v2, v39
	ds_store_b32 v14, v45
	ds_store_b32 v15, v41
	v_sub_nc_u32_e32 v2, v28, v1
	v_sub_nc_u32_e32 v14, v22, v1
	;; [unrolled: 1-line block ×5, first 2 shown]
	v_lshlrev_b32_e32 v2, 2, v2
	ds_store_b32 v24, v35
	v_lshlrev_b32_e32 v14, 2, v14
	v_lshlrev_b32_e32 v15, 2, v15
	;; [unrolled: 1-line block ×3, first 2 shown]
	ds_store_b32 v2, v29
	v_lshlrev_b32_e32 v2, 2, v22
	ds_store_b32 v14, v23
	ds_store_b32 v15, v21
	;; [unrolled: 1-line block ×3, first 2 shown]
	v_sub_nc_u32_e32 v15, v42, v1
	v_sub_nc_u32_e32 v14, v46, v1
	s_or_b32 s17, s17, exec_lo
	ds_store_b32 v2, v31
	v_sub_nc_u32_e32 v2, v11, v1
	v_sub_nc_u32_e32 v11, v18, v1
	ds_store_b32 v9, v10
	v_lshlrev_b32_e32 v9, 2, v15
	v_lshlrev_b32_e32 v14, 2, v14
	;; [unrolled: 1-line block ×4, first 2 shown]
	ds_store_b32 v2, v12
	ds_store_b32 v11, v19
	;; [unrolled: 1-line block ×4, first 2 shown]
	s_or_b32 exec_lo, exec_lo, s0
	s_delay_alu instid0(SALU_CYCLE_1)
	s_and_b32 exec_lo, exec_lo, s17
	s_cbranch_execnz .LBB740_289
	s_branch .LBB740_290
.LBB740_254:
	s_or_b32 exec_lo, exec_lo, s17
	s_and_saveexec_b32 s17, s13
	s_cbranch_execz .LBB740_221
.LBB740_255:
	v_sub_nc_u32_e32 v14, v44, v1
	v_mov_b32_e32 v15, 0
	s_delay_alu instid0(VALU_DEP_1) | instskip(NEXT) | instid1(VALU_DEP_1)
	v_lshlrev_b64 v[14:15], 2, v[14:15]
	v_add_co_u32 v14, vcc_lo, v6, v14
	s_delay_alu instid0(VALU_DEP_2)
	v_add_co_ci_u32_e32 v15, vcc_lo, v13, v15, vcc_lo
	global_store_b32 v[14:15], v45, off
	s_or_b32 exec_lo, exec_lo, s17
	s_and_saveexec_b32 s17, s12
	s_cbranch_execnz .LBB740_222
.LBB740_256:
	s_or_b32 exec_lo, exec_lo, s17
	s_and_saveexec_b32 s17, s11
	s_cbranch_execz .LBB740_223
.LBB740_257:
	v_sub_nc_u32_e32 v14, v34, v1
	v_mov_b32_e32 v15, 0
	s_delay_alu instid0(VALU_DEP_1) | instskip(NEXT) | instid1(VALU_DEP_1)
	v_lshlrev_b64 v[14:15], 2, v[14:15]
	v_add_co_u32 v14, vcc_lo, v6, v14
	s_delay_alu instid0(VALU_DEP_2)
	v_add_co_ci_u32_e32 v15, vcc_lo, v13, v15, vcc_lo
	global_store_b32 v[14:15], v35, off
	s_or_b32 exec_lo, exec_lo, s17
	s_and_saveexec_b32 s17, s10
	s_cbranch_execnz .LBB740_224
.LBB740_258:
	s_or_b32 exec_lo, exec_lo, s17
	s_and_saveexec_b32 s17, s9
	s_cbranch_execz .LBB740_225
.LBB740_259:
	v_sub_nc_u32_e32 v14, v22, v1
	v_mov_b32_e32 v15, 0
	s_delay_alu instid0(VALU_DEP_1) | instskip(NEXT) | instid1(VALU_DEP_1)
	v_lshlrev_b64 v[14:15], 2, v[14:15]
	v_add_co_u32 v14, vcc_lo, v6, v14
	s_delay_alu instid0(VALU_DEP_2)
	v_add_co_ci_u32_e32 v15, vcc_lo, v13, v15, vcc_lo
	global_store_b32 v[14:15], v23, off
	s_or_b32 exec_lo, exec_lo, s17
	s_and_saveexec_b32 s17, s8
	s_cbranch_execnz .LBB740_226
.LBB740_260:
	s_or_b32 exec_lo, exec_lo, s17
	s_and_saveexec_b32 s17, s7
	s_cbranch_execz .LBB740_227
.LBB740_261:
	v_sub_nc_u32_e32 v14, v26, v1
	v_mov_b32_e32 v15, 0
	s_delay_alu instid0(VALU_DEP_1) | instskip(NEXT) | instid1(VALU_DEP_1)
	v_lshlrev_b64 v[14:15], 2, v[14:15]
	v_add_co_u32 v14, vcc_lo, v6, v14
	s_delay_alu instid0(VALU_DEP_2)
	v_add_co_ci_u32_e32 v15, vcc_lo, v13, v15, vcc_lo
	global_store_b32 v[14:15], v27, off
	s_or_b32 exec_lo, exec_lo, s17
	s_and_saveexec_b32 s17, s6
	s_cbranch_execnz .LBB740_228
.LBB740_262:
	s_or_b32 exec_lo, exec_lo, s17
	s_and_saveexec_b32 s17, s5
	s_cbranch_execz .LBB740_229
.LBB740_263:
	v_sub_nc_u32_e32 v14, v9, v1
	v_mov_b32_e32 v15, 0
	s_delay_alu instid0(VALU_DEP_1) | instskip(NEXT) | instid1(VALU_DEP_1)
	v_lshlrev_b64 v[14:15], 2, v[14:15]
	v_add_co_u32 v14, vcc_lo, v6, v14
	s_delay_alu instid0(VALU_DEP_2)
	v_add_co_ci_u32_e32 v15, vcc_lo, v13, v15, vcc_lo
	global_store_b32 v[14:15], v10, off
	s_or_b32 exec_lo, exec_lo, s17
	s_and_saveexec_b32 s17, s4
	s_cbranch_execnz .LBB740_230
.LBB740_264:
	s_or_b32 exec_lo, exec_lo, s17
	s_and_saveexec_b32 s17, s3
	s_cbranch_execz .LBB740_231
.LBB740_265:
	v_sub_nc_u32_e32 v14, v18, v1
	v_mov_b32_e32 v15, 0
	s_delay_alu instid0(VALU_DEP_1) | instskip(NEXT) | instid1(VALU_DEP_1)
	v_lshlrev_b64 v[14:15], 2, v[14:15]
	v_add_co_u32 v14, vcc_lo, v6, v14
	s_delay_alu instid0(VALU_DEP_2)
	v_add_co_ci_u32_e32 v15, vcc_lo, v13, v15, vcc_lo
	global_store_b32 v[14:15], v19, off
	s_or_b32 exec_lo, exec_lo, s17
	s_and_saveexec_b32 s17, s2
	s_cbranch_execnz .LBB740_232
.LBB740_266:
	s_or_b32 exec_lo, exec_lo, s17
	s_and_saveexec_b32 s17, s1
	s_cbranch_execz .LBB740_268
.LBB740_267:
	v_sub_nc_u32_e32 v14, v42, v1
	v_mov_b32_e32 v15, 0
	s_delay_alu instid0(VALU_DEP_1) | instskip(NEXT) | instid1(VALU_DEP_1)
	v_lshlrev_b64 v[14:15], 2, v[14:15]
	v_add_co_u32 v14, vcc_lo, v6, v14
	s_delay_alu instid0(VALU_DEP_2)
	v_add_co_ci_u32_e32 v15, vcc_lo, v13, v15, vcc_lo
	global_store_b32 v[14:15], v43, off
.LBB740_268:
	s_or_b32 exec_lo, exec_lo, s17
	s_delay_alu instid0(SALU_CYCLE_1)
	s_and_b32 s17, s0, exec_lo
	s_and_not1_saveexec_b32 s15, s15
	s_cbranch_execnz .LBB740_251
.LBB740_269:
	s_or_b32 exec_lo, exec_lo, s15
	s_delay_alu instid0(SALU_CYCLE_1)
	s_and_b32 exec_lo, exec_lo, s17
	s_cbranch_execz .LBB740_271
.LBB740_270:
	v_sub_nc_u32_e32 v14, v32, v1
	v_mov_b32_e32 v15, 0
	s_delay_alu instid0(VALU_DEP_1) | instskip(NEXT) | instid1(VALU_DEP_1)
	v_lshlrev_b64 v[14:15], 2, v[14:15]
	v_add_co_u32 v14, vcc_lo, v6, v14
	s_delay_alu instid0(VALU_DEP_2)
	v_add_co_ci_u32_e32 v15, vcc_lo, v13, v15, vcc_lo
	global_store_b32 v[14:15], v33, off
.LBB740_271:
	s_or_b32 exec_lo, exec_lo, s16
.LBB740_272:
	v_cmp_eq_u32_e32 vcc_lo, 0xff, v0
	s_and_b32 s0, vcc_lo, s18
	s_delay_alu instid0(SALU_CYCLE_1)
	s_and_saveexec_b32 s1, s0
	s_cbranch_execnz .LBB740_294
	s_branch .LBB740_296
.LBB740_273:
	s_or_b32 exec_lo, exec_lo, s17
	s_and_saveexec_b32 s14, s13
	s_cbranch_execz .LBB740_238
.LBB740_274:
	v_sub_nc_u32_e32 v2, v44, v1
	s_delay_alu instid0(VALU_DEP_1)
	v_lshlrev_b32_e32 v2, 2, v2
	ds_store_b32 v2, v45
	s_or_b32 exec_lo, exec_lo, s14
	s_and_saveexec_b32 s13, s12
	s_cbranch_execnz .LBB740_239
.LBB740_275:
	s_or_b32 exec_lo, exec_lo, s13
	s_and_saveexec_b32 s12, s11
	s_cbranch_execz .LBB740_240
.LBB740_276:
	v_sub_nc_u32_e32 v2, v34, v1
	s_delay_alu instid0(VALU_DEP_1)
	v_lshlrev_b32_e32 v2, 2, v2
	ds_store_b32 v2, v35
	s_or_b32 exec_lo, exec_lo, s12
	s_and_saveexec_b32 s11, s10
	s_cbranch_execnz .LBB740_241
.LBB740_277:
	s_or_b32 exec_lo, exec_lo, s11
	s_and_saveexec_b32 s10, s9
	s_cbranch_execz .LBB740_242
.LBB740_278:
	v_sub_nc_u32_e32 v2, v22, v1
	s_delay_alu instid0(VALU_DEP_1)
	v_lshlrev_b32_e32 v2, 2, v2
	ds_store_b32 v2, v23
	s_or_b32 exec_lo, exec_lo, s10
	s_and_saveexec_b32 s9, s8
	s_cbranch_execnz .LBB740_243
.LBB740_279:
	s_or_b32 exec_lo, exec_lo, s9
	s_and_saveexec_b32 s8, s7
	s_cbranch_execz .LBB740_244
.LBB740_280:
	v_sub_nc_u32_e32 v2, v26, v1
	s_delay_alu instid0(VALU_DEP_1)
	v_lshlrev_b32_e32 v2, 2, v2
	ds_store_b32 v2, v27
	s_or_b32 exec_lo, exec_lo, s8
	s_and_saveexec_b32 s7, s6
	s_cbranch_execnz .LBB740_245
.LBB740_281:
	s_or_b32 exec_lo, exec_lo, s7
	s_and_saveexec_b32 s6, s5
	s_cbranch_execz .LBB740_246
.LBB740_282:
	v_sub_nc_u32_e32 v2, v9, v1
	s_delay_alu instid0(VALU_DEP_1)
	v_lshlrev_b32_e32 v2, 2, v2
	ds_store_b32 v2, v10
	s_or_b32 exec_lo, exec_lo, s6
	s_and_saveexec_b32 s5, s4
	s_cbranch_execnz .LBB740_247
.LBB740_283:
	s_or_b32 exec_lo, exec_lo, s5
	s_and_saveexec_b32 s4, s3
	s_cbranch_execz .LBB740_248
.LBB740_284:
	v_sub_nc_u32_e32 v2, v18, v1
	s_delay_alu instid0(VALU_DEP_1)
	v_lshlrev_b32_e32 v2, 2, v2
	ds_store_b32 v2, v19
	s_or_b32 exec_lo, exec_lo, s4
	s_and_saveexec_b32 s3, s2
	s_cbranch_execnz .LBB740_249
.LBB740_285:
	s_or_b32 exec_lo, exec_lo, s3
	s_and_saveexec_b32 s2, s1
	s_cbranch_execz .LBB740_287
.LBB740_286:
	v_sub_nc_u32_e32 v2, v42, v1
	s_delay_alu instid0(VALU_DEP_1)
	v_lshlrev_b32_e32 v2, 2, v2
	ds_store_b32 v2, v43
.LBB740_287:
	s_or_b32 exec_lo, exec_lo, s2
	s_delay_alu instid0(SALU_CYCLE_1)
	s_and_b32 s17, s0, exec_lo
                                        ; implicit-def: $vgpr38_vgpr39
                                        ; implicit-def: $vgpr44_vgpr45
                                        ; implicit-def: $vgpr40_vgpr41
                                        ; implicit-def: $vgpr34_vgpr35
                                        ; implicit-def: $vgpr28_vgpr29
                                        ; implicit-def: $vgpr22_vgpr23
                                        ; implicit-def: $vgpr20_vgpr21
                                        ; implicit-def: $vgpr26_vgpr27
                                        ; implicit-def: $vgpr30_vgpr31
                                        ; implicit-def: $vgpr9_vgpr10
                                        ; implicit-def: $vgpr11_vgpr12
                                        ; implicit-def: $vgpr18_vgpr19
                                        ; implicit-def: $vgpr46_vgpr47
                                        ; implicit-def: $vgpr42_vgpr43
	s_and_not1_saveexec_b32 s0, s16
	s_cbranch_execnz .LBB740_253
.LBB740_288:
	s_or_b32 exec_lo, exec_lo, s0
	s_delay_alu instid0(SALU_CYCLE_1)
	s_and_b32 exec_lo, exec_lo, s17
	s_cbranch_execz .LBB740_290
.LBB740_289:
	v_sub_nc_u32_e32 v1, v32, v1
	s_delay_alu instid0(VALU_DEP_1)
	v_lshlrev_b32_e32 v1, 2, v1
	ds_store_b32 v1, v33
.LBB740_290:
	s_or_b32 exec_lo, exec_lo, s15
	s_delay_alu instid0(SALU_CYCLE_1)
	s_mov_b32 s1, exec_lo
	s_waitcnt lgkmcnt(0)
	s_waitcnt_vscnt null, 0x0
	s_barrier
	buffer_gl0_inv
	v_cmpx_lt_u32_e64 v0, v3
	s_cbranch_execz .LBB740_293
; %bb.291:
	v_dual_mov_b32 v2, 0 :: v_dual_lshlrev_b32 v9, 2, v0
	v_mov_b32_e32 v1, v0
	s_mov_b32 s2, 0
	.p2align	6
.LBB740_292:                            ; =>This Inner Loop Header: Depth=1
	ds_load_b32 v12, v9
	v_lshlrev_b64 v[10:11], 2, v[1:2]
	v_add_nc_u32_e32 v1, 0x100, v1
	v_add_nc_u32_e32 v9, 0x400, v9
	s_delay_alu instid0(VALU_DEP_2) | instskip(NEXT) | instid1(VALU_DEP_4)
	v_cmp_ge_u32_e32 vcc_lo, v1, v3
	v_add_co_u32 v10, s0, v6, v10
	s_delay_alu instid0(VALU_DEP_1)
	v_add_co_ci_u32_e64 v11, s0, v13, v11, s0
	s_or_b32 s2, vcc_lo, s2
	s_waitcnt lgkmcnt(0)
	global_store_b32 v[10:11], v12, off
	s_and_not1_b32 exec_lo, exec_lo, s2
	s_cbranch_execnz .LBB740_292
.LBB740_293:
	s_or_b32 exec_lo, exec_lo, s1
	v_cmp_eq_u32_e32 vcc_lo, 0xff, v0
	s_and_b32 s0, vcc_lo, s18
	s_delay_alu instid0(SALU_CYCLE_1)
	s_and_saveexec_b32 s1, s0
	s_cbranch_execz .LBB740_296
.LBB740_294:
	v_add_co_u32 v0, s0, v5, v7
	s_delay_alu instid0(VALU_DEP_1) | instskip(SKIP_1) | instid1(VALU_DEP_3)
	v_add_co_ci_u32_e64 v1, null, 0, 0, s0
	v_mov_b32_e32 v6, 0
	v_add_co_u32 v0, vcc_lo, v0, v16
	s_delay_alu instid0(VALU_DEP_3)
	v_add_co_ci_u32_e32 v1, vcc_lo, v1, v17, vcc_lo
	s_cmpk_lg_i32 s19, 0xf00
	global_store_b64 v6, v[0:1], s[38:39]
	s_cbranch_scc1 .LBB740_296
; %bb.295:
	v_lshlrev_b64 v[0:1], 2, v[5:6]
	s_delay_alu instid0(VALU_DEP_1) | instskip(NEXT) | instid1(VALU_DEP_2)
	v_add_co_u32 v0, vcc_lo, v4, v0
	v_add_co_ci_u32_e32 v1, vcc_lo, v8, v1, vcc_lo
	global_store_b32 v[0:1], v66, off offset:-4
	s_nop 0
	s_sendmsg sendmsg(MSG_DEALLOC_VGPRS)
	s_endpgm
.LBB740_296:
	s_nop 0
	s_sendmsg sendmsg(MSG_DEALLOC_VGPRS)
	s_endpgm
	.section	.rodata,"a",@progbits
	.p2align	6, 0x0
	.amdhsa_kernel _ZN7rocprim17ROCPRIM_400000_NS6detail17trampoline_kernelINS0_14default_configENS1_29reduce_by_key_config_selectorItjN6thrust23THRUST_200600_302600_NS4plusIjEEEEZZNS1_33reduce_by_key_impl_wrapped_configILNS1_25lookback_scan_determinismE0ES3_S9_NS6_6detail15normal_iteratorINS6_10device_ptrItEEEENSD_INSE_IjEEEESG_SI_PmS8_NS6_8equal_toItEEEE10hipError_tPvRmT2_T3_mT4_T5_T6_T7_T8_P12ihipStream_tbENKUlT_T0_E_clISt17integral_constantIbLb0EES13_EEDaSY_SZ_EUlSY_E_NS1_11comp_targetILNS1_3genE9ELNS1_11target_archE1100ELNS1_3gpuE3ELNS1_3repE0EEENS1_30default_config_static_selectorELNS0_4arch9wavefront6targetE0EEEvT1_
		.amdhsa_group_segment_fixed_size 15360
		.amdhsa_private_segment_fixed_size 0
		.amdhsa_kernarg_size 120
		.amdhsa_user_sgpr_count 15
		.amdhsa_user_sgpr_dispatch_ptr 0
		.amdhsa_user_sgpr_queue_ptr 0
		.amdhsa_user_sgpr_kernarg_segment_ptr 1
		.amdhsa_user_sgpr_dispatch_id 0
		.amdhsa_user_sgpr_private_segment_size 0
		.amdhsa_wavefront_size32 1
		.amdhsa_uses_dynamic_stack 0
		.amdhsa_enable_private_segment 0
		.amdhsa_system_sgpr_workgroup_id_x 1
		.amdhsa_system_sgpr_workgroup_id_y 0
		.amdhsa_system_sgpr_workgroup_id_z 0
		.amdhsa_system_sgpr_workgroup_info 0
		.amdhsa_system_vgpr_workitem_id 0
		.amdhsa_next_free_vgpr 100
		.amdhsa_next_free_sgpr 44
		.amdhsa_reserve_vcc 1
		.amdhsa_float_round_mode_32 0
		.amdhsa_float_round_mode_16_64 0
		.amdhsa_float_denorm_mode_32 3
		.amdhsa_float_denorm_mode_16_64 3
		.amdhsa_dx10_clamp 1
		.amdhsa_ieee_mode 1
		.amdhsa_fp16_overflow 0
		.amdhsa_workgroup_processor_mode 1
		.amdhsa_memory_ordered 1
		.amdhsa_forward_progress 0
		.amdhsa_shared_vgpr_count 0
		.amdhsa_exception_fp_ieee_invalid_op 0
		.amdhsa_exception_fp_denorm_src 0
		.amdhsa_exception_fp_ieee_div_zero 0
		.amdhsa_exception_fp_ieee_overflow 0
		.amdhsa_exception_fp_ieee_underflow 0
		.amdhsa_exception_fp_ieee_inexact 0
		.amdhsa_exception_int_div_zero 0
	.end_amdhsa_kernel
	.section	.text._ZN7rocprim17ROCPRIM_400000_NS6detail17trampoline_kernelINS0_14default_configENS1_29reduce_by_key_config_selectorItjN6thrust23THRUST_200600_302600_NS4plusIjEEEEZZNS1_33reduce_by_key_impl_wrapped_configILNS1_25lookback_scan_determinismE0ES3_S9_NS6_6detail15normal_iteratorINS6_10device_ptrItEEEENSD_INSE_IjEEEESG_SI_PmS8_NS6_8equal_toItEEEE10hipError_tPvRmT2_T3_mT4_T5_T6_T7_T8_P12ihipStream_tbENKUlT_T0_E_clISt17integral_constantIbLb0EES13_EEDaSY_SZ_EUlSY_E_NS1_11comp_targetILNS1_3genE9ELNS1_11target_archE1100ELNS1_3gpuE3ELNS1_3repE0EEENS1_30default_config_static_selectorELNS0_4arch9wavefront6targetE0EEEvT1_,"axG",@progbits,_ZN7rocprim17ROCPRIM_400000_NS6detail17trampoline_kernelINS0_14default_configENS1_29reduce_by_key_config_selectorItjN6thrust23THRUST_200600_302600_NS4plusIjEEEEZZNS1_33reduce_by_key_impl_wrapped_configILNS1_25lookback_scan_determinismE0ES3_S9_NS6_6detail15normal_iteratorINS6_10device_ptrItEEEENSD_INSE_IjEEEESG_SI_PmS8_NS6_8equal_toItEEEE10hipError_tPvRmT2_T3_mT4_T5_T6_T7_T8_P12ihipStream_tbENKUlT_T0_E_clISt17integral_constantIbLb0EES13_EEDaSY_SZ_EUlSY_E_NS1_11comp_targetILNS1_3genE9ELNS1_11target_archE1100ELNS1_3gpuE3ELNS1_3repE0EEENS1_30default_config_static_selectorELNS0_4arch9wavefront6targetE0EEEvT1_,comdat
.Lfunc_end740:
	.size	_ZN7rocprim17ROCPRIM_400000_NS6detail17trampoline_kernelINS0_14default_configENS1_29reduce_by_key_config_selectorItjN6thrust23THRUST_200600_302600_NS4plusIjEEEEZZNS1_33reduce_by_key_impl_wrapped_configILNS1_25lookback_scan_determinismE0ES3_S9_NS6_6detail15normal_iteratorINS6_10device_ptrItEEEENSD_INSE_IjEEEESG_SI_PmS8_NS6_8equal_toItEEEE10hipError_tPvRmT2_T3_mT4_T5_T6_T7_T8_P12ihipStream_tbENKUlT_T0_E_clISt17integral_constantIbLb0EES13_EEDaSY_SZ_EUlSY_E_NS1_11comp_targetILNS1_3genE9ELNS1_11target_archE1100ELNS1_3gpuE3ELNS1_3repE0EEENS1_30default_config_static_selectorELNS0_4arch9wavefront6targetE0EEEvT1_, .Lfunc_end740-_ZN7rocprim17ROCPRIM_400000_NS6detail17trampoline_kernelINS0_14default_configENS1_29reduce_by_key_config_selectorItjN6thrust23THRUST_200600_302600_NS4plusIjEEEEZZNS1_33reduce_by_key_impl_wrapped_configILNS1_25lookback_scan_determinismE0ES3_S9_NS6_6detail15normal_iteratorINS6_10device_ptrItEEEENSD_INSE_IjEEEESG_SI_PmS8_NS6_8equal_toItEEEE10hipError_tPvRmT2_T3_mT4_T5_T6_T7_T8_P12ihipStream_tbENKUlT_T0_E_clISt17integral_constantIbLb0EES13_EEDaSY_SZ_EUlSY_E_NS1_11comp_targetILNS1_3genE9ELNS1_11target_archE1100ELNS1_3gpuE3ELNS1_3repE0EEENS1_30default_config_static_selectorELNS0_4arch9wavefront6targetE0EEEvT1_
                                        ; -- End function
	.section	.AMDGPU.csdata,"",@progbits
; Kernel info:
; codeLenInByte = 18760
; NumSgprs: 46
; NumVgprs: 100
; ScratchSize: 0
; MemoryBound: 0
; FloatMode: 240
; IeeeMode: 1
; LDSByteSize: 15360 bytes/workgroup (compile time only)
; SGPRBlocks: 5
; VGPRBlocks: 12
; NumSGPRsForWavesPerEU: 46
; NumVGPRsForWavesPerEU: 100
; Occupancy: 12
; WaveLimiterHint : 1
; COMPUTE_PGM_RSRC2:SCRATCH_EN: 0
; COMPUTE_PGM_RSRC2:USER_SGPR: 15
; COMPUTE_PGM_RSRC2:TRAP_HANDLER: 0
; COMPUTE_PGM_RSRC2:TGID_X_EN: 1
; COMPUTE_PGM_RSRC2:TGID_Y_EN: 0
; COMPUTE_PGM_RSRC2:TGID_Z_EN: 0
; COMPUTE_PGM_RSRC2:TIDIG_COMP_CNT: 0
	.section	.text._ZN7rocprim17ROCPRIM_400000_NS6detail17trampoline_kernelINS0_14default_configENS1_29reduce_by_key_config_selectorItjN6thrust23THRUST_200600_302600_NS4plusIjEEEEZZNS1_33reduce_by_key_impl_wrapped_configILNS1_25lookback_scan_determinismE0ES3_S9_NS6_6detail15normal_iteratorINS6_10device_ptrItEEEENSD_INSE_IjEEEESG_SI_PmS8_NS6_8equal_toItEEEE10hipError_tPvRmT2_T3_mT4_T5_T6_T7_T8_P12ihipStream_tbENKUlT_T0_E_clISt17integral_constantIbLb0EES13_EEDaSY_SZ_EUlSY_E_NS1_11comp_targetILNS1_3genE8ELNS1_11target_archE1030ELNS1_3gpuE2ELNS1_3repE0EEENS1_30default_config_static_selectorELNS0_4arch9wavefront6targetE0EEEvT1_,"axG",@progbits,_ZN7rocprim17ROCPRIM_400000_NS6detail17trampoline_kernelINS0_14default_configENS1_29reduce_by_key_config_selectorItjN6thrust23THRUST_200600_302600_NS4plusIjEEEEZZNS1_33reduce_by_key_impl_wrapped_configILNS1_25lookback_scan_determinismE0ES3_S9_NS6_6detail15normal_iteratorINS6_10device_ptrItEEEENSD_INSE_IjEEEESG_SI_PmS8_NS6_8equal_toItEEEE10hipError_tPvRmT2_T3_mT4_T5_T6_T7_T8_P12ihipStream_tbENKUlT_T0_E_clISt17integral_constantIbLb0EES13_EEDaSY_SZ_EUlSY_E_NS1_11comp_targetILNS1_3genE8ELNS1_11target_archE1030ELNS1_3gpuE2ELNS1_3repE0EEENS1_30default_config_static_selectorELNS0_4arch9wavefront6targetE0EEEvT1_,comdat
	.protected	_ZN7rocprim17ROCPRIM_400000_NS6detail17trampoline_kernelINS0_14default_configENS1_29reduce_by_key_config_selectorItjN6thrust23THRUST_200600_302600_NS4plusIjEEEEZZNS1_33reduce_by_key_impl_wrapped_configILNS1_25lookback_scan_determinismE0ES3_S9_NS6_6detail15normal_iteratorINS6_10device_ptrItEEEENSD_INSE_IjEEEESG_SI_PmS8_NS6_8equal_toItEEEE10hipError_tPvRmT2_T3_mT4_T5_T6_T7_T8_P12ihipStream_tbENKUlT_T0_E_clISt17integral_constantIbLb0EES13_EEDaSY_SZ_EUlSY_E_NS1_11comp_targetILNS1_3genE8ELNS1_11target_archE1030ELNS1_3gpuE2ELNS1_3repE0EEENS1_30default_config_static_selectorELNS0_4arch9wavefront6targetE0EEEvT1_ ; -- Begin function _ZN7rocprim17ROCPRIM_400000_NS6detail17trampoline_kernelINS0_14default_configENS1_29reduce_by_key_config_selectorItjN6thrust23THRUST_200600_302600_NS4plusIjEEEEZZNS1_33reduce_by_key_impl_wrapped_configILNS1_25lookback_scan_determinismE0ES3_S9_NS6_6detail15normal_iteratorINS6_10device_ptrItEEEENSD_INSE_IjEEEESG_SI_PmS8_NS6_8equal_toItEEEE10hipError_tPvRmT2_T3_mT4_T5_T6_T7_T8_P12ihipStream_tbENKUlT_T0_E_clISt17integral_constantIbLb0EES13_EEDaSY_SZ_EUlSY_E_NS1_11comp_targetILNS1_3genE8ELNS1_11target_archE1030ELNS1_3gpuE2ELNS1_3repE0EEENS1_30default_config_static_selectorELNS0_4arch9wavefront6targetE0EEEvT1_
	.globl	_ZN7rocprim17ROCPRIM_400000_NS6detail17trampoline_kernelINS0_14default_configENS1_29reduce_by_key_config_selectorItjN6thrust23THRUST_200600_302600_NS4plusIjEEEEZZNS1_33reduce_by_key_impl_wrapped_configILNS1_25lookback_scan_determinismE0ES3_S9_NS6_6detail15normal_iteratorINS6_10device_ptrItEEEENSD_INSE_IjEEEESG_SI_PmS8_NS6_8equal_toItEEEE10hipError_tPvRmT2_T3_mT4_T5_T6_T7_T8_P12ihipStream_tbENKUlT_T0_E_clISt17integral_constantIbLb0EES13_EEDaSY_SZ_EUlSY_E_NS1_11comp_targetILNS1_3genE8ELNS1_11target_archE1030ELNS1_3gpuE2ELNS1_3repE0EEENS1_30default_config_static_selectorELNS0_4arch9wavefront6targetE0EEEvT1_
	.p2align	8
	.type	_ZN7rocprim17ROCPRIM_400000_NS6detail17trampoline_kernelINS0_14default_configENS1_29reduce_by_key_config_selectorItjN6thrust23THRUST_200600_302600_NS4plusIjEEEEZZNS1_33reduce_by_key_impl_wrapped_configILNS1_25lookback_scan_determinismE0ES3_S9_NS6_6detail15normal_iteratorINS6_10device_ptrItEEEENSD_INSE_IjEEEESG_SI_PmS8_NS6_8equal_toItEEEE10hipError_tPvRmT2_T3_mT4_T5_T6_T7_T8_P12ihipStream_tbENKUlT_T0_E_clISt17integral_constantIbLb0EES13_EEDaSY_SZ_EUlSY_E_NS1_11comp_targetILNS1_3genE8ELNS1_11target_archE1030ELNS1_3gpuE2ELNS1_3repE0EEENS1_30default_config_static_selectorELNS0_4arch9wavefront6targetE0EEEvT1_,@function
_ZN7rocprim17ROCPRIM_400000_NS6detail17trampoline_kernelINS0_14default_configENS1_29reduce_by_key_config_selectorItjN6thrust23THRUST_200600_302600_NS4plusIjEEEEZZNS1_33reduce_by_key_impl_wrapped_configILNS1_25lookback_scan_determinismE0ES3_S9_NS6_6detail15normal_iteratorINS6_10device_ptrItEEEENSD_INSE_IjEEEESG_SI_PmS8_NS6_8equal_toItEEEE10hipError_tPvRmT2_T3_mT4_T5_T6_T7_T8_P12ihipStream_tbENKUlT_T0_E_clISt17integral_constantIbLb0EES13_EEDaSY_SZ_EUlSY_E_NS1_11comp_targetILNS1_3genE8ELNS1_11target_archE1030ELNS1_3gpuE2ELNS1_3repE0EEENS1_30default_config_static_selectorELNS0_4arch9wavefront6targetE0EEEvT1_: ; @_ZN7rocprim17ROCPRIM_400000_NS6detail17trampoline_kernelINS0_14default_configENS1_29reduce_by_key_config_selectorItjN6thrust23THRUST_200600_302600_NS4plusIjEEEEZZNS1_33reduce_by_key_impl_wrapped_configILNS1_25lookback_scan_determinismE0ES3_S9_NS6_6detail15normal_iteratorINS6_10device_ptrItEEEENSD_INSE_IjEEEESG_SI_PmS8_NS6_8equal_toItEEEE10hipError_tPvRmT2_T3_mT4_T5_T6_T7_T8_P12ihipStream_tbENKUlT_T0_E_clISt17integral_constantIbLb0EES13_EEDaSY_SZ_EUlSY_E_NS1_11comp_targetILNS1_3genE8ELNS1_11target_archE1030ELNS1_3gpuE2ELNS1_3repE0EEENS1_30default_config_static_selectorELNS0_4arch9wavefront6targetE0EEEvT1_
; %bb.0:
	.section	.rodata,"a",@progbits
	.p2align	6, 0x0
	.amdhsa_kernel _ZN7rocprim17ROCPRIM_400000_NS6detail17trampoline_kernelINS0_14default_configENS1_29reduce_by_key_config_selectorItjN6thrust23THRUST_200600_302600_NS4plusIjEEEEZZNS1_33reduce_by_key_impl_wrapped_configILNS1_25lookback_scan_determinismE0ES3_S9_NS6_6detail15normal_iteratorINS6_10device_ptrItEEEENSD_INSE_IjEEEESG_SI_PmS8_NS6_8equal_toItEEEE10hipError_tPvRmT2_T3_mT4_T5_T6_T7_T8_P12ihipStream_tbENKUlT_T0_E_clISt17integral_constantIbLb0EES13_EEDaSY_SZ_EUlSY_E_NS1_11comp_targetILNS1_3genE8ELNS1_11target_archE1030ELNS1_3gpuE2ELNS1_3repE0EEENS1_30default_config_static_selectorELNS0_4arch9wavefront6targetE0EEEvT1_
		.amdhsa_group_segment_fixed_size 0
		.amdhsa_private_segment_fixed_size 0
		.amdhsa_kernarg_size 120
		.amdhsa_user_sgpr_count 15
		.amdhsa_user_sgpr_dispatch_ptr 0
		.amdhsa_user_sgpr_queue_ptr 0
		.amdhsa_user_sgpr_kernarg_segment_ptr 1
		.amdhsa_user_sgpr_dispatch_id 0
		.amdhsa_user_sgpr_private_segment_size 0
		.amdhsa_wavefront_size32 1
		.amdhsa_uses_dynamic_stack 0
		.amdhsa_enable_private_segment 0
		.amdhsa_system_sgpr_workgroup_id_x 1
		.amdhsa_system_sgpr_workgroup_id_y 0
		.amdhsa_system_sgpr_workgroup_id_z 0
		.amdhsa_system_sgpr_workgroup_info 0
		.amdhsa_system_vgpr_workitem_id 0
		.amdhsa_next_free_vgpr 1
		.amdhsa_next_free_sgpr 1
		.amdhsa_reserve_vcc 0
		.amdhsa_float_round_mode_32 0
		.amdhsa_float_round_mode_16_64 0
		.amdhsa_float_denorm_mode_32 3
		.amdhsa_float_denorm_mode_16_64 3
		.amdhsa_dx10_clamp 1
		.amdhsa_ieee_mode 1
		.amdhsa_fp16_overflow 0
		.amdhsa_workgroup_processor_mode 1
		.amdhsa_memory_ordered 1
		.amdhsa_forward_progress 0
		.amdhsa_shared_vgpr_count 0
		.amdhsa_exception_fp_ieee_invalid_op 0
		.amdhsa_exception_fp_denorm_src 0
		.amdhsa_exception_fp_ieee_div_zero 0
		.amdhsa_exception_fp_ieee_overflow 0
		.amdhsa_exception_fp_ieee_underflow 0
		.amdhsa_exception_fp_ieee_inexact 0
		.amdhsa_exception_int_div_zero 0
	.end_amdhsa_kernel
	.section	.text._ZN7rocprim17ROCPRIM_400000_NS6detail17trampoline_kernelINS0_14default_configENS1_29reduce_by_key_config_selectorItjN6thrust23THRUST_200600_302600_NS4plusIjEEEEZZNS1_33reduce_by_key_impl_wrapped_configILNS1_25lookback_scan_determinismE0ES3_S9_NS6_6detail15normal_iteratorINS6_10device_ptrItEEEENSD_INSE_IjEEEESG_SI_PmS8_NS6_8equal_toItEEEE10hipError_tPvRmT2_T3_mT4_T5_T6_T7_T8_P12ihipStream_tbENKUlT_T0_E_clISt17integral_constantIbLb0EES13_EEDaSY_SZ_EUlSY_E_NS1_11comp_targetILNS1_3genE8ELNS1_11target_archE1030ELNS1_3gpuE2ELNS1_3repE0EEENS1_30default_config_static_selectorELNS0_4arch9wavefront6targetE0EEEvT1_,"axG",@progbits,_ZN7rocprim17ROCPRIM_400000_NS6detail17trampoline_kernelINS0_14default_configENS1_29reduce_by_key_config_selectorItjN6thrust23THRUST_200600_302600_NS4plusIjEEEEZZNS1_33reduce_by_key_impl_wrapped_configILNS1_25lookback_scan_determinismE0ES3_S9_NS6_6detail15normal_iteratorINS6_10device_ptrItEEEENSD_INSE_IjEEEESG_SI_PmS8_NS6_8equal_toItEEEE10hipError_tPvRmT2_T3_mT4_T5_T6_T7_T8_P12ihipStream_tbENKUlT_T0_E_clISt17integral_constantIbLb0EES13_EEDaSY_SZ_EUlSY_E_NS1_11comp_targetILNS1_3genE8ELNS1_11target_archE1030ELNS1_3gpuE2ELNS1_3repE0EEENS1_30default_config_static_selectorELNS0_4arch9wavefront6targetE0EEEvT1_,comdat
.Lfunc_end741:
	.size	_ZN7rocprim17ROCPRIM_400000_NS6detail17trampoline_kernelINS0_14default_configENS1_29reduce_by_key_config_selectorItjN6thrust23THRUST_200600_302600_NS4plusIjEEEEZZNS1_33reduce_by_key_impl_wrapped_configILNS1_25lookback_scan_determinismE0ES3_S9_NS6_6detail15normal_iteratorINS6_10device_ptrItEEEENSD_INSE_IjEEEESG_SI_PmS8_NS6_8equal_toItEEEE10hipError_tPvRmT2_T3_mT4_T5_T6_T7_T8_P12ihipStream_tbENKUlT_T0_E_clISt17integral_constantIbLb0EES13_EEDaSY_SZ_EUlSY_E_NS1_11comp_targetILNS1_3genE8ELNS1_11target_archE1030ELNS1_3gpuE2ELNS1_3repE0EEENS1_30default_config_static_selectorELNS0_4arch9wavefront6targetE0EEEvT1_, .Lfunc_end741-_ZN7rocprim17ROCPRIM_400000_NS6detail17trampoline_kernelINS0_14default_configENS1_29reduce_by_key_config_selectorItjN6thrust23THRUST_200600_302600_NS4plusIjEEEEZZNS1_33reduce_by_key_impl_wrapped_configILNS1_25lookback_scan_determinismE0ES3_S9_NS6_6detail15normal_iteratorINS6_10device_ptrItEEEENSD_INSE_IjEEEESG_SI_PmS8_NS6_8equal_toItEEEE10hipError_tPvRmT2_T3_mT4_T5_T6_T7_T8_P12ihipStream_tbENKUlT_T0_E_clISt17integral_constantIbLb0EES13_EEDaSY_SZ_EUlSY_E_NS1_11comp_targetILNS1_3genE8ELNS1_11target_archE1030ELNS1_3gpuE2ELNS1_3repE0EEENS1_30default_config_static_selectorELNS0_4arch9wavefront6targetE0EEEvT1_
                                        ; -- End function
	.section	.AMDGPU.csdata,"",@progbits
; Kernel info:
; codeLenInByte = 0
; NumSgprs: 0
; NumVgprs: 0
; ScratchSize: 0
; MemoryBound: 0
; FloatMode: 240
; IeeeMode: 1
; LDSByteSize: 0 bytes/workgroup (compile time only)
; SGPRBlocks: 0
; VGPRBlocks: 0
; NumSGPRsForWavesPerEU: 1
; NumVGPRsForWavesPerEU: 1
; Occupancy: 16
; WaveLimiterHint : 0
; COMPUTE_PGM_RSRC2:SCRATCH_EN: 0
; COMPUTE_PGM_RSRC2:USER_SGPR: 15
; COMPUTE_PGM_RSRC2:TRAP_HANDLER: 0
; COMPUTE_PGM_RSRC2:TGID_X_EN: 1
; COMPUTE_PGM_RSRC2:TGID_Y_EN: 0
; COMPUTE_PGM_RSRC2:TGID_Z_EN: 0
; COMPUTE_PGM_RSRC2:TIDIG_COMP_CNT: 0
	.section	.text._ZN7rocprim17ROCPRIM_400000_NS6detail17trampoline_kernelINS0_14default_configENS1_29reduce_by_key_config_selectorItjN6thrust23THRUST_200600_302600_NS4plusIjEEEEZZNS1_33reduce_by_key_impl_wrapped_configILNS1_25lookback_scan_determinismE0ES3_S9_NS6_6detail15normal_iteratorINS6_10device_ptrItEEEENSD_INSE_IjEEEESG_SI_PmS8_NS6_8equal_toItEEEE10hipError_tPvRmT2_T3_mT4_T5_T6_T7_T8_P12ihipStream_tbENKUlT_T0_E_clISt17integral_constantIbLb1EES13_EEDaSY_SZ_EUlSY_E_NS1_11comp_targetILNS1_3genE0ELNS1_11target_archE4294967295ELNS1_3gpuE0ELNS1_3repE0EEENS1_30default_config_static_selectorELNS0_4arch9wavefront6targetE0EEEvT1_,"axG",@progbits,_ZN7rocprim17ROCPRIM_400000_NS6detail17trampoline_kernelINS0_14default_configENS1_29reduce_by_key_config_selectorItjN6thrust23THRUST_200600_302600_NS4plusIjEEEEZZNS1_33reduce_by_key_impl_wrapped_configILNS1_25lookback_scan_determinismE0ES3_S9_NS6_6detail15normal_iteratorINS6_10device_ptrItEEEENSD_INSE_IjEEEESG_SI_PmS8_NS6_8equal_toItEEEE10hipError_tPvRmT2_T3_mT4_T5_T6_T7_T8_P12ihipStream_tbENKUlT_T0_E_clISt17integral_constantIbLb1EES13_EEDaSY_SZ_EUlSY_E_NS1_11comp_targetILNS1_3genE0ELNS1_11target_archE4294967295ELNS1_3gpuE0ELNS1_3repE0EEENS1_30default_config_static_selectorELNS0_4arch9wavefront6targetE0EEEvT1_,comdat
	.protected	_ZN7rocprim17ROCPRIM_400000_NS6detail17trampoline_kernelINS0_14default_configENS1_29reduce_by_key_config_selectorItjN6thrust23THRUST_200600_302600_NS4plusIjEEEEZZNS1_33reduce_by_key_impl_wrapped_configILNS1_25lookback_scan_determinismE0ES3_S9_NS6_6detail15normal_iteratorINS6_10device_ptrItEEEENSD_INSE_IjEEEESG_SI_PmS8_NS6_8equal_toItEEEE10hipError_tPvRmT2_T3_mT4_T5_T6_T7_T8_P12ihipStream_tbENKUlT_T0_E_clISt17integral_constantIbLb1EES13_EEDaSY_SZ_EUlSY_E_NS1_11comp_targetILNS1_3genE0ELNS1_11target_archE4294967295ELNS1_3gpuE0ELNS1_3repE0EEENS1_30default_config_static_selectorELNS0_4arch9wavefront6targetE0EEEvT1_ ; -- Begin function _ZN7rocprim17ROCPRIM_400000_NS6detail17trampoline_kernelINS0_14default_configENS1_29reduce_by_key_config_selectorItjN6thrust23THRUST_200600_302600_NS4plusIjEEEEZZNS1_33reduce_by_key_impl_wrapped_configILNS1_25lookback_scan_determinismE0ES3_S9_NS6_6detail15normal_iteratorINS6_10device_ptrItEEEENSD_INSE_IjEEEESG_SI_PmS8_NS6_8equal_toItEEEE10hipError_tPvRmT2_T3_mT4_T5_T6_T7_T8_P12ihipStream_tbENKUlT_T0_E_clISt17integral_constantIbLb1EES13_EEDaSY_SZ_EUlSY_E_NS1_11comp_targetILNS1_3genE0ELNS1_11target_archE4294967295ELNS1_3gpuE0ELNS1_3repE0EEENS1_30default_config_static_selectorELNS0_4arch9wavefront6targetE0EEEvT1_
	.globl	_ZN7rocprim17ROCPRIM_400000_NS6detail17trampoline_kernelINS0_14default_configENS1_29reduce_by_key_config_selectorItjN6thrust23THRUST_200600_302600_NS4plusIjEEEEZZNS1_33reduce_by_key_impl_wrapped_configILNS1_25lookback_scan_determinismE0ES3_S9_NS6_6detail15normal_iteratorINS6_10device_ptrItEEEENSD_INSE_IjEEEESG_SI_PmS8_NS6_8equal_toItEEEE10hipError_tPvRmT2_T3_mT4_T5_T6_T7_T8_P12ihipStream_tbENKUlT_T0_E_clISt17integral_constantIbLb1EES13_EEDaSY_SZ_EUlSY_E_NS1_11comp_targetILNS1_3genE0ELNS1_11target_archE4294967295ELNS1_3gpuE0ELNS1_3repE0EEENS1_30default_config_static_selectorELNS0_4arch9wavefront6targetE0EEEvT1_
	.p2align	8
	.type	_ZN7rocprim17ROCPRIM_400000_NS6detail17trampoline_kernelINS0_14default_configENS1_29reduce_by_key_config_selectorItjN6thrust23THRUST_200600_302600_NS4plusIjEEEEZZNS1_33reduce_by_key_impl_wrapped_configILNS1_25lookback_scan_determinismE0ES3_S9_NS6_6detail15normal_iteratorINS6_10device_ptrItEEEENSD_INSE_IjEEEESG_SI_PmS8_NS6_8equal_toItEEEE10hipError_tPvRmT2_T3_mT4_T5_T6_T7_T8_P12ihipStream_tbENKUlT_T0_E_clISt17integral_constantIbLb1EES13_EEDaSY_SZ_EUlSY_E_NS1_11comp_targetILNS1_3genE0ELNS1_11target_archE4294967295ELNS1_3gpuE0ELNS1_3repE0EEENS1_30default_config_static_selectorELNS0_4arch9wavefront6targetE0EEEvT1_,@function
_ZN7rocprim17ROCPRIM_400000_NS6detail17trampoline_kernelINS0_14default_configENS1_29reduce_by_key_config_selectorItjN6thrust23THRUST_200600_302600_NS4plusIjEEEEZZNS1_33reduce_by_key_impl_wrapped_configILNS1_25lookback_scan_determinismE0ES3_S9_NS6_6detail15normal_iteratorINS6_10device_ptrItEEEENSD_INSE_IjEEEESG_SI_PmS8_NS6_8equal_toItEEEE10hipError_tPvRmT2_T3_mT4_T5_T6_T7_T8_P12ihipStream_tbENKUlT_T0_E_clISt17integral_constantIbLb1EES13_EEDaSY_SZ_EUlSY_E_NS1_11comp_targetILNS1_3genE0ELNS1_11target_archE4294967295ELNS1_3gpuE0ELNS1_3repE0EEENS1_30default_config_static_selectorELNS0_4arch9wavefront6targetE0EEEvT1_: ; @_ZN7rocprim17ROCPRIM_400000_NS6detail17trampoline_kernelINS0_14default_configENS1_29reduce_by_key_config_selectorItjN6thrust23THRUST_200600_302600_NS4plusIjEEEEZZNS1_33reduce_by_key_impl_wrapped_configILNS1_25lookback_scan_determinismE0ES3_S9_NS6_6detail15normal_iteratorINS6_10device_ptrItEEEENSD_INSE_IjEEEESG_SI_PmS8_NS6_8equal_toItEEEE10hipError_tPvRmT2_T3_mT4_T5_T6_T7_T8_P12ihipStream_tbENKUlT_T0_E_clISt17integral_constantIbLb1EES13_EEDaSY_SZ_EUlSY_E_NS1_11comp_targetILNS1_3genE0ELNS1_11target_archE4294967295ELNS1_3gpuE0ELNS1_3repE0EEENS1_30default_config_static_selectorELNS0_4arch9wavefront6targetE0EEEvT1_
; %bb.0:
	.section	.rodata,"a",@progbits
	.p2align	6, 0x0
	.amdhsa_kernel _ZN7rocprim17ROCPRIM_400000_NS6detail17trampoline_kernelINS0_14default_configENS1_29reduce_by_key_config_selectorItjN6thrust23THRUST_200600_302600_NS4plusIjEEEEZZNS1_33reduce_by_key_impl_wrapped_configILNS1_25lookback_scan_determinismE0ES3_S9_NS6_6detail15normal_iteratorINS6_10device_ptrItEEEENSD_INSE_IjEEEESG_SI_PmS8_NS6_8equal_toItEEEE10hipError_tPvRmT2_T3_mT4_T5_T6_T7_T8_P12ihipStream_tbENKUlT_T0_E_clISt17integral_constantIbLb1EES13_EEDaSY_SZ_EUlSY_E_NS1_11comp_targetILNS1_3genE0ELNS1_11target_archE4294967295ELNS1_3gpuE0ELNS1_3repE0EEENS1_30default_config_static_selectorELNS0_4arch9wavefront6targetE0EEEvT1_
		.amdhsa_group_segment_fixed_size 0
		.amdhsa_private_segment_fixed_size 0
		.amdhsa_kernarg_size 120
		.amdhsa_user_sgpr_count 15
		.amdhsa_user_sgpr_dispatch_ptr 0
		.amdhsa_user_sgpr_queue_ptr 0
		.amdhsa_user_sgpr_kernarg_segment_ptr 1
		.amdhsa_user_sgpr_dispatch_id 0
		.amdhsa_user_sgpr_private_segment_size 0
		.amdhsa_wavefront_size32 1
		.amdhsa_uses_dynamic_stack 0
		.amdhsa_enable_private_segment 0
		.amdhsa_system_sgpr_workgroup_id_x 1
		.amdhsa_system_sgpr_workgroup_id_y 0
		.amdhsa_system_sgpr_workgroup_id_z 0
		.amdhsa_system_sgpr_workgroup_info 0
		.amdhsa_system_vgpr_workitem_id 0
		.amdhsa_next_free_vgpr 1
		.amdhsa_next_free_sgpr 1
		.amdhsa_reserve_vcc 0
		.amdhsa_float_round_mode_32 0
		.amdhsa_float_round_mode_16_64 0
		.amdhsa_float_denorm_mode_32 3
		.amdhsa_float_denorm_mode_16_64 3
		.amdhsa_dx10_clamp 1
		.amdhsa_ieee_mode 1
		.amdhsa_fp16_overflow 0
		.amdhsa_workgroup_processor_mode 1
		.amdhsa_memory_ordered 1
		.amdhsa_forward_progress 0
		.amdhsa_shared_vgpr_count 0
		.amdhsa_exception_fp_ieee_invalid_op 0
		.amdhsa_exception_fp_denorm_src 0
		.amdhsa_exception_fp_ieee_div_zero 0
		.amdhsa_exception_fp_ieee_overflow 0
		.amdhsa_exception_fp_ieee_underflow 0
		.amdhsa_exception_fp_ieee_inexact 0
		.amdhsa_exception_int_div_zero 0
	.end_amdhsa_kernel
	.section	.text._ZN7rocprim17ROCPRIM_400000_NS6detail17trampoline_kernelINS0_14default_configENS1_29reduce_by_key_config_selectorItjN6thrust23THRUST_200600_302600_NS4plusIjEEEEZZNS1_33reduce_by_key_impl_wrapped_configILNS1_25lookback_scan_determinismE0ES3_S9_NS6_6detail15normal_iteratorINS6_10device_ptrItEEEENSD_INSE_IjEEEESG_SI_PmS8_NS6_8equal_toItEEEE10hipError_tPvRmT2_T3_mT4_T5_T6_T7_T8_P12ihipStream_tbENKUlT_T0_E_clISt17integral_constantIbLb1EES13_EEDaSY_SZ_EUlSY_E_NS1_11comp_targetILNS1_3genE0ELNS1_11target_archE4294967295ELNS1_3gpuE0ELNS1_3repE0EEENS1_30default_config_static_selectorELNS0_4arch9wavefront6targetE0EEEvT1_,"axG",@progbits,_ZN7rocprim17ROCPRIM_400000_NS6detail17trampoline_kernelINS0_14default_configENS1_29reduce_by_key_config_selectorItjN6thrust23THRUST_200600_302600_NS4plusIjEEEEZZNS1_33reduce_by_key_impl_wrapped_configILNS1_25lookback_scan_determinismE0ES3_S9_NS6_6detail15normal_iteratorINS6_10device_ptrItEEEENSD_INSE_IjEEEESG_SI_PmS8_NS6_8equal_toItEEEE10hipError_tPvRmT2_T3_mT4_T5_T6_T7_T8_P12ihipStream_tbENKUlT_T0_E_clISt17integral_constantIbLb1EES13_EEDaSY_SZ_EUlSY_E_NS1_11comp_targetILNS1_3genE0ELNS1_11target_archE4294967295ELNS1_3gpuE0ELNS1_3repE0EEENS1_30default_config_static_selectorELNS0_4arch9wavefront6targetE0EEEvT1_,comdat
.Lfunc_end742:
	.size	_ZN7rocprim17ROCPRIM_400000_NS6detail17trampoline_kernelINS0_14default_configENS1_29reduce_by_key_config_selectorItjN6thrust23THRUST_200600_302600_NS4plusIjEEEEZZNS1_33reduce_by_key_impl_wrapped_configILNS1_25lookback_scan_determinismE0ES3_S9_NS6_6detail15normal_iteratorINS6_10device_ptrItEEEENSD_INSE_IjEEEESG_SI_PmS8_NS6_8equal_toItEEEE10hipError_tPvRmT2_T3_mT4_T5_T6_T7_T8_P12ihipStream_tbENKUlT_T0_E_clISt17integral_constantIbLb1EES13_EEDaSY_SZ_EUlSY_E_NS1_11comp_targetILNS1_3genE0ELNS1_11target_archE4294967295ELNS1_3gpuE0ELNS1_3repE0EEENS1_30default_config_static_selectorELNS0_4arch9wavefront6targetE0EEEvT1_, .Lfunc_end742-_ZN7rocprim17ROCPRIM_400000_NS6detail17trampoline_kernelINS0_14default_configENS1_29reduce_by_key_config_selectorItjN6thrust23THRUST_200600_302600_NS4plusIjEEEEZZNS1_33reduce_by_key_impl_wrapped_configILNS1_25lookback_scan_determinismE0ES3_S9_NS6_6detail15normal_iteratorINS6_10device_ptrItEEEENSD_INSE_IjEEEESG_SI_PmS8_NS6_8equal_toItEEEE10hipError_tPvRmT2_T3_mT4_T5_T6_T7_T8_P12ihipStream_tbENKUlT_T0_E_clISt17integral_constantIbLb1EES13_EEDaSY_SZ_EUlSY_E_NS1_11comp_targetILNS1_3genE0ELNS1_11target_archE4294967295ELNS1_3gpuE0ELNS1_3repE0EEENS1_30default_config_static_selectorELNS0_4arch9wavefront6targetE0EEEvT1_
                                        ; -- End function
	.section	.AMDGPU.csdata,"",@progbits
; Kernel info:
; codeLenInByte = 0
; NumSgprs: 0
; NumVgprs: 0
; ScratchSize: 0
; MemoryBound: 0
; FloatMode: 240
; IeeeMode: 1
; LDSByteSize: 0 bytes/workgroup (compile time only)
; SGPRBlocks: 0
; VGPRBlocks: 0
; NumSGPRsForWavesPerEU: 1
; NumVGPRsForWavesPerEU: 1
; Occupancy: 16
; WaveLimiterHint : 0
; COMPUTE_PGM_RSRC2:SCRATCH_EN: 0
; COMPUTE_PGM_RSRC2:USER_SGPR: 15
; COMPUTE_PGM_RSRC2:TRAP_HANDLER: 0
; COMPUTE_PGM_RSRC2:TGID_X_EN: 1
; COMPUTE_PGM_RSRC2:TGID_Y_EN: 0
; COMPUTE_PGM_RSRC2:TGID_Z_EN: 0
; COMPUTE_PGM_RSRC2:TIDIG_COMP_CNT: 0
	.section	.text._ZN7rocprim17ROCPRIM_400000_NS6detail17trampoline_kernelINS0_14default_configENS1_29reduce_by_key_config_selectorItjN6thrust23THRUST_200600_302600_NS4plusIjEEEEZZNS1_33reduce_by_key_impl_wrapped_configILNS1_25lookback_scan_determinismE0ES3_S9_NS6_6detail15normal_iteratorINS6_10device_ptrItEEEENSD_INSE_IjEEEESG_SI_PmS8_NS6_8equal_toItEEEE10hipError_tPvRmT2_T3_mT4_T5_T6_T7_T8_P12ihipStream_tbENKUlT_T0_E_clISt17integral_constantIbLb1EES13_EEDaSY_SZ_EUlSY_E_NS1_11comp_targetILNS1_3genE5ELNS1_11target_archE942ELNS1_3gpuE9ELNS1_3repE0EEENS1_30default_config_static_selectorELNS0_4arch9wavefront6targetE0EEEvT1_,"axG",@progbits,_ZN7rocprim17ROCPRIM_400000_NS6detail17trampoline_kernelINS0_14default_configENS1_29reduce_by_key_config_selectorItjN6thrust23THRUST_200600_302600_NS4plusIjEEEEZZNS1_33reduce_by_key_impl_wrapped_configILNS1_25lookback_scan_determinismE0ES3_S9_NS6_6detail15normal_iteratorINS6_10device_ptrItEEEENSD_INSE_IjEEEESG_SI_PmS8_NS6_8equal_toItEEEE10hipError_tPvRmT2_T3_mT4_T5_T6_T7_T8_P12ihipStream_tbENKUlT_T0_E_clISt17integral_constantIbLb1EES13_EEDaSY_SZ_EUlSY_E_NS1_11comp_targetILNS1_3genE5ELNS1_11target_archE942ELNS1_3gpuE9ELNS1_3repE0EEENS1_30default_config_static_selectorELNS0_4arch9wavefront6targetE0EEEvT1_,comdat
	.protected	_ZN7rocprim17ROCPRIM_400000_NS6detail17trampoline_kernelINS0_14default_configENS1_29reduce_by_key_config_selectorItjN6thrust23THRUST_200600_302600_NS4plusIjEEEEZZNS1_33reduce_by_key_impl_wrapped_configILNS1_25lookback_scan_determinismE0ES3_S9_NS6_6detail15normal_iteratorINS6_10device_ptrItEEEENSD_INSE_IjEEEESG_SI_PmS8_NS6_8equal_toItEEEE10hipError_tPvRmT2_T3_mT4_T5_T6_T7_T8_P12ihipStream_tbENKUlT_T0_E_clISt17integral_constantIbLb1EES13_EEDaSY_SZ_EUlSY_E_NS1_11comp_targetILNS1_3genE5ELNS1_11target_archE942ELNS1_3gpuE9ELNS1_3repE0EEENS1_30default_config_static_selectorELNS0_4arch9wavefront6targetE0EEEvT1_ ; -- Begin function _ZN7rocprim17ROCPRIM_400000_NS6detail17trampoline_kernelINS0_14default_configENS1_29reduce_by_key_config_selectorItjN6thrust23THRUST_200600_302600_NS4plusIjEEEEZZNS1_33reduce_by_key_impl_wrapped_configILNS1_25lookback_scan_determinismE0ES3_S9_NS6_6detail15normal_iteratorINS6_10device_ptrItEEEENSD_INSE_IjEEEESG_SI_PmS8_NS6_8equal_toItEEEE10hipError_tPvRmT2_T3_mT4_T5_T6_T7_T8_P12ihipStream_tbENKUlT_T0_E_clISt17integral_constantIbLb1EES13_EEDaSY_SZ_EUlSY_E_NS1_11comp_targetILNS1_3genE5ELNS1_11target_archE942ELNS1_3gpuE9ELNS1_3repE0EEENS1_30default_config_static_selectorELNS0_4arch9wavefront6targetE0EEEvT1_
	.globl	_ZN7rocprim17ROCPRIM_400000_NS6detail17trampoline_kernelINS0_14default_configENS1_29reduce_by_key_config_selectorItjN6thrust23THRUST_200600_302600_NS4plusIjEEEEZZNS1_33reduce_by_key_impl_wrapped_configILNS1_25lookback_scan_determinismE0ES3_S9_NS6_6detail15normal_iteratorINS6_10device_ptrItEEEENSD_INSE_IjEEEESG_SI_PmS8_NS6_8equal_toItEEEE10hipError_tPvRmT2_T3_mT4_T5_T6_T7_T8_P12ihipStream_tbENKUlT_T0_E_clISt17integral_constantIbLb1EES13_EEDaSY_SZ_EUlSY_E_NS1_11comp_targetILNS1_3genE5ELNS1_11target_archE942ELNS1_3gpuE9ELNS1_3repE0EEENS1_30default_config_static_selectorELNS0_4arch9wavefront6targetE0EEEvT1_
	.p2align	8
	.type	_ZN7rocprim17ROCPRIM_400000_NS6detail17trampoline_kernelINS0_14default_configENS1_29reduce_by_key_config_selectorItjN6thrust23THRUST_200600_302600_NS4plusIjEEEEZZNS1_33reduce_by_key_impl_wrapped_configILNS1_25lookback_scan_determinismE0ES3_S9_NS6_6detail15normal_iteratorINS6_10device_ptrItEEEENSD_INSE_IjEEEESG_SI_PmS8_NS6_8equal_toItEEEE10hipError_tPvRmT2_T3_mT4_T5_T6_T7_T8_P12ihipStream_tbENKUlT_T0_E_clISt17integral_constantIbLb1EES13_EEDaSY_SZ_EUlSY_E_NS1_11comp_targetILNS1_3genE5ELNS1_11target_archE942ELNS1_3gpuE9ELNS1_3repE0EEENS1_30default_config_static_selectorELNS0_4arch9wavefront6targetE0EEEvT1_,@function
_ZN7rocprim17ROCPRIM_400000_NS6detail17trampoline_kernelINS0_14default_configENS1_29reduce_by_key_config_selectorItjN6thrust23THRUST_200600_302600_NS4plusIjEEEEZZNS1_33reduce_by_key_impl_wrapped_configILNS1_25lookback_scan_determinismE0ES3_S9_NS6_6detail15normal_iteratorINS6_10device_ptrItEEEENSD_INSE_IjEEEESG_SI_PmS8_NS6_8equal_toItEEEE10hipError_tPvRmT2_T3_mT4_T5_T6_T7_T8_P12ihipStream_tbENKUlT_T0_E_clISt17integral_constantIbLb1EES13_EEDaSY_SZ_EUlSY_E_NS1_11comp_targetILNS1_3genE5ELNS1_11target_archE942ELNS1_3gpuE9ELNS1_3repE0EEENS1_30default_config_static_selectorELNS0_4arch9wavefront6targetE0EEEvT1_: ; @_ZN7rocprim17ROCPRIM_400000_NS6detail17trampoline_kernelINS0_14default_configENS1_29reduce_by_key_config_selectorItjN6thrust23THRUST_200600_302600_NS4plusIjEEEEZZNS1_33reduce_by_key_impl_wrapped_configILNS1_25lookback_scan_determinismE0ES3_S9_NS6_6detail15normal_iteratorINS6_10device_ptrItEEEENSD_INSE_IjEEEESG_SI_PmS8_NS6_8equal_toItEEEE10hipError_tPvRmT2_T3_mT4_T5_T6_T7_T8_P12ihipStream_tbENKUlT_T0_E_clISt17integral_constantIbLb1EES13_EEDaSY_SZ_EUlSY_E_NS1_11comp_targetILNS1_3genE5ELNS1_11target_archE942ELNS1_3gpuE9ELNS1_3repE0EEENS1_30default_config_static_selectorELNS0_4arch9wavefront6targetE0EEEvT1_
; %bb.0:
	.section	.rodata,"a",@progbits
	.p2align	6, 0x0
	.amdhsa_kernel _ZN7rocprim17ROCPRIM_400000_NS6detail17trampoline_kernelINS0_14default_configENS1_29reduce_by_key_config_selectorItjN6thrust23THRUST_200600_302600_NS4plusIjEEEEZZNS1_33reduce_by_key_impl_wrapped_configILNS1_25lookback_scan_determinismE0ES3_S9_NS6_6detail15normal_iteratorINS6_10device_ptrItEEEENSD_INSE_IjEEEESG_SI_PmS8_NS6_8equal_toItEEEE10hipError_tPvRmT2_T3_mT4_T5_T6_T7_T8_P12ihipStream_tbENKUlT_T0_E_clISt17integral_constantIbLb1EES13_EEDaSY_SZ_EUlSY_E_NS1_11comp_targetILNS1_3genE5ELNS1_11target_archE942ELNS1_3gpuE9ELNS1_3repE0EEENS1_30default_config_static_selectorELNS0_4arch9wavefront6targetE0EEEvT1_
		.amdhsa_group_segment_fixed_size 0
		.amdhsa_private_segment_fixed_size 0
		.amdhsa_kernarg_size 120
		.amdhsa_user_sgpr_count 15
		.amdhsa_user_sgpr_dispatch_ptr 0
		.amdhsa_user_sgpr_queue_ptr 0
		.amdhsa_user_sgpr_kernarg_segment_ptr 1
		.amdhsa_user_sgpr_dispatch_id 0
		.amdhsa_user_sgpr_private_segment_size 0
		.amdhsa_wavefront_size32 1
		.amdhsa_uses_dynamic_stack 0
		.amdhsa_enable_private_segment 0
		.amdhsa_system_sgpr_workgroup_id_x 1
		.amdhsa_system_sgpr_workgroup_id_y 0
		.amdhsa_system_sgpr_workgroup_id_z 0
		.amdhsa_system_sgpr_workgroup_info 0
		.amdhsa_system_vgpr_workitem_id 0
		.amdhsa_next_free_vgpr 1
		.amdhsa_next_free_sgpr 1
		.amdhsa_reserve_vcc 0
		.amdhsa_float_round_mode_32 0
		.amdhsa_float_round_mode_16_64 0
		.amdhsa_float_denorm_mode_32 3
		.amdhsa_float_denorm_mode_16_64 3
		.amdhsa_dx10_clamp 1
		.amdhsa_ieee_mode 1
		.amdhsa_fp16_overflow 0
		.amdhsa_workgroup_processor_mode 1
		.amdhsa_memory_ordered 1
		.amdhsa_forward_progress 0
		.amdhsa_shared_vgpr_count 0
		.amdhsa_exception_fp_ieee_invalid_op 0
		.amdhsa_exception_fp_denorm_src 0
		.amdhsa_exception_fp_ieee_div_zero 0
		.amdhsa_exception_fp_ieee_overflow 0
		.amdhsa_exception_fp_ieee_underflow 0
		.amdhsa_exception_fp_ieee_inexact 0
		.amdhsa_exception_int_div_zero 0
	.end_amdhsa_kernel
	.section	.text._ZN7rocprim17ROCPRIM_400000_NS6detail17trampoline_kernelINS0_14default_configENS1_29reduce_by_key_config_selectorItjN6thrust23THRUST_200600_302600_NS4plusIjEEEEZZNS1_33reduce_by_key_impl_wrapped_configILNS1_25lookback_scan_determinismE0ES3_S9_NS6_6detail15normal_iteratorINS6_10device_ptrItEEEENSD_INSE_IjEEEESG_SI_PmS8_NS6_8equal_toItEEEE10hipError_tPvRmT2_T3_mT4_T5_T6_T7_T8_P12ihipStream_tbENKUlT_T0_E_clISt17integral_constantIbLb1EES13_EEDaSY_SZ_EUlSY_E_NS1_11comp_targetILNS1_3genE5ELNS1_11target_archE942ELNS1_3gpuE9ELNS1_3repE0EEENS1_30default_config_static_selectorELNS0_4arch9wavefront6targetE0EEEvT1_,"axG",@progbits,_ZN7rocprim17ROCPRIM_400000_NS6detail17trampoline_kernelINS0_14default_configENS1_29reduce_by_key_config_selectorItjN6thrust23THRUST_200600_302600_NS4plusIjEEEEZZNS1_33reduce_by_key_impl_wrapped_configILNS1_25lookback_scan_determinismE0ES3_S9_NS6_6detail15normal_iteratorINS6_10device_ptrItEEEENSD_INSE_IjEEEESG_SI_PmS8_NS6_8equal_toItEEEE10hipError_tPvRmT2_T3_mT4_T5_T6_T7_T8_P12ihipStream_tbENKUlT_T0_E_clISt17integral_constantIbLb1EES13_EEDaSY_SZ_EUlSY_E_NS1_11comp_targetILNS1_3genE5ELNS1_11target_archE942ELNS1_3gpuE9ELNS1_3repE0EEENS1_30default_config_static_selectorELNS0_4arch9wavefront6targetE0EEEvT1_,comdat
.Lfunc_end743:
	.size	_ZN7rocprim17ROCPRIM_400000_NS6detail17trampoline_kernelINS0_14default_configENS1_29reduce_by_key_config_selectorItjN6thrust23THRUST_200600_302600_NS4plusIjEEEEZZNS1_33reduce_by_key_impl_wrapped_configILNS1_25lookback_scan_determinismE0ES3_S9_NS6_6detail15normal_iteratorINS6_10device_ptrItEEEENSD_INSE_IjEEEESG_SI_PmS8_NS6_8equal_toItEEEE10hipError_tPvRmT2_T3_mT4_T5_T6_T7_T8_P12ihipStream_tbENKUlT_T0_E_clISt17integral_constantIbLb1EES13_EEDaSY_SZ_EUlSY_E_NS1_11comp_targetILNS1_3genE5ELNS1_11target_archE942ELNS1_3gpuE9ELNS1_3repE0EEENS1_30default_config_static_selectorELNS0_4arch9wavefront6targetE0EEEvT1_, .Lfunc_end743-_ZN7rocprim17ROCPRIM_400000_NS6detail17trampoline_kernelINS0_14default_configENS1_29reduce_by_key_config_selectorItjN6thrust23THRUST_200600_302600_NS4plusIjEEEEZZNS1_33reduce_by_key_impl_wrapped_configILNS1_25lookback_scan_determinismE0ES3_S9_NS6_6detail15normal_iteratorINS6_10device_ptrItEEEENSD_INSE_IjEEEESG_SI_PmS8_NS6_8equal_toItEEEE10hipError_tPvRmT2_T3_mT4_T5_T6_T7_T8_P12ihipStream_tbENKUlT_T0_E_clISt17integral_constantIbLb1EES13_EEDaSY_SZ_EUlSY_E_NS1_11comp_targetILNS1_3genE5ELNS1_11target_archE942ELNS1_3gpuE9ELNS1_3repE0EEENS1_30default_config_static_selectorELNS0_4arch9wavefront6targetE0EEEvT1_
                                        ; -- End function
	.section	.AMDGPU.csdata,"",@progbits
; Kernel info:
; codeLenInByte = 0
; NumSgprs: 0
; NumVgprs: 0
; ScratchSize: 0
; MemoryBound: 0
; FloatMode: 240
; IeeeMode: 1
; LDSByteSize: 0 bytes/workgroup (compile time only)
; SGPRBlocks: 0
; VGPRBlocks: 0
; NumSGPRsForWavesPerEU: 1
; NumVGPRsForWavesPerEU: 1
; Occupancy: 16
; WaveLimiterHint : 0
; COMPUTE_PGM_RSRC2:SCRATCH_EN: 0
; COMPUTE_PGM_RSRC2:USER_SGPR: 15
; COMPUTE_PGM_RSRC2:TRAP_HANDLER: 0
; COMPUTE_PGM_RSRC2:TGID_X_EN: 1
; COMPUTE_PGM_RSRC2:TGID_Y_EN: 0
; COMPUTE_PGM_RSRC2:TGID_Z_EN: 0
; COMPUTE_PGM_RSRC2:TIDIG_COMP_CNT: 0
	.section	.text._ZN7rocprim17ROCPRIM_400000_NS6detail17trampoline_kernelINS0_14default_configENS1_29reduce_by_key_config_selectorItjN6thrust23THRUST_200600_302600_NS4plusIjEEEEZZNS1_33reduce_by_key_impl_wrapped_configILNS1_25lookback_scan_determinismE0ES3_S9_NS6_6detail15normal_iteratorINS6_10device_ptrItEEEENSD_INSE_IjEEEESG_SI_PmS8_NS6_8equal_toItEEEE10hipError_tPvRmT2_T3_mT4_T5_T6_T7_T8_P12ihipStream_tbENKUlT_T0_E_clISt17integral_constantIbLb1EES13_EEDaSY_SZ_EUlSY_E_NS1_11comp_targetILNS1_3genE4ELNS1_11target_archE910ELNS1_3gpuE8ELNS1_3repE0EEENS1_30default_config_static_selectorELNS0_4arch9wavefront6targetE0EEEvT1_,"axG",@progbits,_ZN7rocprim17ROCPRIM_400000_NS6detail17trampoline_kernelINS0_14default_configENS1_29reduce_by_key_config_selectorItjN6thrust23THRUST_200600_302600_NS4plusIjEEEEZZNS1_33reduce_by_key_impl_wrapped_configILNS1_25lookback_scan_determinismE0ES3_S9_NS6_6detail15normal_iteratorINS6_10device_ptrItEEEENSD_INSE_IjEEEESG_SI_PmS8_NS6_8equal_toItEEEE10hipError_tPvRmT2_T3_mT4_T5_T6_T7_T8_P12ihipStream_tbENKUlT_T0_E_clISt17integral_constantIbLb1EES13_EEDaSY_SZ_EUlSY_E_NS1_11comp_targetILNS1_3genE4ELNS1_11target_archE910ELNS1_3gpuE8ELNS1_3repE0EEENS1_30default_config_static_selectorELNS0_4arch9wavefront6targetE0EEEvT1_,comdat
	.protected	_ZN7rocprim17ROCPRIM_400000_NS6detail17trampoline_kernelINS0_14default_configENS1_29reduce_by_key_config_selectorItjN6thrust23THRUST_200600_302600_NS4plusIjEEEEZZNS1_33reduce_by_key_impl_wrapped_configILNS1_25lookback_scan_determinismE0ES3_S9_NS6_6detail15normal_iteratorINS6_10device_ptrItEEEENSD_INSE_IjEEEESG_SI_PmS8_NS6_8equal_toItEEEE10hipError_tPvRmT2_T3_mT4_T5_T6_T7_T8_P12ihipStream_tbENKUlT_T0_E_clISt17integral_constantIbLb1EES13_EEDaSY_SZ_EUlSY_E_NS1_11comp_targetILNS1_3genE4ELNS1_11target_archE910ELNS1_3gpuE8ELNS1_3repE0EEENS1_30default_config_static_selectorELNS0_4arch9wavefront6targetE0EEEvT1_ ; -- Begin function _ZN7rocprim17ROCPRIM_400000_NS6detail17trampoline_kernelINS0_14default_configENS1_29reduce_by_key_config_selectorItjN6thrust23THRUST_200600_302600_NS4plusIjEEEEZZNS1_33reduce_by_key_impl_wrapped_configILNS1_25lookback_scan_determinismE0ES3_S9_NS6_6detail15normal_iteratorINS6_10device_ptrItEEEENSD_INSE_IjEEEESG_SI_PmS8_NS6_8equal_toItEEEE10hipError_tPvRmT2_T3_mT4_T5_T6_T7_T8_P12ihipStream_tbENKUlT_T0_E_clISt17integral_constantIbLb1EES13_EEDaSY_SZ_EUlSY_E_NS1_11comp_targetILNS1_3genE4ELNS1_11target_archE910ELNS1_3gpuE8ELNS1_3repE0EEENS1_30default_config_static_selectorELNS0_4arch9wavefront6targetE0EEEvT1_
	.globl	_ZN7rocprim17ROCPRIM_400000_NS6detail17trampoline_kernelINS0_14default_configENS1_29reduce_by_key_config_selectorItjN6thrust23THRUST_200600_302600_NS4plusIjEEEEZZNS1_33reduce_by_key_impl_wrapped_configILNS1_25lookback_scan_determinismE0ES3_S9_NS6_6detail15normal_iteratorINS6_10device_ptrItEEEENSD_INSE_IjEEEESG_SI_PmS8_NS6_8equal_toItEEEE10hipError_tPvRmT2_T3_mT4_T5_T6_T7_T8_P12ihipStream_tbENKUlT_T0_E_clISt17integral_constantIbLb1EES13_EEDaSY_SZ_EUlSY_E_NS1_11comp_targetILNS1_3genE4ELNS1_11target_archE910ELNS1_3gpuE8ELNS1_3repE0EEENS1_30default_config_static_selectorELNS0_4arch9wavefront6targetE0EEEvT1_
	.p2align	8
	.type	_ZN7rocprim17ROCPRIM_400000_NS6detail17trampoline_kernelINS0_14default_configENS1_29reduce_by_key_config_selectorItjN6thrust23THRUST_200600_302600_NS4plusIjEEEEZZNS1_33reduce_by_key_impl_wrapped_configILNS1_25lookback_scan_determinismE0ES3_S9_NS6_6detail15normal_iteratorINS6_10device_ptrItEEEENSD_INSE_IjEEEESG_SI_PmS8_NS6_8equal_toItEEEE10hipError_tPvRmT2_T3_mT4_T5_T6_T7_T8_P12ihipStream_tbENKUlT_T0_E_clISt17integral_constantIbLb1EES13_EEDaSY_SZ_EUlSY_E_NS1_11comp_targetILNS1_3genE4ELNS1_11target_archE910ELNS1_3gpuE8ELNS1_3repE0EEENS1_30default_config_static_selectorELNS0_4arch9wavefront6targetE0EEEvT1_,@function
_ZN7rocprim17ROCPRIM_400000_NS6detail17trampoline_kernelINS0_14default_configENS1_29reduce_by_key_config_selectorItjN6thrust23THRUST_200600_302600_NS4plusIjEEEEZZNS1_33reduce_by_key_impl_wrapped_configILNS1_25lookback_scan_determinismE0ES3_S9_NS6_6detail15normal_iteratorINS6_10device_ptrItEEEENSD_INSE_IjEEEESG_SI_PmS8_NS6_8equal_toItEEEE10hipError_tPvRmT2_T3_mT4_T5_T6_T7_T8_P12ihipStream_tbENKUlT_T0_E_clISt17integral_constantIbLb1EES13_EEDaSY_SZ_EUlSY_E_NS1_11comp_targetILNS1_3genE4ELNS1_11target_archE910ELNS1_3gpuE8ELNS1_3repE0EEENS1_30default_config_static_selectorELNS0_4arch9wavefront6targetE0EEEvT1_: ; @_ZN7rocprim17ROCPRIM_400000_NS6detail17trampoline_kernelINS0_14default_configENS1_29reduce_by_key_config_selectorItjN6thrust23THRUST_200600_302600_NS4plusIjEEEEZZNS1_33reduce_by_key_impl_wrapped_configILNS1_25lookback_scan_determinismE0ES3_S9_NS6_6detail15normal_iteratorINS6_10device_ptrItEEEENSD_INSE_IjEEEESG_SI_PmS8_NS6_8equal_toItEEEE10hipError_tPvRmT2_T3_mT4_T5_T6_T7_T8_P12ihipStream_tbENKUlT_T0_E_clISt17integral_constantIbLb1EES13_EEDaSY_SZ_EUlSY_E_NS1_11comp_targetILNS1_3genE4ELNS1_11target_archE910ELNS1_3gpuE8ELNS1_3repE0EEENS1_30default_config_static_selectorELNS0_4arch9wavefront6targetE0EEEvT1_
; %bb.0:
	.section	.rodata,"a",@progbits
	.p2align	6, 0x0
	.amdhsa_kernel _ZN7rocprim17ROCPRIM_400000_NS6detail17trampoline_kernelINS0_14default_configENS1_29reduce_by_key_config_selectorItjN6thrust23THRUST_200600_302600_NS4plusIjEEEEZZNS1_33reduce_by_key_impl_wrapped_configILNS1_25lookback_scan_determinismE0ES3_S9_NS6_6detail15normal_iteratorINS6_10device_ptrItEEEENSD_INSE_IjEEEESG_SI_PmS8_NS6_8equal_toItEEEE10hipError_tPvRmT2_T3_mT4_T5_T6_T7_T8_P12ihipStream_tbENKUlT_T0_E_clISt17integral_constantIbLb1EES13_EEDaSY_SZ_EUlSY_E_NS1_11comp_targetILNS1_3genE4ELNS1_11target_archE910ELNS1_3gpuE8ELNS1_3repE0EEENS1_30default_config_static_selectorELNS0_4arch9wavefront6targetE0EEEvT1_
		.amdhsa_group_segment_fixed_size 0
		.amdhsa_private_segment_fixed_size 0
		.amdhsa_kernarg_size 120
		.amdhsa_user_sgpr_count 15
		.amdhsa_user_sgpr_dispatch_ptr 0
		.amdhsa_user_sgpr_queue_ptr 0
		.amdhsa_user_sgpr_kernarg_segment_ptr 1
		.amdhsa_user_sgpr_dispatch_id 0
		.amdhsa_user_sgpr_private_segment_size 0
		.amdhsa_wavefront_size32 1
		.amdhsa_uses_dynamic_stack 0
		.amdhsa_enable_private_segment 0
		.amdhsa_system_sgpr_workgroup_id_x 1
		.amdhsa_system_sgpr_workgroup_id_y 0
		.amdhsa_system_sgpr_workgroup_id_z 0
		.amdhsa_system_sgpr_workgroup_info 0
		.amdhsa_system_vgpr_workitem_id 0
		.amdhsa_next_free_vgpr 1
		.amdhsa_next_free_sgpr 1
		.amdhsa_reserve_vcc 0
		.amdhsa_float_round_mode_32 0
		.amdhsa_float_round_mode_16_64 0
		.amdhsa_float_denorm_mode_32 3
		.amdhsa_float_denorm_mode_16_64 3
		.amdhsa_dx10_clamp 1
		.amdhsa_ieee_mode 1
		.amdhsa_fp16_overflow 0
		.amdhsa_workgroup_processor_mode 1
		.amdhsa_memory_ordered 1
		.amdhsa_forward_progress 0
		.amdhsa_shared_vgpr_count 0
		.amdhsa_exception_fp_ieee_invalid_op 0
		.amdhsa_exception_fp_denorm_src 0
		.amdhsa_exception_fp_ieee_div_zero 0
		.amdhsa_exception_fp_ieee_overflow 0
		.amdhsa_exception_fp_ieee_underflow 0
		.amdhsa_exception_fp_ieee_inexact 0
		.amdhsa_exception_int_div_zero 0
	.end_amdhsa_kernel
	.section	.text._ZN7rocprim17ROCPRIM_400000_NS6detail17trampoline_kernelINS0_14default_configENS1_29reduce_by_key_config_selectorItjN6thrust23THRUST_200600_302600_NS4plusIjEEEEZZNS1_33reduce_by_key_impl_wrapped_configILNS1_25lookback_scan_determinismE0ES3_S9_NS6_6detail15normal_iteratorINS6_10device_ptrItEEEENSD_INSE_IjEEEESG_SI_PmS8_NS6_8equal_toItEEEE10hipError_tPvRmT2_T3_mT4_T5_T6_T7_T8_P12ihipStream_tbENKUlT_T0_E_clISt17integral_constantIbLb1EES13_EEDaSY_SZ_EUlSY_E_NS1_11comp_targetILNS1_3genE4ELNS1_11target_archE910ELNS1_3gpuE8ELNS1_3repE0EEENS1_30default_config_static_selectorELNS0_4arch9wavefront6targetE0EEEvT1_,"axG",@progbits,_ZN7rocprim17ROCPRIM_400000_NS6detail17trampoline_kernelINS0_14default_configENS1_29reduce_by_key_config_selectorItjN6thrust23THRUST_200600_302600_NS4plusIjEEEEZZNS1_33reduce_by_key_impl_wrapped_configILNS1_25lookback_scan_determinismE0ES3_S9_NS6_6detail15normal_iteratorINS6_10device_ptrItEEEENSD_INSE_IjEEEESG_SI_PmS8_NS6_8equal_toItEEEE10hipError_tPvRmT2_T3_mT4_T5_T6_T7_T8_P12ihipStream_tbENKUlT_T0_E_clISt17integral_constantIbLb1EES13_EEDaSY_SZ_EUlSY_E_NS1_11comp_targetILNS1_3genE4ELNS1_11target_archE910ELNS1_3gpuE8ELNS1_3repE0EEENS1_30default_config_static_selectorELNS0_4arch9wavefront6targetE0EEEvT1_,comdat
.Lfunc_end744:
	.size	_ZN7rocprim17ROCPRIM_400000_NS6detail17trampoline_kernelINS0_14default_configENS1_29reduce_by_key_config_selectorItjN6thrust23THRUST_200600_302600_NS4plusIjEEEEZZNS1_33reduce_by_key_impl_wrapped_configILNS1_25lookback_scan_determinismE0ES3_S9_NS6_6detail15normal_iteratorINS6_10device_ptrItEEEENSD_INSE_IjEEEESG_SI_PmS8_NS6_8equal_toItEEEE10hipError_tPvRmT2_T3_mT4_T5_T6_T7_T8_P12ihipStream_tbENKUlT_T0_E_clISt17integral_constantIbLb1EES13_EEDaSY_SZ_EUlSY_E_NS1_11comp_targetILNS1_3genE4ELNS1_11target_archE910ELNS1_3gpuE8ELNS1_3repE0EEENS1_30default_config_static_selectorELNS0_4arch9wavefront6targetE0EEEvT1_, .Lfunc_end744-_ZN7rocprim17ROCPRIM_400000_NS6detail17trampoline_kernelINS0_14default_configENS1_29reduce_by_key_config_selectorItjN6thrust23THRUST_200600_302600_NS4plusIjEEEEZZNS1_33reduce_by_key_impl_wrapped_configILNS1_25lookback_scan_determinismE0ES3_S9_NS6_6detail15normal_iteratorINS6_10device_ptrItEEEENSD_INSE_IjEEEESG_SI_PmS8_NS6_8equal_toItEEEE10hipError_tPvRmT2_T3_mT4_T5_T6_T7_T8_P12ihipStream_tbENKUlT_T0_E_clISt17integral_constantIbLb1EES13_EEDaSY_SZ_EUlSY_E_NS1_11comp_targetILNS1_3genE4ELNS1_11target_archE910ELNS1_3gpuE8ELNS1_3repE0EEENS1_30default_config_static_selectorELNS0_4arch9wavefront6targetE0EEEvT1_
                                        ; -- End function
	.section	.AMDGPU.csdata,"",@progbits
; Kernel info:
; codeLenInByte = 0
; NumSgprs: 0
; NumVgprs: 0
; ScratchSize: 0
; MemoryBound: 0
; FloatMode: 240
; IeeeMode: 1
; LDSByteSize: 0 bytes/workgroup (compile time only)
; SGPRBlocks: 0
; VGPRBlocks: 0
; NumSGPRsForWavesPerEU: 1
; NumVGPRsForWavesPerEU: 1
; Occupancy: 16
; WaveLimiterHint : 0
; COMPUTE_PGM_RSRC2:SCRATCH_EN: 0
; COMPUTE_PGM_RSRC2:USER_SGPR: 15
; COMPUTE_PGM_RSRC2:TRAP_HANDLER: 0
; COMPUTE_PGM_RSRC2:TGID_X_EN: 1
; COMPUTE_PGM_RSRC2:TGID_Y_EN: 0
; COMPUTE_PGM_RSRC2:TGID_Z_EN: 0
; COMPUTE_PGM_RSRC2:TIDIG_COMP_CNT: 0
	.section	.text._ZN7rocprim17ROCPRIM_400000_NS6detail17trampoline_kernelINS0_14default_configENS1_29reduce_by_key_config_selectorItjN6thrust23THRUST_200600_302600_NS4plusIjEEEEZZNS1_33reduce_by_key_impl_wrapped_configILNS1_25lookback_scan_determinismE0ES3_S9_NS6_6detail15normal_iteratorINS6_10device_ptrItEEEENSD_INSE_IjEEEESG_SI_PmS8_NS6_8equal_toItEEEE10hipError_tPvRmT2_T3_mT4_T5_T6_T7_T8_P12ihipStream_tbENKUlT_T0_E_clISt17integral_constantIbLb1EES13_EEDaSY_SZ_EUlSY_E_NS1_11comp_targetILNS1_3genE3ELNS1_11target_archE908ELNS1_3gpuE7ELNS1_3repE0EEENS1_30default_config_static_selectorELNS0_4arch9wavefront6targetE0EEEvT1_,"axG",@progbits,_ZN7rocprim17ROCPRIM_400000_NS6detail17trampoline_kernelINS0_14default_configENS1_29reduce_by_key_config_selectorItjN6thrust23THRUST_200600_302600_NS4plusIjEEEEZZNS1_33reduce_by_key_impl_wrapped_configILNS1_25lookback_scan_determinismE0ES3_S9_NS6_6detail15normal_iteratorINS6_10device_ptrItEEEENSD_INSE_IjEEEESG_SI_PmS8_NS6_8equal_toItEEEE10hipError_tPvRmT2_T3_mT4_T5_T6_T7_T8_P12ihipStream_tbENKUlT_T0_E_clISt17integral_constantIbLb1EES13_EEDaSY_SZ_EUlSY_E_NS1_11comp_targetILNS1_3genE3ELNS1_11target_archE908ELNS1_3gpuE7ELNS1_3repE0EEENS1_30default_config_static_selectorELNS0_4arch9wavefront6targetE0EEEvT1_,comdat
	.protected	_ZN7rocprim17ROCPRIM_400000_NS6detail17trampoline_kernelINS0_14default_configENS1_29reduce_by_key_config_selectorItjN6thrust23THRUST_200600_302600_NS4plusIjEEEEZZNS1_33reduce_by_key_impl_wrapped_configILNS1_25lookback_scan_determinismE0ES3_S9_NS6_6detail15normal_iteratorINS6_10device_ptrItEEEENSD_INSE_IjEEEESG_SI_PmS8_NS6_8equal_toItEEEE10hipError_tPvRmT2_T3_mT4_T5_T6_T7_T8_P12ihipStream_tbENKUlT_T0_E_clISt17integral_constantIbLb1EES13_EEDaSY_SZ_EUlSY_E_NS1_11comp_targetILNS1_3genE3ELNS1_11target_archE908ELNS1_3gpuE7ELNS1_3repE0EEENS1_30default_config_static_selectorELNS0_4arch9wavefront6targetE0EEEvT1_ ; -- Begin function _ZN7rocprim17ROCPRIM_400000_NS6detail17trampoline_kernelINS0_14default_configENS1_29reduce_by_key_config_selectorItjN6thrust23THRUST_200600_302600_NS4plusIjEEEEZZNS1_33reduce_by_key_impl_wrapped_configILNS1_25lookback_scan_determinismE0ES3_S9_NS6_6detail15normal_iteratorINS6_10device_ptrItEEEENSD_INSE_IjEEEESG_SI_PmS8_NS6_8equal_toItEEEE10hipError_tPvRmT2_T3_mT4_T5_T6_T7_T8_P12ihipStream_tbENKUlT_T0_E_clISt17integral_constantIbLb1EES13_EEDaSY_SZ_EUlSY_E_NS1_11comp_targetILNS1_3genE3ELNS1_11target_archE908ELNS1_3gpuE7ELNS1_3repE0EEENS1_30default_config_static_selectorELNS0_4arch9wavefront6targetE0EEEvT1_
	.globl	_ZN7rocprim17ROCPRIM_400000_NS6detail17trampoline_kernelINS0_14default_configENS1_29reduce_by_key_config_selectorItjN6thrust23THRUST_200600_302600_NS4plusIjEEEEZZNS1_33reduce_by_key_impl_wrapped_configILNS1_25lookback_scan_determinismE0ES3_S9_NS6_6detail15normal_iteratorINS6_10device_ptrItEEEENSD_INSE_IjEEEESG_SI_PmS8_NS6_8equal_toItEEEE10hipError_tPvRmT2_T3_mT4_T5_T6_T7_T8_P12ihipStream_tbENKUlT_T0_E_clISt17integral_constantIbLb1EES13_EEDaSY_SZ_EUlSY_E_NS1_11comp_targetILNS1_3genE3ELNS1_11target_archE908ELNS1_3gpuE7ELNS1_3repE0EEENS1_30default_config_static_selectorELNS0_4arch9wavefront6targetE0EEEvT1_
	.p2align	8
	.type	_ZN7rocprim17ROCPRIM_400000_NS6detail17trampoline_kernelINS0_14default_configENS1_29reduce_by_key_config_selectorItjN6thrust23THRUST_200600_302600_NS4plusIjEEEEZZNS1_33reduce_by_key_impl_wrapped_configILNS1_25lookback_scan_determinismE0ES3_S9_NS6_6detail15normal_iteratorINS6_10device_ptrItEEEENSD_INSE_IjEEEESG_SI_PmS8_NS6_8equal_toItEEEE10hipError_tPvRmT2_T3_mT4_T5_T6_T7_T8_P12ihipStream_tbENKUlT_T0_E_clISt17integral_constantIbLb1EES13_EEDaSY_SZ_EUlSY_E_NS1_11comp_targetILNS1_3genE3ELNS1_11target_archE908ELNS1_3gpuE7ELNS1_3repE0EEENS1_30default_config_static_selectorELNS0_4arch9wavefront6targetE0EEEvT1_,@function
_ZN7rocprim17ROCPRIM_400000_NS6detail17trampoline_kernelINS0_14default_configENS1_29reduce_by_key_config_selectorItjN6thrust23THRUST_200600_302600_NS4plusIjEEEEZZNS1_33reduce_by_key_impl_wrapped_configILNS1_25lookback_scan_determinismE0ES3_S9_NS6_6detail15normal_iteratorINS6_10device_ptrItEEEENSD_INSE_IjEEEESG_SI_PmS8_NS6_8equal_toItEEEE10hipError_tPvRmT2_T3_mT4_T5_T6_T7_T8_P12ihipStream_tbENKUlT_T0_E_clISt17integral_constantIbLb1EES13_EEDaSY_SZ_EUlSY_E_NS1_11comp_targetILNS1_3genE3ELNS1_11target_archE908ELNS1_3gpuE7ELNS1_3repE0EEENS1_30default_config_static_selectorELNS0_4arch9wavefront6targetE0EEEvT1_: ; @_ZN7rocprim17ROCPRIM_400000_NS6detail17trampoline_kernelINS0_14default_configENS1_29reduce_by_key_config_selectorItjN6thrust23THRUST_200600_302600_NS4plusIjEEEEZZNS1_33reduce_by_key_impl_wrapped_configILNS1_25lookback_scan_determinismE0ES3_S9_NS6_6detail15normal_iteratorINS6_10device_ptrItEEEENSD_INSE_IjEEEESG_SI_PmS8_NS6_8equal_toItEEEE10hipError_tPvRmT2_T3_mT4_T5_T6_T7_T8_P12ihipStream_tbENKUlT_T0_E_clISt17integral_constantIbLb1EES13_EEDaSY_SZ_EUlSY_E_NS1_11comp_targetILNS1_3genE3ELNS1_11target_archE908ELNS1_3gpuE7ELNS1_3repE0EEENS1_30default_config_static_selectorELNS0_4arch9wavefront6targetE0EEEvT1_
; %bb.0:
	.section	.rodata,"a",@progbits
	.p2align	6, 0x0
	.amdhsa_kernel _ZN7rocprim17ROCPRIM_400000_NS6detail17trampoline_kernelINS0_14default_configENS1_29reduce_by_key_config_selectorItjN6thrust23THRUST_200600_302600_NS4plusIjEEEEZZNS1_33reduce_by_key_impl_wrapped_configILNS1_25lookback_scan_determinismE0ES3_S9_NS6_6detail15normal_iteratorINS6_10device_ptrItEEEENSD_INSE_IjEEEESG_SI_PmS8_NS6_8equal_toItEEEE10hipError_tPvRmT2_T3_mT4_T5_T6_T7_T8_P12ihipStream_tbENKUlT_T0_E_clISt17integral_constantIbLb1EES13_EEDaSY_SZ_EUlSY_E_NS1_11comp_targetILNS1_3genE3ELNS1_11target_archE908ELNS1_3gpuE7ELNS1_3repE0EEENS1_30default_config_static_selectorELNS0_4arch9wavefront6targetE0EEEvT1_
		.amdhsa_group_segment_fixed_size 0
		.amdhsa_private_segment_fixed_size 0
		.amdhsa_kernarg_size 120
		.amdhsa_user_sgpr_count 15
		.amdhsa_user_sgpr_dispatch_ptr 0
		.amdhsa_user_sgpr_queue_ptr 0
		.amdhsa_user_sgpr_kernarg_segment_ptr 1
		.amdhsa_user_sgpr_dispatch_id 0
		.amdhsa_user_sgpr_private_segment_size 0
		.amdhsa_wavefront_size32 1
		.amdhsa_uses_dynamic_stack 0
		.amdhsa_enable_private_segment 0
		.amdhsa_system_sgpr_workgroup_id_x 1
		.amdhsa_system_sgpr_workgroup_id_y 0
		.amdhsa_system_sgpr_workgroup_id_z 0
		.amdhsa_system_sgpr_workgroup_info 0
		.amdhsa_system_vgpr_workitem_id 0
		.amdhsa_next_free_vgpr 1
		.amdhsa_next_free_sgpr 1
		.amdhsa_reserve_vcc 0
		.amdhsa_float_round_mode_32 0
		.amdhsa_float_round_mode_16_64 0
		.amdhsa_float_denorm_mode_32 3
		.amdhsa_float_denorm_mode_16_64 3
		.amdhsa_dx10_clamp 1
		.amdhsa_ieee_mode 1
		.amdhsa_fp16_overflow 0
		.amdhsa_workgroup_processor_mode 1
		.amdhsa_memory_ordered 1
		.amdhsa_forward_progress 0
		.amdhsa_shared_vgpr_count 0
		.amdhsa_exception_fp_ieee_invalid_op 0
		.amdhsa_exception_fp_denorm_src 0
		.amdhsa_exception_fp_ieee_div_zero 0
		.amdhsa_exception_fp_ieee_overflow 0
		.amdhsa_exception_fp_ieee_underflow 0
		.amdhsa_exception_fp_ieee_inexact 0
		.amdhsa_exception_int_div_zero 0
	.end_amdhsa_kernel
	.section	.text._ZN7rocprim17ROCPRIM_400000_NS6detail17trampoline_kernelINS0_14default_configENS1_29reduce_by_key_config_selectorItjN6thrust23THRUST_200600_302600_NS4plusIjEEEEZZNS1_33reduce_by_key_impl_wrapped_configILNS1_25lookback_scan_determinismE0ES3_S9_NS6_6detail15normal_iteratorINS6_10device_ptrItEEEENSD_INSE_IjEEEESG_SI_PmS8_NS6_8equal_toItEEEE10hipError_tPvRmT2_T3_mT4_T5_T6_T7_T8_P12ihipStream_tbENKUlT_T0_E_clISt17integral_constantIbLb1EES13_EEDaSY_SZ_EUlSY_E_NS1_11comp_targetILNS1_3genE3ELNS1_11target_archE908ELNS1_3gpuE7ELNS1_3repE0EEENS1_30default_config_static_selectorELNS0_4arch9wavefront6targetE0EEEvT1_,"axG",@progbits,_ZN7rocprim17ROCPRIM_400000_NS6detail17trampoline_kernelINS0_14default_configENS1_29reduce_by_key_config_selectorItjN6thrust23THRUST_200600_302600_NS4plusIjEEEEZZNS1_33reduce_by_key_impl_wrapped_configILNS1_25lookback_scan_determinismE0ES3_S9_NS6_6detail15normal_iteratorINS6_10device_ptrItEEEENSD_INSE_IjEEEESG_SI_PmS8_NS6_8equal_toItEEEE10hipError_tPvRmT2_T3_mT4_T5_T6_T7_T8_P12ihipStream_tbENKUlT_T0_E_clISt17integral_constantIbLb1EES13_EEDaSY_SZ_EUlSY_E_NS1_11comp_targetILNS1_3genE3ELNS1_11target_archE908ELNS1_3gpuE7ELNS1_3repE0EEENS1_30default_config_static_selectorELNS0_4arch9wavefront6targetE0EEEvT1_,comdat
.Lfunc_end745:
	.size	_ZN7rocprim17ROCPRIM_400000_NS6detail17trampoline_kernelINS0_14default_configENS1_29reduce_by_key_config_selectorItjN6thrust23THRUST_200600_302600_NS4plusIjEEEEZZNS1_33reduce_by_key_impl_wrapped_configILNS1_25lookback_scan_determinismE0ES3_S9_NS6_6detail15normal_iteratorINS6_10device_ptrItEEEENSD_INSE_IjEEEESG_SI_PmS8_NS6_8equal_toItEEEE10hipError_tPvRmT2_T3_mT4_T5_T6_T7_T8_P12ihipStream_tbENKUlT_T0_E_clISt17integral_constantIbLb1EES13_EEDaSY_SZ_EUlSY_E_NS1_11comp_targetILNS1_3genE3ELNS1_11target_archE908ELNS1_3gpuE7ELNS1_3repE0EEENS1_30default_config_static_selectorELNS0_4arch9wavefront6targetE0EEEvT1_, .Lfunc_end745-_ZN7rocprim17ROCPRIM_400000_NS6detail17trampoline_kernelINS0_14default_configENS1_29reduce_by_key_config_selectorItjN6thrust23THRUST_200600_302600_NS4plusIjEEEEZZNS1_33reduce_by_key_impl_wrapped_configILNS1_25lookback_scan_determinismE0ES3_S9_NS6_6detail15normal_iteratorINS6_10device_ptrItEEEENSD_INSE_IjEEEESG_SI_PmS8_NS6_8equal_toItEEEE10hipError_tPvRmT2_T3_mT4_T5_T6_T7_T8_P12ihipStream_tbENKUlT_T0_E_clISt17integral_constantIbLb1EES13_EEDaSY_SZ_EUlSY_E_NS1_11comp_targetILNS1_3genE3ELNS1_11target_archE908ELNS1_3gpuE7ELNS1_3repE0EEENS1_30default_config_static_selectorELNS0_4arch9wavefront6targetE0EEEvT1_
                                        ; -- End function
	.section	.AMDGPU.csdata,"",@progbits
; Kernel info:
; codeLenInByte = 0
; NumSgprs: 0
; NumVgprs: 0
; ScratchSize: 0
; MemoryBound: 0
; FloatMode: 240
; IeeeMode: 1
; LDSByteSize: 0 bytes/workgroup (compile time only)
; SGPRBlocks: 0
; VGPRBlocks: 0
; NumSGPRsForWavesPerEU: 1
; NumVGPRsForWavesPerEU: 1
; Occupancy: 16
; WaveLimiterHint : 0
; COMPUTE_PGM_RSRC2:SCRATCH_EN: 0
; COMPUTE_PGM_RSRC2:USER_SGPR: 15
; COMPUTE_PGM_RSRC2:TRAP_HANDLER: 0
; COMPUTE_PGM_RSRC2:TGID_X_EN: 1
; COMPUTE_PGM_RSRC2:TGID_Y_EN: 0
; COMPUTE_PGM_RSRC2:TGID_Z_EN: 0
; COMPUTE_PGM_RSRC2:TIDIG_COMP_CNT: 0
	.section	.text._ZN7rocprim17ROCPRIM_400000_NS6detail17trampoline_kernelINS0_14default_configENS1_29reduce_by_key_config_selectorItjN6thrust23THRUST_200600_302600_NS4plusIjEEEEZZNS1_33reduce_by_key_impl_wrapped_configILNS1_25lookback_scan_determinismE0ES3_S9_NS6_6detail15normal_iteratorINS6_10device_ptrItEEEENSD_INSE_IjEEEESG_SI_PmS8_NS6_8equal_toItEEEE10hipError_tPvRmT2_T3_mT4_T5_T6_T7_T8_P12ihipStream_tbENKUlT_T0_E_clISt17integral_constantIbLb1EES13_EEDaSY_SZ_EUlSY_E_NS1_11comp_targetILNS1_3genE2ELNS1_11target_archE906ELNS1_3gpuE6ELNS1_3repE0EEENS1_30default_config_static_selectorELNS0_4arch9wavefront6targetE0EEEvT1_,"axG",@progbits,_ZN7rocprim17ROCPRIM_400000_NS6detail17trampoline_kernelINS0_14default_configENS1_29reduce_by_key_config_selectorItjN6thrust23THRUST_200600_302600_NS4plusIjEEEEZZNS1_33reduce_by_key_impl_wrapped_configILNS1_25lookback_scan_determinismE0ES3_S9_NS6_6detail15normal_iteratorINS6_10device_ptrItEEEENSD_INSE_IjEEEESG_SI_PmS8_NS6_8equal_toItEEEE10hipError_tPvRmT2_T3_mT4_T5_T6_T7_T8_P12ihipStream_tbENKUlT_T0_E_clISt17integral_constantIbLb1EES13_EEDaSY_SZ_EUlSY_E_NS1_11comp_targetILNS1_3genE2ELNS1_11target_archE906ELNS1_3gpuE6ELNS1_3repE0EEENS1_30default_config_static_selectorELNS0_4arch9wavefront6targetE0EEEvT1_,comdat
	.protected	_ZN7rocprim17ROCPRIM_400000_NS6detail17trampoline_kernelINS0_14default_configENS1_29reduce_by_key_config_selectorItjN6thrust23THRUST_200600_302600_NS4plusIjEEEEZZNS1_33reduce_by_key_impl_wrapped_configILNS1_25lookback_scan_determinismE0ES3_S9_NS6_6detail15normal_iteratorINS6_10device_ptrItEEEENSD_INSE_IjEEEESG_SI_PmS8_NS6_8equal_toItEEEE10hipError_tPvRmT2_T3_mT4_T5_T6_T7_T8_P12ihipStream_tbENKUlT_T0_E_clISt17integral_constantIbLb1EES13_EEDaSY_SZ_EUlSY_E_NS1_11comp_targetILNS1_3genE2ELNS1_11target_archE906ELNS1_3gpuE6ELNS1_3repE0EEENS1_30default_config_static_selectorELNS0_4arch9wavefront6targetE0EEEvT1_ ; -- Begin function _ZN7rocprim17ROCPRIM_400000_NS6detail17trampoline_kernelINS0_14default_configENS1_29reduce_by_key_config_selectorItjN6thrust23THRUST_200600_302600_NS4plusIjEEEEZZNS1_33reduce_by_key_impl_wrapped_configILNS1_25lookback_scan_determinismE0ES3_S9_NS6_6detail15normal_iteratorINS6_10device_ptrItEEEENSD_INSE_IjEEEESG_SI_PmS8_NS6_8equal_toItEEEE10hipError_tPvRmT2_T3_mT4_T5_T6_T7_T8_P12ihipStream_tbENKUlT_T0_E_clISt17integral_constantIbLb1EES13_EEDaSY_SZ_EUlSY_E_NS1_11comp_targetILNS1_3genE2ELNS1_11target_archE906ELNS1_3gpuE6ELNS1_3repE0EEENS1_30default_config_static_selectorELNS0_4arch9wavefront6targetE0EEEvT1_
	.globl	_ZN7rocprim17ROCPRIM_400000_NS6detail17trampoline_kernelINS0_14default_configENS1_29reduce_by_key_config_selectorItjN6thrust23THRUST_200600_302600_NS4plusIjEEEEZZNS1_33reduce_by_key_impl_wrapped_configILNS1_25lookback_scan_determinismE0ES3_S9_NS6_6detail15normal_iteratorINS6_10device_ptrItEEEENSD_INSE_IjEEEESG_SI_PmS8_NS6_8equal_toItEEEE10hipError_tPvRmT2_T3_mT4_T5_T6_T7_T8_P12ihipStream_tbENKUlT_T0_E_clISt17integral_constantIbLb1EES13_EEDaSY_SZ_EUlSY_E_NS1_11comp_targetILNS1_3genE2ELNS1_11target_archE906ELNS1_3gpuE6ELNS1_3repE0EEENS1_30default_config_static_selectorELNS0_4arch9wavefront6targetE0EEEvT1_
	.p2align	8
	.type	_ZN7rocprim17ROCPRIM_400000_NS6detail17trampoline_kernelINS0_14default_configENS1_29reduce_by_key_config_selectorItjN6thrust23THRUST_200600_302600_NS4plusIjEEEEZZNS1_33reduce_by_key_impl_wrapped_configILNS1_25lookback_scan_determinismE0ES3_S9_NS6_6detail15normal_iteratorINS6_10device_ptrItEEEENSD_INSE_IjEEEESG_SI_PmS8_NS6_8equal_toItEEEE10hipError_tPvRmT2_T3_mT4_T5_T6_T7_T8_P12ihipStream_tbENKUlT_T0_E_clISt17integral_constantIbLb1EES13_EEDaSY_SZ_EUlSY_E_NS1_11comp_targetILNS1_3genE2ELNS1_11target_archE906ELNS1_3gpuE6ELNS1_3repE0EEENS1_30default_config_static_selectorELNS0_4arch9wavefront6targetE0EEEvT1_,@function
_ZN7rocprim17ROCPRIM_400000_NS6detail17trampoline_kernelINS0_14default_configENS1_29reduce_by_key_config_selectorItjN6thrust23THRUST_200600_302600_NS4plusIjEEEEZZNS1_33reduce_by_key_impl_wrapped_configILNS1_25lookback_scan_determinismE0ES3_S9_NS6_6detail15normal_iteratorINS6_10device_ptrItEEEENSD_INSE_IjEEEESG_SI_PmS8_NS6_8equal_toItEEEE10hipError_tPvRmT2_T3_mT4_T5_T6_T7_T8_P12ihipStream_tbENKUlT_T0_E_clISt17integral_constantIbLb1EES13_EEDaSY_SZ_EUlSY_E_NS1_11comp_targetILNS1_3genE2ELNS1_11target_archE906ELNS1_3gpuE6ELNS1_3repE0EEENS1_30default_config_static_selectorELNS0_4arch9wavefront6targetE0EEEvT1_: ; @_ZN7rocprim17ROCPRIM_400000_NS6detail17trampoline_kernelINS0_14default_configENS1_29reduce_by_key_config_selectorItjN6thrust23THRUST_200600_302600_NS4plusIjEEEEZZNS1_33reduce_by_key_impl_wrapped_configILNS1_25lookback_scan_determinismE0ES3_S9_NS6_6detail15normal_iteratorINS6_10device_ptrItEEEENSD_INSE_IjEEEESG_SI_PmS8_NS6_8equal_toItEEEE10hipError_tPvRmT2_T3_mT4_T5_T6_T7_T8_P12ihipStream_tbENKUlT_T0_E_clISt17integral_constantIbLb1EES13_EEDaSY_SZ_EUlSY_E_NS1_11comp_targetILNS1_3genE2ELNS1_11target_archE906ELNS1_3gpuE6ELNS1_3repE0EEENS1_30default_config_static_selectorELNS0_4arch9wavefront6targetE0EEEvT1_
; %bb.0:
	.section	.rodata,"a",@progbits
	.p2align	6, 0x0
	.amdhsa_kernel _ZN7rocprim17ROCPRIM_400000_NS6detail17trampoline_kernelINS0_14default_configENS1_29reduce_by_key_config_selectorItjN6thrust23THRUST_200600_302600_NS4plusIjEEEEZZNS1_33reduce_by_key_impl_wrapped_configILNS1_25lookback_scan_determinismE0ES3_S9_NS6_6detail15normal_iteratorINS6_10device_ptrItEEEENSD_INSE_IjEEEESG_SI_PmS8_NS6_8equal_toItEEEE10hipError_tPvRmT2_T3_mT4_T5_T6_T7_T8_P12ihipStream_tbENKUlT_T0_E_clISt17integral_constantIbLb1EES13_EEDaSY_SZ_EUlSY_E_NS1_11comp_targetILNS1_3genE2ELNS1_11target_archE906ELNS1_3gpuE6ELNS1_3repE0EEENS1_30default_config_static_selectorELNS0_4arch9wavefront6targetE0EEEvT1_
		.amdhsa_group_segment_fixed_size 0
		.amdhsa_private_segment_fixed_size 0
		.amdhsa_kernarg_size 120
		.amdhsa_user_sgpr_count 15
		.amdhsa_user_sgpr_dispatch_ptr 0
		.amdhsa_user_sgpr_queue_ptr 0
		.amdhsa_user_sgpr_kernarg_segment_ptr 1
		.amdhsa_user_sgpr_dispatch_id 0
		.amdhsa_user_sgpr_private_segment_size 0
		.amdhsa_wavefront_size32 1
		.amdhsa_uses_dynamic_stack 0
		.amdhsa_enable_private_segment 0
		.amdhsa_system_sgpr_workgroup_id_x 1
		.amdhsa_system_sgpr_workgroup_id_y 0
		.amdhsa_system_sgpr_workgroup_id_z 0
		.amdhsa_system_sgpr_workgroup_info 0
		.amdhsa_system_vgpr_workitem_id 0
		.amdhsa_next_free_vgpr 1
		.amdhsa_next_free_sgpr 1
		.amdhsa_reserve_vcc 0
		.amdhsa_float_round_mode_32 0
		.amdhsa_float_round_mode_16_64 0
		.amdhsa_float_denorm_mode_32 3
		.amdhsa_float_denorm_mode_16_64 3
		.amdhsa_dx10_clamp 1
		.amdhsa_ieee_mode 1
		.amdhsa_fp16_overflow 0
		.amdhsa_workgroup_processor_mode 1
		.amdhsa_memory_ordered 1
		.amdhsa_forward_progress 0
		.amdhsa_shared_vgpr_count 0
		.amdhsa_exception_fp_ieee_invalid_op 0
		.amdhsa_exception_fp_denorm_src 0
		.amdhsa_exception_fp_ieee_div_zero 0
		.amdhsa_exception_fp_ieee_overflow 0
		.amdhsa_exception_fp_ieee_underflow 0
		.amdhsa_exception_fp_ieee_inexact 0
		.amdhsa_exception_int_div_zero 0
	.end_amdhsa_kernel
	.section	.text._ZN7rocprim17ROCPRIM_400000_NS6detail17trampoline_kernelINS0_14default_configENS1_29reduce_by_key_config_selectorItjN6thrust23THRUST_200600_302600_NS4plusIjEEEEZZNS1_33reduce_by_key_impl_wrapped_configILNS1_25lookback_scan_determinismE0ES3_S9_NS6_6detail15normal_iteratorINS6_10device_ptrItEEEENSD_INSE_IjEEEESG_SI_PmS8_NS6_8equal_toItEEEE10hipError_tPvRmT2_T3_mT4_T5_T6_T7_T8_P12ihipStream_tbENKUlT_T0_E_clISt17integral_constantIbLb1EES13_EEDaSY_SZ_EUlSY_E_NS1_11comp_targetILNS1_3genE2ELNS1_11target_archE906ELNS1_3gpuE6ELNS1_3repE0EEENS1_30default_config_static_selectorELNS0_4arch9wavefront6targetE0EEEvT1_,"axG",@progbits,_ZN7rocprim17ROCPRIM_400000_NS6detail17trampoline_kernelINS0_14default_configENS1_29reduce_by_key_config_selectorItjN6thrust23THRUST_200600_302600_NS4plusIjEEEEZZNS1_33reduce_by_key_impl_wrapped_configILNS1_25lookback_scan_determinismE0ES3_S9_NS6_6detail15normal_iteratorINS6_10device_ptrItEEEENSD_INSE_IjEEEESG_SI_PmS8_NS6_8equal_toItEEEE10hipError_tPvRmT2_T3_mT4_T5_T6_T7_T8_P12ihipStream_tbENKUlT_T0_E_clISt17integral_constantIbLb1EES13_EEDaSY_SZ_EUlSY_E_NS1_11comp_targetILNS1_3genE2ELNS1_11target_archE906ELNS1_3gpuE6ELNS1_3repE0EEENS1_30default_config_static_selectorELNS0_4arch9wavefront6targetE0EEEvT1_,comdat
.Lfunc_end746:
	.size	_ZN7rocprim17ROCPRIM_400000_NS6detail17trampoline_kernelINS0_14default_configENS1_29reduce_by_key_config_selectorItjN6thrust23THRUST_200600_302600_NS4plusIjEEEEZZNS1_33reduce_by_key_impl_wrapped_configILNS1_25lookback_scan_determinismE0ES3_S9_NS6_6detail15normal_iteratorINS6_10device_ptrItEEEENSD_INSE_IjEEEESG_SI_PmS8_NS6_8equal_toItEEEE10hipError_tPvRmT2_T3_mT4_T5_T6_T7_T8_P12ihipStream_tbENKUlT_T0_E_clISt17integral_constantIbLb1EES13_EEDaSY_SZ_EUlSY_E_NS1_11comp_targetILNS1_3genE2ELNS1_11target_archE906ELNS1_3gpuE6ELNS1_3repE0EEENS1_30default_config_static_selectorELNS0_4arch9wavefront6targetE0EEEvT1_, .Lfunc_end746-_ZN7rocprim17ROCPRIM_400000_NS6detail17trampoline_kernelINS0_14default_configENS1_29reduce_by_key_config_selectorItjN6thrust23THRUST_200600_302600_NS4plusIjEEEEZZNS1_33reduce_by_key_impl_wrapped_configILNS1_25lookback_scan_determinismE0ES3_S9_NS6_6detail15normal_iteratorINS6_10device_ptrItEEEENSD_INSE_IjEEEESG_SI_PmS8_NS6_8equal_toItEEEE10hipError_tPvRmT2_T3_mT4_T5_T6_T7_T8_P12ihipStream_tbENKUlT_T0_E_clISt17integral_constantIbLb1EES13_EEDaSY_SZ_EUlSY_E_NS1_11comp_targetILNS1_3genE2ELNS1_11target_archE906ELNS1_3gpuE6ELNS1_3repE0EEENS1_30default_config_static_selectorELNS0_4arch9wavefront6targetE0EEEvT1_
                                        ; -- End function
	.section	.AMDGPU.csdata,"",@progbits
; Kernel info:
; codeLenInByte = 0
; NumSgprs: 0
; NumVgprs: 0
; ScratchSize: 0
; MemoryBound: 0
; FloatMode: 240
; IeeeMode: 1
; LDSByteSize: 0 bytes/workgroup (compile time only)
; SGPRBlocks: 0
; VGPRBlocks: 0
; NumSGPRsForWavesPerEU: 1
; NumVGPRsForWavesPerEU: 1
; Occupancy: 16
; WaveLimiterHint : 0
; COMPUTE_PGM_RSRC2:SCRATCH_EN: 0
; COMPUTE_PGM_RSRC2:USER_SGPR: 15
; COMPUTE_PGM_RSRC2:TRAP_HANDLER: 0
; COMPUTE_PGM_RSRC2:TGID_X_EN: 1
; COMPUTE_PGM_RSRC2:TGID_Y_EN: 0
; COMPUTE_PGM_RSRC2:TGID_Z_EN: 0
; COMPUTE_PGM_RSRC2:TIDIG_COMP_CNT: 0
	.section	.text._ZN7rocprim17ROCPRIM_400000_NS6detail17trampoline_kernelINS0_14default_configENS1_29reduce_by_key_config_selectorItjN6thrust23THRUST_200600_302600_NS4plusIjEEEEZZNS1_33reduce_by_key_impl_wrapped_configILNS1_25lookback_scan_determinismE0ES3_S9_NS6_6detail15normal_iteratorINS6_10device_ptrItEEEENSD_INSE_IjEEEESG_SI_PmS8_NS6_8equal_toItEEEE10hipError_tPvRmT2_T3_mT4_T5_T6_T7_T8_P12ihipStream_tbENKUlT_T0_E_clISt17integral_constantIbLb1EES13_EEDaSY_SZ_EUlSY_E_NS1_11comp_targetILNS1_3genE10ELNS1_11target_archE1201ELNS1_3gpuE5ELNS1_3repE0EEENS1_30default_config_static_selectorELNS0_4arch9wavefront6targetE0EEEvT1_,"axG",@progbits,_ZN7rocprim17ROCPRIM_400000_NS6detail17trampoline_kernelINS0_14default_configENS1_29reduce_by_key_config_selectorItjN6thrust23THRUST_200600_302600_NS4plusIjEEEEZZNS1_33reduce_by_key_impl_wrapped_configILNS1_25lookback_scan_determinismE0ES3_S9_NS6_6detail15normal_iteratorINS6_10device_ptrItEEEENSD_INSE_IjEEEESG_SI_PmS8_NS6_8equal_toItEEEE10hipError_tPvRmT2_T3_mT4_T5_T6_T7_T8_P12ihipStream_tbENKUlT_T0_E_clISt17integral_constantIbLb1EES13_EEDaSY_SZ_EUlSY_E_NS1_11comp_targetILNS1_3genE10ELNS1_11target_archE1201ELNS1_3gpuE5ELNS1_3repE0EEENS1_30default_config_static_selectorELNS0_4arch9wavefront6targetE0EEEvT1_,comdat
	.protected	_ZN7rocprim17ROCPRIM_400000_NS6detail17trampoline_kernelINS0_14default_configENS1_29reduce_by_key_config_selectorItjN6thrust23THRUST_200600_302600_NS4plusIjEEEEZZNS1_33reduce_by_key_impl_wrapped_configILNS1_25lookback_scan_determinismE0ES3_S9_NS6_6detail15normal_iteratorINS6_10device_ptrItEEEENSD_INSE_IjEEEESG_SI_PmS8_NS6_8equal_toItEEEE10hipError_tPvRmT2_T3_mT4_T5_T6_T7_T8_P12ihipStream_tbENKUlT_T0_E_clISt17integral_constantIbLb1EES13_EEDaSY_SZ_EUlSY_E_NS1_11comp_targetILNS1_3genE10ELNS1_11target_archE1201ELNS1_3gpuE5ELNS1_3repE0EEENS1_30default_config_static_selectorELNS0_4arch9wavefront6targetE0EEEvT1_ ; -- Begin function _ZN7rocprim17ROCPRIM_400000_NS6detail17trampoline_kernelINS0_14default_configENS1_29reduce_by_key_config_selectorItjN6thrust23THRUST_200600_302600_NS4plusIjEEEEZZNS1_33reduce_by_key_impl_wrapped_configILNS1_25lookback_scan_determinismE0ES3_S9_NS6_6detail15normal_iteratorINS6_10device_ptrItEEEENSD_INSE_IjEEEESG_SI_PmS8_NS6_8equal_toItEEEE10hipError_tPvRmT2_T3_mT4_T5_T6_T7_T8_P12ihipStream_tbENKUlT_T0_E_clISt17integral_constantIbLb1EES13_EEDaSY_SZ_EUlSY_E_NS1_11comp_targetILNS1_3genE10ELNS1_11target_archE1201ELNS1_3gpuE5ELNS1_3repE0EEENS1_30default_config_static_selectorELNS0_4arch9wavefront6targetE0EEEvT1_
	.globl	_ZN7rocprim17ROCPRIM_400000_NS6detail17trampoline_kernelINS0_14default_configENS1_29reduce_by_key_config_selectorItjN6thrust23THRUST_200600_302600_NS4plusIjEEEEZZNS1_33reduce_by_key_impl_wrapped_configILNS1_25lookback_scan_determinismE0ES3_S9_NS6_6detail15normal_iteratorINS6_10device_ptrItEEEENSD_INSE_IjEEEESG_SI_PmS8_NS6_8equal_toItEEEE10hipError_tPvRmT2_T3_mT4_T5_T6_T7_T8_P12ihipStream_tbENKUlT_T0_E_clISt17integral_constantIbLb1EES13_EEDaSY_SZ_EUlSY_E_NS1_11comp_targetILNS1_3genE10ELNS1_11target_archE1201ELNS1_3gpuE5ELNS1_3repE0EEENS1_30default_config_static_selectorELNS0_4arch9wavefront6targetE0EEEvT1_
	.p2align	8
	.type	_ZN7rocprim17ROCPRIM_400000_NS6detail17trampoline_kernelINS0_14default_configENS1_29reduce_by_key_config_selectorItjN6thrust23THRUST_200600_302600_NS4plusIjEEEEZZNS1_33reduce_by_key_impl_wrapped_configILNS1_25lookback_scan_determinismE0ES3_S9_NS6_6detail15normal_iteratorINS6_10device_ptrItEEEENSD_INSE_IjEEEESG_SI_PmS8_NS6_8equal_toItEEEE10hipError_tPvRmT2_T3_mT4_T5_T6_T7_T8_P12ihipStream_tbENKUlT_T0_E_clISt17integral_constantIbLb1EES13_EEDaSY_SZ_EUlSY_E_NS1_11comp_targetILNS1_3genE10ELNS1_11target_archE1201ELNS1_3gpuE5ELNS1_3repE0EEENS1_30default_config_static_selectorELNS0_4arch9wavefront6targetE0EEEvT1_,@function
_ZN7rocprim17ROCPRIM_400000_NS6detail17trampoline_kernelINS0_14default_configENS1_29reduce_by_key_config_selectorItjN6thrust23THRUST_200600_302600_NS4plusIjEEEEZZNS1_33reduce_by_key_impl_wrapped_configILNS1_25lookback_scan_determinismE0ES3_S9_NS6_6detail15normal_iteratorINS6_10device_ptrItEEEENSD_INSE_IjEEEESG_SI_PmS8_NS6_8equal_toItEEEE10hipError_tPvRmT2_T3_mT4_T5_T6_T7_T8_P12ihipStream_tbENKUlT_T0_E_clISt17integral_constantIbLb1EES13_EEDaSY_SZ_EUlSY_E_NS1_11comp_targetILNS1_3genE10ELNS1_11target_archE1201ELNS1_3gpuE5ELNS1_3repE0EEENS1_30default_config_static_selectorELNS0_4arch9wavefront6targetE0EEEvT1_: ; @_ZN7rocprim17ROCPRIM_400000_NS6detail17trampoline_kernelINS0_14default_configENS1_29reduce_by_key_config_selectorItjN6thrust23THRUST_200600_302600_NS4plusIjEEEEZZNS1_33reduce_by_key_impl_wrapped_configILNS1_25lookback_scan_determinismE0ES3_S9_NS6_6detail15normal_iteratorINS6_10device_ptrItEEEENSD_INSE_IjEEEESG_SI_PmS8_NS6_8equal_toItEEEE10hipError_tPvRmT2_T3_mT4_T5_T6_T7_T8_P12ihipStream_tbENKUlT_T0_E_clISt17integral_constantIbLb1EES13_EEDaSY_SZ_EUlSY_E_NS1_11comp_targetILNS1_3genE10ELNS1_11target_archE1201ELNS1_3gpuE5ELNS1_3repE0EEENS1_30default_config_static_selectorELNS0_4arch9wavefront6targetE0EEEvT1_
; %bb.0:
	.section	.rodata,"a",@progbits
	.p2align	6, 0x0
	.amdhsa_kernel _ZN7rocprim17ROCPRIM_400000_NS6detail17trampoline_kernelINS0_14default_configENS1_29reduce_by_key_config_selectorItjN6thrust23THRUST_200600_302600_NS4plusIjEEEEZZNS1_33reduce_by_key_impl_wrapped_configILNS1_25lookback_scan_determinismE0ES3_S9_NS6_6detail15normal_iteratorINS6_10device_ptrItEEEENSD_INSE_IjEEEESG_SI_PmS8_NS6_8equal_toItEEEE10hipError_tPvRmT2_T3_mT4_T5_T6_T7_T8_P12ihipStream_tbENKUlT_T0_E_clISt17integral_constantIbLb1EES13_EEDaSY_SZ_EUlSY_E_NS1_11comp_targetILNS1_3genE10ELNS1_11target_archE1201ELNS1_3gpuE5ELNS1_3repE0EEENS1_30default_config_static_selectorELNS0_4arch9wavefront6targetE0EEEvT1_
		.amdhsa_group_segment_fixed_size 0
		.amdhsa_private_segment_fixed_size 0
		.amdhsa_kernarg_size 120
		.amdhsa_user_sgpr_count 15
		.amdhsa_user_sgpr_dispatch_ptr 0
		.amdhsa_user_sgpr_queue_ptr 0
		.amdhsa_user_sgpr_kernarg_segment_ptr 1
		.amdhsa_user_sgpr_dispatch_id 0
		.amdhsa_user_sgpr_private_segment_size 0
		.amdhsa_wavefront_size32 1
		.amdhsa_uses_dynamic_stack 0
		.amdhsa_enable_private_segment 0
		.amdhsa_system_sgpr_workgroup_id_x 1
		.amdhsa_system_sgpr_workgroup_id_y 0
		.amdhsa_system_sgpr_workgroup_id_z 0
		.amdhsa_system_sgpr_workgroup_info 0
		.amdhsa_system_vgpr_workitem_id 0
		.amdhsa_next_free_vgpr 1
		.amdhsa_next_free_sgpr 1
		.amdhsa_reserve_vcc 0
		.amdhsa_float_round_mode_32 0
		.amdhsa_float_round_mode_16_64 0
		.amdhsa_float_denorm_mode_32 3
		.amdhsa_float_denorm_mode_16_64 3
		.amdhsa_dx10_clamp 1
		.amdhsa_ieee_mode 1
		.amdhsa_fp16_overflow 0
		.amdhsa_workgroup_processor_mode 1
		.amdhsa_memory_ordered 1
		.amdhsa_forward_progress 0
		.amdhsa_shared_vgpr_count 0
		.amdhsa_exception_fp_ieee_invalid_op 0
		.amdhsa_exception_fp_denorm_src 0
		.amdhsa_exception_fp_ieee_div_zero 0
		.amdhsa_exception_fp_ieee_overflow 0
		.amdhsa_exception_fp_ieee_underflow 0
		.amdhsa_exception_fp_ieee_inexact 0
		.amdhsa_exception_int_div_zero 0
	.end_amdhsa_kernel
	.section	.text._ZN7rocprim17ROCPRIM_400000_NS6detail17trampoline_kernelINS0_14default_configENS1_29reduce_by_key_config_selectorItjN6thrust23THRUST_200600_302600_NS4plusIjEEEEZZNS1_33reduce_by_key_impl_wrapped_configILNS1_25lookback_scan_determinismE0ES3_S9_NS6_6detail15normal_iteratorINS6_10device_ptrItEEEENSD_INSE_IjEEEESG_SI_PmS8_NS6_8equal_toItEEEE10hipError_tPvRmT2_T3_mT4_T5_T6_T7_T8_P12ihipStream_tbENKUlT_T0_E_clISt17integral_constantIbLb1EES13_EEDaSY_SZ_EUlSY_E_NS1_11comp_targetILNS1_3genE10ELNS1_11target_archE1201ELNS1_3gpuE5ELNS1_3repE0EEENS1_30default_config_static_selectorELNS0_4arch9wavefront6targetE0EEEvT1_,"axG",@progbits,_ZN7rocprim17ROCPRIM_400000_NS6detail17trampoline_kernelINS0_14default_configENS1_29reduce_by_key_config_selectorItjN6thrust23THRUST_200600_302600_NS4plusIjEEEEZZNS1_33reduce_by_key_impl_wrapped_configILNS1_25lookback_scan_determinismE0ES3_S9_NS6_6detail15normal_iteratorINS6_10device_ptrItEEEENSD_INSE_IjEEEESG_SI_PmS8_NS6_8equal_toItEEEE10hipError_tPvRmT2_T3_mT4_T5_T6_T7_T8_P12ihipStream_tbENKUlT_T0_E_clISt17integral_constantIbLb1EES13_EEDaSY_SZ_EUlSY_E_NS1_11comp_targetILNS1_3genE10ELNS1_11target_archE1201ELNS1_3gpuE5ELNS1_3repE0EEENS1_30default_config_static_selectorELNS0_4arch9wavefront6targetE0EEEvT1_,comdat
.Lfunc_end747:
	.size	_ZN7rocprim17ROCPRIM_400000_NS6detail17trampoline_kernelINS0_14default_configENS1_29reduce_by_key_config_selectorItjN6thrust23THRUST_200600_302600_NS4plusIjEEEEZZNS1_33reduce_by_key_impl_wrapped_configILNS1_25lookback_scan_determinismE0ES3_S9_NS6_6detail15normal_iteratorINS6_10device_ptrItEEEENSD_INSE_IjEEEESG_SI_PmS8_NS6_8equal_toItEEEE10hipError_tPvRmT2_T3_mT4_T5_T6_T7_T8_P12ihipStream_tbENKUlT_T0_E_clISt17integral_constantIbLb1EES13_EEDaSY_SZ_EUlSY_E_NS1_11comp_targetILNS1_3genE10ELNS1_11target_archE1201ELNS1_3gpuE5ELNS1_3repE0EEENS1_30default_config_static_selectorELNS0_4arch9wavefront6targetE0EEEvT1_, .Lfunc_end747-_ZN7rocprim17ROCPRIM_400000_NS6detail17trampoline_kernelINS0_14default_configENS1_29reduce_by_key_config_selectorItjN6thrust23THRUST_200600_302600_NS4plusIjEEEEZZNS1_33reduce_by_key_impl_wrapped_configILNS1_25lookback_scan_determinismE0ES3_S9_NS6_6detail15normal_iteratorINS6_10device_ptrItEEEENSD_INSE_IjEEEESG_SI_PmS8_NS6_8equal_toItEEEE10hipError_tPvRmT2_T3_mT4_T5_T6_T7_T8_P12ihipStream_tbENKUlT_T0_E_clISt17integral_constantIbLb1EES13_EEDaSY_SZ_EUlSY_E_NS1_11comp_targetILNS1_3genE10ELNS1_11target_archE1201ELNS1_3gpuE5ELNS1_3repE0EEENS1_30default_config_static_selectorELNS0_4arch9wavefront6targetE0EEEvT1_
                                        ; -- End function
	.section	.AMDGPU.csdata,"",@progbits
; Kernel info:
; codeLenInByte = 0
; NumSgprs: 0
; NumVgprs: 0
; ScratchSize: 0
; MemoryBound: 0
; FloatMode: 240
; IeeeMode: 1
; LDSByteSize: 0 bytes/workgroup (compile time only)
; SGPRBlocks: 0
; VGPRBlocks: 0
; NumSGPRsForWavesPerEU: 1
; NumVGPRsForWavesPerEU: 1
; Occupancy: 16
; WaveLimiterHint : 0
; COMPUTE_PGM_RSRC2:SCRATCH_EN: 0
; COMPUTE_PGM_RSRC2:USER_SGPR: 15
; COMPUTE_PGM_RSRC2:TRAP_HANDLER: 0
; COMPUTE_PGM_RSRC2:TGID_X_EN: 1
; COMPUTE_PGM_RSRC2:TGID_Y_EN: 0
; COMPUTE_PGM_RSRC2:TGID_Z_EN: 0
; COMPUTE_PGM_RSRC2:TIDIG_COMP_CNT: 0
	.section	.text._ZN7rocprim17ROCPRIM_400000_NS6detail17trampoline_kernelINS0_14default_configENS1_29reduce_by_key_config_selectorItjN6thrust23THRUST_200600_302600_NS4plusIjEEEEZZNS1_33reduce_by_key_impl_wrapped_configILNS1_25lookback_scan_determinismE0ES3_S9_NS6_6detail15normal_iteratorINS6_10device_ptrItEEEENSD_INSE_IjEEEESG_SI_PmS8_NS6_8equal_toItEEEE10hipError_tPvRmT2_T3_mT4_T5_T6_T7_T8_P12ihipStream_tbENKUlT_T0_E_clISt17integral_constantIbLb1EES13_EEDaSY_SZ_EUlSY_E_NS1_11comp_targetILNS1_3genE10ELNS1_11target_archE1200ELNS1_3gpuE4ELNS1_3repE0EEENS1_30default_config_static_selectorELNS0_4arch9wavefront6targetE0EEEvT1_,"axG",@progbits,_ZN7rocprim17ROCPRIM_400000_NS6detail17trampoline_kernelINS0_14default_configENS1_29reduce_by_key_config_selectorItjN6thrust23THRUST_200600_302600_NS4plusIjEEEEZZNS1_33reduce_by_key_impl_wrapped_configILNS1_25lookback_scan_determinismE0ES3_S9_NS6_6detail15normal_iteratorINS6_10device_ptrItEEEENSD_INSE_IjEEEESG_SI_PmS8_NS6_8equal_toItEEEE10hipError_tPvRmT2_T3_mT4_T5_T6_T7_T8_P12ihipStream_tbENKUlT_T0_E_clISt17integral_constantIbLb1EES13_EEDaSY_SZ_EUlSY_E_NS1_11comp_targetILNS1_3genE10ELNS1_11target_archE1200ELNS1_3gpuE4ELNS1_3repE0EEENS1_30default_config_static_selectorELNS0_4arch9wavefront6targetE0EEEvT1_,comdat
	.protected	_ZN7rocprim17ROCPRIM_400000_NS6detail17trampoline_kernelINS0_14default_configENS1_29reduce_by_key_config_selectorItjN6thrust23THRUST_200600_302600_NS4plusIjEEEEZZNS1_33reduce_by_key_impl_wrapped_configILNS1_25lookback_scan_determinismE0ES3_S9_NS6_6detail15normal_iteratorINS6_10device_ptrItEEEENSD_INSE_IjEEEESG_SI_PmS8_NS6_8equal_toItEEEE10hipError_tPvRmT2_T3_mT4_T5_T6_T7_T8_P12ihipStream_tbENKUlT_T0_E_clISt17integral_constantIbLb1EES13_EEDaSY_SZ_EUlSY_E_NS1_11comp_targetILNS1_3genE10ELNS1_11target_archE1200ELNS1_3gpuE4ELNS1_3repE0EEENS1_30default_config_static_selectorELNS0_4arch9wavefront6targetE0EEEvT1_ ; -- Begin function _ZN7rocprim17ROCPRIM_400000_NS6detail17trampoline_kernelINS0_14default_configENS1_29reduce_by_key_config_selectorItjN6thrust23THRUST_200600_302600_NS4plusIjEEEEZZNS1_33reduce_by_key_impl_wrapped_configILNS1_25lookback_scan_determinismE0ES3_S9_NS6_6detail15normal_iteratorINS6_10device_ptrItEEEENSD_INSE_IjEEEESG_SI_PmS8_NS6_8equal_toItEEEE10hipError_tPvRmT2_T3_mT4_T5_T6_T7_T8_P12ihipStream_tbENKUlT_T0_E_clISt17integral_constantIbLb1EES13_EEDaSY_SZ_EUlSY_E_NS1_11comp_targetILNS1_3genE10ELNS1_11target_archE1200ELNS1_3gpuE4ELNS1_3repE0EEENS1_30default_config_static_selectorELNS0_4arch9wavefront6targetE0EEEvT1_
	.globl	_ZN7rocprim17ROCPRIM_400000_NS6detail17trampoline_kernelINS0_14default_configENS1_29reduce_by_key_config_selectorItjN6thrust23THRUST_200600_302600_NS4plusIjEEEEZZNS1_33reduce_by_key_impl_wrapped_configILNS1_25lookback_scan_determinismE0ES3_S9_NS6_6detail15normal_iteratorINS6_10device_ptrItEEEENSD_INSE_IjEEEESG_SI_PmS8_NS6_8equal_toItEEEE10hipError_tPvRmT2_T3_mT4_T5_T6_T7_T8_P12ihipStream_tbENKUlT_T0_E_clISt17integral_constantIbLb1EES13_EEDaSY_SZ_EUlSY_E_NS1_11comp_targetILNS1_3genE10ELNS1_11target_archE1200ELNS1_3gpuE4ELNS1_3repE0EEENS1_30default_config_static_selectorELNS0_4arch9wavefront6targetE0EEEvT1_
	.p2align	8
	.type	_ZN7rocprim17ROCPRIM_400000_NS6detail17trampoline_kernelINS0_14default_configENS1_29reduce_by_key_config_selectorItjN6thrust23THRUST_200600_302600_NS4plusIjEEEEZZNS1_33reduce_by_key_impl_wrapped_configILNS1_25lookback_scan_determinismE0ES3_S9_NS6_6detail15normal_iteratorINS6_10device_ptrItEEEENSD_INSE_IjEEEESG_SI_PmS8_NS6_8equal_toItEEEE10hipError_tPvRmT2_T3_mT4_T5_T6_T7_T8_P12ihipStream_tbENKUlT_T0_E_clISt17integral_constantIbLb1EES13_EEDaSY_SZ_EUlSY_E_NS1_11comp_targetILNS1_3genE10ELNS1_11target_archE1200ELNS1_3gpuE4ELNS1_3repE0EEENS1_30default_config_static_selectorELNS0_4arch9wavefront6targetE0EEEvT1_,@function
_ZN7rocprim17ROCPRIM_400000_NS6detail17trampoline_kernelINS0_14default_configENS1_29reduce_by_key_config_selectorItjN6thrust23THRUST_200600_302600_NS4plusIjEEEEZZNS1_33reduce_by_key_impl_wrapped_configILNS1_25lookback_scan_determinismE0ES3_S9_NS6_6detail15normal_iteratorINS6_10device_ptrItEEEENSD_INSE_IjEEEESG_SI_PmS8_NS6_8equal_toItEEEE10hipError_tPvRmT2_T3_mT4_T5_T6_T7_T8_P12ihipStream_tbENKUlT_T0_E_clISt17integral_constantIbLb1EES13_EEDaSY_SZ_EUlSY_E_NS1_11comp_targetILNS1_3genE10ELNS1_11target_archE1200ELNS1_3gpuE4ELNS1_3repE0EEENS1_30default_config_static_selectorELNS0_4arch9wavefront6targetE0EEEvT1_: ; @_ZN7rocprim17ROCPRIM_400000_NS6detail17trampoline_kernelINS0_14default_configENS1_29reduce_by_key_config_selectorItjN6thrust23THRUST_200600_302600_NS4plusIjEEEEZZNS1_33reduce_by_key_impl_wrapped_configILNS1_25lookback_scan_determinismE0ES3_S9_NS6_6detail15normal_iteratorINS6_10device_ptrItEEEENSD_INSE_IjEEEESG_SI_PmS8_NS6_8equal_toItEEEE10hipError_tPvRmT2_T3_mT4_T5_T6_T7_T8_P12ihipStream_tbENKUlT_T0_E_clISt17integral_constantIbLb1EES13_EEDaSY_SZ_EUlSY_E_NS1_11comp_targetILNS1_3genE10ELNS1_11target_archE1200ELNS1_3gpuE4ELNS1_3repE0EEENS1_30default_config_static_selectorELNS0_4arch9wavefront6targetE0EEEvT1_
; %bb.0:
	.section	.rodata,"a",@progbits
	.p2align	6, 0x0
	.amdhsa_kernel _ZN7rocprim17ROCPRIM_400000_NS6detail17trampoline_kernelINS0_14default_configENS1_29reduce_by_key_config_selectorItjN6thrust23THRUST_200600_302600_NS4plusIjEEEEZZNS1_33reduce_by_key_impl_wrapped_configILNS1_25lookback_scan_determinismE0ES3_S9_NS6_6detail15normal_iteratorINS6_10device_ptrItEEEENSD_INSE_IjEEEESG_SI_PmS8_NS6_8equal_toItEEEE10hipError_tPvRmT2_T3_mT4_T5_T6_T7_T8_P12ihipStream_tbENKUlT_T0_E_clISt17integral_constantIbLb1EES13_EEDaSY_SZ_EUlSY_E_NS1_11comp_targetILNS1_3genE10ELNS1_11target_archE1200ELNS1_3gpuE4ELNS1_3repE0EEENS1_30default_config_static_selectorELNS0_4arch9wavefront6targetE0EEEvT1_
		.amdhsa_group_segment_fixed_size 0
		.amdhsa_private_segment_fixed_size 0
		.amdhsa_kernarg_size 120
		.amdhsa_user_sgpr_count 15
		.amdhsa_user_sgpr_dispatch_ptr 0
		.amdhsa_user_sgpr_queue_ptr 0
		.amdhsa_user_sgpr_kernarg_segment_ptr 1
		.amdhsa_user_sgpr_dispatch_id 0
		.amdhsa_user_sgpr_private_segment_size 0
		.amdhsa_wavefront_size32 1
		.amdhsa_uses_dynamic_stack 0
		.amdhsa_enable_private_segment 0
		.amdhsa_system_sgpr_workgroup_id_x 1
		.amdhsa_system_sgpr_workgroup_id_y 0
		.amdhsa_system_sgpr_workgroup_id_z 0
		.amdhsa_system_sgpr_workgroup_info 0
		.amdhsa_system_vgpr_workitem_id 0
		.amdhsa_next_free_vgpr 1
		.amdhsa_next_free_sgpr 1
		.amdhsa_reserve_vcc 0
		.amdhsa_float_round_mode_32 0
		.amdhsa_float_round_mode_16_64 0
		.amdhsa_float_denorm_mode_32 3
		.amdhsa_float_denorm_mode_16_64 3
		.amdhsa_dx10_clamp 1
		.amdhsa_ieee_mode 1
		.amdhsa_fp16_overflow 0
		.amdhsa_workgroup_processor_mode 1
		.amdhsa_memory_ordered 1
		.amdhsa_forward_progress 0
		.amdhsa_shared_vgpr_count 0
		.amdhsa_exception_fp_ieee_invalid_op 0
		.amdhsa_exception_fp_denorm_src 0
		.amdhsa_exception_fp_ieee_div_zero 0
		.amdhsa_exception_fp_ieee_overflow 0
		.amdhsa_exception_fp_ieee_underflow 0
		.amdhsa_exception_fp_ieee_inexact 0
		.amdhsa_exception_int_div_zero 0
	.end_amdhsa_kernel
	.section	.text._ZN7rocprim17ROCPRIM_400000_NS6detail17trampoline_kernelINS0_14default_configENS1_29reduce_by_key_config_selectorItjN6thrust23THRUST_200600_302600_NS4plusIjEEEEZZNS1_33reduce_by_key_impl_wrapped_configILNS1_25lookback_scan_determinismE0ES3_S9_NS6_6detail15normal_iteratorINS6_10device_ptrItEEEENSD_INSE_IjEEEESG_SI_PmS8_NS6_8equal_toItEEEE10hipError_tPvRmT2_T3_mT4_T5_T6_T7_T8_P12ihipStream_tbENKUlT_T0_E_clISt17integral_constantIbLb1EES13_EEDaSY_SZ_EUlSY_E_NS1_11comp_targetILNS1_3genE10ELNS1_11target_archE1200ELNS1_3gpuE4ELNS1_3repE0EEENS1_30default_config_static_selectorELNS0_4arch9wavefront6targetE0EEEvT1_,"axG",@progbits,_ZN7rocprim17ROCPRIM_400000_NS6detail17trampoline_kernelINS0_14default_configENS1_29reduce_by_key_config_selectorItjN6thrust23THRUST_200600_302600_NS4plusIjEEEEZZNS1_33reduce_by_key_impl_wrapped_configILNS1_25lookback_scan_determinismE0ES3_S9_NS6_6detail15normal_iteratorINS6_10device_ptrItEEEENSD_INSE_IjEEEESG_SI_PmS8_NS6_8equal_toItEEEE10hipError_tPvRmT2_T3_mT4_T5_T6_T7_T8_P12ihipStream_tbENKUlT_T0_E_clISt17integral_constantIbLb1EES13_EEDaSY_SZ_EUlSY_E_NS1_11comp_targetILNS1_3genE10ELNS1_11target_archE1200ELNS1_3gpuE4ELNS1_3repE0EEENS1_30default_config_static_selectorELNS0_4arch9wavefront6targetE0EEEvT1_,comdat
.Lfunc_end748:
	.size	_ZN7rocprim17ROCPRIM_400000_NS6detail17trampoline_kernelINS0_14default_configENS1_29reduce_by_key_config_selectorItjN6thrust23THRUST_200600_302600_NS4plusIjEEEEZZNS1_33reduce_by_key_impl_wrapped_configILNS1_25lookback_scan_determinismE0ES3_S9_NS6_6detail15normal_iteratorINS6_10device_ptrItEEEENSD_INSE_IjEEEESG_SI_PmS8_NS6_8equal_toItEEEE10hipError_tPvRmT2_T3_mT4_T5_T6_T7_T8_P12ihipStream_tbENKUlT_T0_E_clISt17integral_constantIbLb1EES13_EEDaSY_SZ_EUlSY_E_NS1_11comp_targetILNS1_3genE10ELNS1_11target_archE1200ELNS1_3gpuE4ELNS1_3repE0EEENS1_30default_config_static_selectorELNS0_4arch9wavefront6targetE0EEEvT1_, .Lfunc_end748-_ZN7rocprim17ROCPRIM_400000_NS6detail17trampoline_kernelINS0_14default_configENS1_29reduce_by_key_config_selectorItjN6thrust23THRUST_200600_302600_NS4plusIjEEEEZZNS1_33reduce_by_key_impl_wrapped_configILNS1_25lookback_scan_determinismE0ES3_S9_NS6_6detail15normal_iteratorINS6_10device_ptrItEEEENSD_INSE_IjEEEESG_SI_PmS8_NS6_8equal_toItEEEE10hipError_tPvRmT2_T3_mT4_T5_T6_T7_T8_P12ihipStream_tbENKUlT_T0_E_clISt17integral_constantIbLb1EES13_EEDaSY_SZ_EUlSY_E_NS1_11comp_targetILNS1_3genE10ELNS1_11target_archE1200ELNS1_3gpuE4ELNS1_3repE0EEENS1_30default_config_static_selectorELNS0_4arch9wavefront6targetE0EEEvT1_
                                        ; -- End function
	.section	.AMDGPU.csdata,"",@progbits
; Kernel info:
; codeLenInByte = 0
; NumSgprs: 0
; NumVgprs: 0
; ScratchSize: 0
; MemoryBound: 0
; FloatMode: 240
; IeeeMode: 1
; LDSByteSize: 0 bytes/workgroup (compile time only)
; SGPRBlocks: 0
; VGPRBlocks: 0
; NumSGPRsForWavesPerEU: 1
; NumVGPRsForWavesPerEU: 1
; Occupancy: 16
; WaveLimiterHint : 0
; COMPUTE_PGM_RSRC2:SCRATCH_EN: 0
; COMPUTE_PGM_RSRC2:USER_SGPR: 15
; COMPUTE_PGM_RSRC2:TRAP_HANDLER: 0
; COMPUTE_PGM_RSRC2:TGID_X_EN: 1
; COMPUTE_PGM_RSRC2:TGID_Y_EN: 0
; COMPUTE_PGM_RSRC2:TGID_Z_EN: 0
; COMPUTE_PGM_RSRC2:TIDIG_COMP_CNT: 0
	.section	.text._ZN7rocprim17ROCPRIM_400000_NS6detail17trampoline_kernelINS0_14default_configENS1_29reduce_by_key_config_selectorItjN6thrust23THRUST_200600_302600_NS4plusIjEEEEZZNS1_33reduce_by_key_impl_wrapped_configILNS1_25lookback_scan_determinismE0ES3_S9_NS6_6detail15normal_iteratorINS6_10device_ptrItEEEENSD_INSE_IjEEEESG_SI_PmS8_NS6_8equal_toItEEEE10hipError_tPvRmT2_T3_mT4_T5_T6_T7_T8_P12ihipStream_tbENKUlT_T0_E_clISt17integral_constantIbLb1EES13_EEDaSY_SZ_EUlSY_E_NS1_11comp_targetILNS1_3genE9ELNS1_11target_archE1100ELNS1_3gpuE3ELNS1_3repE0EEENS1_30default_config_static_selectorELNS0_4arch9wavefront6targetE0EEEvT1_,"axG",@progbits,_ZN7rocprim17ROCPRIM_400000_NS6detail17trampoline_kernelINS0_14default_configENS1_29reduce_by_key_config_selectorItjN6thrust23THRUST_200600_302600_NS4plusIjEEEEZZNS1_33reduce_by_key_impl_wrapped_configILNS1_25lookback_scan_determinismE0ES3_S9_NS6_6detail15normal_iteratorINS6_10device_ptrItEEEENSD_INSE_IjEEEESG_SI_PmS8_NS6_8equal_toItEEEE10hipError_tPvRmT2_T3_mT4_T5_T6_T7_T8_P12ihipStream_tbENKUlT_T0_E_clISt17integral_constantIbLb1EES13_EEDaSY_SZ_EUlSY_E_NS1_11comp_targetILNS1_3genE9ELNS1_11target_archE1100ELNS1_3gpuE3ELNS1_3repE0EEENS1_30default_config_static_selectorELNS0_4arch9wavefront6targetE0EEEvT1_,comdat
	.protected	_ZN7rocprim17ROCPRIM_400000_NS6detail17trampoline_kernelINS0_14default_configENS1_29reduce_by_key_config_selectorItjN6thrust23THRUST_200600_302600_NS4plusIjEEEEZZNS1_33reduce_by_key_impl_wrapped_configILNS1_25lookback_scan_determinismE0ES3_S9_NS6_6detail15normal_iteratorINS6_10device_ptrItEEEENSD_INSE_IjEEEESG_SI_PmS8_NS6_8equal_toItEEEE10hipError_tPvRmT2_T3_mT4_T5_T6_T7_T8_P12ihipStream_tbENKUlT_T0_E_clISt17integral_constantIbLb1EES13_EEDaSY_SZ_EUlSY_E_NS1_11comp_targetILNS1_3genE9ELNS1_11target_archE1100ELNS1_3gpuE3ELNS1_3repE0EEENS1_30default_config_static_selectorELNS0_4arch9wavefront6targetE0EEEvT1_ ; -- Begin function _ZN7rocprim17ROCPRIM_400000_NS6detail17trampoline_kernelINS0_14default_configENS1_29reduce_by_key_config_selectorItjN6thrust23THRUST_200600_302600_NS4plusIjEEEEZZNS1_33reduce_by_key_impl_wrapped_configILNS1_25lookback_scan_determinismE0ES3_S9_NS6_6detail15normal_iteratorINS6_10device_ptrItEEEENSD_INSE_IjEEEESG_SI_PmS8_NS6_8equal_toItEEEE10hipError_tPvRmT2_T3_mT4_T5_T6_T7_T8_P12ihipStream_tbENKUlT_T0_E_clISt17integral_constantIbLb1EES13_EEDaSY_SZ_EUlSY_E_NS1_11comp_targetILNS1_3genE9ELNS1_11target_archE1100ELNS1_3gpuE3ELNS1_3repE0EEENS1_30default_config_static_selectorELNS0_4arch9wavefront6targetE0EEEvT1_
	.globl	_ZN7rocprim17ROCPRIM_400000_NS6detail17trampoline_kernelINS0_14default_configENS1_29reduce_by_key_config_selectorItjN6thrust23THRUST_200600_302600_NS4plusIjEEEEZZNS1_33reduce_by_key_impl_wrapped_configILNS1_25lookback_scan_determinismE0ES3_S9_NS6_6detail15normal_iteratorINS6_10device_ptrItEEEENSD_INSE_IjEEEESG_SI_PmS8_NS6_8equal_toItEEEE10hipError_tPvRmT2_T3_mT4_T5_T6_T7_T8_P12ihipStream_tbENKUlT_T0_E_clISt17integral_constantIbLb1EES13_EEDaSY_SZ_EUlSY_E_NS1_11comp_targetILNS1_3genE9ELNS1_11target_archE1100ELNS1_3gpuE3ELNS1_3repE0EEENS1_30default_config_static_selectorELNS0_4arch9wavefront6targetE0EEEvT1_
	.p2align	8
	.type	_ZN7rocprim17ROCPRIM_400000_NS6detail17trampoline_kernelINS0_14default_configENS1_29reduce_by_key_config_selectorItjN6thrust23THRUST_200600_302600_NS4plusIjEEEEZZNS1_33reduce_by_key_impl_wrapped_configILNS1_25lookback_scan_determinismE0ES3_S9_NS6_6detail15normal_iteratorINS6_10device_ptrItEEEENSD_INSE_IjEEEESG_SI_PmS8_NS6_8equal_toItEEEE10hipError_tPvRmT2_T3_mT4_T5_T6_T7_T8_P12ihipStream_tbENKUlT_T0_E_clISt17integral_constantIbLb1EES13_EEDaSY_SZ_EUlSY_E_NS1_11comp_targetILNS1_3genE9ELNS1_11target_archE1100ELNS1_3gpuE3ELNS1_3repE0EEENS1_30default_config_static_selectorELNS0_4arch9wavefront6targetE0EEEvT1_,@function
_ZN7rocprim17ROCPRIM_400000_NS6detail17trampoline_kernelINS0_14default_configENS1_29reduce_by_key_config_selectorItjN6thrust23THRUST_200600_302600_NS4plusIjEEEEZZNS1_33reduce_by_key_impl_wrapped_configILNS1_25lookback_scan_determinismE0ES3_S9_NS6_6detail15normal_iteratorINS6_10device_ptrItEEEENSD_INSE_IjEEEESG_SI_PmS8_NS6_8equal_toItEEEE10hipError_tPvRmT2_T3_mT4_T5_T6_T7_T8_P12ihipStream_tbENKUlT_T0_E_clISt17integral_constantIbLb1EES13_EEDaSY_SZ_EUlSY_E_NS1_11comp_targetILNS1_3genE9ELNS1_11target_archE1100ELNS1_3gpuE3ELNS1_3repE0EEENS1_30default_config_static_selectorELNS0_4arch9wavefront6targetE0EEEvT1_: ; @_ZN7rocprim17ROCPRIM_400000_NS6detail17trampoline_kernelINS0_14default_configENS1_29reduce_by_key_config_selectorItjN6thrust23THRUST_200600_302600_NS4plusIjEEEEZZNS1_33reduce_by_key_impl_wrapped_configILNS1_25lookback_scan_determinismE0ES3_S9_NS6_6detail15normal_iteratorINS6_10device_ptrItEEEENSD_INSE_IjEEEESG_SI_PmS8_NS6_8equal_toItEEEE10hipError_tPvRmT2_T3_mT4_T5_T6_T7_T8_P12ihipStream_tbENKUlT_T0_E_clISt17integral_constantIbLb1EES13_EEDaSY_SZ_EUlSY_E_NS1_11comp_targetILNS1_3genE9ELNS1_11target_archE1100ELNS1_3gpuE3ELNS1_3repE0EEENS1_30default_config_static_selectorELNS0_4arch9wavefront6targetE0EEEvT1_
; %bb.0:
	s_clause 0x4
	s_load_b256 s[12:19], s[0:1], 0x0
	s_load_b128 s[28:31], s[0:1], 0x20
	s_load_b256 s[20:27], s[0:1], 0x38
	s_load_b64 s[34:35], s[0:1], 0x68
	s_load_b128 s[36:39], s[0:1], 0x58
	v_cmp_ne_u32_e64 s3, 0, v0
	v_cmp_eq_u32_e64 s2, 0, v0
	s_delay_alu instid0(VALU_DEP_1)
	s_and_saveexec_b32 s4, s2
	s_cbranch_execz .LBB749_4
; %bb.1:
	s_mov_b32 s6, exec_lo
	s_mov_b32 s5, exec_lo
	v_mbcnt_lo_u32_b32 v1, s6, 0
                                        ; implicit-def: $vgpr2
	s_delay_alu instid0(VALU_DEP_1)
	v_cmpx_eq_u32_e32 0, v1
	s_cbranch_execz .LBB749_3
; %bb.2:
	s_load_b64 s[0:1], s[0:1], 0x70
	s_bcnt1_i32_b32 s6, s6
	s_delay_alu instid0(SALU_CYCLE_1)
	v_dual_mov_b32 v2, 0 :: v_dual_mov_b32 v3, s6
	s_waitcnt lgkmcnt(0)
	global_atomic_add_u32 v2, v2, v3, s[0:1] glc
.LBB749_3:
	s_or_b32 exec_lo, exec_lo, s5
	s_waitcnt vmcnt(0)
	v_readfirstlane_b32 s0, v2
	s_delay_alu instid0(VALU_DEP_1)
	v_dual_mov_b32 v2, 0 :: v_dual_add_nc_u32 v1, s0, v1
	ds_store_b32 v2, v1
.LBB749_4:
	s_or_b32 exec_lo, exec_lo, s4
	v_mov_b32_e32 v2, 0
	s_waitcnt lgkmcnt(0)
	s_barrier
	buffer_gl0_inv
	s_lshl_b64 s[0:1], s[14:15], 1
	ds_load_b32 v1, v2
	s_add_u32 s10, s12, s0
	s_addc_u32 s1, s13, s1
	s_lshl_b64 s[4:5], s[14:15], 2
	s_mul_i32 s6, s24, s23
	s_mul_hi_u32 s7, s24, s22
	s_add_u32 s11, s16, s4
	s_mul_i32 s8, s25, s22
	s_addc_u32 s12, s17, s5
	s_add_i32 s4, s7, s6
	s_mul_i32 s9, s24, s22
	s_add_i32 s4, s4, s8
	s_mov_b32 s0, 0
	s_waitcnt lgkmcnt(0)
	s_barrier
	buffer_gl0_inv
	v_readfirstlane_b32 s40, v1
	v_mul_lo_u32 v1, 0xf00, v1
	s_delay_alu instid0(VALU_DEP_2) | instskip(SKIP_3) | instid1(VALU_DEP_1)
	s_add_u32 s24, s9, s40
	s_addc_u32 s25, s4, 0
	s_add_u32 s4, s26, -1
	s_addc_u32 s5, s27, -1
	v_lshlrev_b64 v[3:4], 1, v[1:2]
	v_lshlrev_b64 v[1:2], 2, v[1:2]
	s_cmp_eq_u64 s[24:25], s[4:5]
	s_mul_i32 s27, s4, 0xfffff100
	s_cselect_b32 s26, -1, 0
	s_cmp_lg_u64 s[24:25], s[4:5]
	v_add_co_u32 v6, vcc_lo, s10, v3
	v_add_co_ci_u32_e32 v5, vcc_lo, s1, v4, vcc_lo
	v_add_co_u32 v7, vcc_lo, s11, v1
	v_add_co_ci_u32_e32 v8, vcc_lo, s12, v2, vcc_lo
	s_cselect_b32 s17, -1, 0
	s_and_b32 vcc_lo, exec_lo, s26
	s_cbranch_vccnz .LBB749_6
; %bb.5:
	v_lshlrev_b32_e32 v13, 1, v0
	v_mad_u32_u24 v30, v0, 15, 3
	v_mad_u32_u24 v35, v0, 15, 7
	;; [unrolled: 1-line block ×4, first 2 shown]
	v_add_co_u32 v1, vcc_lo, v6, v13
	v_add_co_ci_u32_e32 v2, vcc_lo, 0, v5, vcc_lo
	v_mad_u32_u24 v31, v0, 28, v13
	s_delay_alu instid0(VALU_DEP_3) | instskip(NEXT) | instid1(VALU_DEP_3)
	v_add_co_u32 v3, vcc_lo, 0x1000, v1
	v_add_co_ci_u32_e32 v4, vcc_lo, 0, v2, vcc_lo
	s_clause 0xe
	flat_load_u16 v14, v[1:2]
	flat_load_u16 v15, v[1:2] offset:512
	flat_load_u16 v20, v[1:2] offset:1024
	;; [unrolled: 1-line block ×7, first 2 shown]
	flat_load_u16 v2, v[3:4]
	flat_load_u16 v25, v[3:4] offset:512
	flat_load_u16 v26, v[3:4] offset:1024
	;; [unrolled: 1-line block ×6, first 2 shown]
	v_lshlrev_b32_e32 v4, 2, v0
	v_mad_u32_u24 v32, v0, 15, 13
	s_waitcnt vmcnt(14) lgkmcnt(14)
	ds_store_b16 v13, v14
	s_waitcnt vmcnt(13) lgkmcnt(14)
	ds_store_b16 v13, v15 offset:512
	s_waitcnt vmcnt(12) lgkmcnt(14)
	ds_store_b16 v13, v20 offset:1024
	;; [unrolled: 2-line block ×14, first 2 shown]
	v_add_co_u32 v9, vcc_lo, v7, v4
	v_add_co_ci_u32_e32 v10, vcc_lo, 0, v8, vcc_lo
	s_waitcnt lgkmcnt(0)
	s_delay_alu instid0(VALU_DEP_2) | instskip(NEXT) | instid1(VALU_DEP_2)
	v_add_co_u32 v11, vcc_lo, 0x1000, v9
	v_add_co_ci_u32_e32 v12, vcc_lo, 0, v10, vcc_lo
	v_add_co_u32 v16, vcc_lo, 0x2000, v9
	v_add_co_ci_u32_e32 v17, vcc_lo, 0, v10, vcc_lo
	;; [unrolled: 2-line block ×3, first 2 shown]
	s_barrier
	buffer_gl0_inv
	ds_load_u16 v50, v31
	ds_load_b128 v[1:4], v31 offset:2
	ds_load_b96 v[13:15], v31 offset:18
	s_waitcnt lgkmcnt(0)
	s_barrier
	buffer_gl0_inv
	s_clause 0xe
	flat_load_b32 v20, v[9:10]
	flat_load_b32 v21, v[9:10] offset:1024
	flat_load_b32 v22, v[9:10] offset:2048
	flat_load_b32 v9, v[9:10] offset:3072
	flat_load_b32 v23, v[11:12]
	flat_load_b32 v24, v[11:12] offset:1024
	flat_load_b32 v25, v[11:12] offset:2048
	flat_load_b32 v26, v[11:12] offset:3072
	;; [unrolled: 4-line block ×3, first 2 shown]
	flat_load_b32 v17, v[18:19]
	flat_load_b32 v36, v[18:19] offset:1024
	flat_load_b32 v18, v[18:19] offset:2048
	v_mul_u32_u24_e32 v10, 15, v0
	v_mad_u32_u24 v11, v0, 15, 1
	v_mad_u32_u24 v12, v0, 15, 5
	v_mad_i32_i24 v19, 0xffffffe6, v0, v31
	s_waitcnt vmcnt(13) lgkmcnt(13)
	ds_store_2addr_stride64_b32 v19, v20, v21 offset1:4
	s_waitcnt vmcnt(11) lgkmcnt(12)
	ds_store_2addr_stride64_b32 v19, v22, v9 offset0:8 offset1:12
	s_waitcnt vmcnt(9) lgkmcnt(11)
	ds_store_2addr_stride64_b32 v19, v23, v24 offset0:16 offset1:20
	;; [unrolled: 2-line block ×6, first 2 shown]
	s_waitcnt vmcnt(0) lgkmcnt(7)
	ds_store_b32 v19, v18 offset:14336
	s_waitcnt lgkmcnt(0)
	s_barrier
	s_and_not1_b32 vcc_lo, exec_lo, s0
	s_add_i32 s27, s27, s36
	s_cbranch_vccz .LBB749_7
	s_branch .LBB749_68
.LBB749_6:
                                        ; implicit-def: $vgpr1
                                        ; implicit-def: $vgpr13
                                        ; implicit-def: $vgpr32
                                        ; implicit-def: $vgpr33
                                        ; implicit-def: $vgpr34
                                        ; implicit-def: $vgpr35
                                        ; implicit-def: $vgpr12
                                        ; implicit-def: $vgpr30
                                        ; implicit-def: $vgpr11
                                        ; implicit-def: $vgpr10
                                        ; implicit-def: $vgpr50
	s_add_i32 s27, s27, s36
.LBB749_7:
	s_delay_alu instid0(SALU_CYCLE_1)
	v_cmp_gt_u32_e32 vcc_lo, s27, v0
                                        ; implicit-def: $vgpr1
	s_and_saveexec_b32 s1, vcc_lo
	s_cbranch_execz .LBB749_9
; %bb.8:
	v_lshlrev_b32_e32 v1, 1, v0
	s_delay_alu instid0(VALU_DEP_1) | instskip(NEXT) | instid1(VALU_DEP_1)
	v_add_co_u32 v1, s0, v6, v1
	v_add_co_ci_u32_e64 v2, s0, 0, v5, s0
	flat_load_u16 v1, v[1:2]
.LBB749_9:
	s_or_b32 exec_lo, exec_lo, s1
	v_or_b32_e32 v2, 0x100, v0
	s_delay_alu instid0(VALU_DEP_1) | instskip(NEXT) | instid1(VALU_DEP_1)
	v_cmp_gt_u32_e64 s0, s27, v2
                                        ; implicit-def: $vgpr2
	s_and_saveexec_b32 s4, s0
	s_cbranch_execz .LBB749_11
; %bb.10:
	v_lshlrev_b32_e32 v2, 1, v0
	s_delay_alu instid0(VALU_DEP_1) | instskip(NEXT) | instid1(VALU_DEP_1)
	v_add_co_u32 v2, s1, v6, v2
	v_add_co_ci_u32_e64 v3, s1, 0, v5, s1
	flat_load_u16 v2, v[2:3] offset:512
.LBB749_11:
	s_or_b32 exec_lo, exec_lo, s4
	v_or_b32_e32 v3, 0x200, v0
	s_delay_alu instid0(VALU_DEP_1) | instskip(NEXT) | instid1(VALU_DEP_1)
	v_cmp_gt_u32_e64 s1, s27, v3
                                        ; implicit-def: $vgpr3
	s_and_saveexec_b32 s5, s1
	s_cbranch_execz .LBB749_13
; %bb.12:
	v_lshlrev_b32_e32 v3, 1, v0
	s_delay_alu instid0(VALU_DEP_1) | instskip(NEXT) | instid1(VALU_DEP_1)
	v_add_co_u32 v3, s4, v6, v3
	v_add_co_ci_u32_e64 v4, s4, 0, v5, s4
	flat_load_u16 v3, v[3:4] offset:1024
.LBB749_13:
	s_or_b32 exec_lo, exec_lo, s5
	v_or_b32_e32 v4, 0x300, v0
	s_delay_alu instid0(VALU_DEP_1) | instskip(NEXT) | instid1(VALU_DEP_1)
	v_cmp_gt_u32_e64 s4, s27, v4
                                        ; implicit-def: $vgpr4
	s_and_saveexec_b32 s6, s4
	s_cbranch_execz .LBB749_15
; %bb.14:
	v_lshlrev_b32_e32 v4, 1, v0
	s_delay_alu instid0(VALU_DEP_1) | instskip(NEXT) | instid1(VALU_DEP_1)
	v_add_co_u32 v9, s5, v6, v4
	v_add_co_ci_u32_e64 v10, s5, 0, v5, s5
	flat_load_u16 v4, v[9:10] offset:1536
.LBB749_15:
	s_or_b32 exec_lo, exec_lo, s6
	v_or_b32_e32 v9, 0x400, v0
                                        ; implicit-def: $vgpr13
	s_delay_alu instid0(VALU_DEP_1) | instskip(NEXT) | instid1(VALU_DEP_1)
	v_cmp_gt_u32_e64 s5, s27, v9
	s_and_saveexec_b32 s7, s5
	s_cbranch_execz .LBB749_17
; %bb.16:
	v_lshlrev_b32_e32 v10, 1, v0
	s_delay_alu instid0(VALU_DEP_1) | instskip(NEXT) | instid1(VALU_DEP_1)
	v_add_co_u32 v10, s6, v6, v10
	v_add_co_ci_u32_e64 v11, s6, 0, v5, s6
	flat_load_u16 v13, v[10:11] offset:2048
.LBB749_17:
	s_or_b32 exec_lo, exec_lo, s7
	v_or_b32_e32 v10, 0x500, v0
                                        ; implicit-def: $vgpr14
	s_delay_alu instid0(VALU_DEP_1) | instskip(NEXT) | instid1(VALU_DEP_1)
	v_cmp_gt_u32_e64 s6, s27, v10
	s_and_saveexec_b32 s8, s6
	s_cbranch_execz .LBB749_19
; %bb.18:
	v_lshlrev_b32_e32 v11, 1, v0
	s_delay_alu instid0(VALU_DEP_1) | instskip(NEXT) | instid1(VALU_DEP_1)
	v_add_co_u32 v11, s7, v6, v11
	v_add_co_ci_u32_e64 v12, s7, 0, v5, s7
	flat_load_u16 v14, v[11:12] offset:2560
.LBB749_19:
	s_or_b32 exec_lo, exec_lo, s8
	v_or_b32_e32 v11, 0x600, v0
                                        ; implicit-def: $vgpr15
	s_delay_alu instid0(VALU_DEP_1) | instskip(NEXT) | instid1(VALU_DEP_1)
	v_cmp_gt_u32_e64 s7, s27, v11
	s_and_saveexec_b32 s9, s7
	s_cbranch_execz .LBB749_21
; %bb.20:
	v_lshlrev_b32_e32 v12, 1, v0
	s_delay_alu instid0(VALU_DEP_1) | instskip(NEXT) | instid1(VALU_DEP_1)
	v_add_co_u32 v15, s8, v6, v12
	v_add_co_ci_u32_e64 v16, s8, 0, v5, s8
	flat_load_u16 v15, v[15:16] offset:3072
.LBB749_21:
	s_or_b32 exec_lo, exec_lo, s9
	v_or_b32_e32 v12, 0x700, v0
                                        ; implicit-def: $vgpr23
	s_delay_alu instid0(VALU_DEP_1) | instskip(NEXT) | instid1(VALU_DEP_1)
	v_cmp_gt_u32_e64 s8, s27, v12
	s_and_saveexec_b32 s10, s8
	s_cbranch_execz .LBB749_23
; %bb.22:
	v_lshlrev_b32_e32 v16, 1, v0
	s_delay_alu instid0(VALU_DEP_1) | instskip(NEXT) | instid1(VALU_DEP_1)
	v_add_co_u32 v16, s9, v6, v16
	v_add_co_ci_u32_e64 v17, s9, 0, v5, s9
	flat_load_u16 v23, v[16:17] offset:3584
.LBB749_23:
	s_or_b32 exec_lo, exec_lo, s10
	v_or_b32_e32 v16, 0x800, v0
                                        ; implicit-def: $vgpr24
	s_delay_alu instid0(VALU_DEP_1) | instskip(NEXT) | instid1(VALU_DEP_1)
	v_cmp_gt_u32_e64 s9, s27, v16
	s_and_saveexec_b32 s11, s9
	s_cbranch_execz .LBB749_25
; %bb.24:
	v_lshlrev_b32_e32 v17, 1, v16
	s_delay_alu instid0(VALU_DEP_1) | instskip(NEXT) | instid1(VALU_DEP_1)
	v_add_co_u32 v17, s10, v6, v17
	v_add_co_ci_u32_e64 v18, s10, 0, v5, s10
	flat_load_u16 v24, v[17:18]
.LBB749_25:
	s_or_b32 exec_lo, exec_lo, s11
	v_or_b32_e32 v17, 0x900, v0
                                        ; implicit-def: $vgpr25
	s_delay_alu instid0(VALU_DEP_1) | instskip(NEXT) | instid1(VALU_DEP_1)
	v_cmp_gt_u32_e64 s10, s27, v17
	s_and_saveexec_b32 s12, s10
	s_cbranch_execz .LBB749_27
; %bb.26:
	v_lshlrev_b32_e32 v18, 1, v17
	s_delay_alu instid0(VALU_DEP_1) | instskip(NEXT) | instid1(VALU_DEP_1)
	v_add_co_u32 v18, s11, v6, v18
	v_add_co_ci_u32_e64 v19, s11, 0, v5, s11
	flat_load_u16 v25, v[18:19]
.LBB749_27:
	s_or_b32 exec_lo, exec_lo, s12
	v_or_b32_e32 v18, 0xa00, v0
                                        ; implicit-def: $vgpr26
	s_delay_alu instid0(VALU_DEP_1) | instskip(NEXT) | instid1(VALU_DEP_1)
	v_cmp_gt_u32_e64 s11, s27, v18
	s_and_saveexec_b32 s13, s11
	s_cbranch_execz .LBB749_29
; %bb.28:
	v_lshlrev_b32_e32 v19, 1, v18
	s_delay_alu instid0(VALU_DEP_1) | instskip(NEXT) | instid1(VALU_DEP_1)
	v_add_co_u32 v19, s12, v6, v19
	v_add_co_ci_u32_e64 v20, s12, 0, v5, s12
	flat_load_u16 v26, v[19:20]
.LBB749_29:
	s_or_b32 exec_lo, exec_lo, s13
	v_or_b32_e32 v19, 0xb00, v0
                                        ; implicit-def: $vgpr27
	s_delay_alu instid0(VALU_DEP_1) | instskip(NEXT) | instid1(VALU_DEP_1)
	v_cmp_gt_u32_e64 s12, s27, v19
	s_and_saveexec_b32 s14, s12
	s_cbranch_execz .LBB749_31
; %bb.30:
	v_lshlrev_b32_e32 v20, 1, v19
	s_delay_alu instid0(VALU_DEP_1) | instskip(NEXT) | instid1(VALU_DEP_1)
	v_add_co_u32 v20, s13, v6, v20
	v_add_co_ci_u32_e64 v21, s13, 0, v5, s13
	flat_load_u16 v27, v[20:21]
.LBB749_31:
	s_or_b32 exec_lo, exec_lo, s14
	v_or_b32_e32 v20, 0xc00, v0
                                        ; implicit-def: $vgpr28
	s_delay_alu instid0(VALU_DEP_1) | instskip(NEXT) | instid1(VALU_DEP_1)
	v_cmp_gt_u32_e64 s13, s27, v20
	s_and_saveexec_b32 s15, s13
	s_cbranch_execz .LBB749_33
; %bb.32:
	v_lshlrev_b32_e32 v21, 1, v20
	s_delay_alu instid0(VALU_DEP_1) | instskip(NEXT) | instid1(VALU_DEP_1)
	v_add_co_u32 v21, s14, v6, v21
	v_add_co_ci_u32_e64 v22, s14, 0, v5, s14
	flat_load_u16 v28, v[21:22]
.LBB749_33:
	s_or_b32 exec_lo, exec_lo, s15
	v_or_b32_e32 v21, 0xd00, v0
                                        ; implicit-def: $vgpr29
	s_delay_alu instid0(VALU_DEP_1) | instskip(NEXT) | instid1(VALU_DEP_1)
	v_cmp_gt_u32_e64 s14, s27, v21
	s_and_saveexec_b32 s16, s14
	s_cbranch_execz .LBB749_35
; %bb.34:
	v_lshlrev_b32_e32 v22, 1, v21
	s_delay_alu instid0(VALU_DEP_1) | instskip(NEXT) | instid1(VALU_DEP_1)
	v_add_co_u32 v29, s15, v6, v22
	v_add_co_ci_u32_e64 v30, s15, 0, v5, s15
	flat_load_u16 v29, v[29:30]
.LBB749_35:
	s_or_b32 exec_lo, exec_lo, s16
	v_or_b32_e32 v22, 0xe00, v0
                                        ; implicit-def: $vgpr30
	s_delay_alu instid0(VALU_DEP_1) | instskip(NEXT) | instid1(VALU_DEP_1)
	v_cmp_gt_u32_e64 s15, s27, v22
	s_and_saveexec_b32 s33, s15
	s_cbranch_execz .LBB749_37
; %bb.36:
	v_lshlrev_b32_e32 v30, 1, v22
	s_delay_alu instid0(VALU_DEP_1) | instskip(NEXT) | instid1(VALU_DEP_1)
	v_add_co_u32 v30, s16, v6, v30
	v_add_co_ci_u32_e64 v31, s16, 0, v5, s16
	flat_load_u16 v30, v[30:31]
.LBB749_37:
	s_or_b32 exec_lo, exec_lo, s33
	v_lshlrev_b32_e32 v31, 1, v0
	s_waitcnt vmcnt(0) lgkmcnt(0)
	ds_store_b16 v31, v1
	ds_store_b16 v31, v2 offset:512
	ds_store_b16 v31, v3 offset:1024
	;; [unrolled: 1-line block ×7, first 2 shown]
	v_mad_u32_u24 v23, v0, 28, v31
	ds_store_b16 v31, v24 offset:4096
	ds_store_b16 v31, v25 offset:4608
	ds_store_b16 v31, v26 offset:5120
	ds_store_b16 v31, v27 offset:5632
	ds_store_b16 v31, v28 offset:6144
	ds_store_b16 v31, v29 offset:6656
	ds_store_b16 v31, v30 offset:7168
	s_waitcnt lgkmcnt(0)
	s_barrier
	buffer_gl0_inv
	ds_load_u16 v50, v23
	ds_load_b128 v[1:4], v23 offset:2
	ds_load_b96 v[13:15], v23 offset:18
	s_waitcnt lgkmcnt(0)
	s_barrier
	buffer_gl0_inv
                                        ; implicit-def: $vgpr24
	s_and_saveexec_b32 s16, vcc_lo
	s_cbranch_execz .LBB749_51
; %bb.38:
	v_lshlrev_b32_e32 v24, 2, v0
	s_delay_alu instid0(VALU_DEP_1)
	v_add_co_u32 v24, vcc_lo, v7, v24
	v_add_co_ci_u32_e32 v25, vcc_lo, 0, v8, vcc_lo
	flat_load_b32 v24, v[24:25]
	s_or_b32 exec_lo, exec_lo, s16
                                        ; implicit-def: $vgpr25
	s_and_saveexec_b32 s16, s0
	s_cbranch_execnz .LBB749_52
.LBB749_39:
	s_or_b32 exec_lo, exec_lo, s16
                                        ; implicit-def: $vgpr26
	s_and_saveexec_b32 s0, s1
	s_cbranch_execz .LBB749_53
.LBB749_40:
	v_lshlrev_b32_e32 v26, 2, v0
	s_delay_alu instid0(VALU_DEP_1)
	v_add_co_u32 v26, vcc_lo, v7, v26
	v_add_co_ci_u32_e32 v27, vcc_lo, 0, v8, vcc_lo
	flat_load_b32 v26, v[26:27] offset:2048
	s_or_b32 exec_lo, exec_lo, s0
                                        ; implicit-def: $vgpr27
	s_and_saveexec_b32 s0, s4
	s_cbranch_execnz .LBB749_54
.LBB749_41:
	s_or_b32 exec_lo, exec_lo, s0
                                        ; implicit-def: $vgpr28
	s_and_saveexec_b32 s0, s5
	s_cbranch_execz .LBB749_55
.LBB749_42:
	v_lshlrev_b32_e32 v9, 2, v9
	s_delay_alu instid0(VALU_DEP_1)
	v_add_co_u32 v28, vcc_lo, v7, v9
	v_add_co_ci_u32_e32 v29, vcc_lo, 0, v8, vcc_lo
	flat_load_b32 v28, v[28:29]
	s_or_b32 exec_lo, exec_lo, s0
                                        ; implicit-def: $vgpr9
	s_and_saveexec_b32 s0, s6
	s_cbranch_execnz .LBB749_56
.LBB749_43:
	s_or_b32 exec_lo, exec_lo, s0
                                        ; implicit-def: $vgpr29
	s_and_saveexec_b32 s0, s7
	s_cbranch_execz .LBB749_57
.LBB749_44:
	v_lshlrev_b32_e32 v10, 2, v11
	s_delay_alu instid0(VALU_DEP_1)
	v_add_co_u32 v10, vcc_lo, v7, v10
	v_add_co_ci_u32_e32 v11, vcc_lo, 0, v8, vcc_lo
	flat_load_b32 v29, v[10:11]
	s_or_b32 exec_lo, exec_lo, s0
                                        ; implicit-def: $vgpr31
	s_and_saveexec_b32 s0, s8
	s_cbranch_execnz .LBB749_58
.LBB749_45:
	s_or_b32 exec_lo, exec_lo, s0
                                        ; implicit-def: $vgpr36
	s_and_saveexec_b32 s0, s9
	s_cbranch_execz .LBB749_59
.LBB749_46:
	v_lshlrev_b32_e32 v10, 2, v16
	s_delay_alu instid0(VALU_DEP_1)
	v_add_co_u32 v10, vcc_lo, v7, v10
	v_add_co_ci_u32_e32 v11, vcc_lo, 0, v8, vcc_lo
	flat_load_b32 v36, v[10:11]
	s_or_b32 exec_lo, exec_lo, s0
                                        ; implicit-def: $vgpr16
	s_and_saveexec_b32 s0, s10
	s_cbranch_execnz .LBB749_60
.LBB749_47:
	s_or_b32 exec_lo, exec_lo, s0
                                        ; implicit-def: $vgpr17
	s_and_saveexec_b32 s0, s11
	s_cbranch_execz .LBB749_61
.LBB749_48:
	v_lshlrev_b32_e32 v10, 2, v18
	s_delay_alu instid0(VALU_DEP_1)
	v_add_co_u32 v10, vcc_lo, v7, v10
	v_add_co_ci_u32_e32 v11, vcc_lo, 0, v8, vcc_lo
	flat_load_b32 v17, v[10:11]
	s_or_b32 exec_lo, exec_lo, s0
                                        ; implicit-def: $vgpr18
	s_and_saveexec_b32 s0, s12
	s_cbranch_execnz .LBB749_62
.LBB749_49:
	s_or_b32 exec_lo, exec_lo, s0
                                        ; implicit-def: $vgpr19
	s_and_saveexec_b32 s0, s13
	s_cbranch_execz .LBB749_63
.LBB749_50:
	v_lshlrev_b32_e32 v10, 2, v20
	s_delay_alu instid0(VALU_DEP_1)
	v_add_co_u32 v10, vcc_lo, v7, v10
	v_add_co_ci_u32_e32 v11, vcc_lo, 0, v8, vcc_lo
	flat_load_b32 v19, v[10:11]
	s_or_b32 exec_lo, exec_lo, s0
                                        ; implicit-def: $vgpr20
	s_and_saveexec_b32 s0, s14
	s_cbranch_execz .LBB749_65
	s_branch .LBB749_64
.LBB749_51:
	s_or_b32 exec_lo, exec_lo, s16
                                        ; implicit-def: $vgpr25
	s_and_saveexec_b32 s16, s0
	s_cbranch_execz .LBB749_39
.LBB749_52:
	v_lshlrev_b32_e32 v25, 2, v0
	s_delay_alu instid0(VALU_DEP_1)
	v_add_co_u32 v25, vcc_lo, v7, v25
	v_add_co_ci_u32_e32 v26, vcc_lo, 0, v8, vcc_lo
	flat_load_b32 v25, v[25:26] offset:1024
	s_or_b32 exec_lo, exec_lo, s16
                                        ; implicit-def: $vgpr26
	s_and_saveexec_b32 s0, s1
	s_cbranch_execnz .LBB749_40
.LBB749_53:
	s_or_b32 exec_lo, exec_lo, s0
                                        ; implicit-def: $vgpr27
	s_and_saveexec_b32 s0, s4
	s_cbranch_execz .LBB749_41
.LBB749_54:
	v_lshlrev_b32_e32 v27, 2, v0
	s_delay_alu instid0(VALU_DEP_1)
	v_add_co_u32 v27, vcc_lo, v7, v27
	v_add_co_ci_u32_e32 v28, vcc_lo, 0, v8, vcc_lo
	flat_load_b32 v27, v[27:28] offset:3072
	s_or_b32 exec_lo, exec_lo, s0
                                        ; implicit-def: $vgpr28
	s_and_saveexec_b32 s0, s5
	s_cbranch_execnz .LBB749_42
.LBB749_55:
	s_or_b32 exec_lo, exec_lo, s0
                                        ; implicit-def: $vgpr9
	s_and_saveexec_b32 s0, s6
	s_cbranch_execz .LBB749_43
.LBB749_56:
	v_lshlrev_b32_e32 v9, 2, v10
	s_delay_alu instid0(VALU_DEP_1)
	v_add_co_u32 v9, vcc_lo, v7, v9
	v_add_co_ci_u32_e32 v10, vcc_lo, 0, v8, vcc_lo
	flat_load_b32 v9, v[9:10]
	s_or_b32 exec_lo, exec_lo, s0
                                        ; implicit-def: $vgpr29
	s_and_saveexec_b32 s0, s7
	s_cbranch_execnz .LBB749_44
.LBB749_57:
	s_or_b32 exec_lo, exec_lo, s0
                                        ; implicit-def: $vgpr31
	s_and_saveexec_b32 s0, s8
	s_cbranch_execz .LBB749_45
.LBB749_58:
	v_lshlrev_b32_e32 v10, 2, v12
	s_delay_alu instid0(VALU_DEP_1)
	v_add_co_u32 v10, vcc_lo, v7, v10
	v_add_co_ci_u32_e32 v11, vcc_lo, 0, v8, vcc_lo
	flat_load_b32 v31, v[10:11]
	s_or_b32 exec_lo, exec_lo, s0
                                        ; implicit-def: $vgpr36
	s_and_saveexec_b32 s0, s9
	s_cbranch_execnz .LBB749_46
.LBB749_59:
	s_or_b32 exec_lo, exec_lo, s0
                                        ; implicit-def: $vgpr16
	s_and_saveexec_b32 s0, s10
	s_cbranch_execz .LBB749_47
.LBB749_60:
	v_lshlrev_b32_e32 v10, 2, v17
	s_delay_alu instid0(VALU_DEP_1)
	v_add_co_u32 v10, vcc_lo, v7, v10
	v_add_co_ci_u32_e32 v11, vcc_lo, 0, v8, vcc_lo
	flat_load_b32 v16, v[10:11]
	s_or_b32 exec_lo, exec_lo, s0
                                        ; implicit-def: $vgpr17
	s_and_saveexec_b32 s0, s11
	s_cbranch_execnz .LBB749_48
.LBB749_61:
	s_or_b32 exec_lo, exec_lo, s0
                                        ; implicit-def: $vgpr18
	s_and_saveexec_b32 s0, s12
	s_cbranch_execz .LBB749_49
.LBB749_62:
	v_lshlrev_b32_e32 v10, 2, v19
	s_delay_alu instid0(VALU_DEP_1)
	v_add_co_u32 v10, vcc_lo, v7, v10
	v_add_co_ci_u32_e32 v11, vcc_lo, 0, v8, vcc_lo
	flat_load_b32 v18, v[10:11]
	s_or_b32 exec_lo, exec_lo, s0
                                        ; implicit-def: $vgpr19
	s_and_saveexec_b32 s0, s13
	s_cbranch_execnz .LBB749_50
.LBB749_63:
	s_or_b32 exec_lo, exec_lo, s0
                                        ; implicit-def: $vgpr20
	s_and_saveexec_b32 s0, s14
	s_cbranch_execz .LBB749_65
.LBB749_64:
	v_lshlrev_b32_e32 v10, 2, v21
	s_delay_alu instid0(VALU_DEP_1)
	v_add_co_u32 v10, vcc_lo, v7, v10
	v_add_co_ci_u32_e32 v11, vcc_lo, 0, v8, vcc_lo
	flat_load_b32 v20, v[10:11]
.LBB749_65:
	s_or_b32 exec_lo, exec_lo, s0
	v_mul_u32_u24_e32 v10, 15, v0
                                        ; implicit-def: $vgpr21
	s_and_saveexec_b32 s0, s15
	s_cbranch_execz .LBB749_67
; %bb.66:
	v_lshlrev_b32_e32 v11, 2, v22
	s_delay_alu instid0(VALU_DEP_1)
	v_add_co_u32 v7, vcc_lo, v7, v11
	v_add_co_ci_u32_e32 v8, vcc_lo, 0, v8, vcc_lo
	flat_load_b32 v21, v[7:8]
.LBB749_67:
	s_or_b32 exec_lo, exec_lo, s0
	s_delay_alu instid0(VALU_DEP_1)
	v_add_nc_u32_e32 v11, 1, v10
	v_add_nc_u32_e32 v30, 3, v10
	;; [unrolled: 1-line block ×3, first 2 shown]
	v_mad_i32_i24 v7, 0xffffffe6, v0, v23
	v_add_nc_u32_e32 v35, 7, v10
	v_add_nc_u32_e32 v34, 9, v10
	;; [unrolled: 1-line block ×4, first 2 shown]
	s_waitcnt vmcnt(0) lgkmcnt(0)
	ds_store_2addr_stride64_b32 v7, v24, v25 offset1:4
	ds_store_2addr_stride64_b32 v7, v26, v27 offset0:8 offset1:12
	ds_store_2addr_stride64_b32 v7, v28, v9 offset0:16 offset1:20
	;; [unrolled: 1-line block ×6, first 2 shown]
	ds_store_b32 v7, v21 offset:14336
	s_waitcnt lgkmcnt(0)
	s_barrier
.LBB749_68:
	v_lshlrev_b32_e32 v7, 2, v10
	buffer_gl0_inv
	v_lshlrev_b32_e32 v8, 2, v30
	v_lshlrev_b32_e32 v9, 2, v12
	;; [unrolled: 1-line block ×3, first 2 shown]
	ds_load_2addr_b32 v[22:23], v7 offset1:2
	ds_load_2addr_b32 v[20:21], v7 offset0:4 offset1:6
	ds_load_2addr_b32 v[18:19], v7 offset0:8 offset1:10
	;; [unrolled: 1-line block ×3, first 2 shown]
	v_lshlrev_b32_e32 v7, 2, v11
	v_lshlrev_b32_e32 v11, 2, v34
	;; [unrolled: 1-line block ×4, first 2 shown]
	ds_load_b32 v73, v7
	ds_load_b32 v72, v8
	;; [unrolled: 1-line block ×7, first 2 shown]
	s_cmp_eq_u64 s[24:25], 0
	s_waitcnt lgkmcnt(0)
	s_cselect_b32 s33, -1, 0
	s_cmp_lg_u64 s[24:25], 0
	s_barrier
	s_cselect_b32 s15, -1, 0
	s_and_b32 vcc_lo, exec_lo, s17
	buffer_gl0_inv
	s_cbranch_vccz .LBB749_74
; %bb.69:
	s_and_b32 vcc_lo, exec_lo, s15
	s_cbranch_vccz .LBB749_139
; %bb.70:
	v_add_co_u32 v7, vcc_lo, -2, v6
	v_add_co_ci_u32_e32 v8, vcc_lo, -1, v5, vcc_lo
	v_lshrrev_b32_e32 v10, 16, v14
	v_lshrrev_b32_e32 v11, 16, v13
	;; [unrolled: 1-line block ×3, first 2 shown]
	flat_load_u16 v7, v[7:8]
	v_lshrrev_b32_e32 v9, 16, v15
	v_cmp_ne_u16_e64 s0, v10, v15
	v_cmp_ne_u16_e64 s1, v14, v10
	v_cmp_ne_u16_e64 s4, v11, v14
	v_cmp_ne_u16_e64 s5, v13, v11
	v_lshrrev_b32_e32 v10, 16, v3
	v_cmp_ne_u16_e64 s6, v12, v13
	v_lshrrev_b32_e32 v11, 16, v2
	v_cmp_ne_u16_e64 s7, v4, v12
	v_lshrrev_b32_e32 v12, 16, v1
	v_lshlrev_b32_e32 v8, 1, v0
	v_cmp_ne_u16_e32 vcc_lo, v15, v9
	v_cmp_ne_u16_e64 s8, v10, v4
	v_cmp_ne_u16_e64 s9, v3, v10
	;; [unrolled: 1-line block ×7, first 2 shown]
	s_mov_b32 s41, -1
	ds_store_b16 v8, v9
	s_waitcnt vmcnt(0) lgkmcnt(0)
	s_barrier
	buffer_gl0_inv
	s_and_saveexec_b32 s16, s3
	s_cbranch_execz .LBB749_72
; %bb.71:
	v_add_nc_u32_e32 v7, -2, v8
	ds_load_u16 v7, v7
.LBB749_72:
	s_or_b32 exec_lo, exec_lo, s16
	v_cndmask_b32_e64 v57, 0, 1, vcc_lo
	v_cndmask_b32_e64 v51, 0, 1, s0
	v_cndmask_b32_e64 v52, 0, 1, s1
	;; [unrolled: 1-line block ×13, first 2 shown]
	s_waitcnt lgkmcnt(0)
	v_cmp_ne_u16_e64 s0, v7, v50
.LBB749_73:
                                        ; implicit-def: $sgpr42
	s_branch .LBB749_75
.LBB749_74:
	s_mov_b32 s41, 0
                                        ; implicit-def: $sgpr0
                                        ; implicit-def: $vgpr57
                                        ; implicit-def: $vgpr51
                                        ; implicit-def: $vgpr52
                                        ; implicit-def: $vgpr53
                                        ; implicit-def: $vgpr54
                                        ; implicit-def: $vgpr55
                                        ; implicit-def: $vgpr56
                                        ; implicit-def: $vgpr58
                                        ; implicit-def: $vgpr59
                                        ; implicit-def: $vgpr60
                                        ; implicit-def: $vgpr61
                                        ; implicit-def: $vgpr62
                                        ; implicit-def: $vgpr63
                                        ; implicit-def: $vgpr64
                                        ; implicit-def: $sgpr42
	s_cbranch_execnz .LBB749_143
.LBB749_75:
	v_mov_b32_e32 v65, s42
	s_and_saveexec_b32 s1, s41
.LBB749_76:
	s_delay_alu instid0(VALU_DEP_2)
	v_cndmask_b32_e64 v65, 0, 1, s0
.LBB749_77:
	s_or_b32 exec_lo, exec_lo, s1
	s_delay_alu instid0(VALU_DEP_1)
	v_add3_u32 v5, v64, v65, v63
	v_cmp_eq_u32_e64 s13, 0, v64
	v_cmp_eq_u32_e64 s12, 0, v63
	;; [unrolled: 1-line block ×4, first 2 shown]
	v_add3_u32 v77, v5, v62, v61
	v_cmp_eq_u32_e64 s9, 0, v60
	v_cmp_eq_u32_e64 s8, 0, v59
	;; [unrolled: 1-line block ×9, first 2 shown]
	v_cmp_eq_u32_e32 vcc_lo, 0, v57
	v_mbcnt_lo_u32_b32 v74, -1, 0
	v_lshrrev_b32_e32 v75, 5, v0
	v_or_b32_e32 v76, 31, v0
	s_cmp_eq_u64 s[22:23], 0
	s_cselect_b32 s16, -1, 0
	s_cmp_lg_u32 s40, 0
	s_cbranch_scc0 .LBB749_108
; %bb.78:
	v_cndmask_b32_e64 v5, 0, v22, s13
	v_add3_u32 v6, v77, v60, v59
	v_and_b32_e32 v8, 15, v74
	s_delay_alu instid0(VALU_DEP_3) | instskip(NEXT) | instid1(VALU_DEP_3)
	v_add_nc_u32_e32 v5, v5, v73
	v_add3_u32 v6, v6, v58, v56
	s_delay_alu instid0(VALU_DEP_3) | instskip(NEXT) | instid1(VALU_DEP_3)
	v_cmp_lt_u32_e64 s14, 1, v8
	v_cndmask_b32_e64 v5, 0, v5, s12
	s_delay_alu instid0(VALU_DEP_3) | instskip(NEXT) | instid1(VALU_DEP_2)
	v_add3_u32 v6, v6, v55, v54
	v_add_nc_u32_e32 v5, v5, v23
	s_delay_alu instid0(VALU_DEP_2) | instskip(NEXT) | instid1(VALU_DEP_2)
	v_add3_u32 v6, v6, v53, v52
	v_cndmask_b32_e64 v5, 0, v5, s11
	s_delay_alu instid0(VALU_DEP_2) | instskip(NEXT) | instid1(VALU_DEP_2)
	v_add3_u32 v6, v6, v51, v57
	v_add_nc_u32_e32 v5, v5, v72
	s_delay_alu instid0(VALU_DEP_2) | instskip(NEXT) | instid1(VALU_DEP_2)
	v_mov_b32_dpp v9, v6 row_shr:1 row_mask:0xf bank_mask:0xf
	v_cndmask_b32_e64 v5, 0, v5, s10
	s_delay_alu instid0(VALU_DEP_1) | instskip(NEXT) | instid1(VALU_DEP_1)
	v_add_nc_u32_e32 v5, v5, v20
	v_cndmask_b32_e64 v5, 0, v5, s9
	s_delay_alu instid0(VALU_DEP_1) | instskip(NEXT) | instid1(VALU_DEP_1)
	v_add_nc_u32_e32 v5, v5, v71
	;; [unrolled: 3-line block ×10, first 2 shown]
	v_cndmask_b32_e32 v5, 0, v5, vcc_lo
	v_cmp_eq_u32_e32 vcc_lo, 0, v6
	s_delay_alu instid0(VALU_DEP_2) | instskip(NEXT) | instid1(VALU_DEP_1)
	v_add_nc_u32_e32 v5, v5, v17
	v_mov_b32_dpp v7, v5 row_shr:1 row_mask:0xf bank_mask:0xf
	s_delay_alu instid0(VALU_DEP_1) | instskip(SKIP_2) | instid1(VALU_DEP_1)
	v_cndmask_b32_e32 v7, 0, v7, vcc_lo
	v_cmp_eq_u32_e32 vcc_lo, 0, v8
	v_cndmask_b32_e64 v9, v9, 0, vcc_lo
	v_add_nc_u32_e32 v6, v9, v6
	s_delay_alu instid0(VALU_DEP_4) | instskip(NEXT) | instid1(VALU_DEP_2)
	v_cndmask_b32_e64 v7, v7, 0, vcc_lo
	v_cmp_eq_u32_e32 vcc_lo, 0, v6
	s_delay_alu instid0(VALU_DEP_2) | instskip(SKIP_2) | instid1(VALU_DEP_2)
	v_add_nc_u32_e32 v5, v7, v5
	v_mov_b32_dpp v7, v6 row_shr:2 row_mask:0xf bank_mask:0xf
	s_and_b32 vcc_lo, s14, vcc_lo
	v_mov_b32_dpp v9, v5 row_shr:2 row_mask:0xf bank_mask:0xf
	s_delay_alu instid0(VALU_DEP_2) | instskip(SKIP_1) | instid1(VALU_DEP_2)
	v_cndmask_b32_e64 v7, 0, v7, s14
	v_cmp_lt_u32_e64 s14, 3, v8
	v_dual_cndmask_b32 v9, 0, v9 :: v_dual_add_nc_u32 v6, v6, v7
	s_delay_alu instid0(VALU_DEP_1) | instskip(NEXT) | instid1(VALU_DEP_2)
	v_add_nc_u32_e32 v5, v9, v5
	v_mov_b32_dpp v7, v6 row_shr:4 row_mask:0xf bank_mask:0xf
	v_cmp_eq_u32_e32 vcc_lo, 0, v6
	s_delay_alu instid0(VALU_DEP_3) | instskip(NEXT) | instid1(VALU_DEP_3)
	v_mov_b32_dpp v9, v5 row_shr:4 row_mask:0xf bank_mask:0xf
	v_cndmask_b32_e64 v7, 0, v7, s14
	s_and_b32 vcc_lo, s14, vcc_lo
	v_cmp_lt_u32_e64 s14, 7, v8
	s_delay_alu instid0(VALU_DEP_2) | instskip(NEXT) | instid1(VALU_DEP_1)
	v_dual_cndmask_b32 v9, 0, v9 :: v_dual_add_nc_u32 v6, v7, v6
	v_add_nc_u32_e32 v5, v5, v9
	s_delay_alu instid0(VALU_DEP_2) | instskip(SKIP_2) | instid1(VALU_DEP_4)
	v_cmp_eq_u32_e32 vcc_lo, 0, v6
	v_mov_b32_dpp v7, v6 row_shr:8 row_mask:0xf bank_mask:0xf
	v_bfe_i32 v9, v74, 4, 1
	v_mov_b32_dpp v8, v5 row_shr:8 row_mask:0xf bank_mask:0xf
	s_and_b32 vcc_lo, s14, vcc_lo
	s_delay_alu instid0(VALU_DEP_3) | instskip(SKIP_1) | instid1(VALU_DEP_2)
	v_cndmask_b32_e64 v7, 0, v7, s14
	s_mov_b32 s14, exec_lo
	v_cndmask_b32_e32 v8, 0, v8, vcc_lo
	s_delay_alu instid0(VALU_DEP_1) | instskip(NEXT) | instid1(VALU_DEP_3)
	v_add_nc_u32_e32 v8, v8, v5
	v_add_nc_u32_e32 v5, v7, v6
	ds_swizzle_b32 v6, v8 offset:swizzle(BROADCAST,32,15)
	ds_swizzle_b32 v7, v5 offset:swizzle(BROADCAST,32,15)
	v_cmp_eq_u32_e32 vcc_lo, 0, v5
	s_waitcnt lgkmcnt(0)
	v_dual_cndmask_b32 v6, 0, v6 :: v_dual_and_b32 v7, v9, v7
	s_delay_alu instid0(VALU_DEP_1) | instskip(NEXT) | instid1(VALU_DEP_2)
	v_and_b32_e32 v6, v9, v6
	v_add_nc_u32_e32 v5, v7, v5
	v_lshlrev_b32_e32 v7, 3, v75
	s_delay_alu instid0(VALU_DEP_3)
	v_add_nc_u32_e32 v6, v6, v8
	v_cmpx_eq_u32_e64 v76, v0
	s_cbranch_execz .LBB749_80
; %bb.79:
	ds_store_b64 v7, v[5:6] offset:1040
.LBB749_80:
	s_or_b32 exec_lo, exec_lo, s14
	s_delay_alu instid0(SALU_CYCLE_1)
	s_mov_b32 s15, exec_lo
	s_waitcnt lgkmcnt(0)
	s_barrier
	buffer_gl0_inv
	v_cmpx_gt_u32_e32 8, v0
	s_cbranch_execz .LBB749_82
; %bb.81:
	v_lshlrev_b32_e32 v10, 3, v0
	v_and_b32_e32 v12, 7, v74
	ds_load_b64 v[8:9], v10 offset:1040
	v_cmp_lt_u32_e64 s14, 1, v12
	s_waitcnt lgkmcnt(0)
	v_mov_b32_dpp v11, v9 row_shr:1 row_mask:0xf bank_mask:0xf
	v_cmp_eq_u32_e32 vcc_lo, 0, v8
	v_mov_b32_dpp v24, v8 row_shr:1 row_mask:0xf bank_mask:0xf
	s_delay_alu instid0(VALU_DEP_3) | instskip(SKIP_1) | instid1(VALU_DEP_3)
	v_cndmask_b32_e32 v11, 0, v11, vcc_lo
	v_cmp_eq_u32_e32 vcc_lo, 0, v12
	v_cndmask_b32_e64 v24, v24, 0, vcc_lo
	s_delay_alu instid0(VALU_DEP_3) | instskip(NEXT) | instid1(VALU_DEP_2)
	v_cndmask_b32_e64 v11, v11, 0, vcc_lo
	v_add_nc_u32_e32 v8, v24, v8
	s_delay_alu instid0(VALU_DEP_1) | instskip(SKIP_1) | instid1(VALU_DEP_3)
	v_cmp_eq_u32_e32 vcc_lo, 0, v8
	s_and_b32 vcc_lo, s14, vcc_lo
	v_add_nc_u32_e32 v9, v11, v9
	v_mov_b32_dpp v11, v8 row_shr:2 row_mask:0xf bank_mask:0xf
	s_delay_alu instid0(VALU_DEP_2) | instskip(NEXT) | instid1(VALU_DEP_2)
	v_mov_b32_dpp v24, v9 row_shr:2 row_mask:0xf bank_mask:0xf
	v_cndmask_b32_e64 v11, 0, v11, s14
	v_cmp_lt_u32_e64 s14, 3, v12
	s_delay_alu instid0(VALU_DEP_3) | instskip(NEXT) | instid1(VALU_DEP_3)
	v_cndmask_b32_e32 v24, 0, v24, vcc_lo
	v_add_nc_u32_e32 v8, v11, v8
	s_delay_alu instid0(VALU_DEP_1) | instskip(SKIP_3) | instid1(VALU_DEP_2)
	v_cmp_eq_u32_e32 vcc_lo, 0, v8
	v_mov_b32_dpp v11, v8 row_shr:4 row_mask:0xf bank_mask:0xf
	s_and_b32 vcc_lo, s14, vcc_lo
	v_add_nc_u32_e32 v9, v24, v9
	v_cndmask_b32_e64 v11, 0, v11, s14
	s_delay_alu instid0(VALU_DEP_2) | instskip(NEXT) | instid1(VALU_DEP_2)
	v_mov_b32_dpp v12, v9 row_shr:4 row_mask:0xf bank_mask:0xf
	v_add_nc_u32_e32 v8, v11, v8
	s_delay_alu instid0(VALU_DEP_2) | instskip(NEXT) | instid1(VALU_DEP_1)
	v_cndmask_b32_e32 v12, 0, v12, vcc_lo
	v_add_nc_u32_e32 v9, v12, v9
	ds_store_b64 v10, v[8:9] offset:1040
.LBB749_82:
	s_or_b32 exec_lo, exec_lo, s15
	v_cmp_gt_u32_e32 vcc_lo, 32, v0
	v_dual_mov_b32 v24, 0 :: v_dual_mov_b32 v25, 0
	s_mov_b32 s15, exec_lo
	s_waitcnt lgkmcnt(0)
	s_barrier
	buffer_gl0_inv
	v_cmpx_lt_u32_e32 31, v0
	s_cbranch_execz .LBB749_84
; %bb.83:
	ds_load_b64 v[24:25], v7 offset:1032
	v_cmp_eq_u32_e64 s14, 0, v5
	s_waitcnt lgkmcnt(0)
	s_delay_alu instid0(VALU_DEP_1) | instskip(SKIP_1) | instid1(VALU_DEP_2)
	v_cndmask_b32_e64 v7, 0, v25, s14
	v_add_nc_u32_e32 v5, v24, v5
	v_add_nc_u32_e32 v6, v7, v6
.LBB749_84:
	s_or_b32 exec_lo, exec_lo, s15
	v_add_nc_u32_e32 v7, -1, v74
	s_delay_alu instid0(VALU_DEP_1) | instskip(NEXT) | instid1(VALU_DEP_1)
	v_cmp_gt_i32_e64 s14, 0, v7
	v_cndmask_b32_e64 v7, v7, v74, s14
	v_cmp_eq_u32_e64 s14, 0, v74
	s_delay_alu instid0(VALU_DEP_2)
	v_lshlrev_b32_e32 v7, 2, v7
	ds_bpermute_b32 v30, v7, v5
	ds_bpermute_b32 v31, v7, v6
	s_and_saveexec_b32 s17, vcc_lo
	s_cbranch_execz .LBB749_107
; %bb.85:
	v_mov_b32_e32 v8, 0
	ds_load_b64 v[5:6], v8 offset:1096
	s_waitcnt lgkmcnt(0)
	v_readfirstlane_b32 s22, v6
	s_and_saveexec_b32 s15, s14
	s_cbranch_execz .LBB749_87
; %bb.86:
	s_add_i32 s24, s40, 32
	s_mov_b32 s25, 0
	v_mov_b32_e32 v7, 1
	s_lshl_b64 s[36:37], s[24:25], 4
	s_mov_b32 s42, s25
	s_add_u32 s36, s20, s36
	s_addc_u32 s37, s21, s37
	s_and_b32 s43, s22, 0xff000000
	s_and_b32 s45, s22, 0xff0000
	s_mov_b32 s44, s25
	v_dual_mov_b32 v9, s36 :: v_dual_mov_b32 v10, s37
	s_or_b64 s[42:43], s[44:45], s[42:43]
	s_and_b32 s45, s22, 0xff00
	s_delay_alu instid0(SALU_CYCLE_1) | instskip(SKIP_1) | instid1(SALU_CYCLE_1)
	s_or_b64 s[42:43], s[42:43], s[44:45]
	s_and_b32 s45, s22, 0xff
	s_or_b64 s[24:25], s[42:43], s[44:45]
	s_delay_alu instid0(SALU_CYCLE_1)
	v_mov_b32_e32 v6, s25
	;;#ASMSTART
	global_store_dwordx4 v[9:10], v[5:8] off	
s_waitcnt vmcnt(0)
	;;#ASMEND
.LBB749_87:
	s_or_b32 exec_lo, exec_lo, s15
	v_xad_u32 v26, v74, -1, s40
	s_mov_b32 s23, 0
	s_mov_b32 s15, exec_lo
	s_delay_alu instid0(VALU_DEP_1) | instskip(NEXT) | instid1(VALU_DEP_1)
	v_add_nc_u32_e32 v7, 32, v26
	v_lshlrev_b64 v[6:7], 4, v[7:8]
	s_delay_alu instid0(VALU_DEP_1) | instskip(NEXT) | instid1(VALU_DEP_2)
	v_add_co_u32 v6, vcc_lo, s20, v6
	v_add_co_ci_u32_e32 v7, vcc_lo, s21, v7, vcc_lo
	;;#ASMSTART
	global_load_dwordx4 v[9:12], v[6:7] off glc	
s_waitcnt vmcnt(0)
	;;#ASMEND
	v_and_b32_e32 v8, 0xff, v10
	v_and_b32_e32 v12, 0xff00, v10
	;; [unrolled: 1-line block ×3, first 2 shown]
	v_or3_b32 v9, v9, 0, 0
	v_and_b32_e32 v10, 0xff000000, v10
	s_delay_alu instid0(VALU_DEP_4) | instskip(SKIP_1) | instid1(VALU_DEP_4)
	v_or3_b32 v8, 0, v8, v12
	v_and_b32_e32 v12, 0xff, v11
	v_or3_b32 v9, v9, 0, 0
	s_delay_alu instid0(VALU_DEP_3) | instskip(NEXT) | instid1(VALU_DEP_3)
	v_or3_b32 v10, v8, v27, v10
	v_cmpx_eq_u16_e32 0, v12
	s_cbranch_execz .LBB749_93
; %bb.88:
	s_mov_b32 s24, 1
	.p2align	6
.LBB749_89:                             ; =>This Loop Header: Depth=1
                                        ;     Child Loop BB749_90 Depth 2
	s_delay_alu instid0(SALU_CYCLE_1)
	s_max_u32 s25, s24, 1
.LBB749_90:                             ;   Parent Loop BB749_89 Depth=1
                                        ; =>  This Inner Loop Header: Depth=2
	s_delay_alu instid0(SALU_CYCLE_1)
	s_add_i32 s25, s25, -1
	s_sleep 1
	s_cmp_eq_u32 s25, 0
	s_cbranch_scc0 .LBB749_90
; %bb.91:                               ;   in Loop: Header=BB749_89 Depth=1
	;;#ASMSTART
	global_load_dwordx4 v[9:12], v[6:7] off glc	
s_waitcnt vmcnt(0)
	;;#ASMEND
	v_and_b32_e32 v8, 0xff, v11
	s_cmp_lt_u32 s24, 32
	s_cselect_b32 s25, -1, 0
	s_delay_alu instid0(VALU_DEP_1) | instskip(SKIP_3) | instid1(SALU_CYCLE_1)
	v_cmp_ne_u16_e32 vcc_lo, 0, v8
	s_cmp_lg_u32 s25, 0
	s_addc_u32 s24, s24, 0
	s_or_b32 s23, vcc_lo, s23
	s_and_not1_b32 exec_lo, exec_lo, s23
	s_cbranch_execnz .LBB749_89
; %bb.92:
	s_or_b32 exec_lo, exec_lo, s23
.LBB749_93:
	s_delay_alu instid0(SALU_CYCLE_1)
	s_or_b32 exec_lo, exec_lo, s15
	v_cmp_ne_u32_e32 vcc_lo, 31, v74
	v_and_b32_e32 v7, 0xff, v11
	v_lshlrev_b32_e64 v32, v74, -1
	v_add_nc_u32_e32 v34, 2, v74
	v_add_nc_u32_e32 v36, 4, v74
	v_add_co_ci_u32_e32 v6, vcc_lo, 0, v74, vcc_lo
	v_cmp_eq_u16_e32 vcc_lo, 2, v7
	v_add_nc_u32_e32 v38, 8, v74
	v_add_nc_u32_e32 v40, 16, v74
	v_and_or_b32 v12, vcc_lo, v32, 0x80000000
	v_cmp_gt_u32_e32 vcc_lo, 30, v74
	s_delay_alu instid0(VALU_DEP_2) | instskip(SKIP_2) | instid1(VALU_DEP_3)
	v_ctz_i32_b32_e32 v12, v12
	v_cndmask_b32_e64 v27, 0, 1, vcc_lo
	v_cmp_eq_u32_e32 vcc_lo, 0, v9
	v_cmp_lt_u32_e64 s15, v74, v12
	s_delay_alu instid0(VALU_DEP_3) | instskip(NEXT) | instid1(VALU_DEP_2)
	v_lshlrev_b32_e32 v27, 1, v27
	s_and_b32 vcc_lo, s15, vcc_lo
	v_lshlrev_b32_e32 v6, 2, v6
	s_delay_alu instid0(VALU_DEP_2)
	v_add_lshl_u32 v33, v27, v74, 2
	ds_bpermute_b32 v7, v6, v10
	s_waitcnt lgkmcnt(0)
	v_cndmask_b32_e32 v7, 0, v7, vcc_lo
	ds_bpermute_b32 v8, v6, v9
	v_cmp_gt_u32_e32 vcc_lo, 28, v74
	v_add_nc_u32_e32 v7, v7, v10
	ds_bpermute_b32 v10, v33, v7
	s_waitcnt lgkmcnt(1)
	v_cndmask_b32_e64 v8, 0, v8, s15
	s_delay_alu instid0(VALU_DEP_1) | instskip(SKIP_1) | instid1(VALU_DEP_2)
	v_add_nc_u32_e32 v8, v8, v9
	v_cndmask_b32_e64 v9, 0, 1, vcc_lo
	v_cmp_eq_u32_e32 vcc_lo, 0, v8
	ds_bpermute_b32 v27, v33, v8
	s_waitcnt lgkmcnt(1)
	v_dual_cndmask_b32 v10, 0, v10 :: v_dual_lshlrev_b32 v9, 2, v9
	v_cmp_gt_u32_e32 vcc_lo, v34, v12
	s_delay_alu instid0(VALU_DEP_2) | instskip(NEXT) | instid1(VALU_DEP_3)
	v_add_lshl_u32 v35, v9, v74, 2
	v_cndmask_b32_e64 v10, v10, 0, vcc_lo
	s_delay_alu instid0(VALU_DEP_1) | instskip(SKIP_4) | instid1(VALU_DEP_2)
	v_add_nc_u32_e32 v7, v10, v7
	ds_bpermute_b32 v9, v35, v7
	s_waitcnt lgkmcnt(1)
	v_cndmask_b32_e64 v10, v27, 0, vcc_lo
	v_cmp_gt_u32_e32 vcc_lo, 24, v74
	v_add_nc_u32_e32 v8, v8, v10
	v_cndmask_b32_e64 v27, 0, 1, vcc_lo
	ds_bpermute_b32 v10, v35, v8
	v_cmp_eq_u32_e32 vcc_lo, 0, v8
	v_lshlrev_b32_e32 v27, 3, v27
	s_delay_alu instid0(VALU_DEP_1) | instskip(SKIP_3) | instid1(VALU_DEP_2)
	v_add_lshl_u32 v37, v27, v74, 2
	s_waitcnt lgkmcnt(1)
	v_cndmask_b32_e32 v9, 0, v9, vcc_lo
	v_cmp_gt_u32_e32 vcc_lo, v36, v12
	v_cndmask_b32_e64 v9, v9, 0, vcc_lo
	s_delay_alu instid0(VALU_DEP_1)
	v_add_nc_u32_e32 v7, v7, v9
	s_waitcnt lgkmcnt(0)
	v_cndmask_b32_e64 v10, v10, 0, vcc_lo
	v_cmp_gt_u32_e32 vcc_lo, 16, v74
	ds_bpermute_b32 v9, v37, v7
	v_add_nc_u32_e32 v8, v8, v10
	v_cndmask_b32_e64 v27, 0, 1, vcc_lo
	ds_bpermute_b32 v10, v37, v8
	v_cmp_eq_u32_e32 vcc_lo, 0, v8
	v_lshlrev_b32_e32 v27, 4, v27
	s_delay_alu instid0(VALU_DEP_1) | instskip(SKIP_4) | instid1(VALU_DEP_2)
	v_add_lshl_u32 v39, v27, v74, 2
	v_mov_b32_e32 v27, 0
	s_waitcnt lgkmcnt(1)
	v_cndmask_b32_e32 v9, 0, v9, vcc_lo
	v_cmp_gt_u32_e32 vcc_lo, v38, v12
	v_cndmask_b32_e64 v9, v9, 0, vcc_lo
	s_delay_alu instid0(VALU_DEP_1)
	v_add_nc_u32_e32 v7, v7, v9
	s_waitcnt lgkmcnt(0)
	v_cndmask_b32_e64 v9, v10, 0, vcc_lo
	ds_bpermute_b32 v10, v39, v7
	v_add_nc_u32_e32 v8, v8, v9
	ds_bpermute_b32 v9, v39, v8
	v_cmp_eq_u32_e32 vcc_lo, 0, v8
	s_waitcnt lgkmcnt(1)
	v_cndmask_b32_e32 v10, 0, v10, vcc_lo
	v_cmp_gt_u32_e32 vcc_lo, v40, v12
	s_delay_alu instid0(VALU_DEP_2) | instskip(SKIP_2) | instid1(VALU_DEP_2)
	v_cndmask_b32_e64 v10, v10, 0, vcc_lo
	s_waitcnt lgkmcnt(0)
	v_cndmask_b32_e64 v9, v9, 0, vcc_lo
	v_add_nc_u32_e32 v10, v10, v7
	s_delay_alu instid0(VALU_DEP_2)
	v_add_nc_u32_e32 v9, v9, v8
	s_branch .LBB749_95
.LBB749_94:                             ;   in Loop: Header=BB749_95 Depth=1
	s_or_b32 exec_lo, exec_lo, s15
	v_and_b32_e32 v12, 0xff, v11
	ds_bpermute_b32 v28, v6, v9
	v_subrev_nc_u32_e32 v26, 32, v26
	v_cmp_eq_u16_e32 vcc_lo, 2, v12
	ds_bpermute_b32 v12, v6, v10
	v_and_or_b32 v29, vcc_lo, v32, 0x80000000
	v_cmp_eq_u32_e32 vcc_lo, 0, v9
	s_delay_alu instid0(VALU_DEP_2) | instskip(NEXT) | instid1(VALU_DEP_1)
	v_ctz_i32_b32_e32 v29, v29
	v_cmp_lt_u32_e64 s15, v74, v29
	s_delay_alu instid0(VALU_DEP_1) | instskip(SKIP_4) | instid1(VALU_DEP_2)
	s_and_b32 vcc_lo, s15, vcc_lo
	s_waitcnt lgkmcnt(1)
	v_cndmask_b32_e64 v28, 0, v28, s15
	s_waitcnt lgkmcnt(0)
	v_cndmask_b32_e32 v12, 0, v12, vcc_lo
	v_add_nc_u32_e32 v9, v28, v9
	s_delay_alu instid0(VALU_DEP_2) | instskip(NEXT) | instid1(VALU_DEP_2)
	v_add_nc_u32_e32 v10, v12, v10
	v_cmp_eq_u32_e32 vcc_lo, 0, v9
	ds_bpermute_b32 v12, v33, v10
	ds_bpermute_b32 v28, v33, v9
	s_waitcnt lgkmcnt(1)
	v_cndmask_b32_e32 v12, 0, v12, vcc_lo
	v_cmp_gt_u32_e32 vcc_lo, v34, v29
	s_delay_alu instid0(VALU_DEP_2) | instskip(SKIP_2) | instid1(VALU_DEP_2)
	v_cndmask_b32_e64 v12, v12, 0, vcc_lo
	s_waitcnt lgkmcnt(0)
	v_cndmask_b32_e64 v28, v28, 0, vcc_lo
	v_add_nc_u32_e32 v10, v12, v10
	s_delay_alu instid0(VALU_DEP_2)
	v_add_nc_u32_e32 v9, v9, v28
	ds_bpermute_b32 v12, v35, v10
	v_cmp_eq_u32_e32 vcc_lo, 0, v9
	ds_bpermute_b32 v28, v35, v9
	s_waitcnt lgkmcnt(1)
	v_cndmask_b32_e32 v12, 0, v12, vcc_lo
	v_cmp_gt_u32_e32 vcc_lo, v36, v29
	s_delay_alu instid0(VALU_DEP_2) | instskip(SKIP_2) | instid1(VALU_DEP_2)
	v_cndmask_b32_e64 v12, v12, 0, vcc_lo
	s_waitcnt lgkmcnt(0)
	v_cndmask_b32_e64 v28, v28, 0, vcc_lo
	v_add_nc_u32_e32 v10, v10, v12
	s_delay_alu instid0(VALU_DEP_2)
	v_add_nc_u32_e32 v9, v9, v28
	ds_bpermute_b32 v12, v37, v10
	ds_bpermute_b32 v28, v37, v9
	v_cmp_eq_u32_e32 vcc_lo, 0, v9
	s_waitcnt lgkmcnt(1)
	v_cndmask_b32_e32 v12, 0, v12, vcc_lo
	v_cmp_gt_u32_e32 vcc_lo, v38, v29
	s_delay_alu instid0(VALU_DEP_2) | instskip(SKIP_2) | instid1(VALU_DEP_2)
	v_cndmask_b32_e64 v12, v12, 0, vcc_lo
	s_waitcnt lgkmcnt(0)
	v_cndmask_b32_e64 v28, v28, 0, vcc_lo
	v_add_nc_u32_e32 v10, v10, v12
	s_delay_alu instid0(VALU_DEP_2)
	v_add_nc_u32_e32 v9, v9, v28
	ds_bpermute_b32 v12, v39, v10
	ds_bpermute_b32 v28, v39, v9
	v_cmp_eq_u32_e32 vcc_lo, 0, v9
	s_waitcnt lgkmcnt(1)
	v_cndmask_b32_e32 v12, 0, v12, vcc_lo
	v_cmp_gt_u32_e32 vcc_lo, v40, v29
	s_delay_alu instid0(VALU_DEP_2) | instskip(NEXT) | instid1(VALU_DEP_1)
	v_cndmask_b32_e64 v12, v12, 0, vcc_lo
	v_add_nc_u32_e32 v10, v12, v10
	s_waitcnt lgkmcnt(0)
	v_cndmask_b32_e64 v12, v28, 0, vcc_lo
	v_cmp_eq_u32_e32 vcc_lo, 0, v7
	s_delay_alu instid0(VALU_DEP_2) | instskip(SKIP_1) | instid1(VALU_DEP_1)
	v_add3_u32 v9, v9, v7, v12
	v_cndmask_b32_e32 v10, 0, v10, vcc_lo
	v_add_nc_u32_e32 v10, v10, v8
.LBB749_95:                             ; =>This Loop Header: Depth=1
                                        ;     Child Loop BB749_98 Depth 2
                                        ;       Child Loop BB749_99 Depth 3
	s_delay_alu instid0(VALU_DEP_1) | instskip(NEXT) | instid1(VALU_DEP_1)
	v_dual_mov_b32 v8, v10 :: v_dual_and_b32 v7, 0xff, v11
	v_cmp_ne_u16_e32 vcc_lo, 2, v7
	v_cndmask_b32_e64 v7, 0, 1, vcc_lo
	;;#ASMSTART
	;;#ASMEND
	s_delay_alu instid0(VALU_DEP_1)
	v_cmp_ne_u32_e32 vcc_lo, 0, v7
	v_mov_b32_e32 v7, v9
	s_cmp_lg_u32 vcc_lo, exec_lo
	s_cbranch_scc1 .LBB749_102
; %bb.96:                               ;   in Loop: Header=BB749_95 Depth=1
	v_lshlrev_b64 v[9:10], 4, v[26:27]
	s_mov_b32 s15, exec_lo
	s_delay_alu instid0(VALU_DEP_1) | instskip(NEXT) | instid1(VALU_DEP_2)
	v_add_co_u32 v28, vcc_lo, s20, v9
	v_add_co_ci_u32_e32 v29, vcc_lo, s21, v10, vcc_lo
	;;#ASMSTART
	global_load_dwordx4 v[9:12], v[28:29] off glc	
s_waitcnt vmcnt(0)
	;;#ASMEND
	v_and_b32_e32 v12, 0xff, v10
	v_and_b32_e32 v41, 0xff00, v10
	v_and_b32_e32 v42, 0xff0000, v10
	v_or3_b32 v9, v9, 0, 0
	v_and_b32_e32 v10, 0xff000000, v10
	s_delay_alu instid0(VALU_DEP_4) | instskip(SKIP_1) | instid1(VALU_DEP_4)
	v_or3_b32 v12, 0, v12, v41
	v_and_b32_e32 v41, 0xff, v11
	v_or3_b32 v9, v9, 0, 0
	s_delay_alu instid0(VALU_DEP_3) | instskip(NEXT) | instid1(VALU_DEP_3)
	v_or3_b32 v10, v12, v42, v10
	v_cmpx_eq_u16_e32 0, v41
	s_cbranch_execz .LBB749_94
; %bb.97:                               ;   in Loop: Header=BB749_95 Depth=1
	s_mov_b32 s24, 1
	s_mov_b32 s23, 0
	.p2align	6
.LBB749_98:                             ;   Parent Loop BB749_95 Depth=1
                                        ; =>  This Loop Header: Depth=2
                                        ;       Child Loop BB749_99 Depth 3
	s_max_u32 s25, s24, 1
.LBB749_99:                             ;   Parent Loop BB749_95 Depth=1
                                        ;     Parent Loop BB749_98 Depth=2
                                        ; =>    This Inner Loop Header: Depth=3
	s_delay_alu instid0(SALU_CYCLE_1)
	s_add_i32 s25, s25, -1
	s_sleep 1
	s_cmp_eq_u32 s25, 0
	s_cbranch_scc0 .LBB749_99
; %bb.100:                              ;   in Loop: Header=BB749_98 Depth=2
	;;#ASMSTART
	global_load_dwordx4 v[9:12], v[28:29] off glc	
s_waitcnt vmcnt(0)
	;;#ASMEND
	v_and_b32_e32 v12, 0xff, v11
	s_cmp_lt_u32 s24, 32
	s_cselect_b32 s25, -1, 0
	s_delay_alu instid0(SALU_CYCLE_1) | instskip(NEXT) | instid1(VALU_DEP_1)
	s_cmp_lg_u32 s25, 0
	v_cmp_ne_u16_e32 vcc_lo, 0, v12
	s_addc_u32 s24, s24, 0
	s_or_b32 s23, vcc_lo, s23
	s_delay_alu instid0(SALU_CYCLE_1)
	s_and_not1_b32 exec_lo, exec_lo, s23
	s_cbranch_execnz .LBB749_98
; %bb.101:                              ;   in Loop: Header=BB749_95 Depth=1
	s_or_b32 exec_lo, exec_lo, s23
	s_branch .LBB749_94
.LBB749_102:                            ;   in Loop: Header=BB749_95 Depth=1
                                        ; implicit-def: $vgpr10
                                        ; implicit-def: $vgpr9
                                        ; implicit-def: $vgpr11
	s_cbranch_execz .LBB749_95
; %bb.103:
	s_and_saveexec_b32 s15, s14
	s_cbranch_execz .LBB749_105
; %bb.104:
	v_cmp_eq_u32_e32 vcc_lo, 0, v5
	s_mov_b32 s25, 0
	s_add_i32 s24, s40, 32
	v_add_nc_u32_e32 v9, v7, v5
	s_lshl_b64 s[24:25], s[24:25], 4
	v_cndmask_b32_e32 v6, 0, v8, vcc_lo
	s_add_u32 s24, s20, s24
	s_addc_u32 s25, s21, s25
	v_mov_b32_e32 v12, 0
	s_delay_alu instid0(VALU_DEP_2) | instskip(NEXT) | instid1(VALU_DEP_1)
	v_add_nc_u32_e32 v6, s22, v6
	v_and_b32_e32 v10, 0xff000000, v6
	v_and_b32_e32 v11, 0xff0000, v6
	s_delay_alu instid0(VALU_DEP_1) | instskip(SKIP_2) | instid1(VALU_DEP_1)
	v_or_b32_e32 v10, v11, v10
	v_dual_mov_b32 v11, 2 :: v_dual_and_b32 v26, 0xff00, v6
	v_and_b32_e32 v6, 0xff, v6
	v_or3_b32 v10, v10, v26, v6
	v_dual_mov_b32 v6, s22 :: v_dual_mov_b32 v27, s25
	v_mov_b32_e32 v26, s24
	;;#ASMSTART
	global_store_dwordx4 v[26:27], v[9:12] off	
s_waitcnt vmcnt(0)
	;;#ASMEND
	ds_store_b128 v12, v[5:8] offset:1024
.LBB749_105:
	s_or_b32 exec_lo, exec_lo, s15
	s_delay_alu instid0(SALU_CYCLE_1)
	s_and_b32 exec_lo, exec_lo, s2
	s_cbranch_execz .LBB749_107
; %bb.106:
	v_mov_b32_e32 v5, 0
	ds_store_b64 v5, v[7:8] offset:1096
.LBB749_107:
	s_or_b32 exec_lo, exec_lo, s17
	s_waitcnt lgkmcnt(1)
	v_cndmask_b32_e64 v8, v30, v24, s14
	s_waitcnt lgkmcnt(0)
	s_barrier
	buffer_gl0_inv
	v_cndmask_b32_e64 v9, v31, v25, s14
	v_cmp_eq_u32_e32 vcc_lo, 0, v8
	v_mov_b32_e32 v7, 0
	ds_load_b64 v[5:6], v7 offset:1096
	s_waitcnt lgkmcnt(0)
	s_barrier
	buffer_gl0_inv
	v_cndmask_b32_e32 v10, 0, v6, vcc_lo
	v_cmp_eq_u32_e32 vcc_lo, 0, v65
	s_delay_alu instid0(VALU_DEP_2) | instskip(NEXT) | instid1(VALU_DEP_1)
	v_add_nc_u32_e32 v9, v10, v9
	v_cndmask_b32_e64 v41, v9, v6, s2
	s_delay_alu instid0(VALU_DEP_1) | instskip(NEXT) | instid1(VALU_DEP_1)
	v_cndmask_b32_e32 v6, 0, v41, vcc_lo
	v_add_nc_u32_e32 v47, v6, v22
	s_delay_alu instid0(VALU_DEP_1) | instskip(NEXT) | instid1(VALU_DEP_1)
	v_cndmask_b32_e64 v6, 0, v47, s13
	v_add_nc_u32_e32 v43, v6, v73
	s_delay_alu instid0(VALU_DEP_1) | instskip(NEXT) | instid1(VALU_DEP_1)
	v_cndmask_b32_e64 v6, 0, v43, s12
	;; [unrolled: 3-line block ×5, first 2 shown]
	v_add_nc_u32_e32 v27, v6, v71
	v_cndmask_b32_e64 v6, v8, 0, s2
	s_delay_alu instid0(VALU_DEP_2) | instskip(NEXT) | instid1(VALU_DEP_2)
	v_cndmask_b32_e64 v8, 0, v27, s8
	v_add_nc_u32_e32 v40, v5, v6
	s_delay_alu instid0(VALU_DEP_2) | instskip(NEXT) | instid1(VALU_DEP_2)
	v_add_nc_u32_e32 v31, v8, v21
	v_add_nc_u32_e32 v46, v40, v65
	s_delay_alu instid0(VALU_DEP_2) | instskip(NEXT) | instid1(VALU_DEP_2)
	v_cndmask_b32_e64 v5, 0, v31, s7
	v_add_nc_u32_e32 v42, v46, v64
	s_delay_alu instid0(VALU_DEP_2) | instskip(NEXT) | instid1(VALU_DEP_2)
	v_add_nc_u32_e32 v35, v5, v70
	v_add_nc_u32_e32 v38, v42, v63
	;; [unrolled: 6-line block ×4, first 2 shown]
	s_delay_alu instid0(VALU_DEP_2) | instskip(NEXT) | instid1(VALU_DEP_2)
	v_cndmask_b32_e64 v5, 0, v12, s4
	v_add_nc_u32_e32 v34, v30, v58
	s_delay_alu instid0(VALU_DEP_2) | instskip(SKIP_3) | instid1(VALU_DEP_2)
	v_add_nc_u32_e32 v25, v5, v19
	ds_load_b128 v[5:8], v7 offset:1024
	v_add_nc_u32_e32 v9, v34, v56
	v_cndmask_b32_e64 v24, 0, v25, s3
	v_add_nc_u32_e32 v11, v9, v55
	s_delay_alu instid0(VALU_DEP_2) | instskip(NEXT) | instid1(VALU_DEP_2)
	v_add_nc_u32_e32 v49, v24, v68
	v_add_nc_u32_e32 v24, v11, v54
	s_delay_alu instid0(VALU_DEP_2) | instskip(NEXT) | instid1(VALU_DEP_2)
	v_cndmask_b32_e64 v36, 0, v49, s1
	v_add_nc_u32_e32 v48, v24, v53
	s_delay_alu instid0(VALU_DEP_2) | instskip(SKIP_2) | instid1(VALU_DEP_3)
	v_add_nc_u32_e32 v45, v36, v16
	s_waitcnt lgkmcnt(0)
	v_cmp_eq_u32_e32 vcc_lo, 0, v5
	v_add_nc_u32_e32 v44, v48, v52
	s_delay_alu instid0(VALU_DEP_3) | instskip(SKIP_1) | instid1(VALU_DEP_3)
	v_cndmask_b32_e64 v37, 0, v45, s0
	v_cndmask_b32_e32 v8, 0, v8, vcc_lo
	v_add_nc_u32_e32 v36, v44, v51
	s_delay_alu instid0(VALU_DEP_3) | instskip(NEXT) | instid1(VALU_DEP_3)
	v_add_nc_u32_e32 v37, v37, v67
	v_add_nc_u32_e32 v66, v8, v6
	s_branch .LBB749_120
.LBB749_108:
                                        ; implicit-def: $vgpr5
                                        ; implicit-def: $vgpr66
                                        ; implicit-def: $vgpr40_vgpr41
                                        ; implicit-def: $vgpr46_vgpr47
                                        ; implicit-def: $vgpr42_vgpr43
                                        ; implicit-def: $vgpr38_vgpr39
                                        ; implicit-def: $vgpr32_vgpr33
                                        ; implicit-def: $vgpr28_vgpr29
                                        ; implicit-def: $vgpr26_vgpr27
                                        ; implicit-def: $vgpr30_vgpr31
                                        ; implicit-def: $vgpr34_vgpr35
                                        ; implicit-def: $vgpr9_vgpr10
                                        ; implicit-def: $vgpr11_vgpr12
                                        ; implicit-def: $vgpr24_vgpr25
                                        ; implicit-def: $vgpr48_vgpr49
                                        ; implicit-def: $vgpr44_vgpr45
                                        ; implicit-def: $vgpr36_vgpr37
	s_cbranch_execz .LBB749_120
; %bb.109:
	s_and_b32 s0, s16, exec_lo
	v_mov_b32_e32 v36, v22
	s_cselect_b32 s1, 0, s35
	s_cselect_b32 s0, 0, s34
	s_delay_alu instid0(SALU_CYCLE_1)
	s_cmp_eq_u64 s[0:1], 0
	s_cbranch_scc1 .LBB749_111
; %bb.110:
	v_mov_b32_e32 v5, 0
	global_load_b32 v36, v5, s[0:1]
.LBB749_111:
	v_cmp_eq_u32_e64 s7, 0, v64
	v_cmp_eq_u32_e64 s8, 0, v63
	;; [unrolled: 1-line block ×5, first 2 shown]
	v_cndmask_b32_e64 v5, 0, v22, s7
	v_cmp_eq_u32_e64 s12, 0, v59
	v_cmp_eq_u32_e64 s6, 0, v58
	;; [unrolled: 1-line block ×4, first 2 shown]
	v_add_nc_u32_e32 v5, v5, v73
	v_cmp_eq_u32_e64 s3, 0, v54
	v_cmp_eq_u32_e64 s1, 0, v53
	v_cmp_eq_u32_e32 vcc_lo, 0, v52
	v_add3_u32 v6, v77, v60, v59
	v_cndmask_b32_e64 v5, 0, v5, s8
	v_cmp_eq_u32_e64 s0, 0, v51
	v_cmp_eq_u32_e64 s13, 0, v57
	v_and_b32_e32 v8, 15, v74
	v_add3_u32 v6, v6, v58, v56
	v_add_nc_u32_e32 v5, v5, v23
	s_delay_alu instid0(VALU_DEP_3) | instskip(NEXT) | instid1(VALU_DEP_3)
	v_cmp_lt_u32_e64 s14, 1, v8
	v_add3_u32 v6, v6, v55, v54
	s_delay_alu instid0(VALU_DEP_3) | instskip(NEXT) | instid1(VALU_DEP_2)
	v_cndmask_b32_e64 v5, 0, v5, s9
	v_add3_u32 v6, v6, v53, v52
	s_delay_alu instid0(VALU_DEP_2) | instskip(NEXT) | instid1(VALU_DEP_2)
	v_add_nc_u32_e32 v5, v5, v72
	v_add3_u32 v6, v6, v51, v57
	s_delay_alu instid0(VALU_DEP_2) | instskip(NEXT) | instid1(VALU_DEP_2)
	v_cndmask_b32_e64 v5, 0, v5, s10
	v_mov_b32_dpp v9, v6 row_shr:1 row_mask:0xf bank_mask:0xf
	s_delay_alu instid0(VALU_DEP_2) | instskip(NEXT) | instid1(VALU_DEP_1)
	v_add_nc_u32_e32 v5, v5, v20
	v_cndmask_b32_e64 v5, 0, v5, s11
	s_delay_alu instid0(VALU_DEP_1) | instskip(NEXT) | instid1(VALU_DEP_1)
	v_add_nc_u32_e32 v5, v5, v71
	v_cndmask_b32_e64 v5, 0, v5, s12
	s_delay_alu instid0(VALU_DEP_1) | instskip(NEXT) | instid1(VALU_DEP_1)
	;; [unrolled: 3-line block ×7, first 2 shown]
	v_add_nc_u32_e32 v5, v5, v68
	v_cndmask_b32_e32 v5, 0, v5, vcc_lo
	s_delay_alu instid0(VALU_DEP_1) | instskip(NEXT) | instid1(VALU_DEP_1)
	v_add_nc_u32_e32 v5, v5, v16
	v_cndmask_b32_e64 v5, 0, v5, s0
	s_delay_alu instid0(VALU_DEP_1) | instskip(NEXT) | instid1(VALU_DEP_1)
	v_add_nc_u32_e32 v5, v5, v67
	v_cndmask_b32_e64 v5, 0, v5, s13
	v_cmp_eq_u32_e64 s13, 0, v6
	s_delay_alu instid0(VALU_DEP_2) | instskip(NEXT) | instid1(VALU_DEP_1)
	v_add_nc_u32_e32 v5, v5, v17
	v_mov_b32_dpp v7, v5 row_shr:1 row_mask:0xf bank_mask:0xf
	s_delay_alu instid0(VALU_DEP_1) | instskip(SKIP_1) | instid1(VALU_DEP_1)
	v_cndmask_b32_e64 v7, 0, v7, s13
	v_cmp_eq_u32_e64 s13, 0, v8
	v_cndmask_b32_e64 v9, v9, 0, s13
	s_delay_alu instid0(VALU_DEP_3) | instskip(NEXT) | instid1(VALU_DEP_2)
	v_cndmask_b32_e64 v7, v7, 0, s13
	v_add_nc_u32_e32 v6, v9, v6
	s_delay_alu instid0(VALU_DEP_2) | instskip(NEXT) | instid1(VALU_DEP_2)
	v_add_nc_u32_e32 v5, v7, v5
	v_mov_b32_dpp v7, v6 row_shr:2 row_mask:0xf bank_mask:0xf
	v_cmp_eq_u32_e64 s13, 0, v6
	s_delay_alu instid0(VALU_DEP_3) | instskip(NEXT) | instid1(VALU_DEP_3)
	v_mov_b32_dpp v9, v5 row_shr:2 row_mask:0xf bank_mask:0xf
	v_cndmask_b32_e64 v7, 0, v7, s14
	s_delay_alu instid0(VALU_DEP_3) | instskip(SKIP_1) | instid1(VALU_DEP_3)
	s_and_b32 s13, s14, s13
	v_cmp_lt_u32_e64 s14, 3, v8
	v_cndmask_b32_e64 v9, 0, v9, s13
	s_delay_alu instid0(VALU_DEP_3) | instskip(NEXT) | instid1(VALU_DEP_2)
	v_add_nc_u32_e32 v6, v6, v7
	v_add_nc_u32_e32 v5, v9, v5
	s_delay_alu instid0(VALU_DEP_2) | instskip(SKIP_1) | instid1(VALU_DEP_3)
	v_mov_b32_dpp v7, v6 row_shr:4 row_mask:0xf bank_mask:0xf
	v_cmp_eq_u32_e64 s13, 0, v6
	v_mov_b32_dpp v9, v5 row_shr:4 row_mask:0xf bank_mask:0xf
	s_delay_alu instid0(VALU_DEP_3) | instskip(NEXT) | instid1(VALU_DEP_3)
	v_cndmask_b32_e64 v7, 0, v7, s14
	s_and_b32 s13, s14, s13
	v_cmp_lt_u32_e64 s14, 7, v8
	s_delay_alu instid0(VALU_DEP_3) | instskip(NEXT) | instid1(VALU_DEP_3)
	v_cndmask_b32_e64 v9, 0, v9, s13
	v_add_nc_u32_e32 v6, v7, v6
	s_delay_alu instid0(VALU_DEP_2) | instskip(SKIP_1) | instid1(VALU_DEP_3)
	v_add_nc_u32_e32 v5, v5, v9
	v_bfe_i32 v9, v74, 4, 1
	v_cmp_eq_u32_e64 s13, 0, v6
	v_mov_b32_dpp v7, v6 row_shr:8 row_mask:0xf bank_mask:0xf
	s_delay_alu instid0(VALU_DEP_4) | instskip(NEXT) | instid1(VALU_DEP_3)
	v_mov_b32_dpp v8, v5 row_shr:8 row_mask:0xf bank_mask:0xf
	s_and_b32 s13, s14, s13
	s_delay_alu instid0(VALU_DEP_2) | instskip(SKIP_1) | instid1(VALU_DEP_2)
	v_cndmask_b32_e64 v7, 0, v7, s14
	s_mov_b32 s14, exec_lo
	v_cndmask_b32_e64 v8, 0, v8, s13
	s_delay_alu instid0(VALU_DEP_1) | instskip(NEXT) | instid1(VALU_DEP_3)
	v_add_nc_u32_e32 v8, v8, v5
	v_add_nc_u32_e32 v5, v7, v6
	ds_swizzle_b32 v6, v8 offset:swizzle(BROADCAST,32,15)
	ds_swizzle_b32 v7, v5 offset:swizzle(BROADCAST,32,15)
	v_cmp_eq_u32_e64 s13, 0, v5
	s_waitcnt lgkmcnt(1)
	s_delay_alu instid0(VALU_DEP_1) | instskip(SKIP_2) | instid1(VALU_DEP_2)
	v_cndmask_b32_e64 v6, 0, v6, s13
	s_waitcnt lgkmcnt(0)
	v_and_b32_e32 v7, v9, v7
	v_and_b32_e32 v6, v9, v6
	s_delay_alu instid0(VALU_DEP_2) | instskip(NEXT) | instid1(VALU_DEP_2)
	v_add_nc_u32_e32 v5, v7, v5
	v_add_nc_u32_e32 v6, v6, v8
	v_cmpx_eq_u32_e64 v76, v0
	s_cbranch_execz .LBB749_113
; %bb.112:
	v_lshlrev_b32_e32 v7, 3, v75
	ds_store_b64 v7, v[5:6] offset:1040
.LBB749_113:
	s_or_b32 exec_lo, exec_lo, s14
	s_delay_alu instid0(SALU_CYCLE_1)
	s_mov_b32 s15, exec_lo
	s_waitcnt vmcnt(0) lgkmcnt(0)
	s_barrier
	buffer_gl0_inv
	v_cmpx_gt_u32_e32 8, v0
	s_cbranch_execz .LBB749_115
; %bb.114:
	v_lshlrev_b32_e32 v9, 3, v0
	v_and_b32_e32 v11, 7, v74
	ds_load_b64 v[7:8], v9 offset:1040
	v_cmp_lt_u32_e64 s14, 1, v11
	s_waitcnt lgkmcnt(0)
	v_mov_b32_dpp v10, v8 row_shr:1 row_mask:0xf bank_mask:0xf
	v_cmp_eq_u32_e64 s13, 0, v7
	v_mov_b32_dpp v12, v7 row_shr:1 row_mask:0xf bank_mask:0xf
	s_delay_alu instid0(VALU_DEP_2) | instskip(SKIP_1) | instid1(VALU_DEP_1)
	v_cndmask_b32_e64 v10, 0, v10, s13
	v_cmp_eq_u32_e64 s13, 0, v11
	v_cndmask_b32_e64 v12, v12, 0, s13
	s_delay_alu instid0(VALU_DEP_3) | instskip(NEXT) | instid1(VALU_DEP_2)
	v_cndmask_b32_e64 v10, v10, 0, s13
	v_add_nc_u32_e32 v7, v12, v7
	s_delay_alu instid0(VALU_DEP_2) | instskip(NEXT) | instid1(VALU_DEP_2)
	v_add_nc_u32_e32 v8, v10, v8
	v_mov_b32_dpp v10, v7 row_shr:2 row_mask:0xf bank_mask:0xf
	v_cmp_eq_u32_e64 s13, 0, v7
	s_delay_alu instid0(VALU_DEP_3) | instskip(NEXT) | instid1(VALU_DEP_3)
	v_mov_b32_dpp v12, v8 row_shr:2 row_mask:0xf bank_mask:0xf
	v_cndmask_b32_e64 v10, 0, v10, s14
	s_delay_alu instid0(VALU_DEP_3) | instskip(SKIP_1) | instid1(VALU_DEP_3)
	s_and_b32 s13, s14, s13
	v_cmp_lt_u32_e64 s14, 3, v11
	v_cndmask_b32_e64 v12, 0, v12, s13
	s_delay_alu instid0(VALU_DEP_3) | instskip(NEXT) | instid1(VALU_DEP_2)
	v_add_nc_u32_e32 v7, v10, v7
	v_add_nc_u32_e32 v8, v12, v8
	s_delay_alu instid0(VALU_DEP_2) | instskip(SKIP_1) | instid1(VALU_DEP_3)
	v_cmp_eq_u32_e64 s13, 0, v7
	v_mov_b32_dpp v10, v7 row_shr:4 row_mask:0xf bank_mask:0xf
	v_mov_b32_dpp v11, v8 row_shr:4 row_mask:0xf bank_mask:0xf
	s_delay_alu instid0(VALU_DEP_3) | instskip(NEXT) | instid1(VALU_DEP_2)
	s_and_b32 s13, s14, s13
	v_cndmask_b32_e64 v10, 0, v10, s14
	s_delay_alu instid0(VALU_DEP_2) | instskip(NEXT) | instid1(VALU_DEP_2)
	v_cndmask_b32_e64 v11, 0, v11, s13
	v_add_nc_u32_e32 v7, v10, v7
	s_delay_alu instid0(VALU_DEP_2)
	v_add_nc_u32_e32 v8, v11, v8
	ds_store_b64 v9, v[7:8] offset:1040
.LBB749_115:
	s_or_b32 exec_lo, exec_lo, s15
	v_dual_mov_b32 v11, 0 :: v_dual_mov_b32 v8, v36
	v_mov_b32_e32 v7, 0
	s_mov_b32 s14, exec_lo
	s_waitcnt lgkmcnt(0)
	s_barrier
	buffer_gl0_inv
	v_cmpx_lt_u32_e32 31, v0
	s_cbranch_execz .LBB749_117
; %bb.116:
	v_lshlrev_b32_e32 v7, 3, v75
	ds_load_b64 v[7:8], v7 offset:1032
	s_waitcnt lgkmcnt(0)
	v_cmp_eq_u32_e64 s13, 0, v7
	s_delay_alu instid0(VALU_DEP_1) | instskip(NEXT) | instid1(VALU_DEP_1)
	v_cndmask_b32_e64 v9, 0, v36, s13
	v_add_nc_u32_e32 v8, v9, v8
.LBB749_117:
	s_or_b32 exec_lo, exec_lo, s14
	v_add_nc_u32_e32 v9, -1, v74
	s_delay_alu instid0(VALU_DEP_1) | instskip(NEXT) | instid1(VALU_DEP_1)
	v_cmp_gt_i32_e64 s13, 0, v9
	v_cndmask_b32_e64 v9, v9, v74, s13
	v_cmp_eq_u32_e64 s13, 0, v5
	v_add_nc_u32_e32 v5, v7, v5
	s_delay_alu instid0(VALU_DEP_3) | instskip(NEXT) | instid1(VALU_DEP_3)
	v_lshlrev_b32_e32 v9, 2, v9
	v_cndmask_b32_e64 v10, 0, v8, s13
	v_cmp_eq_u32_e64 s13, 0, v74
	ds_bpermute_b32 v5, v9, v5
	v_add_nc_u32_e32 v6, v10, v6
	ds_bpermute_b32 v6, v9, v6
	s_waitcnt lgkmcnt(1)
	v_cndmask_b32_e64 v5, v5, v7, s13
	s_delay_alu instid0(VALU_DEP_1) | instskip(SKIP_3) | instid1(VALU_DEP_3)
	v_cndmask_b32_e64 v40, v5, 0, s2
	s_waitcnt lgkmcnt(0)
	v_cndmask_b32_e64 v6, v6, v8, s13
	v_cmp_eq_u32_e64 s13, 0, v65
	v_add_nc_u32_e32 v46, v40, v65
	s_delay_alu instid0(VALU_DEP_3) | instskip(NEXT) | instid1(VALU_DEP_2)
	v_cndmask_b32_e64 v41, v6, v36, s2
	v_add_nc_u32_e32 v42, v46, v64
	s_delay_alu instid0(VALU_DEP_2) | instskip(NEXT) | instid1(VALU_DEP_2)
	v_cndmask_b32_e64 v6, 0, v41, s13
	v_add_nc_u32_e32 v38, v42, v63
	s_delay_alu instid0(VALU_DEP_2) | instskip(NEXT) | instid1(VALU_DEP_2)
	v_add_nc_u32_e32 v47, v6, v22
	v_add_nc_u32_e32 v32, v38, v62
	s_delay_alu instid0(VALU_DEP_2) | instskip(NEXT) | instid1(VALU_DEP_2)
	v_cndmask_b32_e64 v6, 0, v47, s7
	v_add_nc_u32_e32 v28, v32, v61
	s_delay_alu instid0(VALU_DEP_2) | instskip(NEXT) | instid1(VALU_DEP_2)
	v_add_nc_u32_e32 v43, v6, v73
	;; [unrolled: 6-line block ×3, first 2 shown]
	v_add_nc_u32_e32 v34, v30, v58
	s_delay_alu instid0(VALU_DEP_2) | instskip(NEXT) | instid1(VALU_DEP_2)
	v_cndmask_b32_e64 v6, 0, v39, s9
	v_add_nc_u32_e32 v9, v34, v56
	s_delay_alu instid0(VALU_DEP_2) | instskip(NEXT) | instid1(VALU_DEP_1)
	v_add_nc_u32_e32 v33, v6, v72
	v_cndmask_b32_e64 v6, 0, v33, s10
	s_delay_alu instid0(VALU_DEP_1) | instskip(NEXT) | instid1(VALU_DEP_1)
	v_add_nc_u32_e32 v29, v6, v20
	v_cndmask_b32_e64 v6, 0, v29, s11
	s_delay_alu instid0(VALU_DEP_1) | instskip(NEXT) | instid1(VALU_DEP_1)
	;; [unrolled: 3-line block ×6, first 2 shown]
	v_add_nc_u32_e32 v12, v5, v69
	v_cndmask_b32_e64 v5, 0, v12, s3
	s_delay_alu instid0(VALU_DEP_1) | instskip(SKIP_3) | instid1(VALU_DEP_2)
	v_add_nc_u32_e32 v25, v5, v19
	ds_load_b64 v[5:6], v11 offset:1096
	v_add_nc_u32_e32 v11, v9, v55
	v_cndmask_b32_e64 v7, 0, v25, s1
	v_add_nc_u32_e32 v24, v11, v54
	s_delay_alu instid0(VALU_DEP_2) | instskip(NEXT) | instid1(VALU_DEP_2)
	v_add_nc_u32_e32 v49, v7, v68
	v_add_nc_u32_e32 v48, v24, v53
	s_delay_alu instid0(VALU_DEP_1) | instskip(NEXT) | instid1(VALU_DEP_1)
	v_dual_cndmask_b32 v7, 0, v49 :: v_dual_add_nc_u32 v44, v48, v52
	v_add_nc_u32_e32 v45, v7, v16
	s_waitcnt lgkmcnt(0)
	v_cmp_eq_u32_e32 vcc_lo, 0, v5
	s_delay_alu instid0(VALU_DEP_2) | instskip(SKIP_2) | instid1(VALU_DEP_3)
	v_cndmask_b32_e64 v7, 0, v45, s0
	v_cndmask_b32_e32 v8, 0, v36, vcc_lo
	v_add_nc_u32_e32 v36, v44, v51
	v_add_nc_u32_e32 v37, v7, v67
	s_delay_alu instid0(VALU_DEP_3)
	v_add_nc_u32_e32 v66, v8, v6
	s_and_saveexec_b32 s0, s2
	s_cbranch_execz .LBB749_119
; %bb.118:
	s_delay_alu instid0(VALU_DEP_1)
	v_and_b32_e32 v6, 0xff000000, v66
	v_dual_mov_b32 v8, 0 :: v_dual_and_b32 v7, 0xff0000, v66
	s_add_u32 s4, s20, 0x200
	v_and_b32_e32 v16, 0xff00, v66
	s_addc_u32 s5, s21, 0
	v_and_b32_e32 v17, 0xff, v66
	v_or_b32_e32 v6, v7, v6
	v_mov_b32_e32 v7, 2
	s_delay_alu instid0(VALU_DEP_2)
	v_or3_b32 v6, v6, v16, v17
	v_dual_mov_b32 v17, s5 :: v_dual_mov_b32 v16, s4
	;;#ASMSTART
	global_store_dwordx4 v[16:17], v[5:8] off	
s_waitcnt vmcnt(0)
	;;#ASMEND
.LBB749_119:
	s_or_b32 exec_lo, exec_lo, s0
	v_mov_b32_e32 v7, 0
.LBB749_120:
	v_mov_b32_e32 v16, 0
	s_and_b32 s0, s16, exec_lo
	v_mov_b32_e32 v17, 0
	s_cselect_b32 s1, 0, s39
	s_cselect_b32 s0, 0, s38
	s_delay_alu instid0(SALU_CYCLE_1)
	s_cmp_eq_u64 s[0:1], 0
	s_barrier
	buffer_gl0_inv
	s_cbranch_scc1 .LBB749_122
; %bb.121:
	v_mov_b32_e32 v6, 0
	global_load_b64 v[16:17], v6, s[0:1]
.LBB749_122:
	v_cmp_eq_u32_e32 vcc_lo, 0, v65
	v_cmp_ne_u32_e64 s15, 0, v65
	v_cmp_ne_u32_e64 s14, 0, v64
	;; [unrolled: 1-line block ×4, first 2 shown]
	v_cndmask_b32_e64 v6, 1, 2, vcc_lo
	v_cmp_eq_u32_e32 vcc_lo, 0, v64
	v_cmp_ne_u32_e64 s11, 0, v61
	v_cmp_ne_u32_e64 s10, 0, v60
	;; [unrolled: 1-line block ×4, first 2 shown]
	v_cndmask_b32_e64 v8, 1, 2, vcc_lo
	v_cmp_eq_u32_e32 vcc_lo, 0, v63
	v_cmp_ne_u32_e64 s9, 0, v56
	v_cmp_ne_u32_e64 s7, 0, v55
	;; [unrolled: 1-line block ×3, first 2 shown]
	v_and_b32_e32 v6, v8, v6
	v_cndmask_b32_e64 v18, 1, 2, vcc_lo
	v_cmp_eq_u32_e32 vcc_lo, 0, v62
	v_cmp_ne_u32_e64 s4, 0, v53
	v_cmp_ne_u32_e64 s3, 0, v52
	;; [unrolled: 1-line block ×3, first 2 shown]
	v_and_b32_e32 v6, v6, v18
	v_cndmask_b32_e64 v8, 1, 2, vcc_lo
	v_cmp_eq_u32_e32 vcc_lo, 0, v61
	v_cmp_ne_u32_e64 s0, 0, v57
	s_mov_b32 s17, -1
	s_delay_alu instid0(VALU_DEP_3) | instskip(SKIP_2) | instid1(VALU_DEP_2)
	v_and_b32_e32 v6, v6, v8
	v_cndmask_b32_e64 v18, 1, 2, vcc_lo
	v_cmp_eq_u32_e32 vcc_lo, 0, v60
	v_and_b32_e32 v6, v6, v18
	v_cndmask_b32_e64 v8, 1, 2, vcc_lo
	v_cmp_eq_u32_e32 vcc_lo, 0, v59
	s_waitcnt vmcnt(0)
	v_lshlrev_b64 v[18:19], 1, v[16:17]
	s_delay_alu instid0(VALU_DEP_3) | instskip(SKIP_2) | instid1(VALU_DEP_2)
	v_and_b32_e32 v6, v6, v8
	v_cndmask_b32_e64 v20, 1, 2, vcc_lo
	v_cmp_eq_u32_e32 vcc_lo, 0, v58
	v_and_b32_e32 v6, v6, v20
	v_cndmask_b32_e64 v21, 1, 2, vcc_lo
	v_cmp_eq_u32_e32 vcc_lo, 0, v56
	s_delay_alu instid0(VALU_DEP_2) | instskip(SKIP_2) | instid1(VALU_DEP_2)
	v_and_b32_e32 v6, v6, v21
	v_cndmask_b32_e64 v20, 1, 2, vcc_lo
	v_cmp_eq_u32_e32 vcc_lo, 0, v55
	v_and_b32_e32 v6, v6, v20
	v_cndmask_b32_e64 v21, 1, 2, vcc_lo
	v_cmp_eq_u32_e32 vcc_lo, 0, v54
	s_delay_alu instid0(VALU_DEP_2) | instskip(SKIP_2) | instid1(VALU_DEP_2)
	;; [unrolled: 7-line block ×3, first 2 shown]
	v_and_b32_e32 v6, v6, v22
	v_cndmask_b32_e64 v23, 1, 2, vcc_lo
	v_cmp_eq_u32_e32 vcc_lo, 0, v51
	v_and_b32_e32 v22, v6, v23
	v_cndmask_b32_e64 v67, 1, 2, vcc_lo
	v_mov_b32_e32 v8, 0
	v_add_co_u32 v18, vcc_lo, s18, v18
	v_add_co_ci_u32_e32 v19, vcc_lo, s19, v19, vcc_lo
	s_delay_alu instid0(VALU_DEP_3) | instskip(NEXT) | instid1(VALU_DEP_1)
	v_lshlrev_b64 v[20:21], 1, v[7:8]
	v_add_co_u32 v6, vcc_lo, v18, v20
	s_delay_alu instid0(VALU_DEP_2) | instskip(SKIP_4) | instid1(VALU_DEP_2)
	v_add_co_ci_u32_e32 v18, vcc_lo, v19, v21, vcc_lo
	v_and_b32_e32 v19, v22, v67
	v_cmp_eq_u32_e32 vcc_lo, 0, v57
	v_cndmask_b32_e64 v20, 1, 2, vcc_lo
	v_cmp_gt_u32_e32 vcc_lo, 0x100, v5
	v_and_b32_e32 v19, v19, v20
	s_delay_alu instid0(VALU_DEP_1)
	v_cmp_gt_i16_e64 s16, 2, v19
	s_cbranch_vccz .LBB749_171
; %bb.123:
	s_delay_alu instid0(VALU_DEP_1)
	s_and_saveexec_b32 s17, s16
	s_cbranch_execz .LBB749_170
; %bb.124:
	s_mov_b32 s18, 0
	s_mov_b32 s16, exec_lo
	v_cmpx_ne_u16_e32 1, v19
	s_xor_b32 s16, exec_lo, s16
	s_cbranch_execz .LBB749_148
; %bb.125:
	s_and_saveexec_b32 s18, s15
	s_cbranch_execz .LBB749_153
; %bb.126:
	v_sub_nc_u32_e32 v20, v40, v7
	v_mov_b32_e32 v21, 0
	s_delay_alu instid0(VALU_DEP_1) | instskip(NEXT) | instid1(VALU_DEP_1)
	v_lshlrev_b64 v[20:21], 1, v[20:21]
	v_add_co_u32 v20, vcc_lo, v6, v20
	s_delay_alu instid0(VALU_DEP_2)
	v_add_co_ci_u32_e32 v21, vcc_lo, v18, v21, vcc_lo
	global_store_b16 v[20:21], v50, off
	s_or_b32 exec_lo, exec_lo, s18
	s_and_saveexec_b32 s18, s14
	s_cbranch_execnz .LBB749_154
.LBB749_127:
	s_or_b32 exec_lo, exec_lo, s18
	s_and_saveexec_b32 s18, s13
	s_cbranch_execz .LBB749_155
.LBB749_128:
	v_sub_nc_u32_e32 v20, v42, v7
	v_mov_b32_e32 v21, 0
	s_delay_alu instid0(VALU_DEP_1) | instskip(NEXT) | instid1(VALU_DEP_1)
	v_lshlrev_b64 v[20:21], 1, v[20:21]
	v_add_co_u32 v20, vcc_lo, v6, v20
	s_delay_alu instid0(VALU_DEP_2)
	v_add_co_ci_u32_e32 v21, vcc_lo, v18, v21, vcc_lo
	global_store_d16_hi_b16 v[20:21], v1, off
	s_or_b32 exec_lo, exec_lo, s18
	s_and_saveexec_b32 s18, s12
	s_cbranch_execnz .LBB749_156
.LBB749_129:
	s_or_b32 exec_lo, exec_lo, s18
	s_and_saveexec_b32 s18, s11
	s_cbranch_execz .LBB749_157
.LBB749_130:
	v_sub_nc_u32_e32 v20, v32, v7
	v_mov_b32_e32 v21, 0
	s_delay_alu instid0(VALU_DEP_1) | instskip(NEXT) | instid1(VALU_DEP_1)
	v_lshlrev_b64 v[20:21], 1, v[20:21]
	v_add_co_u32 v20, vcc_lo, v6, v20
	s_delay_alu instid0(VALU_DEP_2)
	v_add_co_ci_u32_e32 v21, vcc_lo, v18, v21, vcc_lo
	global_store_d16_hi_b16 v[20:21], v2, off
	s_or_b32 exec_lo, exec_lo, s18
	s_and_saveexec_b32 s18, s10
	s_cbranch_execnz .LBB749_158
.LBB749_131:
	s_or_b32 exec_lo, exec_lo, s18
	s_and_saveexec_b32 s18, s8
	s_cbranch_execz .LBB749_159
.LBB749_132:
	v_sub_nc_u32_e32 v20, v26, v7
	v_mov_b32_e32 v21, 0
	s_delay_alu instid0(VALU_DEP_1) | instskip(NEXT) | instid1(VALU_DEP_1)
	v_lshlrev_b64 v[20:21], 1, v[20:21]
	v_add_co_u32 v20, vcc_lo, v6, v20
	s_delay_alu instid0(VALU_DEP_2)
	v_add_co_ci_u32_e32 v21, vcc_lo, v18, v21, vcc_lo
	global_store_d16_hi_b16 v[20:21], v3, off
	s_or_b32 exec_lo, exec_lo, s18
	s_and_saveexec_b32 s18, s6
	s_cbranch_execnz .LBB749_160
.LBB749_133:
	s_or_b32 exec_lo, exec_lo, s18
	s_and_saveexec_b32 s18, s9
	s_cbranch_execz .LBB749_161
.LBB749_134:
	v_sub_nc_u32_e32 v20, v34, v7
	v_mov_b32_e32 v21, 0
	s_delay_alu instid0(VALU_DEP_1) | instskip(NEXT) | instid1(VALU_DEP_1)
	v_lshlrev_b64 v[20:21], 1, v[20:21]
	v_add_co_u32 v20, vcc_lo, v6, v20
	s_delay_alu instid0(VALU_DEP_2)
	v_add_co_ci_u32_e32 v21, vcc_lo, v18, v21, vcc_lo
	global_store_d16_hi_b16 v[20:21], v4, off
	s_or_b32 exec_lo, exec_lo, s18
	s_and_saveexec_b32 s18, s7
	s_cbranch_execnz .LBB749_162
.LBB749_135:
	s_or_b32 exec_lo, exec_lo, s18
	s_and_saveexec_b32 s18, s5
	s_cbranch_execz .LBB749_163
.LBB749_136:
	v_sub_nc_u32_e32 v20, v11, v7
	v_mov_b32_e32 v21, 0
	s_delay_alu instid0(VALU_DEP_1) | instskip(NEXT) | instid1(VALU_DEP_1)
	v_lshlrev_b64 v[20:21], 1, v[20:21]
	v_add_co_u32 v20, vcc_lo, v6, v20
	s_delay_alu instid0(VALU_DEP_2)
	v_add_co_ci_u32_e32 v21, vcc_lo, v18, v21, vcc_lo
	global_store_d16_hi_b16 v[20:21], v13, off
	s_or_b32 exec_lo, exec_lo, s18
	s_and_saveexec_b32 s18, s4
	s_cbranch_execnz .LBB749_164
.LBB749_137:
	s_or_b32 exec_lo, exec_lo, s18
	s_and_saveexec_b32 s18, s3
	s_cbranch_execz .LBB749_165
.LBB749_138:
	v_sub_nc_u32_e32 v20, v48, v7
	v_mov_b32_e32 v21, 0
	s_delay_alu instid0(VALU_DEP_1) | instskip(NEXT) | instid1(VALU_DEP_1)
	v_lshlrev_b64 v[20:21], 1, v[20:21]
	v_add_co_u32 v20, vcc_lo, v6, v20
	s_delay_alu instid0(VALU_DEP_2)
	v_add_co_ci_u32_e32 v21, vcc_lo, v18, v21, vcc_lo
	global_store_d16_hi_b16 v[20:21], v14, off
	s_or_b32 exec_lo, exec_lo, s18
	s_and_saveexec_b32 s18, s1
	s_cbranch_execnz .LBB749_166
	s_branch .LBB749_167
.LBB749_139:
	s_mov_b32 s41, 0
                                        ; implicit-def: $sgpr0
                                        ; implicit-def: $vgpr57
                                        ; implicit-def: $vgpr51
                                        ; implicit-def: $vgpr52
                                        ; implicit-def: $vgpr53
                                        ; implicit-def: $vgpr54
                                        ; implicit-def: $vgpr55
                                        ; implicit-def: $vgpr56
                                        ; implicit-def: $vgpr58
                                        ; implicit-def: $vgpr59
                                        ; implicit-def: $vgpr60
                                        ; implicit-def: $vgpr61
                                        ; implicit-def: $vgpr62
                                        ; implicit-def: $vgpr63
                                        ; implicit-def: $vgpr64
	s_cbranch_execz .LBB749_73
; %bb.140:
	v_lshrrev_b32_e32 v8, 16, v15
	v_lshrrev_b32_e32 v9, 16, v14
	;; [unrolled: 1-line block ×3, first 2 shown]
	v_lshlrev_b32_e32 v7, 1, v0
	s_mov_b32 s42, 1
	v_cmp_ne_u16_e32 vcc_lo, v15, v8
                                        ; implicit-def: $sgpr0
	ds_store_b16 v7, v8
	s_waitcnt lgkmcnt(0)
	v_cndmask_b32_e64 v57, 0, 1, vcc_lo
	v_cmp_ne_u16_e32 vcc_lo, v9, v15
	s_barrier
	buffer_gl0_inv
	v_cndmask_b32_e64 v51, 0, 1, vcc_lo
	v_cmp_ne_u16_e32 vcc_lo, v14, v9
	v_lshrrev_b32_e32 v9, 16, v4
	v_cndmask_b32_e64 v52, 0, 1, vcc_lo
	v_cmp_ne_u16_e32 vcc_lo, v10, v14
	v_cndmask_b32_e64 v53, 0, 1, vcc_lo
	v_cmp_ne_u16_e32 vcc_lo, v13, v10
	v_lshrrev_b32_e32 v10, 16, v3
	v_cndmask_b32_e64 v54, 0, 1, vcc_lo
	v_cmp_ne_u16_e32 vcc_lo, v9, v13
	;; [unrolled: 5-line block ×4, first 2 shown]
	v_cndmask_b32_e64 v60, 0, 1, vcc_lo
	v_cmp_ne_u16_e32 vcc_lo, v2, v9
	v_cndmask_b32_e64 v61, 0, 1, vcc_lo
	v_cmp_ne_u16_e32 vcc_lo, v10, v2
	;; [unrolled: 2-line block ×4, first 2 shown]
	v_cndmask_b32_e64 v64, 0, 1, vcc_lo
	s_and_saveexec_b32 s1, s3
	s_delay_alu instid0(SALU_CYCLE_1)
	s_xor_b32 s1, exec_lo, s1
	s_cbranch_execz .LBB749_142
; %bb.141:
	v_add_nc_u32_e32 v7, -2, v7
	s_or_b32 s41, s41, exec_lo
	ds_load_u16 v7, v7
	s_waitcnt lgkmcnt(0)
	v_cmp_ne_u16_e32 vcc_lo, v7, v50
	s_and_b32 s0, vcc_lo, exec_lo
.LBB749_142:
	s_or_b32 exec_lo, exec_lo, s1
	s_branch .LBB749_75
.LBB749_143:
	s_mul_hi_u32 s0, s24, 0xfffff100
	s_mul_i32 s1, s25, 0xfffff100
	s_sub_i32 s0, s0, s24
	s_mul_i32 s4, s24, 0xfffff100
	s_add_i32 s0, s0, s1
	s_add_u32 s24, s4, s36
	s_addc_u32 s25, s0, s37
	s_and_b32 vcc_lo, exec_lo, s15
	s_cbranch_vccz .LBB749_150
; %bb.144:
	v_add_co_u32 v6, vcc_lo, -2, v6
	v_add_co_ci_u32_e32 v7, vcc_lo, -1, v5, vcc_lo
	v_mad_u32_u24 v5, v0, 15, 14
	v_lshlrev_b32_e32 v8, 1, v0
	v_lshrrev_b32_e32 v10, 16, v15
	flat_load_u16 v9, v[6:7]
	v_mov_b32_e32 v6, 0
	v_lshrrev_b32_e32 v11, 16, v14
	v_mul_u32_u24_e32 v7, 15, v0
	ds_store_b16 v8, v10
	v_cmp_ne_u16_e64 s8, v15, v10
	v_cmp_gt_u64_e32 vcc_lo, s[24:25], v[5:6]
	v_mad_u32_u24 v5, v0, 15, 13
	v_cmp_ne_u16_e64 s9, v11, v15
	v_lshrrev_b32_e32 v10, 16, v13
	s_mov_b32 s41, -1
	s_mov_b32 s11, 0
	v_cmp_gt_u64_e64 s0, s[24:25], v[5:6]
	v_mad_u32_u24 v5, v0, 15, 12
	s_and_b32 s12, vcc_lo, s8
	v_cmp_ne_u16_e32 vcc_lo, v14, v11
	v_lshrrev_b32_e32 v11, 16, v3
	s_waitcnt vmcnt(0) lgkmcnt(0)
	v_cmp_gt_u64_e64 s1, s[24:25], v[5:6]
	v_mad_u32_u24 v5, v0, 15, 11
	s_and_b32 s13, s0, s9
	v_cmp_ne_u16_e64 s0, v10, v14
	s_barrier
	buffer_gl0_inv
	v_cmp_gt_u64_e64 s4, s[24:25], v[5:6]
	v_mad_u32_u24 v5, v0, 15, 10
	s_and_b32 s14, s1, vcc_lo
	v_cmp_ne_u16_e32 vcc_lo, v13, v10
	v_lshrrev_b32_e32 v10, 16, v4
	s_delay_alu instid0(VALU_DEP_3) | instskip(SKIP_2) | instid1(VALU_DEP_3)
	v_cmp_gt_u64_e64 s5, s[24:25], v[5:6]
	v_mad_u32_u24 v5, v0, 15, 9
	s_and_b32 s15, s4, s0
	v_cmp_ne_u16_e64 s1, v4, v10
	s_delay_alu instid0(VALU_DEP_2) | instskip(SKIP_4) | instid1(VALU_DEP_3)
	v_cmp_gt_u64_e64 s6, s[24:25], v[5:6]
	v_mad_u32_u24 v5, v0, 15, 8
	s_and_b32 s16, s5, vcc_lo
	v_cmp_ne_u16_e32 vcc_lo, v10, v13
	v_lshrrev_b32_e32 v10, 16, v2
	v_cmp_gt_u64_e64 s7, s[24:25], v[5:6]
	v_mad_u32_u24 v5, v0, 15, 7
	s_and_b32 s17, s6, vcc_lo
	v_cmp_ne_u16_e32 vcc_lo, v11, v4
	v_cmp_ne_u16_e64 s6, v2, v10
	s_delay_alu instid0(VALU_DEP_3) | instskip(SKIP_4) | instid1(VALU_DEP_3)
	v_cmp_gt_u64_e64 s10, s[24:25], v[5:6]
	v_mad_u32_u24 v5, v0, 15, 6
	s_and_b32 s36, s7, s1
	v_cmp_ne_u16_e64 s1, v3, v11
	v_lshrrev_b32_e32 v11, 16, v1
	v_cmp_gt_u64_e64 s8, s[24:25], v[5:6]
	v_mad_u32_u24 v5, v0, 15, 5
	s_and_b32 s42, s10, vcc_lo
	s_delay_alu instid0(VALU_DEP_3) | instskip(SKIP_1) | instid1(VALU_DEP_3)
	v_cmp_ne_u16_e64 s7, v11, v2
	v_cmp_ne_u16_e64 s10, v50, v1
	v_cmp_gt_u64_e64 s0, s[24:25], v[5:6]
	v_mad_u32_u24 v5, v0, 15, 4
	s_and_b32 s37, s8, s1
	v_cmp_ne_u16_e64 s1, v10, v3
	v_cmp_ne_u16_e64 s8, v1, v11
	s_delay_alu instid0(VALU_DEP_3) | instskip(SKIP_1) | instid1(VALU_DEP_4)
	v_cmp_gt_u64_e64 s4, s[24:25], v[5:6]
	v_mad_u32_u24 v5, v0, 15, 3
	s_and_b32 s0, s0, s1
	s_delay_alu instid0(VALU_DEP_1) | instskip(SKIP_1) | instid1(VALU_DEP_4)
	v_cmp_gt_u64_e64 s5, s[24:25], v[5:6]
	v_mad_u32_u24 v5, v0, 15, 2
	s_and_b32 s6, s4, s6
	s_delay_alu instid0(VALU_DEP_1) | instskip(SKIP_1) | instid1(VALU_DEP_4)
	v_cmp_gt_u64_e32 vcc_lo, s[24:25], v[5:6]
	v_mad_u32_u24 v5, v0, 15, 1
	s_and_b32 s5, s5, s7
	s_delay_alu instid0(VALU_DEP_1) | instskip(SKIP_1) | instid1(VALU_DEP_1)
	v_cmp_gt_u64_e64 s9, s[24:25], v[5:6]
	s_and_b32 s1, vcc_lo, s8
	s_and_b32 s4, s9, s10
	s_and_saveexec_b32 s7, s3
	s_cbranch_execz .LBB749_146
; %bb.145:
	v_add_nc_u32_e32 v5, -2, v8
	ds_load_u16 v9, v5
.LBB749_146:
	s_or_b32 exec_lo, exec_lo, s7
	v_mov_b32_e32 v8, v6
	v_cndmask_b32_e64 v60, 0, 1, s0
	s_waitcnt lgkmcnt(0)
	v_cmp_ne_u16_e64 s0, v9, v50
	v_cndmask_b32_e64 v57, 0, 1, s12
	v_cndmask_b32_e64 v51, 0, 1, s13
	v_cmp_gt_u64_e32 vcc_lo, s[24:25], v[7:8]
	v_cndmask_b32_e64 v52, 0, 1, s14
	v_cndmask_b32_e64 v53, 0, 1, s15
	;; [unrolled: 1-line block ×11, first 2 shown]
	s_and_b32 s0, vcc_lo, s0
	s_and_b32 vcc_lo, exec_lo, s11
	s_cbranch_vccnz .LBB749_151
.LBB749_147:
                                        ; implicit-def: $sgpr42
	v_mov_b32_e32 v65, s42
	s_and_saveexec_b32 s1, s41
	s_cbranch_execnz .LBB749_76
	s_branch .LBB749_77
.LBB749_148:
	s_and_not1_saveexec_b32 s16, s16
	s_cbranch_execz .LBB749_168
.LBB749_149:
	v_sub_nc_u32_e32 v20, v40, v7
	v_mov_b32_e32 v21, 0
	s_or_b32 s18, s18, exec_lo
	s_delay_alu instid0(VALU_DEP_1) | instskip(SKIP_1) | instid1(VALU_DEP_1)
	v_lshlrev_b64 v[22:23], 1, v[20:21]
	v_sub_nc_u32_e32 v20, v46, v7
	v_lshlrev_b64 v[67:68], 1, v[20:21]
	v_sub_nc_u32_e32 v20, v42, v7
	s_delay_alu instid0(VALU_DEP_4) | instskip(SKIP_1) | instid1(VALU_DEP_3)
	v_add_co_u32 v22, vcc_lo, v6, v22
	v_add_co_ci_u32_e32 v23, vcc_lo, v18, v23, vcc_lo
	v_lshlrev_b64 v[69:70], 1, v[20:21]
	v_sub_nc_u32_e32 v20, v38, v7
	v_add_co_u32 v67, vcc_lo, v6, v67
	v_add_co_ci_u32_e32 v68, vcc_lo, v18, v68, vcc_lo
	global_store_b16 v[22:23], v50, off
	v_lshlrev_b64 v[22:23], 1, v[20:21]
	v_sub_nc_u32_e32 v20, v32, v7
	global_store_b16 v[67:68], v1, off
	v_add_co_u32 v67, vcc_lo, v6, v69
	v_add_co_ci_u32_e32 v68, vcc_lo, v18, v70, vcc_lo
	v_lshlrev_b64 v[69:70], 1, v[20:21]
	v_sub_nc_u32_e32 v20, v28, v7
	v_add_co_u32 v22, vcc_lo, v6, v22
	v_add_co_ci_u32_e32 v23, vcc_lo, v18, v23, vcc_lo
	s_delay_alu instid0(VALU_DEP_3) | instskip(SKIP_3) | instid1(VALU_DEP_3)
	v_lshlrev_b64 v[71:72], 1, v[20:21]
	v_sub_nc_u32_e32 v20, v26, v7
	v_add_co_u32 v69, vcc_lo, v6, v69
	v_add_co_ci_u32_e32 v70, vcc_lo, v18, v70, vcc_lo
	v_lshlrev_b64 v[73:74], 1, v[20:21]
	v_sub_nc_u32_e32 v20, v30, v7
	v_add_co_u32 v71, vcc_lo, v6, v71
	v_add_co_ci_u32_e32 v72, vcc_lo, v18, v72, vcc_lo
	s_clause 0x3
	global_store_d16_hi_b16 v[67:68], v1, off
	global_store_b16 v[22:23], v2, off
	global_store_d16_hi_b16 v[69:70], v2, off
	global_store_b16 v[71:72], v3, off
	v_lshlrev_b64 v[22:23], 1, v[20:21]
	v_sub_nc_u32_e32 v20, v34, v7
	v_add_co_u32 v67, vcc_lo, v6, v73
	v_add_co_ci_u32_e32 v68, vcc_lo, v18, v74, vcc_lo
	s_delay_alu instid0(VALU_DEP_3) | instskip(SKIP_3) | instid1(VALU_DEP_3)
	v_lshlrev_b64 v[69:70], 1, v[20:21]
	v_sub_nc_u32_e32 v20, v9, v7
	v_add_co_u32 v22, vcc_lo, v6, v22
	v_add_co_ci_u32_e32 v23, vcc_lo, v18, v23, vcc_lo
	v_lshlrev_b64 v[71:72], 1, v[20:21]
	v_sub_nc_u32_e32 v20, v11, v7
	v_add_co_u32 v69, vcc_lo, v6, v69
	v_add_co_ci_u32_e32 v70, vcc_lo, v18, v70, vcc_lo
	s_delay_alu instid0(VALU_DEP_3)
	v_lshlrev_b64 v[73:74], 1, v[20:21]
	v_sub_nc_u32_e32 v20, v24, v7
	v_add_co_u32 v71, vcc_lo, v6, v71
	v_add_co_ci_u32_e32 v72, vcc_lo, v18, v72, vcc_lo
	s_clause 0x3
	global_store_d16_hi_b16 v[67:68], v3, off
	global_store_b16 v[22:23], v4, off
	global_store_d16_hi_b16 v[69:70], v4, off
	global_store_b16 v[71:72], v13, off
	v_lshlrev_b64 v[22:23], 1, v[20:21]
	v_sub_nc_u32_e32 v20, v48, v7
	v_add_co_u32 v67, vcc_lo, v6, v73
	v_add_co_ci_u32_e32 v68, vcc_lo, v18, v74, vcc_lo
	s_delay_alu instid0(VALU_DEP_3) | instskip(SKIP_3) | instid1(VALU_DEP_3)
	v_lshlrev_b64 v[69:70], 1, v[20:21]
	v_sub_nc_u32_e32 v20, v44, v7
	v_add_co_u32 v22, vcc_lo, v6, v22
	v_add_co_ci_u32_e32 v23, vcc_lo, v18, v23, vcc_lo
	v_lshlrev_b64 v[20:21], 1, v[20:21]
	v_add_co_u32 v69, vcc_lo, v6, v69
	v_add_co_ci_u32_e32 v70, vcc_lo, v18, v70, vcc_lo
	s_clause 0x2
	global_store_d16_hi_b16 v[67:68], v13, off
	global_store_b16 v[22:23], v14, off
	global_store_d16_hi_b16 v[69:70], v14, off
	v_add_co_u32 v20, vcc_lo, v6, v20
	v_add_co_ci_u32_e32 v21, vcc_lo, v18, v21, vcc_lo
	global_store_b16 v[20:21], v15, off
	s_or_b32 exec_lo, exec_lo, s16
	s_delay_alu instid0(SALU_CYCLE_1)
	s_and_b32 exec_lo, exec_lo, s18
	s_cbranch_execnz .LBB749_169
	s_branch .LBB749_170
.LBB749_150:
                                        ; implicit-def: $sgpr0
                                        ; implicit-def: $vgpr57
                                        ; implicit-def: $vgpr51
                                        ; implicit-def: $vgpr52
                                        ; implicit-def: $vgpr53
                                        ; implicit-def: $vgpr54
                                        ; implicit-def: $vgpr55
                                        ; implicit-def: $vgpr56
                                        ; implicit-def: $vgpr58
                                        ; implicit-def: $vgpr59
                                        ; implicit-def: $vgpr60
                                        ; implicit-def: $vgpr61
                                        ; implicit-def: $vgpr62
                                        ; implicit-def: $vgpr63
                                        ; implicit-def: $vgpr64
	s_cbranch_execz .LBB749_147
.LBB749_151:
	v_mad_u32_u24 v5, v0, 15, 14
	v_dual_mov_b32 v6, 0 :: v_dual_lshlrev_b32 v7, 1, v0
	v_lshrrev_b32_e32 v8, 16, v15
	v_lshrrev_b32_e32 v9, 16, v14
	;; [unrolled: 1-line block ×3, first 2 shown]
	s_delay_alu instid0(VALU_DEP_4)
	v_cmp_gt_u64_e32 vcc_lo, s[24:25], v[5:6]
	v_mad_u32_u24 v5, v0, 15, 13
	v_cmp_ne_u16_e64 s6, v15, v8
	v_cmp_ne_u16_e64 s7, v9, v15
	;; [unrolled: 1-line block ×3, first 2 shown]
	v_lshrrev_b32_e32 v11, 16, v4
	v_cmp_gt_u64_e64 s0, s[24:25], v[5:6]
	v_mad_u32_u24 v5, v0, 15, 12
	s_and_b32 s6, vcc_lo, s6
	v_cmp_ne_u16_e64 s9, v10, v14
	v_cmp_ne_u16_e64 s11, v13, v10
	;; [unrolled: 1-line block ×3, first 2 shown]
	v_cmp_gt_u64_e64 s1, s[24:25], v[5:6]
	v_mad_u32_u24 v5, v0, 15, 11
	s_and_b32 s0, s0, s7
	v_cmp_ne_u16_e64 s13, v4, v11
	v_cndmask_b32_e64 v51, 0, 1, s0
	v_lshrrev_b32_e32 v12, 16, v3
	v_cmp_gt_u64_e64 s4, s[24:25], v[5:6]
	v_mad_u32_u24 v5, v0, 15, 10
	s_and_b32 s0, s1, s8
	v_lshrrev_b32_e32 v24, 16, v2
	v_cndmask_b32_e64 v52, 0, 1, s0
	v_cmp_ne_u16_e64 s14, v12, v4
	v_cmp_gt_u64_e64 s5, s[24:25], v[5:6]
	v_mad_u32_u24 v5, v0, 15, 9
	s_and_b32 s1, s4, s9
	v_cmp_ne_u16_e64 s16, v3, v12
	v_cndmask_b32_e64 v53, 0, 1, s1
	v_cmp_ne_u16_e64 s17, v24, v3
	v_cmp_gt_u64_e64 s10, s[24:25], v[5:6]
	v_mad_u32_u24 v5, v0, 15, 8
	s_and_b32 s1, s5, s11
	v_lshrrev_b32_e32 v9, 16, v1
	v_cndmask_b32_e64 v54, 0, 1, s1
	v_cndmask_b32_e64 v57, 0, 1, s6
	v_cmp_gt_u64_e64 s15, s[24:25], v[5:6]
	v_mad_u32_u24 v5, v0, 15, 7
	s_and_b32 s4, s10, s12
	v_cmp_ne_u16_e64 s6, v50, v1
	v_cndmask_b32_e64 v55, 0, 1, s4
	s_mov_b32 s42, 1
	v_cmp_gt_u64_e32 vcc_lo, s[24:25], v[5:6]
	v_mad_u32_u24 v5, v0, 15, 6
	s_and_b32 s4, s15, s13
	ds_store_b16 v7, v8
	v_cndmask_b32_e64 v56, 0, 1, s4
	s_waitcnt lgkmcnt(0)
	v_cmp_gt_u64_e64 s0, s[24:25], v[5:6]
	v_mad_u32_u24 v5, v0, 15, 5
	s_and_b32 s5, vcc_lo, s14
	s_barrier
	v_cndmask_b32_e64 v58, 0, 1, s5
	v_cmp_ne_u16_e64 s5, v9, v2
	v_cmp_gt_u64_e64 s1, s[24:25], v[5:6]
	v_mad_u32_u24 v5, v0, 15, 4
	s_and_b32 s0, s0, s16
	buffer_gl0_inv
	v_cndmask_b32_e64 v59, 0, 1, s0
	v_cmp_ne_u16_e64 s0, v2, v24
	v_cmp_gt_u64_e64 s4, s[24:25], v[5:6]
	v_mad_u32_u24 v5, v0, 15, 3
	s_and_b32 s1, s1, s17
	s_delay_alu instid0(SALU_CYCLE_1) | instskip(NEXT) | instid1(VALU_DEP_2)
	v_cndmask_b32_e64 v60, 0, 1, s1
	v_cmp_gt_u64_e32 vcc_lo, s[24:25], v[5:6]
	v_mad_u32_u24 v5, v0, 15, 2
	s_and_b32 s0, s4, s0
	s_delay_alu instid0(SALU_CYCLE_1) | instskip(SKIP_1) | instid1(VALU_DEP_3)
	v_cndmask_b32_e64 v61, 0, 1, s0
	v_cmp_ne_u16_e64 s0, v1, v9
	v_cmp_gt_u64_e64 s1, s[24:25], v[5:6]
	v_mad_u32_u24 v5, v0, 15, 1
	s_and_b32 s5, vcc_lo, s5
	s_delay_alu instid0(SALU_CYCLE_1) | instskip(NEXT) | instid1(VALU_DEP_2)
	v_cndmask_b32_e64 v62, 0, 1, s5
	v_cmp_gt_u64_e64 s4, s[24:25], v[5:6]
	s_delay_alu instid0(VALU_DEP_4) | instskip(NEXT) | instid1(SALU_CYCLE_1)
	s_and_b32 s0, s1, s0
	v_cndmask_b32_e64 v63, 0, 1, s0
	s_delay_alu instid0(VALU_DEP_2) | instskip(NEXT) | instid1(SALU_CYCLE_1)
	s_and_b32 s0, s4, s6
	v_cndmask_b32_e64 v64, 0, 1, s0
                                        ; implicit-def: $sgpr0
	s_and_saveexec_b32 s1, s3
	s_cbranch_execz .LBB749_190
; %bb.152:
	v_add_nc_u32_e32 v5, -2, v7
	s_or_b32 s41, s41, exec_lo
	ds_load_u16 v7, v5
	v_mul_u32_u24_e32 v5, 15, v0
	s_delay_alu instid0(VALU_DEP_1) | instskip(SKIP_2) | instid1(VALU_DEP_1)
	v_cmp_gt_u64_e32 vcc_lo, s[24:25], v[5:6]
	s_waitcnt lgkmcnt(0)
	v_cmp_ne_u16_e64 s0, v7, v50
	s_and_b32 s0, vcc_lo, s0
	s_delay_alu instid0(SALU_CYCLE_1)
	s_and_b32 s0, s0, exec_lo
	s_or_b32 exec_lo, exec_lo, s1
	v_mov_b32_e32 v65, s42
	s_and_saveexec_b32 s1, s41
	s_cbranch_execz .LBB749_77
	s_branch .LBB749_76
.LBB749_153:
	s_or_b32 exec_lo, exec_lo, s18
	s_and_saveexec_b32 s18, s14
	s_cbranch_execz .LBB749_127
.LBB749_154:
	v_sub_nc_u32_e32 v20, v46, v7
	v_mov_b32_e32 v21, 0
	s_delay_alu instid0(VALU_DEP_1) | instskip(NEXT) | instid1(VALU_DEP_1)
	v_lshlrev_b64 v[20:21], 1, v[20:21]
	v_add_co_u32 v20, vcc_lo, v6, v20
	s_delay_alu instid0(VALU_DEP_2)
	v_add_co_ci_u32_e32 v21, vcc_lo, v18, v21, vcc_lo
	global_store_b16 v[20:21], v1, off
	s_or_b32 exec_lo, exec_lo, s18
	s_and_saveexec_b32 s18, s13
	s_cbranch_execnz .LBB749_128
.LBB749_155:
	s_or_b32 exec_lo, exec_lo, s18
	s_and_saveexec_b32 s18, s12
	s_cbranch_execz .LBB749_129
.LBB749_156:
	v_sub_nc_u32_e32 v20, v38, v7
	v_mov_b32_e32 v21, 0
	s_delay_alu instid0(VALU_DEP_1) | instskip(NEXT) | instid1(VALU_DEP_1)
	v_lshlrev_b64 v[20:21], 1, v[20:21]
	v_add_co_u32 v20, vcc_lo, v6, v20
	s_delay_alu instid0(VALU_DEP_2)
	v_add_co_ci_u32_e32 v21, vcc_lo, v18, v21, vcc_lo
	global_store_b16 v[20:21], v2, off
	s_or_b32 exec_lo, exec_lo, s18
	s_and_saveexec_b32 s18, s11
	s_cbranch_execnz .LBB749_130
.LBB749_157:
	s_or_b32 exec_lo, exec_lo, s18
	s_and_saveexec_b32 s18, s10
	s_cbranch_execz .LBB749_131
.LBB749_158:
	v_sub_nc_u32_e32 v20, v28, v7
	v_mov_b32_e32 v21, 0
	s_delay_alu instid0(VALU_DEP_1) | instskip(NEXT) | instid1(VALU_DEP_1)
	v_lshlrev_b64 v[20:21], 1, v[20:21]
	v_add_co_u32 v20, vcc_lo, v6, v20
	s_delay_alu instid0(VALU_DEP_2)
	v_add_co_ci_u32_e32 v21, vcc_lo, v18, v21, vcc_lo
	global_store_b16 v[20:21], v3, off
	s_or_b32 exec_lo, exec_lo, s18
	s_and_saveexec_b32 s18, s8
	s_cbranch_execnz .LBB749_132
.LBB749_159:
	s_or_b32 exec_lo, exec_lo, s18
	s_and_saveexec_b32 s18, s6
	s_cbranch_execz .LBB749_133
.LBB749_160:
	v_sub_nc_u32_e32 v20, v30, v7
	v_mov_b32_e32 v21, 0
	s_delay_alu instid0(VALU_DEP_1) | instskip(NEXT) | instid1(VALU_DEP_1)
	v_lshlrev_b64 v[20:21], 1, v[20:21]
	v_add_co_u32 v20, vcc_lo, v6, v20
	s_delay_alu instid0(VALU_DEP_2)
	v_add_co_ci_u32_e32 v21, vcc_lo, v18, v21, vcc_lo
	global_store_b16 v[20:21], v4, off
	s_or_b32 exec_lo, exec_lo, s18
	s_and_saveexec_b32 s18, s9
	s_cbranch_execnz .LBB749_134
.LBB749_161:
	s_or_b32 exec_lo, exec_lo, s18
	s_and_saveexec_b32 s18, s7
	s_cbranch_execz .LBB749_135
.LBB749_162:
	v_sub_nc_u32_e32 v20, v9, v7
	v_mov_b32_e32 v21, 0
	s_delay_alu instid0(VALU_DEP_1) | instskip(NEXT) | instid1(VALU_DEP_1)
	v_lshlrev_b64 v[20:21], 1, v[20:21]
	v_add_co_u32 v20, vcc_lo, v6, v20
	s_delay_alu instid0(VALU_DEP_2)
	v_add_co_ci_u32_e32 v21, vcc_lo, v18, v21, vcc_lo
	global_store_b16 v[20:21], v13, off
	s_or_b32 exec_lo, exec_lo, s18
	s_and_saveexec_b32 s18, s5
	s_cbranch_execnz .LBB749_136
.LBB749_163:
	s_or_b32 exec_lo, exec_lo, s18
	s_and_saveexec_b32 s18, s4
	s_cbranch_execz .LBB749_137
.LBB749_164:
	v_sub_nc_u32_e32 v20, v24, v7
	v_mov_b32_e32 v21, 0
	s_delay_alu instid0(VALU_DEP_1) | instskip(NEXT) | instid1(VALU_DEP_1)
	v_lshlrev_b64 v[20:21], 1, v[20:21]
	v_add_co_u32 v20, vcc_lo, v6, v20
	s_delay_alu instid0(VALU_DEP_2)
	v_add_co_ci_u32_e32 v21, vcc_lo, v18, v21, vcc_lo
	global_store_b16 v[20:21], v14, off
	s_or_b32 exec_lo, exec_lo, s18
	s_and_saveexec_b32 s18, s3
	s_cbranch_execnz .LBB749_138
.LBB749_165:
	s_or_b32 exec_lo, exec_lo, s18
	s_and_saveexec_b32 s18, s1
	s_cbranch_execz .LBB749_167
.LBB749_166:
	v_sub_nc_u32_e32 v20, v44, v7
	v_mov_b32_e32 v21, 0
	s_delay_alu instid0(VALU_DEP_1) | instskip(NEXT) | instid1(VALU_DEP_1)
	v_lshlrev_b64 v[20:21], 1, v[20:21]
	v_add_co_u32 v20, vcc_lo, v6, v20
	s_delay_alu instid0(VALU_DEP_2)
	v_add_co_ci_u32_e32 v21, vcc_lo, v18, v21, vcc_lo
	global_store_b16 v[20:21], v15, off
.LBB749_167:
	s_or_b32 exec_lo, exec_lo, s18
	s_delay_alu instid0(SALU_CYCLE_1)
	s_and_b32 s18, s0, exec_lo
	s_and_not1_saveexec_b32 s16, s16
	s_cbranch_execnz .LBB749_149
.LBB749_168:
	s_or_b32 exec_lo, exec_lo, s16
	s_delay_alu instid0(SALU_CYCLE_1)
	s_and_b32 exec_lo, exec_lo, s18
	s_cbranch_execz .LBB749_170
.LBB749_169:
	v_sub_nc_u32_e32 v20, v36, v7
	v_mov_b32_e32 v21, 0
	s_delay_alu instid0(VALU_DEP_1) | instskip(NEXT) | instid1(VALU_DEP_1)
	v_lshlrev_b64 v[20:21], 1, v[20:21]
	v_add_co_u32 v20, vcc_lo, v6, v20
	s_delay_alu instid0(VALU_DEP_2)
	v_add_co_ci_u32_e32 v21, vcc_lo, v18, v21, vcc_lo
	global_store_d16_hi_b16 v[20:21], v15, off
.LBB749_170:
	s_or_b32 exec_lo, exec_lo, s17
	s_mov_b32 s17, 0
.LBB749_171:
	s_delay_alu instid0(SALU_CYCLE_1)
	s_and_b32 vcc_lo, exec_lo, s17
	s_cbranch_vccz .LBB749_224
; %bb.172:
	s_mov_b32 s16, exec_lo
	v_cmpx_gt_i16_e32 2, v19
	s_cbranch_execz .LBB749_208
; %bb.173:
	s_mov_b32 s18, 0
	s_mov_b32 s17, exec_lo
	v_cmpx_ne_u16_e32 1, v19
	s_xor_b32 s17, exec_lo, s17
	s_cbranch_execz .LBB749_188
; %bb.174:
	s_and_saveexec_b32 s18, s15
	s_cbranch_execz .LBB749_191
; %bb.175:
	v_sub_nc_u32_e32 v19, v40, v7
	s_delay_alu instid0(VALU_DEP_1)
	v_lshlrev_b32_e32 v19, 1, v19
	ds_store_b16 v19, v50
	s_or_b32 exec_lo, exec_lo, s18
	s_and_saveexec_b32 s15, s14
	s_cbranch_execnz .LBB749_192
.LBB749_176:
	s_or_b32 exec_lo, exec_lo, s15
	s_and_saveexec_b32 s14, s13
	s_cbranch_execz .LBB749_193
.LBB749_177:
	v_sub_nc_u32_e32 v19, v42, v7
	s_delay_alu instid0(VALU_DEP_1)
	v_lshlrev_b32_e32 v19, 1, v19
	ds_store_b16_d16_hi v19, v1
	s_or_b32 exec_lo, exec_lo, s14
	s_and_saveexec_b32 s13, s12
	s_cbranch_execnz .LBB749_194
.LBB749_178:
	s_or_b32 exec_lo, exec_lo, s13
	s_and_saveexec_b32 s12, s11
	s_cbranch_execz .LBB749_195
.LBB749_179:
	v_sub_nc_u32_e32 v1, v32, v7
	s_delay_alu instid0(VALU_DEP_1)
	v_lshlrev_b32_e32 v1, 1, v1
	ds_store_b16_d16_hi v1, v2
	s_or_b32 exec_lo, exec_lo, s12
	s_and_saveexec_b32 s11, s10
	s_cbranch_execnz .LBB749_196
.LBB749_180:
	s_or_b32 exec_lo, exec_lo, s11
	s_and_saveexec_b32 s10, s8
	s_cbranch_execz .LBB749_197
.LBB749_181:
	v_sub_nc_u32_e32 v1, v26, v7
	s_delay_alu instid0(VALU_DEP_1)
	v_lshlrev_b32_e32 v1, 1, v1
	ds_store_b16_d16_hi v1, v3
	s_or_b32 exec_lo, exec_lo, s10
	s_and_saveexec_b32 s8, s6
	s_cbranch_execnz .LBB749_198
.LBB749_182:
	s_or_b32 exec_lo, exec_lo, s8
	s_and_saveexec_b32 s6, s9
	s_cbranch_execz .LBB749_199
.LBB749_183:
	v_sub_nc_u32_e32 v1, v34, v7
	s_delay_alu instid0(VALU_DEP_1)
	v_lshlrev_b32_e32 v1, 1, v1
	ds_store_b16_d16_hi v1, v4
	s_or_b32 exec_lo, exec_lo, s6
	s_and_saveexec_b32 s6, s7
	s_cbranch_execnz .LBB749_200
.LBB749_184:
	s_or_b32 exec_lo, exec_lo, s6
	s_and_saveexec_b32 s6, s5
	s_cbranch_execz .LBB749_201
.LBB749_185:
	v_sub_nc_u32_e32 v1, v11, v7
	s_delay_alu instid0(VALU_DEP_1)
	v_lshlrev_b32_e32 v1, 1, v1
	ds_store_b16_d16_hi v1, v13
	s_or_b32 exec_lo, exec_lo, s6
	s_and_saveexec_b32 s5, s4
	s_cbranch_execnz .LBB749_202
.LBB749_186:
	s_or_b32 exec_lo, exec_lo, s5
	s_and_saveexec_b32 s4, s3
	s_cbranch_execz .LBB749_203
.LBB749_187:
	v_sub_nc_u32_e32 v1, v48, v7
	s_delay_alu instid0(VALU_DEP_1)
	v_lshlrev_b32_e32 v1, 1, v1
	ds_store_b16_d16_hi v1, v14
	s_or_b32 exec_lo, exec_lo, s4
	s_and_saveexec_b32 s3, s1
	s_cbranch_execnz .LBB749_204
	s_branch .LBB749_205
.LBB749_188:
	s_and_not1_saveexec_b32 s0, s17
	s_cbranch_execz .LBB749_206
.LBB749_189:
	v_sub_nc_u32_e32 v19, v40, v7
	v_sub_nc_u32_e32 v20, v46, v7
	;; [unrolled: 1-line block ×4, first 2 shown]
	s_or_b32 s18, s18, exec_lo
	v_lshlrev_b32_e32 v19, 1, v19
	v_lshlrev_b32_e32 v20, 1, v20
	;; [unrolled: 1-line block ×4, first 2 shown]
	ds_store_b16 v19, v50
	ds_store_b16 v20, v1
	ds_store_b16_d16_hi v21, v1
	v_sub_nc_u32_e32 v1, v32, v7
	v_sub_nc_u32_e32 v19, v28, v7
	ds_store_b16 v22, v2
	v_sub_nc_u32_e32 v22, v34, v7
	v_sub_nc_u32_e32 v20, v26, v7
	v_lshlrev_b32_e32 v1, 1, v1
	v_sub_nc_u32_e32 v21, v30, v7
	v_lshlrev_b32_e32 v19, 1, v19
	s_delay_alu instid0(VALU_DEP_4)
	v_lshlrev_b32_e32 v20, 1, v20
	ds_store_b16_d16_hi v1, v2
	v_lshlrev_b32_e32 v1, 1, v22
	v_sub_nc_u32_e32 v2, v9, v7
	v_lshlrev_b32_e32 v21, 1, v21
	ds_store_b16 v19, v3
	ds_store_b16_d16_hi v20, v3
	ds_store_b16 v21, v4
	ds_store_b16_d16_hi v1, v4
	v_sub_nc_u32_e32 v1, v11, v7
	v_lshlrev_b32_e32 v2, 1, v2
	v_sub_nc_u32_e32 v19, v44, v7
	v_sub_nc_u32_e32 v3, v24, v7
	;; [unrolled: 1-line block ×3, first 2 shown]
	v_lshlrev_b32_e32 v1, 1, v1
	ds_store_b16 v2, v13
	v_lshlrev_b32_e32 v2, 1, v19
	v_lshlrev_b32_e32 v3, 1, v3
	;; [unrolled: 1-line block ×3, first 2 shown]
	ds_store_b16_d16_hi v1, v13
	ds_store_b16 v3, v14
	ds_store_b16_d16_hi v4, v14
	ds_store_b16 v2, v15
	s_or_b32 exec_lo, exec_lo, s0
	s_delay_alu instid0(SALU_CYCLE_1)
	s_and_b32 exec_lo, exec_lo, s18
	s_cbranch_execnz .LBB749_207
	s_branch .LBB749_208
.LBB749_190:
	s_or_b32 exec_lo, exec_lo, s1
	v_mov_b32_e32 v65, s42
	s_and_saveexec_b32 s1, s41
	s_cbranch_execnz .LBB749_76
	s_branch .LBB749_77
.LBB749_191:
	s_or_b32 exec_lo, exec_lo, s18
	s_and_saveexec_b32 s15, s14
	s_cbranch_execz .LBB749_176
.LBB749_192:
	v_sub_nc_u32_e32 v19, v46, v7
	s_delay_alu instid0(VALU_DEP_1)
	v_lshlrev_b32_e32 v19, 1, v19
	ds_store_b16 v19, v1
	s_or_b32 exec_lo, exec_lo, s15
	s_and_saveexec_b32 s14, s13
	s_cbranch_execnz .LBB749_177
.LBB749_193:
	s_or_b32 exec_lo, exec_lo, s14
	s_and_saveexec_b32 s13, s12
	s_cbranch_execz .LBB749_178
.LBB749_194:
	v_sub_nc_u32_e32 v1, v38, v7
	s_delay_alu instid0(VALU_DEP_1)
	v_lshlrev_b32_e32 v1, 1, v1
	ds_store_b16 v1, v2
	s_or_b32 exec_lo, exec_lo, s13
	s_and_saveexec_b32 s12, s11
	s_cbranch_execnz .LBB749_179
.LBB749_195:
	s_or_b32 exec_lo, exec_lo, s12
	s_and_saveexec_b32 s11, s10
	s_cbranch_execz .LBB749_180
.LBB749_196:
	v_sub_nc_u32_e32 v1, v28, v7
	s_delay_alu instid0(VALU_DEP_1)
	v_lshlrev_b32_e32 v1, 1, v1
	ds_store_b16 v1, v3
	s_or_b32 exec_lo, exec_lo, s11
	s_and_saveexec_b32 s10, s8
	s_cbranch_execnz .LBB749_181
.LBB749_197:
	s_or_b32 exec_lo, exec_lo, s10
	s_and_saveexec_b32 s8, s6
	s_cbranch_execz .LBB749_182
.LBB749_198:
	v_sub_nc_u32_e32 v1, v30, v7
	s_delay_alu instid0(VALU_DEP_1)
	v_lshlrev_b32_e32 v1, 1, v1
	ds_store_b16 v1, v4
	s_or_b32 exec_lo, exec_lo, s8
	s_and_saveexec_b32 s6, s9
	s_cbranch_execnz .LBB749_183
.LBB749_199:
	s_or_b32 exec_lo, exec_lo, s6
	s_and_saveexec_b32 s6, s7
	s_cbranch_execz .LBB749_184
.LBB749_200:
	v_sub_nc_u32_e32 v1, v9, v7
	s_delay_alu instid0(VALU_DEP_1)
	v_lshlrev_b32_e32 v1, 1, v1
	ds_store_b16 v1, v13
	s_or_b32 exec_lo, exec_lo, s6
	s_and_saveexec_b32 s6, s5
	s_cbranch_execnz .LBB749_185
.LBB749_201:
	s_or_b32 exec_lo, exec_lo, s6
	s_and_saveexec_b32 s5, s4
	s_cbranch_execz .LBB749_186
.LBB749_202:
	v_sub_nc_u32_e32 v1, v24, v7
	s_delay_alu instid0(VALU_DEP_1)
	v_lshlrev_b32_e32 v1, 1, v1
	ds_store_b16 v1, v14
	s_or_b32 exec_lo, exec_lo, s5
	s_and_saveexec_b32 s4, s3
	s_cbranch_execnz .LBB749_187
.LBB749_203:
	s_or_b32 exec_lo, exec_lo, s4
	s_and_saveexec_b32 s3, s1
	s_cbranch_execz .LBB749_205
.LBB749_204:
	v_sub_nc_u32_e32 v1, v44, v7
	s_delay_alu instid0(VALU_DEP_1)
	v_lshlrev_b32_e32 v1, 1, v1
	ds_store_b16 v1, v15
.LBB749_205:
	s_or_b32 exec_lo, exec_lo, s3
	s_delay_alu instid0(SALU_CYCLE_1)
	s_and_b32 s18, s0, exec_lo
                                        ; implicit-def: $vgpr50
                                        ; implicit-def: $vgpr1
	s_and_not1_saveexec_b32 s0, s17
	s_cbranch_execnz .LBB749_189
.LBB749_206:
	s_or_b32 exec_lo, exec_lo, s0
	s_delay_alu instid0(SALU_CYCLE_1)
	s_and_b32 exec_lo, exec_lo, s18
	s_cbranch_execz .LBB749_208
.LBB749_207:
	v_sub_nc_u32_e32 v1, v36, v7
	s_delay_alu instid0(VALU_DEP_1)
	v_lshlrev_b32_e32 v1, 1, v1
	ds_store_b16_d16_hi v1, v15
.LBB749_208:
	s_or_b32 exec_lo, exec_lo, s16
	s_delay_alu instid0(SALU_CYCLE_1)
	s_mov_b32 s1, exec_lo
	s_waitcnt lgkmcnt(0)
	s_waitcnt_vscnt null, 0x0
	s_barrier
	buffer_gl0_inv
	v_cmpx_lt_u32_e64 v0, v5
	s_cbranch_execz .LBB749_223
; %bb.209:
	v_xad_u32 v2, v0, -1, v5
	v_mov_b32_e32 v1, v0
	s_mov_b32 s0, -1
	s_mov_b32 s4, exec_lo
	s_delay_alu instid0(VALU_DEP_2)
	v_cmp_gt_u32_e64 s3, 0x1900, v2
	v_cmpx_lt_u32_e32 0x18ff, v2
	s_cbranch_execz .LBB749_220
; %bb.210:
	v_sub_nc_u32_e32 v1, v0, v5
	s_delay_alu instid0(VALU_DEP_1) | instskip(NEXT) | instid1(VALU_DEP_1)
	v_or_b32_e32 v1, 0xff, v1
	v_cmp_ge_u32_e32 vcc_lo, v1, v0
	v_mov_b32_e32 v1, v0
	s_and_saveexec_b32 s5, vcc_lo
	s_cbranch_execz .LBB749_219
; %bb.211:
	v_lshrrev_b32_e32 v4, 8, v2
	v_or_b32_e32 v1, 0x100, v0
	v_dual_mov_b32 v22, 0 :: v_dual_lshlrev_b32 v15, 1, v0
	s_delay_alu instid0(VALU_DEP_3) | instskip(NEXT) | instid1(VALU_DEP_1)
	v_add_nc_u32_e32 v2, -1, v4
	v_lshrrev_b32_e32 v3, 1, v2
	v_cmp_lt_u32_e32 vcc_lo, 13, v2
	s_delay_alu instid0(VALU_DEP_2)
	v_add_nc_u32_e32 v19, 1, v3
	v_dual_mov_b32 v3, v1 :: v_dual_mov_b32 v2, v0
	s_and_saveexec_b32 s0, vcc_lo
	s_cbranch_execz .LBB749_215
; %bb.212:
	v_dual_mov_b32 v14, 0 :: v_dual_mov_b32 v3, v1
	v_dual_mov_b32 v21, v15 :: v_dual_and_b32 v20, -8, v19
	v_mov_b32_e32 v2, v0
	s_mov_b32 s6, 0
	s_mov_b32 s7, 0
.LBB749_213:                            ; =>This Inner Loop Header: Depth=1
	s_delay_alu instid0(VALU_DEP_1) | instskip(SKIP_2) | instid1(VALU_DEP_3)
	v_dual_mov_b32 v13, v2 :: v_dual_add_nc_u32 v20, -8, v20
	v_dual_mov_b32 v68, v14 :: v_dual_add_nc_u32 v67, 0x200, v3
	v_dual_mov_b32 v70, v14 :: v_dual_add_nc_u32 v69, 0x400, v3
	v_lshlrev_b64 v[81:82], 1, v[13:14]
	s_delay_alu instid0(VALU_DEP_4) | instskip(NEXT) | instid1(VALU_DEP_4)
	v_cmp_eq_u32_e32 vcc_lo, 0, v20
	v_lshlrev_b64 v[67:68], 1, v[67:68]
	v_dual_mov_b32 v72, v14 :: v_dual_add_nc_u32 v71, 0x600, v3
	s_add_i32 s7, s7, 16
	v_lshlrev_b64 v[69:70], 1, v[69:70]
	s_or_b32 s6, vcc_lo, s6
	v_add_co_u32 v81, vcc_lo, v6, v81
	v_dual_mov_b32 v74, v14 :: v_dual_add_nc_u32 v73, 0x800, v3
	v_add_co_ci_u32_e32 v82, vcc_lo, v18, v82, vcc_lo
	v_lshlrev_b64 v[71:72], 1, v[71:72]
	v_add_co_u32 v67, vcc_lo, v6, v67
	v_dual_mov_b32 v76, v14 :: v_dual_add_nc_u32 v75, 0xa00, v3
	v_add_co_ci_u32_e32 v68, vcc_lo, v18, v68, vcc_lo
	v_lshlrev_b64 v[73:74], 1, v[73:74]
	;; [unrolled: 4-line block ×3, first 2 shown]
	v_add_co_u32 v71, vcc_lo, v6, v71
	v_dual_mov_b32 v80, v14 :: v_dual_add_nc_u32 v79, 0xe00, v3
	v_mov_b32_e32 v13, v3
	v_add_co_ci_u32_e32 v72, vcc_lo, v18, v72, vcc_lo
	v_lshlrev_b64 v[77:78], 1, v[77:78]
	v_add_co_u32 v73, vcc_lo, v6, v73
	ds_load_u16 v1, v21
	ds_load_u16 v23, v21 offset:512
	ds_load_u16 v50, v21 offset:1024
	;; [unrolled: 1-line block ×7, first 2 shown]
	v_add_co_ci_u32_e32 v74, vcc_lo, v18, v74, vcc_lo
	v_lshlrev_b64 v[79:80], 1, v[79:80]
	v_add_co_u32 v75, vcc_lo, v6, v75
	v_lshlrev_b64 v[83:84], 1, v[13:14]
	v_add_nc_u32_e32 v13, 0x200, v2
	v_add_co_ci_u32_e32 v76, vcc_lo, v18, v76, vcc_lo
	v_add_co_u32 v77, vcc_lo, v6, v77
	v_add_co_ci_u32_e32 v78, vcc_lo, v18, v78, vcc_lo
	v_add_co_u32 v79, vcc_lo, v6, v79
	v_lshlrev_b64 v[85:86], 1, v[13:14]
	v_add_nc_u32_e32 v13, 0x400, v2
	v_add_co_ci_u32_e32 v80, vcc_lo, v18, v80, vcc_lo
	v_add_co_u32 v83, vcc_lo, v6, v83
	ds_load_u16 v92, v21 offset:4096
	ds_load_u16 v93, v21 offset:4608
	;; [unrolled: 1-line block ×8, first 2 shown]
	v_add_co_ci_u32_e32 v84, vcc_lo, v18, v84, vcc_lo
	s_waitcnt lgkmcnt(15)
	global_store_b16 v[81:82], v1, off
	v_lshlrev_b64 v[81:82], 1, v[13:14]
	v_add_nc_u32_e32 v13, 0x600, v2
	v_add_co_u32 v85, vcc_lo, v6, v85
	v_add_co_ci_u32_e32 v86, vcc_lo, v18, v86, vcc_lo
	s_waitcnt lgkmcnt(14)
	global_store_b16 v[83:84], v23, off
	v_lshlrev_b64 v[83:84], 1, v[13:14]
	v_add_nc_u32_e32 v13, 0x800, v2
	s_waitcnt lgkmcnt(13)
	global_store_b16 v[85:86], v50, off
	s_waitcnt lgkmcnt(12)
	global_store_b16 v[67:68], v87, off
	v_add_co_u32 v67, vcc_lo, v6, v81
	v_add_co_ci_u32_e32 v68, vcc_lo, v18, v82, vcc_lo
	v_lshlrev_b64 v[81:82], 1, v[13:14]
	v_add_nc_u32_e32 v13, 0xa00, v2
	v_add_co_u32 v83, vcc_lo, v6, v83
	v_add_co_ci_u32_e32 v84, vcc_lo, v18, v84, vcc_lo
	s_waitcnt lgkmcnt(11)
	global_store_b16 v[67:68], v88, off
	s_waitcnt lgkmcnt(10)
	global_store_b16 v[69:70], v89, off
	v_lshlrev_b64 v[67:68], 1, v[13:14]
	v_add_nc_u32_e32 v13, 0xc00, v2
	v_add_co_u32 v69, vcc_lo, v6, v81
	s_waitcnt lgkmcnt(9)
	global_store_b16 v[83:84], v90, off
	s_waitcnt lgkmcnt(8)
	global_store_b16 v[71:72], v91, off
	v_add_co_ci_u32_e32 v70, vcc_lo, v18, v82, vcc_lo
	v_lshlrev_b64 v[71:72], 1, v[13:14]
	v_add_nc_u32_e32 v13, 0xe00, v2
	v_add_nc_u32_e32 v2, 0x1000, v2
	v_add_co_u32 v67, vcc_lo, v6, v67
	v_add_co_ci_u32_e32 v68, vcc_lo, v18, v68, vcc_lo
	s_waitcnt lgkmcnt(7)
	global_store_b16 v[69:70], v92, off
	s_waitcnt lgkmcnt(6)
	global_store_b16 v[73:74], v93, off
	v_lshlrev_b64 v[69:70], 1, v[13:14]
	v_dual_mov_b32 v22, s7 :: v_dual_add_nc_u32 v21, 0x2000, v21
	s_waitcnt lgkmcnt(5)
	global_store_b16 v[67:68], v94, off
	v_add_co_u32 v67, vcc_lo, v6, v71
	v_add_nc_u32_e32 v3, 0x1000, v3
	v_add_co_ci_u32_e32 v68, vcc_lo, v18, v72, vcc_lo
	v_add_co_u32 v69, vcc_lo, v6, v69
	v_add_co_ci_u32_e32 v70, vcc_lo, v18, v70, vcc_lo
	s_waitcnt lgkmcnt(4)
	global_store_b16 v[75:76], v95, off
	s_waitcnt lgkmcnt(3)
	global_store_b16 v[67:68], v96, off
	;; [unrolled: 2-line block ×5, first 2 shown]
	s_and_not1_b32 exec_lo, exec_lo, s6
	s_cbranch_execnz .LBB749_213
; %bb.214:
	s_or_b32 exec_lo, exec_lo, s6
.LBB749_215:
	s_delay_alu instid0(SALU_CYCLE_1) | instskip(SKIP_3) | instid1(VALU_DEP_1)
	s_or_b32 exec_lo, exec_lo, s0
	v_and_b32_e32 v1, 7, v19
	s_mov_b32 s7, 0
	s_mov_b32 s6, exec_lo
	v_cmpx_ne_u32_e32 0, v1
	s_cbranch_execz .LBB749_218
; %bb.216:
	v_lshl_or_b32 v15, v22, 9, v15
	v_mov_b32_e32 v14, 0
	s_set_inst_prefetch_distance 0x1
	.p2align	6
.LBB749_217:                            ; =>This Inner Loop Header: Depth=1
	v_dual_mov_b32 v13, v2 :: v_dual_add_nc_u32 v2, 0x200, v2
	ds_load_u16 v23, v15
	ds_load_u16 v50, v15 offset:512
	v_add_nc_u32_e32 v1, -1, v1
	v_add_nc_u32_e32 v15, 0x400, v15
	v_lshlrev_b64 v[19:20], 1, v[13:14]
	v_mov_b32_e32 v13, v3
	v_add_nc_u32_e32 v3, 0x200, v3
	v_cmp_eq_u32_e32 vcc_lo, 0, v1
	s_delay_alu instid0(VALU_DEP_3) | instskip(SKIP_1) | instid1(VALU_DEP_1)
	v_lshlrev_b64 v[21:22], 1, v[13:14]
	v_add_co_u32 v19, s0, v6, v19
	v_add_co_ci_u32_e64 v20, s0, v18, v20, s0
	s_or_b32 s7, vcc_lo, s7
	s_delay_alu instid0(VALU_DEP_3) | instskip(NEXT) | instid1(VALU_DEP_1)
	v_add_co_u32 v21, s0, v6, v21
	v_add_co_ci_u32_e64 v22, s0, v18, v22, s0
	s_waitcnt lgkmcnt(1)
	global_store_b16 v[19:20], v23, off
	s_waitcnt lgkmcnt(0)
	global_store_b16 v[21:22], v50, off
	s_and_not1_b32 exec_lo, exec_lo, s7
	s_cbranch_execnz .LBB749_217
.LBB749_218:
	s_set_inst_prefetch_distance 0x2
	s_or_b32 exec_lo, exec_lo, s6
	v_add_nc_u32_e32 v1, 1, v4
	s_delay_alu instid0(VALU_DEP_1) | instskip(NEXT) | instid1(VALU_DEP_1)
	v_and_b32_e32 v2, 0x1fffffe, v1
	v_cmp_ne_u32_e32 vcc_lo, v1, v2
	v_lshl_or_b32 v1, v2, 8, v0
	s_or_not1_b32 s0, vcc_lo, exec_lo
.LBB749_219:
	s_or_b32 exec_lo, exec_lo, s5
	s_delay_alu instid0(SALU_CYCLE_1) | instskip(SKIP_1) | instid1(SALU_CYCLE_1)
	s_and_not1_b32 s3, s3, exec_lo
	s_and_b32 s0, s0, exec_lo
	s_or_b32 s3, s3, s0
.LBB749_220:
	s_or_b32 exec_lo, exec_lo, s4
	s_delay_alu instid0(VALU_DEP_2) | instid1(SALU_CYCLE_1)
	s_and_b32 exec_lo, exec_lo, s3
	s_cbranch_execz .LBB749_223
; %bb.221:
	v_dual_mov_b32 v2, 0 :: v_dual_lshlrev_b32 v3, 1, v1
	s_mov_b32 s3, 0
	.p2align	6
.LBB749_222:                            ; =>This Inner Loop Header: Depth=1
	ds_load_u16 v4, v3
	v_lshlrev_b64 v[13:14], 1, v[1:2]
	v_add_nc_u32_e32 v1, 0x100, v1
	v_add_nc_u32_e32 v3, 0x200, v3
	s_delay_alu instid0(VALU_DEP_2) | instskip(NEXT) | instid1(VALU_DEP_4)
	v_cmp_ge_u32_e32 vcc_lo, v1, v5
	v_add_co_u32 v13, s0, v6, v13
	s_delay_alu instid0(VALU_DEP_1)
	v_add_co_ci_u32_e64 v14, s0, v18, v14, s0
	s_or_b32 s3, vcc_lo, s3
	s_waitcnt lgkmcnt(0)
	global_store_b16 v[13:14], v4, off
	s_and_not1_b32 exec_lo, exec_lo, s3
	s_cbranch_execnz .LBB749_222
.LBB749_223:
	s_or_b32 exec_lo, exec_lo, s1
.LBB749_224:
	s_cmpk_lg_i32 s27, 0xf00
	v_cndmask_b32_e64 v15, 0, 1, s33
	s_cselect_b32 s0, -1, 0
	v_mad_i32_i24 v4, v0, -15, s27
	s_and_b32 s0, s0, s26
	s_and_b32 s1, s2, s33
	v_cndmask_b32_e64 v2, 0, 1, s0
	s_mul_hi_u32 s0, s27, 0x88888889
	v_sub_nc_u32_e32 v1, v5, v15
	s_lshr_b32 s0, s0, 3
	v_cndmask_b32_e64 v6, v65, 0, s1
	v_cmp_eq_u32_e32 vcc_lo, s0, v0
	v_cmp_ne_u32_e64 s0, 0, v4
	s_mov_b32 s16, -1
	s_waitcnt_vscnt null, 0x0
	s_barrier
	s_and_b32 vcc_lo, vcc_lo, s26
	v_add_nc_u32_e32 v3, v1, v2
	v_cndmask_b32_e64 v1, 1, v6, s0
	v_cmp_ne_u32_e64 s0, 1, v4
	buffer_gl0_inv
	v_cndmask_b32_e32 v21, v6, v1, vcc_lo
	v_cndmask_b32_e64 v2, 1, v64, s0
	v_cmp_ne_u32_e64 s0, 2, v4
	s_delay_alu instid0(VALU_DEP_3) | instskip(NEXT) | instid1(VALU_DEP_2)
	v_cmp_ne_u32_e64 s14, 0, v21
	v_cndmask_b32_e64 v13, 1, v63, s0
	v_cmp_ne_u32_e64 s0, 14, v4
	s_delay_alu instid0(VALU_DEP_2) | instskip(NEXT) | instid1(VALU_DEP_2)
	v_dual_cndmask_b32 v22, v64, v2 :: v_dual_cndmask_b32 v23, v63, v13
	v_cndmask_b32_e64 v14, 1, v57, s0
	v_cmp_ne_u32_e64 s0, 3, v4
	s_delay_alu instid0(VALU_DEP_3) | instskip(NEXT) | instid1(VALU_DEP_4)
	v_cmp_ne_u32_e64 s13, 0, v22
	v_cmp_ne_u32_e64 s12, 0, v23
	s_delay_alu instid0(VALU_DEP_4) | instskip(NEXT) | instid1(VALU_DEP_4)
	v_cndmask_b32_e32 v20, v57, v14, vcc_lo
	v_cndmask_b32_e64 v18, 1, v62, s0
	v_cmp_ne_u32_e64 s0, 4, v4
	s_delay_alu instid0(VALU_DEP_1) | instskip(SKIP_1) | instid1(VALU_DEP_2)
	v_cndmask_b32_e64 v19, 1, v61, s0
	v_cmp_ne_u32_e64 s0, 5, v4
	v_dual_cndmask_b32 v18, v62, v18 :: v_dual_cndmask_b32 v19, v61, v19
	s_delay_alu instid0(VALU_DEP_2) | instskip(SKIP_1) | instid1(VALU_DEP_3)
	v_cndmask_b32_e64 v1, 1, v60, s0
	v_cmp_ne_u32_e64 s0, 6, v4
	v_cmp_ne_u32_e64 s11, 0, v18
	s_delay_alu instid0(VALU_DEP_4) | instskip(NEXT) | instid1(VALU_DEP_4)
	v_cmp_ne_u32_e64 s10, 0, v19
	v_cndmask_b32_e32 v60, v60, v1, vcc_lo
	s_delay_alu instid0(VALU_DEP_4) | instskip(SKIP_1) | instid1(VALU_DEP_3)
	v_cndmask_b32_e64 v2, 1, v59, s0
	v_cmp_eq_u32_e64 s0, 0, v21
	v_cmp_ne_u32_e64 s9, 0, v60
	s_delay_alu instid0(VALU_DEP_2) | instskip(SKIP_1) | instid1(VALU_DEP_1)
	v_cndmask_b32_e64 v6, 1, 2, s0
	v_cmp_eq_u32_e64 s0, 0, v22
	v_cndmask_b32_e64 v14, 1, 2, s0
	v_cmp_ne_u32_e64 s0, 7, v4
	s_delay_alu instid0(VALU_DEP_2) | instskip(NEXT) | instid1(VALU_DEP_2)
	v_and_b32_e32 v6, v14, v6
	v_cndmask_b32_e64 v13, 1, v58, s0
	v_cmp_eq_u32_e64 s0, 0, v23
	s_delay_alu instid0(VALU_DEP_2) | instskip(NEXT) | instid1(VALU_DEP_2)
	v_cndmask_b32_e32 v58, v58, v13, vcc_lo
	v_cndmask_b32_e64 v14, 1, 2, s0
	v_cmp_ne_u32_e64 s0, 8, v4
	s_delay_alu instid0(VALU_DEP_3) | instskip(NEXT) | instid1(VALU_DEP_2)
	v_cmp_ne_u32_e64 s7, 0, v58
	v_cndmask_b32_e64 v50, 1, v56, s0
	v_cmp_ne_u32_e64 s0, 9, v4
	s_delay_alu instid0(VALU_DEP_2) | instskip(NEXT) | instid1(VALU_DEP_2)
	v_cndmask_b32_e32 v50, v56, v50, vcc_lo
	v_cndmask_b32_e64 v57, 1, v55, s0
	v_cmp_eq_u32_e64 s0, 0, v18
	s_delay_alu instid0(VALU_DEP_2) | instskip(NEXT) | instid1(VALU_DEP_2)
	v_dual_cndmask_b32 v55, v55, v57 :: v_dual_and_b32 v6, v6, v14
	v_cndmask_b32_e64 v14, 1, 2, s0
	v_cmp_ne_u32_e64 s0, 10, v4
	s_delay_alu instid0(VALU_DEP_3) | instskip(NEXT) | instid1(VALU_DEP_3)
	v_cmp_ne_u32_e64 s5, 0, v55
	v_and_b32_e32 v1, v6, v14
	s_delay_alu instid0(VALU_DEP_3) | instskip(SKIP_1) | instid1(VALU_DEP_2)
	v_cndmask_b32_e64 v61, 1, v54, s0
	v_cmp_eq_u32_e64 s0, 0, v19
	v_dual_cndmask_b32 v59, v59, v2 :: v_dual_cndmask_b32 v54, v54, v61
	s_delay_alu instid0(VALU_DEP_2) | instskip(SKIP_1) | instid1(VALU_DEP_3)
	v_cndmask_b32_e64 v6, 1, 2, s0
	v_cmp_ne_u32_e64 s0, 11, v4
	v_cmp_ne_u32_e64 s8, 0, v59
	s_delay_alu instid0(VALU_DEP_4) | instskip(NEXT) | instid1(VALU_DEP_4)
	v_cmp_ne_u32_e64 s4, 0, v54
	v_and_b32_e32 v1, v1, v6
	s_delay_alu instid0(VALU_DEP_4) | instskip(SKIP_1) | instid1(VALU_DEP_2)
	v_cndmask_b32_e64 v14, 1, v53, s0
	v_cmp_ne_u32_e64 s0, 13, v4
	v_cndmask_b32_e32 v53, v53, v14, vcc_lo
	s_delay_alu instid0(VALU_DEP_2) | instskip(SKIP_2) | instid1(VALU_DEP_2)
	v_cndmask_b32_e64 v62, 1, v51, s0
	v_cmp_eq_u32_e64 s0, 0, v60
	v_lshlrev_b64 v[13:14], 2, v[7:8]
	v_cndmask_b32_e64 v6, 1, 2, s0
	v_cmp_ne_u32_e64 s0, 12, v4
	s_delay_alu instid0(VALU_DEP_2) | instskip(NEXT) | instid1(VALU_DEP_2)
	v_and_b32_e32 v1, v1, v6
	v_cndmask_b32_e64 v2, 1, v52, s0
	v_cmp_eq_u32_e64 s0, 0, v59
	s_delay_alu instid0(VALU_DEP_2) | instskip(NEXT) | instid1(VALU_DEP_2)
	v_cndmask_b32_e32 v52, v52, v2, vcc_lo
	v_cndmask_b32_e64 v4, 1, 2, s0
	v_cmp_eq_u32_e64 s0, 0, v58
	v_cndmask_b32_e32 v51, v51, v62, vcc_lo
	v_cmp_eq_u32_e32 vcc_lo, 0, v50
	s_delay_alu instid0(VALU_DEP_4) | instskip(SKIP_4) | instid1(VALU_DEP_3)
	v_and_b32_e32 v4, v1, v4
	v_lshlrev_b64 v[1:2], 2, v[16:17]
	v_cndmask_b32_e64 v6, 1, 2, s0
	v_cmp_ne_u32_e64 s1, 0, v51
	v_cmp_ne_u32_e64 s0, 0, v20
	v_and_b32_e32 v4, v4, v6
	v_cndmask_b32_e64 v6, 1, 2, vcc_lo
	v_add_co_u32 v1, vcc_lo, s28, v1
	v_add_co_ci_u32_e32 v2, vcc_lo, s29, v2, vcc_lo
	v_cmp_eq_u32_e32 vcc_lo, 0, v55
	s_delay_alu instid0(VALU_DEP_4)
	v_and_b32_e32 v6, v4, v6
	v_cndmask_b32_e64 v56, 1, 2, vcc_lo
	v_add_co_u32 v4, vcc_lo, v1, v13
	v_add_co_ci_u32_e32 v8, vcc_lo, v2, v14, vcc_lo
	v_lshlrev_b32_e32 v1, 2, v15
	v_cmp_eq_u32_e32 vcc_lo, 0, v54
	v_and_b32_e32 v2, v6, v56
	v_cmp_ne_u32_e64 s3, 0, v53
	v_cmp_ne_u32_e64 s2, 0, v52
	v_cndmask_b32_e64 v6, 1, 2, vcc_lo
	v_add_co_u32 v1, vcc_lo, v1, v4
	v_add_co_ci_u32_e32 v13, vcc_lo, 0, v8, vcc_lo
	v_cmp_eq_u32_e32 vcc_lo, 0, v53
	s_delay_alu instid0(VALU_DEP_4) | instskip(SKIP_4) | instid1(VALU_DEP_4)
	v_and_b32_e32 v2, v2, v6
	v_cndmask_b32_e64 v14, 1, 2, vcc_lo
	v_add_co_u32 v6, vcc_lo, v1, -4
	v_add_co_ci_u32_e32 v13, vcc_lo, -1, v13, vcc_lo
	v_cmp_eq_u32_e32 vcc_lo, 0, v52
	v_and_b32_e32 v2, v2, v14
	v_add_nc_u32_e32 v1, v7, v15
	v_cmp_ne_u32_e64 s6, 0, v50
	v_cndmask_b32_e64 v14, 1, 2, vcc_lo
	v_cmp_eq_u32_e32 vcc_lo, 0, v51
	s_delay_alu instid0(VALU_DEP_2) | instskip(SKIP_2) | instid1(VALU_DEP_2)
	v_and_b32_e32 v2, v2, v14
	v_cndmask_b32_e64 v14, 1, 2, vcc_lo
	v_cmp_eq_u32_e32 vcc_lo, 0, v20
	v_and_b32_e32 v2, v2, v14
	v_cndmask_b32_e64 v14, 1, 2, vcc_lo
	v_cmp_gt_u32_e32 vcc_lo, 0x100, v3
	s_delay_alu instid0(VALU_DEP_2) | instskip(NEXT) | instid1(VALU_DEP_1)
	v_and_b32_e32 v2, v2, v14
	v_cmp_gt_i16_e64 s15, 2, v2
	s_cbranch_vccz .LBB749_241
; %bb.225:
	s_delay_alu instid0(VALU_DEP_1)
	s_and_saveexec_b32 s16, s15
	s_cbranch_execz .LBB749_279
; %bb.226:
	s_mov_b32 s17, 0
	s_mov_b32 s15, exec_lo
	v_cmpx_ne_u16_e32 1, v2
	s_xor_b32 s15, exec_lo, s15
	s_cbranch_execz .LBB749_258
; %bb.227:
	s_and_saveexec_b32 s17, s14
	s_cbranch_execz .LBB749_262
; %bb.228:
	v_sub_nc_u32_e32 v14, v40, v1
	v_mov_b32_e32 v15, 0
	s_delay_alu instid0(VALU_DEP_1) | instskip(NEXT) | instid1(VALU_DEP_1)
	v_lshlrev_b64 v[14:15], 2, v[14:15]
	v_add_co_u32 v14, vcc_lo, v6, v14
	s_delay_alu instid0(VALU_DEP_2)
	v_add_co_ci_u32_e32 v15, vcc_lo, v13, v15, vcc_lo
	global_store_b32 v[14:15], v41, off
	s_or_b32 exec_lo, exec_lo, s17
	s_and_saveexec_b32 s17, s13
	s_cbranch_execnz .LBB749_263
.LBB749_229:
	s_or_b32 exec_lo, exec_lo, s17
	s_and_saveexec_b32 s17, s12
	s_cbranch_execz .LBB749_264
.LBB749_230:
	v_sub_nc_u32_e32 v14, v42, v1
	v_mov_b32_e32 v15, 0
	s_delay_alu instid0(VALU_DEP_1) | instskip(NEXT) | instid1(VALU_DEP_1)
	v_lshlrev_b64 v[14:15], 2, v[14:15]
	v_add_co_u32 v14, vcc_lo, v6, v14
	s_delay_alu instid0(VALU_DEP_2)
	v_add_co_ci_u32_e32 v15, vcc_lo, v13, v15, vcc_lo
	global_store_b32 v[14:15], v43, off
	s_or_b32 exec_lo, exec_lo, s17
	s_and_saveexec_b32 s17, s11
	s_cbranch_execnz .LBB749_265
.LBB749_231:
	s_or_b32 exec_lo, exec_lo, s17
	s_and_saveexec_b32 s17, s10
	s_cbranch_execz .LBB749_266
.LBB749_232:
	v_sub_nc_u32_e32 v14, v32, v1
	v_mov_b32_e32 v15, 0
	s_delay_alu instid0(VALU_DEP_1) | instskip(NEXT) | instid1(VALU_DEP_1)
	v_lshlrev_b64 v[14:15], 2, v[14:15]
	v_add_co_u32 v14, vcc_lo, v6, v14
	s_delay_alu instid0(VALU_DEP_2)
	v_add_co_ci_u32_e32 v15, vcc_lo, v13, v15, vcc_lo
	global_store_b32 v[14:15], v33, off
	s_or_b32 exec_lo, exec_lo, s17
	s_and_saveexec_b32 s17, s9
	s_cbranch_execnz .LBB749_267
.LBB749_233:
	s_or_b32 exec_lo, exec_lo, s17
	s_and_saveexec_b32 s17, s8
	s_cbranch_execz .LBB749_268
.LBB749_234:
	v_sub_nc_u32_e32 v14, v26, v1
	v_mov_b32_e32 v15, 0
	s_delay_alu instid0(VALU_DEP_1) | instskip(NEXT) | instid1(VALU_DEP_1)
	v_lshlrev_b64 v[14:15], 2, v[14:15]
	v_add_co_u32 v14, vcc_lo, v6, v14
	s_delay_alu instid0(VALU_DEP_2)
	v_add_co_ci_u32_e32 v15, vcc_lo, v13, v15, vcc_lo
	global_store_b32 v[14:15], v27, off
	s_or_b32 exec_lo, exec_lo, s17
	s_and_saveexec_b32 s17, s7
	s_cbranch_execnz .LBB749_269
.LBB749_235:
	s_or_b32 exec_lo, exec_lo, s17
	s_and_saveexec_b32 s17, s6
	s_cbranch_execz .LBB749_270
.LBB749_236:
	v_sub_nc_u32_e32 v14, v34, v1
	v_mov_b32_e32 v15, 0
	s_delay_alu instid0(VALU_DEP_1) | instskip(NEXT) | instid1(VALU_DEP_1)
	v_lshlrev_b64 v[14:15], 2, v[14:15]
	v_add_co_u32 v14, vcc_lo, v6, v14
	s_delay_alu instid0(VALU_DEP_2)
	v_add_co_ci_u32_e32 v15, vcc_lo, v13, v15, vcc_lo
	global_store_b32 v[14:15], v35, off
	s_or_b32 exec_lo, exec_lo, s17
	s_and_saveexec_b32 s17, s5
	s_cbranch_execnz .LBB749_271
.LBB749_237:
	s_or_b32 exec_lo, exec_lo, s17
	s_and_saveexec_b32 s17, s4
	s_cbranch_execz .LBB749_272
.LBB749_238:
	v_sub_nc_u32_e32 v14, v11, v1
	v_mov_b32_e32 v15, 0
	s_delay_alu instid0(VALU_DEP_1) | instskip(NEXT) | instid1(VALU_DEP_1)
	v_lshlrev_b64 v[14:15], 2, v[14:15]
	v_add_co_u32 v14, vcc_lo, v6, v14
	s_delay_alu instid0(VALU_DEP_2)
	v_add_co_ci_u32_e32 v15, vcc_lo, v13, v15, vcc_lo
	global_store_b32 v[14:15], v12, off
	s_or_b32 exec_lo, exec_lo, s17
	s_and_saveexec_b32 s17, s3
	s_cbranch_execnz .LBB749_273
.LBB749_239:
	s_or_b32 exec_lo, exec_lo, s17
	s_and_saveexec_b32 s17, s2
	s_cbranch_execz .LBB749_274
.LBB749_240:
	v_sub_nc_u32_e32 v14, v48, v1
	v_mov_b32_e32 v15, 0
	s_delay_alu instid0(VALU_DEP_1) | instskip(NEXT) | instid1(VALU_DEP_1)
	v_lshlrev_b64 v[14:15], 2, v[14:15]
	v_add_co_u32 v14, vcc_lo, v6, v14
	s_delay_alu instid0(VALU_DEP_2)
	v_add_co_ci_u32_e32 v15, vcc_lo, v13, v15, vcc_lo
	global_store_b32 v[14:15], v49, off
	s_or_b32 exec_lo, exec_lo, s17
	s_and_saveexec_b32 s17, s1
	s_cbranch_execnz .LBB749_275
	s_branch .LBB749_276
.LBB749_241:
	s_and_b32 vcc_lo, exec_lo, s16
	s_cbranch_vccz .LBB749_280
; %bb.242:
	s_mov_b32 s15, exec_lo
	v_cmpx_gt_i16_e32 2, v2
	s_cbranch_execz .LBB749_298
; %bb.243:
	s_mov_b32 s17, 0
	s_mov_b32 s16, exec_lo
	v_cmpx_ne_u16_e32 1, v2
	s_xor_b32 s16, exec_lo, s16
	s_cbranch_execz .LBB749_260
; %bb.244:
	s_and_saveexec_b32 s17, s14
	s_cbranch_execz .LBB749_281
; %bb.245:
	v_sub_nc_u32_e32 v2, v40, v1
	s_delay_alu instid0(VALU_DEP_1)
	v_lshlrev_b32_e32 v2, 2, v2
	ds_store_b32 v2, v41
	s_or_b32 exec_lo, exec_lo, s17
	s_and_saveexec_b32 s14, s13
	s_cbranch_execnz .LBB749_282
.LBB749_246:
	s_or_b32 exec_lo, exec_lo, s14
	s_and_saveexec_b32 s13, s12
	s_cbranch_execz .LBB749_283
.LBB749_247:
	v_sub_nc_u32_e32 v2, v42, v1
	s_delay_alu instid0(VALU_DEP_1)
	v_lshlrev_b32_e32 v2, 2, v2
	ds_store_b32 v2, v43
	s_or_b32 exec_lo, exec_lo, s13
	s_and_saveexec_b32 s12, s11
	s_cbranch_execnz .LBB749_284
.LBB749_248:
	s_or_b32 exec_lo, exec_lo, s12
	s_and_saveexec_b32 s11, s10
	s_cbranch_execz .LBB749_285
.LBB749_249:
	v_sub_nc_u32_e32 v2, v32, v1
	s_delay_alu instid0(VALU_DEP_1)
	v_lshlrev_b32_e32 v2, 2, v2
	ds_store_b32 v2, v33
	s_or_b32 exec_lo, exec_lo, s11
	s_and_saveexec_b32 s10, s9
	s_cbranch_execnz .LBB749_286
.LBB749_250:
	s_or_b32 exec_lo, exec_lo, s10
	s_and_saveexec_b32 s9, s8
	s_cbranch_execz .LBB749_287
.LBB749_251:
	v_sub_nc_u32_e32 v2, v26, v1
	s_delay_alu instid0(VALU_DEP_1)
	v_lshlrev_b32_e32 v2, 2, v2
	ds_store_b32 v2, v27
	s_or_b32 exec_lo, exec_lo, s9
	s_and_saveexec_b32 s8, s7
	s_cbranch_execnz .LBB749_288
.LBB749_252:
	s_or_b32 exec_lo, exec_lo, s8
	s_and_saveexec_b32 s7, s6
	s_cbranch_execz .LBB749_289
.LBB749_253:
	v_sub_nc_u32_e32 v2, v34, v1
	s_delay_alu instid0(VALU_DEP_1)
	v_lshlrev_b32_e32 v2, 2, v2
	ds_store_b32 v2, v35
	s_or_b32 exec_lo, exec_lo, s7
	s_and_saveexec_b32 s6, s5
	s_cbranch_execnz .LBB749_290
.LBB749_254:
	s_or_b32 exec_lo, exec_lo, s6
	s_and_saveexec_b32 s5, s4
	s_cbranch_execz .LBB749_291
.LBB749_255:
	v_sub_nc_u32_e32 v2, v11, v1
	s_delay_alu instid0(VALU_DEP_1)
	v_lshlrev_b32_e32 v2, 2, v2
	ds_store_b32 v2, v12
	s_or_b32 exec_lo, exec_lo, s5
	s_and_saveexec_b32 s4, s3
	s_cbranch_execnz .LBB749_292
.LBB749_256:
	s_or_b32 exec_lo, exec_lo, s4
	s_and_saveexec_b32 s3, s2
	s_cbranch_execz .LBB749_293
.LBB749_257:
	v_sub_nc_u32_e32 v2, v48, v1
	s_delay_alu instid0(VALU_DEP_1)
	v_lshlrev_b32_e32 v2, 2, v2
	ds_store_b32 v2, v49
	s_or_b32 exec_lo, exec_lo, s3
	s_and_saveexec_b32 s2, s1
	s_cbranch_execnz .LBB749_294
	s_branch .LBB749_295
.LBB749_258:
	s_and_not1_saveexec_b32 s15, s15
	s_cbranch_execz .LBB749_277
.LBB749_259:
	v_sub_nc_u32_e32 v14, v40, v1
	v_mov_b32_e32 v15, 0
	s_or_b32 s17, s17, exec_lo
	s_delay_alu instid0(VALU_DEP_1) | instskip(SKIP_1) | instid1(VALU_DEP_1)
	v_lshlrev_b64 v[18:19], 2, v[14:15]
	v_sub_nc_u32_e32 v14, v46, v1
	v_lshlrev_b64 v[20:21], 2, v[14:15]
	v_sub_nc_u32_e32 v14, v42, v1
	s_delay_alu instid0(VALU_DEP_4) | instskip(SKIP_1) | instid1(VALU_DEP_3)
	v_add_co_u32 v18, vcc_lo, v6, v18
	v_add_co_ci_u32_e32 v19, vcc_lo, v13, v19, vcc_lo
	v_lshlrev_b64 v[22:23], 2, v[14:15]
	v_sub_nc_u32_e32 v14, v38, v1
	v_add_co_u32 v20, vcc_lo, v6, v20
	v_add_co_ci_u32_e32 v21, vcc_lo, v13, v21, vcc_lo
	global_store_b32 v[18:19], v41, off
	v_lshlrev_b64 v[18:19], 2, v[14:15]
	v_sub_nc_u32_e32 v14, v32, v1
	global_store_b32 v[20:21], v47, off
	v_add_co_u32 v20, vcc_lo, v6, v22
	v_add_co_ci_u32_e32 v21, vcc_lo, v13, v23, vcc_lo
	v_lshlrev_b64 v[22:23], 2, v[14:15]
	v_sub_nc_u32_e32 v14, v28, v1
	v_add_co_u32 v18, vcc_lo, v6, v18
	v_add_co_ci_u32_e32 v19, vcc_lo, v13, v19, vcc_lo
	s_delay_alu instid0(VALU_DEP_3) | instskip(SKIP_3) | instid1(VALU_DEP_3)
	v_lshlrev_b64 v[50:51], 2, v[14:15]
	v_sub_nc_u32_e32 v14, v26, v1
	v_add_co_u32 v22, vcc_lo, v6, v22
	v_add_co_ci_u32_e32 v23, vcc_lo, v13, v23, vcc_lo
	v_lshlrev_b64 v[52:53], 2, v[14:15]
	v_sub_nc_u32_e32 v14, v30, v1
	v_add_co_u32 v50, vcc_lo, v6, v50
	v_add_co_ci_u32_e32 v51, vcc_lo, v13, v51, vcc_lo
	s_clause 0x3
	global_store_b32 v[20:21], v43, off
	global_store_b32 v[18:19], v39, off
	;; [unrolled: 1-line block ×4, first 2 shown]
	v_lshlrev_b64 v[18:19], 2, v[14:15]
	v_sub_nc_u32_e32 v14, v34, v1
	v_add_co_u32 v20, vcc_lo, v6, v52
	v_add_co_ci_u32_e32 v21, vcc_lo, v13, v53, vcc_lo
	s_delay_alu instid0(VALU_DEP_3) | instskip(SKIP_3) | instid1(VALU_DEP_3)
	v_lshlrev_b64 v[22:23], 2, v[14:15]
	v_sub_nc_u32_e32 v14, v9, v1
	v_add_co_u32 v18, vcc_lo, v6, v18
	v_add_co_ci_u32_e32 v19, vcc_lo, v13, v19, vcc_lo
	v_lshlrev_b64 v[50:51], 2, v[14:15]
	v_sub_nc_u32_e32 v14, v11, v1
	v_add_co_u32 v22, vcc_lo, v6, v22
	v_add_co_ci_u32_e32 v23, vcc_lo, v13, v23, vcc_lo
	s_delay_alu instid0(VALU_DEP_3)
	v_lshlrev_b64 v[52:53], 2, v[14:15]
	v_sub_nc_u32_e32 v14, v24, v1
	v_add_co_u32 v50, vcc_lo, v6, v50
	v_add_co_ci_u32_e32 v51, vcc_lo, v13, v51, vcc_lo
	s_clause 0x3
	global_store_b32 v[20:21], v27, off
	global_store_b32 v[18:19], v31, off
	;; [unrolled: 1-line block ×4, first 2 shown]
	v_lshlrev_b64 v[18:19], 2, v[14:15]
	v_sub_nc_u32_e32 v14, v48, v1
	v_add_co_u32 v20, vcc_lo, v6, v52
	v_add_co_ci_u32_e32 v21, vcc_lo, v13, v53, vcc_lo
	s_delay_alu instid0(VALU_DEP_3) | instskip(SKIP_3) | instid1(VALU_DEP_3)
	v_lshlrev_b64 v[22:23], 2, v[14:15]
	v_sub_nc_u32_e32 v14, v44, v1
	v_add_co_u32 v18, vcc_lo, v6, v18
	v_add_co_ci_u32_e32 v19, vcc_lo, v13, v19, vcc_lo
	v_lshlrev_b64 v[14:15], 2, v[14:15]
	v_add_co_u32 v22, vcc_lo, v6, v22
	v_add_co_ci_u32_e32 v23, vcc_lo, v13, v23, vcc_lo
	s_clause 0x2
	global_store_b32 v[20:21], v12, off
	global_store_b32 v[18:19], v25, off
	;; [unrolled: 1-line block ×3, first 2 shown]
	v_add_co_u32 v14, vcc_lo, v6, v14
	v_add_co_ci_u32_e32 v15, vcc_lo, v13, v15, vcc_lo
	global_store_b32 v[14:15], v45, off
	s_or_b32 exec_lo, exec_lo, s15
	s_delay_alu instid0(SALU_CYCLE_1)
	s_and_b32 exec_lo, exec_lo, s17
	s_cbranch_execnz .LBB749_278
	s_branch .LBB749_279
.LBB749_260:
	s_and_not1_saveexec_b32 s0, s16
	s_cbranch_execz .LBB749_296
.LBB749_261:
	v_sub_nc_u32_e32 v2, v40, v1
	v_sub_nc_u32_e32 v14, v46, v1
	;; [unrolled: 1-line block ×5, first 2 shown]
	v_lshlrev_b32_e32 v2, 2, v2
	v_lshlrev_b32_e32 v14, 2, v14
	;; [unrolled: 1-line block ×4, first 2 shown]
	v_sub_nc_u32_e32 v9, v9, v1
	ds_store_b32 v2, v41
	ds_store_b32 v14, v47
	;; [unrolled: 1-line block ×3, first 2 shown]
	v_sub_nc_u32_e32 v2, v32, v1
	v_sub_nc_u32_e32 v14, v28, v1
	;; [unrolled: 1-line block ×3, first 2 shown]
	ds_store_b32 v18, v39
	v_sub_nc_u32_e32 v18, v30, v1
	v_lshlrev_b32_e32 v2, 2, v2
	v_lshlrev_b32_e32 v14, 2, v14
	;; [unrolled: 1-line block ×5, first 2 shown]
	ds_store_b32 v2, v33
	v_lshlrev_b32_e32 v2, 2, v19
	ds_store_b32 v14, v29
	ds_store_b32 v15, v27
	;; [unrolled: 1-line block ×3, first 2 shown]
	v_sub_nc_u32_e32 v15, v44, v1
	v_sub_nc_u32_e32 v14, v48, v1
	s_or_b32 s17, s17, exec_lo
	ds_store_b32 v2, v35
	v_sub_nc_u32_e32 v2, v11, v1
	v_sub_nc_u32_e32 v11, v24, v1
	ds_store_b32 v9, v10
	v_lshlrev_b32_e32 v9, 2, v15
	v_lshlrev_b32_e32 v14, 2, v14
	;; [unrolled: 1-line block ×4, first 2 shown]
	ds_store_b32 v2, v12
	ds_store_b32 v11, v25
	;; [unrolled: 1-line block ×4, first 2 shown]
	s_or_b32 exec_lo, exec_lo, s0
	s_delay_alu instid0(SALU_CYCLE_1)
	s_and_b32 exec_lo, exec_lo, s17
	s_cbranch_execnz .LBB749_297
	s_branch .LBB749_298
.LBB749_262:
	s_or_b32 exec_lo, exec_lo, s17
	s_and_saveexec_b32 s17, s13
	s_cbranch_execz .LBB749_229
.LBB749_263:
	v_sub_nc_u32_e32 v14, v46, v1
	v_mov_b32_e32 v15, 0
	s_delay_alu instid0(VALU_DEP_1) | instskip(NEXT) | instid1(VALU_DEP_1)
	v_lshlrev_b64 v[14:15], 2, v[14:15]
	v_add_co_u32 v14, vcc_lo, v6, v14
	s_delay_alu instid0(VALU_DEP_2)
	v_add_co_ci_u32_e32 v15, vcc_lo, v13, v15, vcc_lo
	global_store_b32 v[14:15], v47, off
	s_or_b32 exec_lo, exec_lo, s17
	s_and_saveexec_b32 s17, s12
	s_cbranch_execnz .LBB749_230
.LBB749_264:
	s_or_b32 exec_lo, exec_lo, s17
	s_and_saveexec_b32 s17, s11
	s_cbranch_execz .LBB749_231
.LBB749_265:
	v_sub_nc_u32_e32 v14, v38, v1
	v_mov_b32_e32 v15, 0
	s_delay_alu instid0(VALU_DEP_1) | instskip(NEXT) | instid1(VALU_DEP_1)
	v_lshlrev_b64 v[14:15], 2, v[14:15]
	v_add_co_u32 v14, vcc_lo, v6, v14
	s_delay_alu instid0(VALU_DEP_2)
	v_add_co_ci_u32_e32 v15, vcc_lo, v13, v15, vcc_lo
	global_store_b32 v[14:15], v39, off
	s_or_b32 exec_lo, exec_lo, s17
	s_and_saveexec_b32 s17, s10
	s_cbranch_execnz .LBB749_232
.LBB749_266:
	s_or_b32 exec_lo, exec_lo, s17
	s_and_saveexec_b32 s17, s9
	s_cbranch_execz .LBB749_233
.LBB749_267:
	v_sub_nc_u32_e32 v14, v28, v1
	v_mov_b32_e32 v15, 0
	s_delay_alu instid0(VALU_DEP_1) | instskip(NEXT) | instid1(VALU_DEP_1)
	v_lshlrev_b64 v[14:15], 2, v[14:15]
	v_add_co_u32 v14, vcc_lo, v6, v14
	s_delay_alu instid0(VALU_DEP_2)
	v_add_co_ci_u32_e32 v15, vcc_lo, v13, v15, vcc_lo
	global_store_b32 v[14:15], v29, off
	s_or_b32 exec_lo, exec_lo, s17
	s_and_saveexec_b32 s17, s8
	s_cbranch_execnz .LBB749_234
.LBB749_268:
	s_or_b32 exec_lo, exec_lo, s17
	s_and_saveexec_b32 s17, s7
	s_cbranch_execz .LBB749_235
.LBB749_269:
	v_sub_nc_u32_e32 v14, v30, v1
	v_mov_b32_e32 v15, 0
	s_delay_alu instid0(VALU_DEP_1) | instskip(NEXT) | instid1(VALU_DEP_1)
	v_lshlrev_b64 v[14:15], 2, v[14:15]
	v_add_co_u32 v14, vcc_lo, v6, v14
	s_delay_alu instid0(VALU_DEP_2)
	v_add_co_ci_u32_e32 v15, vcc_lo, v13, v15, vcc_lo
	global_store_b32 v[14:15], v31, off
	s_or_b32 exec_lo, exec_lo, s17
	s_and_saveexec_b32 s17, s6
	s_cbranch_execnz .LBB749_236
.LBB749_270:
	s_or_b32 exec_lo, exec_lo, s17
	s_and_saveexec_b32 s17, s5
	s_cbranch_execz .LBB749_237
.LBB749_271:
	v_sub_nc_u32_e32 v14, v9, v1
	v_mov_b32_e32 v15, 0
	s_delay_alu instid0(VALU_DEP_1) | instskip(NEXT) | instid1(VALU_DEP_1)
	v_lshlrev_b64 v[14:15], 2, v[14:15]
	v_add_co_u32 v14, vcc_lo, v6, v14
	s_delay_alu instid0(VALU_DEP_2)
	v_add_co_ci_u32_e32 v15, vcc_lo, v13, v15, vcc_lo
	global_store_b32 v[14:15], v10, off
	s_or_b32 exec_lo, exec_lo, s17
	s_and_saveexec_b32 s17, s4
	s_cbranch_execnz .LBB749_238
.LBB749_272:
	s_or_b32 exec_lo, exec_lo, s17
	s_and_saveexec_b32 s17, s3
	s_cbranch_execz .LBB749_239
.LBB749_273:
	v_sub_nc_u32_e32 v14, v24, v1
	v_mov_b32_e32 v15, 0
	s_delay_alu instid0(VALU_DEP_1) | instskip(NEXT) | instid1(VALU_DEP_1)
	v_lshlrev_b64 v[14:15], 2, v[14:15]
	v_add_co_u32 v14, vcc_lo, v6, v14
	s_delay_alu instid0(VALU_DEP_2)
	v_add_co_ci_u32_e32 v15, vcc_lo, v13, v15, vcc_lo
	global_store_b32 v[14:15], v25, off
	s_or_b32 exec_lo, exec_lo, s17
	s_and_saveexec_b32 s17, s2
	s_cbranch_execnz .LBB749_240
.LBB749_274:
	s_or_b32 exec_lo, exec_lo, s17
	s_and_saveexec_b32 s17, s1
	s_cbranch_execz .LBB749_276
.LBB749_275:
	v_sub_nc_u32_e32 v14, v44, v1
	v_mov_b32_e32 v15, 0
	s_delay_alu instid0(VALU_DEP_1) | instskip(NEXT) | instid1(VALU_DEP_1)
	v_lshlrev_b64 v[14:15], 2, v[14:15]
	v_add_co_u32 v14, vcc_lo, v6, v14
	s_delay_alu instid0(VALU_DEP_2)
	v_add_co_ci_u32_e32 v15, vcc_lo, v13, v15, vcc_lo
	global_store_b32 v[14:15], v45, off
.LBB749_276:
	s_or_b32 exec_lo, exec_lo, s17
	s_delay_alu instid0(SALU_CYCLE_1)
	s_and_b32 s17, s0, exec_lo
	s_and_not1_saveexec_b32 s15, s15
	s_cbranch_execnz .LBB749_259
.LBB749_277:
	s_or_b32 exec_lo, exec_lo, s15
	s_delay_alu instid0(SALU_CYCLE_1)
	s_and_b32 exec_lo, exec_lo, s17
	s_cbranch_execz .LBB749_279
.LBB749_278:
	v_sub_nc_u32_e32 v14, v36, v1
	v_mov_b32_e32 v15, 0
	s_delay_alu instid0(VALU_DEP_1) | instskip(NEXT) | instid1(VALU_DEP_1)
	v_lshlrev_b64 v[14:15], 2, v[14:15]
	v_add_co_u32 v14, vcc_lo, v6, v14
	s_delay_alu instid0(VALU_DEP_2)
	v_add_co_ci_u32_e32 v15, vcc_lo, v13, v15, vcc_lo
	global_store_b32 v[14:15], v37, off
.LBB749_279:
	s_or_b32 exec_lo, exec_lo, s16
.LBB749_280:
	v_cmp_eq_u32_e32 vcc_lo, 0xff, v0
	s_and_b32 s0, vcc_lo, s26
	s_delay_alu instid0(SALU_CYCLE_1)
	s_and_saveexec_b32 s1, s0
	s_cbranch_execnz .LBB749_302
	s_branch .LBB749_304
.LBB749_281:
	s_or_b32 exec_lo, exec_lo, s17
	s_and_saveexec_b32 s14, s13
	s_cbranch_execz .LBB749_246
.LBB749_282:
	v_sub_nc_u32_e32 v2, v46, v1
	s_delay_alu instid0(VALU_DEP_1)
	v_lshlrev_b32_e32 v2, 2, v2
	ds_store_b32 v2, v47
	s_or_b32 exec_lo, exec_lo, s14
	s_and_saveexec_b32 s13, s12
	s_cbranch_execnz .LBB749_247
.LBB749_283:
	s_or_b32 exec_lo, exec_lo, s13
	s_and_saveexec_b32 s12, s11
	s_cbranch_execz .LBB749_248
.LBB749_284:
	v_sub_nc_u32_e32 v2, v38, v1
	s_delay_alu instid0(VALU_DEP_1)
	v_lshlrev_b32_e32 v2, 2, v2
	ds_store_b32 v2, v39
	s_or_b32 exec_lo, exec_lo, s12
	s_and_saveexec_b32 s11, s10
	s_cbranch_execnz .LBB749_249
.LBB749_285:
	s_or_b32 exec_lo, exec_lo, s11
	s_and_saveexec_b32 s10, s9
	s_cbranch_execz .LBB749_250
.LBB749_286:
	v_sub_nc_u32_e32 v2, v28, v1
	s_delay_alu instid0(VALU_DEP_1)
	v_lshlrev_b32_e32 v2, 2, v2
	ds_store_b32 v2, v29
	s_or_b32 exec_lo, exec_lo, s10
	s_and_saveexec_b32 s9, s8
	s_cbranch_execnz .LBB749_251
.LBB749_287:
	s_or_b32 exec_lo, exec_lo, s9
	s_and_saveexec_b32 s8, s7
	s_cbranch_execz .LBB749_252
.LBB749_288:
	v_sub_nc_u32_e32 v2, v30, v1
	s_delay_alu instid0(VALU_DEP_1)
	v_lshlrev_b32_e32 v2, 2, v2
	ds_store_b32 v2, v31
	s_or_b32 exec_lo, exec_lo, s8
	s_and_saveexec_b32 s7, s6
	s_cbranch_execnz .LBB749_253
.LBB749_289:
	s_or_b32 exec_lo, exec_lo, s7
	s_and_saveexec_b32 s6, s5
	s_cbranch_execz .LBB749_254
.LBB749_290:
	v_sub_nc_u32_e32 v2, v9, v1
	s_delay_alu instid0(VALU_DEP_1)
	v_lshlrev_b32_e32 v2, 2, v2
	ds_store_b32 v2, v10
	s_or_b32 exec_lo, exec_lo, s6
	s_and_saveexec_b32 s5, s4
	s_cbranch_execnz .LBB749_255
.LBB749_291:
	s_or_b32 exec_lo, exec_lo, s5
	s_and_saveexec_b32 s4, s3
	s_cbranch_execz .LBB749_256
.LBB749_292:
	v_sub_nc_u32_e32 v2, v24, v1
	s_delay_alu instid0(VALU_DEP_1)
	v_lshlrev_b32_e32 v2, 2, v2
	ds_store_b32 v2, v25
	s_or_b32 exec_lo, exec_lo, s4
	s_and_saveexec_b32 s3, s2
	s_cbranch_execnz .LBB749_257
.LBB749_293:
	s_or_b32 exec_lo, exec_lo, s3
	s_and_saveexec_b32 s2, s1
	s_cbranch_execz .LBB749_295
.LBB749_294:
	v_sub_nc_u32_e32 v2, v44, v1
	s_delay_alu instid0(VALU_DEP_1)
	v_lshlrev_b32_e32 v2, 2, v2
	ds_store_b32 v2, v45
.LBB749_295:
	s_or_b32 exec_lo, exec_lo, s2
	s_delay_alu instid0(SALU_CYCLE_1)
	s_and_b32 s17, s0, exec_lo
                                        ; implicit-def: $vgpr40_vgpr41
                                        ; implicit-def: $vgpr46_vgpr47
                                        ; implicit-def: $vgpr42_vgpr43
                                        ; implicit-def: $vgpr38_vgpr39
                                        ; implicit-def: $vgpr32_vgpr33
                                        ; implicit-def: $vgpr28_vgpr29
                                        ; implicit-def: $vgpr26_vgpr27
                                        ; implicit-def: $vgpr30_vgpr31
                                        ; implicit-def: $vgpr34_vgpr35
                                        ; implicit-def: $vgpr9_vgpr10
                                        ; implicit-def: $vgpr11_vgpr12
                                        ; implicit-def: $vgpr24_vgpr25
                                        ; implicit-def: $vgpr48_vgpr49
                                        ; implicit-def: $vgpr44_vgpr45
	s_and_not1_saveexec_b32 s0, s16
	s_cbranch_execnz .LBB749_261
.LBB749_296:
	s_or_b32 exec_lo, exec_lo, s0
	s_delay_alu instid0(SALU_CYCLE_1)
	s_and_b32 exec_lo, exec_lo, s17
	s_cbranch_execz .LBB749_298
.LBB749_297:
	v_sub_nc_u32_e32 v1, v36, v1
	s_delay_alu instid0(VALU_DEP_1)
	v_lshlrev_b32_e32 v1, 2, v1
	ds_store_b32 v1, v37
.LBB749_298:
	s_or_b32 exec_lo, exec_lo, s15
	s_delay_alu instid0(SALU_CYCLE_1)
	s_mov_b32 s1, exec_lo
	s_waitcnt lgkmcnt(0)
	s_waitcnt_vscnt null, 0x0
	s_barrier
	buffer_gl0_inv
	v_cmpx_lt_u32_e64 v0, v3
	s_cbranch_execz .LBB749_301
; %bb.299:
	v_dual_mov_b32 v2, 0 :: v_dual_lshlrev_b32 v9, 2, v0
	v_mov_b32_e32 v1, v0
	s_mov_b32 s2, 0
	.p2align	6
.LBB749_300:                            ; =>This Inner Loop Header: Depth=1
	ds_load_b32 v12, v9
	v_lshlrev_b64 v[10:11], 2, v[1:2]
	v_add_nc_u32_e32 v1, 0x100, v1
	v_add_nc_u32_e32 v9, 0x400, v9
	s_delay_alu instid0(VALU_DEP_2) | instskip(NEXT) | instid1(VALU_DEP_4)
	v_cmp_ge_u32_e32 vcc_lo, v1, v3
	v_add_co_u32 v10, s0, v6, v10
	s_delay_alu instid0(VALU_DEP_1)
	v_add_co_ci_u32_e64 v11, s0, v13, v11, s0
	s_or_b32 s2, vcc_lo, s2
	s_waitcnt lgkmcnt(0)
	global_store_b32 v[10:11], v12, off
	s_and_not1_b32 exec_lo, exec_lo, s2
	s_cbranch_execnz .LBB749_300
.LBB749_301:
	s_or_b32 exec_lo, exec_lo, s1
	v_cmp_eq_u32_e32 vcc_lo, 0xff, v0
	s_and_b32 s0, vcc_lo, s26
	s_delay_alu instid0(SALU_CYCLE_1)
	s_and_saveexec_b32 s1, s0
	s_cbranch_execz .LBB749_304
.LBB749_302:
	v_add_co_u32 v0, s0, v5, v7
	s_delay_alu instid0(VALU_DEP_1) | instskip(SKIP_1) | instid1(VALU_DEP_3)
	v_add_co_ci_u32_e64 v1, null, 0, 0, s0
	v_mov_b32_e32 v6, 0
	v_add_co_u32 v0, vcc_lo, v0, v16
	s_delay_alu instid0(VALU_DEP_3)
	v_add_co_ci_u32_e32 v1, vcc_lo, v1, v17, vcc_lo
	s_cmpk_lg_i32 s27, 0xf00
	global_store_b64 v6, v[0:1], s[30:31]
	s_cbranch_scc1 .LBB749_304
; %bb.303:
	v_lshlrev_b64 v[0:1], 2, v[5:6]
	s_delay_alu instid0(VALU_DEP_1) | instskip(NEXT) | instid1(VALU_DEP_2)
	v_add_co_u32 v0, vcc_lo, v4, v0
	v_add_co_ci_u32_e32 v1, vcc_lo, v8, v1, vcc_lo
	global_store_b32 v[0:1], v66, off offset:-4
	s_nop 0
	s_sendmsg sendmsg(MSG_DEALLOC_VGPRS)
	s_endpgm
.LBB749_304:
	s_nop 0
	s_sendmsg sendmsg(MSG_DEALLOC_VGPRS)
	s_endpgm
	.section	.rodata,"a",@progbits
	.p2align	6, 0x0
	.amdhsa_kernel _ZN7rocprim17ROCPRIM_400000_NS6detail17trampoline_kernelINS0_14default_configENS1_29reduce_by_key_config_selectorItjN6thrust23THRUST_200600_302600_NS4plusIjEEEEZZNS1_33reduce_by_key_impl_wrapped_configILNS1_25lookback_scan_determinismE0ES3_S9_NS6_6detail15normal_iteratorINS6_10device_ptrItEEEENSD_INSE_IjEEEESG_SI_PmS8_NS6_8equal_toItEEEE10hipError_tPvRmT2_T3_mT4_T5_T6_T7_T8_P12ihipStream_tbENKUlT_T0_E_clISt17integral_constantIbLb1EES13_EEDaSY_SZ_EUlSY_E_NS1_11comp_targetILNS1_3genE9ELNS1_11target_archE1100ELNS1_3gpuE3ELNS1_3repE0EEENS1_30default_config_static_selectorELNS0_4arch9wavefront6targetE0EEEvT1_
		.amdhsa_group_segment_fixed_size 15360
		.amdhsa_private_segment_fixed_size 0
		.amdhsa_kernarg_size 120
		.amdhsa_user_sgpr_count 15
		.amdhsa_user_sgpr_dispatch_ptr 0
		.amdhsa_user_sgpr_queue_ptr 0
		.amdhsa_user_sgpr_kernarg_segment_ptr 1
		.amdhsa_user_sgpr_dispatch_id 0
		.amdhsa_user_sgpr_private_segment_size 0
		.amdhsa_wavefront_size32 1
		.amdhsa_uses_dynamic_stack 0
		.amdhsa_enable_private_segment 0
		.amdhsa_system_sgpr_workgroup_id_x 1
		.amdhsa_system_sgpr_workgroup_id_y 0
		.amdhsa_system_sgpr_workgroup_id_z 0
		.amdhsa_system_sgpr_workgroup_info 0
		.amdhsa_system_vgpr_workitem_id 0
		.amdhsa_next_free_vgpr 100
		.amdhsa_next_free_sgpr 46
		.amdhsa_reserve_vcc 1
		.amdhsa_float_round_mode_32 0
		.amdhsa_float_round_mode_16_64 0
		.amdhsa_float_denorm_mode_32 3
		.amdhsa_float_denorm_mode_16_64 3
		.amdhsa_dx10_clamp 1
		.amdhsa_ieee_mode 1
		.amdhsa_fp16_overflow 0
		.amdhsa_workgroup_processor_mode 1
		.amdhsa_memory_ordered 1
		.amdhsa_forward_progress 0
		.amdhsa_shared_vgpr_count 0
		.amdhsa_exception_fp_ieee_invalid_op 0
		.amdhsa_exception_fp_denorm_src 0
		.amdhsa_exception_fp_ieee_div_zero 0
		.amdhsa_exception_fp_ieee_overflow 0
		.amdhsa_exception_fp_ieee_underflow 0
		.amdhsa_exception_fp_ieee_inexact 0
		.amdhsa_exception_int_div_zero 0
	.end_amdhsa_kernel
	.section	.text._ZN7rocprim17ROCPRIM_400000_NS6detail17trampoline_kernelINS0_14default_configENS1_29reduce_by_key_config_selectorItjN6thrust23THRUST_200600_302600_NS4plusIjEEEEZZNS1_33reduce_by_key_impl_wrapped_configILNS1_25lookback_scan_determinismE0ES3_S9_NS6_6detail15normal_iteratorINS6_10device_ptrItEEEENSD_INSE_IjEEEESG_SI_PmS8_NS6_8equal_toItEEEE10hipError_tPvRmT2_T3_mT4_T5_T6_T7_T8_P12ihipStream_tbENKUlT_T0_E_clISt17integral_constantIbLb1EES13_EEDaSY_SZ_EUlSY_E_NS1_11comp_targetILNS1_3genE9ELNS1_11target_archE1100ELNS1_3gpuE3ELNS1_3repE0EEENS1_30default_config_static_selectorELNS0_4arch9wavefront6targetE0EEEvT1_,"axG",@progbits,_ZN7rocprim17ROCPRIM_400000_NS6detail17trampoline_kernelINS0_14default_configENS1_29reduce_by_key_config_selectorItjN6thrust23THRUST_200600_302600_NS4plusIjEEEEZZNS1_33reduce_by_key_impl_wrapped_configILNS1_25lookback_scan_determinismE0ES3_S9_NS6_6detail15normal_iteratorINS6_10device_ptrItEEEENSD_INSE_IjEEEESG_SI_PmS8_NS6_8equal_toItEEEE10hipError_tPvRmT2_T3_mT4_T5_T6_T7_T8_P12ihipStream_tbENKUlT_T0_E_clISt17integral_constantIbLb1EES13_EEDaSY_SZ_EUlSY_E_NS1_11comp_targetILNS1_3genE9ELNS1_11target_archE1100ELNS1_3gpuE3ELNS1_3repE0EEENS1_30default_config_static_selectorELNS0_4arch9wavefront6targetE0EEEvT1_,comdat
.Lfunc_end749:
	.size	_ZN7rocprim17ROCPRIM_400000_NS6detail17trampoline_kernelINS0_14default_configENS1_29reduce_by_key_config_selectorItjN6thrust23THRUST_200600_302600_NS4plusIjEEEEZZNS1_33reduce_by_key_impl_wrapped_configILNS1_25lookback_scan_determinismE0ES3_S9_NS6_6detail15normal_iteratorINS6_10device_ptrItEEEENSD_INSE_IjEEEESG_SI_PmS8_NS6_8equal_toItEEEE10hipError_tPvRmT2_T3_mT4_T5_T6_T7_T8_P12ihipStream_tbENKUlT_T0_E_clISt17integral_constantIbLb1EES13_EEDaSY_SZ_EUlSY_E_NS1_11comp_targetILNS1_3genE9ELNS1_11target_archE1100ELNS1_3gpuE3ELNS1_3repE0EEENS1_30default_config_static_selectorELNS0_4arch9wavefront6targetE0EEEvT1_, .Lfunc_end749-_ZN7rocprim17ROCPRIM_400000_NS6detail17trampoline_kernelINS0_14default_configENS1_29reduce_by_key_config_selectorItjN6thrust23THRUST_200600_302600_NS4plusIjEEEEZZNS1_33reduce_by_key_impl_wrapped_configILNS1_25lookback_scan_determinismE0ES3_S9_NS6_6detail15normal_iteratorINS6_10device_ptrItEEEENSD_INSE_IjEEEESG_SI_PmS8_NS6_8equal_toItEEEE10hipError_tPvRmT2_T3_mT4_T5_T6_T7_T8_P12ihipStream_tbENKUlT_T0_E_clISt17integral_constantIbLb1EES13_EEDaSY_SZ_EUlSY_E_NS1_11comp_targetILNS1_3genE9ELNS1_11target_archE1100ELNS1_3gpuE3ELNS1_3repE0EEENS1_30default_config_static_selectorELNS0_4arch9wavefront6targetE0EEEvT1_
                                        ; -- End function
	.section	.AMDGPU.csdata,"",@progbits
; Kernel info:
; codeLenInByte = 19068
; NumSgprs: 48
; NumVgprs: 100
; ScratchSize: 0
; MemoryBound: 0
; FloatMode: 240
; IeeeMode: 1
; LDSByteSize: 15360 bytes/workgroup (compile time only)
; SGPRBlocks: 5
; VGPRBlocks: 12
; NumSGPRsForWavesPerEU: 48
; NumVGPRsForWavesPerEU: 100
; Occupancy: 12
; WaveLimiterHint : 1
; COMPUTE_PGM_RSRC2:SCRATCH_EN: 0
; COMPUTE_PGM_RSRC2:USER_SGPR: 15
; COMPUTE_PGM_RSRC2:TRAP_HANDLER: 0
; COMPUTE_PGM_RSRC2:TGID_X_EN: 1
; COMPUTE_PGM_RSRC2:TGID_Y_EN: 0
; COMPUTE_PGM_RSRC2:TGID_Z_EN: 0
; COMPUTE_PGM_RSRC2:TIDIG_COMP_CNT: 0
	.section	.text._ZN7rocprim17ROCPRIM_400000_NS6detail17trampoline_kernelINS0_14default_configENS1_29reduce_by_key_config_selectorItjN6thrust23THRUST_200600_302600_NS4plusIjEEEEZZNS1_33reduce_by_key_impl_wrapped_configILNS1_25lookback_scan_determinismE0ES3_S9_NS6_6detail15normal_iteratorINS6_10device_ptrItEEEENSD_INSE_IjEEEESG_SI_PmS8_NS6_8equal_toItEEEE10hipError_tPvRmT2_T3_mT4_T5_T6_T7_T8_P12ihipStream_tbENKUlT_T0_E_clISt17integral_constantIbLb1EES13_EEDaSY_SZ_EUlSY_E_NS1_11comp_targetILNS1_3genE8ELNS1_11target_archE1030ELNS1_3gpuE2ELNS1_3repE0EEENS1_30default_config_static_selectorELNS0_4arch9wavefront6targetE0EEEvT1_,"axG",@progbits,_ZN7rocprim17ROCPRIM_400000_NS6detail17trampoline_kernelINS0_14default_configENS1_29reduce_by_key_config_selectorItjN6thrust23THRUST_200600_302600_NS4plusIjEEEEZZNS1_33reduce_by_key_impl_wrapped_configILNS1_25lookback_scan_determinismE0ES3_S9_NS6_6detail15normal_iteratorINS6_10device_ptrItEEEENSD_INSE_IjEEEESG_SI_PmS8_NS6_8equal_toItEEEE10hipError_tPvRmT2_T3_mT4_T5_T6_T7_T8_P12ihipStream_tbENKUlT_T0_E_clISt17integral_constantIbLb1EES13_EEDaSY_SZ_EUlSY_E_NS1_11comp_targetILNS1_3genE8ELNS1_11target_archE1030ELNS1_3gpuE2ELNS1_3repE0EEENS1_30default_config_static_selectorELNS0_4arch9wavefront6targetE0EEEvT1_,comdat
	.protected	_ZN7rocprim17ROCPRIM_400000_NS6detail17trampoline_kernelINS0_14default_configENS1_29reduce_by_key_config_selectorItjN6thrust23THRUST_200600_302600_NS4plusIjEEEEZZNS1_33reduce_by_key_impl_wrapped_configILNS1_25lookback_scan_determinismE0ES3_S9_NS6_6detail15normal_iteratorINS6_10device_ptrItEEEENSD_INSE_IjEEEESG_SI_PmS8_NS6_8equal_toItEEEE10hipError_tPvRmT2_T3_mT4_T5_T6_T7_T8_P12ihipStream_tbENKUlT_T0_E_clISt17integral_constantIbLb1EES13_EEDaSY_SZ_EUlSY_E_NS1_11comp_targetILNS1_3genE8ELNS1_11target_archE1030ELNS1_3gpuE2ELNS1_3repE0EEENS1_30default_config_static_selectorELNS0_4arch9wavefront6targetE0EEEvT1_ ; -- Begin function _ZN7rocprim17ROCPRIM_400000_NS6detail17trampoline_kernelINS0_14default_configENS1_29reduce_by_key_config_selectorItjN6thrust23THRUST_200600_302600_NS4plusIjEEEEZZNS1_33reduce_by_key_impl_wrapped_configILNS1_25lookback_scan_determinismE0ES3_S9_NS6_6detail15normal_iteratorINS6_10device_ptrItEEEENSD_INSE_IjEEEESG_SI_PmS8_NS6_8equal_toItEEEE10hipError_tPvRmT2_T3_mT4_T5_T6_T7_T8_P12ihipStream_tbENKUlT_T0_E_clISt17integral_constantIbLb1EES13_EEDaSY_SZ_EUlSY_E_NS1_11comp_targetILNS1_3genE8ELNS1_11target_archE1030ELNS1_3gpuE2ELNS1_3repE0EEENS1_30default_config_static_selectorELNS0_4arch9wavefront6targetE0EEEvT1_
	.globl	_ZN7rocprim17ROCPRIM_400000_NS6detail17trampoline_kernelINS0_14default_configENS1_29reduce_by_key_config_selectorItjN6thrust23THRUST_200600_302600_NS4plusIjEEEEZZNS1_33reduce_by_key_impl_wrapped_configILNS1_25lookback_scan_determinismE0ES3_S9_NS6_6detail15normal_iteratorINS6_10device_ptrItEEEENSD_INSE_IjEEEESG_SI_PmS8_NS6_8equal_toItEEEE10hipError_tPvRmT2_T3_mT4_T5_T6_T7_T8_P12ihipStream_tbENKUlT_T0_E_clISt17integral_constantIbLb1EES13_EEDaSY_SZ_EUlSY_E_NS1_11comp_targetILNS1_3genE8ELNS1_11target_archE1030ELNS1_3gpuE2ELNS1_3repE0EEENS1_30default_config_static_selectorELNS0_4arch9wavefront6targetE0EEEvT1_
	.p2align	8
	.type	_ZN7rocprim17ROCPRIM_400000_NS6detail17trampoline_kernelINS0_14default_configENS1_29reduce_by_key_config_selectorItjN6thrust23THRUST_200600_302600_NS4plusIjEEEEZZNS1_33reduce_by_key_impl_wrapped_configILNS1_25lookback_scan_determinismE0ES3_S9_NS6_6detail15normal_iteratorINS6_10device_ptrItEEEENSD_INSE_IjEEEESG_SI_PmS8_NS6_8equal_toItEEEE10hipError_tPvRmT2_T3_mT4_T5_T6_T7_T8_P12ihipStream_tbENKUlT_T0_E_clISt17integral_constantIbLb1EES13_EEDaSY_SZ_EUlSY_E_NS1_11comp_targetILNS1_3genE8ELNS1_11target_archE1030ELNS1_3gpuE2ELNS1_3repE0EEENS1_30default_config_static_selectorELNS0_4arch9wavefront6targetE0EEEvT1_,@function
_ZN7rocprim17ROCPRIM_400000_NS6detail17trampoline_kernelINS0_14default_configENS1_29reduce_by_key_config_selectorItjN6thrust23THRUST_200600_302600_NS4plusIjEEEEZZNS1_33reduce_by_key_impl_wrapped_configILNS1_25lookback_scan_determinismE0ES3_S9_NS6_6detail15normal_iteratorINS6_10device_ptrItEEEENSD_INSE_IjEEEESG_SI_PmS8_NS6_8equal_toItEEEE10hipError_tPvRmT2_T3_mT4_T5_T6_T7_T8_P12ihipStream_tbENKUlT_T0_E_clISt17integral_constantIbLb1EES13_EEDaSY_SZ_EUlSY_E_NS1_11comp_targetILNS1_3genE8ELNS1_11target_archE1030ELNS1_3gpuE2ELNS1_3repE0EEENS1_30default_config_static_selectorELNS0_4arch9wavefront6targetE0EEEvT1_: ; @_ZN7rocprim17ROCPRIM_400000_NS6detail17trampoline_kernelINS0_14default_configENS1_29reduce_by_key_config_selectorItjN6thrust23THRUST_200600_302600_NS4plusIjEEEEZZNS1_33reduce_by_key_impl_wrapped_configILNS1_25lookback_scan_determinismE0ES3_S9_NS6_6detail15normal_iteratorINS6_10device_ptrItEEEENSD_INSE_IjEEEESG_SI_PmS8_NS6_8equal_toItEEEE10hipError_tPvRmT2_T3_mT4_T5_T6_T7_T8_P12ihipStream_tbENKUlT_T0_E_clISt17integral_constantIbLb1EES13_EEDaSY_SZ_EUlSY_E_NS1_11comp_targetILNS1_3genE8ELNS1_11target_archE1030ELNS1_3gpuE2ELNS1_3repE0EEENS1_30default_config_static_selectorELNS0_4arch9wavefront6targetE0EEEvT1_
; %bb.0:
	.section	.rodata,"a",@progbits
	.p2align	6, 0x0
	.amdhsa_kernel _ZN7rocprim17ROCPRIM_400000_NS6detail17trampoline_kernelINS0_14default_configENS1_29reduce_by_key_config_selectorItjN6thrust23THRUST_200600_302600_NS4plusIjEEEEZZNS1_33reduce_by_key_impl_wrapped_configILNS1_25lookback_scan_determinismE0ES3_S9_NS6_6detail15normal_iteratorINS6_10device_ptrItEEEENSD_INSE_IjEEEESG_SI_PmS8_NS6_8equal_toItEEEE10hipError_tPvRmT2_T3_mT4_T5_T6_T7_T8_P12ihipStream_tbENKUlT_T0_E_clISt17integral_constantIbLb1EES13_EEDaSY_SZ_EUlSY_E_NS1_11comp_targetILNS1_3genE8ELNS1_11target_archE1030ELNS1_3gpuE2ELNS1_3repE0EEENS1_30default_config_static_selectorELNS0_4arch9wavefront6targetE0EEEvT1_
		.amdhsa_group_segment_fixed_size 0
		.amdhsa_private_segment_fixed_size 0
		.amdhsa_kernarg_size 120
		.amdhsa_user_sgpr_count 15
		.amdhsa_user_sgpr_dispatch_ptr 0
		.amdhsa_user_sgpr_queue_ptr 0
		.amdhsa_user_sgpr_kernarg_segment_ptr 1
		.amdhsa_user_sgpr_dispatch_id 0
		.amdhsa_user_sgpr_private_segment_size 0
		.amdhsa_wavefront_size32 1
		.amdhsa_uses_dynamic_stack 0
		.amdhsa_enable_private_segment 0
		.amdhsa_system_sgpr_workgroup_id_x 1
		.amdhsa_system_sgpr_workgroup_id_y 0
		.amdhsa_system_sgpr_workgroup_id_z 0
		.amdhsa_system_sgpr_workgroup_info 0
		.amdhsa_system_vgpr_workitem_id 0
		.amdhsa_next_free_vgpr 1
		.amdhsa_next_free_sgpr 1
		.amdhsa_reserve_vcc 0
		.amdhsa_float_round_mode_32 0
		.amdhsa_float_round_mode_16_64 0
		.amdhsa_float_denorm_mode_32 3
		.amdhsa_float_denorm_mode_16_64 3
		.amdhsa_dx10_clamp 1
		.amdhsa_ieee_mode 1
		.amdhsa_fp16_overflow 0
		.amdhsa_workgroup_processor_mode 1
		.amdhsa_memory_ordered 1
		.amdhsa_forward_progress 0
		.amdhsa_shared_vgpr_count 0
		.amdhsa_exception_fp_ieee_invalid_op 0
		.amdhsa_exception_fp_denorm_src 0
		.amdhsa_exception_fp_ieee_div_zero 0
		.amdhsa_exception_fp_ieee_overflow 0
		.amdhsa_exception_fp_ieee_underflow 0
		.amdhsa_exception_fp_ieee_inexact 0
		.amdhsa_exception_int_div_zero 0
	.end_amdhsa_kernel
	.section	.text._ZN7rocprim17ROCPRIM_400000_NS6detail17trampoline_kernelINS0_14default_configENS1_29reduce_by_key_config_selectorItjN6thrust23THRUST_200600_302600_NS4plusIjEEEEZZNS1_33reduce_by_key_impl_wrapped_configILNS1_25lookback_scan_determinismE0ES3_S9_NS6_6detail15normal_iteratorINS6_10device_ptrItEEEENSD_INSE_IjEEEESG_SI_PmS8_NS6_8equal_toItEEEE10hipError_tPvRmT2_T3_mT4_T5_T6_T7_T8_P12ihipStream_tbENKUlT_T0_E_clISt17integral_constantIbLb1EES13_EEDaSY_SZ_EUlSY_E_NS1_11comp_targetILNS1_3genE8ELNS1_11target_archE1030ELNS1_3gpuE2ELNS1_3repE0EEENS1_30default_config_static_selectorELNS0_4arch9wavefront6targetE0EEEvT1_,"axG",@progbits,_ZN7rocprim17ROCPRIM_400000_NS6detail17trampoline_kernelINS0_14default_configENS1_29reduce_by_key_config_selectorItjN6thrust23THRUST_200600_302600_NS4plusIjEEEEZZNS1_33reduce_by_key_impl_wrapped_configILNS1_25lookback_scan_determinismE0ES3_S9_NS6_6detail15normal_iteratorINS6_10device_ptrItEEEENSD_INSE_IjEEEESG_SI_PmS8_NS6_8equal_toItEEEE10hipError_tPvRmT2_T3_mT4_T5_T6_T7_T8_P12ihipStream_tbENKUlT_T0_E_clISt17integral_constantIbLb1EES13_EEDaSY_SZ_EUlSY_E_NS1_11comp_targetILNS1_3genE8ELNS1_11target_archE1030ELNS1_3gpuE2ELNS1_3repE0EEENS1_30default_config_static_selectorELNS0_4arch9wavefront6targetE0EEEvT1_,comdat
.Lfunc_end750:
	.size	_ZN7rocprim17ROCPRIM_400000_NS6detail17trampoline_kernelINS0_14default_configENS1_29reduce_by_key_config_selectorItjN6thrust23THRUST_200600_302600_NS4plusIjEEEEZZNS1_33reduce_by_key_impl_wrapped_configILNS1_25lookback_scan_determinismE0ES3_S9_NS6_6detail15normal_iteratorINS6_10device_ptrItEEEENSD_INSE_IjEEEESG_SI_PmS8_NS6_8equal_toItEEEE10hipError_tPvRmT2_T3_mT4_T5_T6_T7_T8_P12ihipStream_tbENKUlT_T0_E_clISt17integral_constantIbLb1EES13_EEDaSY_SZ_EUlSY_E_NS1_11comp_targetILNS1_3genE8ELNS1_11target_archE1030ELNS1_3gpuE2ELNS1_3repE0EEENS1_30default_config_static_selectorELNS0_4arch9wavefront6targetE0EEEvT1_, .Lfunc_end750-_ZN7rocprim17ROCPRIM_400000_NS6detail17trampoline_kernelINS0_14default_configENS1_29reduce_by_key_config_selectorItjN6thrust23THRUST_200600_302600_NS4plusIjEEEEZZNS1_33reduce_by_key_impl_wrapped_configILNS1_25lookback_scan_determinismE0ES3_S9_NS6_6detail15normal_iteratorINS6_10device_ptrItEEEENSD_INSE_IjEEEESG_SI_PmS8_NS6_8equal_toItEEEE10hipError_tPvRmT2_T3_mT4_T5_T6_T7_T8_P12ihipStream_tbENKUlT_T0_E_clISt17integral_constantIbLb1EES13_EEDaSY_SZ_EUlSY_E_NS1_11comp_targetILNS1_3genE8ELNS1_11target_archE1030ELNS1_3gpuE2ELNS1_3repE0EEENS1_30default_config_static_selectorELNS0_4arch9wavefront6targetE0EEEvT1_
                                        ; -- End function
	.section	.AMDGPU.csdata,"",@progbits
; Kernel info:
; codeLenInByte = 0
; NumSgprs: 0
; NumVgprs: 0
; ScratchSize: 0
; MemoryBound: 0
; FloatMode: 240
; IeeeMode: 1
; LDSByteSize: 0 bytes/workgroup (compile time only)
; SGPRBlocks: 0
; VGPRBlocks: 0
; NumSGPRsForWavesPerEU: 1
; NumVGPRsForWavesPerEU: 1
; Occupancy: 16
; WaveLimiterHint : 0
; COMPUTE_PGM_RSRC2:SCRATCH_EN: 0
; COMPUTE_PGM_RSRC2:USER_SGPR: 15
; COMPUTE_PGM_RSRC2:TRAP_HANDLER: 0
; COMPUTE_PGM_RSRC2:TGID_X_EN: 1
; COMPUTE_PGM_RSRC2:TGID_Y_EN: 0
; COMPUTE_PGM_RSRC2:TGID_Z_EN: 0
; COMPUTE_PGM_RSRC2:TIDIG_COMP_CNT: 0
	.section	.text._ZN7rocprim17ROCPRIM_400000_NS6detail17trampoline_kernelINS0_14default_configENS1_29reduce_by_key_config_selectorItjN6thrust23THRUST_200600_302600_NS4plusIjEEEEZZNS1_33reduce_by_key_impl_wrapped_configILNS1_25lookback_scan_determinismE0ES3_S9_NS6_6detail15normal_iteratorINS6_10device_ptrItEEEENSD_INSE_IjEEEESG_SI_PmS8_NS6_8equal_toItEEEE10hipError_tPvRmT2_T3_mT4_T5_T6_T7_T8_P12ihipStream_tbENKUlT_T0_E_clISt17integral_constantIbLb1EES12_IbLb0EEEEDaSY_SZ_EUlSY_E_NS1_11comp_targetILNS1_3genE0ELNS1_11target_archE4294967295ELNS1_3gpuE0ELNS1_3repE0EEENS1_30default_config_static_selectorELNS0_4arch9wavefront6targetE0EEEvT1_,"axG",@progbits,_ZN7rocprim17ROCPRIM_400000_NS6detail17trampoline_kernelINS0_14default_configENS1_29reduce_by_key_config_selectorItjN6thrust23THRUST_200600_302600_NS4plusIjEEEEZZNS1_33reduce_by_key_impl_wrapped_configILNS1_25lookback_scan_determinismE0ES3_S9_NS6_6detail15normal_iteratorINS6_10device_ptrItEEEENSD_INSE_IjEEEESG_SI_PmS8_NS6_8equal_toItEEEE10hipError_tPvRmT2_T3_mT4_T5_T6_T7_T8_P12ihipStream_tbENKUlT_T0_E_clISt17integral_constantIbLb1EES12_IbLb0EEEEDaSY_SZ_EUlSY_E_NS1_11comp_targetILNS1_3genE0ELNS1_11target_archE4294967295ELNS1_3gpuE0ELNS1_3repE0EEENS1_30default_config_static_selectorELNS0_4arch9wavefront6targetE0EEEvT1_,comdat
	.protected	_ZN7rocprim17ROCPRIM_400000_NS6detail17trampoline_kernelINS0_14default_configENS1_29reduce_by_key_config_selectorItjN6thrust23THRUST_200600_302600_NS4plusIjEEEEZZNS1_33reduce_by_key_impl_wrapped_configILNS1_25lookback_scan_determinismE0ES3_S9_NS6_6detail15normal_iteratorINS6_10device_ptrItEEEENSD_INSE_IjEEEESG_SI_PmS8_NS6_8equal_toItEEEE10hipError_tPvRmT2_T3_mT4_T5_T6_T7_T8_P12ihipStream_tbENKUlT_T0_E_clISt17integral_constantIbLb1EES12_IbLb0EEEEDaSY_SZ_EUlSY_E_NS1_11comp_targetILNS1_3genE0ELNS1_11target_archE4294967295ELNS1_3gpuE0ELNS1_3repE0EEENS1_30default_config_static_selectorELNS0_4arch9wavefront6targetE0EEEvT1_ ; -- Begin function _ZN7rocprim17ROCPRIM_400000_NS6detail17trampoline_kernelINS0_14default_configENS1_29reduce_by_key_config_selectorItjN6thrust23THRUST_200600_302600_NS4plusIjEEEEZZNS1_33reduce_by_key_impl_wrapped_configILNS1_25lookback_scan_determinismE0ES3_S9_NS6_6detail15normal_iteratorINS6_10device_ptrItEEEENSD_INSE_IjEEEESG_SI_PmS8_NS6_8equal_toItEEEE10hipError_tPvRmT2_T3_mT4_T5_T6_T7_T8_P12ihipStream_tbENKUlT_T0_E_clISt17integral_constantIbLb1EES12_IbLb0EEEEDaSY_SZ_EUlSY_E_NS1_11comp_targetILNS1_3genE0ELNS1_11target_archE4294967295ELNS1_3gpuE0ELNS1_3repE0EEENS1_30default_config_static_selectorELNS0_4arch9wavefront6targetE0EEEvT1_
	.globl	_ZN7rocprim17ROCPRIM_400000_NS6detail17trampoline_kernelINS0_14default_configENS1_29reduce_by_key_config_selectorItjN6thrust23THRUST_200600_302600_NS4plusIjEEEEZZNS1_33reduce_by_key_impl_wrapped_configILNS1_25lookback_scan_determinismE0ES3_S9_NS6_6detail15normal_iteratorINS6_10device_ptrItEEEENSD_INSE_IjEEEESG_SI_PmS8_NS6_8equal_toItEEEE10hipError_tPvRmT2_T3_mT4_T5_T6_T7_T8_P12ihipStream_tbENKUlT_T0_E_clISt17integral_constantIbLb1EES12_IbLb0EEEEDaSY_SZ_EUlSY_E_NS1_11comp_targetILNS1_3genE0ELNS1_11target_archE4294967295ELNS1_3gpuE0ELNS1_3repE0EEENS1_30default_config_static_selectorELNS0_4arch9wavefront6targetE0EEEvT1_
	.p2align	8
	.type	_ZN7rocprim17ROCPRIM_400000_NS6detail17trampoline_kernelINS0_14default_configENS1_29reduce_by_key_config_selectorItjN6thrust23THRUST_200600_302600_NS4plusIjEEEEZZNS1_33reduce_by_key_impl_wrapped_configILNS1_25lookback_scan_determinismE0ES3_S9_NS6_6detail15normal_iteratorINS6_10device_ptrItEEEENSD_INSE_IjEEEESG_SI_PmS8_NS6_8equal_toItEEEE10hipError_tPvRmT2_T3_mT4_T5_T6_T7_T8_P12ihipStream_tbENKUlT_T0_E_clISt17integral_constantIbLb1EES12_IbLb0EEEEDaSY_SZ_EUlSY_E_NS1_11comp_targetILNS1_3genE0ELNS1_11target_archE4294967295ELNS1_3gpuE0ELNS1_3repE0EEENS1_30default_config_static_selectorELNS0_4arch9wavefront6targetE0EEEvT1_,@function
_ZN7rocprim17ROCPRIM_400000_NS6detail17trampoline_kernelINS0_14default_configENS1_29reduce_by_key_config_selectorItjN6thrust23THRUST_200600_302600_NS4plusIjEEEEZZNS1_33reduce_by_key_impl_wrapped_configILNS1_25lookback_scan_determinismE0ES3_S9_NS6_6detail15normal_iteratorINS6_10device_ptrItEEEENSD_INSE_IjEEEESG_SI_PmS8_NS6_8equal_toItEEEE10hipError_tPvRmT2_T3_mT4_T5_T6_T7_T8_P12ihipStream_tbENKUlT_T0_E_clISt17integral_constantIbLb1EES12_IbLb0EEEEDaSY_SZ_EUlSY_E_NS1_11comp_targetILNS1_3genE0ELNS1_11target_archE4294967295ELNS1_3gpuE0ELNS1_3repE0EEENS1_30default_config_static_selectorELNS0_4arch9wavefront6targetE0EEEvT1_: ; @_ZN7rocprim17ROCPRIM_400000_NS6detail17trampoline_kernelINS0_14default_configENS1_29reduce_by_key_config_selectorItjN6thrust23THRUST_200600_302600_NS4plusIjEEEEZZNS1_33reduce_by_key_impl_wrapped_configILNS1_25lookback_scan_determinismE0ES3_S9_NS6_6detail15normal_iteratorINS6_10device_ptrItEEEENSD_INSE_IjEEEESG_SI_PmS8_NS6_8equal_toItEEEE10hipError_tPvRmT2_T3_mT4_T5_T6_T7_T8_P12ihipStream_tbENKUlT_T0_E_clISt17integral_constantIbLb1EES12_IbLb0EEEEDaSY_SZ_EUlSY_E_NS1_11comp_targetILNS1_3genE0ELNS1_11target_archE4294967295ELNS1_3gpuE0ELNS1_3repE0EEENS1_30default_config_static_selectorELNS0_4arch9wavefront6targetE0EEEvT1_
; %bb.0:
	.section	.rodata,"a",@progbits
	.p2align	6, 0x0
	.amdhsa_kernel _ZN7rocprim17ROCPRIM_400000_NS6detail17trampoline_kernelINS0_14default_configENS1_29reduce_by_key_config_selectorItjN6thrust23THRUST_200600_302600_NS4plusIjEEEEZZNS1_33reduce_by_key_impl_wrapped_configILNS1_25lookback_scan_determinismE0ES3_S9_NS6_6detail15normal_iteratorINS6_10device_ptrItEEEENSD_INSE_IjEEEESG_SI_PmS8_NS6_8equal_toItEEEE10hipError_tPvRmT2_T3_mT4_T5_T6_T7_T8_P12ihipStream_tbENKUlT_T0_E_clISt17integral_constantIbLb1EES12_IbLb0EEEEDaSY_SZ_EUlSY_E_NS1_11comp_targetILNS1_3genE0ELNS1_11target_archE4294967295ELNS1_3gpuE0ELNS1_3repE0EEENS1_30default_config_static_selectorELNS0_4arch9wavefront6targetE0EEEvT1_
		.amdhsa_group_segment_fixed_size 0
		.amdhsa_private_segment_fixed_size 0
		.amdhsa_kernarg_size 120
		.amdhsa_user_sgpr_count 15
		.amdhsa_user_sgpr_dispatch_ptr 0
		.amdhsa_user_sgpr_queue_ptr 0
		.amdhsa_user_sgpr_kernarg_segment_ptr 1
		.amdhsa_user_sgpr_dispatch_id 0
		.amdhsa_user_sgpr_private_segment_size 0
		.amdhsa_wavefront_size32 1
		.amdhsa_uses_dynamic_stack 0
		.amdhsa_enable_private_segment 0
		.amdhsa_system_sgpr_workgroup_id_x 1
		.amdhsa_system_sgpr_workgroup_id_y 0
		.amdhsa_system_sgpr_workgroup_id_z 0
		.amdhsa_system_sgpr_workgroup_info 0
		.amdhsa_system_vgpr_workitem_id 0
		.amdhsa_next_free_vgpr 1
		.amdhsa_next_free_sgpr 1
		.amdhsa_reserve_vcc 0
		.amdhsa_float_round_mode_32 0
		.amdhsa_float_round_mode_16_64 0
		.amdhsa_float_denorm_mode_32 3
		.amdhsa_float_denorm_mode_16_64 3
		.amdhsa_dx10_clamp 1
		.amdhsa_ieee_mode 1
		.amdhsa_fp16_overflow 0
		.amdhsa_workgroup_processor_mode 1
		.amdhsa_memory_ordered 1
		.amdhsa_forward_progress 0
		.amdhsa_shared_vgpr_count 0
		.amdhsa_exception_fp_ieee_invalid_op 0
		.amdhsa_exception_fp_denorm_src 0
		.amdhsa_exception_fp_ieee_div_zero 0
		.amdhsa_exception_fp_ieee_overflow 0
		.amdhsa_exception_fp_ieee_underflow 0
		.amdhsa_exception_fp_ieee_inexact 0
		.amdhsa_exception_int_div_zero 0
	.end_amdhsa_kernel
	.section	.text._ZN7rocprim17ROCPRIM_400000_NS6detail17trampoline_kernelINS0_14default_configENS1_29reduce_by_key_config_selectorItjN6thrust23THRUST_200600_302600_NS4plusIjEEEEZZNS1_33reduce_by_key_impl_wrapped_configILNS1_25lookback_scan_determinismE0ES3_S9_NS6_6detail15normal_iteratorINS6_10device_ptrItEEEENSD_INSE_IjEEEESG_SI_PmS8_NS6_8equal_toItEEEE10hipError_tPvRmT2_T3_mT4_T5_T6_T7_T8_P12ihipStream_tbENKUlT_T0_E_clISt17integral_constantIbLb1EES12_IbLb0EEEEDaSY_SZ_EUlSY_E_NS1_11comp_targetILNS1_3genE0ELNS1_11target_archE4294967295ELNS1_3gpuE0ELNS1_3repE0EEENS1_30default_config_static_selectorELNS0_4arch9wavefront6targetE0EEEvT1_,"axG",@progbits,_ZN7rocprim17ROCPRIM_400000_NS6detail17trampoline_kernelINS0_14default_configENS1_29reduce_by_key_config_selectorItjN6thrust23THRUST_200600_302600_NS4plusIjEEEEZZNS1_33reduce_by_key_impl_wrapped_configILNS1_25lookback_scan_determinismE0ES3_S9_NS6_6detail15normal_iteratorINS6_10device_ptrItEEEENSD_INSE_IjEEEESG_SI_PmS8_NS6_8equal_toItEEEE10hipError_tPvRmT2_T3_mT4_T5_T6_T7_T8_P12ihipStream_tbENKUlT_T0_E_clISt17integral_constantIbLb1EES12_IbLb0EEEEDaSY_SZ_EUlSY_E_NS1_11comp_targetILNS1_3genE0ELNS1_11target_archE4294967295ELNS1_3gpuE0ELNS1_3repE0EEENS1_30default_config_static_selectorELNS0_4arch9wavefront6targetE0EEEvT1_,comdat
.Lfunc_end751:
	.size	_ZN7rocprim17ROCPRIM_400000_NS6detail17trampoline_kernelINS0_14default_configENS1_29reduce_by_key_config_selectorItjN6thrust23THRUST_200600_302600_NS4plusIjEEEEZZNS1_33reduce_by_key_impl_wrapped_configILNS1_25lookback_scan_determinismE0ES3_S9_NS6_6detail15normal_iteratorINS6_10device_ptrItEEEENSD_INSE_IjEEEESG_SI_PmS8_NS6_8equal_toItEEEE10hipError_tPvRmT2_T3_mT4_T5_T6_T7_T8_P12ihipStream_tbENKUlT_T0_E_clISt17integral_constantIbLb1EES12_IbLb0EEEEDaSY_SZ_EUlSY_E_NS1_11comp_targetILNS1_3genE0ELNS1_11target_archE4294967295ELNS1_3gpuE0ELNS1_3repE0EEENS1_30default_config_static_selectorELNS0_4arch9wavefront6targetE0EEEvT1_, .Lfunc_end751-_ZN7rocprim17ROCPRIM_400000_NS6detail17trampoline_kernelINS0_14default_configENS1_29reduce_by_key_config_selectorItjN6thrust23THRUST_200600_302600_NS4plusIjEEEEZZNS1_33reduce_by_key_impl_wrapped_configILNS1_25lookback_scan_determinismE0ES3_S9_NS6_6detail15normal_iteratorINS6_10device_ptrItEEEENSD_INSE_IjEEEESG_SI_PmS8_NS6_8equal_toItEEEE10hipError_tPvRmT2_T3_mT4_T5_T6_T7_T8_P12ihipStream_tbENKUlT_T0_E_clISt17integral_constantIbLb1EES12_IbLb0EEEEDaSY_SZ_EUlSY_E_NS1_11comp_targetILNS1_3genE0ELNS1_11target_archE4294967295ELNS1_3gpuE0ELNS1_3repE0EEENS1_30default_config_static_selectorELNS0_4arch9wavefront6targetE0EEEvT1_
                                        ; -- End function
	.section	.AMDGPU.csdata,"",@progbits
; Kernel info:
; codeLenInByte = 0
; NumSgprs: 0
; NumVgprs: 0
; ScratchSize: 0
; MemoryBound: 0
; FloatMode: 240
; IeeeMode: 1
; LDSByteSize: 0 bytes/workgroup (compile time only)
; SGPRBlocks: 0
; VGPRBlocks: 0
; NumSGPRsForWavesPerEU: 1
; NumVGPRsForWavesPerEU: 1
; Occupancy: 16
; WaveLimiterHint : 0
; COMPUTE_PGM_RSRC2:SCRATCH_EN: 0
; COMPUTE_PGM_RSRC2:USER_SGPR: 15
; COMPUTE_PGM_RSRC2:TRAP_HANDLER: 0
; COMPUTE_PGM_RSRC2:TGID_X_EN: 1
; COMPUTE_PGM_RSRC2:TGID_Y_EN: 0
; COMPUTE_PGM_RSRC2:TGID_Z_EN: 0
; COMPUTE_PGM_RSRC2:TIDIG_COMP_CNT: 0
	.section	.text._ZN7rocprim17ROCPRIM_400000_NS6detail17trampoline_kernelINS0_14default_configENS1_29reduce_by_key_config_selectorItjN6thrust23THRUST_200600_302600_NS4plusIjEEEEZZNS1_33reduce_by_key_impl_wrapped_configILNS1_25lookback_scan_determinismE0ES3_S9_NS6_6detail15normal_iteratorINS6_10device_ptrItEEEENSD_INSE_IjEEEESG_SI_PmS8_NS6_8equal_toItEEEE10hipError_tPvRmT2_T3_mT4_T5_T6_T7_T8_P12ihipStream_tbENKUlT_T0_E_clISt17integral_constantIbLb1EES12_IbLb0EEEEDaSY_SZ_EUlSY_E_NS1_11comp_targetILNS1_3genE5ELNS1_11target_archE942ELNS1_3gpuE9ELNS1_3repE0EEENS1_30default_config_static_selectorELNS0_4arch9wavefront6targetE0EEEvT1_,"axG",@progbits,_ZN7rocprim17ROCPRIM_400000_NS6detail17trampoline_kernelINS0_14default_configENS1_29reduce_by_key_config_selectorItjN6thrust23THRUST_200600_302600_NS4plusIjEEEEZZNS1_33reduce_by_key_impl_wrapped_configILNS1_25lookback_scan_determinismE0ES3_S9_NS6_6detail15normal_iteratorINS6_10device_ptrItEEEENSD_INSE_IjEEEESG_SI_PmS8_NS6_8equal_toItEEEE10hipError_tPvRmT2_T3_mT4_T5_T6_T7_T8_P12ihipStream_tbENKUlT_T0_E_clISt17integral_constantIbLb1EES12_IbLb0EEEEDaSY_SZ_EUlSY_E_NS1_11comp_targetILNS1_3genE5ELNS1_11target_archE942ELNS1_3gpuE9ELNS1_3repE0EEENS1_30default_config_static_selectorELNS0_4arch9wavefront6targetE0EEEvT1_,comdat
	.protected	_ZN7rocprim17ROCPRIM_400000_NS6detail17trampoline_kernelINS0_14default_configENS1_29reduce_by_key_config_selectorItjN6thrust23THRUST_200600_302600_NS4plusIjEEEEZZNS1_33reduce_by_key_impl_wrapped_configILNS1_25lookback_scan_determinismE0ES3_S9_NS6_6detail15normal_iteratorINS6_10device_ptrItEEEENSD_INSE_IjEEEESG_SI_PmS8_NS6_8equal_toItEEEE10hipError_tPvRmT2_T3_mT4_T5_T6_T7_T8_P12ihipStream_tbENKUlT_T0_E_clISt17integral_constantIbLb1EES12_IbLb0EEEEDaSY_SZ_EUlSY_E_NS1_11comp_targetILNS1_3genE5ELNS1_11target_archE942ELNS1_3gpuE9ELNS1_3repE0EEENS1_30default_config_static_selectorELNS0_4arch9wavefront6targetE0EEEvT1_ ; -- Begin function _ZN7rocprim17ROCPRIM_400000_NS6detail17trampoline_kernelINS0_14default_configENS1_29reduce_by_key_config_selectorItjN6thrust23THRUST_200600_302600_NS4plusIjEEEEZZNS1_33reduce_by_key_impl_wrapped_configILNS1_25lookback_scan_determinismE0ES3_S9_NS6_6detail15normal_iteratorINS6_10device_ptrItEEEENSD_INSE_IjEEEESG_SI_PmS8_NS6_8equal_toItEEEE10hipError_tPvRmT2_T3_mT4_T5_T6_T7_T8_P12ihipStream_tbENKUlT_T0_E_clISt17integral_constantIbLb1EES12_IbLb0EEEEDaSY_SZ_EUlSY_E_NS1_11comp_targetILNS1_3genE5ELNS1_11target_archE942ELNS1_3gpuE9ELNS1_3repE0EEENS1_30default_config_static_selectorELNS0_4arch9wavefront6targetE0EEEvT1_
	.globl	_ZN7rocprim17ROCPRIM_400000_NS6detail17trampoline_kernelINS0_14default_configENS1_29reduce_by_key_config_selectorItjN6thrust23THRUST_200600_302600_NS4plusIjEEEEZZNS1_33reduce_by_key_impl_wrapped_configILNS1_25lookback_scan_determinismE0ES3_S9_NS6_6detail15normal_iteratorINS6_10device_ptrItEEEENSD_INSE_IjEEEESG_SI_PmS8_NS6_8equal_toItEEEE10hipError_tPvRmT2_T3_mT4_T5_T6_T7_T8_P12ihipStream_tbENKUlT_T0_E_clISt17integral_constantIbLb1EES12_IbLb0EEEEDaSY_SZ_EUlSY_E_NS1_11comp_targetILNS1_3genE5ELNS1_11target_archE942ELNS1_3gpuE9ELNS1_3repE0EEENS1_30default_config_static_selectorELNS0_4arch9wavefront6targetE0EEEvT1_
	.p2align	8
	.type	_ZN7rocprim17ROCPRIM_400000_NS6detail17trampoline_kernelINS0_14default_configENS1_29reduce_by_key_config_selectorItjN6thrust23THRUST_200600_302600_NS4plusIjEEEEZZNS1_33reduce_by_key_impl_wrapped_configILNS1_25lookback_scan_determinismE0ES3_S9_NS6_6detail15normal_iteratorINS6_10device_ptrItEEEENSD_INSE_IjEEEESG_SI_PmS8_NS6_8equal_toItEEEE10hipError_tPvRmT2_T3_mT4_T5_T6_T7_T8_P12ihipStream_tbENKUlT_T0_E_clISt17integral_constantIbLb1EES12_IbLb0EEEEDaSY_SZ_EUlSY_E_NS1_11comp_targetILNS1_3genE5ELNS1_11target_archE942ELNS1_3gpuE9ELNS1_3repE0EEENS1_30default_config_static_selectorELNS0_4arch9wavefront6targetE0EEEvT1_,@function
_ZN7rocprim17ROCPRIM_400000_NS6detail17trampoline_kernelINS0_14default_configENS1_29reduce_by_key_config_selectorItjN6thrust23THRUST_200600_302600_NS4plusIjEEEEZZNS1_33reduce_by_key_impl_wrapped_configILNS1_25lookback_scan_determinismE0ES3_S9_NS6_6detail15normal_iteratorINS6_10device_ptrItEEEENSD_INSE_IjEEEESG_SI_PmS8_NS6_8equal_toItEEEE10hipError_tPvRmT2_T3_mT4_T5_T6_T7_T8_P12ihipStream_tbENKUlT_T0_E_clISt17integral_constantIbLb1EES12_IbLb0EEEEDaSY_SZ_EUlSY_E_NS1_11comp_targetILNS1_3genE5ELNS1_11target_archE942ELNS1_3gpuE9ELNS1_3repE0EEENS1_30default_config_static_selectorELNS0_4arch9wavefront6targetE0EEEvT1_: ; @_ZN7rocprim17ROCPRIM_400000_NS6detail17trampoline_kernelINS0_14default_configENS1_29reduce_by_key_config_selectorItjN6thrust23THRUST_200600_302600_NS4plusIjEEEEZZNS1_33reduce_by_key_impl_wrapped_configILNS1_25lookback_scan_determinismE0ES3_S9_NS6_6detail15normal_iteratorINS6_10device_ptrItEEEENSD_INSE_IjEEEESG_SI_PmS8_NS6_8equal_toItEEEE10hipError_tPvRmT2_T3_mT4_T5_T6_T7_T8_P12ihipStream_tbENKUlT_T0_E_clISt17integral_constantIbLb1EES12_IbLb0EEEEDaSY_SZ_EUlSY_E_NS1_11comp_targetILNS1_3genE5ELNS1_11target_archE942ELNS1_3gpuE9ELNS1_3repE0EEENS1_30default_config_static_selectorELNS0_4arch9wavefront6targetE0EEEvT1_
; %bb.0:
	.section	.rodata,"a",@progbits
	.p2align	6, 0x0
	.amdhsa_kernel _ZN7rocprim17ROCPRIM_400000_NS6detail17trampoline_kernelINS0_14default_configENS1_29reduce_by_key_config_selectorItjN6thrust23THRUST_200600_302600_NS4plusIjEEEEZZNS1_33reduce_by_key_impl_wrapped_configILNS1_25lookback_scan_determinismE0ES3_S9_NS6_6detail15normal_iteratorINS6_10device_ptrItEEEENSD_INSE_IjEEEESG_SI_PmS8_NS6_8equal_toItEEEE10hipError_tPvRmT2_T3_mT4_T5_T6_T7_T8_P12ihipStream_tbENKUlT_T0_E_clISt17integral_constantIbLb1EES12_IbLb0EEEEDaSY_SZ_EUlSY_E_NS1_11comp_targetILNS1_3genE5ELNS1_11target_archE942ELNS1_3gpuE9ELNS1_3repE0EEENS1_30default_config_static_selectorELNS0_4arch9wavefront6targetE0EEEvT1_
		.amdhsa_group_segment_fixed_size 0
		.amdhsa_private_segment_fixed_size 0
		.amdhsa_kernarg_size 120
		.amdhsa_user_sgpr_count 15
		.amdhsa_user_sgpr_dispatch_ptr 0
		.amdhsa_user_sgpr_queue_ptr 0
		.amdhsa_user_sgpr_kernarg_segment_ptr 1
		.amdhsa_user_sgpr_dispatch_id 0
		.amdhsa_user_sgpr_private_segment_size 0
		.amdhsa_wavefront_size32 1
		.amdhsa_uses_dynamic_stack 0
		.amdhsa_enable_private_segment 0
		.amdhsa_system_sgpr_workgroup_id_x 1
		.amdhsa_system_sgpr_workgroup_id_y 0
		.amdhsa_system_sgpr_workgroup_id_z 0
		.amdhsa_system_sgpr_workgroup_info 0
		.amdhsa_system_vgpr_workitem_id 0
		.amdhsa_next_free_vgpr 1
		.amdhsa_next_free_sgpr 1
		.amdhsa_reserve_vcc 0
		.amdhsa_float_round_mode_32 0
		.amdhsa_float_round_mode_16_64 0
		.amdhsa_float_denorm_mode_32 3
		.amdhsa_float_denorm_mode_16_64 3
		.amdhsa_dx10_clamp 1
		.amdhsa_ieee_mode 1
		.amdhsa_fp16_overflow 0
		.amdhsa_workgroup_processor_mode 1
		.amdhsa_memory_ordered 1
		.amdhsa_forward_progress 0
		.amdhsa_shared_vgpr_count 0
		.amdhsa_exception_fp_ieee_invalid_op 0
		.amdhsa_exception_fp_denorm_src 0
		.amdhsa_exception_fp_ieee_div_zero 0
		.amdhsa_exception_fp_ieee_overflow 0
		.amdhsa_exception_fp_ieee_underflow 0
		.amdhsa_exception_fp_ieee_inexact 0
		.amdhsa_exception_int_div_zero 0
	.end_amdhsa_kernel
	.section	.text._ZN7rocprim17ROCPRIM_400000_NS6detail17trampoline_kernelINS0_14default_configENS1_29reduce_by_key_config_selectorItjN6thrust23THRUST_200600_302600_NS4plusIjEEEEZZNS1_33reduce_by_key_impl_wrapped_configILNS1_25lookback_scan_determinismE0ES3_S9_NS6_6detail15normal_iteratorINS6_10device_ptrItEEEENSD_INSE_IjEEEESG_SI_PmS8_NS6_8equal_toItEEEE10hipError_tPvRmT2_T3_mT4_T5_T6_T7_T8_P12ihipStream_tbENKUlT_T0_E_clISt17integral_constantIbLb1EES12_IbLb0EEEEDaSY_SZ_EUlSY_E_NS1_11comp_targetILNS1_3genE5ELNS1_11target_archE942ELNS1_3gpuE9ELNS1_3repE0EEENS1_30default_config_static_selectorELNS0_4arch9wavefront6targetE0EEEvT1_,"axG",@progbits,_ZN7rocprim17ROCPRIM_400000_NS6detail17trampoline_kernelINS0_14default_configENS1_29reduce_by_key_config_selectorItjN6thrust23THRUST_200600_302600_NS4plusIjEEEEZZNS1_33reduce_by_key_impl_wrapped_configILNS1_25lookback_scan_determinismE0ES3_S9_NS6_6detail15normal_iteratorINS6_10device_ptrItEEEENSD_INSE_IjEEEESG_SI_PmS8_NS6_8equal_toItEEEE10hipError_tPvRmT2_T3_mT4_T5_T6_T7_T8_P12ihipStream_tbENKUlT_T0_E_clISt17integral_constantIbLb1EES12_IbLb0EEEEDaSY_SZ_EUlSY_E_NS1_11comp_targetILNS1_3genE5ELNS1_11target_archE942ELNS1_3gpuE9ELNS1_3repE0EEENS1_30default_config_static_selectorELNS0_4arch9wavefront6targetE0EEEvT1_,comdat
.Lfunc_end752:
	.size	_ZN7rocprim17ROCPRIM_400000_NS6detail17trampoline_kernelINS0_14default_configENS1_29reduce_by_key_config_selectorItjN6thrust23THRUST_200600_302600_NS4plusIjEEEEZZNS1_33reduce_by_key_impl_wrapped_configILNS1_25lookback_scan_determinismE0ES3_S9_NS6_6detail15normal_iteratorINS6_10device_ptrItEEEENSD_INSE_IjEEEESG_SI_PmS8_NS6_8equal_toItEEEE10hipError_tPvRmT2_T3_mT4_T5_T6_T7_T8_P12ihipStream_tbENKUlT_T0_E_clISt17integral_constantIbLb1EES12_IbLb0EEEEDaSY_SZ_EUlSY_E_NS1_11comp_targetILNS1_3genE5ELNS1_11target_archE942ELNS1_3gpuE9ELNS1_3repE0EEENS1_30default_config_static_selectorELNS0_4arch9wavefront6targetE0EEEvT1_, .Lfunc_end752-_ZN7rocprim17ROCPRIM_400000_NS6detail17trampoline_kernelINS0_14default_configENS1_29reduce_by_key_config_selectorItjN6thrust23THRUST_200600_302600_NS4plusIjEEEEZZNS1_33reduce_by_key_impl_wrapped_configILNS1_25lookback_scan_determinismE0ES3_S9_NS6_6detail15normal_iteratorINS6_10device_ptrItEEEENSD_INSE_IjEEEESG_SI_PmS8_NS6_8equal_toItEEEE10hipError_tPvRmT2_T3_mT4_T5_T6_T7_T8_P12ihipStream_tbENKUlT_T0_E_clISt17integral_constantIbLb1EES12_IbLb0EEEEDaSY_SZ_EUlSY_E_NS1_11comp_targetILNS1_3genE5ELNS1_11target_archE942ELNS1_3gpuE9ELNS1_3repE0EEENS1_30default_config_static_selectorELNS0_4arch9wavefront6targetE0EEEvT1_
                                        ; -- End function
	.section	.AMDGPU.csdata,"",@progbits
; Kernel info:
; codeLenInByte = 0
; NumSgprs: 0
; NumVgprs: 0
; ScratchSize: 0
; MemoryBound: 0
; FloatMode: 240
; IeeeMode: 1
; LDSByteSize: 0 bytes/workgroup (compile time only)
; SGPRBlocks: 0
; VGPRBlocks: 0
; NumSGPRsForWavesPerEU: 1
; NumVGPRsForWavesPerEU: 1
; Occupancy: 16
; WaveLimiterHint : 0
; COMPUTE_PGM_RSRC2:SCRATCH_EN: 0
; COMPUTE_PGM_RSRC2:USER_SGPR: 15
; COMPUTE_PGM_RSRC2:TRAP_HANDLER: 0
; COMPUTE_PGM_RSRC2:TGID_X_EN: 1
; COMPUTE_PGM_RSRC2:TGID_Y_EN: 0
; COMPUTE_PGM_RSRC2:TGID_Z_EN: 0
; COMPUTE_PGM_RSRC2:TIDIG_COMP_CNT: 0
	.section	.text._ZN7rocprim17ROCPRIM_400000_NS6detail17trampoline_kernelINS0_14default_configENS1_29reduce_by_key_config_selectorItjN6thrust23THRUST_200600_302600_NS4plusIjEEEEZZNS1_33reduce_by_key_impl_wrapped_configILNS1_25lookback_scan_determinismE0ES3_S9_NS6_6detail15normal_iteratorINS6_10device_ptrItEEEENSD_INSE_IjEEEESG_SI_PmS8_NS6_8equal_toItEEEE10hipError_tPvRmT2_T3_mT4_T5_T6_T7_T8_P12ihipStream_tbENKUlT_T0_E_clISt17integral_constantIbLb1EES12_IbLb0EEEEDaSY_SZ_EUlSY_E_NS1_11comp_targetILNS1_3genE4ELNS1_11target_archE910ELNS1_3gpuE8ELNS1_3repE0EEENS1_30default_config_static_selectorELNS0_4arch9wavefront6targetE0EEEvT1_,"axG",@progbits,_ZN7rocprim17ROCPRIM_400000_NS6detail17trampoline_kernelINS0_14default_configENS1_29reduce_by_key_config_selectorItjN6thrust23THRUST_200600_302600_NS4plusIjEEEEZZNS1_33reduce_by_key_impl_wrapped_configILNS1_25lookback_scan_determinismE0ES3_S9_NS6_6detail15normal_iteratorINS6_10device_ptrItEEEENSD_INSE_IjEEEESG_SI_PmS8_NS6_8equal_toItEEEE10hipError_tPvRmT2_T3_mT4_T5_T6_T7_T8_P12ihipStream_tbENKUlT_T0_E_clISt17integral_constantIbLb1EES12_IbLb0EEEEDaSY_SZ_EUlSY_E_NS1_11comp_targetILNS1_3genE4ELNS1_11target_archE910ELNS1_3gpuE8ELNS1_3repE0EEENS1_30default_config_static_selectorELNS0_4arch9wavefront6targetE0EEEvT1_,comdat
	.protected	_ZN7rocprim17ROCPRIM_400000_NS6detail17trampoline_kernelINS0_14default_configENS1_29reduce_by_key_config_selectorItjN6thrust23THRUST_200600_302600_NS4plusIjEEEEZZNS1_33reduce_by_key_impl_wrapped_configILNS1_25lookback_scan_determinismE0ES3_S9_NS6_6detail15normal_iteratorINS6_10device_ptrItEEEENSD_INSE_IjEEEESG_SI_PmS8_NS6_8equal_toItEEEE10hipError_tPvRmT2_T3_mT4_T5_T6_T7_T8_P12ihipStream_tbENKUlT_T0_E_clISt17integral_constantIbLb1EES12_IbLb0EEEEDaSY_SZ_EUlSY_E_NS1_11comp_targetILNS1_3genE4ELNS1_11target_archE910ELNS1_3gpuE8ELNS1_3repE0EEENS1_30default_config_static_selectorELNS0_4arch9wavefront6targetE0EEEvT1_ ; -- Begin function _ZN7rocprim17ROCPRIM_400000_NS6detail17trampoline_kernelINS0_14default_configENS1_29reduce_by_key_config_selectorItjN6thrust23THRUST_200600_302600_NS4plusIjEEEEZZNS1_33reduce_by_key_impl_wrapped_configILNS1_25lookback_scan_determinismE0ES3_S9_NS6_6detail15normal_iteratorINS6_10device_ptrItEEEENSD_INSE_IjEEEESG_SI_PmS8_NS6_8equal_toItEEEE10hipError_tPvRmT2_T3_mT4_T5_T6_T7_T8_P12ihipStream_tbENKUlT_T0_E_clISt17integral_constantIbLb1EES12_IbLb0EEEEDaSY_SZ_EUlSY_E_NS1_11comp_targetILNS1_3genE4ELNS1_11target_archE910ELNS1_3gpuE8ELNS1_3repE0EEENS1_30default_config_static_selectorELNS0_4arch9wavefront6targetE0EEEvT1_
	.globl	_ZN7rocprim17ROCPRIM_400000_NS6detail17trampoline_kernelINS0_14default_configENS1_29reduce_by_key_config_selectorItjN6thrust23THRUST_200600_302600_NS4plusIjEEEEZZNS1_33reduce_by_key_impl_wrapped_configILNS1_25lookback_scan_determinismE0ES3_S9_NS6_6detail15normal_iteratorINS6_10device_ptrItEEEENSD_INSE_IjEEEESG_SI_PmS8_NS6_8equal_toItEEEE10hipError_tPvRmT2_T3_mT4_T5_T6_T7_T8_P12ihipStream_tbENKUlT_T0_E_clISt17integral_constantIbLb1EES12_IbLb0EEEEDaSY_SZ_EUlSY_E_NS1_11comp_targetILNS1_3genE4ELNS1_11target_archE910ELNS1_3gpuE8ELNS1_3repE0EEENS1_30default_config_static_selectorELNS0_4arch9wavefront6targetE0EEEvT1_
	.p2align	8
	.type	_ZN7rocprim17ROCPRIM_400000_NS6detail17trampoline_kernelINS0_14default_configENS1_29reduce_by_key_config_selectorItjN6thrust23THRUST_200600_302600_NS4plusIjEEEEZZNS1_33reduce_by_key_impl_wrapped_configILNS1_25lookback_scan_determinismE0ES3_S9_NS6_6detail15normal_iteratorINS6_10device_ptrItEEEENSD_INSE_IjEEEESG_SI_PmS8_NS6_8equal_toItEEEE10hipError_tPvRmT2_T3_mT4_T5_T6_T7_T8_P12ihipStream_tbENKUlT_T0_E_clISt17integral_constantIbLb1EES12_IbLb0EEEEDaSY_SZ_EUlSY_E_NS1_11comp_targetILNS1_3genE4ELNS1_11target_archE910ELNS1_3gpuE8ELNS1_3repE0EEENS1_30default_config_static_selectorELNS0_4arch9wavefront6targetE0EEEvT1_,@function
_ZN7rocprim17ROCPRIM_400000_NS6detail17trampoline_kernelINS0_14default_configENS1_29reduce_by_key_config_selectorItjN6thrust23THRUST_200600_302600_NS4plusIjEEEEZZNS1_33reduce_by_key_impl_wrapped_configILNS1_25lookback_scan_determinismE0ES3_S9_NS6_6detail15normal_iteratorINS6_10device_ptrItEEEENSD_INSE_IjEEEESG_SI_PmS8_NS6_8equal_toItEEEE10hipError_tPvRmT2_T3_mT4_T5_T6_T7_T8_P12ihipStream_tbENKUlT_T0_E_clISt17integral_constantIbLb1EES12_IbLb0EEEEDaSY_SZ_EUlSY_E_NS1_11comp_targetILNS1_3genE4ELNS1_11target_archE910ELNS1_3gpuE8ELNS1_3repE0EEENS1_30default_config_static_selectorELNS0_4arch9wavefront6targetE0EEEvT1_: ; @_ZN7rocprim17ROCPRIM_400000_NS6detail17trampoline_kernelINS0_14default_configENS1_29reduce_by_key_config_selectorItjN6thrust23THRUST_200600_302600_NS4plusIjEEEEZZNS1_33reduce_by_key_impl_wrapped_configILNS1_25lookback_scan_determinismE0ES3_S9_NS6_6detail15normal_iteratorINS6_10device_ptrItEEEENSD_INSE_IjEEEESG_SI_PmS8_NS6_8equal_toItEEEE10hipError_tPvRmT2_T3_mT4_T5_T6_T7_T8_P12ihipStream_tbENKUlT_T0_E_clISt17integral_constantIbLb1EES12_IbLb0EEEEDaSY_SZ_EUlSY_E_NS1_11comp_targetILNS1_3genE4ELNS1_11target_archE910ELNS1_3gpuE8ELNS1_3repE0EEENS1_30default_config_static_selectorELNS0_4arch9wavefront6targetE0EEEvT1_
; %bb.0:
	.section	.rodata,"a",@progbits
	.p2align	6, 0x0
	.amdhsa_kernel _ZN7rocprim17ROCPRIM_400000_NS6detail17trampoline_kernelINS0_14default_configENS1_29reduce_by_key_config_selectorItjN6thrust23THRUST_200600_302600_NS4plusIjEEEEZZNS1_33reduce_by_key_impl_wrapped_configILNS1_25lookback_scan_determinismE0ES3_S9_NS6_6detail15normal_iteratorINS6_10device_ptrItEEEENSD_INSE_IjEEEESG_SI_PmS8_NS6_8equal_toItEEEE10hipError_tPvRmT2_T3_mT4_T5_T6_T7_T8_P12ihipStream_tbENKUlT_T0_E_clISt17integral_constantIbLb1EES12_IbLb0EEEEDaSY_SZ_EUlSY_E_NS1_11comp_targetILNS1_3genE4ELNS1_11target_archE910ELNS1_3gpuE8ELNS1_3repE0EEENS1_30default_config_static_selectorELNS0_4arch9wavefront6targetE0EEEvT1_
		.amdhsa_group_segment_fixed_size 0
		.amdhsa_private_segment_fixed_size 0
		.amdhsa_kernarg_size 120
		.amdhsa_user_sgpr_count 15
		.amdhsa_user_sgpr_dispatch_ptr 0
		.amdhsa_user_sgpr_queue_ptr 0
		.amdhsa_user_sgpr_kernarg_segment_ptr 1
		.amdhsa_user_sgpr_dispatch_id 0
		.amdhsa_user_sgpr_private_segment_size 0
		.amdhsa_wavefront_size32 1
		.amdhsa_uses_dynamic_stack 0
		.amdhsa_enable_private_segment 0
		.amdhsa_system_sgpr_workgroup_id_x 1
		.amdhsa_system_sgpr_workgroup_id_y 0
		.amdhsa_system_sgpr_workgroup_id_z 0
		.amdhsa_system_sgpr_workgroup_info 0
		.amdhsa_system_vgpr_workitem_id 0
		.amdhsa_next_free_vgpr 1
		.amdhsa_next_free_sgpr 1
		.amdhsa_reserve_vcc 0
		.amdhsa_float_round_mode_32 0
		.amdhsa_float_round_mode_16_64 0
		.amdhsa_float_denorm_mode_32 3
		.amdhsa_float_denorm_mode_16_64 3
		.amdhsa_dx10_clamp 1
		.amdhsa_ieee_mode 1
		.amdhsa_fp16_overflow 0
		.amdhsa_workgroup_processor_mode 1
		.amdhsa_memory_ordered 1
		.amdhsa_forward_progress 0
		.amdhsa_shared_vgpr_count 0
		.amdhsa_exception_fp_ieee_invalid_op 0
		.amdhsa_exception_fp_denorm_src 0
		.amdhsa_exception_fp_ieee_div_zero 0
		.amdhsa_exception_fp_ieee_overflow 0
		.amdhsa_exception_fp_ieee_underflow 0
		.amdhsa_exception_fp_ieee_inexact 0
		.amdhsa_exception_int_div_zero 0
	.end_amdhsa_kernel
	.section	.text._ZN7rocprim17ROCPRIM_400000_NS6detail17trampoline_kernelINS0_14default_configENS1_29reduce_by_key_config_selectorItjN6thrust23THRUST_200600_302600_NS4plusIjEEEEZZNS1_33reduce_by_key_impl_wrapped_configILNS1_25lookback_scan_determinismE0ES3_S9_NS6_6detail15normal_iteratorINS6_10device_ptrItEEEENSD_INSE_IjEEEESG_SI_PmS8_NS6_8equal_toItEEEE10hipError_tPvRmT2_T3_mT4_T5_T6_T7_T8_P12ihipStream_tbENKUlT_T0_E_clISt17integral_constantIbLb1EES12_IbLb0EEEEDaSY_SZ_EUlSY_E_NS1_11comp_targetILNS1_3genE4ELNS1_11target_archE910ELNS1_3gpuE8ELNS1_3repE0EEENS1_30default_config_static_selectorELNS0_4arch9wavefront6targetE0EEEvT1_,"axG",@progbits,_ZN7rocprim17ROCPRIM_400000_NS6detail17trampoline_kernelINS0_14default_configENS1_29reduce_by_key_config_selectorItjN6thrust23THRUST_200600_302600_NS4plusIjEEEEZZNS1_33reduce_by_key_impl_wrapped_configILNS1_25lookback_scan_determinismE0ES3_S9_NS6_6detail15normal_iteratorINS6_10device_ptrItEEEENSD_INSE_IjEEEESG_SI_PmS8_NS6_8equal_toItEEEE10hipError_tPvRmT2_T3_mT4_T5_T6_T7_T8_P12ihipStream_tbENKUlT_T0_E_clISt17integral_constantIbLb1EES12_IbLb0EEEEDaSY_SZ_EUlSY_E_NS1_11comp_targetILNS1_3genE4ELNS1_11target_archE910ELNS1_3gpuE8ELNS1_3repE0EEENS1_30default_config_static_selectorELNS0_4arch9wavefront6targetE0EEEvT1_,comdat
.Lfunc_end753:
	.size	_ZN7rocprim17ROCPRIM_400000_NS6detail17trampoline_kernelINS0_14default_configENS1_29reduce_by_key_config_selectorItjN6thrust23THRUST_200600_302600_NS4plusIjEEEEZZNS1_33reduce_by_key_impl_wrapped_configILNS1_25lookback_scan_determinismE0ES3_S9_NS6_6detail15normal_iteratorINS6_10device_ptrItEEEENSD_INSE_IjEEEESG_SI_PmS8_NS6_8equal_toItEEEE10hipError_tPvRmT2_T3_mT4_T5_T6_T7_T8_P12ihipStream_tbENKUlT_T0_E_clISt17integral_constantIbLb1EES12_IbLb0EEEEDaSY_SZ_EUlSY_E_NS1_11comp_targetILNS1_3genE4ELNS1_11target_archE910ELNS1_3gpuE8ELNS1_3repE0EEENS1_30default_config_static_selectorELNS0_4arch9wavefront6targetE0EEEvT1_, .Lfunc_end753-_ZN7rocprim17ROCPRIM_400000_NS6detail17trampoline_kernelINS0_14default_configENS1_29reduce_by_key_config_selectorItjN6thrust23THRUST_200600_302600_NS4plusIjEEEEZZNS1_33reduce_by_key_impl_wrapped_configILNS1_25lookback_scan_determinismE0ES3_S9_NS6_6detail15normal_iteratorINS6_10device_ptrItEEEENSD_INSE_IjEEEESG_SI_PmS8_NS6_8equal_toItEEEE10hipError_tPvRmT2_T3_mT4_T5_T6_T7_T8_P12ihipStream_tbENKUlT_T0_E_clISt17integral_constantIbLb1EES12_IbLb0EEEEDaSY_SZ_EUlSY_E_NS1_11comp_targetILNS1_3genE4ELNS1_11target_archE910ELNS1_3gpuE8ELNS1_3repE0EEENS1_30default_config_static_selectorELNS0_4arch9wavefront6targetE0EEEvT1_
                                        ; -- End function
	.section	.AMDGPU.csdata,"",@progbits
; Kernel info:
; codeLenInByte = 0
; NumSgprs: 0
; NumVgprs: 0
; ScratchSize: 0
; MemoryBound: 0
; FloatMode: 240
; IeeeMode: 1
; LDSByteSize: 0 bytes/workgroup (compile time only)
; SGPRBlocks: 0
; VGPRBlocks: 0
; NumSGPRsForWavesPerEU: 1
; NumVGPRsForWavesPerEU: 1
; Occupancy: 16
; WaveLimiterHint : 0
; COMPUTE_PGM_RSRC2:SCRATCH_EN: 0
; COMPUTE_PGM_RSRC2:USER_SGPR: 15
; COMPUTE_PGM_RSRC2:TRAP_HANDLER: 0
; COMPUTE_PGM_RSRC2:TGID_X_EN: 1
; COMPUTE_PGM_RSRC2:TGID_Y_EN: 0
; COMPUTE_PGM_RSRC2:TGID_Z_EN: 0
; COMPUTE_PGM_RSRC2:TIDIG_COMP_CNT: 0
	.section	.text._ZN7rocprim17ROCPRIM_400000_NS6detail17trampoline_kernelINS0_14default_configENS1_29reduce_by_key_config_selectorItjN6thrust23THRUST_200600_302600_NS4plusIjEEEEZZNS1_33reduce_by_key_impl_wrapped_configILNS1_25lookback_scan_determinismE0ES3_S9_NS6_6detail15normal_iteratorINS6_10device_ptrItEEEENSD_INSE_IjEEEESG_SI_PmS8_NS6_8equal_toItEEEE10hipError_tPvRmT2_T3_mT4_T5_T6_T7_T8_P12ihipStream_tbENKUlT_T0_E_clISt17integral_constantIbLb1EES12_IbLb0EEEEDaSY_SZ_EUlSY_E_NS1_11comp_targetILNS1_3genE3ELNS1_11target_archE908ELNS1_3gpuE7ELNS1_3repE0EEENS1_30default_config_static_selectorELNS0_4arch9wavefront6targetE0EEEvT1_,"axG",@progbits,_ZN7rocprim17ROCPRIM_400000_NS6detail17trampoline_kernelINS0_14default_configENS1_29reduce_by_key_config_selectorItjN6thrust23THRUST_200600_302600_NS4plusIjEEEEZZNS1_33reduce_by_key_impl_wrapped_configILNS1_25lookback_scan_determinismE0ES3_S9_NS6_6detail15normal_iteratorINS6_10device_ptrItEEEENSD_INSE_IjEEEESG_SI_PmS8_NS6_8equal_toItEEEE10hipError_tPvRmT2_T3_mT4_T5_T6_T7_T8_P12ihipStream_tbENKUlT_T0_E_clISt17integral_constantIbLb1EES12_IbLb0EEEEDaSY_SZ_EUlSY_E_NS1_11comp_targetILNS1_3genE3ELNS1_11target_archE908ELNS1_3gpuE7ELNS1_3repE0EEENS1_30default_config_static_selectorELNS0_4arch9wavefront6targetE0EEEvT1_,comdat
	.protected	_ZN7rocprim17ROCPRIM_400000_NS6detail17trampoline_kernelINS0_14default_configENS1_29reduce_by_key_config_selectorItjN6thrust23THRUST_200600_302600_NS4plusIjEEEEZZNS1_33reduce_by_key_impl_wrapped_configILNS1_25lookback_scan_determinismE0ES3_S9_NS6_6detail15normal_iteratorINS6_10device_ptrItEEEENSD_INSE_IjEEEESG_SI_PmS8_NS6_8equal_toItEEEE10hipError_tPvRmT2_T3_mT4_T5_T6_T7_T8_P12ihipStream_tbENKUlT_T0_E_clISt17integral_constantIbLb1EES12_IbLb0EEEEDaSY_SZ_EUlSY_E_NS1_11comp_targetILNS1_3genE3ELNS1_11target_archE908ELNS1_3gpuE7ELNS1_3repE0EEENS1_30default_config_static_selectorELNS0_4arch9wavefront6targetE0EEEvT1_ ; -- Begin function _ZN7rocprim17ROCPRIM_400000_NS6detail17trampoline_kernelINS0_14default_configENS1_29reduce_by_key_config_selectorItjN6thrust23THRUST_200600_302600_NS4plusIjEEEEZZNS1_33reduce_by_key_impl_wrapped_configILNS1_25lookback_scan_determinismE0ES3_S9_NS6_6detail15normal_iteratorINS6_10device_ptrItEEEENSD_INSE_IjEEEESG_SI_PmS8_NS6_8equal_toItEEEE10hipError_tPvRmT2_T3_mT4_T5_T6_T7_T8_P12ihipStream_tbENKUlT_T0_E_clISt17integral_constantIbLb1EES12_IbLb0EEEEDaSY_SZ_EUlSY_E_NS1_11comp_targetILNS1_3genE3ELNS1_11target_archE908ELNS1_3gpuE7ELNS1_3repE0EEENS1_30default_config_static_selectorELNS0_4arch9wavefront6targetE0EEEvT1_
	.globl	_ZN7rocprim17ROCPRIM_400000_NS6detail17trampoline_kernelINS0_14default_configENS1_29reduce_by_key_config_selectorItjN6thrust23THRUST_200600_302600_NS4plusIjEEEEZZNS1_33reduce_by_key_impl_wrapped_configILNS1_25lookback_scan_determinismE0ES3_S9_NS6_6detail15normal_iteratorINS6_10device_ptrItEEEENSD_INSE_IjEEEESG_SI_PmS8_NS6_8equal_toItEEEE10hipError_tPvRmT2_T3_mT4_T5_T6_T7_T8_P12ihipStream_tbENKUlT_T0_E_clISt17integral_constantIbLb1EES12_IbLb0EEEEDaSY_SZ_EUlSY_E_NS1_11comp_targetILNS1_3genE3ELNS1_11target_archE908ELNS1_3gpuE7ELNS1_3repE0EEENS1_30default_config_static_selectorELNS0_4arch9wavefront6targetE0EEEvT1_
	.p2align	8
	.type	_ZN7rocprim17ROCPRIM_400000_NS6detail17trampoline_kernelINS0_14default_configENS1_29reduce_by_key_config_selectorItjN6thrust23THRUST_200600_302600_NS4plusIjEEEEZZNS1_33reduce_by_key_impl_wrapped_configILNS1_25lookback_scan_determinismE0ES3_S9_NS6_6detail15normal_iteratorINS6_10device_ptrItEEEENSD_INSE_IjEEEESG_SI_PmS8_NS6_8equal_toItEEEE10hipError_tPvRmT2_T3_mT4_T5_T6_T7_T8_P12ihipStream_tbENKUlT_T0_E_clISt17integral_constantIbLb1EES12_IbLb0EEEEDaSY_SZ_EUlSY_E_NS1_11comp_targetILNS1_3genE3ELNS1_11target_archE908ELNS1_3gpuE7ELNS1_3repE0EEENS1_30default_config_static_selectorELNS0_4arch9wavefront6targetE0EEEvT1_,@function
_ZN7rocprim17ROCPRIM_400000_NS6detail17trampoline_kernelINS0_14default_configENS1_29reduce_by_key_config_selectorItjN6thrust23THRUST_200600_302600_NS4plusIjEEEEZZNS1_33reduce_by_key_impl_wrapped_configILNS1_25lookback_scan_determinismE0ES3_S9_NS6_6detail15normal_iteratorINS6_10device_ptrItEEEENSD_INSE_IjEEEESG_SI_PmS8_NS6_8equal_toItEEEE10hipError_tPvRmT2_T3_mT4_T5_T6_T7_T8_P12ihipStream_tbENKUlT_T0_E_clISt17integral_constantIbLb1EES12_IbLb0EEEEDaSY_SZ_EUlSY_E_NS1_11comp_targetILNS1_3genE3ELNS1_11target_archE908ELNS1_3gpuE7ELNS1_3repE0EEENS1_30default_config_static_selectorELNS0_4arch9wavefront6targetE0EEEvT1_: ; @_ZN7rocprim17ROCPRIM_400000_NS6detail17trampoline_kernelINS0_14default_configENS1_29reduce_by_key_config_selectorItjN6thrust23THRUST_200600_302600_NS4plusIjEEEEZZNS1_33reduce_by_key_impl_wrapped_configILNS1_25lookback_scan_determinismE0ES3_S9_NS6_6detail15normal_iteratorINS6_10device_ptrItEEEENSD_INSE_IjEEEESG_SI_PmS8_NS6_8equal_toItEEEE10hipError_tPvRmT2_T3_mT4_T5_T6_T7_T8_P12ihipStream_tbENKUlT_T0_E_clISt17integral_constantIbLb1EES12_IbLb0EEEEDaSY_SZ_EUlSY_E_NS1_11comp_targetILNS1_3genE3ELNS1_11target_archE908ELNS1_3gpuE7ELNS1_3repE0EEENS1_30default_config_static_selectorELNS0_4arch9wavefront6targetE0EEEvT1_
; %bb.0:
	.section	.rodata,"a",@progbits
	.p2align	6, 0x0
	.amdhsa_kernel _ZN7rocprim17ROCPRIM_400000_NS6detail17trampoline_kernelINS0_14default_configENS1_29reduce_by_key_config_selectorItjN6thrust23THRUST_200600_302600_NS4plusIjEEEEZZNS1_33reduce_by_key_impl_wrapped_configILNS1_25lookback_scan_determinismE0ES3_S9_NS6_6detail15normal_iteratorINS6_10device_ptrItEEEENSD_INSE_IjEEEESG_SI_PmS8_NS6_8equal_toItEEEE10hipError_tPvRmT2_T3_mT4_T5_T6_T7_T8_P12ihipStream_tbENKUlT_T0_E_clISt17integral_constantIbLb1EES12_IbLb0EEEEDaSY_SZ_EUlSY_E_NS1_11comp_targetILNS1_3genE3ELNS1_11target_archE908ELNS1_3gpuE7ELNS1_3repE0EEENS1_30default_config_static_selectorELNS0_4arch9wavefront6targetE0EEEvT1_
		.amdhsa_group_segment_fixed_size 0
		.amdhsa_private_segment_fixed_size 0
		.amdhsa_kernarg_size 120
		.amdhsa_user_sgpr_count 15
		.amdhsa_user_sgpr_dispatch_ptr 0
		.amdhsa_user_sgpr_queue_ptr 0
		.amdhsa_user_sgpr_kernarg_segment_ptr 1
		.amdhsa_user_sgpr_dispatch_id 0
		.amdhsa_user_sgpr_private_segment_size 0
		.amdhsa_wavefront_size32 1
		.amdhsa_uses_dynamic_stack 0
		.amdhsa_enable_private_segment 0
		.amdhsa_system_sgpr_workgroup_id_x 1
		.amdhsa_system_sgpr_workgroup_id_y 0
		.amdhsa_system_sgpr_workgroup_id_z 0
		.amdhsa_system_sgpr_workgroup_info 0
		.amdhsa_system_vgpr_workitem_id 0
		.amdhsa_next_free_vgpr 1
		.amdhsa_next_free_sgpr 1
		.amdhsa_reserve_vcc 0
		.amdhsa_float_round_mode_32 0
		.amdhsa_float_round_mode_16_64 0
		.amdhsa_float_denorm_mode_32 3
		.amdhsa_float_denorm_mode_16_64 3
		.amdhsa_dx10_clamp 1
		.amdhsa_ieee_mode 1
		.amdhsa_fp16_overflow 0
		.amdhsa_workgroup_processor_mode 1
		.amdhsa_memory_ordered 1
		.amdhsa_forward_progress 0
		.amdhsa_shared_vgpr_count 0
		.amdhsa_exception_fp_ieee_invalid_op 0
		.amdhsa_exception_fp_denorm_src 0
		.amdhsa_exception_fp_ieee_div_zero 0
		.amdhsa_exception_fp_ieee_overflow 0
		.amdhsa_exception_fp_ieee_underflow 0
		.amdhsa_exception_fp_ieee_inexact 0
		.amdhsa_exception_int_div_zero 0
	.end_amdhsa_kernel
	.section	.text._ZN7rocprim17ROCPRIM_400000_NS6detail17trampoline_kernelINS0_14default_configENS1_29reduce_by_key_config_selectorItjN6thrust23THRUST_200600_302600_NS4plusIjEEEEZZNS1_33reduce_by_key_impl_wrapped_configILNS1_25lookback_scan_determinismE0ES3_S9_NS6_6detail15normal_iteratorINS6_10device_ptrItEEEENSD_INSE_IjEEEESG_SI_PmS8_NS6_8equal_toItEEEE10hipError_tPvRmT2_T3_mT4_T5_T6_T7_T8_P12ihipStream_tbENKUlT_T0_E_clISt17integral_constantIbLb1EES12_IbLb0EEEEDaSY_SZ_EUlSY_E_NS1_11comp_targetILNS1_3genE3ELNS1_11target_archE908ELNS1_3gpuE7ELNS1_3repE0EEENS1_30default_config_static_selectorELNS0_4arch9wavefront6targetE0EEEvT1_,"axG",@progbits,_ZN7rocprim17ROCPRIM_400000_NS6detail17trampoline_kernelINS0_14default_configENS1_29reduce_by_key_config_selectorItjN6thrust23THRUST_200600_302600_NS4plusIjEEEEZZNS1_33reduce_by_key_impl_wrapped_configILNS1_25lookback_scan_determinismE0ES3_S9_NS6_6detail15normal_iteratorINS6_10device_ptrItEEEENSD_INSE_IjEEEESG_SI_PmS8_NS6_8equal_toItEEEE10hipError_tPvRmT2_T3_mT4_T5_T6_T7_T8_P12ihipStream_tbENKUlT_T0_E_clISt17integral_constantIbLb1EES12_IbLb0EEEEDaSY_SZ_EUlSY_E_NS1_11comp_targetILNS1_3genE3ELNS1_11target_archE908ELNS1_3gpuE7ELNS1_3repE0EEENS1_30default_config_static_selectorELNS0_4arch9wavefront6targetE0EEEvT1_,comdat
.Lfunc_end754:
	.size	_ZN7rocprim17ROCPRIM_400000_NS6detail17trampoline_kernelINS0_14default_configENS1_29reduce_by_key_config_selectorItjN6thrust23THRUST_200600_302600_NS4plusIjEEEEZZNS1_33reduce_by_key_impl_wrapped_configILNS1_25lookback_scan_determinismE0ES3_S9_NS6_6detail15normal_iteratorINS6_10device_ptrItEEEENSD_INSE_IjEEEESG_SI_PmS8_NS6_8equal_toItEEEE10hipError_tPvRmT2_T3_mT4_T5_T6_T7_T8_P12ihipStream_tbENKUlT_T0_E_clISt17integral_constantIbLb1EES12_IbLb0EEEEDaSY_SZ_EUlSY_E_NS1_11comp_targetILNS1_3genE3ELNS1_11target_archE908ELNS1_3gpuE7ELNS1_3repE0EEENS1_30default_config_static_selectorELNS0_4arch9wavefront6targetE0EEEvT1_, .Lfunc_end754-_ZN7rocprim17ROCPRIM_400000_NS6detail17trampoline_kernelINS0_14default_configENS1_29reduce_by_key_config_selectorItjN6thrust23THRUST_200600_302600_NS4plusIjEEEEZZNS1_33reduce_by_key_impl_wrapped_configILNS1_25lookback_scan_determinismE0ES3_S9_NS6_6detail15normal_iteratorINS6_10device_ptrItEEEENSD_INSE_IjEEEESG_SI_PmS8_NS6_8equal_toItEEEE10hipError_tPvRmT2_T3_mT4_T5_T6_T7_T8_P12ihipStream_tbENKUlT_T0_E_clISt17integral_constantIbLb1EES12_IbLb0EEEEDaSY_SZ_EUlSY_E_NS1_11comp_targetILNS1_3genE3ELNS1_11target_archE908ELNS1_3gpuE7ELNS1_3repE0EEENS1_30default_config_static_selectorELNS0_4arch9wavefront6targetE0EEEvT1_
                                        ; -- End function
	.section	.AMDGPU.csdata,"",@progbits
; Kernel info:
; codeLenInByte = 0
; NumSgprs: 0
; NumVgprs: 0
; ScratchSize: 0
; MemoryBound: 0
; FloatMode: 240
; IeeeMode: 1
; LDSByteSize: 0 bytes/workgroup (compile time only)
; SGPRBlocks: 0
; VGPRBlocks: 0
; NumSGPRsForWavesPerEU: 1
; NumVGPRsForWavesPerEU: 1
; Occupancy: 16
; WaveLimiterHint : 0
; COMPUTE_PGM_RSRC2:SCRATCH_EN: 0
; COMPUTE_PGM_RSRC2:USER_SGPR: 15
; COMPUTE_PGM_RSRC2:TRAP_HANDLER: 0
; COMPUTE_PGM_RSRC2:TGID_X_EN: 1
; COMPUTE_PGM_RSRC2:TGID_Y_EN: 0
; COMPUTE_PGM_RSRC2:TGID_Z_EN: 0
; COMPUTE_PGM_RSRC2:TIDIG_COMP_CNT: 0
	.section	.text._ZN7rocprim17ROCPRIM_400000_NS6detail17trampoline_kernelINS0_14default_configENS1_29reduce_by_key_config_selectorItjN6thrust23THRUST_200600_302600_NS4plusIjEEEEZZNS1_33reduce_by_key_impl_wrapped_configILNS1_25lookback_scan_determinismE0ES3_S9_NS6_6detail15normal_iteratorINS6_10device_ptrItEEEENSD_INSE_IjEEEESG_SI_PmS8_NS6_8equal_toItEEEE10hipError_tPvRmT2_T3_mT4_T5_T6_T7_T8_P12ihipStream_tbENKUlT_T0_E_clISt17integral_constantIbLb1EES12_IbLb0EEEEDaSY_SZ_EUlSY_E_NS1_11comp_targetILNS1_3genE2ELNS1_11target_archE906ELNS1_3gpuE6ELNS1_3repE0EEENS1_30default_config_static_selectorELNS0_4arch9wavefront6targetE0EEEvT1_,"axG",@progbits,_ZN7rocprim17ROCPRIM_400000_NS6detail17trampoline_kernelINS0_14default_configENS1_29reduce_by_key_config_selectorItjN6thrust23THRUST_200600_302600_NS4plusIjEEEEZZNS1_33reduce_by_key_impl_wrapped_configILNS1_25lookback_scan_determinismE0ES3_S9_NS6_6detail15normal_iteratorINS6_10device_ptrItEEEENSD_INSE_IjEEEESG_SI_PmS8_NS6_8equal_toItEEEE10hipError_tPvRmT2_T3_mT4_T5_T6_T7_T8_P12ihipStream_tbENKUlT_T0_E_clISt17integral_constantIbLb1EES12_IbLb0EEEEDaSY_SZ_EUlSY_E_NS1_11comp_targetILNS1_3genE2ELNS1_11target_archE906ELNS1_3gpuE6ELNS1_3repE0EEENS1_30default_config_static_selectorELNS0_4arch9wavefront6targetE0EEEvT1_,comdat
	.protected	_ZN7rocprim17ROCPRIM_400000_NS6detail17trampoline_kernelINS0_14default_configENS1_29reduce_by_key_config_selectorItjN6thrust23THRUST_200600_302600_NS4plusIjEEEEZZNS1_33reduce_by_key_impl_wrapped_configILNS1_25lookback_scan_determinismE0ES3_S9_NS6_6detail15normal_iteratorINS6_10device_ptrItEEEENSD_INSE_IjEEEESG_SI_PmS8_NS6_8equal_toItEEEE10hipError_tPvRmT2_T3_mT4_T5_T6_T7_T8_P12ihipStream_tbENKUlT_T0_E_clISt17integral_constantIbLb1EES12_IbLb0EEEEDaSY_SZ_EUlSY_E_NS1_11comp_targetILNS1_3genE2ELNS1_11target_archE906ELNS1_3gpuE6ELNS1_3repE0EEENS1_30default_config_static_selectorELNS0_4arch9wavefront6targetE0EEEvT1_ ; -- Begin function _ZN7rocprim17ROCPRIM_400000_NS6detail17trampoline_kernelINS0_14default_configENS1_29reduce_by_key_config_selectorItjN6thrust23THRUST_200600_302600_NS4plusIjEEEEZZNS1_33reduce_by_key_impl_wrapped_configILNS1_25lookback_scan_determinismE0ES3_S9_NS6_6detail15normal_iteratorINS6_10device_ptrItEEEENSD_INSE_IjEEEESG_SI_PmS8_NS6_8equal_toItEEEE10hipError_tPvRmT2_T3_mT4_T5_T6_T7_T8_P12ihipStream_tbENKUlT_T0_E_clISt17integral_constantIbLb1EES12_IbLb0EEEEDaSY_SZ_EUlSY_E_NS1_11comp_targetILNS1_3genE2ELNS1_11target_archE906ELNS1_3gpuE6ELNS1_3repE0EEENS1_30default_config_static_selectorELNS0_4arch9wavefront6targetE0EEEvT1_
	.globl	_ZN7rocprim17ROCPRIM_400000_NS6detail17trampoline_kernelINS0_14default_configENS1_29reduce_by_key_config_selectorItjN6thrust23THRUST_200600_302600_NS4plusIjEEEEZZNS1_33reduce_by_key_impl_wrapped_configILNS1_25lookback_scan_determinismE0ES3_S9_NS6_6detail15normal_iteratorINS6_10device_ptrItEEEENSD_INSE_IjEEEESG_SI_PmS8_NS6_8equal_toItEEEE10hipError_tPvRmT2_T3_mT4_T5_T6_T7_T8_P12ihipStream_tbENKUlT_T0_E_clISt17integral_constantIbLb1EES12_IbLb0EEEEDaSY_SZ_EUlSY_E_NS1_11comp_targetILNS1_3genE2ELNS1_11target_archE906ELNS1_3gpuE6ELNS1_3repE0EEENS1_30default_config_static_selectorELNS0_4arch9wavefront6targetE0EEEvT1_
	.p2align	8
	.type	_ZN7rocprim17ROCPRIM_400000_NS6detail17trampoline_kernelINS0_14default_configENS1_29reduce_by_key_config_selectorItjN6thrust23THRUST_200600_302600_NS4plusIjEEEEZZNS1_33reduce_by_key_impl_wrapped_configILNS1_25lookback_scan_determinismE0ES3_S9_NS6_6detail15normal_iteratorINS6_10device_ptrItEEEENSD_INSE_IjEEEESG_SI_PmS8_NS6_8equal_toItEEEE10hipError_tPvRmT2_T3_mT4_T5_T6_T7_T8_P12ihipStream_tbENKUlT_T0_E_clISt17integral_constantIbLb1EES12_IbLb0EEEEDaSY_SZ_EUlSY_E_NS1_11comp_targetILNS1_3genE2ELNS1_11target_archE906ELNS1_3gpuE6ELNS1_3repE0EEENS1_30default_config_static_selectorELNS0_4arch9wavefront6targetE0EEEvT1_,@function
_ZN7rocprim17ROCPRIM_400000_NS6detail17trampoline_kernelINS0_14default_configENS1_29reduce_by_key_config_selectorItjN6thrust23THRUST_200600_302600_NS4plusIjEEEEZZNS1_33reduce_by_key_impl_wrapped_configILNS1_25lookback_scan_determinismE0ES3_S9_NS6_6detail15normal_iteratorINS6_10device_ptrItEEEENSD_INSE_IjEEEESG_SI_PmS8_NS6_8equal_toItEEEE10hipError_tPvRmT2_T3_mT4_T5_T6_T7_T8_P12ihipStream_tbENKUlT_T0_E_clISt17integral_constantIbLb1EES12_IbLb0EEEEDaSY_SZ_EUlSY_E_NS1_11comp_targetILNS1_3genE2ELNS1_11target_archE906ELNS1_3gpuE6ELNS1_3repE0EEENS1_30default_config_static_selectorELNS0_4arch9wavefront6targetE0EEEvT1_: ; @_ZN7rocprim17ROCPRIM_400000_NS6detail17trampoline_kernelINS0_14default_configENS1_29reduce_by_key_config_selectorItjN6thrust23THRUST_200600_302600_NS4plusIjEEEEZZNS1_33reduce_by_key_impl_wrapped_configILNS1_25lookback_scan_determinismE0ES3_S9_NS6_6detail15normal_iteratorINS6_10device_ptrItEEEENSD_INSE_IjEEEESG_SI_PmS8_NS6_8equal_toItEEEE10hipError_tPvRmT2_T3_mT4_T5_T6_T7_T8_P12ihipStream_tbENKUlT_T0_E_clISt17integral_constantIbLb1EES12_IbLb0EEEEDaSY_SZ_EUlSY_E_NS1_11comp_targetILNS1_3genE2ELNS1_11target_archE906ELNS1_3gpuE6ELNS1_3repE0EEENS1_30default_config_static_selectorELNS0_4arch9wavefront6targetE0EEEvT1_
; %bb.0:
	.section	.rodata,"a",@progbits
	.p2align	6, 0x0
	.amdhsa_kernel _ZN7rocprim17ROCPRIM_400000_NS6detail17trampoline_kernelINS0_14default_configENS1_29reduce_by_key_config_selectorItjN6thrust23THRUST_200600_302600_NS4plusIjEEEEZZNS1_33reduce_by_key_impl_wrapped_configILNS1_25lookback_scan_determinismE0ES3_S9_NS6_6detail15normal_iteratorINS6_10device_ptrItEEEENSD_INSE_IjEEEESG_SI_PmS8_NS6_8equal_toItEEEE10hipError_tPvRmT2_T3_mT4_T5_T6_T7_T8_P12ihipStream_tbENKUlT_T0_E_clISt17integral_constantIbLb1EES12_IbLb0EEEEDaSY_SZ_EUlSY_E_NS1_11comp_targetILNS1_3genE2ELNS1_11target_archE906ELNS1_3gpuE6ELNS1_3repE0EEENS1_30default_config_static_selectorELNS0_4arch9wavefront6targetE0EEEvT1_
		.amdhsa_group_segment_fixed_size 0
		.amdhsa_private_segment_fixed_size 0
		.amdhsa_kernarg_size 120
		.amdhsa_user_sgpr_count 15
		.amdhsa_user_sgpr_dispatch_ptr 0
		.amdhsa_user_sgpr_queue_ptr 0
		.amdhsa_user_sgpr_kernarg_segment_ptr 1
		.amdhsa_user_sgpr_dispatch_id 0
		.amdhsa_user_sgpr_private_segment_size 0
		.amdhsa_wavefront_size32 1
		.amdhsa_uses_dynamic_stack 0
		.amdhsa_enable_private_segment 0
		.amdhsa_system_sgpr_workgroup_id_x 1
		.amdhsa_system_sgpr_workgroup_id_y 0
		.amdhsa_system_sgpr_workgroup_id_z 0
		.amdhsa_system_sgpr_workgroup_info 0
		.amdhsa_system_vgpr_workitem_id 0
		.amdhsa_next_free_vgpr 1
		.amdhsa_next_free_sgpr 1
		.amdhsa_reserve_vcc 0
		.amdhsa_float_round_mode_32 0
		.amdhsa_float_round_mode_16_64 0
		.amdhsa_float_denorm_mode_32 3
		.amdhsa_float_denorm_mode_16_64 3
		.amdhsa_dx10_clamp 1
		.amdhsa_ieee_mode 1
		.amdhsa_fp16_overflow 0
		.amdhsa_workgroup_processor_mode 1
		.amdhsa_memory_ordered 1
		.amdhsa_forward_progress 0
		.amdhsa_shared_vgpr_count 0
		.amdhsa_exception_fp_ieee_invalid_op 0
		.amdhsa_exception_fp_denorm_src 0
		.amdhsa_exception_fp_ieee_div_zero 0
		.amdhsa_exception_fp_ieee_overflow 0
		.amdhsa_exception_fp_ieee_underflow 0
		.amdhsa_exception_fp_ieee_inexact 0
		.amdhsa_exception_int_div_zero 0
	.end_amdhsa_kernel
	.section	.text._ZN7rocprim17ROCPRIM_400000_NS6detail17trampoline_kernelINS0_14default_configENS1_29reduce_by_key_config_selectorItjN6thrust23THRUST_200600_302600_NS4plusIjEEEEZZNS1_33reduce_by_key_impl_wrapped_configILNS1_25lookback_scan_determinismE0ES3_S9_NS6_6detail15normal_iteratorINS6_10device_ptrItEEEENSD_INSE_IjEEEESG_SI_PmS8_NS6_8equal_toItEEEE10hipError_tPvRmT2_T3_mT4_T5_T6_T7_T8_P12ihipStream_tbENKUlT_T0_E_clISt17integral_constantIbLb1EES12_IbLb0EEEEDaSY_SZ_EUlSY_E_NS1_11comp_targetILNS1_3genE2ELNS1_11target_archE906ELNS1_3gpuE6ELNS1_3repE0EEENS1_30default_config_static_selectorELNS0_4arch9wavefront6targetE0EEEvT1_,"axG",@progbits,_ZN7rocprim17ROCPRIM_400000_NS6detail17trampoline_kernelINS0_14default_configENS1_29reduce_by_key_config_selectorItjN6thrust23THRUST_200600_302600_NS4plusIjEEEEZZNS1_33reduce_by_key_impl_wrapped_configILNS1_25lookback_scan_determinismE0ES3_S9_NS6_6detail15normal_iteratorINS6_10device_ptrItEEEENSD_INSE_IjEEEESG_SI_PmS8_NS6_8equal_toItEEEE10hipError_tPvRmT2_T3_mT4_T5_T6_T7_T8_P12ihipStream_tbENKUlT_T0_E_clISt17integral_constantIbLb1EES12_IbLb0EEEEDaSY_SZ_EUlSY_E_NS1_11comp_targetILNS1_3genE2ELNS1_11target_archE906ELNS1_3gpuE6ELNS1_3repE0EEENS1_30default_config_static_selectorELNS0_4arch9wavefront6targetE0EEEvT1_,comdat
.Lfunc_end755:
	.size	_ZN7rocprim17ROCPRIM_400000_NS6detail17trampoline_kernelINS0_14default_configENS1_29reduce_by_key_config_selectorItjN6thrust23THRUST_200600_302600_NS4plusIjEEEEZZNS1_33reduce_by_key_impl_wrapped_configILNS1_25lookback_scan_determinismE0ES3_S9_NS6_6detail15normal_iteratorINS6_10device_ptrItEEEENSD_INSE_IjEEEESG_SI_PmS8_NS6_8equal_toItEEEE10hipError_tPvRmT2_T3_mT4_T5_T6_T7_T8_P12ihipStream_tbENKUlT_T0_E_clISt17integral_constantIbLb1EES12_IbLb0EEEEDaSY_SZ_EUlSY_E_NS1_11comp_targetILNS1_3genE2ELNS1_11target_archE906ELNS1_3gpuE6ELNS1_3repE0EEENS1_30default_config_static_selectorELNS0_4arch9wavefront6targetE0EEEvT1_, .Lfunc_end755-_ZN7rocprim17ROCPRIM_400000_NS6detail17trampoline_kernelINS0_14default_configENS1_29reduce_by_key_config_selectorItjN6thrust23THRUST_200600_302600_NS4plusIjEEEEZZNS1_33reduce_by_key_impl_wrapped_configILNS1_25lookback_scan_determinismE0ES3_S9_NS6_6detail15normal_iteratorINS6_10device_ptrItEEEENSD_INSE_IjEEEESG_SI_PmS8_NS6_8equal_toItEEEE10hipError_tPvRmT2_T3_mT4_T5_T6_T7_T8_P12ihipStream_tbENKUlT_T0_E_clISt17integral_constantIbLb1EES12_IbLb0EEEEDaSY_SZ_EUlSY_E_NS1_11comp_targetILNS1_3genE2ELNS1_11target_archE906ELNS1_3gpuE6ELNS1_3repE0EEENS1_30default_config_static_selectorELNS0_4arch9wavefront6targetE0EEEvT1_
                                        ; -- End function
	.section	.AMDGPU.csdata,"",@progbits
; Kernel info:
; codeLenInByte = 0
; NumSgprs: 0
; NumVgprs: 0
; ScratchSize: 0
; MemoryBound: 0
; FloatMode: 240
; IeeeMode: 1
; LDSByteSize: 0 bytes/workgroup (compile time only)
; SGPRBlocks: 0
; VGPRBlocks: 0
; NumSGPRsForWavesPerEU: 1
; NumVGPRsForWavesPerEU: 1
; Occupancy: 16
; WaveLimiterHint : 0
; COMPUTE_PGM_RSRC2:SCRATCH_EN: 0
; COMPUTE_PGM_RSRC2:USER_SGPR: 15
; COMPUTE_PGM_RSRC2:TRAP_HANDLER: 0
; COMPUTE_PGM_RSRC2:TGID_X_EN: 1
; COMPUTE_PGM_RSRC2:TGID_Y_EN: 0
; COMPUTE_PGM_RSRC2:TGID_Z_EN: 0
; COMPUTE_PGM_RSRC2:TIDIG_COMP_CNT: 0
	.section	.text._ZN7rocprim17ROCPRIM_400000_NS6detail17trampoline_kernelINS0_14default_configENS1_29reduce_by_key_config_selectorItjN6thrust23THRUST_200600_302600_NS4plusIjEEEEZZNS1_33reduce_by_key_impl_wrapped_configILNS1_25lookback_scan_determinismE0ES3_S9_NS6_6detail15normal_iteratorINS6_10device_ptrItEEEENSD_INSE_IjEEEESG_SI_PmS8_NS6_8equal_toItEEEE10hipError_tPvRmT2_T3_mT4_T5_T6_T7_T8_P12ihipStream_tbENKUlT_T0_E_clISt17integral_constantIbLb1EES12_IbLb0EEEEDaSY_SZ_EUlSY_E_NS1_11comp_targetILNS1_3genE10ELNS1_11target_archE1201ELNS1_3gpuE5ELNS1_3repE0EEENS1_30default_config_static_selectorELNS0_4arch9wavefront6targetE0EEEvT1_,"axG",@progbits,_ZN7rocprim17ROCPRIM_400000_NS6detail17trampoline_kernelINS0_14default_configENS1_29reduce_by_key_config_selectorItjN6thrust23THRUST_200600_302600_NS4plusIjEEEEZZNS1_33reduce_by_key_impl_wrapped_configILNS1_25lookback_scan_determinismE0ES3_S9_NS6_6detail15normal_iteratorINS6_10device_ptrItEEEENSD_INSE_IjEEEESG_SI_PmS8_NS6_8equal_toItEEEE10hipError_tPvRmT2_T3_mT4_T5_T6_T7_T8_P12ihipStream_tbENKUlT_T0_E_clISt17integral_constantIbLb1EES12_IbLb0EEEEDaSY_SZ_EUlSY_E_NS1_11comp_targetILNS1_3genE10ELNS1_11target_archE1201ELNS1_3gpuE5ELNS1_3repE0EEENS1_30default_config_static_selectorELNS0_4arch9wavefront6targetE0EEEvT1_,comdat
	.protected	_ZN7rocprim17ROCPRIM_400000_NS6detail17trampoline_kernelINS0_14default_configENS1_29reduce_by_key_config_selectorItjN6thrust23THRUST_200600_302600_NS4plusIjEEEEZZNS1_33reduce_by_key_impl_wrapped_configILNS1_25lookback_scan_determinismE0ES3_S9_NS6_6detail15normal_iteratorINS6_10device_ptrItEEEENSD_INSE_IjEEEESG_SI_PmS8_NS6_8equal_toItEEEE10hipError_tPvRmT2_T3_mT4_T5_T6_T7_T8_P12ihipStream_tbENKUlT_T0_E_clISt17integral_constantIbLb1EES12_IbLb0EEEEDaSY_SZ_EUlSY_E_NS1_11comp_targetILNS1_3genE10ELNS1_11target_archE1201ELNS1_3gpuE5ELNS1_3repE0EEENS1_30default_config_static_selectorELNS0_4arch9wavefront6targetE0EEEvT1_ ; -- Begin function _ZN7rocprim17ROCPRIM_400000_NS6detail17trampoline_kernelINS0_14default_configENS1_29reduce_by_key_config_selectorItjN6thrust23THRUST_200600_302600_NS4plusIjEEEEZZNS1_33reduce_by_key_impl_wrapped_configILNS1_25lookback_scan_determinismE0ES3_S9_NS6_6detail15normal_iteratorINS6_10device_ptrItEEEENSD_INSE_IjEEEESG_SI_PmS8_NS6_8equal_toItEEEE10hipError_tPvRmT2_T3_mT4_T5_T6_T7_T8_P12ihipStream_tbENKUlT_T0_E_clISt17integral_constantIbLb1EES12_IbLb0EEEEDaSY_SZ_EUlSY_E_NS1_11comp_targetILNS1_3genE10ELNS1_11target_archE1201ELNS1_3gpuE5ELNS1_3repE0EEENS1_30default_config_static_selectorELNS0_4arch9wavefront6targetE0EEEvT1_
	.globl	_ZN7rocprim17ROCPRIM_400000_NS6detail17trampoline_kernelINS0_14default_configENS1_29reduce_by_key_config_selectorItjN6thrust23THRUST_200600_302600_NS4plusIjEEEEZZNS1_33reduce_by_key_impl_wrapped_configILNS1_25lookback_scan_determinismE0ES3_S9_NS6_6detail15normal_iteratorINS6_10device_ptrItEEEENSD_INSE_IjEEEESG_SI_PmS8_NS6_8equal_toItEEEE10hipError_tPvRmT2_T3_mT4_T5_T6_T7_T8_P12ihipStream_tbENKUlT_T0_E_clISt17integral_constantIbLb1EES12_IbLb0EEEEDaSY_SZ_EUlSY_E_NS1_11comp_targetILNS1_3genE10ELNS1_11target_archE1201ELNS1_3gpuE5ELNS1_3repE0EEENS1_30default_config_static_selectorELNS0_4arch9wavefront6targetE0EEEvT1_
	.p2align	8
	.type	_ZN7rocprim17ROCPRIM_400000_NS6detail17trampoline_kernelINS0_14default_configENS1_29reduce_by_key_config_selectorItjN6thrust23THRUST_200600_302600_NS4plusIjEEEEZZNS1_33reduce_by_key_impl_wrapped_configILNS1_25lookback_scan_determinismE0ES3_S9_NS6_6detail15normal_iteratorINS6_10device_ptrItEEEENSD_INSE_IjEEEESG_SI_PmS8_NS6_8equal_toItEEEE10hipError_tPvRmT2_T3_mT4_T5_T6_T7_T8_P12ihipStream_tbENKUlT_T0_E_clISt17integral_constantIbLb1EES12_IbLb0EEEEDaSY_SZ_EUlSY_E_NS1_11comp_targetILNS1_3genE10ELNS1_11target_archE1201ELNS1_3gpuE5ELNS1_3repE0EEENS1_30default_config_static_selectorELNS0_4arch9wavefront6targetE0EEEvT1_,@function
_ZN7rocprim17ROCPRIM_400000_NS6detail17trampoline_kernelINS0_14default_configENS1_29reduce_by_key_config_selectorItjN6thrust23THRUST_200600_302600_NS4plusIjEEEEZZNS1_33reduce_by_key_impl_wrapped_configILNS1_25lookback_scan_determinismE0ES3_S9_NS6_6detail15normal_iteratorINS6_10device_ptrItEEEENSD_INSE_IjEEEESG_SI_PmS8_NS6_8equal_toItEEEE10hipError_tPvRmT2_T3_mT4_T5_T6_T7_T8_P12ihipStream_tbENKUlT_T0_E_clISt17integral_constantIbLb1EES12_IbLb0EEEEDaSY_SZ_EUlSY_E_NS1_11comp_targetILNS1_3genE10ELNS1_11target_archE1201ELNS1_3gpuE5ELNS1_3repE0EEENS1_30default_config_static_selectorELNS0_4arch9wavefront6targetE0EEEvT1_: ; @_ZN7rocprim17ROCPRIM_400000_NS6detail17trampoline_kernelINS0_14default_configENS1_29reduce_by_key_config_selectorItjN6thrust23THRUST_200600_302600_NS4plusIjEEEEZZNS1_33reduce_by_key_impl_wrapped_configILNS1_25lookback_scan_determinismE0ES3_S9_NS6_6detail15normal_iteratorINS6_10device_ptrItEEEENSD_INSE_IjEEEESG_SI_PmS8_NS6_8equal_toItEEEE10hipError_tPvRmT2_T3_mT4_T5_T6_T7_T8_P12ihipStream_tbENKUlT_T0_E_clISt17integral_constantIbLb1EES12_IbLb0EEEEDaSY_SZ_EUlSY_E_NS1_11comp_targetILNS1_3genE10ELNS1_11target_archE1201ELNS1_3gpuE5ELNS1_3repE0EEENS1_30default_config_static_selectorELNS0_4arch9wavefront6targetE0EEEvT1_
; %bb.0:
	.section	.rodata,"a",@progbits
	.p2align	6, 0x0
	.amdhsa_kernel _ZN7rocprim17ROCPRIM_400000_NS6detail17trampoline_kernelINS0_14default_configENS1_29reduce_by_key_config_selectorItjN6thrust23THRUST_200600_302600_NS4plusIjEEEEZZNS1_33reduce_by_key_impl_wrapped_configILNS1_25lookback_scan_determinismE0ES3_S9_NS6_6detail15normal_iteratorINS6_10device_ptrItEEEENSD_INSE_IjEEEESG_SI_PmS8_NS6_8equal_toItEEEE10hipError_tPvRmT2_T3_mT4_T5_T6_T7_T8_P12ihipStream_tbENKUlT_T0_E_clISt17integral_constantIbLb1EES12_IbLb0EEEEDaSY_SZ_EUlSY_E_NS1_11comp_targetILNS1_3genE10ELNS1_11target_archE1201ELNS1_3gpuE5ELNS1_3repE0EEENS1_30default_config_static_selectorELNS0_4arch9wavefront6targetE0EEEvT1_
		.amdhsa_group_segment_fixed_size 0
		.amdhsa_private_segment_fixed_size 0
		.amdhsa_kernarg_size 120
		.amdhsa_user_sgpr_count 15
		.amdhsa_user_sgpr_dispatch_ptr 0
		.amdhsa_user_sgpr_queue_ptr 0
		.amdhsa_user_sgpr_kernarg_segment_ptr 1
		.amdhsa_user_sgpr_dispatch_id 0
		.amdhsa_user_sgpr_private_segment_size 0
		.amdhsa_wavefront_size32 1
		.amdhsa_uses_dynamic_stack 0
		.amdhsa_enable_private_segment 0
		.amdhsa_system_sgpr_workgroup_id_x 1
		.amdhsa_system_sgpr_workgroup_id_y 0
		.amdhsa_system_sgpr_workgroup_id_z 0
		.amdhsa_system_sgpr_workgroup_info 0
		.amdhsa_system_vgpr_workitem_id 0
		.amdhsa_next_free_vgpr 1
		.amdhsa_next_free_sgpr 1
		.amdhsa_reserve_vcc 0
		.amdhsa_float_round_mode_32 0
		.amdhsa_float_round_mode_16_64 0
		.amdhsa_float_denorm_mode_32 3
		.amdhsa_float_denorm_mode_16_64 3
		.amdhsa_dx10_clamp 1
		.amdhsa_ieee_mode 1
		.amdhsa_fp16_overflow 0
		.amdhsa_workgroup_processor_mode 1
		.amdhsa_memory_ordered 1
		.amdhsa_forward_progress 0
		.amdhsa_shared_vgpr_count 0
		.amdhsa_exception_fp_ieee_invalid_op 0
		.amdhsa_exception_fp_denorm_src 0
		.amdhsa_exception_fp_ieee_div_zero 0
		.amdhsa_exception_fp_ieee_overflow 0
		.amdhsa_exception_fp_ieee_underflow 0
		.amdhsa_exception_fp_ieee_inexact 0
		.amdhsa_exception_int_div_zero 0
	.end_amdhsa_kernel
	.section	.text._ZN7rocprim17ROCPRIM_400000_NS6detail17trampoline_kernelINS0_14default_configENS1_29reduce_by_key_config_selectorItjN6thrust23THRUST_200600_302600_NS4plusIjEEEEZZNS1_33reduce_by_key_impl_wrapped_configILNS1_25lookback_scan_determinismE0ES3_S9_NS6_6detail15normal_iteratorINS6_10device_ptrItEEEENSD_INSE_IjEEEESG_SI_PmS8_NS6_8equal_toItEEEE10hipError_tPvRmT2_T3_mT4_T5_T6_T7_T8_P12ihipStream_tbENKUlT_T0_E_clISt17integral_constantIbLb1EES12_IbLb0EEEEDaSY_SZ_EUlSY_E_NS1_11comp_targetILNS1_3genE10ELNS1_11target_archE1201ELNS1_3gpuE5ELNS1_3repE0EEENS1_30default_config_static_selectorELNS0_4arch9wavefront6targetE0EEEvT1_,"axG",@progbits,_ZN7rocprim17ROCPRIM_400000_NS6detail17trampoline_kernelINS0_14default_configENS1_29reduce_by_key_config_selectorItjN6thrust23THRUST_200600_302600_NS4plusIjEEEEZZNS1_33reduce_by_key_impl_wrapped_configILNS1_25lookback_scan_determinismE0ES3_S9_NS6_6detail15normal_iteratorINS6_10device_ptrItEEEENSD_INSE_IjEEEESG_SI_PmS8_NS6_8equal_toItEEEE10hipError_tPvRmT2_T3_mT4_T5_T6_T7_T8_P12ihipStream_tbENKUlT_T0_E_clISt17integral_constantIbLb1EES12_IbLb0EEEEDaSY_SZ_EUlSY_E_NS1_11comp_targetILNS1_3genE10ELNS1_11target_archE1201ELNS1_3gpuE5ELNS1_3repE0EEENS1_30default_config_static_selectorELNS0_4arch9wavefront6targetE0EEEvT1_,comdat
.Lfunc_end756:
	.size	_ZN7rocprim17ROCPRIM_400000_NS6detail17trampoline_kernelINS0_14default_configENS1_29reduce_by_key_config_selectorItjN6thrust23THRUST_200600_302600_NS4plusIjEEEEZZNS1_33reduce_by_key_impl_wrapped_configILNS1_25lookback_scan_determinismE0ES3_S9_NS6_6detail15normal_iteratorINS6_10device_ptrItEEEENSD_INSE_IjEEEESG_SI_PmS8_NS6_8equal_toItEEEE10hipError_tPvRmT2_T3_mT4_T5_T6_T7_T8_P12ihipStream_tbENKUlT_T0_E_clISt17integral_constantIbLb1EES12_IbLb0EEEEDaSY_SZ_EUlSY_E_NS1_11comp_targetILNS1_3genE10ELNS1_11target_archE1201ELNS1_3gpuE5ELNS1_3repE0EEENS1_30default_config_static_selectorELNS0_4arch9wavefront6targetE0EEEvT1_, .Lfunc_end756-_ZN7rocprim17ROCPRIM_400000_NS6detail17trampoline_kernelINS0_14default_configENS1_29reduce_by_key_config_selectorItjN6thrust23THRUST_200600_302600_NS4plusIjEEEEZZNS1_33reduce_by_key_impl_wrapped_configILNS1_25lookback_scan_determinismE0ES3_S9_NS6_6detail15normal_iteratorINS6_10device_ptrItEEEENSD_INSE_IjEEEESG_SI_PmS8_NS6_8equal_toItEEEE10hipError_tPvRmT2_T3_mT4_T5_T6_T7_T8_P12ihipStream_tbENKUlT_T0_E_clISt17integral_constantIbLb1EES12_IbLb0EEEEDaSY_SZ_EUlSY_E_NS1_11comp_targetILNS1_3genE10ELNS1_11target_archE1201ELNS1_3gpuE5ELNS1_3repE0EEENS1_30default_config_static_selectorELNS0_4arch9wavefront6targetE0EEEvT1_
                                        ; -- End function
	.section	.AMDGPU.csdata,"",@progbits
; Kernel info:
; codeLenInByte = 0
; NumSgprs: 0
; NumVgprs: 0
; ScratchSize: 0
; MemoryBound: 0
; FloatMode: 240
; IeeeMode: 1
; LDSByteSize: 0 bytes/workgroup (compile time only)
; SGPRBlocks: 0
; VGPRBlocks: 0
; NumSGPRsForWavesPerEU: 1
; NumVGPRsForWavesPerEU: 1
; Occupancy: 16
; WaveLimiterHint : 0
; COMPUTE_PGM_RSRC2:SCRATCH_EN: 0
; COMPUTE_PGM_RSRC2:USER_SGPR: 15
; COMPUTE_PGM_RSRC2:TRAP_HANDLER: 0
; COMPUTE_PGM_RSRC2:TGID_X_EN: 1
; COMPUTE_PGM_RSRC2:TGID_Y_EN: 0
; COMPUTE_PGM_RSRC2:TGID_Z_EN: 0
; COMPUTE_PGM_RSRC2:TIDIG_COMP_CNT: 0
	.section	.text._ZN7rocprim17ROCPRIM_400000_NS6detail17trampoline_kernelINS0_14default_configENS1_29reduce_by_key_config_selectorItjN6thrust23THRUST_200600_302600_NS4plusIjEEEEZZNS1_33reduce_by_key_impl_wrapped_configILNS1_25lookback_scan_determinismE0ES3_S9_NS6_6detail15normal_iteratorINS6_10device_ptrItEEEENSD_INSE_IjEEEESG_SI_PmS8_NS6_8equal_toItEEEE10hipError_tPvRmT2_T3_mT4_T5_T6_T7_T8_P12ihipStream_tbENKUlT_T0_E_clISt17integral_constantIbLb1EES12_IbLb0EEEEDaSY_SZ_EUlSY_E_NS1_11comp_targetILNS1_3genE10ELNS1_11target_archE1200ELNS1_3gpuE4ELNS1_3repE0EEENS1_30default_config_static_selectorELNS0_4arch9wavefront6targetE0EEEvT1_,"axG",@progbits,_ZN7rocprim17ROCPRIM_400000_NS6detail17trampoline_kernelINS0_14default_configENS1_29reduce_by_key_config_selectorItjN6thrust23THRUST_200600_302600_NS4plusIjEEEEZZNS1_33reduce_by_key_impl_wrapped_configILNS1_25lookback_scan_determinismE0ES3_S9_NS6_6detail15normal_iteratorINS6_10device_ptrItEEEENSD_INSE_IjEEEESG_SI_PmS8_NS6_8equal_toItEEEE10hipError_tPvRmT2_T3_mT4_T5_T6_T7_T8_P12ihipStream_tbENKUlT_T0_E_clISt17integral_constantIbLb1EES12_IbLb0EEEEDaSY_SZ_EUlSY_E_NS1_11comp_targetILNS1_3genE10ELNS1_11target_archE1200ELNS1_3gpuE4ELNS1_3repE0EEENS1_30default_config_static_selectorELNS0_4arch9wavefront6targetE0EEEvT1_,comdat
	.protected	_ZN7rocprim17ROCPRIM_400000_NS6detail17trampoline_kernelINS0_14default_configENS1_29reduce_by_key_config_selectorItjN6thrust23THRUST_200600_302600_NS4plusIjEEEEZZNS1_33reduce_by_key_impl_wrapped_configILNS1_25lookback_scan_determinismE0ES3_S9_NS6_6detail15normal_iteratorINS6_10device_ptrItEEEENSD_INSE_IjEEEESG_SI_PmS8_NS6_8equal_toItEEEE10hipError_tPvRmT2_T3_mT4_T5_T6_T7_T8_P12ihipStream_tbENKUlT_T0_E_clISt17integral_constantIbLb1EES12_IbLb0EEEEDaSY_SZ_EUlSY_E_NS1_11comp_targetILNS1_3genE10ELNS1_11target_archE1200ELNS1_3gpuE4ELNS1_3repE0EEENS1_30default_config_static_selectorELNS0_4arch9wavefront6targetE0EEEvT1_ ; -- Begin function _ZN7rocprim17ROCPRIM_400000_NS6detail17trampoline_kernelINS0_14default_configENS1_29reduce_by_key_config_selectorItjN6thrust23THRUST_200600_302600_NS4plusIjEEEEZZNS1_33reduce_by_key_impl_wrapped_configILNS1_25lookback_scan_determinismE0ES3_S9_NS6_6detail15normal_iteratorINS6_10device_ptrItEEEENSD_INSE_IjEEEESG_SI_PmS8_NS6_8equal_toItEEEE10hipError_tPvRmT2_T3_mT4_T5_T6_T7_T8_P12ihipStream_tbENKUlT_T0_E_clISt17integral_constantIbLb1EES12_IbLb0EEEEDaSY_SZ_EUlSY_E_NS1_11comp_targetILNS1_3genE10ELNS1_11target_archE1200ELNS1_3gpuE4ELNS1_3repE0EEENS1_30default_config_static_selectorELNS0_4arch9wavefront6targetE0EEEvT1_
	.globl	_ZN7rocprim17ROCPRIM_400000_NS6detail17trampoline_kernelINS0_14default_configENS1_29reduce_by_key_config_selectorItjN6thrust23THRUST_200600_302600_NS4plusIjEEEEZZNS1_33reduce_by_key_impl_wrapped_configILNS1_25lookback_scan_determinismE0ES3_S9_NS6_6detail15normal_iteratorINS6_10device_ptrItEEEENSD_INSE_IjEEEESG_SI_PmS8_NS6_8equal_toItEEEE10hipError_tPvRmT2_T3_mT4_T5_T6_T7_T8_P12ihipStream_tbENKUlT_T0_E_clISt17integral_constantIbLb1EES12_IbLb0EEEEDaSY_SZ_EUlSY_E_NS1_11comp_targetILNS1_3genE10ELNS1_11target_archE1200ELNS1_3gpuE4ELNS1_3repE0EEENS1_30default_config_static_selectorELNS0_4arch9wavefront6targetE0EEEvT1_
	.p2align	8
	.type	_ZN7rocprim17ROCPRIM_400000_NS6detail17trampoline_kernelINS0_14default_configENS1_29reduce_by_key_config_selectorItjN6thrust23THRUST_200600_302600_NS4plusIjEEEEZZNS1_33reduce_by_key_impl_wrapped_configILNS1_25lookback_scan_determinismE0ES3_S9_NS6_6detail15normal_iteratorINS6_10device_ptrItEEEENSD_INSE_IjEEEESG_SI_PmS8_NS6_8equal_toItEEEE10hipError_tPvRmT2_T3_mT4_T5_T6_T7_T8_P12ihipStream_tbENKUlT_T0_E_clISt17integral_constantIbLb1EES12_IbLb0EEEEDaSY_SZ_EUlSY_E_NS1_11comp_targetILNS1_3genE10ELNS1_11target_archE1200ELNS1_3gpuE4ELNS1_3repE0EEENS1_30default_config_static_selectorELNS0_4arch9wavefront6targetE0EEEvT1_,@function
_ZN7rocprim17ROCPRIM_400000_NS6detail17trampoline_kernelINS0_14default_configENS1_29reduce_by_key_config_selectorItjN6thrust23THRUST_200600_302600_NS4plusIjEEEEZZNS1_33reduce_by_key_impl_wrapped_configILNS1_25lookback_scan_determinismE0ES3_S9_NS6_6detail15normal_iteratorINS6_10device_ptrItEEEENSD_INSE_IjEEEESG_SI_PmS8_NS6_8equal_toItEEEE10hipError_tPvRmT2_T3_mT4_T5_T6_T7_T8_P12ihipStream_tbENKUlT_T0_E_clISt17integral_constantIbLb1EES12_IbLb0EEEEDaSY_SZ_EUlSY_E_NS1_11comp_targetILNS1_3genE10ELNS1_11target_archE1200ELNS1_3gpuE4ELNS1_3repE0EEENS1_30default_config_static_selectorELNS0_4arch9wavefront6targetE0EEEvT1_: ; @_ZN7rocprim17ROCPRIM_400000_NS6detail17trampoline_kernelINS0_14default_configENS1_29reduce_by_key_config_selectorItjN6thrust23THRUST_200600_302600_NS4plusIjEEEEZZNS1_33reduce_by_key_impl_wrapped_configILNS1_25lookback_scan_determinismE0ES3_S9_NS6_6detail15normal_iteratorINS6_10device_ptrItEEEENSD_INSE_IjEEEESG_SI_PmS8_NS6_8equal_toItEEEE10hipError_tPvRmT2_T3_mT4_T5_T6_T7_T8_P12ihipStream_tbENKUlT_T0_E_clISt17integral_constantIbLb1EES12_IbLb0EEEEDaSY_SZ_EUlSY_E_NS1_11comp_targetILNS1_3genE10ELNS1_11target_archE1200ELNS1_3gpuE4ELNS1_3repE0EEENS1_30default_config_static_selectorELNS0_4arch9wavefront6targetE0EEEvT1_
; %bb.0:
	.section	.rodata,"a",@progbits
	.p2align	6, 0x0
	.amdhsa_kernel _ZN7rocprim17ROCPRIM_400000_NS6detail17trampoline_kernelINS0_14default_configENS1_29reduce_by_key_config_selectorItjN6thrust23THRUST_200600_302600_NS4plusIjEEEEZZNS1_33reduce_by_key_impl_wrapped_configILNS1_25lookback_scan_determinismE0ES3_S9_NS6_6detail15normal_iteratorINS6_10device_ptrItEEEENSD_INSE_IjEEEESG_SI_PmS8_NS6_8equal_toItEEEE10hipError_tPvRmT2_T3_mT4_T5_T6_T7_T8_P12ihipStream_tbENKUlT_T0_E_clISt17integral_constantIbLb1EES12_IbLb0EEEEDaSY_SZ_EUlSY_E_NS1_11comp_targetILNS1_3genE10ELNS1_11target_archE1200ELNS1_3gpuE4ELNS1_3repE0EEENS1_30default_config_static_selectorELNS0_4arch9wavefront6targetE0EEEvT1_
		.amdhsa_group_segment_fixed_size 0
		.amdhsa_private_segment_fixed_size 0
		.amdhsa_kernarg_size 120
		.amdhsa_user_sgpr_count 15
		.amdhsa_user_sgpr_dispatch_ptr 0
		.amdhsa_user_sgpr_queue_ptr 0
		.amdhsa_user_sgpr_kernarg_segment_ptr 1
		.amdhsa_user_sgpr_dispatch_id 0
		.amdhsa_user_sgpr_private_segment_size 0
		.amdhsa_wavefront_size32 1
		.amdhsa_uses_dynamic_stack 0
		.amdhsa_enable_private_segment 0
		.amdhsa_system_sgpr_workgroup_id_x 1
		.amdhsa_system_sgpr_workgroup_id_y 0
		.amdhsa_system_sgpr_workgroup_id_z 0
		.amdhsa_system_sgpr_workgroup_info 0
		.amdhsa_system_vgpr_workitem_id 0
		.amdhsa_next_free_vgpr 1
		.amdhsa_next_free_sgpr 1
		.amdhsa_reserve_vcc 0
		.amdhsa_float_round_mode_32 0
		.amdhsa_float_round_mode_16_64 0
		.amdhsa_float_denorm_mode_32 3
		.amdhsa_float_denorm_mode_16_64 3
		.amdhsa_dx10_clamp 1
		.amdhsa_ieee_mode 1
		.amdhsa_fp16_overflow 0
		.amdhsa_workgroup_processor_mode 1
		.amdhsa_memory_ordered 1
		.amdhsa_forward_progress 0
		.amdhsa_shared_vgpr_count 0
		.amdhsa_exception_fp_ieee_invalid_op 0
		.amdhsa_exception_fp_denorm_src 0
		.amdhsa_exception_fp_ieee_div_zero 0
		.amdhsa_exception_fp_ieee_overflow 0
		.amdhsa_exception_fp_ieee_underflow 0
		.amdhsa_exception_fp_ieee_inexact 0
		.amdhsa_exception_int_div_zero 0
	.end_amdhsa_kernel
	.section	.text._ZN7rocprim17ROCPRIM_400000_NS6detail17trampoline_kernelINS0_14default_configENS1_29reduce_by_key_config_selectorItjN6thrust23THRUST_200600_302600_NS4plusIjEEEEZZNS1_33reduce_by_key_impl_wrapped_configILNS1_25lookback_scan_determinismE0ES3_S9_NS6_6detail15normal_iteratorINS6_10device_ptrItEEEENSD_INSE_IjEEEESG_SI_PmS8_NS6_8equal_toItEEEE10hipError_tPvRmT2_T3_mT4_T5_T6_T7_T8_P12ihipStream_tbENKUlT_T0_E_clISt17integral_constantIbLb1EES12_IbLb0EEEEDaSY_SZ_EUlSY_E_NS1_11comp_targetILNS1_3genE10ELNS1_11target_archE1200ELNS1_3gpuE4ELNS1_3repE0EEENS1_30default_config_static_selectorELNS0_4arch9wavefront6targetE0EEEvT1_,"axG",@progbits,_ZN7rocprim17ROCPRIM_400000_NS6detail17trampoline_kernelINS0_14default_configENS1_29reduce_by_key_config_selectorItjN6thrust23THRUST_200600_302600_NS4plusIjEEEEZZNS1_33reduce_by_key_impl_wrapped_configILNS1_25lookback_scan_determinismE0ES3_S9_NS6_6detail15normal_iteratorINS6_10device_ptrItEEEENSD_INSE_IjEEEESG_SI_PmS8_NS6_8equal_toItEEEE10hipError_tPvRmT2_T3_mT4_T5_T6_T7_T8_P12ihipStream_tbENKUlT_T0_E_clISt17integral_constantIbLb1EES12_IbLb0EEEEDaSY_SZ_EUlSY_E_NS1_11comp_targetILNS1_3genE10ELNS1_11target_archE1200ELNS1_3gpuE4ELNS1_3repE0EEENS1_30default_config_static_selectorELNS0_4arch9wavefront6targetE0EEEvT1_,comdat
.Lfunc_end757:
	.size	_ZN7rocprim17ROCPRIM_400000_NS6detail17trampoline_kernelINS0_14default_configENS1_29reduce_by_key_config_selectorItjN6thrust23THRUST_200600_302600_NS4plusIjEEEEZZNS1_33reduce_by_key_impl_wrapped_configILNS1_25lookback_scan_determinismE0ES3_S9_NS6_6detail15normal_iteratorINS6_10device_ptrItEEEENSD_INSE_IjEEEESG_SI_PmS8_NS6_8equal_toItEEEE10hipError_tPvRmT2_T3_mT4_T5_T6_T7_T8_P12ihipStream_tbENKUlT_T0_E_clISt17integral_constantIbLb1EES12_IbLb0EEEEDaSY_SZ_EUlSY_E_NS1_11comp_targetILNS1_3genE10ELNS1_11target_archE1200ELNS1_3gpuE4ELNS1_3repE0EEENS1_30default_config_static_selectorELNS0_4arch9wavefront6targetE0EEEvT1_, .Lfunc_end757-_ZN7rocprim17ROCPRIM_400000_NS6detail17trampoline_kernelINS0_14default_configENS1_29reduce_by_key_config_selectorItjN6thrust23THRUST_200600_302600_NS4plusIjEEEEZZNS1_33reduce_by_key_impl_wrapped_configILNS1_25lookback_scan_determinismE0ES3_S9_NS6_6detail15normal_iteratorINS6_10device_ptrItEEEENSD_INSE_IjEEEESG_SI_PmS8_NS6_8equal_toItEEEE10hipError_tPvRmT2_T3_mT4_T5_T6_T7_T8_P12ihipStream_tbENKUlT_T0_E_clISt17integral_constantIbLb1EES12_IbLb0EEEEDaSY_SZ_EUlSY_E_NS1_11comp_targetILNS1_3genE10ELNS1_11target_archE1200ELNS1_3gpuE4ELNS1_3repE0EEENS1_30default_config_static_selectorELNS0_4arch9wavefront6targetE0EEEvT1_
                                        ; -- End function
	.section	.AMDGPU.csdata,"",@progbits
; Kernel info:
; codeLenInByte = 0
; NumSgprs: 0
; NumVgprs: 0
; ScratchSize: 0
; MemoryBound: 0
; FloatMode: 240
; IeeeMode: 1
; LDSByteSize: 0 bytes/workgroup (compile time only)
; SGPRBlocks: 0
; VGPRBlocks: 0
; NumSGPRsForWavesPerEU: 1
; NumVGPRsForWavesPerEU: 1
; Occupancy: 16
; WaveLimiterHint : 0
; COMPUTE_PGM_RSRC2:SCRATCH_EN: 0
; COMPUTE_PGM_RSRC2:USER_SGPR: 15
; COMPUTE_PGM_RSRC2:TRAP_HANDLER: 0
; COMPUTE_PGM_RSRC2:TGID_X_EN: 1
; COMPUTE_PGM_RSRC2:TGID_Y_EN: 0
; COMPUTE_PGM_RSRC2:TGID_Z_EN: 0
; COMPUTE_PGM_RSRC2:TIDIG_COMP_CNT: 0
	.section	.text._ZN7rocprim17ROCPRIM_400000_NS6detail17trampoline_kernelINS0_14default_configENS1_29reduce_by_key_config_selectorItjN6thrust23THRUST_200600_302600_NS4plusIjEEEEZZNS1_33reduce_by_key_impl_wrapped_configILNS1_25lookback_scan_determinismE0ES3_S9_NS6_6detail15normal_iteratorINS6_10device_ptrItEEEENSD_INSE_IjEEEESG_SI_PmS8_NS6_8equal_toItEEEE10hipError_tPvRmT2_T3_mT4_T5_T6_T7_T8_P12ihipStream_tbENKUlT_T0_E_clISt17integral_constantIbLb1EES12_IbLb0EEEEDaSY_SZ_EUlSY_E_NS1_11comp_targetILNS1_3genE9ELNS1_11target_archE1100ELNS1_3gpuE3ELNS1_3repE0EEENS1_30default_config_static_selectorELNS0_4arch9wavefront6targetE0EEEvT1_,"axG",@progbits,_ZN7rocprim17ROCPRIM_400000_NS6detail17trampoline_kernelINS0_14default_configENS1_29reduce_by_key_config_selectorItjN6thrust23THRUST_200600_302600_NS4plusIjEEEEZZNS1_33reduce_by_key_impl_wrapped_configILNS1_25lookback_scan_determinismE0ES3_S9_NS6_6detail15normal_iteratorINS6_10device_ptrItEEEENSD_INSE_IjEEEESG_SI_PmS8_NS6_8equal_toItEEEE10hipError_tPvRmT2_T3_mT4_T5_T6_T7_T8_P12ihipStream_tbENKUlT_T0_E_clISt17integral_constantIbLb1EES12_IbLb0EEEEDaSY_SZ_EUlSY_E_NS1_11comp_targetILNS1_3genE9ELNS1_11target_archE1100ELNS1_3gpuE3ELNS1_3repE0EEENS1_30default_config_static_selectorELNS0_4arch9wavefront6targetE0EEEvT1_,comdat
	.protected	_ZN7rocprim17ROCPRIM_400000_NS6detail17trampoline_kernelINS0_14default_configENS1_29reduce_by_key_config_selectorItjN6thrust23THRUST_200600_302600_NS4plusIjEEEEZZNS1_33reduce_by_key_impl_wrapped_configILNS1_25lookback_scan_determinismE0ES3_S9_NS6_6detail15normal_iteratorINS6_10device_ptrItEEEENSD_INSE_IjEEEESG_SI_PmS8_NS6_8equal_toItEEEE10hipError_tPvRmT2_T3_mT4_T5_T6_T7_T8_P12ihipStream_tbENKUlT_T0_E_clISt17integral_constantIbLb1EES12_IbLb0EEEEDaSY_SZ_EUlSY_E_NS1_11comp_targetILNS1_3genE9ELNS1_11target_archE1100ELNS1_3gpuE3ELNS1_3repE0EEENS1_30default_config_static_selectorELNS0_4arch9wavefront6targetE0EEEvT1_ ; -- Begin function _ZN7rocprim17ROCPRIM_400000_NS6detail17trampoline_kernelINS0_14default_configENS1_29reduce_by_key_config_selectorItjN6thrust23THRUST_200600_302600_NS4plusIjEEEEZZNS1_33reduce_by_key_impl_wrapped_configILNS1_25lookback_scan_determinismE0ES3_S9_NS6_6detail15normal_iteratorINS6_10device_ptrItEEEENSD_INSE_IjEEEESG_SI_PmS8_NS6_8equal_toItEEEE10hipError_tPvRmT2_T3_mT4_T5_T6_T7_T8_P12ihipStream_tbENKUlT_T0_E_clISt17integral_constantIbLb1EES12_IbLb0EEEEDaSY_SZ_EUlSY_E_NS1_11comp_targetILNS1_3genE9ELNS1_11target_archE1100ELNS1_3gpuE3ELNS1_3repE0EEENS1_30default_config_static_selectorELNS0_4arch9wavefront6targetE0EEEvT1_
	.globl	_ZN7rocprim17ROCPRIM_400000_NS6detail17trampoline_kernelINS0_14default_configENS1_29reduce_by_key_config_selectorItjN6thrust23THRUST_200600_302600_NS4plusIjEEEEZZNS1_33reduce_by_key_impl_wrapped_configILNS1_25lookback_scan_determinismE0ES3_S9_NS6_6detail15normal_iteratorINS6_10device_ptrItEEEENSD_INSE_IjEEEESG_SI_PmS8_NS6_8equal_toItEEEE10hipError_tPvRmT2_T3_mT4_T5_T6_T7_T8_P12ihipStream_tbENKUlT_T0_E_clISt17integral_constantIbLb1EES12_IbLb0EEEEDaSY_SZ_EUlSY_E_NS1_11comp_targetILNS1_3genE9ELNS1_11target_archE1100ELNS1_3gpuE3ELNS1_3repE0EEENS1_30default_config_static_selectorELNS0_4arch9wavefront6targetE0EEEvT1_
	.p2align	8
	.type	_ZN7rocprim17ROCPRIM_400000_NS6detail17trampoline_kernelINS0_14default_configENS1_29reduce_by_key_config_selectorItjN6thrust23THRUST_200600_302600_NS4plusIjEEEEZZNS1_33reduce_by_key_impl_wrapped_configILNS1_25lookback_scan_determinismE0ES3_S9_NS6_6detail15normal_iteratorINS6_10device_ptrItEEEENSD_INSE_IjEEEESG_SI_PmS8_NS6_8equal_toItEEEE10hipError_tPvRmT2_T3_mT4_T5_T6_T7_T8_P12ihipStream_tbENKUlT_T0_E_clISt17integral_constantIbLb1EES12_IbLb0EEEEDaSY_SZ_EUlSY_E_NS1_11comp_targetILNS1_3genE9ELNS1_11target_archE1100ELNS1_3gpuE3ELNS1_3repE0EEENS1_30default_config_static_selectorELNS0_4arch9wavefront6targetE0EEEvT1_,@function
_ZN7rocprim17ROCPRIM_400000_NS6detail17trampoline_kernelINS0_14default_configENS1_29reduce_by_key_config_selectorItjN6thrust23THRUST_200600_302600_NS4plusIjEEEEZZNS1_33reduce_by_key_impl_wrapped_configILNS1_25lookback_scan_determinismE0ES3_S9_NS6_6detail15normal_iteratorINS6_10device_ptrItEEEENSD_INSE_IjEEEESG_SI_PmS8_NS6_8equal_toItEEEE10hipError_tPvRmT2_T3_mT4_T5_T6_T7_T8_P12ihipStream_tbENKUlT_T0_E_clISt17integral_constantIbLb1EES12_IbLb0EEEEDaSY_SZ_EUlSY_E_NS1_11comp_targetILNS1_3genE9ELNS1_11target_archE1100ELNS1_3gpuE3ELNS1_3repE0EEENS1_30default_config_static_selectorELNS0_4arch9wavefront6targetE0EEEvT1_: ; @_ZN7rocprim17ROCPRIM_400000_NS6detail17trampoline_kernelINS0_14default_configENS1_29reduce_by_key_config_selectorItjN6thrust23THRUST_200600_302600_NS4plusIjEEEEZZNS1_33reduce_by_key_impl_wrapped_configILNS1_25lookback_scan_determinismE0ES3_S9_NS6_6detail15normal_iteratorINS6_10device_ptrItEEEENSD_INSE_IjEEEESG_SI_PmS8_NS6_8equal_toItEEEE10hipError_tPvRmT2_T3_mT4_T5_T6_T7_T8_P12ihipStream_tbENKUlT_T0_E_clISt17integral_constantIbLb1EES12_IbLb0EEEEDaSY_SZ_EUlSY_E_NS1_11comp_targetILNS1_3genE9ELNS1_11target_archE1100ELNS1_3gpuE3ELNS1_3repE0EEENS1_30default_config_static_selectorELNS0_4arch9wavefront6targetE0EEEvT1_
; %bb.0:
	s_clause 0x4
	s_load_b256 s[16:23], s[0:1], 0x0
	s_load_b256 s[24:31], s[0:1], 0x38
	s_load_b128 s[36:39], s[0:1], 0x20
	s_load_b64 s[34:35], s[0:1], 0x68
	s_load_b128 s[40:43], s[0:1], 0x58
	s_mov_b32 s3, 0
	s_mul_i32 s2, s15, 0xf00
	s_waitcnt lgkmcnt(0)
	s_lshl_b64 s[0:1], s[18:19], 1
	s_mul_i32 s4, s28, s27
	s_add_u32 s6, s16, s0
	s_addc_u32 s7, s17, s1
	s_lshl_b64 s[0:1], s[18:19], 2
	s_mul_hi_u32 s5, s28, s26
	s_add_u32 s9, s20, s0
	s_mul_i32 s8, s29, s26
	s_addc_u32 s10, s21, s1
	s_add_i32 s4, s5, s4
	s_lshl_b64 s[0:1], s[2:3], 1
	s_add_i32 s4, s4, s8
	s_add_u32 s29, s6, s0
	s_addc_u32 s14, s7, s1
	s_lshl_b64 s[0:1], s[2:3], 2
	s_mul_i32 s2, s28, s26
	s_add_u32 s19, s9, s0
	s_addc_u32 s28, s10, s1
	s_add_u32 s16, s2, s15
	s_addc_u32 s17, s4, 0
	s_add_u32 s0, s30, -1
	s_addc_u32 s1, s31, -1
	s_mul_i32 s21, s0, 0xfffff100
	s_cmp_eq_u64 s[16:17], s[0:1]
	s_cselect_b32 s20, -1, 0
	s_cmp_lg_u64 s[16:17], s[0:1]
	s_cselect_b32 s18, -1, 0
	s_and_b32 vcc_lo, exec_lo, s20
	s_cbranch_vccnz .LBB758_2
; %bb.1:
	v_lshlrev_b32_e32 v13, 1, v0
	v_mad_u32_u24 v27, v0, 15, 7
	s_delay_alu instid0(VALU_DEP_2) | instskip(NEXT) | instid1(VALU_DEP_1)
	v_add_co_u32 v1, s0, s29, v13
	v_add_co_ci_u32_e64 v2, null, s14, 0, s0
	v_mad_u32_u24 v26, v0, 28, v13
	s_delay_alu instid0(VALU_DEP_3) | instskip(NEXT) | instid1(VALU_DEP_3)
	v_add_co_u32 v3, vcc_lo, 0x1000, v1
	v_add_co_ci_u32_e32 v4, vcc_lo, 0, v2, vcc_lo
	s_clause 0xe
	flat_load_u16 v14, v[1:2]
	flat_load_u16 v15, v[1:2] offset:512
	flat_load_u16 v16, v[1:2] offset:1024
	;; [unrolled: 1-line block ×7, first 2 shown]
	flat_load_u16 v2, v[3:4]
	flat_load_u16 v21, v[3:4] offset:512
	flat_load_u16 v22, v[3:4] offset:1024
	;; [unrolled: 1-line block ×6, first 2 shown]
	v_lshlrev_b32_e32 v4, 2, v0
	s_waitcnt vmcnt(14) lgkmcnt(14)
	ds_store_b16 v13, v14
	s_waitcnt vmcnt(13) lgkmcnt(14)
	ds_store_b16 v13, v15 offset:512
	s_waitcnt vmcnt(12) lgkmcnt(14)
	ds_store_b16 v13, v16 offset:1024
	;; [unrolled: 2-line block ×14, first 2 shown]
	v_add_co_u32 v5, s0, s19, v4
	s_delay_alu instid0(VALU_DEP_1) | instskip(SKIP_1) | instid1(VALU_DEP_2)
	v_add_co_ci_u32_e64 v6, null, s28, 0, s0
	s_waitcnt lgkmcnt(0)
	v_add_co_u32 v7, vcc_lo, 0x1000, v5
	s_delay_alu instid0(VALU_DEP_2)
	v_add_co_ci_u32_e32 v8, vcc_lo, 0, v6, vcc_lo
	v_add_co_u32 v9, vcc_lo, 0x2000, v5
	v_add_co_ci_u32_e32 v10, vcc_lo, 0, v6, vcc_lo
	v_add_co_u32 v11, vcc_lo, 0x3000, v5
	v_add_co_ci_u32_e32 v12, vcc_lo, 0, v6, vcc_lo
	s_barrier
	buffer_gl0_inv
	ds_load_u16 v50, v26
	ds_load_b128 v[1:4], v26 offset:2
	ds_load_b96 v[13:15], v26 offset:18
	s_waitcnt lgkmcnt(0)
	s_barrier
	buffer_gl0_inv
	s_clause 0xe
	flat_load_b32 v16, v[5:6]
	flat_load_b32 v17, v[5:6] offset:1024
	flat_load_b32 v18, v[5:6] offset:2048
	flat_load_b32 v5, v[5:6] offset:3072
	flat_load_b32 v19, v[7:8]
	flat_load_b32 v20, v[7:8] offset:1024
	flat_load_b32 v21, v[7:8] offset:2048
	flat_load_b32 v22, v[7:8] offset:3072
	;; [unrolled: 4-line block ×3, first 2 shown]
	flat_load_b32 v29, v[11:12]
	flat_load_b32 v30, v[11:12] offset:1024
	flat_load_b32 v31, v[11:12] offset:2048
	v_mul_u32_u24_e32 v6, 15, v0
	v_mad_u32_u24 v7, v0, 15, 1
	v_mad_u32_u24 v9, v0, 15, 3
	;; [unrolled: 1-line block ×3, first 2 shown]
	v_mad_i32_i24 v26, 0xffffffe6, v0, v26
	v_mad_u32_u24 v12, v0, 15, 9
	v_mad_u32_u24 v11, v0, 15, 11
	;; [unrolled: 1-line block ×3, first 2 shown]
	s_waitcnt vmcnt(13) lgkmcnt(13)
	ds_store_2addr_stride64_b32 v26, v16, v17 offset1:4
	s_waitcnt vmcnt(11) lgkmcnt(12)
	ds_store_2addr_stride64_b32 v26, v18, v5 offset0:8 offset1:12
	s_waitcnt vmcnt(9) lgkmcnt(11)
	ds_store_2addr_stride64_b32 v26, v19, v20 offset0:16 offset1:20
	;; [unrolled: 2-line block ×6, first 2 shown]
	s_waitcnt vmcnt(0) lgkmcnt(7)
	ds_store_b32 v26, v31 offset:14336
	s_waitcnt lgkmcnt(0)
	s_barrier
	s_and_not1_b32 vcc_lo, exec_lo, s3
	s_add_i32 s21, s21, s40
	s_cbranch_vccz .LBB758_3
	s_branch .LBB758_64
.LBB758_2:
                                        ; implicit-def: $vgpr1
                                        ; implicit-def: $vgpr13
                                        ; implicit-def: $vgpr10
                                        ; implicit-def: $vgpr11
                                        ; implicit-def: $vgpr12
                                        ; implicit-def: $vgpr27
                                        ; implicit-def: $vgpr8
                                        ; implicit-def: $vgpr9
                                        ; implicit-def: $vgpr7
                                        ; implicit-def: $vgpr6
                                        ; implicit-def: $vgpr50
	s_add_i32 s21, s21, s40
.LBB758_3:
	s_delay_alu instid0(SALU_CYCLE_1)
	v_cmp_gt_u32_e32 vcc_lo, s21, v0
                                        ; implicit-def: $vgpr1
	s_and_saveexec_b32 s0, vcc_lo
	s_cbranch_execz .LBB758_5
; %bb.4:
	v_lshlrev_b32_e32 v1, 1, v0
	s_delay_alu instid0(VALU_DEP_1) | instskip(NEXT) | instid1(VALU_DEP_1)
	v_add_co_u32 v1, s1, s29, v1
	v_add_co_ci_u32_e64 v2, null, s14, 0, s1
	flat_load_u16 v1, v[1:2]
.LBB758_5:
	s_or_b32 exec_lo, exec_lo, s0
	v_or_b32_e32 v2, 0x100, v0
	s_delay_alu instid0(VALU_DEP_1) | instskip(NEXT) | instid1(VALU_DEP_1)
	v_cmp_gt_u32_e64 s0, s21, v2
                                        ; implicit-def: $vgpr2
	s_and_saveexec_b32 s1, s0
	s_cbranch_execz .LBB758_7
; %bb.6:
	v_lshlrev_b32_e32 v2, 1, v0
	s_delay_alu instid0(VALU_DEP_1) | instskip(NEXT) | instid1(VALU_DEP_1)
	v_add_co_u32 v2, s2, s29, v2
	v_add_co_ci_u32_e64 v3, null, s14, 0, s2
	flat_load_u16 v2, v[2:3] offset:512
.LBB758_7:
	s_or_b32 exec_lo, exec_lo, s1
	v_or_b32_e32 v3, 0x200, v0
	s_delay_alu instid0(VALU_DEP_1) | instskip(NEXT) | instid1(VALU_DEP_1)
	v_cmp_gt_u32_e64 s1, s21, v3
                                        ; implicit-def: $vgpr3
	s_and_saveexec_b32 s2, s1
	s_cbranch_execz .LBB758_9
; %bb.8:
	v_lshlrev_b32_e32 v3, 1, v0
	s_delay_alu instid0(VALU_DEP_1) | instskip(NEXT) | instid1(VALU_DEP_1)
	v_add_co_u32 v3, s3, s29, v3
	v_add_co_ci_u32_e64 v4, null, s14, 0, s3
	flat_load_u16 v3, v[3:4] offset:1024
.LBB758_9:
	s_or_b32 exec_lo, exec_lo, s2
	v_or_b32_e32 v4, 0x300, v0
	s_delay_alu instid0(VALU_DEP_1) | instskip(NEXT) | instid1(VALU_DEP_1)
	v_cmp_gt_u32_e64 s2, s21, v4
                                        ; implicit-def: $vgpr4
	s_and_saveexec_b32 s3, s2
	s_cbranch_execz .LBB758_11
; %bb.10:
	v_lshlrev_b32_e32 v4, 1, v0
	s_delay_alu instid0(VALU_DEP_1) | instskip(NEXT) | instid1(VALU_DEP_1)
	v_add_co_u32 v4, s4, s29, v4
	v_add_co_ci_u32_e64 v5, null, s14, 0, s4
	flat_load_u16 v4, v[4:5] offset:1536
.LBB758_11:
	s_or_b32 exec_lo, exec_lo, s3
	v_or_b32_e32 v5, 0x400, v0
                                        ; implicit-def: $vgpr13
	s_delay_alu instid0(VALU_DEP_1) | instskip(NEXT) | instid1(VALU_DEP_1)
	v_cmp_gt_u32_e64 s3, s21, v5
	s_and_saveexec_b32 s4, s3
	s_cbranch_execz .LBB758_13
; %bb.12:
	v_lshlrev_b32_e32 v6, 1, v0
	s_delay_alu instid0(VALU_DEP_1) | instskip(NEXT) | instid1(VALU_DEP_1)
	v_add_co_u32 v6, s5, s29, v6
	v_add_co_ci_u32_e64 v7, null, s14, 0, s5
	flat_load_u16 v13, v[6:7] offset:2048
.LBB758_13:
	s_or_b32 exec_lo, exec_lo, s4
	v_or_b32_e32 v6, 0x500, v0
                                        ; implicit-def: $vgpr14
	s_delay_alu instid0(VALU_DEP_1) | instskip(NEXT) | instid1(VALU_DEP_1)
	v_cmp_gt_u32_e64 s4, s21, v6
	s_and_saveexec_b32 s5, s4
	s_cbranch_execz .LBB758_15
; %bb.14:
	v_lshlrev_b32_e32 v7, 1, v0
	s_delay_alu instid0(VALU_DEP_1) | instskip(NEXT) | instid1(VALU_DEP_1)
	v_add_co_u32 v7, s6, s29, v7
	v_add_co_ci_u32_e64 v8, null, s14, 0, s6
	flat_load_u16 v14, v[7:8] offset:2560
.LBB758_15:
	s_or_b32 exec_lo, exec_lo, s5
	v_or_b32_e32 v7, 0x600, v0
                                        ; implicit-def: $vgpr15
	s_delay_alu instid0(VALU_DEP_1) | instskip(NEXT) | instid1(VALU_DEP_1)
	v_cmp_gt_u32_e64 s5, s21, v7
	s_and_saveexec_b32 s6, s5
	s_cbranch_execz .LBB758_17
; %bb.16:
	v_lshlrev_b32_e32 v8, 1, v0
	s_delay_alu instid0(VALU_DEP_1) | instskip(NEXT) | instid1(VALU_DEP_1)
	v_add_co_u32 v8, s7, s29, v8
	v_add_co_ci_u32_e64 v9, null, s14, 0, s7
	flat_load_u16 v15, v[8:9] offset:3072
.LBB758_17:
	s_or_b32 exec_lo, exec_lo, s6
	v_or_b32_e32 v8, 0x700, v0
                                        ; implicit-def: $vgpr19
	s_delay_alu instid0(VALU_DEP_1) | instskip(NEXT) | instid1(VALU_DEP_1)
	v_cmp_gt_u32_e64 s6, s21, v8
	s_and_saveexec_b32 s7, s6
	s_cbranch_execz .LBB758_19
; %bb.18:
	v_lshlrev_b32_e32 v9, 1, v0
	s_delay_alu instid0(VALU_DEP_1) | instskip(NEXT) | instid1(VALU_DEP_1)
	v_add_co_u32 v9, s8, s29, v9
	v_add_co_ci_u32_e64 v10, null, s14, 0, s8
	flat_load_u16 v19, v[9:10] offset:3584
.LBB758_19:
	s_or_b32 exec_lo, exec_lo, s7
	v_or_b32_e32 v9, 0x800, v0
                                        ; implicit-def: $vgpr20
	s_delay_alu instid0(VALU_DEP_1) | instskip(NEXT) | instid1(VALU_DEP_1)
	v_cmp_gt_u32_e64 s7, s21, v9
	s_and_saveexec_b32 s8, s7
	s_cbranch_execz .LBB758_21
; %bb.20:
	v_lshlrev_b32_e32 v10, 1, v9
	s_delay_alu instid0(VALU_DEP_1) | instskip(NEXT) | instid1(VALU_DEP_1)
	v_add_co_u32 v10, s9, s29, v10
	v_add_co_ci_u32_e64 v11, null, s14, 0, s9
	flat_load_u16 v20, v[10:11]
.LBB758_21:
	s_or_b32 exec_lo, exec_lo, s8
	v_or_b32_e32 v10, 0x900, v0
                                        ; implicit-def: $vgpr21
	s_delay_alu instid0(VALU_DEP_1) | instskip(NEXT) | instid1(VALU_DEP_1)
	v_cmp_gt_u32_e64 s8, s21, v10
	s_and_saveexec_b32 s9, s8
	s_cbranch_execz .LBB758_23
; %bb.22:
	v_lshlrev_b32_e32 v11, 1, v10
	s_delay_alu instid0(VALU_DEP_1) | instskip(NEXT) | instid1(VALU_DEP_1)
	v_add_co_u32 v11, s10, s29, v11
	v_add_co_ci_u32_e64 v12, null, s14, 0, s10
	flat_load_u16 v21, v[11:12]
.LBB758_23:
	s_or_b32 exec_lo, exec_lo, s9
	v_or_b32_e32 v11, 0xa00, v0
                                        ; implicit-def: $vgpr22
	s_delay_alu instid0(VALU_DEP_1) | instskip(NEXT) | instid1(VALU_DEP_1)
	v_cmp_gt_u32_e64 s9, s21, v11
	s_and_saveexec_b32 s10, s9
	s_cbranch_execz .LBB758_25
; %bb.24:
	v_lshlrev_b32_e32 v12, 1, v11
	s_delay_alu instid0(VALU_DEP_1) | instskip(NEXT) | instid1(VALU_DEP_1)
	v_add_co_u32 v16, s11, s29, v12
	v_add_co_ci_u32_e64 v17, null, s14, 0, s11
	flat_load_u16 v22, v[16:17]
.LBB758_25:
	s_or_b32 exec_lo, exec_lo, s10
	v_or_b32_e32 v12, 0xb00, v0
                                        ; implicit-def: $vgpr23
	s_delay_alu instid0(VALU_DEP_1) | instskip(NEXT) | instid1(VALU_DEP_1)
	v_cmp_gt_u32_e64 s10, s21, v12
	s_and_saveexec_b32 s11, s10
	s_cbranch_execz .LBB758_27
; %bb.26:
	v_lshlrev_b32_e32 v16, 1, v12
	s_delay_alu instid0(VALU_DEP_1) | instskip(NEXT) | instid1(VALU_DEP_1)
	v_add_co_u32 v16, s12, s29, v16
	v_add_co_ci_u32_e64 v17, null, s14, 0, s12
	flat_load_u16 v23, v[16:17]
.LBB758_27:
	s_or_b32 exec_lo, exec_lo, s11
	v_or_b32_e32 v16, 0xc00, v0
                                        ; implicit-def: $vgpr24
	s_delay_alu instid0(VALU_DEP_1) | instskip(NEXT) | instid1(VALU_DEP_1)
	v_cmp_gt_u32_e64 s11, s21, v16
	s_and_saveexec_b32 s12, s11
	s_cbranch_execz .LBB758_29
; %bb.28:
	v_lshlrev_b32_e32 v17, 1, v16
	s_delay_alu instid0(VALU_DEP_1) | instskip(NEXT) | instid1(VALU_DEP_1)
	v_add_co_u32 v17, s13, s29, v17
	v_add_co_ci_u32_e64 v18, null, s14, 0, s13
	flat_load_u16 v24, v[17:18]
.LBB758_29:
	s_or_b32 exec_lo, exec_lo, s12
	v_or_b32_e32 v17, 0xd00, v0
                                        ; implicit-def: $vgpr25
	s_delay_alu instid0(VALU_DEP_1) | instskip(NEXT) | instid1(VALU_DEP_1)
	v_cmp_gt_u32_e64 s12, s21, v17
	s_and_saveexec_b32 s13, s12
	s_cbranch_execz .LBB758_31
; %bb.30:
	v_lshlrev_b32_e32 v18, 1, v17
	s_delay_alu instid0(VALU_DEP_1) | instskip(NEXT) | instid1(VALU_DEP_1)
	v_add_co_u32 v25, s30, s29, v18
	v_add_co_ci_u32_e64 v26, null, s14, 0, s30
	flat_load_u16 v25, v[25:26]
.LBB758_31:
	s_or_b32 exec_lo, exec_lo, s13
	v_or_b32_e32 v18, 0xe00, v0
                                        ; implicit-def: $vgpr26
	s_delay_alu instid0(VALU_DEP_1) | instskip(NEXT) | instid1(VALU_DEP_1)
	v_cmp_gt_u32_e64 s13, s21, v18
	s_and_saveexec_b32 s30, s13
	s_cbranch_execz .LBB758_33
; %bb.32:
	v_lshlrev_b32_e32 v26, 1, v18
	s_delay_alu instid0(VALU_DEP_1) | instskip(NEXT) | instid1(VALU_DEP_1)
	v_add_co_u32 v26, s31, s29, v26
	v_add_co_ci_u32_e64 v27, null, s14, 0, s31
	flat_load_u16 v26, v[26:27]
.LBB758_33:
	s_or_b32 exec_lo, exec_lo, s30
	v_lshlrev_b32_e32 v27, 1, v0
	s_waitcnt vmcnt(0) lgkmcnt(0)
	ds_store_b16 v27, v1
	ds_store_b16 v27, v2 offset:512
	ds_store_b16 v27, v3 offset:1024
	;; [unrolled: 1-line block ×7, first 2 shown]
	v_mad_u32_u24 v19, v0, 28, v27
	ds_store_b16 v27, v20 offset:4096
	ds_store_b16 v27, v21 offset:4608
	;; [unrolled: 1-line block ×7, first 2 shown]
	s_waitcnt lgkmcnt(0)
	s_barrier
	buffer_gl0_inv
	ds_load_u16 v50, v19
	ds_load_b128 v[1:4], v19 offset:2
	ds_load_b96 v[13:15], v19 offset:18
	s_waitcnt lgkmcnt(0)
	s_barrier
	buffer_gl0_inv
                                        ; implicit-def: $vgpr20
	s_and_saveexec_b32 s30, vcc_lo
	s_cbranch_execz .LBB758_47
; %bb.34:
	v_lshlrev_b32_e32 v20, 2, v0
	s_delay_alu instid0(VALU_DEP_1) | instskip(NEXT) | instid1(VALU_DEP_1)
	v_add_co_u32 v20, s31, s19, v20
	v_add_co_ci_u32_e64 v21, null, s28, 0, s31
	flat_load_b32 v20, v[20:21]
	s_or_b32 exec_lo, exec_lo, s30
                                        ; implicit-def: $vgpr21
	s_and_saveexec_b32 s30, s0
	s_cbranch_execnz .LBB758_48
.LBB758_35:
	s_or_b32 exec_lo, exec_lo, s30
                                        ; implicit-def: $vgpr22
	s_and_saveexec_b32 s0, s1
	s_cbranch_execz .LBB758_49
.LBB758_36:
	v_lshlrev_b32_e32 v22, 2, v0
	s_delay_alu instid0(VALU_DEP_1) | instskip(NEXT) | instid1(VALU_DEP_1)
	v_add_co_u32 v22, s1, s19, v22
	v_add_co_ci_u32_e64 v23, null, s28, 0, s1
	flat_load_b32 v22, v[22:23] offset:2048
	s_or_b32 exec_lo, exec_lo, s0
                                        ; implicit-def: $vgpr23
	s_and_saveexec_b32 s0, s2
	s_cbranch_execnz .LBB758_50
.LBB758_37:
	s_or_b32 exec_lo, exec_lo, s0
                                        ; implicit-def: $vgpr24
	s_and_saveexec_b32 s0, s3
	s_cbranch_execz .LBB758_51
.LBB758_38:
	v_lshlrev_b32_e32 v5, 2, v5
	s_delay_alu instid0(VALU_DEP_1) | instskip(NEXT) | instid1(VALU_DEP_1)
	v_add_co_u32 v24, s1, s19, v5
	v_add_co_ci_u32_e64 v25, null, s28, 0, s1
	flat_load_b32 v24, v[24:25]
	s_or_b32 exec_lo, exec_lo, s0
                                        ; implicit-def: $vgpr5
	s_and_saveexec_b32 s0, s4
	s_cbranch_execnz .LBB758_52
.LBB758_39:
	s_or_b32 exec_lo, exec_lo, s0
                                        ; implicit-def: $vgpr25
	s_and_saveexec_b32 s0, s5
	s_cbranch_execz .LBB758_53
.LBB758_40:
	v_lshlrev_b32_e32 v6, 2, v7
	s_delay_alu instid0(VALU_DEP_1) | instskip(NEXT) | instid1(VALU_DEP_1)
	v_add_co_u32 v6, s1, s19, v6
	v_add_co_ci_u32_e64 v7, null, s28, 0, s1
	flat_load_b32 v25, v[6:7]
	s_or_b32 exec_lo, exec_lo, s0
                                        ; implicit-def: $vgpr26
	s_and_saveexec_b32 s0, s6
	s_cbranch_execnz .LBB758_54
.LBB758_41:
	s_or_b32 exec_lo, exec_lo, s0
                                        ; implicit-def: $vgpr28
	s_and_saveexec_b32 s0, s7
	s_cbranch_execz .LBB758_55
.LBB758_42:
	v_lshlrev_b32_e32 v6, 2, v9
	s_delay_alu instid0(VALU_DEP_1) | instskip(NEXT) | instid1(VALU_DEP_1)
	v_add_co_u32 v6, s1, s19, v6
	v_add_co_ci_u32_e64 v7, null, s28, 0, s1
	flat_load_b32 v28, v[6:7]
	s_or_b32 exec_lo, exec_lo, s0
                                        ; implicit-def: $vgpr29
	s_and_saveexec_b32 s0, s8
	s_cbranch_execnz .LBB758_56
.LBB758_43:
	s_or_b32 exec_lo, exec_lo, s0
                                        ; implicit-def: $vgpr30
	s_and_saveexec_b32 s0, s9
	s_cbranch_execz .LBB758_57
.LBB758_44:
	v_lshlrev_b32_e32 v6, 2, v11
	s_delay_alu instid0(VALU_DEP_1) | instskip(NEXT) | instid1(VALU_DEP_1)
	v_add_co_u32 v6, s1, s19, v6
	v_add_co_ci_u32_e64 v7, null, s28, 0, s1
	flat_load_b32 v30, v[6:7]
	s_or_b32 exec_lo, exec_lo, s0
                                        ; implicit-def: $vgpr31
	s_and_saveexec_b32 s0, s10
	s_cbranch_execnz .LBB758_58
.LBB758_45:
	s_or_b32 exec_lo, exec_lo, s0
                                        ; implicit-def: $vgpr32
	s_and_saveexec_b32 s0, s11
	s_cbranch_execz .LBB758_59
.LBB758_46:
	v_lshlrev_b32_e32 v6, 2, v16
	s_delay_alu instid0(VALU_DEP_1) | instskip(NEXT) | instid1(VALU_DEP_1)
	v_add_co_u32 v6, s1, s19, v6
	v_add_co_ci_u32_e64 v7, null, s28, 0, s1
	flat_load_b32 v32, v[6:7]
	s_or_b32 exec_lo, exec_lo, s0
                                        ; implicit-def: $vgpr16
	s_and_saveexec_b32 s0, s12
	s_cbranch_execz .LBB758_61
	s_branch .LBB758_60
.LBB758_47:
	s_or_b32 exec_lo, exec_lo, s30
                                        ; implicit-def: $vgpr21
	s_and_saveexec_b32 s30, s0
	s_cbranch_execz .LBB758_35
.LBB758_48:
	v_lshlrev_b32_e32 v21, 2, v0
	s_delay_alu instid0(VALU_DEP_1) | instskip(NEXT) | instid1(VALU_DEP_1)
	v_add_co_u32 v21, s0, s19, v21
	v_add_co_ci_u32_e64 v22, null, s28, 0, s0
	flat_load_b32 v21, v[21:22] offset:1024
	s_or_b32 exec_lo, exec_lo, s30
                                        ; implicit-def: $vgpr22
	s_and_saveexec_b32 s0, s1
	s_cbranch_execnz .LBB758_36
.LBB758_49:
	s_or_b32 exec_lo, exec_lo, s0
                                        ; implicit-def: $vgpr23
	s_and_saveexec_b32 s0, s2
	s_cbranch_execz .LBB758_37
.LBB758_50:
	v_lshlrev_b32_e32 v23, 2, v0
	s_delay_alu instid0(VALU_DEP_1) | instskip(NEXT) | instid1(VALU_DEP_1)
	v_add_co_u32 v23, s1, s19, v23
	v_add_co_ci_u32_e64 v24, null, s28, 0, s1
	flat_load_b32 v23, v[23:24] offset:3072
	s_or_b32 exec_lo, exec_lo, s0
                                        ; implicit-def: $vgpr24
	s_and_saveexec_b32 s0, s3
	s_cbranch_execnz .LBB758_38
.LBB758_51:
	s_or_b32 exec_lo, exec_lo, s0
                                        ; implicit-def: $vgpr5
	s_and_saveexec_b32 s0, s4
	s_cbranch_execz .LBB758_39
.LBB758_52:
	v_lshlrev_b32_e32 v5, 2, v6
	s_delay_alu instid0(VALU_DEP_1) | instskip(NEXT) | instid1(VALU_DEP_1)
	v_add_co_u32 v5, s1, s19, v5
	v_add_co_ci_u32_e64 v6, null, s28, 0, s1
	flat_load_b32 v5, v[5:6]
	s_or_b32 exec_lo, exec_lo, s0
                                        ; implicit-def: $vgpr25
	s_and_saveexec_b32 s0, s5
	s_cbranch_execnz .LBB758_40
.LBB758_53:
	s_or_b32 exec_lo, exec_lo, s0
                                        ; implicit-def: $vgpr26
	s_and_saveexec_b32 s0, s6
	s_cbranch_execz .LBB758_41
.LBB758_54:
	v_lshlrev_b32_e32 v6, 2, v8
	s_delay_alu instid0(VALU_DEP_1) | instskip(NEXT) | instid1(VALU_DEP_1)
	v_add_co_u32 v6, s1, s19, v6
	v_add_co_ci_u32_e64 v7, null, s28, 0, s1
	flat_load_b32 v26, v[6:7]
	s_or_b32 exec_lo, exec_lo, s0
                                        ; implicit-def: $vgpr28
	s_and_saveexec_b32 s0, s7
	s_cbranch_execnz .LBB758_42
.LBB758_55:
	s_or_b32 exec_lo, exec_lo, s0
                                        ; implicit-def: $vgpr29
	s_and_saveexec_b32 s0, s8
	s_cbranch_execz .LBB758_43
.LBB758_56:
	v_lshlrev_b32_e32 v6, 2, v10
	s_delay_alu instid0(VALU_DEP_1) | instskip(NEXT) | instid1(VALU_DEP_1)
	v_add_co_u32 v6, s1, s19, v6
	v_add_co_ci_u32_e64 v7, null, s28, 0, s1
	flat_load_b32 v29, v[6:7]
	s_or_b32 exec_lo, exec_lo, s0
                                        ; implicit-def: $vgpr30
	s_and_saveexec_b32 s0, s9
	s_cbranch_execnz .LBB758_44
.LBB758_57:
	s_or_b32 exec_lo, exec_lo, s0
                                        ; implicit-def: $vgpr31
	s_and_saveexec_b32 s0, s10
	s_cbranch_execz .LBB758_45
.LBB758_58:
	v_lshlrev_b32_e32 v6, 2, v12
	s_delay_alu instid0(VALU_DEP_1) | instskip(NEXT) | instid1(VALU_DEP_1)
	v_add_co_u32 v6, s1, s19, v6
	v_add_co_ci_u32_e64 v7, null, s28, 0, s1
	flat_load_b32 v31, v[6:7]
	s_or_b32 exec_lo, exec_lo, s0
                                        ; implicit-def: $vgpr32
	s_and_saveexec_b32 s0, s11
	s_cbranch_execnz .LBB758_46
.LBB758_59:
	s_or_b32 exec_lo, exec_lo, s0
                                        ; implicit-def: $vgpr16
	s_and_saveexec_b32 s0, s12
	s_cbranch_execz .LBB758_61
.LBB758_60:
	v_lshlrev_b32_e32 v6, 2, v17
	s_delay_alu instid0(VALU_DEP_1) | instskip(NEXT) | instid1(VALU_DEP_1)
	v_add_co_u32 v6, s1, s19, v6
	v_add_co_ci_u32_e64 v7, null, s28, 0, s1
	flat_load_b32 v16, v[6:7]
.LBB758_61:
	s_or_b32 exec_lo, exec_lo, s0
	v_mul_u32_u24_e32 v6, 15, v0
                                        ; implicit-def: $vgpr17
	s_and_saveexec_b32 s0, s13
	s_cbranch_execz .LBB758_63
; %bb.62:
	v_lshlrev_b32_e32 v7, 2, v18
	s_delay_alu instid0(VALU_DEP_1) | instskip(NEXT) | instid1(VALU_DEP_1)
	v_add_co_u32 v7, s1, s19, v7
	v_add_co_ci_u32_e64 v8, null, s28, 0, s1
	flat_load_b32 v17, v[7:8]
.LBB758_63:
	s_or_b32 exec_lo, exec_lo, s0
	s_delay_alu instid0(VALU_DEP_1)
	v_add_nc_u32_e32 v7, 1, v6
	v_add_nc_u32_e32 v9, 3, v6
	;; [unrolled: 1-line block ×3, first 2 shown]
	v_mad_i32_i24 v18, 0xffffffe6, v0, v19
	v_add_nc_u32_e32 v27, 7, v6
	v_add_nc_u32_e32 v12, 9, v6
	v_add_nc_u32_e32 v11, 11, v6
	v_add_nc_u32_e32 v10, 13, v6
	s_waitcnt vmcnt(0) lgkmcnt(0)
	ds_store_2addr_stride64_b32 v18, v20, v21 offset1:4
	ds_store_2addr_stride64_b32 v18, v22, v23 offset0:8 offset1:12
	ds_store_2addr_stride64_b32 v18, v24, v5 offset0:16 offset1:20
	;; [unrolled: 1-line block ×6, first 2 shown]
	ds_store_b32 v18, v17 offset:14336
	s_waitcnt lgkmcnt(0)
	s_barrier
.LBB758_64:
	v_lshlrev_b32_e32 v5, 2, v6
	buffer_gl0_inv
	v_lshlrev_b32_e32 v6, 2, v9
	v_lshlrev_b32_e32 v9, 2, v12
	;; [unrolled: 1-line block ×3, first 2 shown]
	ds_load_2addr_b32 v[22:23], v5 offset1:2
	ds_load_2addr_b32 v[20:21], v5 offset0:4 offset1:6
	ds_load_2addr_b32 v[18:19], v5 offset0:8 offset1:10
	;; [unrolled: 1-line block ×3, first 2 shown]
	v_lshlrev_b32_e32 v5, 2, v7
	v_lshlrev_b32_e32 v7, 2, v8
	;; [unrolled: 1-line block ×4, first 2 shown]
	ds_load_b32 v73, v5
	ds_load_b32 v72, v6
	;; [unrolled: 1-line block ×7, first 2 shown]
	s_cmp_eq_u64 s[16:17], 0
	s_waitcnt lgkmcnt(0)
	s_cselect_b32 s28, -1, 0
	s_cmp_lg_u64 s[16:17], 0
	s_barrier
	s_cselect_b32 s33, -1, 0
	s_and_b32 vcc_lo, exec_lo, s18
	buffer_gl0_inv
	s_cbranch_vccz .LBB758_70
; %bb.65:
	s_and_b32 vcc_lo, exec_lo, s33
	s_cbranch_vccz .LBB758_135
; %bb.66:
	v_add_co_u32 v5, s0, -2, s29
	s_delay_alu instid0(VALU_DEP_1)
	v_add_co_ci_u32_e64 v6, null, -1, s14, s0
	v_lshrrev_b32_e32 v7, 16, v15
	v_lshrrev_b32_e32 v8, 16, v14
	;; [unrolled: 1-line block ×3, first 2 shown]
	flat_load_u16 v5, v[5:6]
	v_lshlrev_b32_e32 v6, 1, v0
	v_cmp_ne_u16_e32 vcc_lo, v15, v7
	v_cmp_ne_u16_e64 s0, v8, v15
	v_cmp_ne_u16_e64 s1, v14, v8
	;; [unrolled: 1-line block ×3, first 2 shown]
	ds_store_b16 v6, v7
	v_lshrrev_b32_e32 v7, 16, v4
	v_cmp_ne_u16_e64 s3, v13, v9
	v_lshrrev_b32_e32 v8, 16, v3
	v_lshrrev_b32_e32 v9, 16, v2
	v_cmp_ne_u16_e64 s12, v50, v1
	v_cmp_ne_u16_e64 s4, v7, v13
	;; [unrolled: 1-line block ×3, first 2 shown]
	v_lshrrev_b32_e32 v7, 16, v1
	v_cmp_ne_u16_e64 s6, v8, v4
	v_cmp_ne_u16_e64 s7, v3, v8
	;; [unrolled: 1-line block ×6, first 2 shown]
	s_mov_b32 s30, -1
	s_mov_b32 s18, 0
	s_mov_b32 s19, exec_lo
	s_waitcnt vmcnt(0) lgkmcnt(0)
	s_barrier
	buffer_gl0_inv
	v_cmpx_ne_u32_e32 0, v0
	s_cbranch_execz .LBB758_68
; %bb.67:
	v_add_nc_u32_e32 v5, -2, v6
	ds_load_u16 v5, v5
.LBB758_68:
	s_or_b32 exec_lo, exec_lo, s19
	v_cndmask_b32_e64 v57, 0, 1, vcc_lo
	v_cndmask_b32_e64 v51, 0, 1, s0
	v_cndmask_b32_e64 v52, 0, 1, s1
	;; [unrolled: 1-line block ×13, first 2 shown]
	s_waitcnt lgkmcnt(0)
	v_cmp_ne_u16_e64 s0, v5, v50
	s_and_b32 vcc_lo, exec_lo, s18
	s_cbranch_vccnz .LBB758_136
.LBB758_69:
                                        ; implicit-def: $sgpr31
	s_branch .LBB758_71
.LBB758_70:
	s_mov_b32 s30, 0
                                        ; implicit-def: $sgpr0
                                        ; implicit-def: $vgpr57
                                        ; implicit-def: $vgpr51
                                        ; implicit-def: $vgpr52
                                        ; implicit-def: $vgpr53
                                        ; implicit-def: $vgpr54
                                        ; implicit-def: $vgpr55
                                        ; implicit-def: $vgpr56
                                        ; implicit-def: $vgpr58
                                        ; implicit-def: $vgpr59
                                        ; implicit-def: $vgpr60
                                        ; implicit-def: $vgpr61
                                        ; implicit-def: $vgpr62
                                        ; implicit-def: $vgpr63
                                        ; implicit-def: $vgpr64
                                        ; implicit-def: $sgpr31
	s_cbranch_execnz .LBB758_139
.LBB758_71:
	v_mov_b32_e32 v65, s31
	s_and_saveexec_b32 s1, s30
.LBB758_72:
	v_cndmask_b32_e64 v65, 0, 1, s0
.LBB758_73:
	s_or_b32 exec_lo, exec_lo, s1
	s_delay_alu instid0(VALU_DEP_1)
	v_add3_u32 v5, v64, v65, v63
	v_cmp_eq_u32_e64 s12, 0, v64
	v_cmp_eq_u32_e64 s11, 0, v63
	;; [unrolled: 1-line block ×4, first 2 shown]
	v_add3_u32 v77, v5, v62, v61
	v_cmp_eq_u32_e64 s8, 0, v60
	v_cmp_eq_u32_e64 s7, 0, v59
	;; [unrolled: 1-line block ×9, first 2 shown]
	v_cmp_eq_u32_e32 vcc_lo, 0, v57
	v_mbcnt_lo_u32_b32 v74, -1, 0
	v_lshrrev_b32_e32 v75, 5, v0
	v_or_b32_e32 v76, 31, v0
	s_cmp_eq_u64 s[26:27], 0
	s_cselect_b32 s16, -1, 0
	s_cmp_lg_u32 s15, 0
	s_cbranch_scc0 .LBB758_104
; %bb.74:
	v_cndmask_b32_e64 v5, 0, v22, s12
	v_add3_u32 v6, v77, v60, v59
	v_and_b32_e32 v8, 15, v74
	s_delay_alu instid0(VALU_DEP_3) | instskip(NEXT) | instid1(VALU_DEP_3)
	v_add_nc_u32_e32 v5, v5, v73
	v_add3_u32 v6, v6, v58, v56
	s_delay_alu instid0(VALU_DEP_3) | instskip(NEXT) | instid1(VALU_DEP_3)
	v_cmp_lt_u32_e64 s13, 1, v8
	v_cndmask_b32_e64 v5, 0, v5, s11
	s_delay_alu instid0(VALU_DEP_3) | instskip(NEXT) | instid1(VALU_DEP_2)
	v_add3_u32 v6, v6, v55, v54
	v_add_nc_u32_e32 v5, v5, v23
	s_delay_alu instid0(VALU_DEP_2) | instskip(NEXT) | instid1(VALU_DEP_2)
	v_add3_u32 v6, v6, v53, v52
	v_cndmask_b32_e64 v5, 0, v5, s10
	s_delay_alu instid0(VALU_DEP_2) | instskip(NEXT) | instid1(VALU_DEP_2)
	v_add3_u32 v6, v6, v51, v57
	v_add_nc_u32_e32 v5, v5, v72
	s_delay_alu instid0(VALU_DEP_2) | instskip(NEXT) | instid1(VALU_DEP_2)
	v_mov_b32_dpp v9, v6 row_shr:1 row_mask:0xf bank_mask:0xf
	v_cndmask_b32_e64 v5, 0, v5, s9
	s_delay_alu instid0(VALU_DEP_1) | instskip(NEXT) | instid1(VALU_DEP_1)
	v_add_nc_u32_e32 v5, v5, v20
	v_cndmask_b32_e64 v5, 0, v5, s8
	s_delay_alu instid0(VALU_DEP_1) | instskip(NEXT) | instid1(VALU_DEP_1)
	v_add_nc_u32_e32 v5, v5, v71
	;; [unrolled: 3-line block ×10, first 2 shown]
	v_cndmask_b32_e32 v5, 0, v5, vcc_lo
	v_cmp_eq_u32_e32 vcc_lo, 0, v6
	s_delay_alu instid0(VALU_DEP_2) | instskip(NEXT) | instid1(VALU_DEP_1)
	v_add_nc_u32_e32 v5, v5, v17
	v_mov_b32_dpp v7, v5 row_shr:1 row_mask:0xf bank_mask:0xf
	s_delay_alu instid0(VALU_DEP_1) | instskip(SKIP_2) | instid1(VALU_DEP_1)
	v_cndmask_b32_e32 v7, 0, v7, vcc_lo
	v_cmp_eq_u32_e32 vcc_lo, 0, v8
	v_cndmask_b32_e64 v9, v9, 0, vcc_lo
	v_add_nc_u32_e32 v6, v9, v6
	s_delay_alu instid0(VALU_DEP_4) | instskip(NEXT) | instid1(VALU_DEP_2)
	v_cndmask_b32_e64 v7, v7, 0, vcc_lo
	v_cmp_eq_u32_e32 vcc_lo, 0, v6
	s_delay_alu instid0(VALU_DEP_2) | instskip(SKIP_2) | instid1(VALU_DEP_2)
	v_add_nc_u32_e32 v5, v7, v5
	v_mov_b32_dpp v7, v6 row_shr:2 row_mask:0xf bank_mask:0xf
	s_and_b32 vcc_lo, s13, vcc_lo
	v_mov_b32_dpp v9, v5 row_shr:2 row_mask:0xf bank_mask:0xf
	s_delay_alu instid0(VALU_DEP_2) | instskip(SKIP_1) | instid1(VALU_DEP_2)
	v_cndmask_b32_e64 v7, 0, v7, s13
	v_cmp_lt_u32_e64 s13, 3, v8
	v_dual_cndmask_b32 v9, 0, v9 :: v_dual_add_nc_u32 v6, v6, v7
	s_delay_alu instid0(VALU_DEP_1) | instskip(NEXT) | instid1(VALU_DEP_2)
	v_add_nc_u32_e32 v5, v9, v5
	v_mov_b32_dpp v7, v6 row_shr:4 row_mask:0xf bank_mask:0xf
	v_cmp_eq_u32_e32 vcc_lo, 0, v6
	s_delay_alu instid0(VALU_DEP_3) | instskip(NEXT) | instid1(VALU_DEP_3)
	v_mov_b32_dpp v9, v5 row_shr:4 row_mask:0xf bank_mask:0xf
	v_cndmask_b32_e64 v7, 0, v7, s13
	s_and_b32 vcc_lo, s13, vcc_lo
	v_cmp_lt_u32_e64 s13, 7, v8
	s_delay_alu instid0(VALU_DEP_2) | instskip(NEXT) | instid1(VALU_DEP_1)
	v_dual_cndmask_b32 v9, 0, v9 :: v_dual_add_nc_u32 v6, v7, v6
	v_add_nc_u32_e32 v5, v5, v9
	s_delay_alu instid0(VALU_DEP_2) | instskip(SKIP_2) | instid1(VALU_DEP_4)
	v_cmp_eq_u32_e32 vcc_lo, 0, v6
	v_mov_b32_dpp v7, v6 row_shr:8 row_mask:0xf bank_mask:0xf
	v_bfe_i32 v9, v74, 4, 1
	v_mov_b32_dpp v8, v5 row_shr:8 row_mask:0xf bank_mask:0xf
	s_and_b32 vcc_lo, s13, vcc_lo
	s_delay_alu instid0(VALU_DEP_3) | instskip(SKIP_1) | instid1(VALU_DEP_2)
	v_cndmask_b32_e64 v7, 0, v7, s13
	s_mov_b32 s13, exec_lo
	v_cndmask_b32_e32 v8, 0, v8, vcc_lo
	s_delay_alu instid0(VALU_DEP_1) | instskip(NEXT) | instid1(VALU_DEP_3)
	v_add_nc_u32_e32 v8, v8, v5
	v_add_nc_u32_e32 v5, v7, v6
	ds_swizzle_b32 v6, v8 offset:swizzle(BROADCAST,32,15)
	ds_swizzle_b32 v7, v5 offset:swizzle(BROADCAST,32,15)
	v_cmp_eq_u32_e32 vcc_lo, 0, v5
	s_waitcnt lgkmcnt(0)
	v_dual_cndmask_b32 v6, 0, v6 :: v_dual_and_b32 v7, v9, v7
	s_delay_alu instid0(VALU_DEP_1) | instskip(NEXT) | instid1(VALU_DEP_2)
	v_and_b32_e32 v6, v9, v6
	v_add_nc_u32_e32 v5, v7, v5
	v_lshlrev_b32_e32 v7, 3, v75
	s_delay_alu instid0(VALU_DEP_3)
	v_add_nc_u32_e32 v6, v6, v8
	v_cmpx_eq_u32_e64 v76, v0
	s_cbranch_execz .LBB758_76
; %bb.75:
	ds_store_b64 v7, v[5:6] offset:1040
.LBB758_76:
	s_or_b32 exec_lo, exec_lo, s13
	s_delay_alu instid0(SALU_CYCLE_1)
	s_mov_b32 s14, exec_lo
	s_waitcnt lgkmcnt(0)
	s_barrier
	buffer_gl0_inv
	v_cmpx_gt_u32_e32 8, v0
	s_cbranch_execz .LBB758_78
; %bb.77:
	v_lshlrev_b32_e32 v10, 3, v0
	v_and_b32_e32 v12, 7, v74
	ds_load_b64 v[8:9], v10 offset:1040
	v_cmp_lt_u32_e64 s13, 1, v12
	s_waitcnt lgkmcnt(0)
	v_mov_b32_dpp v11, v9 row_shr:1 row_mask:0xf bank_mask:0xf
	v_cmp_eq_u32_e32 vcc_lo, 0, v8
	v_mov_b32_dpp v24, v8 row_shr:1 row_mask:0xf bank_mask:0xf
	s_delay_alu instid0(VALU_DEP_3) | instskip(SKIP_1) | instid1(VALU_DEP_3)
	v_cndmask_b32_e32 v11, 0, v11, vcc_lo
	v_cmp_eq_u32_e32 vcc_lo, 0, v12
	v_cndmask_b32_e64 v24, v24, 0, vcc_lo
	s_delay_alu instid0(VALU_DEP_3) | instskip(NEXT) | instid1(VALU_DEP_2)
	v_cndmask_b32_e64 v11, v11, 0, vcc_lo
	v_add_nc_u32_e32 v8, v24, v8
	s_delay_alu instid0(VALU_DEP_1) | instskip(SKIP_1) | instid1(VALU_DEP_3)
	v_cmp_eq_u32_e32 vcc_lo, 0, v8
	s_and_b32 vcc_lo, s13, vcc_lo
	v_add_nc_u32_e32 v9, v11, v9
	v_mov_b32_dpp v11, v8 row_shr:2 row_mask:0xf bank_mask:0xf
	s_delay_alu instid0(VALU_DEP_2) | instskip(NEXT) | instid1(VALU_DEP_2)
	v_mov_b32_dpp v24, v9 row_shr:2 row_mask:0xf bank_mask:0xf
	v_cndmask_b32_e64 v11, 0, v11, s13
	v_cmp_lt_u32_e64 s13, 3, v12
	s_delay_alu instid0(VALU_DEP_3) | instskip(NEXT) | instid1(VALU_DEP_3)
	v_cndmask_b32_e32 v24, 0, v24, vcc_lo
	v_add_nc_u32_e32 v8, v11, v8
	s_delay_alu instid0(VALU_DEP_1) | instskip(SKIP_3) | instid1(VALU_DEP_2)
	v_cmp_eq_u32_e32 vcc_lo, 0, v8
	v_mov_b32_dpp v11, v8 row_shr:4 row_mask:0xf bank_mask:0xf
	s_and_b32 vcc_lo, s13, vcc_lo
	v_add_nc_u32_e32 v9, v24, v9
	v_cndmask_b32_e64 v11, 0, v11, s13
	s_delay_alu instid0(VALU_DEP_2) | instskip(NEXT) | instid1(VALU_DEP_2)
	v_mov_b32_dpp v12, v9 row_shr:4 row_mask:0xf bank_mask:0xf
	v_add_nc_u32_e32 v8, v11, v8
	s_delay_alu instid0(VALU_DEP_2) | instskip(NEXT) | instid1(VALU_DEP_1)
	v_cndmask_b32_e32 v12, 0, v12, vcc_lo
	v_add_nc_u32_e32 v9, v12, v9
	ds_store_b64 v10, v[8:9] offset:1040
.LBB758_78:
	s_or_b32 exec_lo, exec_lo, s14
	v_cmp_gt_u32_e32 vcc_lo, 32, v0
	v_dual_mov_b32 v24, 0 :: v_dual_mov_b32 v25, 0
	s_mov_b32 s14, exec_lo
	s_waitcnt lgkmcnt(0)
	s_barrier
	buffer_gl0_inv
	v_cmpx_lt_u32_e32 31, v0
	s_cbranch_execz .LBB758_80
; %bb.79:
	ds_load_b64 v[24:25], v7 offset:1032
	v_cmp_eq_u32_e64 s13, 0, v5
	s_waitcnt lgkmcnt(0)
	s_delay_alu instid0(VALU_DEP_1) | instskip(SKIP_1) | instid1(VALU_DEP_2)
	v_cndmask_b32_e64 v7, 0, v25, s13
	v_add_nc_u32_e32 v5, v24, v5
	v_add_nc_u32_e32 v6, v7, v6
.LBB758_80:
	s_or_b32 exec_lo, exec_lo, s14
	v_add_nc_u32_e32 v7, -1, v74
	s_delay_alu instid0(VALU_DEP_1) | instskip(NEXT) | instid1(VALU_DEP_1)
	v_cmp_gt_i32_e64 s13, 0, v7
	v_cndmask_b32_e64 v7, v7, v74, s13
	v_cmp_eq_u32_e64 s13, 0, v74
	s_delay_alu instid0(VALU_DEP_2)
	v_lshlrev_b32_e32 v7, 2, v7
	ds_bpermute_b32 v30, v7, v5
	ds_bpermute_b32 v31, v7, v6
	s_and_saveexec_b32 s17, vcc_lo
	s_cbranch_execz .LBB758_103
; %bb.81:
	v_mov_b32_e32 v8, 0
	ds_load_b64 v[5:6], v8 offset:1096
	s_waitcnt lgkmcnt(0)
	v_readfirstlane_b32 s18, v6
	s_and_saveexec_b32 s14, s13
	s_cbranch_execz .LBB758_83
; %bb.82:
	s_add_i32 s26, s15, 32
	s_mov_b32 s27, 0
	v_mov_b32_e32 v7, 1
	s_lshl_b64 s[30:31], s[26:27], 4
	s_mov_b32 s40, s27
	s_add_u32 s30, s24, s30
	s_addc_u32 s31, s25, s31
	s_and_b32 s41, s18, 0xff000000
	s_and_b32 s45, s18, 0xff0000
	s_mov_b32 s44, s27
	v_dual_mov_b32 v9, s30 :: v_dual_mov_b32 v10, s31
	s_or_b64 s[40:41], s[44:45], s[40:41]
	s_and_b32 s45, s18, 0xff00
	s_delay_alu instid0(SALU_CYCLE_1) | instskip(SKIP_1) | instid1(SALU_CYCLE_1)
	s_or_b64 s[40:41], s[40:41], s[44:45]
	s_and_b32 s45, s18, 0xff
	s_or_b64 s[26:27], s[40:41], s[44:45]
	s_delay_alu instid0(SALU_CYCLE_1)
	v_mov_b32_e32 v6, s27
	;;#ASMSTART
	global_store_dwordx4 v[9:10], v[5:8] off	
s_waitcnt vmcnt(0)
	;;#ASMEND
.LBB758_83:
	s_or_b32 exec_lo, exec_lo, s14
	v_xad_u32 v26, v74, -1, s15
	s_mov_b32 s19, 0
	s_mov_b32 s14, exec_lo
	s_delay_alu instid0(VALU_DEP_1) | instskip(NEXT) | instid1(VALU_DEP_1)
	v_add_nc_u32_e32 v7, 32, v26
	v_lshlrev_b64 v[6:7], 4, v[7:8]
	s_delay_alu instid0(VALU_DEP_1) | instskip(NEXT) | instid1(VALU_DEP_2)
	v_add_co_u32 v6, vcc_lo, s24, v6
	v_add_co_ci_u32_e32 v7, vcc_lo, s25, v7, vcc_lo
	;;#ASMSTART
	global_load_dwordx4 v[9:12], v[6:7] off glc	
s_waitcnt vmcnt(0)
	;;#ASMEND
	v_and_b32_e32 v8, 0xff, v10
	v_and_b32_e32 v12, 0xff00, v10
	;; [unrolled: 1-line block ×3, first 2 shown]
	v_or3_b32 v9, v9, 0, 0
	v_and_b32_e32 v10, 0xff000000, v10
	s_delay_alu instid0(VALU_DEP_4) | instskip(SKIP_1) | instid1(VALU_DEP_4)
	v_or3_b32 v8, 0, v8, v12
	v_and_b32_e32 v12, 0xff, v11
	v_or3_b32 v9, v9, 0, 0
	s_delay_alu instid0(VALU_DEP_3) | instskip(NEXT) | instid1(VALU_DEP_3)
	v_or3_b32 v10, v8, v27, v10
	v_cmpx_eq_u16_e32 0, v12
	s_cbranch_execz .LBB758_89
; %bb.84:
	s_mov_b32 s26, 1
	.p2align	6
.LBB758_85:                             ; =>This Loop Header: Depth=1
                                        ;     Child Loop BB758_86 Depth 2
	s_delay_alu instid0(SALU_CYCLE_1)
	s_max_u32 s27, s26, 1
.LBB758_86:                             ;   Parent Loop BB758_85 Depth=1
                                        ; =>  This Inner Loop Header: Depth=2
	s_delay_alu instid0(SALU_CYCLE_1)
	s_add_i32 s27, s27, -1
	s_sleep 1
	s_cmp_eq_u32 s27, 0
	s_cbranch_scc0 .LBB758_86
; %bb.87:                               ;   in Loop: Header=BB758_85 Depth=1
	;;#ASMSTART
	global_load_dwordx4 v[9:12], v[6:7] off glc	
s_waitcnt vmcnt(0)
	;;#ASMEND
	v_and_b32_e32 v8, 0xff, v11
	s_cmp_lt_u32 s26, 32
	s_cselect_b32 s27, -1, 0
	s_delay_alu instid0(VALU_DEP_1) | instskip(SKIP_3) | instid1(SALU_CYCLE_1)
	v_cmp_ne_u16_e32 vcc_lo, 0, v8
	s_cmp_lg_u32 s27, 0
	s_addc_u32 s26, s26, 0
	s_or_b32 s19, vcc_lo, s19
	s_and_not1_b32 exec_lo, exec_lo, s19
	s_cbranch_execnz .LBB758_85
; %bb.88:
	s_or_b32 exec_lo, exec_lo, s19
.LBB758_89:
	s_delay_alu instid0(SALU_CYCLE_1)
	s_or_b32 exec_lo, exec_lo, s14
	v_cmp_ne_u32_e32 vcc_lo, 31, v74
	v_and_b32_e32 v7, 0xff, v11
	v_lshlrev_b32_e64 v32, v74, -1
	v_add_nc_u32_e32 v34, 2, v74
	v_add_nc_u32_e32 v36, 4, v74
	v_add_co_ci_u32_e32 v6, vcc_lo, 0, v74, vcc_lo
	v_cmp_eq_u16_e32 vcc_lo, 2, v7
	v_add_nc_u32_e32 v38, 8, v74
	v_add_nc_u32_e32 v40, 16, v74
	v_and_or_b32 v12, vcc_lo, v32, 0x80000000
	v_cmp_gt_u32_e32 vcc_lo, 30, v74
	s_delay_alu instid0(VALU_DEP_2) | instskip(SKIP_2) | instid1(VALU_DEP_3)
	v_ctz_i32_b32_e32 v12, v12
	v_cndmask_b32_e64 v27, 0, 1, vcc_lo
	v_cmp_eq_u32_e32 vcc_lo, 0, v9
	v_cmp_lt_u32_e64 s14, v74, v12
	s_delay_alu instid0(VALU_DEP_3) | instskip(NEXT) | instid1(VALU_DEP_2)
	v_lshlrev_b32_e32 v27, 1, v27
	s_and_b32 vcc_lo, s14, vcc_lo
	v_lshlrev_b32_e32 v6, 2, v6
	s_delay_alu instid0(VALU_DEP_2)
	v_add_lshl_u32 v33, v27, v74, 2
	ds_bpermute_b32 v7, v6, v10
	s_waitcnt lgkmcnt(0)
	v_cndmask_b32_e32 v7, 0, v7, vcc_lo
	ds_bpermute_b32 v8, v6, v9
	v_cmp_gt_u32_e32 vcc_lo, 28, v74
	v_add_nc_u32_e32 v7, v7, v10
	ds_bpermute_b32 v10, v33, v7
	s_waitcnt lgkmcnt(1)
	v_cndmask_b32_e64 v8, 0, v8, s14
	s_delay_alu instid0(VALU_DEP_1) | instskip(SKIP_1) | instid1(VALU_DEP_2)
	v_add_nc_u32_e32 v8, v8, v9
	v_cndmask_b32_e64 v9, 0, 1, vcc_lo
	v_cmp_eq_u32_e32 vcc_lo, 0, v8
	ds_bpermute_b32 v27, v33, v8
	s_waitcnt lgkmcnt(1)
	v_dual_cndmask_b32 v10, 0, v10 :: v_dual_lshlrev_b32 v9, 2, v9
	v_cmp_gt_u32_e32 vcc_lo, v34, v12
	s_delay_alu instid0(VALU_DEP_2) | instskip(NEXT) | instid1(VALU_DEP_3)
	v_add_lshl_u32 v35, v9, v74, 2
	v_cndmask_b32_e64 v10, v10, 0, vcc_lo
	s_delay_alu instid0(VALU_DEP_1) | instskip(SKIP_4) | instid1(VALU_DEP_2)
	v_add_nc_u32_e32 v7, v10, v7
	ds_bpermute_b32 v9, v35, v7
	s_waitcnt lgkmcnt(1)
	v_cndmask_b32_e64 v10, v27, 0, vcc_lo
	v_cmp_gt_u32_e32 vcc_lo, 24, v74
	v_add_nc_u32_e32 v8, v8, v10
	v_cndmask_b32_e64 v27, 0, 1, vcc_lo
	ds_bpermute_b32 v10, v35, v8
	v_cmp_eq_u32_e32 vcc_lo, 0, v8
	v_lshlrev_b32_e32 v27, 3, v27
	s_delay_alu instid0(VALU_DEP_1) | instskip(SKIP_3) | instid1(VALU_DEP_2)
	v_add_lshl_u32 v37, v27, v74, 2
	s_waitcnt lgkmcnt(1)
	v_cndmask_b32_e32 v9, 0, v9, vcc_lo
	v_cmp_gt_u32_e32 vcc_lo, v36, v12
	v_cndmask_b32_e64 v9, v9, 0, vcc_lo
	s_delay_alu instid0(VALU_DEP_1)
	v_add_nc_u32_e32 v7, v7, v9
	s_waitcnt lgkmcnt(0)
	v_cndmask_b32_e64 v10, v10, 0, vcc_lo
	v_cmp_gt_u32_e32 vcc_lo, 16, v74
	ds_bpermute_b32 v9, v37, v7
	v_add_nc_u32_e32 v8, v8, v10
	v_cndmask_b32_e64 v27, 0, 1, vcc_lo
	ds_bpermute_b32 v10, v37, v8
	v_cmp_eq_u32_e32 vcc_lo, 0, v8
	v_lshlrev_b32_e32 v27, 4, v27
	s_delay_alu instid0(VALU_DEP_1) | instskip(SKIP_4) | instid1(VALU_DEP_2)
	v_add_lshl_u32 v39, v27, v74, 2
	v_mov_b32_e32 v27, 0
	s_waitcnt lgkmcnt(1)
	v_cndmask_b32_e32 v9, 0, v9, vcc_lo
	v_cmp_gt_u32_e32 vcc_lo, v38, v12
	v_cndmask_b32_e64 v9, v9, 0, vcc_lo
	s_delay_alu instid0(VALU_DEP_1)
	v_add_nc_u32_e32 v7, v7, v9
	s_waitcnt lgkmcnt(0)
	v_cndmask_b32_e64 v9, v10, 0, vcc_lo
	ds_bpermute_b32 v10, v39, v7
	v_add_nc_u32_e32 v8, v8, v9
	ds_bpermute_b32 v9, v39, v8
	v_cmp_eq_u32_e32 vcc_lo, 0, v8
	s_waitcnt lgkmcnt(1)
	v_cndmask_b32_e32 v10, 0, v10, vcc_lo
	v_cmp_gt_u32_e32 vcc_lo, v40, v12
	s_delay_alu instid0(VALU_DEP_2) | instskip(SKIP_2) | instid1(VALU_DEP_2)
	v_cndmask_b32_e64 v10, v10, 0, vcc_lo
	s_waitcnt lgkmcnt(0)
	v_cndmask_b32_e64 v9, v9, 0, vcc_lo
	v_add_nc_u32_e32 v10, v10, v7
	s_delay_alu instid0(VALU_DEP_2)
	v_add_nc_u32_e32 v9, v9, v8
	s_branch .LBB758_91
.LBB758_90:                             ;   in Loop: Header=BB758_91 Depth=1
	s_or_b32 exec_lo, exec_lo, s14
	v_and_b32_e32 v12, 0xff, v11
	ds_bpermute_b32 v28, v6, v9
	v_subrev_nc_u32_e32 v26, 32, v26
	v_cmp_eq_u16_e32 vcc_lo, 2, v12
	ds_bpermute_b32 v12, v6, v10
	v_and_or_b32 v29, vcc_lo, v32, 0x80000000
	v_cmp_eq_u32_e32 vcc_lo, 0, v9
	s_delay_alu instid0(VALU_DEP_2) | instskip(NEXT) | instid1(VALU_DEP_1)
	v_ctz_i32_b32_e32 v29, v29
	v_cmp_lt_u32_e64 s14, v74, v29
	s_delay_alu instid0(VALU_DEP_1) | instskip(SKIP_4) | instid1(VALU_DEP_2)
	s_and_b32 vcc_lo, s14, vcc_lo
	s_waitcnt lgkmcnt(1)
	v_cndmask_b32_e64 v28, 0, v28, s14
	s_waitcnt lgkmcnt(0)
	v_cndmask_b32_e32 v12, 0, v12, vcc_lo
	v_add_nc_u32_e32 v9, v28, v9
	s_delay_alu instid0(VALU_DEP_2) | instskip(NEXT) | instid1(VALU_DEP_2)
	v_add_nc_u32_e32 v10, v12, v10
	v_cmp_eq_u32_e32 vcc_lo, 0, v9
	ds_bpermute_b32 v12, v33, v10
	ds_bpermute_b32 v28, v33, v9
	s_waitcnt lgkmcnt(1)
	v_cndmask_b32_e32 v12, 0, v12, vcc_lo
	v_cmp_gt_u32_e32 vcc_lo, v34, v29
	s_delay_alu instid0(VALU_DEP_2) | instskip(SKIP_2) | instid1(VALU_DEP_2)
	v_cndmask_b32_e64 v12, v12, 0, vcc_lo
	s_waitcnt lgkmcnt(0)
	v_cndmask_b32_e64 v28, v28, 0, vcc_lo
	v_add_nc_u32_e32 v10, v12, v10
	s_delay_alu instid0(VALU_DEP_2)
	v_add_nc_u32_e32 v9, v9, v28
	ds_bpermute_b32 v12, v35, v10
	v_cmp_eq_u32_e32 vcc_lo, 0, v9
	ds_bpermute_b32 v28, v35, v9
	s_waitcnt lgkmcnt(1)
	v_cndmask_b32_e32 v12, 0, v12, vcc_lo
	v_cmp_gt_u32_e32 vcc_lo, v36, v29
	s_delay_alu instid0(VALU_DEP_2) | instskip(SKIP_2) | instid1(VALU_DEP_2)
	v_cndmask_b32_e64 v12, v12, 0, vcc_lo
	s_waitcnt lgkmcnt(0)
	v_cndmask_b32_e64 v28, v28, 0, vcc_lo
	v_add_nc_u32_e32 v10, v10, v12
	s_delay_alu instid0(VALU_DEP_2)
	v_add_nc_u32_e32 v9, v9, v28
	ds_bpermute_b32 v12, v37, v10
	ds_bpermute_b32 v28, v37, v9
	v_cmp_eq_u32_e32 vcc_lo, 0, v9
	s_waitcnt lgkmcnt(1)
	v_cndmask_b32_e32 v12, 0, v12, vcc_lo
	v_cmp_gt_u32_e32 vcc_lo, v38, v29
	s_delay_alu instid0(VALU_DEP_2) | instskip(SKIP_2) | instid1(VALU_DEP_2)
	v_cndmask_b32_e64 v12, v12, 0, vcc_lo
	s_waitcnt lgkmcnt(0)
	v_cndmask_b32_e64 v28, v28, 0, vcc_lo
	v_add_nc_u32_e32 v10, v10, v12
	s_delay_alu instid0(VALU_DEP_2)
	v_add_nc_u32_e32 v9, v9, v28
	ds_bpermute_b32 v12, v39, v10
	ds_bpermute_b32 v28, v39, v9
	v_cmp_eq_u32_e32 vcc_lo, 0, v9
	s_waitcnt lgkmcnt(1)
	v_cndmask_b32_e32 v12, 0, v12, vcc_lo
	v_cmp_gt_u32_e32 vcc_lo, v40, v29
	s_delay_alu instid0(VALU_DEP_2) | instskip(NEXT) | instid1(VALU_DEP_1)
	v_cndmask_b32_e64 v12, v12, 0, vcc_lo
	v_add_nc_u32_e32 v10, v12, v10
	s_waitcnt lgkmcnt(0)
	v_cndmask_b32_e64 v12, v28, 0, vcc_lo
	v_cmp_eq_u32_e32 vcc_lo, 0, v7
	s_delay_alu instid0(VALU_DEP_2) | instskip(SKIP_1) | instid1(VALU_DEP_1)
	v_add3_u32 v9, v9, v7, v12
	v_cndmask_b32_e32 v10, 0, v10, vcc_lo
	v_add_nc_u32_e32 v10, v10, v8
.LBB758_91:                             ; =>This Loop Header: Depth=1
                                        ;     Child Loop BB758_94 Depth 2
                                        ;       Child Loop BB758_95 Depth 3
	s_delay_alu instid0(VALU_DEP_1) | instskip(NEXT) | instid1(VALU_DEP_1)
	v_dual_mov_b32 v8, v10 :: v_dual_and_b32 v7, 0xff, v11
	v_cmp_ne_u16_e32 vcc_lo, 2, v7
	v_cndmask_b32_e64 v7, 0, 1, vcc_lo
	;;#ASMSTART
	;;#ASMEND
	s_delay_alu instid0(VALU_DEP_1)
	v_cmp_ne_u32_e32 vcc_lo, 0, v7
	v_mov_b32_e32 v7, v9
	s_cmp_lg_u32 vcc_lo, exec_lo
	s_cbranch_scc1 .LBB758_98
; %bb.92:                               ;   in Loop: Header=BB758_91 Depth=1
	v_lshlrev_b64 v[9:10], 4, v[26:27]
	s_mov_b32 s14, exec_lo
	s_delay_alu instid0(VALU_DEP_1) | instskip(NEXT) | instid1(VALU_DEP_2)
	v_add_co_u32 v28, vcc_lo, s24, v9
	v_add_co_ci_u32_e32 v29, vcc_lo, s25, v10, vcc_lo
	;;#ASMSTART
	global_load_dwordx4 v[9:12], v[28:29] off glc	
s_waitcnt vmcnt(0)
	;;#ASMEND
	v_and_b32_e32 v12, 0xff, v10
	v_and_b32_e32 v41, 0xff00, v10
	v_and_b32_e32 v42, 0xff0000, v10
	v_or3_b32 v9, v9, 0, 0
	v_and_b32_e32 v10, 0xff000000, v10
	s_delay_alu instid0(VALU_DEP_4) | instskip(SKIP_1) | instid1(VALU_DEP_4)
	v_or3_b32 v12, 0, v12, v41
	v_and_b32_e32 v41, 0xff, v11
	v_or3_b32 v9, v9, 0, 0
	s_delay_alu instid0(VALU_DEP_3) | instskip(NEXT) | instid1(VALU_DEP_3)
	v_or3_b32 v10, v12, v42, v10
	v_cmpx_eq_u16_e32 0, v41
	s_cbranch_execz .LBB758_90
; %bb.93:                               ;   in Loop: Header=BB758_91 Depth=1
	s_mov_b32 s26, 1
	s_mov_b32 s19, 0
	.p2align	6
.LBB758_94:                             ;   Parent Loop BB758_91 Depth=1
                                        ; =>  This Loop Header: Depth=2
                                        ;       Child Loop BB758_95 Depth 3
	s_max_u32 s27, s26, 1
.LBB758_95:                             ;   Parent Loop BB758_91 Depth=1
                                        ;     Parent Loop BB758_94 Depth=2
                                        ; =>    This Inner Loop Header: Depth=3
	s_delay_alu instid0(SALU_CYCLE_1)
	s_add_i32 s27, s27, -1
	s_sleep 1
	s_cmp_eq_u32 s27, 0
	s_cbranch_scc0 .LBB758_95
; %bb.96:                               ;   in Loop: Header=BB758_94 Depth=2
	;;#ASMSTART
	global_load_dwordx4 v[9:12], v[28:29] off glc	
s_waitcnt vmcnt(0)
	;;#ASMEND
	v_and_b32_e32 v12, 0xff, v11
	s_cmp_lt_u32 s26, 32
	s_cselect_b32 s27, -1, 0
	s_delay_alu instid0(SALU_CYCLE_1) | instskip(NEXT) | instid1(VALU_DEP_1)
	s_cmp_lg_u32 s27, 0
	v_cmp_ne_u16_e32 vcc_lo, 0, v12
	s_addc_u32 s26, s26, 0
	s_or_b32 s19, vcc_lo, s19
	s_delay_alu instid0(SALU_CYCLE_1)
	s_and_not1_b32 exec_lo, exec_lo, s19
	s_cbranch_execnz .LBB758_94
; %bb.97:                               ;   in Loop: Header=BB758_91 Depth=1
	s_or_b32 exec_lo, exec_lo, s19
	s_branch .LBB758_90
.LBB758_98:                             ;   in Loop: Header=BB758_91 Depth=1
                                        ; implicit-def: $vgpr10
                                        ; implicit-def: $vgpr9
                                        ; implicit-def: $vgpr11
	s_cbranch_execz .LBB758_91
; %bb.99:
	s_and_saveexec_b32 s14, s13
	s_cbranch_execz .LBB758_101
; %bb.100:
	v_cmp_eq_u32_e32 vcc_lo, 0, v5
	s_mov_b32 s27, 0
	s_add_i32 s26, s15, 32
	v_add_nc_u32_e32 v9, v7, v5
	s_lshl_b64 s[26:27], s[26:27], 4
	v_cndmask_b32_e32 v6, 0, v8, vcc_lo
	s_add_u32 s26, s24, s26
	s_addc_u32 s27, s25, s27
	v_mov_b32_e32 v12, 0
	s_delay_alu instid0(VALU_DEP_2) | instskip(NEXT) | instid1(VALU_DEP_1)
	v_add_nc_u32_e32 v6, s18, v6
	v_and_b32_e32 v10, 0xff000000, v6
	v_and_b32_e32 v11, 0xff0000, v6
	s_delay_alu instid0(VALU_DEP_1) | instskip(SKIP_2) | instid1(VALU_DEP_1)
	v_or_b32_e32 v10, v11, v10
	v_dual_mov_b32 v11, 2 :: v_dual_and_b32 v26, 0xff00, v6
	v_and_b32_e32 v6, 0xff, v6
	v_or3_b32 v10, v10, v26, v6
	v_mov_b32_e32 v6, s18
	v_dual_mov_b32 v26, s26 :: v_dual_mov_b32 v27, s27
	;;#ASMSTART
	global_store_dwordx4 v[26:27], v[9:12] off	
s_waitcnt vmcnt(0)
	;;#ASMEND
	ds_store_b128 v12, v[5:8] offset:1024
.LBB758_101:
	s_or_b32 exec_lo, exec_lo, s14
	v_cmp_eq_u32_e32 vcc_lo, 0, v0
	s_and_b32 exec_lo, exec_lo, vcc_lo
	s_cbranch_execz .LBB758_103
; %bb.102:
	v_mov_b32_e32 v5, 0
	ds_store_b64 v5, v[7:8] offset:1096
.LBB758_103:
	s_or_b32 exec_lo, exec_lo, s17
	s_waitcnt lgkmcnt(1)
	v_cndmask_b32_e64 v8, v30, v24, s13
	s_waitcnt lgkmcnt(0)
	s_barrier
	buffer_gl0_inv
	v_cndmask_b32_e64 v9, v31, v25, s13
	v_cmp_eq_u32_e32 vcc_lo, 0, v8
	v_mov_b32_e32 v7, 0
	v_cmp_eq_u32_e64 s13, 0, v65
	ds_load_b64 v[5:6], v7 offset:1096
	s_waitcnt lgkmcnt(0)
	s_barrier
	buffer_gl0_inv
	v_cndmask_b32_e32 v10, 0, v6, vcc_lo
	v_cmp_eq_u32_e32 vcc_lo, 0, v0
	s_delay_alu instid0(VALU_DEP_2) | instskip(NEXT) | instid1(VALU_DEP_1)
	v_add_nc_u32_e32 v9, v10, v9
	v_cndmask_b32_e32 v41, v9, v6, vcc_lo
	s_delay_alu instid0(VALU_DEP_1) | instskip(NEXT) | instid1(VALU_DEP_1)
	v_cndmask_b32_e64 v6, 0, v41, s13
	v_add_nc_u32_e32 v47, v6, v22
	s_delay_alu instid0(VALU_DEP_1) | instskip(NEXT) | instid1(VALU_DEP_1)
	v_cndmask_b32_e64 v6, 0, v47, s12
	v_add_nc_u32_e32 v43, v6, v73
	;; [unrolled: 3-line block ×6, first 2 shown]
	v_cndmask_b32_e64 v6, v8, 0, vcc_lo
	s_delay_alu instid0(VALU_DEP_2) | instskip(NEXT) | instid1(VALU_DEP_2)
	v_cndmask_b32_e64 v8, 0, v27, s7
	v_add_nc_u32_e32 v40, v5, v6
	s_delay_alu instid0(VALU_DEP_2) | instskip(NEXT) | instid1(VALU_DEP_2)
	v_add_nc_u32_e32 v31, v8, v21
	v_add_nc_u32_e32 v46, v40, v65
	s_delay_alu instid0(VALU_DEP_2) | instskip(NEXT) | instid1(VALU_DEP_2)
	v_cndmask_b32_e64 v5, 0, v31, s6
	v_add_nc_u32_e32 v42, v46, v64
	s_delay_alu instid0(VALU_DEP_2) | instskip(NEXT) | instid1(VALU_DEP_2)
	v_add_nc_u32_e32 v35, v5, v70
	v_add_nc_u32_e32 v38, v42, v63
	;; [unrolled: 6-line block ×4, first 2 shown]
	s_delay_alu instid0(VALU_DEP_2) | instskip(NEXT) | instid1(VALU_DEP_2)
	v_cndmask_b32_e64 v5, 0, v12, s3
	v_add_nc_u32_e32 v34, v30, v58
	s_delay_alu instid0(VALU_DEP_2) | instskip(SKIP_3) | instid1(VALU_DEP_2)
	v_add_nc_u32_e32 v25, v5, v19
	ds_load_b128 v[5:8], v7 offset:1024
	v_add_nc_u32_e32 v9, v34, v56
	v_cndmask_b32_e64 v24, 0, v25, s2
	v_add_nc_u32_e32 v11, v9, v55
	s_delay_alu instid0(VALU_DEP_2) | instskip(NEXT) | instid1(VALU_DEP_2)
	v_add_nc_u32_e32 v49, v24, v68
	v_add_nc_u32_e32 v24, v11, v54
	s_delay_alu instid0(VALU_DEP_2) | instskip(NEXT) | instid1(VALU_DEP_2)
	v_cndmask_b32_e64 v36, 0, v49, s1
	v_add_nc_u32_e32 v48, v24, v53
	s_delay_alu instid0(VALU_DEP_2) | instskip(SKIP_2) | instid1(VALU_DEP_3)
	v_add_nc_u32_e32 v45, v36, v16
	s_waitcnt lgkmcnt(0)
	v_cmp_eq_u32_e32 vcc_lo, 0, v5
	v_add_nc_u32_e32 v44, v48, v52
	s_delay_alu instid0(VALU_DEP_3) | instskip(SKIP_1) | instid1(VALU_DEP_3)
	v_cndmask_b32_e64 v37, 0, v45, s0
	v_cndmask_b32_e32 v8, 0, v8, vcc_lo
	v_add_nc_u32_e32 v36, v44, v51
	s_delay_alu instid0(VALU_DEP_3) | instskip(NEXT) | instid1(VALU_DEP_3)
	v_add_nc_u32_e32 v37, v37, v67
	v_add_nc_u32_e32 v66, v8, v6
	s_branch .LBB758_116
.LBB758_104:
                                        ; implicit-def: $vgpr5
                                        ; implicit-def: $vgpr66
                                        ; implicit-def: $vgpr40_vgpr41
                                        ; implicit-def: $vgpr46_vgpr47
                                        ; implicit-def: $vgpr42_vgpr43
                                        ; implicit-def: $vgpr38_vgpr39
                                        ; implicit-def: $vgpr32_vgpr33
                                        ; implicit-def: $vgpr28_vgpr29
                                        ; implicit-def: $vgpr26_vgpr27
                                        ; implicit-def: $vgpr30_vgpr31
                                        ; implicit-def: $vgpr34_vgpr35
                                        ; implicit-def: $vgpr9_vgpr10
                                        ; implicit-def: $vgpr11_vgpr12
                                        ; implicit-def: $vgpr24_vgpr25
                                        ; implicit-def: $vgpr48_vgpr49
                                        ; implicit-def: $vgpr44_vgpr45
                                        ; implicit-def: $vgpr36_vgpr37
	s_cbranch_execz .LBB758_116
; %bb.105:
	s_and_b32 s0, s16, exec_lo
	v_mov_b32_e32 v36, v22
	s_cselect_b32 s1, 0, s35
	s_cselect_b32 s0, 0, s34
	s_delay_alu instid0(SALU_CYCLE_1)
	s_cmp_eq_u64 s[0:1], 0
	s_cbranch_scc1 .LBB758_107
; %bb.106:
	v_mov_b32_e32 v5, 0
	global_load_b32 v36, v5, s[0:1]
.LBB758_107:
	v_cmp_eq_u32_e64 s6, 0, v64
	v_cmp_eq_u32_e64 s7, 0, v63
	;; [unrolled: 1-line block ×5, first 2 shown]
	v_cndmask_b32_e64 v5, 0, v22, s6
	v_cmp_eq_u32_e64 s11, 0, v59
	v_cmp_eq_u32_e64 s5, 0, v58
	;; [unrolled: 1-line block ×4, first 2 shown]
	v_add_nc_u32_e32 v5, v5, v73
	v_cmp_eq_u32_e64 s2, 0, v54
	v_cmp_eq_u32_e64 s1, 0, v53
	v_cmp_eq_u32_e32 vcc_lo, 0, v52
	v_add3_u32 v6, v77, v60, v59
	v_cndmask_b32_e64 v5, 0, v5, s7
	v_cmp_eq_u32_e64 s0, 0, v51
	v_cmp_eq_u32_e64 s12, 0, v57
	v_and_b32_e32 v8, 15, v74
	v_add3_u32 v6, v6, v58, v56
	v_add_nc_u32_e32 v5, v5, v23
	s_delay_alu instid0(VALU_DEP_3) | instskip(NEXT) | instid1(VALU_DEP_3)
	v_cmp_lt_u32_e64 s13, 1, v8
	v_add3_u32 v6, v6, v55, v54
	s_delay_alu instid0(VALU_DEP_3) | instskip(NEXT) | instid1(VALU_DEP_2)
	v_cndmask_b32_e64 v5, 0, v5, s8
	v_add3_u32 v6, v6, v53, v52
	s_delay_alu instid0(VALU_DEP_2) | instskip(NEXT) | instid1(VALU_DEP_2)
	v_add_nc_u32_e32 v5, v5, v72
	v_add3_u32 v6, v6, v51, v57
	s_delay_alu instid0(VALU_DEP_2) | instskip(NEXT) | instid1(VALU_DEP_2)
	v_cndmask_b32_e64 v5, 0, v5, s9
	v_mov_b32_dpp v9, v6 row_shr:1 row_mask:0xf bank_mask:0xf
	s_delay_alu instid0(VALU_DEP_2) | instskip(NEXT) | instid1(VALU_DEP_1)
	v_add_nc_u32_e32 v5, v5, v20
	v_cndmask_b32_e64 v5, 0, v5, s10
	s_delay_alu instid0(VALU_DEP_1) | instskip(NEXT) | instid1(VALU_DEP_1)
	v_add_nc_u32_e32 v5, v5, v71
	v_cndmask_b32_e64 v5, 0, v5, s11
	s_delay_alu instid0(VALU_DEP_1) | instskip(NEXT) | instid1(VALU_DEP_1)
	;; [unrolled: 3-line block ×7, first 2 shown]
	v_add_nc_u32_e32 v5, v5, v68
	v_cndmask_b32_e32 v5, 0, v5, vcc_lo
	s_delay_alu instid0(VALU_DEP_1) | instskip(NEXT) | instid1(VALU_DEP_1)
	v_add_nc_u32_e32 v5, v5, v16
	v_cndmask_b32_e64 v5, 0, v5, s0
	s_delay_alu instid0(VALU_DEP_1) | instskip(NEXT) | instid1(VALU_DEP_1)
	v_add_nc_u32_e32 v5, v5, v67
	v_cndmask_b32_e64 v5, 0, v5, s12
	v_cmp_eq_u32_e64 s12, 0, v6
	s_delay_alu instid0(VALU_DEP_2) | instskip(NEXT) | instid1(VALU_DEP_1)
	v_add_nc_u32_e32 v5, v5, v17
	v_mov_b32_dpp v7, v5 row_shr:1 row_mask:0xf bank_mask:0xf
	s_delay_alu instid0(VALU_DEP_1) | instskip(SKIP_1) | instid1(VALU_DEP_1)
	v_cndmask_b32_e64 v7, 0, v7, s12
	v_cmp_eq_u32_e64 s12, 0, v8
	v_cndmask_b32_e64 v9, v9, 0, s12
	s_delay_alu instid0(VALU_DEP_3) | instskip(NEXT) | instid1(VALU_DEP_2)
	v_cndmask_b32_e64 v7, v7, 0, s12
	v_add_nc_u32_e32 v6, v9, v6
	s_delay_alu instid0(VALU_DEP_2) | instskip(NEXT) | instid1(VALU_DEP_2)
	v_add_nc_u32_e32 v5, v7, v5
	v_mov_b32_dpp v7, v6 row_shr:2 row_mask:0xf bank_mask:0xf
	v_cmp_eq_u32_e64 s12, 0, v6
	s_delay_alu instid0(VALU_DEP_3) | instskip(NEXT) | instid1(VALU_DEP_3)
	v_mov_b32_dpp v9, v5 row_shr:2 row_mask:0xf bank_mask:0xf
	v_cndmask_b32_e64 v7, 0, v7, s13
	s_delay_alu instid0(VALU_DEP_3) | instskip(SKIP_1) | instid1(VALU_DEP_3)
	s_and_b32 s12, s13, s12
	v_cmp_lt_u32_e64 s13, 3, v8
	v_cndmask_b32_e64 v9, 0, v9, s12
	s_delay_alu instid0(VALU_DEP_3) | instskip(NEXT) | instid1(VALU_DEP_2)
	v_add_nc_u32_e32 v6, v6, v7
	v_add_nc_u32_e32 v5, v9, v5
	s_delay_alu instid0(VALU_DEP_2) | instskip(SKIP_1) | instid1(VALU_DEP_3)
	v_mov_b32_dpp v7, v6 row_shr:4 row_mask:0xf bank_mask:0xf
	v_cmp_eq_u32_e64 s12, 0, v6
	v_mov_b32_dpp v9, v5 row_shr:4 row_mask:0xf bank_mask:0xf
	s_delay_alu instid0(VALU_DEP_3) | instskip(NEXT) | instid1(VALU_DEP_3)
	v_cndmask_b32_e64 v7, 0, v7, s13
	s_and_b32 s12, s13, s12
	v_cmp_lt_u32_e64 s13, 7, v8
	s_delay_alu instid0(VALU_DEP_3) | instskip(NEXT) | instid1(VALU_DEP_3)
	v_cndmask_b32_e64 v9, 0, v9, s12
	v_add_nc_u32_e32 v6, v7, v6
	s_delay_alu instid0(VALU_DEP_2) | instskip(SKIP_1) | instid1(VALU_DEP_3)
	v_add_nc_u32_e32 v5, v5, v9
	v_bfe_i32 v9, v74, 4, 1
	v_cmp_eq_u32_e64 s12, 0, v6
	v_mov_b32_dpp v7, v6 row_shr:8 row_mask:0xf bank_mask:0xf
	s_delay_alu instid0(VALU_DEP_4) | instskip(NEXT) | instid1(VALU_DEP_3)
	v_mov_b32_dpp v8, v5 row_shr:8 row_mask:0xf bank_mask:0xf
	s_and_b32 s12, s13, s12
	s_delay_alu instid0(VALU_DEP_2) | instskip(SKIP_1) | instid1(VALU_DEP_2)
	v_cndmask_b32_e64 v7, 0, v7, s13
	s_mov_b32 s13, exec_lo
	v_cndmask_b32_e64 v8, 0, v8, s12
	s_delay_alu instid0(VALU_DEP_1) | instskip(NEXT) | instid1(VALU_DEP_3)
	v_add_nc_u32_e32 v8, v8, v5
	v_add_nc_u32_e32 v5, v7, v6
	ds_swizzle_b32 v6, v8 offset:swizzle(BROADCAST,32,15)
	ds_swizzle_b32 v7, v5 offset:swizzle(BROADCAST,32,15)
	v_cmp_eq_u32_e64 s12, 0, v5
	s_waitcnt lgkmcnt(1)
	s_delay_alu instid0(VALU_DEP_1) | instskip(SKIP_2) | instid1(VALU_DEP_2)
	v_cndmask_b32_e64 v6, 0, v6, s12
	s_waitcnt lgkmcnt(0)
	v_and_b32_e32 v7, v9, v7
	v_and_b32_e32 v6, v9, v6
	s_delay_alu instid0(VALU_DEP_2) | instskip(NEXT) | instid1(VALU_DEP_2)
	v_add_nc_u32_e32 v5, v7, v5
	v_add_nc_u32_e32 v6, v6, v8
	v_cmpx_eq_u32_e64 v76, v0
	s_cbranch_execz .LBB758_109
; %bb.108:
	v_lshlrev_b32_e32 v7, 3, v75
	ds_store_b64 v7, v[5:6] offset:1040
.LBB758_109:
	s_or_b32 exec_lo, exec_lo, s13
	s_delay_alu instid0(SALU_CYCLE_1)
	s_mov_b32 s14, exec_lo
	s_waitcnt vmcnt(0) lgkmcnt(0)
	s_barrier
	buffer_gl0_inv
	v_cmpx_gt_u32_e32 8, v0
	s_cbranch_execz .LBB758_111
; %bb.110:
	v_lshlrev_b32_e32 v9, 3, v0
	v_and_b32_e32 v11, 7, v74
	ds_load_b64 v[7:8], v9 offset:1040
	v_cmp_lt_u32_e64 s13, 1, v11
	s_waitcnt lgkmcnt(0)
	v_mov_b32_dpp v10, v8 row_shr:1 row_mask:0xf bank_mask:0xf
	v_cmp_eq_u32_e64 s12, 0, v7
	v_mov_b32_dpp v12, v7 row_shr:1 row_mask:0xf bank_mask:0xf
	s_delay_alu instid0(VALU_DEP_2) | instskip(SKIP_1) | instid1(VALU_DEP_1)
	v_cndmask_b32_e64 v10, 0, v10, s12
	v_cmp_eq_u32_e64 s12, 0, v11
	v_cndmask_b32_e64 v12, v12, 0, s12
	s_delay_alu instid0(VALU_DEP_3) | instskip(NEXT) | instid1(VALU_DEP_2)
	v_cndmask_b32_e64 v10, v10, 0, s12
	v_add_nc_u32_e32 v7, v12, v7
	s_delay_alu instid0(VALU_DEP_2) | instskip(NEXT) | instid1(VALU_DEP_2)
	v_add_nc_u32_e32 v8, v10, v8
	v_mov_b32_dpp v10, v7 row_shr:2 row_mask:0xf bank_mask:0xf
	v_cmp_eq_u32_e64 s12, 0, v7
	s_delay_alu instid0(VALU_DEP_3) | instskip(NEXT) | instid1(VALU_DEP_3)
	v_mov_b32_dpp v12, v8 row_shr:2 row_mask:0xf bank_mask:0xf
	v_cndmask_b32_e64 v10, 0, v10, s13
	s_delay_alu instid0(VALU_DEP_3) | instskip(SKIP_1) | instid1(VALU_DEP_3)
	s_and_b32 s12, s13, s12
	v_cmp_lt_u32_e64 s13, 3, v11
	v_cndmask_b32_e64 v12, 0, v12, s12
	s_delay_alu instid0(VALU_DEP_3) | instskip(NEXT) | instid1(VALU_DEP_2)
	v_add_nc_u32_e32 v7, v10, v7
	v_add_nc_u32_e32 v8, v12, v8
	s_delay_alu instid0(VALU_DEP_2) | instskip(SKIP_1) | instid1(VALU_DEP_3)
	v_cmp_eq_u32_e64 s12, 0, v7
	v_mov_b32_dpp v10, v7 row_shr:4 row_mask:0xf bank_mask:0xf
	v_mov_b32_dpp v11, v8 row_shr:4 row_mask:0xf bank_mask:0xf
	s_delay_alu instid0(VALU_DEP_3) | instskip(NEXT) | instid1(VALU_DEP_2)
	s_and_b32 s12, s13, s12
	v_cndmask_b32_e64 v10, 0, v10, s13
	s_delay_alu instid0(VALU_DEP_2) | instskip(NEXT) | instid1(VALU_DEP_2)
	v_cndmask_b32_e64 v11, 0, v11, s12
	v_add_nc_u32_e32 v7, v10, v7
	s_delay_alu instid0(VALU_DEP_2)
	v_add_nc_u32_e32 v8, v11, v8
	ds_store_b64 v9, v[7:8] offset:1040
.LBB758_111:
	s_or_b32 exec_lo, exec_lo, s14
	v_dual_mov_b32 v11, 0 :: v_dual_mov_b32 v8, v36
	v_mov_b32_e32 v7, 0
	s_mov_b32 s13, exec_lo
	s_waitcnt lgkmcnt(0)
	s_barrier
	buffer_gl0_inv
	v_cmpx_lt_u32_e32 31, v0
	s_cbranch_execz .LBB758_113
; %bb.112:
	v_lshlrev_b32_e32 v7, 3, v75
	ds_load_b64 v[7:8], v7 offset:1032
	s_waitcnt lgkmcnt(0)
	v_cmp_eq_u32_e64 s12, 0, v7
	s_delay_alu instid0(VALU_DEP_1) | instskip(NEXT) | instid1(VALU_DEP_1)
	v_cndmask_b32_e64 v9, 0, v36, s12
	v_add_nc_u32_e32 v8, v9, v8
.LBB758_113:
	s_or_b32 exec_lo, exec_lo, s13
	v_add_nc_u32_e32 v9, -1, v74
	v_cmp_eq_u32_e64 s13, 0, v65
	s_delay_alu instid0(VALU_DEP_2) | instskip(NEXT) | instid1(VALU_DEP_1)
	v_cmp_gt_i32_e64 s12, 0, v9
	v_cndmask_b32_e64 v9, v9, v74, s12
	v_cmp_eq_u32_e64 s12, 0, v5
	v_add_nc_u32_e32 v5, v7, v5
	s_delay_alu instid0(VALU_DEP_3) | instskip(NEXT) | instid1(VALU_DEP_3)
	v_lshlrev_b32_e32 v9, 2, v9
	v_cndmask_b32_e64 v10, 0, v8, s12
	v_cmp_eq_u32_e64 s12, 0, v74
	ds_bpermute_b32 v5, v9, v5
	v_add_nc_u32_e32 v6, v10, v6
	ds_bpermute_b32 v6, v9, v6
	s_waitcnt lgkmcnt(1)
	v_cndmask_b32_e64 v5, v5, v7, s12
	s_waitcnt lgkmcnt(0)
	v_cndmask_b32_e64 v6, v6, v8, s12
	v_cmp_eq_u32_e64 s12, 0, v0
	s_delay_alu instid0(VALU_DEP_1) | instskip(SKIP_1) | instid1(VALU_DEP_2)
	v_cndmask_b32_e64 v41, v6, v36, s12
	v_cndmask_b32_e64 v40, v5, 0, s12
	;; [unrolled: 1-line block ×3, first 2 shown]
	s_delay_alu instid0(VALU_DEP_2) | instskip(NEXT) | instid1(VALU_DEP_2)
	v_add_nc_u32_e32 v46, v40, v65
	v_add_nc_u32_e32 v47, v6, v22
	s_delay_alu instid0(VALU_DEP_2) | instskip(NEXT) | instid1(VALU_DEP_2)
	v_add_nc_u32_e32 v42, v46, v64
	v_cndmask_b32_e64 v6, 0, v47, s6
	s_delay_alu instid0(VALU_DEP_2) | instskip(NEXT) | instid1(VALU_DEP_2)
	v_add_nc_u32_e32 v38, v42, v63
	v_add_nc_u32_e32 v43, v6, v73
	s_delay_alu instid0(VALU_DEP_2) | instskip(NEXT) | instid1(VALU_DEP_2)
	v_add_nc_u32_e32 v32, v38, v62
	v_cndmask_b32_e64 v6, 0, v43, s7
	;; [unrolled: 6-line block ×4, first 2 shown]
	s_delay_alu instid0(VALU_DEP_2) | instskip(NEXT) | instid1(VALU_DEP_2)
	v_add_nc_u32_e32 v9, v34, v56
	v_add_nc_u32_e32 v29, v6, v20
	s_delay_alu instid0(VALU_DEP_1) | instskip(NEXT) | instid1(VALU_DEP_1)
	v_cndmask_b32_e64 v6, 0, v29, s10
	v_add_nc_u32_e32 v27, v6, v71
	s_delay_alu instid0(VALU_DEP_1) | instskip(NEXT) | instid1(VALU_DEP_1)
	v_cndmask_b32_e64 v6, 0, v27, s11
	;; [unrolled: 3-line block ×6, first 2 shown]
	v_add_nc_u32_e32 v25, v5, v19
	ds_load_b64 v[5:6], v11 offset:1096
	v_add_nc_u32_e32 v11, v9, v55
	v_cndmask_b32_e64 v7, 0, v25, s1
	s_delay_alu instid0(VALU_DEP_2) | instskip(NEXT) | instid1(VALU_DEP_2)
	v_add_nc_u32_e32 v24, v11, v54
	v_add_nc_u32_e32 v49, v7, v68
	s_delay_alu instid0(VALU_DEP_2) | instskip(NEXT) | instid1(VALU_DEP_1)
	v_add_nc_u32_e32 v48, v24, v53
	v_dual_cndmask_b32 v7, 0, v49 :: v_dual_add_nc_u32 v44, v48, v52
	s_delay_alu instid0(VALU_DEP_1) | instskip(SKIP_2) | instid1(VALU_DEP_2)
	v_add_nc_u32_e32 v45, v7, v16
	s_waitcnt lgkmcnt(0)
	v_cmp_eq_u32_e32 vcc_lo, 0, v5
	v_cndmask_b32_e64 v7, 0, v45, s0
	v_cndmask_b32_e32 v8, 0, v36, vcc_lo
	v_add_nc_u32_e32 v36, v44, v51
	s_delay_alu instid0(VALU_DEP_3) | instskip(NEXT) | instid1(VALU_DEP_3)
	v_add_nc_u32_e32 v37, v7, v67
	v_add_nc_u32_e32 v66, v8, v6
	s_and_saveexec_b32 s0, s12
	s_cbranch_execz .LBB758_115
; %bb.114:
	s_delay_alu instid0(VALU_DEP_1)
	v_and_b32_e32 v6, 0xff000000, v66
	v_dual_mov_b32 v8, 0 :: v_dual_and_b32 v7, 0xff0000, v66
	s_add_u32 s2, s24, 0x200
	v_and_b32_e32 v16, 0xff00, v66
	s_addc_u32 s3, s25, 0
	v_and_b32_e32 v17, 0xff, v66
	v_or_b32_e32 v6, v7, v6
	v_mov_b32_e32 v7, 2
	s_delay_alu instid0(VALU_DEP_2)
	v_or3_b32 v6, v6, v16, v17
	v_dual_mov_b32 v17, s3 :: v_dual_mov_b32 v16, s2
	;;#ASMSTART
	global_store_dwordx4 v[16:17], v[5:8] off	
s_waitcnt vmcnt(0)
	;;#ASMEND
.LBB758_115:
	s_or_b32 exec_lo, exec_lo, s0
	v_mov_b32_e32 v7, 0
.LBB758_116:
	v_mov_b32_e32 v16, 0
	s_and_b32 s0, s16, exec_lo
	v_mov_b32_e32 v17, 0
	s_cselect_b32 s1, 0, s43
	s_cselect_b32 s0, 0, s42
	s_delay_alu instid0(SALU_CYCLE_1)
	s_cmp_eq_u64 s[0:1], 0
	s_barrier
	buffer_gl0_inv
	s_cbranch_scc1 .LBB758_118
; %bb.117:
	v_mov_b32_e32 v6, 0
	global_load_b64 v[16:17], v6, s[0:1]
.LBB758_118:
	v_cmp_eq_u32_e32 vcc_lo, 0, v65
	v_cmp_ne_u32_e64 s14, 0, v65
	v_cmp_ne_u32_e64 s13, 0, v64
	;; [unrolled: 1-line block ×4, first 2 shown]
	v_cndmask_b32_e64 v6, 1, 2, vcc_lo
	v_cmp_eq_u32_e32 vcc_lo, 0, v64
	v_cmp_ne_u32_e64 s10, 0, v61
	v_cmp_ne_u32_e64 s9, 0, v60
	;; [unrolled: 1-line block ×4, first 2 shown]
	v_cndmask_b32_e64 v8, 1, 2, vcc_lo
	v_cmp_eq_u32_e32 vcc_lo, 0, v63
	v_cmp_ne_u32_e64 s8, 0, v56
	v_cmp_ne_u32_e64 s6, 0, v55
	;; [unrolled: 1-line block ×3, first 2 shown]
	v_and_b32_e32 v6, v8, v6
	v_cndmask_b32_e64 v18, 1, 2, vcc_lo
	v_cmp_eq_u32_e32 vcc_lo, 0, v62
	v_cmp_ne_u32_e64 s3, 0, v53
	v_cmp_ne_u32_e64 s2, 0, v52
	v_cmp_ne_u32_e64 s1, 0, v51
	v_and_b32_e32 v6, v6, v18
	v_cndmask_b32_e64 v8, 1, 2, vcc_lo
	v_cmp_eq_u32_e32 vcc_lo, 0, v61
	v_cmp_ne_u32_e64 s0, 0, v57
	s_mov_b32 s16, -1
	s_delay_alu instid0(VALU_DEP_3) | instskip(SKIP_2) | instid1(VALU_DEP_2)
	v_and_b32_e32 v6, v6, v8
	v_cndmask_b32_e64 v18, 1, 2, vcc_lo
	v_cmp_eq_u32_e32 vcc_lo, 0, v60
	v_and_b32_e32 v6, v6, v18
	v_cndmask_b32_e64 v8, 1, 2, vcc_lo
	v_cmp_eq_u32_e32 vcc_lo, 0, v59
	s_waitcnt vmcnt(0)
	v_lshlrev_b64 v[18:19], 1, v[16:17]
	s_delay_alu instid0(VALU_DEP_3) | instskip(SKIP_2) | instid1(VALU_DEP_2)
	v_and_b32_e32 v6, v6, v8
	v_cndmask_b32_e64 v20, 1, 2, vcc_lo
	v_cmp_eq_u32_e32 vcc_lo, 0, v58
	v_and_b32_e32 v6, v6, v20
	v_cndmask_b32_e64 v21, 1, 2, vcc_lo
	v_cmp_eq_u32_e32 vcc_lo, 0, v56
	s_delay_alu instid0(VALU_DEP_2) | instskip(SKIP_2) | instid1(VALU_DEP_2)
	v_and_b32_e32 v6, v6, v21
	v_cndmask_b32_e64 v20, 1, 2, vcc_lo
	v_cmp_eq_u32_e32 vcc_lo, 0, v55
	v_and_b32_e32 v6, v6, v20
	v_cndmask_b32_e64 v21, 1, 2, vcc_lo
	v_cmp_eq_u32_e32 vcc_lo, 0, v54
	s_delay_alu instid0(VALU_DEP_2) | instskip(SKIP_2) | instid1(VALU_DEP_2)
	;; [unrolled: 7-line block ×3, first 2 shown]
	v_and_b32_e32 v6, v6, v22
	v_cndmask_b32_e64 v23, 1, 2, vcc_lo
	v_cmp_eq_u32_e32 vcc_lo, 0, v51
	v_and_b32_e32 v22, v6, v23
	v_cndmask_b32_e64 v67, 1, 2, vcc_lo
	v_mov_b32_e32 v8, 0
	v_add_co_u32 v18, vcc_lo, s22, v18
	v_add_co_ci_u32_e32 v19, vcc_lo, s23, v19, vcc_lo
	s_delay_alu instid0(VALU_DEP_3) | instskip(NEXT) | instid1(VALU_DEP_1)
	v_lshlrev_b64 v[20:21], 1, v[7:8]
	v_add_co_u32 v6, vcc_lo, v18, v20
	s_delay_alu instid0(VALU_DEP_2) | instskip(SKIP_4) | instid1(VALU_DEP_2)
	v_add_co_ci_u32_e32 v18, vcc_lo, v19, v21, vcc_lo
	v_and_b32_e32 v19, v22, v67
	v_cmp_eq_u32_e32 vcc_lo, 0, v57
	v_cndmask_b32_e64 v20, 1, 2, vcc_lo
	v_cmp_gt_u32_e32 vcc_lo, 0x100, v5
	v_and_b32_e32 v19, v19, v20
	s_delay_alu instid0(VALU_DEP_1)
	v_cmp_gt_i16_e64 s15, 2, v19
	s_cbranch_vccz .LBB758_167
; %bb.119:
	s_delay_alu instid0(VALU_DEP_1)
	s_and_saveexec_b32 s16, s15
	s_cbranch_execz .LBB758_166
; %bb.120:
	s_mov_b32 s17, 0
	s_mov_b32 s15, exec_lo
	v_cmpx_ne_u16_e32 1, v19
	s_xor_b32 s15, exec_lo, s15
	s_cbranch_execz .LBB758_144
; %bb.121:
	s_and_saveexec_b32 s17, s14
	s_cbranch_execz .LBB758_149
; %bb.122:
	v_sub_nc_u32_e32 v20, v40, v7
	v_mov_b32_e32 v21, 0
	s_delay_alu instid0(VALU_DEP_1) | instskip(NEXT) | instid1(VALU_DEP_1)
	v_lshlrev_b64 v[20:21], 1, v[20:21]
	v_add_co_u32 v20, vcc_lo, v6, v20
	s_delay_alu instid0(VALU_DEP_2)
	v_add_co_ci_u32_e32 v21, vcc_lo, v18, v21, vcc_lo
	global_store_b16 v[20:21], v50, off
	s_or_b32 exec_lo, exec_lo, s17
	s_and_saveexec_b32 s17, s13
	s_cbranch_execnz .LBB758_150
.LBB758_123:
	s_or_b32 exec_lo, exec_lo, s17
	s_and_saveexec_b32 s17, s12
	s_cbranch_execz .LBB758_151
.LBB758_124:
	v_sub_nc_u32_e32 v20, v42, v7
	v_mov_b32_e32 v21, 0
	s_delay_alu instid0(VALU_DEP_1) | instskip(NEXT) | instid1(VALU_DEP_1)
	v_lshlrev_b64 v[20:21], 1, v[20:21]
	v_add_co_u32 v20, vcc_lo, v6, v20
	s_delay_alu instid0(VALU_DEP_2)
	v_add_co_ci_u32_e32 v21, vcc_lo, v18, v21, vcc_lo
	global_store_d16_hi_b16 v[20:21], v1, off
	s_or_b32 exec_lo, exec_lo, s17
	s_and_saveexec_b32 s17, s11
	s_cbranch_execnz .LBB758_152
.LBB758_125:
	s_or_b32 exec_lo, exec_lo, s17
	s_and_saveexec_b32 s17, s10
	s_cbranch_execz .LBB758_153
.LBB758_126:
	v_sub_nc_u32_e32 v20, v32, v7
	v_mov_b32_e32 v21, 0
	s_delay_alu instid0(VALU_DEP_1) | instskip(NEXT) | instid1(VALU_DEP_1)
	v_lshlrev_b64 v[20:21], 1, v[20:21]
	v_add_co_u32 v20, vcc_lo, v6, v20
	s_delay_alu instid0(VALU_DEP_2)
	v_add_co_ci_u32_e32 v21, vcc_lo, v18, v21, vcc_lo
	global_store_d16_hi_b16 v[20:21], v2, off
	s_or_b32 exec_lo, exec_lo, s17
	s_and_saveexec_b32 s17, s9
	s_cbranch_execnz .LBB758_154
.LBB758_127:
	s_or_b32 exec_lo, exec_lo, s17
	s_and_saveexec_b32 s17, s7
	s_cbranch_execz .LBB758_155
.LBB758_128:
	v_sub_nc_u32_e32 v20, v26, v7
	v_mov_b32_e32 v21, 0
	s_delay_alu instid0(VALU_DEP_1) | instskip(NEXT) | instid1(VALU_DEP_1)
	v_lshlrev_b64 v[20:21], 1, v[20:21]
	v_add_co_u32 v20, vcc_lo, v6, v20
	s_delay_alu instid0(VALU_DEP_2)
	v_add_co_ci_u32_e32 v21, vcc_lo, v18, v21, vcc_lo
	global_store_d16_hi_b16 v[20:21], v3, off
	s_or_b32 exec_lo, exec_lo, s17
	s_and_saveexec_b32 s17, s5
	s_cbranch_execnz .LBB758_156
.LBB758_129:
	s_or_b32 exec_lo, exec_lo, s17
	s_and_saveexec_b32 s17, s8
	s_cbranch_execz .LBB758_157
.LBB758_130:
	v_sub_nc_u32_e32 v20, v34, v7
	v_mov_b32_e32 v21, 0
	s_delay_alu instid0(VALU_DEP_1) | instskip(NEXT) | instid1(VALU_DEP_1)
	v_lshlrev_b64 v[20:21], 1, v[20:21]
	v_add_co_u32 v20, vcc_lo, v6, v20
	s_delay_alu instid0(VALU_DEP_2)
	v_add_co_ci_u32_e32 v21, vcc_lo, v18, v21, vcc_lo
	global_store_d16_hi_b16 v[20:21], v4, off
	s_or_b32 exec_lo, exec_lo, s17
	s_and_saveexec_b32 s17, s6
	s_cbranch_execnz .LBB758_158
.LBB758_131:
	s_or_b32 exec_lo, exec_lo, s17
	s_and_saveexec_b32 s17, s4
	s_cbranch_execz .LBB758_159
.LBB758_132:
	v_sub_nc_u32_e32 v20, v11, v7
	v_mov_b32_e32 v21, 0
	s_delay_alu instid0(VALU_DEP_1) | instskip(NEXT) | instid1(VALU_DEP_1)
	v_lshlrev_b64 v[20:21], 1, v[20:21]
	v_add_co_u32 v20, vcc_lo, v6, v20
	s_delay_alu instid0(VALU_DEP_2)
	v_add_co_ci_u32_e32 v21, vcc_lo, v18, v21, vcc_lo
	global_store_d16_hi_b16 v[20:21], v13, off
	s_or_b32 exec_lo, exec_lo, s17
	s_and_saveexec_b32 s17, s3
	s_cbranch_execnz .LBB758_160
.LBB758_133:
	s_or_b32 exec_lo, exec_lo, s17
	s_and_saveexec_b32 s17, s2
	s_cbranch_execz .LBB758_161
.LBB758_134:
	v_sub_nc_u32_e32 v20, v48, v7
	v_mov_b32_e32 v21, 0
	s_delay_alu instid0(VALU_DEP_1) | instskip(NEXT) | instid1(VALU_DEP_1)
	v_lshlrev_b64 v[20:21], 1, v[20:21]
	v_add_co_u32 v20, vcc_lo, v6, v20
	s_delay_alu instid0(VALU_DEP_2)
	v_add_co_ci_u32_e32 v21, vcc_lo, v18, v21, vcc_lo
	global_store_d16_hi_b16 v[20:21], v14, off
	s_or_b32 exec_lo, exec_lo, s17
	s_and_saveexec_b32 s17, s1
	s_cbranch_execnz .LBB758_162
	s_branch .LBB758_163
.LBB758_135:
	s_mov_b32 s30, 0
                                        ; implicit-def: $sgpr0
                                        ; implicit-def: $vgpr57
                                        ; implicit-def: $vgpr51
                                        ; implicit-def: $vgpr52
                                        ; implicit-def: $vgpr53
                                        ; implicit-def: $vgpr54
                                        ; implicit-def: $vgpr55
                                        ; implicit-def: $vgpr56
                                        ; implicit-def: $vgpr58
                                        ; implicit-def: $vgpr59
                                        ; implicit-def: $vgpr60
                                        ; implicit-def: $vgpr61
                                        ; implicit-def: $vgpr62
                                        ; implicit-def: $vgpr63
                                        ; implicit-def: $vgpr64
	s_cbranch_execz .LBB758_69
.LBB758_136:
	v_lshrrev_b32_e32 v6, 16, v15
	v_lshrrev_b32_e32 v7, 16, v14
	;; [unrolled: 1-line block ×3, first 2 shown]
	v_lshlrev_b32_e32 v5, 1, v0
	s_mov_b32 s31, 1
	v_cmp_ne_u16_e32 vcc_lo, v15, v6
	s_mov_b32 s1, exec_lo
                                        ; implicit-def: $sgpr0
	ds_store_b16 v5, v6
	s_waitcnt lgkmcnt(0)
	v_cndmask_b32_e64 v57, 0, 1, vcc_lo
	v_cmp_ne_u16_e32 vcc_lo, v7, v15
	s_barrier
	buffer_gl0_inv
	v_cndmask_b32_e64 v51, 0, 1, vcc_lo
	v_cmp_ne_u16_e32 vcc_lo, v14, v7
	v_lshrrev_b32_e32 v7, 16, v4
	v_cndmask_b32_e64 v52, 0, 1, vcc_lo
	v_cmp_ne_u16_e32 vcc_lo, v8, v14
	v_cndmask_b32_e64 v53, 0, 1, vcc_lo
	v_cmp_ne_u16_e32 vcc_lo, v13, v8
	v_lshrrev_b32_e32 v8, 16, v3
	v_cndmask_b32_e64 v54, 0, 1, vcc_lo
	v_cmp_ne_u16_e32 vcc_lo, v7, v13
	;; [unrolled: 5-line block ×4, first 2 shown]
	v_cndmask_b32_e64 v60, 0, 1, vcc_lo
	v_cmp_ne_u16_e32 vcc_lo, v2, v7
	v_cndmask_b32_e64 v61, 0, 1, vcc_lo
	v_cmp_ne_u16_e32 vcc_lo, v8, v2
	v_cndmask_b32_e64 v62, 0, 1, vcc_lo
	v_cmp_ne_u16_e32 vcc_lo, v1, v8
	v_cndmask_b32_e64 v63, 0, 1, vcc_lo
	v_cmp_ne_u16_e32 vcc_lo, v50, v1
	v_cndmask_b32_e64 v64, 0, 1, vcc_lo
	v_cmpx_ne_u32_e32 0, v0
	s_xor_b32 s1, exec_lo, s1
	s_cbranch_execz .LBB758_138
; %bb.137:
	v_add_nc_u32_e32 v5, -2, v5
	s_or_b32 s30, s30, exec_lo
	ds_load_u16 v5, v5
	s_waitcnt lgkmcnt(0)
	v_cmp_ne_u16_e32 vcc_lo, v5, v50
	s_and_b32 s0, vcc_lo, exec_lo
.LBB758_138:
	s_or_b32 exec_lo, exec_lo, s1
	s_branch .LBB758_71
.LBB758_139:
	s_mul_hi_u32 s0, s16, 0xfffff100
	s_mul_i32 s1, s17, 0xfffff100
	s_sub_i32 s0, s0, s16
	s_mul_i32 s2, s16, 0xfffff100
	s_add_i32 s0, s0, s1
	s_add_u32 s18, s2, s40
	s_addc_u32 s19, s0, s41
	s_and_b32 vcc_lo, exec_lo, s33
	s_cbranch_vccz .LBB758_146
; %bb.140:
	v_add_co_u32 v5, s0, -2, s29
	s_delay_alu instid0(VALU_DEP_1)
	v_add_co_ci_u32_e64 v6, null, -1, s14, s0
	v_lshrrev_b32_e32 v10, 16, v15
	v_lshlrev_b32_e32 v8, 1, v0
	v_lshrrev_b32_e32 v11, 16, v14
	flat_load_u16 v9, v[5:6]
	v_mad_u32_u24 v5, v0, 15, 14
	v_mov_b32_e32 v6, 0
	v_cmp_ne_u16_e64 s5, v15, v10
	ds_store_b16 v8, v10
	v_cmp_ne_u16_e64 s7, v11, v15
	v_lshrrev_b32_e32 v10, 16, v13
	v_cmp_gt_u64_e32 vcc_lo, s[18:19], v[5:6]
	v_mad_u32_u24 v5, v0, 15, 13
	v_mul_u32_u24_e32 v7, 15, v0
	s_mov_b32 s30, -1
	s_mov_b32 s8, 0
	s_waitcnt vmcnt(0) lgkmcnt(0)
	v_cmp_gt_u64_e64 s0, s[18:19], v[5:6]
	v_mad_u32_u24 v5, v0, 15, 12
	s_and_b32 s9, vcc_lo, s5
	v_cmp_ne_u16_e64 s5, v10, v14
	s_barrier
	buffer_gl0_inv
	v_cmp_gt_u64_e64 s1, s[18:19], v[5:6]
	v_mad_u32_u24 v5, v0, 15, 11
	s_and_b32 s10, s0, s7
	v_cmp_ne_u16_e64 s0, v14, v11
	v_lshrrev_b32_e32 v11, 16, v4
	s_delay_alu instid0(VALU_DEP_3) | instskip(SKIP_1) | instid1(VALU_DEP_4)
	v_cmp_gt_u64_e64 s2, s[18:19], v[5:6]
	v_mad_u32_u24 v5, v0, 15, 10
	s_and_b32 s11, s1, s0
	v_cmp_ne_u16_e64 s0, v13, v10
	v_cmp_ne_u16_e64 s1, v11, v13
	v_lshrrev_b32_e32 v10, 16, v3
	v_cmp_gt_u64_e64 s3, s[18:19], v[5:6]
	v_mad_u32_u24 v5, v0, 15, 9
	s_and_b32 s12, s2, s5
	s_delay_alu instid0(VALU_DEP_1) | instskip(SKIP_1) | instid1(VALU_DEP_4)
	v_cmp_gt_u64_e64 s4, s[18:19], v[5:6]
	v_mad_u32_u24 v5, v0, 15, 8
	s_and_b32 s13, s3, s0
	v_cmp_ne_u16_e64 s0, v4, v11
	v_lshrrev_b32_e32 v11, 16, v2
	v_cmp_ne_u16_e64 s3, v3, v10
	v_cmp_gt_u64_e64 s6, s[18:19], v[5:6]
	v_mad_u32_u24 v5, v0, 15, 7
	s_and_b32 s14, s4, s1
	s_delay_alu instid0(VALU_DEP_1) | instskip(SKIP_1) | instid1(VALU_DEP_4)
	v_cmp_gt_u64_e32 vcc_lo, s[18:19], v[5:6]
	v_mad_u32_u24 v5, v0, 15, 6
	s_and_b32 s16, s6, s0
	v_cmp_ne_u16_e64 s0, v10, v4
	v_lshrrev_b32_e32 v10, 16, v1
	v_cmp_ne_u16_e64 s6, v50, v1
	v_cmp_gt_u64_e64 s7, s[18:19], v[5:6]
	v_mad_u32_u24 v5, v0, 15, 5
	s_and_b32 s17, vcc_lo, s0
	v_cmp_ne_u16_e32 vcc_lo, v11, v3
	s_delay_alu instid0(VALU_DEP_2) | instskip(SKIP_3) | instid1(VALU_DEP_2)
	v_cmp_gt_u64_e64 s2, s[18:19], v[5:6]
	v_mad_u32_u24 v5, v0, 15, 4
	s_and_b32 s7, s7, s3
	v_cmp_ne_u16_e64 s3, v1, v10
	v_cmp_gt_u64_e64 s1, s[18:19], v[5:6]
	v_mad_u32_u24 v5, v0, 15, 3
	s_and_b32 s29, s2, vcc_lo
	v_cmp_ne_u16_e32 vcc_lo, v2, v11
	v_cmp_ne_u16_e64 s2, v10, v2
	s_delay_alu instid0(VALU_DEP_3) | instskip(SKIP_2) | instid1(VALU_DEP_1)
	v_cmp_gt_u64_e64 s4, s[18:19], v[5:6]
	v_mad_u32_u24 v5, v0, 15, 2
	s_and_b32 s31, s1, vcc_lo
	v_cmp_gt_u64_e64 s0, s[18:19], v[5:6]
	v_mad_u32_u24 v5, v0, 15, 1
	s_delay_alu instid0(VALU_DEP_4) | instskip(NEXT) | instid1(VALU_DEP_1)
	s_and_b32 s2, s4, s2
	v_cmp_gt_u64_e64 s5, s[18:19], v[5:6]
	s_delay_alu instid0(VALU_DEP_3) | instskip(SKIP_1) | instid1(VALU_DEP_1)
	s_and_b32 s1, s0, s3
	s_mov_b32 s0, exec_lo
	s_and_b32 s3, s5, s6
	v_cmpx_ne_u32_e32 0, v0
	s_cbranch_execz .LBB758_142
; %bb.141:
	v_add_nc_u32_e32 v5, -2, v8
	ds_load_u16 v9, v5
.LBB758_142:
	s_or_b32 exec_lo, exec_lo, s0
	v_mov_b32_e32 v8, v6
	s_waitcnt lgkmcnt(0)
	v_cmp_ne_u16_e64 s0, v9, v50
	v_cndmask_b32_e64 v57, 0, 1, s9
	v_cndmask_b32_e64 v51, 0, 1, s10
	v_cndmask_b32_e64 v52, 0, 1, s11
	v_cmp_gt_u64_e32 vcc_lo, s[18:19], v[7:8]
	v_cndmask_b32_e64 v53, 0, 1, s12
	v_cndmask_b32_e64 v54, 0, 1, s13
	;; [unrolled: 1-line block ×11, first 2 shown]
	s_and_b32 s0, vcc_lo, s0
	s_and_b32 vcc_lo, exec_lo, s8
	s_cbranch_vccnz .LBB758_147
.LBB758_143:
                                        ; implicit-def: $sgpr31
	v_mov_b32_e32 v65, s31
	s_and_saveexec_b32 s1, s30
	s_cbranch_execnz .LBB758_72
	s_branch .LBB758_73
.LBB758_144:
	s_and_not1_saveexec_b32 s15, s15
	s_cbranch_execz .LBB758_164
.LBB758_145:
	v_sub_nc_u32_e32 v20, v40, v7
	v_mov_b32_e32 v21, 0
	s_or_b32 s17, s17, exec_lo
	s_delay_alu instid0(VALU_DEP_1) | instskip(SKIP_1) | instid1(VALU_DEP_1)
	v_lshlrev_b64 v[22:23], 1, v[20:21]
	v_sub_nc_u32_e32 v20, v46, v7
	v_lshlrev_b64 v[67:68], 1, v[20:21]
	v_sub_nc_u32_e32 v20, v42, v7
	s_delay_alu instid0(VALU_DEP_4) | instskip(SKIP_1) | instid1(VALU_DEP_3)
	v_add_co_u32 v22, vcc_lo, v6, v22
	v_add_co_ci_u32_e32 v23, vcc_lo, v18, v23, vcc_lo
	v_lshlrev_b64 v[69:70], 1, v[20:21]
	v_sub_nc_u32_e32 v20, v38, v7
	v_add_co_u32 v67, vcc_lo, v6, v67
	v_add_co_ci_u32_e32 v68, vcc_lo, v18, v68, vcc_lo
	global_store_b16 v[22:23], v50, off
	v_lshlrev_b64 v[22:23], 1, v[20:21]
	v_sub_nc_u32_e32 v20, v32, v7
	global_store_b16 v[67:68], v1, off
	v_add_co_u32 v67, vcc_lo, v6, v69
	v_add_co_ci_u32_e32 v68, vcc_lo, v18, v70, vcc_lo
	v_lshlrev_b64 v[69:70], 1, v[20:21]
	v_sub_nc_u32_e32 v20, v28, v7
	v_add_co_u32 v22, vcc_lo, v6, v22
	v_add_co_ci_u32_e32 v23, vcc_lo, v18, v23, vcc_lo
	s_delay_alu instid0(VALU_DEP_3) | instskip(SKIP_3) | instid1(VALU_DEP_3)
	v_lshlrev_b64 v[71:72], 1, v[20:21]
	v_sub_nc_u32_e32 v20, v26, v7
	v_add_co_u32 v69, vcc_lo, v6, v69
	v_add_co_ci_u32_e32 v70, vcc_lo, v18, v70, vcc_lo
	v_lshlrev_b64 v[73:74], 1, v[20:21]
	v_sub_nc_u32_e32 v20, v30, v7
	v_add_co_u32 v71, vcc_lo, v6, v71
	v_add_co_ci_u32_e32 v72, vcc_lo, v18, v72, vcc_lo
	s_clause 0x3
	global_store_d16_hi_b16 v[67:68], v1, off
	global_store_b16 v[22:23], v2, off
	global_store_d16_hi_b16 v[69:70], v2, off
	global_store_b16 v[71:72], v3, off
	v_lshlrev_b64 v[22:23], 1, v[20:21]
	v_sub_nc_u32_e32 v20, v34, v7
	v_add_co_u32 v67, vcc_lo, v6, v73
	v_add_co_ci_u32_e32 v68, vcc_lo, v18, v74, vcc_lo
	s_delay_alu instid0(VALU_DEP_3) | instskip(SKIP_3) | instid1(VALU_DEP_3)
	v_lshlrev_b64 v[69:70], 1, v[20:21]
	v_sub_nc_u32_e32 v20, v9, v7
	v_add_co_u32 v22, vcc_lo, v6, v22
	v_add_co_ci_u32_e32 v23, vcc_lo, v18, v23, vcc_lo
	v_lshlrev_b64 v[71:72], 1, v[20:21]
	v_sub_nc_u32_e32 v20, v11, v7
	v_add_co_u32 v69, vcc_lo, v6, v69
	v_add_co_ci_u32_e32 v70, vcc_lo, v18, v70, vcc_lo
	s_delay_alu instid0(VALU_DEP_3)
	v_lshlrev_b64 v[73:74], 1, v[20:21]
	v_sub_nc_u32_e32 v20, v24, v7
	v_add_co_u32 v71, vcc_lo, v6, v71
	v_add_co_ci_u32_e32 v72, vcc_lo, v18, v72, vcc_lo
	s_clause 0x3
	global_store_d16_hi_b16 v[67:68], v3, off
	global_store_b16 v[22:23], v4, off
	global_store_d16_hi_b16 v[69:70], v4, off
	global_store_b16 v[71:72], v13, off
	v_lshlrev_b64 v[22:23], 1, v[20:21]
	v_sub_nc_u32_e32 v20, v48, v7
	v_add_co_u32 v67, vcc_lo, v6, v73
	v_add_co_ci_u32_e32 v68, vcc_lo, v18, v74, vcc_lo
	s_delay_alu instid0(VALU_DEP_3) | instskip(SKIP_3) | instid1(VALU_DEP_3)
	v_lshlrev_b64 v[69:70], 1, v[20:21]
	v_sub_nc_u32_e32 v20, v44, v7
	v_add_co_u32 v22, vcc_lo, v6, v22
	v_add_co_ci_u32_e32 v23, vcc_lo, v18, v23, vcc_lo
	v_lshlrev_b64 v[20:21], 1, v[20:21]
	v_add_co_u32 v69, vcc_lo, v6, v69
	v_add_co_ci_u32_e32 v70, vcc_lo, v18, v70, vcc_lo
	s_clause 0x2
	global_store_d16_hi_b16 v[67:68], v13, off
	global_store_b16 v[22:23], v14, off
	global_store_d16_hi_b16 v[69:70], v14, off
	v_add_co_u32 v20, vcc_lo, v6, v20
	v_add_co_ci_u32_e32 v21, vcc_lo, v18, v21, vcc_lo
	global_store_b16 v[20:21], v15, off
	s_or_b32 exec_lo, exec_lo, s15
	s_delay_alu instid0(SALU_CYCLE_1)
	s_and_b32 exec_lo, exec_lo, s17
	s_cbranch_execnz .LBB758_165
	s_branch .LBB758_166
.LBB758_146:
                                        ; implicit-def: $sgpr0
                                        ; implicit-def: $vgpr57
                                        ; implicit-def: $vgpr51
                                        ; implicit-def: $vgpr52
                                        ; implicit-def: $vgpr53
                                        ; implicit-def: $vgpr54
                                        ; implicit-def: $vgpr55
                                        ; implicit-def: $vgpr56
                                        ; implicit-def: $vgpr58
                                        ; implicit-def: $vgpr59
                                        ; implicit-def: $vgpr60
                                        ; implicit-def: $vgpr61
                                        ; implicit-def: $vgpr62
                                        ; implicit-def: $vgpr63
                                        ; implicit-def: $vgpr64
	s_cbranch_execz .LBB758_143
.LBB758_147:
	v_mad_u32_u24 v5, v0, 15, 14
	v_dual_mov_b32 v6, 0 :: v_dual_lshlrev_b32 v7, 1, v0
	v_lshrrev_b32_e32 v8, 16, v15
	v_lshrrev_b32_e32 v9, 16, v14
	;; [unrolled: 1-line block ×3, first 2 shown]
	s_delay_alu instid0(VALU_DEP_4)
	v_cmp_gt_u64_e32 vcc_lo, s[18:19], v[5:6]
	v_mad_u32_u24 v5, v0, 15, 13
	v_cmp_ne_u16_e64 s4, v15, v8
	v_cmp_ne_u16_e64 s5, v9, v15
	;; [unrolled: 1-line block ×3, first 2 shown]
	v_lshrrev_b32_e32 v11, 16, v4
	v_cmp_gt_u64_e64 s0, s[18:19], v[5:6]
	v_mad_u32_u24 v5, v0, 15, 12
	s_and_b32 s4, vcc_lo, s4
	v_cmp_ne_u16_e64 s7, v10, v14
	v_cmp_ne_u16_e64 s9, v13, v10
	;; [unrolled: 1-line block ×3, first 2 shown]
	v_cmp_gt_u64_e64 s1, s[18:19], v[5:6]
	v_mad_u32_u24 v5, v0, 15, 11
	s_and_b32 s0, s0, s5
	v_cmp_ne_u16_e64 s11, v4, v11
	v_cndmask_b32_e64 v51, 0, 1, s0
	v_lshrrev_b32_e32 v12, 16, v3
	v_cmp_gt_u64_e64 s2, s[18:19], v[5:6]
	v_mad_u32_u24 v5, v0, 15, 10
	s_and_b32 s0, s1, s6
	v_lshrrev_b32_e32 v24, 16, v2
	v_cndmask_b32_e64 v52, 0, 1, s0
	v_cmp_ne_u16_e64 s12, v12, v4
	v_cmp_gt_u64_e64 s3, s[18:19], v[5:6]
	v_mad_u32_u24 v5, v0, 15, 9
	s_and_b32 s1, s2, s7
	v_cmp_ne_u16_e64 s14, v3, v12
	v_cndmask_b32_e64 v53, 0, 1, s1
	v_cmp_ne_u16_e64 s16, v24, v3
	v_cmp_gt_u64_e64 s8, s[18:19], v[5:6]
	v_mad_u32_u24 v5, v0, 15, 8
	s_and_b32 s1, s3, s9
	v_lshrrev_b32_e32 v9, 16, v1
	v_cndmask_b32_e64 v54, 0, 1, s1
	v_cndmask_b32_e64 v57, 0, 1, s4
	v_cmp_gt_u64_e64 s13, s[18:19], v[5:6]
	v_mad_u32_u24 v5, v0, 15, 7
	s_and_b32 s2, s8, s10
	v_cmp_ne_u16_e64 s4, v50, v1
	v_cndmask_b32_e64 v55, 0, 1, s2
	s_mov_b32 s31, 1
	v_cmp_gt_u64_e32 vcc_lo, s[18:19], v[5:6]
	v_mad_u32_u24 v5, v0, 15, 6
	s_and_b32 s2, s13, s11
	ds_store_b16 v7, v8
	v_cndmask_b32_e64 v56, 0, 1, s2
	s_waitcnt lgkmcnt(0)
	v_cmp_gt_u64_e64 s0, s[18:19], v[5:6]
	v_mad_u32_u24 v5, v0, 15, 5
	s_and_b32 s3, vcc_lo, s12
	s_barrier
	v_cndmask_b32_e64 v58, 0, 1, s3
	v_cmp_ne_u16_e64 s3, v9, v2
	v_cmp_gt_u64_e64 s1, s[18:19], v[5:6]
	v_mad_u32_u24 v5, v0, 15, 4
	s_and_b32 s0, s0, s14
	buffer_gl0_inv
	v_cndmask_b32_e64 v59, 0, 1, s0
	v_cmp_ne_u16_e64 s0, v2, v24
	v_cmp_gt_u64_e64 s2, s[18:19], v[5:6]
	v_mad_u32_u24 v5, v0, 15, 3
	s_and_b32 s1, s1, s16
	s_delay_alu instid0(SALU_CYCLE_1) | instskip(NEXT) | instid1(VALU_DEP_2)
	v_cndmask_b32_e64 v60, 0, 1, s1
	v_cmp_gt_u64_e32 vcc_lo, s[18:19], v[5:6]
	v_mad_u32_u24 v5, v0, 15, 2
	s_and_b32 s0, s2, s0
	s_delay_alu instid0(SALU_CYCLE_1) | instskip(SKIP_1) | instid1(VALU_DEP_3)
	v_cndmask_b32_e64 v61, 0, 1, s0
	v_cmp_ne_u16_e64 s0, v1, v9
	v_cmp_gt_u64_e64 s1, s[18:19], v[5:6]
	v_mad_u32_u24 v5, v0, 15, 1
	s_and_b32 s3, vcc_lo, s3
	s_delay_alu instid0(SALU_CYCLE_1) | instskip(NEXT) | instid1(VALU_DEP_2)
	v_cndmask_b32_e64 v62, 0, 1, s3
	v_cmp_gt_u64_e64 s2, s[18:19], v[5:6]
	s_delay_alu instid0(VALU_DEP_4) | instskip(SKIP_2) | instid1(VALU_DEP_2)
	s_and_b32 s0, s1, s0
	s_mov_b32 s1, exec_lo
	v_cndmask_b32_e64 v63, 0, 1, s0
	s_and_b32 s0, s2, s4
	s_delay_alu instid0(SALU_CYCLE_1)
	v_cndmask_b32_e64 v64, 0, 1, s0
                                        ; implicit-def: $sgpr0
	v_cmpx_ne_u32_e32 0, v0
	s_cbranch_execz .LBB758_186
; %bb.148:
	v_add_nc_u32_e32 v5, -2, v7
	s_or_b32 s30, s30, exec_lo
	ds_load_u16 v7, v5
	v_mul_u32_u24_e32 v5, 15, v0
	s_delay_alu instid0(VALU_DEP_1) | instskip(SKIP_2) | instid1(VALU_DEP_1)
	v_cmp_gt_u64_e32 vcc_lo, s[18:19], v[5:6]
	s_waitcnt lgkmcnt(0)
	v_cmp_ne_u16_e64 s0, v7, v50
	s_and_b32 s0, vcc_lo, s0
	s_delay_alu instid0(SALU_CYCLE_1)
	s_and_b32 s0, s0, exec_lo
	s_or_b32 exec_lo, exec_lo, s1
	v_mov_b32_e32 v65, s31
	s_and_saveexec_b32 s1, s30
	s_cbranch_execz .LBB758_73
	s_branch .LBB758_72
.LBB758_149:
	s_or_b32 exec_lo, exec_lo, s17
	s_and_saveexec_b32 s17, s13
	s_cbranch_execz .LBB758_123
.LBB758_150:
	v_sub_nc_u32_e32 v20, v46, v7
	v_mov_b32_e32 v21, 0
	s_delay_alu instid0(VALU_DEP_1) | instskip(NEXT) | instid1(VALU_DEP_1)
	v_lshlrev_b64 v[20:21], 1, v[20:21]
	v_add_co_u32 v20, vcc_lo, v6, v20
	s_delay_alu instid0(VALU_DEP_2)
	v_add_co_ci_u32_e32 v21, vcc_lo, v18, v21, vcc_lo
	global_store_b16 v[20:21], v1, off
	s_or_b32 exec_lo, exec_lo, s17
	s_and_saveexec_b32 s17, s12
	s_cbranch_execnz .LBB758_124
.LBB758_151:
	s_or_b32 exec_lo, exec_lo, s17
	s_and_saveexec_b32 s17, s11
	s_cbranch_execz .LBB758_125
.LBB758_152:
	v_sub_nc_u32_e32 v20, v38, v7
	v_mov_b32_e32 v21, 0
	s_delay_alu instid0(VALU_DEP_1) | instskip(NEXT) | instid1(VALU_DEP_1)
	v_lshlrev_b64 v[20:21], 1, v[20:21]
	v_add_co_u32 v20, vcc_lo, v6, v20
	s_delay_alu instid0(VALU_DEP_2)
	v_add_co_ci_u32_e32 v21, vcc_lo, v18, v21, vcc_lo
	global_store_b16 v[20:21], v2, off
	s_or_b32 exec_lo, exec_lo, s17
	s_and_saveexec_b32 s17, s10
	s_cbranch_execnz .LBB758_126
.LBB758_153:
	s_or_b32 exec_lo, exec_lo, s17
	s_and_saveexec_b32 s17, s9
	s_cbranch_execz .LBB758_127
.LBB758_154:
	v_sub_nc_u32_e32 v20, v28, v7
	v_mov_b32_e32 v21, 0
	s_delay_alu instid0(VALU_DEP_1) | instskip(NEXT) | instid1(VALU_DEP_1)
	v_lshlrev_b64 v[20:21], 1, v[20:21]
	v_add_co_u32 v20, vcc_lo, v6, v20
	s_delay_alu instid0(VALU_DEP_2)
	v_add_co_ci_u32_e32 v21, vcc_lo, v18, v21, vcc_lo
	global_store_b16 v[20:21], v3, off
	s_or_b32 exec_lo, exec_lo, s17
	s_and_saveexec_b32 s17, s7
	s_cbranch_execnz .LBB758_128
.LBB758_155:
	s_or_b32 exec_lo, exec_lo, s17
	s_and_saveexec_b32 s17, s5
	s_cbranch_execz .LBB758_129
.LBB758_156:
	v_sub_nc_u32_e32 v20, v30, v7
	v_mov_b32_e32 v21, 0
	s_delay_alu instid0(VALU_DEP_1) | instskip(NEXT) | instid1(VALU_DEP_1)
	v_lshlrev_b64 v[20:21], 1, v[20:21]
	v_add_co_u32 v20, vcc_lo, v6, v20
	s_delay_alu instid0(VALU_DEP_2)
	v_add_co_ci_u32_e32 v21, vcc_lo, v18, v21, vcc_lo
	global_store_b16 v[20:21], v4, off
	s_or_b32 exec_lo, exec_lo, s17
	s_and_saveexec_b32 s17, s8
	s_cbranch_execnz .LBB758_130
.LBB758_157:
	s_or_b32 exec_lo, exec_lo, s17
	s_and_saveexec_b32 s17, s6
	s_cbranch_execz .LBB758_131
.LBB758_158:
	v_sub_nc_u32_e32 v20, v9, v7
	v_mov_b32_e32 v21, 0
	s_delay_alu instid0(VALU_DEP_1) | instskip(NEXT) | instid1(VALU_DEP_1)
	v_lshlrev_b64 v[20:21], 1, v[20:21]
	v_add_co_u32 v20, vcc_lo, v6, v20
	s_delay_alu instid0(VALU_DEP_2)
	v_add_co_ci_u32_e32 v21, vcc_lo, v18, v21, vcc_lo
	global_store_b16 v[20:21], v13, off
	s_or_b32 exec_lo, exec_lo, s17
	s_and_saveexec_b32 s17, s4
	s_cbranch_execnz .LBB758_132
.LBB758_159:
	s_or_b32 exec_lo, exec_lo, s17
	s_and_saveexec_b32 s17, s3
	s_cbranch_execz .LBB758_133
.LBB758_160:
	v_sub_nc_u32_e32 v20, v24, v7
	v_mov_b32_e32 v21, 0
	s_delay_alu instid0(VALU_DEP_1) | instskip(NEXT) | instid1(VALU_DEP_1)
	v_lshlrev_b64 v[20:21], 1, v[20:21]
	v_add_co_u32 v20, vcc_lo, v6, v20
	s_delay_alu instid0(VALU_DEP_2)
	v_add_co_ci_u32_e32 v21, vcc_lo, v18, v21, vcc_lo
	global_store_b16 v[20:21], v14, off
	s_or_b32 exec_lo, exec_lo, s17
	s_and_saveexec_b32 s17, s2
	s_cbranch_execnz .LBB758_134
.LBB758_161:
	s_or_b32 exec_lo, exec_lo, s17
	s_and_saveexec_b32 s17, s1
	s_cbranch_execz .LBB758_163
.LBB758_162:
	v_sub_nc_u32_e32 v20, v44, v7
	v_mov_b32_e32 v21, 0
	s_delay_alu instid0(VALU_DEP_1) | instskip(NEXT) | instid1(VALU_DEP_1)
	v_lshlrev_b64 v[20:21], 1, v[20:21]
	v_add_co_u32 v20, vcc_lo, v6, v20
	s_delay_alu instid0(VALU_DEP_2)
	v_add_co_ci_u32_e32 v21, vcc_lo, v18, v21, vcc_lo
	global_store_b16 v[20:21], v15, off
.LBB758_163:
	s_or_b32 exec_lo, exec_lo, s17
	s_delay_alu instid0(SALU_CYCLE_1)
	s_and_b32 s17, s0, exec_lo
	s_and_not1_saveexec_b32 s15, s15
	s_cbranch_execnz .LBB758_145
.LBB758_164:
	s_or_b32 exec_lo, exec_lo, s15
	s_delay_alu instid0(SALU_CYCLE_1)
	s_and_b32 exec_lo, exec_lo, s17
	s_cbranch_execz .LBB758_166
.LBB758_165:
	v_sub_nc_u32_e32 v20, v36, v7
	v_mov_b32_e32 v21, 0
	s_delay_alu instid0(VALU_DEP_1) | instskip(NEXT) | instid1(VALU_DEP_1)
	v_lshlrev_b64 v[20:21], 1, v[20:21]
	v_add_co_u32 v20, vcc_lo, v6, v20
	s_delay_alu instid0(VALU_DEP_2)
	v_add_co_ci_u32_e32 v21, vcc_lo, v18, v21, vcc_lo
	global_store_d16_hi_b16 v[20:21], v15, off
.LBB758_166:
	s_or_b32 exec_lo, exec_lo, s16
	s_mov_b32 s16, 0
.LBB758_167:
	s_delay_alu instid0(SALU_CYCLE_1)
	s_and_b32 vcc_lo, exec_lo, s16
	s_cbranch_vccz .LBB758_220
; %bb.168:
	s_mov_b32 s15, exec_lo
	v_cmpx_gt_i16_e32 2, v19
	s_cbranch_execz .LBB758_204
; %bb.169:
	s_mov_b32 s17, 0
	s_mov_b32 s16, exec_lo
	v_cmpx_ne_u16_e32 1, v19
	s_xor_b32 s16, exec_lo, s16
	s_cbranch_execz .LBB758_184
; %bb.170:
	s_and_saveexec_b32 s17, s14
	s_cbranch_execz .LBB758_187
; %bb.171:
	v_sub_nc_u32_e32 v19, v40, v7
	s_delay_alu instid0(VALU_DEP_1)
	v_lshlrev_b32_e32 v19, 1, v19
	ds_store_b16 v19, v50
	s_or_b32 exec_lo, exec_lo, s17
	s_and_saveexec_b32 s14, s13
	s_cbranch_execnz .LBB758_188
.LBB758_172:
	s_or_b32 exec_lo, exec_lo, s14
	s_and_saveexec_b32 s13, s12
	s_cbranch_execz .LBB758_189
.LBB758_173:
	v_sub_nc_u32_e32 v19, v42, v7
	s_delay_alu instid0(VALU_DEP_1)
	v_lshlrev_b32_e32 v19, 1, v19
	ds_store_b16_d16_hi v19, v1
	s_or_b32 exec_lo, exec_lo, s13
	s_and_saveexec_b32 s12, s11
	s_cbranch_execnz .LBB758_190
.LBB758_174:
	s_or_b32 exec_lo, exec_lo, s12
	s_and_saveexec_b32 s11, s10
	s_cbranch_execz .LBB758_191
.LBB758_175:
	v_sub_nc_u32_e32 v1, v32, v7
	s_delay_alu instid0(VALU_DEP_1)
	v_lshlrev_b32_e32 v1, 1, v1
	ds_store_b16_d16_hi v1, v2
	s_or_b32 exec_lo, exec_lo, s11
	s_and_saveexec_b32 s10, s9
	s_cbranch_execnz .LBB758_192
.LBB758_176:
	s_or_b32 exec_lo, exec_lo, s10
	s_and_saveexec_b32 s9, s7
	s_cbranch_execz .LBB758_193
.LBB758_177:
	v_sub_nc_u32_e32 v1, v26, v7
	s_delay_alu instid0(VALU_DEP_1)
	v_lshlrev_b32_e32 v1, 1, v1
	ds_store_b16_d16_hi v1, v3
	s_or_b32 exec_lo, exec_lo, s9
	s_and_saveexec_b32 s7, s5
	s_cbranch_execnz .LBB758_194
.LBB758_178:
	s_or_b32 exec_lo, exec_lo, s7
	s_and_saveexec_b32 s5, s8
	s_cbranch_execz .LBB758_195
.LBB758_179:
	v_sub_nc_u32_e32 v1, v34, v7
	s_delay_alu instid0(VALU_DEP_1)
	v_lshlrev_b32_e32 v1, 1, v1
	ds_store_b16_d16_hi v1, v4
	s_or_b32 exec_lo, exec_lo, s5
	s_and_saveexec_b32 s5, s6
	s_cbranch_execnz .LBB758_196
.LBB758_180:
	s_or_b32 exec_lo, exec_lo, s5
	s_and_saveexec_b32 s5, s4
	s_cbranch_execz .LBB758_197
.LBB758_181:
	v_sub_nc_u32_e32 v1, v11, v7
	s_delay_alu instid0(VALU_DEP_1)
	v_lshlrev_b32_e32 v1, 1, v1
	ds_store_b16_d16_hi v1, v13
	s_or_b32 exec_lo, exec_lo, s5
	s_and_saveexec_b32 s4, s3
	s_cbranch_execnz .LBB758_198
.LBB758_182:
	s_or_b32 exec_lo, exec_lo, s4
	s_and_saveexec_b32 s3, s2
	s_cbranch_execz .LBB758_199
.LBB758_183:
	v_sub_nc_u32_e32 v1, v48, v7
	s_delay_alu instid0(VALU_DEP_1)
	v_lshlrev_b32_e32 v1, 1, v1
	ds_store_b16_d16_hi v1, v14
	s_or_b32 exec_lo, exec_lo, s3
	s_and_saveexec_b32 s2, s1
	s_cbranch_execnz .LBB758_200
	s_branch .LBB758_201
.LBB758_184:
	s_and_not1_saveexec_b32 s0, s16
	s_cbranch_execz .LBB758_202
.LBB758_185:
	v_sub_nc_u32_e32 v19, v40, v7
	v_sub_nc_u32_e32 v20, v46, v7
	;; [unrolled: 1-line block ×4, first 2 shown]
	s_or_b32 s17, s17, exec_lo
	v_lshlrev_b32_e32 v19, 1, v19
	v_lshlrev_b32_e32 v20, 1, v20
	;; [unrolled: 1-line block ×4, first 2 shown]
	ds_store_b16 v19, v50
	ds_store_b16 v20, v1
	ds_store_b16_d16_hi v21, v1
	v_sub_nc_u32_e32 v1, v32, v7
	v_sub_nc_u32_e32 v19, v28, v7
	ds_store_b16 v22, v2
	v_sub_nc_u32_e32 v22, v34, v7
	v_sub_nc_u32_e32 v20, v26, v7
	v_lshlrev_b32_e32 v1, 1, v1
	v_sub_nc_u32_e32 v21, v30, v7
	v_lshlrev_b32_e32 v19, 1, v19
	s_delay_alu instid0(VALU_DEP_4)
	v_lshlrev_b32_e32 v20, 1, v20
	ds_store_b16_d16_hi v1, v2
	v_lshlrev_b32_e32 v1, 1, v22
	v_sub_nc_u32_e32 v2, v9, v7
	v_lshlrev_b32_e32 v21, 1, v21
	ds_store_b16 v19, v3
	ds_store_b16_d16_hi v20, v3
	ds_store_b16 v21, v4
	ds_store_b16_d16_hi v1, v4
	v_sub_nc_u32_e32 v1, v11, v7
	v_lshlrev_b32_e32 v2, 1, v2
	v_sub_nc_u32_e32 v19, v44, v7
	v_sub_nc_u32_e32 v3, v24, v7
	;; [unrolled: 1-line block ×3, first 2 shown]
	v_lshlrev_b32_e32 v1, 1, v1
	ds_store_b16 v2, v13
	v_lshlrev_b32_e32 v2, 1, v19
	v_lshlrev_b32_e32 v3, 1, v3
	;; [unrolled: 1-line block ×3, first 2 shown]
	ds_store_b16_d16_hi v1, v13
	ds_store_b16 v3, v14
	ds_store_b16_d16_hi v4, v14
	ds_store_b16 v2, v15
	s_or_b32 exec_lo, exec_lo, s0
	s_delay_alu instid0(SALU_CYCLE_1)
	s_and_b32 exec_lo, exec_lo, s17
	s_cbranch_execnz .LBB758_203
	s_branch .LBB758_204
.LBB758_186:
	s_or_b32 exec_lo, exec_lo, s1
	v_mov_b32_e32 v65, s31
	s_and_saveexec_b32 s1, s30
	s_cbranch_execnz .LBB758_72
	s_branch .LBB758_73
.LBB758_187:
	s_or_b32 exec_lo, exec_lo, s17
	s_and_saveexec_b32 s14, s13
	s_cbranch_execz .LBB758_172
.LBB758_188:
	v_sub_nc_u32_e32 v19, v46, v7
	s_delay_alu instid0(VALU_DEP_1)
	v_lshlrev_b32_e32 v19, 1, v19
	ds_store_b16 v19, v1
	s_or_b32 exec_lo, exec_lo, s14
	s_and_saveexec_b32 s13, s12
	s_cbranch_execnz .LBB758_173
.LBB758_189:
	s_or_b32 exec_lo, exec_lo, s13
	s_and_saveexec_b32 s12, s11
	s_cbranch_execz .LBB758_174
.LBB758_190:
	v_sub_nc_u32_e32 v1, v38, v7
	s_delay_alu instid0(VALU_DEP_1)
	v_lshlrev_b32_e32 v1, 1, v1
	ds_store_b16 v1, v2
	s_or_b32 exec_lo, exec_lo, s12
	s_and_saveexec_b32 s11, s10
	s_cbranch_execnz .LBB758_175
.LBB758_191:
	s_or_b32 exec_lo, exec_lo, s11
	s_and_saveexec_b32 s10, s9
	s_cbranch_execz .LBB758_176
.LBB758_192:
	v_sub_nc_u32_e32 v1, v28, v7
	s_delay_alu instid0(VALU_DEP_1)
	v_lshlrev_b32_e32 v1, 1, v1
	ds_store_b16 v1, v3
	s_or_b32 exec_lo, exec_lo, s10
	s_and_saveexec_b32 s9, s7
	s_cbranch_execnz .LBB758_177
.LBB758_193:
	s_or_b32 exec_lo, exec_lo, s9
	s_and_saveexec_b32 s7, s5
	s_cbranch_execz .LBB758_178
.LBB758_194:
	v_sub_nc_u32_e32 v1, v30, v7
	s_delay_alu instid0(VALU_DEP_1)
	v_lshlrev_b32_e32 v1, 1, v1
	ds_store_b16 v1, v4
	s_or_b32 exec_lo, exec_lo, s7
	s_and_saveexec_b32 s5, s8
	s_cbranch_execnz .LBB758_179
.LBB758_195:
	s_or_b32 exec_lo, exec_lo, s5
	s_and_saveexec_b32 s5, s6
	s_cbranch_execz .LBB758_180
.LBB758_196:
	v_sub_nc_u32_e32 v1, v9, v7
	s_delay_alu instid0(VALU_DEP_1)
	v_lshlrev_b32_e32 v1, 1, v1
	ds_store_b16 v1, v13
	s_or_b32 exec_lo, exec_lo, s5
	s_and_saveexec_b32 s5, s4
	s_cbranch_execnz .LBB758_181
.LBB758_197:
	s_or_b32 exec_lo, exec_lo, s5
	s_and_saveexec_b32 s4, s3
	s_cbranch_execz .LBB758_182
.LBB758_198:
	v_sub_nc_u32_e32 v1, v24, v7
	s_delay_alu instid0(VALU_DEP_1)
	v_lshlrev_b32_e32 v1, 1, v1
	ds_store_b16 v1, v14
	s_or_b32 exec_lo, exec_lo, s4
	s_and_saveexec_b32 s3, s2
	s_cbranch_execnz .LBB758_183
.LBB758_199:
	s_or_b32 exec_lo, exec_lo, s3
	s_and_saveexec_b32 s2, s1
	s_cbranch_execz .LBB758_201
.LBB758_200:
	v_sub_nc_u32_e32 v1, v44, v7
	s_delay_alu instid0(VALU_DEP_1)
	v_lshlrev_b32_e32 v1, 1, v1
	ds_store_b16 v1, v15
.LBB758_201:
	s_or_b32 exec_lo, exec_lo, s2
	s_delay_alu instid0(SALU_CYCLE_1)
	s_and_b32 s17, s0, exec_lo
                                        ; implicit-def: $vgpr50
                                        ; implicit-def: $vgpr1
	s_and_not1_saveexec_b32 s0, s16
	s_cbranch_execnz .LBB758_185
.LBB758_202:
	s_or_b32 exec_lo, exec_lo, s0
	s_delay_alu instid0(SALU_CYCLE_1)
	s_and_b32 exec_lo, exec_lo, s17
	s_cbranch_execz .LBB758_204
.LBB758_203:
	v_sub_nc_u32_e32 v1, v36, v7
	s_delay_alu instid0(VALU_DEP_1)
	v_lshlrev_b32_e32 v1, 1, v1
	ds_store_b16_d16_hi v1, v15
.LBB758_204:
	s_or_b32 exec_lo, exec_lo, s15
	s_delay_alu instid0(SALU_CYCLE_1)
	s_mov_b32 s1, exec_lo
	s_waitcnt lgkmcnt(0)
	s_waitcnt_vscnt null, 0x0
	s_barrier
	buffer_gl0_inv
	v_cmpx_lt_u32_e64 v0, v5
	s_cbranch_execz .LBB758_219
; %bb.205:
	v_xad_u32 v2, v0, -1, v5
	v_mov_b32_e32 v1, v0
	s_mov_b32 s0, -1
	s_mov_b32 s3, exec_lo
	s_delay_alu instid0(VALU_DEP_2)
	v_cmp_gt_u32_e64 s2, 0x1900, v2
	v_cmpx_lt_u32_e32 0x18ff, v2
	s_cbranch_execz .LBB758_216
; %bb.206:
	v_sub_nc_u32_e32 v1, v0, v5
	s_delay_alu instid0(VALU_DEP_1) | instskip(NEXT) | instid1(VALU_DEP_1)
	v_or_b32_e32 v1, 0xff, v1
	v_cmp_ge_u32_e32 vcc_lo, v1, v0
	v_mov_b32_e32 v1, v0
	s_and_saveexec_b32 s4, vcc_lo
	s_cbranch_execz .LBB758_215
; %bb.207:
	v_lshrrev_b32_e32 v4, 8, v2
	v_or_b32_e32 v1, 0x100, v0
	v_dual_mov_b32 v22, 0 :: v_dual_lshlrev_b32 v15, 1, v0
	s_delay_alu instid0(VALU_DEP_3) | instskip(NEXT) | instid1(VALU_DEP_1)
	v_add_nc_u32_e32 v2, -1, v4
	v_lshrrev_b32_e32 v3, 1, v2
	v_cmp_lt_u32_e32 vcc_lo, 13, v2
	s_delay_alu instid0(VALU_DEP_2)
	v_add_nc_u32_e32 v19, 1, v3
	v_dual_mov_b32 v3, v1 :: v_dual_mov_b32 v2, v0
	s_and_saveexec_b32 s0, vcc_lo
	s_cbranch_execz .LBB758_211
; %bb.208:
	v_dual_mov_b32 v14, 0 :: v_dual_mov_b32 v3, v1
	v_dual_mov_b32 v21, v15 :: v_dual_and_b32 v20, -8, v19
	v_mov_b32_e32 v2, v0
	s_mov_b32 s5, 0
	s_mov_b32 s6, 0
.LBB758_209:                            ; =>This Inner Loop Header: Depth=1
	s_delay_alu instid0(VALU_DEP_1) | instskip(SKIP_2) | instid1(VALU_DEP_3)
	v_dual_mov_b32 v13, v2 :: v_dual_add_nc_u32 v20, -8, v20
	v_dual_mov_b32 v68, v14 :: v_dual_add_nc_u32 v67, 0x200, v3
	v_dual_mov_b32 v70, v14 :: v_dual_add_nc_u32 v69, 0x400, v3
	v_lshlrev_b64 v[81:82], 1, v[13:14]
	s_delay_alu instid0(VALU_DEP_4) | instskip(NEXT) | instid1(VALU_DEP_4)
	v_cmp_eq_u32_e32 vcc_lo, 0, v20
	v_lshlrev_b64 v[67:68], 1, v[67:68]
	v_dual_mov_b32 v72, v14 :: v_dual_add_nc_u32 v71, 0x600, v3
	s_add_i32 s6, s6, 16
	v_lshlrev_b64 v[69:70], 1, v[69:70]
	s_or_b32 s5, vcc_lo, s5
	v_add_co_u32 v81, vcc_lo, v6, v81
	v_dual_mov_b32 v74, v14 :: v_dual_add_nc_u32 v73, 0x800, v3
	v_add_co_ci_u32_e32 v82, vcc_lo, v18, v82, vcc_lo
	v_lshlrev_b64 v[71:72], 1, v[71:72]
	v_add_co_u32 v67, vcc_lo, v6, v67
	v_dual_mov_b32 v76, v14 :: v_dual_add_nc_u32 v75, 0xa00, v3
	v_add_co_ci_u32_e32 v68, vcc_lo, v18, v68, vcc_lo
	v_lshlrev_b64 v[73:74], 1, v[73:74]
	;; [unrolled: 4-line block ×3, first 2 shown]
	v_add_co_u32 v71, vcc_lo, v6, v71
	v_dual_mov_b32 v80, v14 :: v_dual_add_nc_u32 v79, 0xe00, v3
	v_mov_b32_e32 v13, v3
	v_add_co_ci_u32_e32 v72, vcc_lo, v18, v72, vcc_lo
	v_lshlrev_b64 v[77:78], 1, v[77:78]
	v_add_co_u32 v73, vcc_lo, v6, v73
	ds_load_u16 v1, v21
	ds_load_u16 v23, v21 offset:512
	ds_load_u16 v50, v21 offset:1024
	ds_load_u16 v87, v21 offset:1536
	ds_load_u16 v88, v21 offset:2048
	ds_load_u16 v89, v21 offset:2560
	ds_load_u16 v90, v21 offset:3072
	ds_load_u16 v91, v21 offset:3584
	v_add_co_ci_u32_e32 v74, vcc_lo, v18, v74, vcc_lo
	v_lshlrev_b64 v[79:80], 1, v[79:80]
	v_add_co_u32 v75, vcc_lo, v6, v75
	v_lshlrev_b64 v[83:84], 1, v[13:14]
	v_add_nc_u32_e32 v13, 0x200, v2
	v_add_co_ci_u32_e32 v76, vcc_lo, v18, v76, vcc_lo
	v_add_co_u32 v77, vcc_lo, v6, v77
	v_add_co_ci_u32_e32 v78, vcc_lo, v18, v78, vcc_lo
	v_add_co_u32 v79, vcc_lo, v6, v79
	v_lshlrev_b64 v[85:86], 1, v[13:14]
	v_add_nc_u32_e32 v13, 0x400, v2
	v_add_co_ci_u32_e32 v80, vcc_lo, v18, v80, vcc_lo
	v_add_co_u32 v83, vcc_lo, v6, v83
	ds_load_u16 v92, v21 offset:4096
	ds_load_u16 v93, v21 offset:4608
	;; [unrolled: 1-line block ×8, first 2 shown]
	v_add_co_ci_u32_e32 v84, vcc_lo, v18, v84, vcc_lo
	s_waitcnt lgkmcnt(15)
	global_store_b16 v[81:82], v1, off
	v_lshlrev_b64 v[81:82], 1, v[13:14]
	v_add_nc_u32_e32 v13, 0x600, v2
	v_add_co_u32 v85, vcc_lo, v6, v85
	v_add_co_ci_u32_e32 v86, vcc_lo, v18, v86, vcc_lo
	s_waitcnt lgkmcnt(14)
	global_store_b16 v[83:84], v23, off
	v_lshlrev_b64 v[83:84], 1, v[13:14]
	v_add_nc_u32_e32 v13, 0x800, v2
	s_waitcnt lgkmcnt(13)
	global_store_b16 v[85:86], v50, off
	s_waitcnt lgkmcnt(12)
	global_store_b16 v[67:68], v87, off
	v_add_co_u32 v67, vcc_lo, v6, v81
	v_add_co_ci_u32_e32 v68, vcc_lo, v18, v82, vcc_lo
	v_lshlrev_b64 v[81:82], 1, v[13:14]
	v_add_nc_u32_e32 v13, 0xa00, v2
	v_add_co_u32 v83, vcc_lo, v6, v83
	v_add_co_ci_u32_e32 v84, vcc_lo, v18, v84, vcc_lo
	s_waitcnt lgkmcnt(11)
	global_store_b16 v[67:68], v88, off
	s_waitcnt lgkmcnt(10)
	global_store_b16 v[69:70], v89, off
	v_lshlrev_b64 v[67:68], 1, v[13:14]
	v_add_nc_u32_e32 v13, 0xc00, v2
	v_add_co_u32 v69, vcc_lo, v6, v81
	s_waitcnt lgkmcnt(9)
	global_store_b16 v[83:84], v90, off
	s_waitcnt lgkmcnt(8)
	global_store_b16 v[71:72], v91, off
	v_add_co_ci_u32_e32 v70, vcc_lo, v18, v82, vcc_lo
	v_lshlrev_b64 v[71:72], 1, v[13:14]
	v_add_nc_u32_e32 v13, 0xe00, v2
	v_add_nc_u32_e32 v2, 0x1000, v2
	v_add_co_u32 v67, vcc_lo, v6, v67
	v_add_co_ci_u32_e32 v68, vcc_lo, v18, v68, vcc_lo
	s_waitcnt lgkmcnt(7)
	global_store_b16 v[69:70], v92, off
	s_waitcnt lgkmcnt(6)
	global_store_b16 v[73:74], v93, off
	v_lshlrev_b64 v[69:70], 1, v[13:14]
	v_dual_mov_b32 v22, s6 :: v_dual_add_nc_u32 v21, 0x2000, v21
	s_waitcnt lgkmcnt(5)
	global_store_b16 v[67:68], v94, off
	v_add_co_u32 v67, vcc_lo, v6, v71
	v_add_nc_u32_e32 v3, 0x1000, v3
	v_add_co_ci_u32_e32 v68, vcc_lo, v18, v72, vcc_lo
	v_add_co_u32 v69, vcc_lo, v6, v69
	v_add_co_ci_u32_e32 v70, vcc_lo, v18, v70, vcc_lo
	s_waitcnt lgkmcnt(4)
	global_store_b16 v[75:76], v95, off
	s_waitcnt lgkmcnt(3)
	global_store_b16 v[67:68], v96, off
	;; [unrolled: 2-line block ×5, first 2 shown]
	s_and_not1_b32 exec_lo, exec_lo, s5
	s_cbranch_execnz .LBB758_209
; %bb.210:
	s_or_b32 exec_lo, exec_lo, s5
.LBB758_211:
	s_delay_alu instid0(SALU_CYCLE_1) | instskip(SKIP_3) | instid1(VALU_DEP_1)
	s_or_b32 exec_lo, exec_lo, s0
	v_and_b32_e32 v1, 7, v19
	s_mov_b32 s6, 0
	s_mov_b32 s5, exec_lo
	v_cmpx_ne_u32_e32 0, v1
	s_cbranch_execz .LBB758_214
; %bb.212:
	v_lshl_or_b32 v15, v22, 9, v15
	v_mov_b32_e32 v14, 0
	s_set_inst_prefetch_distance 0x1
	.p2align	6
.LBB758_213:                            ; =>This Inner Loop Header: Depth=1
	v_dual_mov_b32 v13, v2 :: v_dual_add_nc_u32 v2, 0x200, v2
	ds_load_u16 v23, v15
	ds_load_u16 v50, v15 offset:512
	v_add_nc_u32_e32 v1, -1, v1
	v_add_nc_u32_e32 v15, 0x400, v15
	v_lshlrev_b64 v[19:20], 1, v[13:14]
	v_mov_b32_e32 v13, v3
	v_add_nc_u32_e32 v3, 0x200, v3
	v_cmp_eq_u32_e32 vcc_lo, 0, v1
	s_delay_alu instid0(VALU_DEP_3) | instskip(SKIP_1) | instid1(VALU_DEP_1)
	v_lshlrev_b64 v[21:22], 1, v[13:14]
	v_add_co_u32 v19, s0, v6, v19
	v_add_co_ci_u32_e64 v20, s0, v18, v20, s0
	s_or_b32 s6, vcc_lo, s6
	s_delay_alu instid0(VALU_DEP_3) | instskip(NEXT) | instid1(VALU_DEP_1)
	v_add_co_u32 v21, s0, v6, v21
	v_add_co_ci_u32_e64 v22, s0, v18, v22, s0
	s_waitcnt lgkmcnt(1)
	global_store_b16 v[19:20], v23, off
	s_waitcnt lgkmcnt(0)
	global_store_b16 v[21:22], v50, off
	s_and_not1_b32 exec_lo, exec_lo, s6
	s_cbranch_execnz .LBB758_213
.LBB758_214:
	s_set_inst_prefetch_distance 0x2
	s_or_b32 exec_lo, exec_lo, s5
	v_add_nc_u32_e32 v1, 1, v4
	s_delay_alu instid0(VALU_DEP_1) | instskip(NEXT) | instid1(VALU_DEP_1)
	v_and_b32_e32 v2, 0x1fffffe, v1
	v_cmp_ne_u32_e32 vcc_lo, v1, v2
	v_lshl_or_b32 v1, v2, 8, v0
	s_or_not1_b32 s0, vcc_lo, exec_lo
.LBB758_215:
	s_or_b32 exec_lo, exec_lo, s4
	s_delay_alu instid0(SALU_CYCLE_1) | instskip(SKIP_1) | instid1(SALU_CYCLE_1)
	s_and_not1_b32 s2, s2, exec_lo
	s_and_b32 s0, s0, exec_lo
	s_or_b32 s2, s2, s0
.LBB758_216:
	s_or_b32 exec_lo, exec_lo, s3
	s_delay_alu instid0(VALU_DEP_2) | instid1(SALU_CYCLE_1)
	s_and_b32 exec_lo, exec_lo, s2
	s_cbranch_execz .LBB758_219
; %bb.217:
	v_dual_mov_b32 v2, 0 :: v_dual_lshlrev_b32 v3, 1, v1
	s_mov_b32 s2, 0
	.p2align	6
.LBB758_218:                            ; =>This Inner Loop Header: Depth=1
	ds_load_u16 v4, v3
	v_lshlrev_b64 v[13:14], 1, v[1:2]
	v_add_nc_u32_e32 v1, 0x100, v1
	v_add_nc_u32_e32 v3, 0x200, v3
	s_delay_alu instid0(VALU_DEP_2) | instskip(NEXT) | instid1(VALU_DEP_4)
	v_cmp_ge_u32_e32 vcc_lo, v1, v5
	v_add_co_u32 v13, s0, v6, v13
	s_delay_alu instid0(VALU_DEP_1)
	v_add_co_ci_u32_e64 v14, s0, v18, v14, s0
	s_or_b32 s2, vcc_lo, s2
	s_waitcnt lgkmcnt(0)
	global_store_b16 v[13:14], v4, off
	s_and_not1_b32 exec_lo, exec_lo, s2
	s_cbranch_execnz .LBB758_218
.LBB758_219:
	s_or_b32 exec_lo, exec_lo, s1
.LBB758_220:
	s_cmpk_lg_i32 s21, 0xf00
	v_cmp_eq_u32_e32 vcc_lo, 0, v0
	s_cselect_b32 s0, -1, 0
	v_cndmask_b32_e64 v15, 0, 1, s28
	s_and_b32 s0, s20, s0
	v_mad_i32_i24 v4, v0, -15, s21
	v_cndmask_b32_e64 v2, 0, 1, s0
	s_mul_hi_u32 s0, s21, 0x88888889
	s_and_b32 s1, vcc_lo, s28
	s_lshr_b32 s0, s0, 3
	v_sub_nc_u32_e32 v1, v5, v15
	v_cndmask_b32_e64 v6, v65, 0, s1
	v_cmp_eq_u32_e32 vcc_lo, s0, v0
	v_cmp_ne_u32_e64 s0, 0, v4
	s_mov_b32 s16, -1
	s_waitcnt_vscnt null, 0x0
	s_barrier
	s_and_b32 vcc_lo, s20, vcc_lo
	v_add_nc_u32_e32 v3, v1, v2
	v_cndmask_b32_e64 v1, 1, v6, s0
	v_cmp_ne_u32_e64 s0, 1, v4
	buffer_gl0_inv
	v_cndmask_b32_e32 v21, v6, v1, vcc_lo
	v_cndmask_b32_e64 v2, 1, v64, s0
	v_cmp_ne_u32_e64 s0, 2, v4
	s_delay_alu instid0(VALU_DEP_3) | instskip(NEXT) | instid1(VALU_DEP_2)
	v_cmp_ne_u32_e64 s14, 0, v21
	v_cndmask_b32_e64 v13, 1, v63, s0
	v_cmp_ne_u32_e64 s0, 14, v4
	s_delay_alu instid0(VALU_DEP_2) | instskip(NEXT) | instid1(VALU_DEP_2)
	v_dual_cndmask_b32 v22, v64, v2 :: v_dual_cndmask_b32 v23, v63, v13
	v_cndmask_b32_e64 v14, 1, v57, s0
	v_cmp_ne_u32_e64 s0, 3, v4
	s_delay_alu instid0(VALU_DEP_3) | instskip(NEXT) | instid1(VALU_DEP_4)
	v_cmp_ne_u32_e64 s13, 0, v22
	v_cmp_ne_u32_e64 s12, 0, v23
	s_delay_alu instid0(VALU_DEP_4) | instskip(NEXT) | instid1(VALU_DEP_4)
	v_cndmask_b32_e32 v20, v57, v14, vcc_lo
	v_cndmask_b32_e64 v18, 1, v62, s0
	v_cmp_ne_u32_e64 s0, 4, v4
	s_delay_alu instid0(VALU_DEP_1) | instskip(SKIP_1) | instid1(VALU_DEP_2)
	v_cndmask_b32_e64 v19, 1, v61, s0
	v_cmp_ne_u32_e64 s0, 5, v4
	v_dual_cndmask_b32 v18, v62, v18 :: v_dual_cndmask_b32 v19, v61, v19
	s_delay_alu instid0(VALU_DEP_2) | instskip(SKIP_1) | instid1(VALU_DEP_3)
	v_cndmask_b32_e64 v1, 1, v60, s0
	v_cmp_ne_u32_e64 s0, 6, v4
	v_cmp_ne_u32_e64 s11, 0, v18
	s_delay_alu instid0(VALU_DEP_4) | instskip(NEXT) | instid1(VALU_DEP_4)
	v_cmp_ne_u32_e64 s10, 0, v19
	v_cndmask_b32_e32 v60, v60, v1, vcc_lo
	s_delay_alu instid0(VALU_DEP_4) | instskip(SKIP_1) | instid1(VALU_DEP_3)
	v_cndmask_b32_e64 v2, 1, v59, s0
	v_cmp_eq_u32_e64 s0, 0, v21
	v_cmp_ne_u32_e64 s9, 0, v60
	s_delay_alu instid0(VALU_DEP_2) | instskip(SKIP_1) | instid1(VALU_DEP_1)
	v_cndmask_b32_e64 v6, 1, 2, s0
	v_cmp_eq_u32_e64 s0, 0, v22
	v_cndmask_b32_e64 v14, 1, 2, s0
	v_cmp_ne_u32_e64 s0, 7, v4
	s_delay_alu instid0(VALU_DEP_2) | instskip(NEXT) | instid1(VALU_DEP_2)
	v_and_b32_e32 v6, v14, v6
	v_cndmask_b32_e64 v13, 1, v58, s0
	v_cmp_eq_u32_e64 s0, 0, v23
	s_delay_alu instid0(VALU_DEP_2) | instskip(NEXT) | instid1(VALU_DEP_2)
	v_cndmask_b32_e32 v58, v58, v13, vcc_lo
	v_cndmask_b32_e64 v14, 1, 2, s0
	v_cmp_ne_u32_e64 s0, 8, v4
	s_delay_alu instid0(VALU_DEP_3) | instskip(NEXT) | instid1(VALU_DEP_2)
	v_cmp_ne_u32_e64 s7, 0, v58
	v_cndmask_b32_e64 v50, 1, v56, s0
	v_cmp_ne_u32_e64 s0, 9, v4
	s_delay_alu instid0(VALU_DEP_2) | instskip(NEXT) | instid1(VALU_DEP_2)
	v_cndmask_b32_e32 v50, v56, v50, vcc_lo
	v_cndmask_b32_e64 v57, 1, v55, s0
	v_cmp_eq_u32_e64 s0, 0, v18
	s_delay_alu instid0(VALU_DEP_2) | instskip(NEXT) | instid1(VALU_DEP_2)
	v_dual_cndmask_b32 v55, v55, v57 :: v_dual_and_b32 v6, v6, v14
	v_cndmask_b32_e64 v14, 1, 2, s0
	v_cmp_ne_u32_e64 s0, 10, v4
	s_delay_alu instid0(VALU_DEP_3) | instskip(NEXT) | instid1(VALU_DEP_3)
	v_cmp_ne_u32_e64 s5, 0, v55
	v_and_b32_e32 v1, v6, v14
	s_delay_alu instid0(VALU_DEP_3) | instskip(SKIP_1) | instid1(VALU_DEP_2)
	v_cndmask_b32_e64 v61, 1, v54, s0
	v_cmp_eq_u32_e64 s0, 0, v19
	v_dual_cndmask_b32 v59, v59, v2 :: v_dual_cndmask_b32 v54, v54, v61
	s_delay_alu instid0(VALU_DEP_2) | instskip(SKIP_1) | instid1(VALU_DEP_3)
	v_cndmask_b32_e64 v6, 1, 2, s0
	v_cmp_ne_u32_e64 s0, 11, v4
	v_cmp_ne_u32_e64 s8, 0, v59
	s_delay_alu instid0(VALU_DEP_4) | instskip(NEXT) | instid1(VALU_DEP_4)
	v_cmp_ne_u32_e64 s4, 0, v54
	v_and_b32_e32 v1, v1, v6
	s_delay_alu instid0(VALU_DEP_4) | instskip(SKIP_1) | instid1(VALU_DEP_2)
	v_cndmask_b32_e64 v14, 1, v53, s0
	v_cmp_ne_u32_e64 s0, 13, v4
	v_cndmask_b32_e32 v53, v53, v14, vcc_lo
	s_delay_alu instid0(VALU_DEP_2) | instskip(SKIP_2) | instid1(VALU_DEP_2)
	v_cndmask_b32_e64 v62, 1, v51, s0
	v_cmp_eq_u32_e64 s0, 0, v60
	v_lshlrev_b64 v[13:14], 2, v[7:8]
	v_cndmask_b32_e64 v6, 1, 2, s0
	v_cmp_ne_u32_e64 s0, 12, v4
	s_delay_alu instid0(VALU_DEP_2) | instskip(NEXT) | instid1(VALU_DEP_2)
	v_and_b32_e32 v1, v1, v6
	v_cndmask_b32_e64 v2, 1, v52, s0
	v_cmp_eq_u32_e64 s0, 0, v59
	s_delay_alu instid0(VALU_DEP_2) | instskip(NEXT) | instid1(VALU_DEP_2)
	v_cndmask_b32_e32 v52, v52, v2, vcc_lo
	v_cndmask_b32_e64 v4, 1, 2, s0
	v_cmp_eq_u32_e64 s0, 0, v58
	v_cndmask_b32_e32 v51, v51, v62, vcc_lo
	v_cmp_eq_u32_e32 vcc_lo, 0, v50
	s_delay_alu instid0(VALU_DEP_4) | instskip(SKIP_4) | instid1(VALU_DEP_3)
	v_and_b32_e32 v4, v1, v4
	v_lshlrev_b64 v[1:2], 2, v[16:17]
	v_cndmask_b32_e64 v6, 1, 2, s0
	v_cmp_ne_u32_e64 s1, 0, v51
	v_cmp_ne_u32_e64 s0, 0, v20
	v_and_b32_e32 v4, v4, v6
	v_cndmask_b32_e64 v6, 1, 2, vcc_lo
	v_add_co_u32 v1, vcc_lo, s36, v1
	v_add_co_ci_u32_e32 v2, vcc_lo, s37, v2, vcc_lo
	v_cmp_eq_u32_e32 vcc_lo, 0, v55
	s_delay_alu instid0(VALU_DEP_4)
	v_and_b32_e32 v6, v4, v6
	v_cndmask_b32_e64 v56, 1, 2, vcc_lo
	v_add_co_u32 v4, vcc_lo, v1, v13
	v_add_co_ci_u32_e32 v8, vcc_lo, v2, v14, vcc_lo
	v_lshlrev_b32_e32 v1, 2, v15
	v_cmp_eq_u32_e32 vcc_lo, 0, v54
	v_and_b32_e32 v2, v6, v56
	v_cmp_ne_u32_e64 s3, 0, v53
	v_cmp_ne_u32_e64 s2, 0, v52
	v_cndmask_b32_e64 v6, 1, 2, vcc_lo
	v_add_co_u32 v1, vcc_lo, v1, v4
	v_add_co_ci_u32_e32 v13, vcc_lo, 0, v8, vcc_lo
	v_cmp_eq_u32_e32 vcc_lo, 0, v53
	s_delay_alu instid0(VALU_DEP_4) | instskip(SKIP_4) | instid1(VALU_DEP_4)
	v_and_b32_e32 v2, v2, v6
	v_cndmask_b32_e64 v14, 1, 2, vcc_lo
	v_add_co_u32 v6, vcc_lo, v1, -4
	v_add_co_ci_u32_e32 v13, vcc_lo, -1, v13, vcc_lo
	v_cmp_eq_u32_e32 vcc_lo, 0, v52
	v_and_b32_e32 v2, v2, v14
	v_add_nc_u32_e32 v1, v7, v15
	v_cmp_ne_u32_e64 s6, 0, v50
	v_cndmask_b32_e64 v14, 1, 2, vcc_lo
	v_cmp_eq_u32_e32 vcc_lo, 0, v51
	s_delay_alu instid0(VALU_DEP_2) | instskip(SKIP_2) | instid1(VALU_DEP_2)
	v_and_b32_e32 v2, v2, v14
	v_cndmask_b32_e64 v14, 1, 2, vcc_lo
	v_cmp_eq_u32_e32 vcc_lo, 0, v20
	v_and_b32_e32 v2, v2, v14
	v_cndmask_b32_e64 v14, 1, 2, vcc_lo
	v_cmp_gt_u32_e32 vcc_lo, 0x100, v3
	s_delay_alu instid0(VALU_DEP_2) | instskip(NEXT) | instid1(VALU_DEP_1)
	v_and_b32_e32 v2, v2, v14
	v_cmp_gt_i16_e64 s15, 2, v2
	s_cbranch_vccz .LBB758_237
; %bb.221:
	s_delay_alu instid0(VALU_DEP_1)
	s_and_saveexec_b32 s16, s15
	s_cbranch_execz .LBB758_275
; %bb.222:
	s_mov_b32 s17, 0
	s_mov_b32 s15, exec_lo
	v_cmpx_ne_u16_e32 1, v2
	s_xor_b32 s15, exec_lo, s15
	s_cbranch_execz .LBB758_254
; %bb.223:
	s_and_saveexec_b32 s17, s14
	s_cbranch_execz .LBB758_258
; %bb.224:
	v_sub_nc_u32_e32 v14, v40, v1
	v_mov_b32_e32 v15, 0
	s_delay_alu instid0(VALU_DEP_1) | instskip(NEXT) | instid1(VALU_DEP_1)
	v_lshlrev_b64 v[14:15], 2, v[14:15]
	v_add_co_u32 v14, vcc_lo, v6, v14
	s_delay_alu instid0(VALU_DEP_2)
	v_add_co_ci_u32_e32 v15, vcc_lo, v13, v15, vcc_lo
	global_store_b32 v[14:15], v41, off
	s_or_b32 exec_lo, exec_lo, s17
	s_and_saveexec_b32 s17, s13
	s_cbranch_execnz .LBB758_259
.LBB758_225:
	s_or_b32 exec_lo, exec_lo, s17
	s_and_saveexec_b32 s17, s12
	s_cbranch_execz .LBB758_260
.LBB758_226:
	v_sub_nc_u32_e32 v14, v42, v1
	v_mov_b32_e32 v15, 0
	s_delay_alu instid0(VALU_DEP_1) | instskip(NEXT) | instid1(VALU_DEP_1)
	v_lshlrev_b64 v[14:15], 2, v[14:15]
	v_add_co_u32 v14, vcc_lo, v6, v14
	s_delay_alu instid0(VALU_DEP_2)
	v_add_co_ci_u32_e32 v15, vcc_lo, v13, v15, vcc_lo
	global_store_b32 v[14:15], v43, off
	s_or_b32 exec_lo, exec_lo, s17
	s_and_saveexec_b32 s17, s11
	s_cbranch_execnz .LBB758_261
.LBB758_227:
	s_or_b32 exec_lo, exec_lo, s17
	s_and_saveexec_b32 s17, s10
	s_cbranch_execz .LBB758_262
.LBB758_228:
	v_sub_nc_u32_e32 v14, v32, v1
	v_mov_b32_e32 v15, 0
	s_delay_alu instid0(VALU_DEP_1) | instskip(NEXT) | instid1(VALU_DEP_1)
	v_lshlrev_b64 v[14:15], 2, v[14:15]
	v_add_co_u32 v14, vcc_lo, v6, v14
	s_delay_alu instid0(VALU_DEP_2)
	v_add_co_ci_u32_e32 v15, vcc_lo, v13, v15, vcc_lo
	global_store_b32 v[14:15], v33, off
	s_or_b32 exec_lo, exec_lo, s17
	s_and_saveexec_b32 s17, s9
	s_cbranch_execnz .LBB758_263
.LBB758_229:
	s_or_b32 exec_lo, exec_lo, s17
	s_and_saveexec_b32 s17, s8
	s_cbranch_execz .LBB758_264
.LBB758_230:
	v_sub_nc_u32_e32 v14, v26, v1
	v_mov_b32_e32 v15, 0
	s_delay_alu instid0(VALU_DEP_1) | instskip(NEXT) | instid1(VALU_DEP_1)
	v_lshlrev_b64 v[14:15], 2, v[14:15]
	v_add_co_u32 v14, vcc_lo, v6, v14
	s_delay_alu instid0(VALU_DEP_2)
	v_add_co_ci_u32_e32 v15, vcc_lo, v13, v15, vcc_lo
	global_store_b32 v[14:15], v27, off
	s_or_b32 exec_lo, exec_lo, s17
	s_and_saveexec_b32 s17, s7
	s_cbranch_execnz .LBB758_265
.LBB758_231:
	s_or_b32 exec_lo, exec_lo, s17
	s_and_saveexec_b32 s17, s6
	s_cbranch_execz .LBB758_266
.LBB758_232:
	v_sub_nc_u32_e32 v14, v34, v1
	v_mov_b32_e32 v15, 0
	s_delay_alu instid0(VALU_DEP_1) | instskip(NEXT) | instid1(VALU_DEP_1)
	v_lshlrev_b64 v[14:15], 2, v[14:15]
	v_add_co_u32 v14, vcc_lo, v6, v14
	s_delay_alu instid0(VALU_DEP_2)
	v_add_co_ci_u32_e32 v15, vcc_lo, v13, v15, vcc_lo
	global_store_b32 v[14:15], v35, off
	s_or_b32 exec_lo, exec_lo, s17
	s_and_saveexec_b32 s17, s5
	s_cbranch_execnz .LBB758_267
.LBB758_233:
	s_or_b32 exec_lo, exec_lo, s17
	s_and_saveexec_b32 s17, s4
	s_cbranch_execz .LBB758_268
.LBB758_234:
	v_sub_nc_u32_e32 v14, v11, v1
	v_mov_b32_e32 v15, 0
	s_delay_alu instid0(VALU_DEP_1) | instskip(NEXT) | instid1(VALU_DEP_1)
	v_lshlrev_b64 v[14:15], 2, v[14:15]
	v_add_co_u32 v14, vcc_lo, v6, v14
	s_delay_alu instid0(VALU_DEP_2)
	v_add_co_ci_u32_e32 v15, vcc_lo, v13, v15, vcc_lo
	global_store_b32 v[14:15], v12, off
	s_or_b32 exec_lo, exec_lo, s17
	s_and_saveexec_b32 s17, s3
	s_cbranch_execnz .LBB758_269
.LBB758_235:
	s_or_b32 exec_lo, exec_lo, s17
	s_and_saveexec_b32 s17, s2
	s_cbranch_execz .LBB758_270
.LBB758_236:
	v_sub_nc_u32_e32 v14, v48, v1
	v_mov_b32_e32 v15, 0
	s_delay_alu instid0(VALU_DEP_1) | instskip(NEXT) | instid1(VALU_DEP_1)
	v_lshlrev_b64 v[14:15], 2, v[14:15]
	v_add_co_u32 v14, vcc_lo, v6, v14
	s_delay_alu instid0(VALU_DEP_2)
	v_add_co_ci_u32_e32 v15, vcc_lo, v13, v15, vcc_lo
	global_store_b32 v[14:15], v49, off
	s_or_b32 exec_lo, exec_lo, s17
	s_and_saveexec_b32 s17, s1
	s_cbranch_execnz .LBB758_271
	s_branch .LBB758_272
.LBB758_237:
	s_and_b32 vcc_lo, exec_lo, s16
	s_cbranch_vccz .LBB758_276
; %bb.238:
	s_mov_b32 s15, exec_lo
	v_cmpx_gt_i16_e32 2, v2
	s_cbranch_execz .LBB758_294
; %bb.239:
	s_mov_b32 s17, 0
	s_mov_b32 s16, exec_lo
	v_cmpx_ne_u16_e32 1, v2
	s_xor_b32 s16, exec_lo, s16
	s_cbranch_execz .LBB758_256
; %bb.240:
	s_and_saveexec_b32 s17, s14
	s_cbranch_execz .LBB758_277
; %bb.241:
	v_sub_nc_u32_e32 v2, v40, v1
	s_delay_alu instid0(VALU_DEP_1)
	v_lshlrev_b32_e32 v2, 2, v2
	ds_store_b32 v2, v41
	s_or_b32 exec_lo, exec_lo, s17
	s_and_saveexec_b32 s14, s13
	s_cbranch_execnz .LBB758_278
.LBB758_242:
	s_or_b32 exec_lo, exec_lo, s14
	s_and_saveexec_b32 s13, s12
	s_cbranch_execz .LBB758_279
.LBB758_243:
	v_sub_nc_u32_e32 v2, v42, v1
	s_delay_alu instid0(VALU_DEP_1)
	v_lshlrev_b32_e32 v2, 2, v2
	ds_store_b32 v2, v43
	s_or_b32 exec_lo, exec_lo, s13
	s_and_saveexec_b32 s12, s11
	s_cbranch_execnz .LBB758_280
.LBB758_244:
	s_or_b32 exec_lo, exec_lo, s12
	s_and_saveexec_b32 s11, s10
	s_cbranch_execz .LBB758_281
.LBB758_245:
	v_sub_nc_u32_e32 v2, v32, v1
	s_delay_alu instid0(VALU_DEP_1)
	v_lshlrev_b32_e32 v2, 2, v2
	ds_store_b32 v2, v33
	s_or_b32 exec_lo, exec_lo, s11
	s_and_saveexec_b32 s10, s9
	s_cbranch_execnz .LBB758_282
.LBB758_246:
	s_or_b32 exec_lo, exec_lo, s10
	s_and_saveexec_b32 s9, s8
	s_cbranch_execz .LBB758_283
.LBB758_247:
	v_sub_nc_u32_e32 v2, v26, v1
	s_delay_alu instid0(VALU_DEP_1)
	v_lshlrev_b32_e32 v2, 2, v2
	ds_store_b32 v2, v27
	s_or_b32 exec_lo, exec_lo, s9
	s_and_saveexec_b32 s8, s7
	s_cbranch_execnz .LBB758_284
.LBB758_248:
	s_or_b32 exec_lo, exec_lo, s8
	s_and_saveexec_b32 s7, s6
	s_cbranch_execz .LBB758_285
.LBB758_249:
	v_sub_nc_u32_e32 v2, v34, v1
	s_delay_alu instid0(VALU_DEP_1)
	v_lshlrev_b32_e32 v2, 2, v2
	ds_store_b32 v2, v35
	s_or_b32 exec_lo, exec_lo, s7
	s_and_saveexec_b32 s6, s5
	s_cbranch_execnz .LBB758_286
.LBB758_250:
	s_or_b32 exec_lo, exec_lo, s6
	s_and_saveexec_b32 s5, s4
	s_cbranch_execz .LBB758_287
.LBB758_251:
	v_sub_nc_u32_e32 v2, v11, v1
	s_delay_alu instid0(VALU_DEP_1)
	v_lshlrev_b32_e32 v2, 2, v2
	ds_store_b32 v2, v12
	s_or_b32 exec_lo, exec_lo, s5
	s_and_saveexec_b32 s4, s3
	s_cbranch_execnz .LBB758_288
.LBB758_252:
	s_or_b32 exec_lo, exec_lo, s4
	s_and_saveexec_b32 s3, s2
	s_cbranch_execz .LBB758_289
.LBB758_253:
	v_sub_nc_u32_e32 v2, v48, v1
	s_delay_alu instid0(VALU_DEP_1)
	v_lshlrev_b32_e32 v2, 2, v2
	ds_store_b32 v2, v49
	s_or_b32 exec_lo, exec_lo, s3
	s_and_saveexec_b32 s2, s1
	s_cbranch_execnz .LBB758_290
	s_branch .LBB758_291
.LBB758_254:
	s_and_not1_saveexec_b32 s15, s15
	s_cbranch_execz .LBB758_273
.LBB758_255:
	v_sub_nc_u32_e32 v14, v40, v1
	v_mov_b32_e32 v15, 0
	s_or_b32 s17, s17, exec_lo
	s_delay_alu instid0(VALU_DEP_1) | instskip(SKIP_1) | instid1(VALU_DEP_1)
	v_lshlrev_b64 v[18:19], 2, v[14:15]
	v_sub_nc_u32_e32 v14, v46, v1
	v_lshlrev_b64 v[20:21], 2, v[14:15]
	v_sub_nc_u32_e32 v14, v42, v1
	s_delay_alu instid0(VALU_DEP_4) | instskip(SKIP_1) | instid1(VALU_DEP_3)
	v_add_co_u32 v18, vcc_lo, v6, v18
	v_add_co_ci_u32_e32 v19, vcc_lo, v13, v19, vcc_lo
	v_lshlrev_b64 v[22:23], 2, v[14:15]
	v_sub_nc_u32_e32 v14, v38, v1
	v_add_co_u32 v20, vcc_lo, v6, v20
	v_add_co_ci_u32_e32 v21, vcc_lo, v13, v21, vcc_lo
	global_store_b32 v[18:19], v41, off
	v_lshlrev_b64 v[18:19], 2, v[14:15]
	v_sub_nc_u32_e32 v14, v32, v1
	global_store_b32 v[20:21], v47, off
	v_add_co_u32 v20, vcc_lo, v6, v22
	v_add_co_ci_u32_e32 v21, vcc_lo, v13, v23, vcc_lo
	v_lshlrev_b64 v[22:23], 2, v[14:15]
	v_sub_nc_u32_e32 v14, v28, v1
	v_add_co_u32 v18, vcc_lo, v6, v18
	v_add_co_ci_u32_e32 v19, vcc_lo, v13, v19, vcc_lo
	s_delay_alu instid0(VALU_DEP_3) | instskip(SKIP_3) | instid1(VALU_DEP_3)
	v_lshlrev_b64 v[50:51], 2, v[14:15]
	v_sub_nc_u32_e32 v14, v26, v1
	v_add_co_u32 v22, vcc_lo, v6, v22
	v_add_co_ci_u32_e32 v23, vcc_lo, v13, v23, vcc_lo
	v_lshlrev_b64 v[52:53], 2, v[14:15]
	v_sub_nc_u32_e32 v14, v30, v1
	v_add_co_u32 v50, vcc_lo, v6, v50
	v_add_co_ci_u32_e32 v51, vcc_lo, v13, v51, vcc_lo
	s_clause 0x3
	global_store_b32 v[20:21], v43, off
	global_store_b32 v[18:19], v39, off
	;; [unrolled: 1-line block ×4, first 2 shown]
	v_lshlrev_b64 v[18:19], 2, v[14:15]
	v_sub_nc_u32_e32 v14, v34, v1
	v_add_co_u32 v20, vcc_lo, v6, v52
	v_add_co_ci_u32_e32 v21, vcc_lo, v13, v53, vcc_lo
	s_delay_alu instid0(VALU_DEP_3) | instskip(SKIP_3) | instid1(VALU_DEP_3)
	v_lshlrev_b64 v[22:23], 2, v[14:15]
	v_sub_nc_u32_e32 v14, v9, v1
	v_add_co_u32 v18, vcc_lo, v6, v18
	v_add_co_ci_u32_e32 v19, vcc_lo, v13, v19, vcc_lo
	v_lshlrev_b64 v[50:51], 2, v[14:15]
	v_sub_nc_u32_e32 v14, v11, v1
	v_add_co_u32 v22, vcc_lo, v6, v22
	v_add_co_ci_u32_e32 v23, vcc_lo, v13, v23, vcc_lo
	s_delay_alu instid0(VALU_DEP_3)
	v_lshlrev_b64 v[52:53], 2, v[14:15]
	v_sub_nc_u32_e32 v14, v24, v1
	v_add_co_u32 v50, vcc_lo, v6, v50
	v_add_co_ci_u32_e32 v51, vcc_lo, v13, v51, vcc_lo
	s_clause 0x3
	global_store_b32 v[20:21], v27, off
	global_store_b32 v[18:19], v31, off
	;; [unrolled: 1-line block ×4, first 2 shown]
	v_lshlrev_b64 v[18:19], 2, v[14:15]
	v_sub_nc_u32_e32 v14, v48, v1
	v_add_co_u32 v20, vcc_lo, v6, v52
	v_add_co_ci_u32_e32 v21, vcc_lo, v13, v53, vcc_lo
	s_delay_alu instid0(VALU_DEP_3) | instskip(SKIP_3) | instid1(VALU_DEP_3)
	v_lshlrev_b64 v[22:23], 2, v[14:15]
	v_sub_nc_u32_e32 v14, v44, v1
	v_add_co_u32 v18, vcc_lo, v6, v18
	v_add_co_ci_u32_e32 v19, vcc_lo, v13, v19, vcc_lo
	v_lshlrev_b64 v[14:15], 2, v[14:15]
	v_add_co_u32 v22, vcc_lo, v6, v22
	v_add_co_ci_u32_e32 v23, vcc_lo, v13, v23, vcc_lo
	s_clause 0x2
	global_store_b32 v[20:21], v12, off
	global_store_b32 v[18:19], v25, off
	global_store_b32 v[22:23], v49, off
	v_add_co_u32 v14, vcc_lo, v6, v14
	v_add_co_ci_u32_e32 v15, vcc_lo, v13, v15, vcc_lo
	global_store_b32 v[14:15], v45, off
	s_or_b32 exec_lo, exec_lo, s15
	s_delay_alu instid0(SALU_CYCLE_1)
	s_and_b32 exec_lo, exec_lo, s17
	s_cbranch_execnz .LBB758_274
	s_branch .LBB758_275
.LBB758_256:
	s_and_not1_saveexec_b32 s0, s16
	s_cbranch_execz .LBB758_292
.LBB758_257:
	v_sub_nc_u32_e32 v2, v40, v1
	v_sub_nc_u32_e32 v14, v46, v1
	;; [unrolled: 1-line block ×5, first 2 shown]
	v_lshlrev_b32_e32 v2, 2, v2
	v_lshlrev_b32_e32 v14, 2, v14
	;; [unrolled: 1-line block ×4, first 2 shown]
	v_sub_nc_u32_e32 v9, v9, v1
	ds_store_b32 v2, v41
	ds_store_b32 v14, v47
	;; [unrolled: 1-line block ×3, first 2 shown]
	v_sub_nc_u32_e32 v2, v32, v1
	v_sub_nc_u32_e32 v14, v28, v1
	;; [unrolled: 1-line block ×3, first 2 shown]
	ds_store_b32 v18, v39
	v_sub_nc_u32_e32 v18, v30, v1
	v_lshlrev_b32_e32 v2, 2, v2
	v_lshlrev_b32_e32 v14, 2, v14
	;; [unrolled: 1-line block ×5, first 2 shown]
	ds_store_b32 v2, v33
	v_lshlrev_b32_e32 v2, 2, v19
	ds_store_b32 v14, v29
	ds_store_b32 v15, v27
	;; [unrolled: 1-line block ×3, first 2 shown]
	v_sub_nc_u32_e32 v15, v44, v1
	v_sub_nc_u32_e32 v14, v48, v1
	s_or_b32 s17, s17, exec_lo
	ds_store_b32 v2, v35
	v_sub_nc_u32_e32 v2, v11, v1
	v_sub_nc_u32_e32 v11, v24, v1
	ds_store_b32 v9, v10
	v_lshlrev_b32_e32 v9, 2, v15
	v_lshlrev_b32_e32 v14, 2, v14
	;; [unrolled: 1-line block ×4, first 2 shown]
	ds_store_b32 v2, v12
	ds_store_b32 v11, v25
	;; [unrolled: 1-line block ×4, first 2 shown]
	s_or_b32 exec_lo, exec_lo, s0
	s_delay_alu instid0(SALU_CYCLE_1)
	s_and_b32 exec_lo, exec_lo, s17
	s_cbranch_execnz .LBB758_293
	s_branch .LBB758_294
.LBB758_258:
	s_or_b32 exec_lo, exec_lo, s17
	s_and_saveexec_b32 s17, s13
	s_cbranch_execz .LBB758_225
.LBB758_259:
	v_sub_nc_u32_e32 v14, v46, v1
	v_mov_b32_e32 v15, 0
	s_delay_alu instid0(VALU_DEP_1) | instskip(NEXT) | instid1(VALU_DEP_1)
	v_lshlrev_b64 v[14:15], 2, v[14:15]
	v_add_co_u32 v14, vcc_lo, v6, v14
	s_delay_alu instid0(VALU_DEP_2)
	v_add_co_ci_u32_e32 v15, vcc_lo, v13, v15, vcc_lo
	global_store_b32 v[14:15], v47, off
	s_or_b32 exec_lo, exec_lo, s17
	s_and_saveexec_b32 s17, s12
	s_cbranch_execnz .LBB758_226
.LBB758_260:
	s_or_b32 exec_lo, exec_lo, s17
	s_and_saveexec_b32 s17, s11
	s_cbranch_execz .LBB758_227
.LBB758_261:
	v_sub_nc_u32_e32 v14, v38, v1
	v_mov_b32_e32 v15, 0
	s_delay_alu instid0(VALU_DEP_1) | instskip(NEXT) | instid1(VALU_DEP_1)
	v_lshlrev_b64 v[14:15], 2, v[14:15]
	v_add_co_u32 v14, vcc_lo, v6, v14
	s_delay_alu instid0(VALU_DEP_2)
	v_add_co_ci_u32_e32 v15, vcc_lo, v13, v15, vcc_lo
	global_store_b32 v[14:15], v39, off
	s_or_b32 exec_lo, exec_lo, s17
	s_and_saveexec_b32 s17, s10
	s_cbranch_execnz .LBB758_228
.LBB758_262:
	s_or_b32 exec_lo, exec_lo, s17
	s_and_saveexec_b32 s17, s9
	s_cbranch_execz .LBB758_229
.LBB758_263:
	v_sub_nc_u32_e32 v14, v28, v1
	v_mov_b32_e32 v15, 0
	s_delay_alu instid0(VALU_DEP_1) | instskip(NEXT) | instid1(VALU_DEP_1)
	v_lshlrev_b64 v[14:15], 2, v[14:15]
	v_add_co_u32 v14, vcc_lo, v6, v14
	s_delay_alu instid0(VALU_DEP_2)
	v_add_co_ci_u32_e32 v15, vcc_lo, v13, v15, vcc_lo
	global_store_b32 v[14:15], v29, off
	s_or_b32 exec_lo, exec_lo, s17
	s_and_saveexec_b32 s17, s8
	s_cbranch_execnz .LBB758_230
.LBB758_264:
	s_or_b32 exec_lo, exec_lo, s17
	s_and_saveexec_b32 s17, s7
	s_cbranch_execz .LBB758_231
.LBB758_265:
	v_sub_nc_u32_e32 v14, v30, v1
	v_mov_b32_e32 v15, 0
	s_delay_alu instid0(VALU_DEP_1) | instskip(NEXT) | instid1(VALU_DEP_1)
	v_lshlrev_b64 v[14:15], 2, v[14:15]
	v_add_co_u32 v14, vcc_lo, v6, v14
	s_delay_alu instid0(VALU_DEP_2)
	v_add_co_ci_u32_e32 v15, vcc_lo, v13, v15, vcc_lo
	global_store_b32 v[14:15], v31, off
	s_or_b32 exec_lo, exec_lo, s17
	s_and_saveexec_b32 s17, s6
	s_cbranch_execnz .LBB758_232
.LBB758_266:
	s_or_b32 exec_lo, exec_lo, s17
	s_and_saveexec_b32 s17, s5
	s_cbranch_execz .LBB758_233
.LBB758_267:
	v_sub_nc_u32_e32 v14, v9, v1
	v_mov_b32_e32 v15, 0
	s_delay_alu instid0(VALU_DEP_1) | instskip(NEXT) | instid1(VALU_DEP_1)
	v_lshlrev_b64 v[14:15], 2, v[14:15]
	v_add_co_u32 v14, vcc_lo, v6, v14
	s_delay_alu instid0(VALU_DEP_2)
	v_add_co_ci_u32_e32 v15, vcc_lo, v13, v15, vcc_lo
	global_store_b32 v[14:15], v10, off
	s_or_b32 exec_lo, exec_lo, s17
	s_and_saveexec_b32 s17, s4
	s_cbranch_execnz .LBB758_234
.LBB758_268:
	s_or_b32 exec_lo, exec_lo, s17
	s_and_saveexec_b32 s17, s3
	s_cbranch_execz .LBB758_235
.LBB758_269:
	v_sub_nc_u32_e32 v14, v24, v1
	v_mov_b32_e32 v15, 0
	s_delay_alu instid0(VALU_DEP_1) | instskip(NEXT) | instid1(VALU_DEP_1)
	v_lshlrev_b64 v[14:15], 2, v[14:15]
	v_add_co_u32 v14, vcc_lo, v6, v14
	s_delay_alu instid0(VALU_DEP_2)
	v_add_co_ci_u32_e32 v15, vcc_lo, v13, v15, vcc_lo
	global_store_b32 v[14:15], v25, off
	s_or_b32 exec_lo, exec_lo, s17
	s_and_saveexec_b32 s17, s2
	s_cbranch_execnz .LBB758_236
.LBB758_270:
	s_or_b32 exec_lo, exec_lo, s17
	s_and_saveexec_b32 s17, s1
	s_cbranch_execz .LBB758_272
.LBB758_271:
	v_sub_nc_u32_e32 v14, v44, v1
	v_mov_b32_e32 v15, 0
	s_delay_alu instid0(VALU_DEP_1) | instskip(NEXT) | instid1(VALU_DEP_1)
	v_lshlrev_b64 v[14:15], 2, v[14:15]
	v_add_co_u32 v14, vcc_lo, v6, v14
	s_delay_alu instid0(VALU_DEP_2)
	v_add_co_ci_u32_e32 v15, vcc_lo, v13, v15, vcc_lo
	global_store_b32 v[14:15], v45, off
.LBB758_272:
	s_or_b32 exec_lo, exec_lo, s17
	s_delay_alu instid0(SALU_CYCLE_1)
	s_and_b32 s17, s0, exec_lo
	s_and_not1_saveexec_b32 s15, s15
	s_cbranch_execnz .LBB758_255
.LBB758_273:
	s_or_b32 exec_lo, exec_lo, s15
	s_delay_alu instid0(SALU_CYCLE_1)
	s_and_b32 exec_lo, exec_lo, s17
	s_cbranch_execz .LBB758_275
.LBB758_274:
	v_sub_nc_u32_e32 v14, v36, v1
	v_mov_b32_e32 v15, 0
	s_delay_alu instid0(VALU_DEP_1) | instskip(NEXT) | instid1(VALU_DEP_1)
	v_lshlrev_b64 v[14:15], 2, v[14:15]
	v_add_co_u32 v14, vcc_lo, v6, v14
	s_delay_alu instid0(VALU_DEP_2)
	v_add_co_ci_u32_e32 v15, vcc_lo, v13, v15, vcc_lo
	global_store_b32 v[14:15], v37, off
.LBB758_275:
	s_or_b32 exec_lo, exec_lo, s16
.LBB758_276:
	v_cmp_eq_u32_e32 vcc_lo, 0xff, v0
	s_and_b32 s0, vcc_lo, s20
	s_delay_alu instid0(SALU_CYCLE_1)
	s_and_saveexec_b32 s1, s0
	s_cbranch_execnz .LBB758_298
	s_branch .LBB758_300
.LBB758_277:
	s_or_b32 exec_lo, exec_lo, s17
	s_and_saveexec_b32 s14, s13
	s_cbranch_execz .LBB758_242
.LBB758_278:
	v_sub_nc_u32_e32 v2, v46, v1
	s_delay_alu instid0(VALU_DEP_1)
	v_lshlrev_b32_e32 v2, 2, v2
	ds_store_b32 v2, v47
	s_or_b32 exec_lo, exec_lo, s14
	s_and_saveexec_b32 s13, s12
	s_cbranch_execnz .LBB758_243
.LBB758_279:
	s_or_b32 exec_lo, exec_lo, s13
	s_and_saveexec_b32 s12, s11
	s_cbranch_execz .LBB758_244
.LBB758_280:
	v_sub_nc_u32_e32 v2, v38, v1
	s_delay_alu instid0(VALU_DEP_1)
	v_lshlrev_b32_e32 v2, 2, v2
	ds_store_b32 v2, v39
	s_or_b32 exec_lo, exec_lo, s12
	s_and_saveexec_b32 s11, s10
	s_cbranch_execnz .LBB758_245
.LBB758_281:
	s_or_b32 exec_lo, exec_lo, s11
	s_and_saveexec_b32 s10, s9
	s_cbranch_execz .LBB758_246
.LBB758_282:
	v_sub_nc_u32_e32 v2, v28, v1
	s_delay_alu instid0(VALU_DEP_1)
	v_lshlrev_b32_e32 v2, 2, v2
	ds_store_b32 v2, v29
	s_or_b32 exec_lo, exec_lo, s10
	s_and_saveexec_b32 s9, s8
	s_cbranch_execnz .LBB758_247
.LBB758_283:
	s_or_b32 exec_lo, exec_lo, s9
	s_and_saveexec_b32 s8, s7
	s_cbranch_execz .LBB758_248
.LBB758_284:
	v_sub_nc_u32_e32 v2, v30, v1
	s_delay_alu instid0(VALU_DEP_1)
	v_lshlrev_b32_e32 v2, 2, v2
	ds_store_b32 v2, v31
	s_or_b32 exec_lo, exec_lo, s8
	s_and_saveexec_b32 s7, s6
	s_cbranch_execnz .LBB758_249
.LBB758_285:
	s_or_b32 exec_lo, exec_lo, s7
	s_and_saveexec_b32 s6, s5
	s_cbranch_execz .LBB758_250
.LBB758_286:
	v_sub_nc_u32_e32 v2, v9, v1
	s_delay_alu instid0(VALU_DEP_1)
	v_lshlrev_b32_e32 v2, 2, v2
	ds_store_b32 v2, v10
	s_or_b32 exec_lo, exec_lo, s6
	s_and_saveexec_b32 s5, s4
	s_cbranch_execnz .LBB758_251
.LBB758_287:
	s_or_b32 exec_lo, exec_lo, s5
	s_and_saveexec_b32 s4, s3
	s_cbranch_execz .LBB758_252
.LBB758_288:
	v_sub_nc_u32_e32 v2, v24, v1
	s_delay_alu instid0(VALU_DEP_1)
	v_lshlrev_b32_e32 v2, 2, v2
	ds_store_b32 v2, v25
	s_or_b32 exec_lo, exec_lo, s4
	s_and_saveexec_b32 s3, s2
	s_cbranch_execnz .LBB758_253
.LBB758_289:
	s_or_b32 exec_lo, exec_lo, s3
	s_and_saveexec_b32 s2, s1
	s_cbranch_execz .LBB758_291
.LBB758_290:
	v_sub_nc_u32_e32 v2, v44, v1
	s_delay_alu instid0(VALU_DEP_1)
	v_lshlrev_b32_e32 v2, 2, v2
	ds_store_b32 v2, v45
.LBB758_291:
	s_or_b32 exec_lo, exec_lo, s2
	s_delay_alu instid0(SALU_CYCLE_1)
	s_and_b32 s17, s0, exec_lo
                                        ; implicit-def: $vgpr40_vgpr41
                                        ; implicit-def: $vgpr46_vgpr47
                                        ; implicit-def: $vgpr42_vgpr43
                                        ; implicit-def: $vgpr38_vgpr39
                                        ; implicit-def: $vgpr32_vgpr33
                                        ; implicit-def: $vgpr28_vgpr29
                                        ; implicit-def: $vgpr26_vgpr27
                                        ; implicit-def: $vgpr30_vgpr31
                                        ; implicit-def: $vgpr34_vgpr35
                                        ; implicit-def: $vgpr9_vgpr10
                                        ; implicit-def: $vgpr11_vgpr12
                                        ; implicit-def: $vgpr24_vgpr25
                                        ; implicit-def: $vgpr48_vgpr49
                                        ; implicit-def: $vgpr44_vgpr45
	s_and_not1_saveexec_b32 s0, s16
	s_cbranch_execnz .LBB758_257
.LBB758_292:
	s_or_b32 exec_lo, exec_lo, s0
	s_delay_alu instid0(SALU_CYCLE_1)
	s_and_b32 exec_lo, exec_lo, s17
	s_cbranch_execz .LBB758_294
.LBB758_293:
	v_sub_nc_u32_e32 v1, v36, v1
	s_delay_alu instid0(VALU_DEP_1)
	v_lshlrev_b32_e32 v1, 2, v1
	ds_store_b32 v1, v37
.LBB758_294:
	s_or_b32 exec_lo, exec_lo, s15
	s_delay_alu instid0(SALU_CYCLE_1)
	s_mov_b32 s1, exec_lo
	s_waitcnt lgkmcnt(0)
	s_waitcnt_vscnt null, 0x0
	s_barrier
	buffer_gl0_inv
	v_cmpx_lt_u32_e64 v0, v3
	s_cbranch_execz .LBB758_297
; %bb.295:
	v_dual_mov_b32 v2, 0 :: v_dual_lshlrev_b32 v9, 2, v0
	v_mov_b32_e32 v1, v0
	s_mov_b32 s2, 0
	.p2align	6
.LBB758_296:                            ; =>This Inner Loop Header: Depth=1
	ds_load_b32 v12, v9
	v_lshlrev_b64 v[10:11], 2, v[1:2]
	v_add_nc_u32_e32 v1, 0x100, v1
	v_add_nc_u32_e32 v9, 0x400, v9
	s_delay_alu instid0(VALU_DEP_2) | instskip(NEXT) | instid1(VALU_DEP_4)
	v_cmp_ge_u32_e32 vcc_lo, v1, v3
	v_add_co_u32 v10, s0, v6, v10
	s_delay_alu instid0(VALU_DEP_1)
	v_add_co_ci_u32_e64 v11, s0, v13, v11, s0
	s_or_b32 s2, vcc_lo, s2
	s_waitcnt lgkmcnt(0)
	global_store_b32 v[10:11], v12, off
	s_and_not1_b32 exec_lo, exec_lo, s2
	s_cbranch_execnz .LBB758_296
.LBB758_297:
	s_or_b32 exec_lo, exec_lo, s1
	v_cmp_eq_u32_e32 vcc_lo, 0xff, v0
	s_and_b32 s0, vcc_lo, s20
	s_delay_alu instid0(SALU_CYCLE_1)
	s_and_saveexec_b32 s1, s0
	s_cbranch_execz .LBB758_300
.LBB758_298:
	v_add_co_u32 v0, s0, v5, v7
	s_delay_alu instid0(VALU_DEP_1) | instskip(SKIP_1) | instid1(VALU_DEP_3)
	v_add_co_ci_u32_e64 v1, null, 0, 0, s0
	v_mov_b32_e32 v6, 0
	v_add_co_u32 v0, vcc_lo, v0, v16
	s_delay_alu instid0(VALU_DEP_3)
	v_add_co_ci_u32_e32 v1, vcc_lo, v1, v17, vcc_lo
	s_cmpk_lg_i32 s21, 0xf00
	global_store_b64 v6, v[0:1], s[38:39]
	s_cbranch_scc1 .LBB758_300
; %bb.299:
	v_lshlrev_b64 v[0:1], 2, v[5:6]
	s_delay_alu instid0(VALU_DEP_1) | instskip(NEXT) | instid1(VALU_DEP_2)
	v_add_co_u32 v0, vcc_lo, v4, v0
	v_add_co_ci_u32_e32 v1, vcc_lo, v8, v1, vcc_lo
	global_store_b32 v[0:1], v66, off offset:-4
	s_nop 0
	s_sendmsg sendmsg(MSG_DEALLOC_VGPRS)
	s_endpgm
.LBB758_300:
	s_nop 0
	s_sendmsg sendmsg(MSG_DEALLOC_VGPRS)
	s_endpgm
	.section	.rodata,"a",@progbits
	.p2align	6, 0x0
	.amdhsa_kernel _ZN7rocprim17ROCPRIM_400000_NS6detail17trampoline_kernelINS0_14default_configENS1_29reduce_by_key_config_selectorItjN6thrust23THRUST_200600_302600_NS4plusIjEEEEZZNS1_33reduce_by_key_impl_wrapped_configILNS1_25lookback_scan_determinismE0ES3_S9_NS6_6detail15normal_iteratorINS6_10device_ptrItEEEENSD_INSE_IjEEEESG_SI_PmS8_NS6_8equal_toItEEEE10hipError_tPvRmT2_T3_mT4_T5_T6_T7_T8_P12ihipStream_tbENKUlT_T0_E_clISt17integral_constantIbLb1EES12_IbLb0EEEEDaSY_SZ_EUlSY_E_NS1_11comp_targetILNS1_3genE9ELNS1_11target_archE1100ELNS1_3gpuE3ELNS1_3repE0EEENS1_30default_config_static_selectorELNS0_4arch9wavefront6targetE0EEEvT1_
		.amdhsa_group_segment_fixed_size 15360
		.amdhsa_private_segment_fixed_size 0
		.amdhsa_kernarg_size 120
		.amdhsa_user_sgpr_count 15
		.amdhsa_user_sgpr_dispatch_ptr 0
		.amdhsa_user_sgpr_queue_ptr 0
		.amdhsa_user_sgpr_kernarg_segment_ptr 1
		.amdhsa_user_sgpr_dispatch_id 0
		.amdhsa_user_sgpr_private_segment_size 0
		.amdhsa_wavefront_size32 1
		.amdhsa_uses_dynamic_stack 0
		.amdhsa_enable_private_segment 0
		.amdhsa_system_sgpr_workgroup_id_x 1
		.amdhsa_system_sgpr_workgroup_id_y 0
		.amdhsa_system_sgpr_workgroup_id_z 0
		.amdhsa_system_sgpr_workgroup_info 0
		.amdhsa_system_vgpr_workitem_id 0
		.amdhsa_next_free_vgpr 100
		.amdhsa_next_free_sgpr 46
		.amdhsa_reserve_vcc 1
		.amdhsa_float_round_mode_32 0
		.amdhsa_float_round_mode_16_64 0
		.amdhsa_float_denorm_mode_32 3
		.amdhsa_float_denorm_mode_16_64 3
		.amdhsa_dx10_clamp 1
		.amdhsa_ieee_mode 1
		.amdhsa_fp16_overflow 0
		.amdhsa_workgroup_processor_mode 1
		.amdhsa_memory_ordered 1
		.amdhsa_forward_progress 0
		.amdhsa_shared_vgpr_count 0
		.amdhsa_exception_fp_ieee_invalid_op 0
		.amdhsa_exception_fp_denorm_src 0
		.amdhsa_exception_fp_ieee_div_zero 0
		.amdhsa_exception_fp_ieee_overflow 0
		.amdhsa_exception_fp_ieee_underflow 0
		.amdhsa_exception_fp_ieee_inexact 0
		.amdhsa_exception_int_div_zero 0
	.end_amdhsa_kernel
	.section	.text._ZN7rocprim17ROCPRIM_400000_NS6detail17trampoline_kernelINS0_14default_configENS1_29reduce_by_key_config_selectorItjN6thrust23THRUST_200600_302600_NS4plusIjEEEEZZNS1_33reduce_by_key_impl_wrapped_configILNS1_25lookback_scan_determinismE0ES3_S9_NS6_6detail15normal_iteratorINS6_10device_ptrItEEEENSD_INSE_IjEEEESG_SI_PmS8_NS6_8equal_toItEEEE10hipError_tPvRmT2_T3_mT4_T5_T6_T7_T8_P12ihipStream_tbENKUlT_T0_E_clISt17integral_constantIbLb1EES12_IbLb0EEEEDaSY_SZ_EUlSY_E_NS1_11comp_targetILNS1_3genE9ELNS1_11target_archE1100ELNS1_3gpuE3ELNS1_3repE0EEENS1_30default_config_static_selectorELNS0_4arch9wavefront6targetE0EEEvT1_,"axG",@progbits,_ZN7rocprim17ROCPRIM_400000_NS6detail17trampoline_kernelINS0_14default_configENS1_29reduce_by_key_config_selectorItjN6thrust23THRUST_200600_302600_NS4plusIjEEEEZZNS1_33reduce_by_key_impl_wrapped_configILNS1_25lookback_scan_determinismE0ES3_S9_NS6_6detail15normal_iteratorINS6_10device_ptrItEEEENSD_INSE_IjEEEESG_SI_PmS8_NS6_8equal_toItEEEE10hipError_tPvRmT2_T3_mT4_T5_T6_T7_T8_P12ihipStream_tbENKUlT_T0_E_clISt17integral_constantIbLb1EES12_IbLb0EEEEDaSY_SZ_EUlSY_E_NS1_11comp_targetILNS1_3genE9ELNS1_11target_archE1100ELNS1_3gpuE3ELNS1_3repE0EEENS1_30default_config_static_selectorELNS0_4arch9wavefront6targetE0EEEvT1_,comdat
.Lfunc_end758:
	.size	_ZN7rocprim17ROCPRIM_400000_NS6detail17trampoline_kernelINS0_14default_configENS1_29reduce_by_key_config_selectorItjN6thrust23THRUST_200600_302600_NS4plusIjEEEEZZNS1_33reduce_by_key_impl_wrapped_configILNS1_25lookback_scan_determinismE0ES3_S9_NS6_6detail15normal_iteratorINS6_10device_ptrItEEEENSD_INSE_IjEEEESG_SI_PmS8_NS6_8equal_toItEEEE10hipError_tPvRmT2_T3_mT4_T5_T6_T7_T8_P12ihipStream_tbENKUlT_T0_E_clISt17integral_constantIbLb1EES12_IbLb0EEEEDaSY_SZ_EUlSY_E_NS1_11comp_targetILNS1_3genE9ELNS1_11target_archE1100ELNS1_3gpuE3ELNS1_3repE0EEENS1_30default_config_static_selectorELNS0_4arch9wavefront6targetE0EEEvT1_, .Lfunc_end758-_ZN7rocprim17ROCPRIM_400000_NS6detail17trampoline_kernelINS0_14default_configENS1_29reduce_by_key_config_selectorItjN6thrust23THRUST_200600_302600_NS4plusIjEEEEZZNS1_33reduce_by_key_impl_wrapped_configILNS1_25lookback_scan_determinismE0ES3_S9_NS6_6detail15normal_iteratorINS6_10device_ptrItEEEENSD_INSE_IjEEEESG_SI_PmS8_NS6_8equal_toItEEEE10hipError_tPvRmT2_T3_mT4_T5_T6_T7_T8_P12ihipStream_tbENKUlT_T0_E_clISt17integral_constantIbLb1EES12_IbLb0EEEEDaSY_SZ_EUlSY_E_NS1_11comp_targetILNS1_3genE9ELNS1_11target_archE1100ELNS1_3gpuE3ELNS1_3repE0EEENS1_30default_config_static_selectorELNS0_4arch9wavefront6targetE0EEEvT1_
                                        ; -- End function
	.section	.AMDGPU.csdata,"",@progbits
; Kernel info:
; codeLenInByte = 19004
; NumSgprs: 48
; NumVgprs: 100
; ScratchSize: 0
; MemoryBound: 0
; FloatMode: 240
; IeeeMode: 1
; LDSByteSize: 15360 bytes/workgroup (compile time only)
; SGPRBlocks: 5
; VGPRBlocks: 12
; NumSGPRsForWavesPerEU: 48
; NumVGPRsForWavesPerEU: 100
; Occupancy: 12
; WaveLimiterHint : 1
; COMPUTE_PGM_RSRC2:SCRATCH_EN: 0
; COMPUTE_PGM_RSRC2:USER_SGPR: 15
; COMPUTE_PGM_RSRC2:TRAP_HANDLER: 0
; COMPUTE_PGM_RSRC2:TGID_X_EN: 1
; COMPUTE_PGM_RSRC2:TGID_Y_EN: 0
; COMPUTE_PGM_RSRC2:TGID_Z_EN: 0
; COMPUTE_PGM_RSRC2:TIDIG_COMP_CNT: 0
	.section	.text._ZN7rocprim17ROCPRIM_400000_NS6detail17trampoline_kernelINS0_14default_configENS1_29reduce_by_key_config_selectorItjN6thrust23THRUST_200600_302600_NS4plusIjEEEEZZNS1_33reduce_by_key_impl_wrapped_configILNS1_25lookback_scan_determinismE0ES3_S9_NS6_6detail15normal_iteratorINS6_10device_ptrItEEEENSD_INSE_IjEEEESG_SI_PmS8_NS6_8equal_toItEEEE10hipError_tPvRmT2_T3_mT4_T5_T6_T7_T8_P12ihipStream_tbENKUlT_T0_E_clISt17integral_constantIbLb1EES12_IbLb0EEEEDaSY_SZ_EUlSY_E_NS1_11comp_targetILNS1_3genE8ELNS1_11target_archE1030ELNS1_3gpuE2ELNS1_3repE0EEENS1_30default_config_static_selectorELNS0_4arch9wavefront6targetE0EEEvT1_,"axG",@progbits,_ZN7rocprim17ROCPRIM_400000_NS6detail17trampoline_kernelINS0_14default_configENS1_29reduce_by_key_config_selectorItjN6thrust23THRUST_200600_302600_NS4plusIjEEEEZZNS1_33reduce_by_key_impl_wrapped_configILNS1_25lookback_scan_determinismE0ES3_S9_NS6_6detail15normal_iteratorINS6_10device_ptrItEEEENSD_INSE_IjEEEESG_SI_PmS8_NS6_8equal_toItEEEE10hipError_tPvRmT2_T3_mT4_T5_T6_T7_T8_P12ihipStream_tbENKUlT_T0_E_clISt17integral_constantIbLb1EES12_IbLb0EEEEDaSY_SZ_EUlSY_E_NS1_11comp_targetILNS1_3genE8ELNS1_11target_archE1030ELNS1_3gpuE2ELNS1_3repE0EEENS1_30default_config_static_selectorELNS0_4arch9wavefront6targetE0EEEvT1_,comdat
	.protected	_ZN7rocprim17ROCPRIM_400000_NS6detail17trampoline_kernelINS0_14default_configENS1_29reduce_by_key_config_selectorItjN6thrust23THRUST_200600_302600_NS4plusIjEEEEZZNS1_33reduce_by_key_impl_wrapped_configILNS1_25lookback_scan_determinismE0ES3_S9_NS6_6detail15normal_iteratorINS6_10device_ptrItEEEENSD_INSE_IjEEEESG_SI_PmS8_NS6_8equal_toItEEEE10hipError_tPvRmT2_T3_mT4_T5_T6_T7_T8_P12ihipStream_tbENKUlT_T0_E_clISt17integral_constantIbLb1EES12_IbLb0EEEEDaSY_SZ_EUlSY_E_NS1_11comp_targetILNS1_3genE8ELNS1_11target_archE1030ELNS1_3gpuE2ELNS1_3repE0EEENS1_30default_config_static_selectorELNS0_4arch9wavefront6targetE0EEEvT1_ ; -- Begin function _ZN7rocprim17ROCPRIM_400000_NS6detail17trampoline_kernelINS0_14default_configENS1_29reduce_by_key_config_selectorItjN6thrust23THRUST_200600_302600_NS4plusIjEEEEZZNS1_33reduce_by_key_impl_wrapped_configILNS1_25lookback_scan_determinismE0ES3_S9_NS6_6detail15normal_iteratorINS6_10device_ptrItEEEENSD_INSE_IjEEEESG_SI_PmS8_NS6_8equal_toItEEEE10hipError_tPvRmT2_T3_mT4_T5_T6_T7_T8_P12ihipStream_tbENKUlT_T0_E_clISt17integral_constantIbLb1EES12_IbLb0EEEEDaSY_SZ_EUlSY_E_NS1_11comp_targetILNS1_3genE8ELNS1_11target_archE1030ELNS1_3gpuE2ELNS1_3repE0EEENS1_30default_config_static_selectorELNS0_4arch9wavefront6targetE0EEEvT1_
	.globl	_ZN7rocprim17ROCPRIM_400000_NS6detail17trampoline_kernelINS0_14default_configENS1_29reduce_by_key_config_selectorItjN6thrust23THRUST_200600_302600_NS4plusIjEEEEZZNS1_33reduce_by_key_impl_wrapped_configILNS1_25lookback_scan_determinismE0ES3_S9_NS6_6detail15normal_iteratorINS6_10device_ptrItEEEENSD_INSE_IjEEEESG_SI_PmS8_NS6_8equal_toItEEEE10hipError_tPvRmT2_T3_mT4_T5_T6_T7_T8_P12ihipStream_tbENKUlT_T0_E_clISt17integral_constantIbLb1EES12_IbLb0EEEEDaSY_SZ_EUlSY_E_NS1_11comp_targetILNS1_3genE8ELNS1_11target_archE1030ELNS1_3gpuE2ELNS1_3repE0EEENS1_30default_config_static_selectorELNS0_4arch9wavefront6targetE0EEEvT1_
	.p2align	8
	.type	_ZN7rocprim17ROCPRIM_400000_NS6detail17trampoline_kernelINS0_14default_configENS1_29reduce_by_key_config_selectorItjN6thrust23THRUST_200600_302600_NS4plusIjEEEEZZNS1_33reduce_by_key_impl_wrapped_configILNS1_25lookback_scan_determinismE0ES3_S9_NS6_6detail15normal_iteratorINS6_10device_ptrItEEEENSD_INSE_IjEEEESG_SI_PmS8_NS6_8equal_toItEEEE10hipError_tPvRmT2_T3_mT4_T5_T6_T7_T8_P12ihipStream_tbENKUlT_T0_E_clISt17integral_constantIbLb1EES12_IbLb0EEEEDaSY_SZ_EUlSY_E_NS1_11comp_targetILNS1_3genE8ELNS1_11target_archE1030ELNS1_3gpuE2ELNS1_3repE0EEENS1_30default_config_static_selectorELNS0_4arch9wavefront6targetE0EEEvT1_,@function
_ZN7rocprim17ROCPRIM_400000_NS6detail17trampoline_kernelINS0_14default_configENS1_29reduce_by_key_config_selectorItjN6thrust23THRUST_200600_302600_NS4plusIjEEEEZZNS1_33reduce_by_key_impl_wrapped_configILNS1_25lookback_scan_determinismE0ES3_S9_NS6_6detail15normal_iteratorINS6_10device_ptrItEEEENSD_INSE_IjEEEESG_SI_PmS8_NS6_8equal_toItEEEE10hipError_tPvRmT2_T3_mT4_T5_T6_T7_T8_P12ihipStream_tbENKUlT_T0_E_clISt17integral_constantIbLb1EES12_IbLb0EEEEDaSY_SZ_EUlSY_E_NS1_11comp_targetILNS1_3genE8ELNS1_11target_archE1030ELNS1_3gpuE2ELNS1_3repE0EEENS1_30default_config_static_selectorELNS0_4arch9wavefront6targetE0EEEvT1_: ; @_ZN7rocprim17ROCPRIM_400000_NS6detail17trampoline_kernelINS0_14default_configENS1_29reduce_by_key_config_selectorItjN6thrust23THRUST_200600_302600_NS4plusIjEEEEZZNS1_33reduce_by_key_impl_wrapped_configILNS1_25lookback_scan_determinismE0ES3_S9_NS6_6detail15normal_iteratorINS6_10device_ptrItEEEENSD_INSE_IjEEEESG_SI_PmS8_NS6_8equal_toItEEEE10hipError_tPvRmT2_T3_mT4_T5_T6_T7_T8_P12ihipStream_tbENKUlT_T0_E_clISt17integral_constantIbLb1EES12_IbLb0EEEEDaSY_SZ_EUlSY_E_NS1_11comp_targetILNS1_3genE8ELNS1_11target_archE1030ELNS1_3gpuE2ELNS1_3repE0EEENS1_30default_config_static_selectorELNS0_4arch9wavefront6targetE0EEEvT1_
; %bb.0:
	.section	.rodata,"a",@progbits
	.p2align	6, 0x0
	.amdhsa_kernel _ZN7rocprim17ROCPRIM_400000_NS6detail17trampoline_kernelINS0_14default_configENS1_29reduce_by_key_config_selectorItjN6thrust23THRUST_200600_302600_NS4plusIjEEEEZZNS1_33reduce_by_key_impl_wrapped_configILNS1_25lookback_scan_determinismE0ES3_S9_NS6_6detail15normal_iteratorINS6_10device_ptrItEEEENSD_INSE_IjEEEESG_SI_PmS8_NS6_8equal_toItEEEE10hipError_tPvRmT2_T3_mT4_T5_T6_T7_T8_P12ihipStream_tbENKUlT_T0_E_clISt17integral_constantIbLb1EES12_IbLb0EEEEDaSY_SZ_EUlSY_E_NS1_11comp_targetILNS1_3genE8ELNS1_11target_archE1030ELNS1_3gpuE2ELNS1_3repE0EEENS1_30default_config_static_selectorELNS0_4arch9wavefront6targetE0EEEvT1_
		.amdhsa_group_segment_fixed_size 0
		.amdhsa_private_segment_fixed_size 0
		.amdhsa_kernarg_size 120
		.amdhsa_user_sgpr_count 15
		.amdhsa_user_sgpr_dispatch_ptr 0
		.amdhsa_user_sgpr_queue_ptr 0
		.amdhsa_user_sgpr_kernarg_segment_ptr 1
		.amdhsa_user_sgpr_dispatch_id 0
		.amdhsa_user_sgpr_private_segment_size 0
		.amdhsa_wavefront_size32 1
		.amdhsa_uses_dynamic_stack 0
		.amdhsa_enable_private_segment 0
		.amdhsa_system_sgpr_workgroup_id_x 1
		.amdhsa_system_sgpr_workgroup_id_y 0
		.amdhsa_system_sgpr_workgroup_id_z 0
		.amdhsa_system_sgpr_workgroup_info 0
		.amdhsa_system_vgpr_workitem_id 0
		.amdhsa_next_free_vgpr 1
		.amdhsa_next_free_sgpr 1
		.amdhsa_reserve_vcc 0
		.amdhsa_float_round_mode_32 0
		.amdhsa_float_round_mode_16_64 0
		.amdhsa_float_denorm_mode_32 3
		.amdhsa_float_denorm_mode_16_64 3
		.amdhsa_dx10_clamp 1
		.amdhsa_ieee_mode 1
		.amdhsa_fp16_overflow 0
		.amdhsa_workgroup_processor_mode 1
		.amdhsa_memory_ordered 1
		.amdhsa_forward_progress 0
		.amdhsa_shared_vgpr_count 0
		.amdhsa_exception_fp_ieee_invalid_op 0
		.amdhsa_exception_fp_denorm_src 0
		.amdhsa_exception_fp_ieee_div_zero 0
		.amdhsa_exception_fp_ieee_overflow 0
		.amdhsa_exception_fp_ieee_underflow 0
		.amdhsa_exception_fp_ieee_inexact 0
		.amdhsa_exception_int_div_zero 0
	.end_amdhsa_kernel
	.section	.text._ZN7rocprim17ROCPRIM_400000_NS6detail17trampoline_kernelINS0_14default_configENS1_29reduce_by_key_config_selectorItjN6thrust23THRUST_200600_302600_NS4plusIjEEEEZZNS1_33reduce_by_key_impl_wrapped_configILNS1_25lookback_scan_determinismE0ES3_S9_NS6_6detail15normal_iteratorINS6_10device_ptrItEEEENSD_INSE_IjEEEESG_SI_PmS8_NS6_8equal_toItEEEE10hipError_tPvRmT2_T3_mT4_T5_T6_T7_T8_P12ihipStream_tbENKUlT_T0_E_clISt17integral_constantIbLb1EES12_IbLb0EEEEDaSY_SZ_EUlSY_E_NS1_11comp_targetILNS1_3genE8ELNS1_11target_archE1030ELNS1_3gpuE2ELNS1_3repE0EEENS1_30default_config_static_selectorELNS0_4arch9wavefront6targetE0EEEvT1_,"axG",@progbits,_ZN7rocprim17ROCPRIM_400000_NS6detail17trampoline_kernelINS0_14default_configENS1_29reduce_by_key_config_selectorItjN6thrust23THRUST_200600_302600_NS4plusIjEEEEZZNS1_33reduce_by_key_impl_wrapped_configILNS1_25lookback_scan_determinismE0ES3_S9_NS6_6detail15normal_iteratorINS6_10device_ptrItEEEENSD_INSE_IjEEEESG_SI_PmS8_NS6_8equal_toItEEEE10hipError_tPvRmT2_T3_mT4_T5_T6_T7_T8_P12ihipStream_tbENKUlT_T0_E_clISt17integral_constantIbLb1EES12_IbLb0EEEEDaSY_SZ_EUlSY_E_NS1_11comp_targetILNS1_3genE8ELNS1_11target_archE1030ELNS1_3gpuE2ELNS1_3repE0EEENS1_30default_config_static_selectorELNS0_4arch9wavefront6targetE0EEEvT1_,comdat
.Lfunc_end759:
	.size	_ZN7rocprim17ROCPRIM_400000_NS6detail17trampoline_kernelINS0_14default_configENS1_29reduce_by_key_config_selectorItjN6thrust23THRUST_200600_302600_NS4plusIjEEEEZZNS1_33reduce_by_key_impl_wrapped_configILNS1_25lookback_scan_determinismE0ES3_S9_NS6_6detail15normal_iteratorINS6_10device_ptrItEEEENSD_INSE_IjEEEESG_SI_PmS8_NS6_8equal_toItEEEE10hipError_tPvRmT2_T3_mT4_T5_T6_T7_T8_P12ihipStream_tbENKUlT_T0_E_clISt17integral_constantIbLb1EES12_IbLb0EEEEDaSY_SZ_EUlSY_E_NS1_11comp_targetILNS1_3genE8ELNS1_11target_archE1030ELNS1_3gpuE2ELNS1_3repE0EEENS1_30default_config_static_selectorELNS0_4arch9wavefront6targetE0EEEvT1_, .Lfunc_end759-_ZN7rocprim17ROCPRIM_400000_NS6detail17trampoline_kernelINS0_14default_configENS1_29reduce_by_key_config_selectorItjN6thrust23THRUST_200600_302600_NS4plusIjEEEEZZNS1_33reduce_by_key_impl_wrapped_configILNS1_25lookback_scan_determinismE0ES3_S9_NS6_6detail15normal_iteratorINS6_10device_ptrItEEEENSD_INSE_IjEEEESG_SI_PmS8_NS6_8equal_toItEEEE10hipError_tPvRmT2_T3_mT4_T5_T6_T7_T8_P12ihipStream_tbENKUlT_T0_E_clISt17integral_constantIbLb1EES12_IbLb0EEEEDaSY_SZ_EUlSY_E_NS1_11comp_targetILNS1_3genE8ELNS1_11target_archE1030ELNS1_3gpuE2ELNS1_3repE0EEENS1_30default_config_static_selectorELNS0_4arch9wavefront6targetE0EEEvT1_
                                        ; -- End function
	.section	.AMDGPU.csdata,"",@progbits
; Kernel info:
; codeLenInByte = 0
; NumSgprs: 0
; NumVgprs: 0
; ScratchSize: 0
; MemoryBound: 0
; FloatMode: 240
; IeeeMode: 1
; LDSByteSize: 0 bytes/workgroup (compile time only)
; SGPRBlocks: 0
; VGPRBlocks: 0
; NumSGPRsForWavesPerEU: 1
; NumVGPRsForWavesPerEU: 1
; Occupancy: 16
; WaveLimiterHint : 0
; COMPUTE_PGM_RSRC2:SCRATCH_EN: 0
; COMPUTE_PGM_RSRC2:USER_SGPR: 15
; COMPUTE_PGM_RSRC2:TRAP_HANDLER: 0
; COMPUTE_PGM_RSRC2:TGID_X_EN: 1
; COMPUTE_PGM_RSRC2:TGID_Y_EN: 0
; COMPUTE_PGM_RSRC2:TGID_Z_EN: 0
; COMPUTE_PGM_RSRC2:TIDIG_COMP_CNT: 0
	.section	.text._ZN7rocprim17ROCPRIM_400000_NS6detail17trampoline_kernelINS0_14default_configENS1_29reduce_by_key_config_selectorItjN6thrust23THRUST_200600_302600_NS4plusIjEEEEZZNS1_33reduce_by_key_impl_wrapped_configILNS1_25lookback_scan_determinismE0ES3_S9_NS6_6detail15normal_iteratorINS6_10device_ptrItEEEENSD_INSE_IjEEEESG_SI_PmS8_NS6_8equal_toItEEEE10hipError_tPvRmT2_T3_mT4_T5_T6_T7_T8_P12ihipStream_tbENKUlT_T0_E_clISt17integral_constantIbLb0EES12_IbLb1EEEEDaSY_SZ_EUlSY_E_NS1_11comp_targetILNS1_3genE0ELNS1_11target_archE4294967295ELNS1_3gpuE0ELNS1_3repE0EEENS1_30default_config_static_selectorELNS0_4arch9wavefront6targetE0EEEvT1_,"axG",@progbits,_ZN7rocprim17ROCPRIM_400000_NS6detail17trampoline_kernelINS0_14default_configENS1_29reduce_by_key_config_selectorItjN6thrust23THRUST_200600_302600_NS4plusIjEEEEZZNS1_33reduce_by_key_impl_wrapped_configILNS1_25lookback_scan_determinismE0ES3_S9_NS6_6detail15normal_iteratorINS6_10device_ptrItEEEENSD_INSE_IjEEEESG_SI_PmS8_NS6_8equal_toItEEEE10hipError_tPvRmT2_T3_mT4_T5_T6_T7_T8_P12ihipStream_tbENKUlT_T0_E_clISt17integral_constantIbLb0EES12_IbLb1EEEEDaSY_SZ_EUlSY_E_NS1_11comp_targetILNS1_3genE0ELNS1_11target_archE4294967295ELNS1_3gpuE0ELNS1_3repE0EEENS1_30default_config_static_selectorELNS0_4arch9wavefront6targetE0EEEvT1_,comdat
	.protected	_ZN7rocprim17ROCPRIM_400000_NS6detail17trampoline_kernelINS0_14default_configENS1_29reduce_by_key_config_selectorItjN6thrust23THRUST_200600_302600_NS4plusIjEEEEZZNS1_33reduce_by_key_impl_wrapped_configILNS1_25lookback_scan_determinismE0ES3_S9_NS6_6detail15normal_iteratorINS6_10device_ptrItEEEENSD_INSE_IjEEEESG_SI_PmS8_NS6_8equal_toItEEEE10hipError_tPvRmT2_T3_mT4_T5_T6_T7_T8_P12ihipStream_tbENKUlT_T0_E_clISt17integral_constantIbLb0EES12_IbLb1EEEEDaSY_SZ_EUlSY_E_NS1_11comp_targetILNS1_3genE0ELNS1_11target_archE4294967295ELNS1_3gpuE0ELNS1_3repE0EEENS1_30default_config_static_selectorELNS0_4arch9wavefront6targetE0EEEvT1_ ; -- Begin function _ZN7rocprim17ROCPRIM_400000_NS6detail17trampoline_kernelINS0_14default_configENS1_29reduce_by_key_config_selectorItjN6thrust23THRUST_200600_302600_NS4plusIjEEEEZZNS1_33reduce_by_key_impl_wrapped_configILNS1_25lookback_scan_determinismE0ES3_S9_NS6_6detail15normal_iteratorINS6_10device_ptrItEEEENSD_INSE_IjEEEESG_SI_PmS8_NS6_8equal_toItEEEE10hipError_tPvRmT2_T3_mT4_T5_T6_T7_T8_P12ihipStream_tbENKUlT_T0_E_clISt17integral_constantIbLb0EES12_IbLb1EEEEDaSY_SZ_EUlSY_E_NS1_11comp_targetILNS1_3genE0ELNS1_11target_archE4294967295ELNS1_3gpuE0ELNS1_3repE0EEENS1_30default_config_static_selectorELNS0_4arch9wavefront6targetE0EEEvT1_
	.globl	_ZN7rocprim17ROCPRIM_400000_NS6detail17trampoline_kernelINS0_14default_configENS1_29reduce_by_key_config_selectorItjN6thrust23THRUST_200600_302600_NS4plusIjEEEEZZNS1_33reduce_by_key_impl_wrapped_configILNS1_25lookback_scan_determinismE0ES3_S9_NS6_6detail15normal_iteratorINS6_10device_ptrItEEEENSD_INSE_IjEEEESG_SI_PmS8_NS6_8equal_toItEEEE10hipError_tPvRmT2_T3_mT4_T5_T6_T7_T8_P12ihipStream_tbENKUlT_T0_E_clISt17integral_constantIbLb0EES12_IbLb1EEEEDaSY_SZ_EUlSY_E_NS1_11comp_targetILNS1_3genE0ELNS1_11target_archE4294967295ELNS1_3gpuE0ELNS1_3repE0EEENS1_30default_config_static_selectorELNS0_4arch9wavefront6targetE0EEEvT1_
	.p2align	8
	.type	_ZN7rocprim17ROCPRIM_400000_NS6detail17trampoline_kernelINS0_14default_configENS1_29reduce_by_key_config_selectorItjN6thrust23THRUST_200600_302600_NS4plusIjEEEEZZNS1_33reduce_by_key_impl_wrapped_configILNS1_25lookback_scan_determinismE0ES3_S9_NS6_6detail15normal_iteratorINS6_10device_ptrItEEEENSD_INSE_IjEEEESG_SI_PmS8_NS6_8equal_toItEEEE10hipError_tPvRmT2_T3_mT4_T5_T6_T7_T8_P12ihipStream_tbENKUlT_T0_E_clISt17integral_constantIbLb0EES12_IbLb1EEEEDaSY_SZ_EUlSY_E_NS1_11comp_targetILNS1_3genE0ELNS1_11target_archE4294967295ELNS1_3gpuE0ELNS1_3repE0EEENS1_30default_config_static_selectorELNS0_4arch9wavefront6targetE0EEEvT1_,@function
_ZN7rocprim17ROCPRIM_400000_NS6detail17trampoline_kernelINS0_14default_configENS1_29reduce_by_key_config_selectorItjN6thrust23THRUST_200600_302600_NS4plusIjEEEEZZNS1_33reduce_by_key_impl_wrapped_configILNS1_25lookback_scan_determinismE0ES3_S9_NS6_6detail15normal_iteratorINS6_10device_ptrItEEEENSD_INSE_IjEEEESG_SI_PmS8_NS6_8equal_toItEEEE10hipError_tPvRmT2_T3_mT4_T5_T6_T7_T8_P12ihipStream_tbENKUlT_T0_E_clISt17integral_constantIbLb0EES12_IbLb1EEEEDaSY_SZ_EUlSY_E_NS1_11comp_targetILNS1_3genE0ELNS1_11target_archE4294967295ELNS1_3gpuE0ELNS1_3repE0EEENS1_30default_config_static_selectorELNS0_4arch9wavefront6targetE0EEEvT1_: ; @_ZN7rocprim17ROCPRIM_400000_NS6detail17trampoline_kernelINS0_14default_configENS1_29reduce_by_key_config_selectorItjN6thrust23THRUST_200600_302600_NS4plusIjEEEEZZNS1_33reduce_by_key_impl_wrapped_configILNS1_25lookback_scan_determinismE0ES3_S9_NS6_6detail15normal_iteratorINS6_10device_ptrItEEEENSD_INSE_IjEEEESG_SI_PmS8_NS6_8equal_toItEEEE10hipError_tPvRmT2_T3_mT4_T5_T6_T7_T8_P12ihipStream_tbENKUlT_T0_E_clISt17integral_constantIbLb0EES12_IbLb1EEEEDaSY_SZ_EUlSY_E_NS1_11comp_targetILNS1_3genE0ELNS1_11target_archE4294967295ELNS1_3gpuE0ELNS1_3repE0EEENS1_30default_config_static_selectorELNS0_4arch9wavefront6targetE0EEEvT1_
; %bb.0:
	.section	.rodata,"a",@progbits
	.p2align	6, 0x0
	.amdhsa_kernel _ZN7rocprim17ROCPRIM_400000_NS6detail17trampoline_kernelINS0_14default_configENS1_29reduce_by_key_config_selectorItjN6thrust23THRUST_200600_302600_NS4plusIjEEEEZZNS1_33reduce_by_key_impl_wrapped_configILNS1_25lookback_scan_determinismE0ES3_S9_NS6_6detail15normal_iteratorINS6_10device_ptrItEEEENSD_INSE_IjEEEESG_SI_PmS8_NS6_8equal_toItEEEE10hipError_tPvRmT2_T3_mT4_T5_T6_T7_T8_P12ihipStream_tbENKUlT_T0_E_clISt17integral_constantIbLb0EES12_IbLb1EEEEDaSY_SZ_EUlSY_E_NS1_11comp_targetILNS1_3genE0ELNS1_11target_archE4294967295ELNS1_3gpuE0ELNS1_3repE0EEENS1_30default_config_static_selectorELNS0_4arch9wavefront6targetE0EEEvT1_
		.amdhsa_group_segment_fixed_size 0
		.amdhsa_private_segment_fixed_size 0
		.amdhsa_kernarg_size 120
		.amdhsa_user_sgpr_count 15
		.amdhsa_user_sgpr_dispatch_ptr 0
		.amdhsa_user_sgpr_queue_ptr 0
		.amdhsa_user_sgpr_kernarg_segment_ptr 1
		.amdhsa_user_sgpr_dispatch_id 0
		.amdhsa_user_sgpr_private_segment_size 0
		.amdhsa_wavefront_size32 1
		.amdhsa_uses_dynamic_stack 0
		.amdhsa_enable_private_segment 0
		.amdhsa_system_sgpr_workgroup_id_x 1
		.amdhsa_system_sgpr_workgroup_id_y 0
		.amdhsa_system_sgpr_workgroup_id_z 0
		.amdhsa_system_sgpr_workgroup_info 0
		.amdhsa_system_vgpr_workitem_id 0
		.amdhsa_next_free_vgpr 1
		.amdhsa_next_free_sgpr 1
		.amdhsa_reserve_vcc 0
		.amdhsa_float_round_mode_32 0
		.amdhsa_float_round_mode_16_64 0
		.amdhsa_float_denorm_mode_32 3
		.amdhsa_float_denorm_mode_16_64 3
		.amdhsa_dx10_clamp 1
		.amdhsa_ieee_mode 1
		.amdhsa_fp16_overflow 0
		.amdhsa_workgroup_processor_mode 1
		.amdhsa_memory_ordered 1
		.amdhsa_forward_progress 0
		.amdhsa_shared_vgpr_count 0
		.amdhsa_exception_fp_ieee_invalid_op 0
		.amdhsa_exception_fp_denorm_src 0
		.amdhsa_exception_fp_ieee_div_zero 0
		.amdhsa_exception_fp_ieee_overflow 0
		.amdhsa_exception_fp_ieee_underflow 0
		.amdhsa_exception_fp_ieee_inexact 0
		.amdhsa_exception_int_div_zero 0
	.end_amdhsa_kernel
	.section	.text._ZN7rocprim17ROCPRIM_400000_NS6detail17trampoline_kernelINS0_14default_configENS1_29reduce_by_key_config_selectorItjN6thrust23THRUST_200600_302600_NS4plusIjEEEEZZNS1_33reduce_by_key_impl_wrapped_configILNS1_25lookback_scan_determinismE0ES3_S9_NS6_6detail15normal_iteratorINS6_10device_ptrItEEEENSD_INSE_IjEEEESG_SI_PmS8_NS6_8equal_toItEEEE10hipError_tPvRmT2_T3_mT4_T5_T6_T7_T8_P12ihipStream_tbENKUlT_T0_E_clISt17integral_constantIbLb0EES12_IbLb1EEEEDaSY_SZ_EUlSY_E_NS1_11comp_targetILNS1_3genE0ELNS1_11target_archE4294967295ELNS1_3gpuE0ELNS1_3repE0EEENS1_30default_config_static_selectorELNS0_4arch9wavefront6targetE0EEEvT1_,"axG",@progbits,_ZN7rocprim17ROCPRIM_400000_NS6detail17trampoline_kernelINS0_14default_configENS1_29reduce_by_key_config_selectorItjN6thrust23THRUST_200600_302600_NS4plusIjEEEEZZNS1_33reduce_by_key_impl_wrapped_configILNS1_25lookback_scan_determinismE0ES3_S9_NS6_6detail15normal_iteratorINS6_10device_ptrItEEEENSD_INSE_IjEEEESG_SI_PmS8_NS6_8equal_toItEEEE10hipError_tPvRmT2_T3_mT4_T5_T6_T7_T8_P12ihipStream_tbENKUlT_T0_E_clISt17integral_constantIbLb0EES12_IbLb1EEEEDaSY_SZ_EUlSY_E_NS1_11comp_targetILNS1_3genE0ELNS1_11target_archE4294967295ELNS1_3gpuE0ELNS1_3repE0EEENS1_30default_config_static_selectorELNS0_4arch9wavefront6targetE0EEEvT1_,comdat
.Lfunc_end760:
	.size	_ZN7rocprim17ROCPRIM_400000_NS6detail17trampoline_kernelINS0_14default_configENS1_29reduce_by_key_config_selectorItjN6thrust23THRUST_200600_302600_NS4plusIjEEEEZZNS1_33reduce_by_key_impl_wrapped_configILNS1_25lookback_scan_determinismE0ES3_S9_NS6_6detail15normal_iteratorINS6_10device_ptrItEEEENSD_INSE_IjEEEESG_SI_PmS8_NS6_8equal_toItEEEE10hipError_tPvRmT2_T3_mT4_T5_T6_T7_T8_P12ihipStream_tbENKUlT_T0_E_clISt17integral_constantIbLb0EES12_IbLb1EEEEDaSY_SZ_EUlSY_E_NS1_11comp_targetILNS1_3genE0ELNS1_11target_archE4294967295ELNS1_3gpuE0ELNS1_3repE0EEENS1_30default_config_static_selectorELNS0_4arch9wavefront6targetE0EEEvT1_, .Lfunc_end760-_ZN7rocprim17ROCPRIM_400000_NS6detail17trampoline_kernelINS0_14default_configENS1_29reduce_by_key_config_selectorItjN6thrust23THRUST_200600_302600_NS4plusIjEEEEZZNS1_33reduce_by_key_impl_wrapped_configILNS1_25lookback_scan_determinismE0ES3_S9_NS6_6detail15normal_iteratorINS6_10device_ptrItEEEENSD_INSE_IjEEEESG_SI_PmS8_NS6_8equal_toItEEEE10hipError_tPvRmT2_T3_mT4_T5_T6_T7_T8_P12ihipStream_tbENKUlT_T0_E_clISt17integral_constantIbLb0EES12_IbLb1EEEEDaSY_SZ_EUlSY_E_NS1_11comp_targetILNS1_3genE0ELNS1_11target_archE4294967295ELNS1_3gpuE0ELNS1_3repE0EEENS1_30default_config_static_selectorELNS0_4arch9wavefront6targetE0EEEvT1_
                                        ; -- End function
	.section	.AMDGPU.csdata,"",@progbits
; Kernel info:
; codeLenInByte = 0
; NumSgprs: 0
; NumVgprs: 0
; ScratchSize: 0
; MemoryBound: 0
; FloatMode: 240
; IeeeMode: 1
; LDSByteSize: 0 bytes/workgroup (compile time only)
; SGPRBlocks: 0
; VGPRBlocks: 0
; NumSGPRsForWavesPerEU: 1
; NumVGPRsForWavesPerEU: 1
; Occupancy: 16
; WaveLimiterHint : 0
; COMPUTE_PGM_RSRC2:SCRATCH_EN: 0
; COMPUTE_PGM_RSRC2:USER_SGPR: 15
; COMPUTE_PGM_RSRC2:TRAP_HANDLER: 0
; COMPUTE_PGM_RSRC2:TGID_X_EN: 1
; COMPUTE_PGM_RSRC2:TGID_Y_EN: 0
; COMPUTE_PGM_RSRC2:TGID_Z_EN: 0
; COMPUTE_PGM_RSRC2:TIDIG_COMP_CNT: 0
	.section	.text._ZN7rocprim17ROCPRIM_400000_NS6detail17trampoline_kernelINS0_14default_configENS1_29reduce_by_key_config_selectorItjN6thrust23THRUST_200600_302600_NS4plusIjEEEEZZNS1_33reduce_by_key_impl_wrapped_configILNS1_25lookback_scan_determinismE0ES3_S9_NS6_6detail15normal_iteratorINS6_10device_ptrItEEEENSD_INSE_IjEEEESG_SI_PmS8_NS6_8equal_toItEEEE10hipError_tPvRmT2_T3_mT4_T5_T6_T7_T8_P12ihipStream_tbENKUlT_T0_E_clISt17integral_constantIbLb0EES12_IbLb1EEEEDaSY_SZ_EUlSY_E_NS1_11comp_targetILNS1_3genE5ELNS1_11target_archE942ELNS1_3gpuE9ELNS1_3repE0EEENS1_30default_config_static_selectorELNS0_4arch9wavefront6targetE0EEEvT1_,"axG",@progbits,_ZN7rocprim17ROCPRIM_400000_NS6detail17trampoline_kernelINS0_14default_configENS1_29reduce_by_key_config_selectorItjN6thrust23THRUST_200600_302600_NS4plusIjEEEEZZNS1_33reduce_by_key_impl_wrapped_configILNS1_25lookback_scan_determinismE0ES3_S9_NS6_6detail15normal_iteratorINS6_10device_ptrItEEEENSD_INSE_IjEEEESG_SI_PmS8_NS6_8equal_toItEEEE10hipError_tPvRmT2_T3_mT4_T5_T6_T7_T8_P12ihipStream_tbENKUlT_T0_E_clISt17integral_constantIbLb0EES12_IbLb1EEEEDaSY_SZ_EUlSY_E_NS1_11comp_targetILNS1_3genE5ELNS1_11target_archE942ELNS1_3gpuE9ELNS1_3repE0EEENS1_30default_config_static_selectorELNS0_4arch9wavefront6targetE0EEEvT1_,comdat
	.protected	_ZN7rocprim17ROCPRIM_400000_NS6detail17trampoline_kernelINS0_14default_configENS1_29reduce_by_key_config_selectorItjN6thrust23THRUST_200600_302600_NS4plusIjEEEEZZNS1_33reduce_by_key_impl_wrapped_configILNS1_25lookback_scan_determinismE0ES3_S9_NS6_6detail15normal_iteratorINS6_10device_ptrItEEEENSD_INSE_IjEEEESG_SI_PmS8_NS6_8equal_toItEEEE10hipError_tPvRmT2_T3_mT4_T5_T6_T7_T8_P12ihipStream_tbENKUlT_T0_E_clISt17integral_constantIbLb0EES12_IbLb1EEEEDaSY_SZ_EUlSY_E_NS1_11comp_targetILNS1_3genE5ELNS1_11target_archE942ELNS1_3gpuE9ELNS1_3repE0EEENS1_30default_config_static_selectorELNS0_4arch9wavefront6targetE0EEEvT1_ ; -- Begin function _ZN7rocprim17ROCPRIM_400000_NS6detail17trampoline_kernelINS0_14default_configENS1_29reduce_by_key_config_selectorItjN6thrust23THRUST_200600_302600_NS4plusIjEEEEZZNS1_33reduce_by_key_impl_wrapped_configILNS1_25lookback_scan_determinismE0ES3_S9_NS6_6detail15normal_iteratorINS6_10device_ptrItEEEENSD_INSE_IjEEEESG_SI_PmS8_NS6_8equal_toItEEEE10hipError_tPvRmT2_T3_mT4_T5_T6_T7_T8_P12ihipStream_tbENKUlT_T0_E_clISt17integral_constantIbLb0EES12_IbLb1EEEEDaSY_SZ_EUlSY_E_NS1_11comp_targetILNS1_3genE5ELNS1_11target_archE942ELNS1_3gpuE9ELNS1_3repE0EEENS1_30default_config_static_selectorELNS0_4arch9wavefront6targetE0EEEvT1_
	.globl	_ZN7rocprim17ROCPRIM_400000_NS6detail17trampoline_kernelINS0_14default_configENS1_29reduce_by_key_config_selectorItjN6thrust23THRUST_200600_302600_NS4plusIjEEEEZZNS1_33reduce_by_key_impl_wrapped_configILNS1_25lookback_scan_determinismE0ES3_S9_NS6_6detail15normal_iteratorINS6_10device_ptrItEEEENSD_INSE_IjEEEESG_SI_PmS8_NS6_8equal_toItEEEE10hipError_tPvRmT2_T3_mT4_T5_T6_T7_T8_P12ihipStream_tbENKUlT_T0_E_clISt17integral_constantIbLb0EES12_IbLb1EEEEDaSY_SZ_EUlSY_E_NS1_11comp_targetILNS1_3genE5ELNS1_11target_archE942ELNS1_3gpuE9ELNS1_3repE0EEENS1_30default_config_static_selectorELNS0_4arch9wavefront6targetE0EEEvT1_
	.p2align	8
	.type	_ZN7rocprim17ROCPRIM_400000_NS6detail17trampoline_kernelINS0_14default_configENS1_29reduce_by_key_config_selectorItjN6thrust23THRUST_200600_302600_NS4plusIjEEEEZZNS1_33reduce_by_key_impl_wrapped_configILNS1_25lookback_scan_determinismE0ES3_S9_NS6_6detail15normal_iteratorINS6_10device_ptrItEEEENSD_INSE_IjEEEESG_SI_PmS8_NS6_8equal_toItEEEE10hipError_tPvRmT2_T3_mT4_T5_T6_T7_T8_P12ihipStream_tbENKUlT_T0_E_clISt17integral_constantIbLb0EES12_IbLb1EEEEDaSY_SZ_EUlSY_E_NS1_11comp_targetILNS1_3genE5ELNS1_11target_archE942ELNS1_3gpuE9ELNS1_3repE0EEENS1_30default_config_static_selectorELNS0_4arch9wavefront6targetE0EEEvT1_,@function
_ZN7rocprim17ROCPRIM_400000_NS6detail17trampoline_kernelINS0_14default_configENS1_29reduce_by_key_config_selectorItjN6thrust23THRUST_200600_302600_NS4plusIjEEEEZZNS1_33reduce_by_key_impl_wrapped_configILNS1_25lookback_scan_determinismE0ES3_S9_NS6_6detail15normal_iteratorINS6_10device_ptrItEEEENSD_INSE_IjEEEESG_SI_PmS8_NS6_8equal_toItEEEE10hipError_tPvRmT2_T3_mT4_T5_T6_T7_T8_P12ihipStream_tbENKUlT_T0_E_clISt17integral_constantIbLb0EES12_IbLb1EEEEDaSY_SZ_EUlSY_E_NS1_11comp_targetILNS1_3genE5ELNS1_11target_archE942ELNS1_3gpuE9ELNS1_3repE0EEENS1_30default_config_static_selectorELNS0_4arch9wavefront6targetE0EEEvT1_: ; @_ZN7rocprim17ROCPRIM_400000_NS6detail17trampoline_kernelINS0_14default_configENS1_29reduce_by_key_config_selectorItjN6thrust23THRUST_200600_302600_NS4plusIjEEEEZZNS1_33reduce_by_key_impl_wrapped_configILNS1_25lookback_scan_determinismE0ES3_S9_NS6_6detail15normal_iteratorINS6_10device_ptrItEEEENSD_INSE_IjEEEESG_SI_PmS8_NS6_8equal_toItEEEE10hipError_tPvRmT2_T3_mT4_T5_T6_T7_T8_P12ihipStream_tbENKUlT_T0_E_clISt17integral_constantIbLb0EES12_IbLb1EEEEDaSY_SZ_EUlSY_E_NS1_11comp_targetILNS1_3genE5ELNS1_11target_archE942ELNS1_3gpuE9ELNS1_3repE0EEENS1_30default_config_static_selectorELNS0_4arch9wavefront6targetE0EEEvT1_
; %bb.0:
	.section	.rodata,"a",@progbits
	.p2align	6, 0x0
	.amdhsa_kernel _ZN7rocprim17ROCPRIM_400000_NS6detail17trampoline_kernelINS0_14default_configENS1_29reduce_by_key_config_selectorItjN6thrust23THRUST_200600_302600_NS4plusIjEEEEZZNS1_33reduce_by_key_impl_wrapped_configILNS1_25lookback_scan_determinismE0ES3_S9_NS6_6detail15normal_iteratorINS6_10device_ptrItEEEENSD_INSE_IjEEEESG_SI_PmS8_NS6_8equal_toItEEEE10hipError_tPvRmT2_T3_mT4_T5_T6_T7_T8_P12ihipStream_tbENKUlT_T0_E_clISt17integral_constantIbLb0EES12_IbLb1EEEEDaSY_SZ_EUlSY_E_NS1_11comp_targetILNS1_3genE5ELNS1_11target_archE942ELNS1_3gpuE9ELNS1_3repE0EEENS1_30default_config_static_selectorELNS0_4arch9wavefront6targetE0EEEvT1_
		.amdhsa_group_segment_fixed_size 0
		.amdhsa_private_segment_fixed_size 0
		.amdhsa_kernarg_size 120
		.amdhsa_user_sgpr_count 15
		.amdhsa_user_sgpr_dispatch_ptr 0
		.amdhsa_user_sgpr_queue_ptr 0
		.amdhsa_user_sgpr_kernarg_segment_ptr 1
		.amdhsa_user_sgpr_dispatch_id 0
		.amdhsa_user_sgpr_private_segment_size 0
		.amdhsa_wavefront_size32 1
		.amdhsa_uses_dynamic_stack 0
		.amdhsa_enable_private_segment 0
		.amdhsa_system_sgpr_workgroup_id_x 1
		.amdhsa_system_sgpr_workgroup_id_y 0
		.amdhsa_system_sgpr_workgroup_id_z 0
		.amdhsa_system_sgpr_workgroup_info 0
		.amdhsa_system_vgpr_workitem_id 0
		.amdhsa_next_free_vgpr 1
		.amdhsa_next_free_sgpr 1
		.amdhsa_reserve_vcc 0
		.amdhsa_float_round_mode_32 0
		.amdhsa_float_round_mode_16_64 0
		.amdhsa_float_denorm_mode_32 3
		.amdhsa_float_denorm_mode_16_64 3
		.amdhsa_dx10_clamp 1
		.amdhsa_ieee_mode 1
		.amdhsa_fp16_overflow 0
		.amdhsa_workgroup_processor_mode 1
		.amdhsa_memory_ordered 1
		.amdhsa_forward_progress 0
		.amdhsa_shared_vgpr_count 0
		.amdhsa_exception_fp_ieee_invalid_op 0
		.amdhsa_exception_fp_denorm_src 0
		.amdhsa_exception_fp_ieee_div_zero 0
		.amdhsa_exception_fp_ieee_overflow 0
		.amdhsa_exception_fp_ieee_underflow 0
		.amdhsa_exception_fp_ieee_inexact 0
		.amdhsa_exception_int_div_zero 0
	.end_amdhsa_kernel
	.section	.text._ZN7rocprim17ROCPRIM_400000_NS6detail17trampoline_kernelINS0_14default_configENS1_29reduce_by_key_config_selectorItjN6thrust23THRUST_200600_302600_NS4plusIjEEEEZZNS1_33reduce_by_key_impl_wrapped_configILNS1_25lookback_scan_determinismE0ES3_S9_NS6_6detail15normal_iteratorINS6_10device_ptrItEEEENSD_INSE_IjEEEESG_SI_PmS8_NS6_8equal_toItEEEE10hipError_tPvRmT2_T3_mT4_T5_T6_T7_T8_P12ihipStream_tbENKUlT_T0_E_clISt17integral_constantIbLb0EES12_IbLb1EEEEDaSY_SZ_EUlSY_E_NS1_11comp_targetILNS1_3genE5ELNS1_11target_archE942ELNS1_3gpuE9ELNS1_3repE0EEENS1_30default_config_static_selectorELNS0_4arch9wavefront6targetE0EEEvT1_,"axG",@progbits,_ZN7rocprim17ROCPRIM_400000_NS6detail17trampoline_kernelINS0_14default_configENS1_29reduce_by_key_config_selectorItjN6thrust23THRUST_200600_302600_NS4plusIjEEEEZZNS1_33reduce_by_key_impl_wrapped_configILNS1_25lookback_scan_determinismE0ES3_S9_NS6_6detail15normal_iteratorINS6_10device_ptrItEEEENSD_INSE_IjEEEESG_SI_PmS8_NS6_8equal_toItEEEE10hipError_tPvRmT2_T3_mT4_T5_T6_T7_T8_P12ihipStream_tbENKUlT_T0_E_clISt17integral_constantIbLb0EES12_IbLb1EEEEDaSY_SZ_EUlSY_E_NS1_11comp_targetILNS1_3genE5ELNS1_11target_archE942ELNS1_3gpuE9ELNS1_3repE0EEENS1_30default_config_static_selectorELNS0_4arch9wavefront6targetE0EEEvT1_,comdat
.Lfunc_end761:
	.size	_ZN7rocprim17ROCPRIM_400000_NS6detail17trampoline_kernelINS0_14default_configENS1_29reduce_by_key_config_selectorItjN6thrust23THRUST_200600_302600_NS4plusIjEEEEZZNS1_33reduce_by_key_impl_wrapped_configILNS1_25lookback_scan_determinismE0ES3_S9_NS6_6detail15normal_iteratorINS6_10device_ptrItEEEENSD_INSE_IjEEEESG_SI_PmS8_NS6_8equal_toItEEEE10hipError_tPvRmT2_T3_mT4_T5_T6_T7_T8_P12ihipStream_tbENKUlT_T0_E_clISt17integral_constantIbLb0EES12_IbLb1EEEEDaSY_SZ_EUlSY_E_NS1_11comp_targetILNS1_3genE5ELNS1_11target_archE942ELNS1_3gpuE9ELNS1_3repE0EEENS1_30default_config_static_selectorELNS0_4arch9wavefront6targetE0EEEvT1_, .Lfunc_end761-_ZN7rocprim17ROCPRIM_400000_NS6detail17trampoline_kernelINS0_14default_configENS1_29reduce_by_key_config_selectorItjN6thrust23THRUST_200600_302600_NS4plusIjEEEEZZNS1_33reduce_by_key_impl_wrapped_configILNS1_25lookback_scan_determinismE0ES3_S9_NS6_6detail15normal_iteratorINS6_10device_ptrItEEEENSD_INSE_IjEEEESG_SI_PmS8_NS6_8equal_toItEEEE10hipError_tPvRmT2_T3_mT4_T5_T6_T7_T8_P12ihipStream_tbENKUlT_T0_E_clISt17integral_constantIbLb0EES12_IbLb1EEEEDaSY_SZ_EUlSY_E_NS1_11comp_targetILNS1_3genE5ELNS1_11target_archE942ELNS1_3gpuE9ELNS1_3repE0EEENS1_30default_config_static_selectorELNS0_4arch9wavefront6targetE0EEEvT1_
                                        ; -- End function
	.section	.AMDGPU.csdata,"",@progbits
; Kernel info:
; codeLenInByte = 0
; NumSgprs: 0
; NumVgprs: 0
; ScratchSize: 0
; MemoryBound: 0
; FloatMode: 240
; IeeeMode: 1
; LDSByteSize: 0 bytes/workgroup (compile time only)
; SGPRBlocks: 0
; VGPRBlocks: 0
; NumSGPRsForWavesPerEU: 1
; NumVGPRsForWavesPerEU: 1
; Occupancy: 16
; WaveLimiterHint : 0
; COMPUTE_PGM_RSRC2:SCRATCH_EN: 0
; COMPUTE_PGM_RSRC2:USER_SGPR: 15
; COMPUTE_PGM_RSRC2:TRAP_HANDLER: 0
; COMPUTE_PGM_RSRC2:TGID_X_EN: 1
; COMPUTE_PGM_RSRC2:TGID_Y_EN: 0
; COMPUTE_PGM_RSRC2:TGID_Z_EN: 0
; COMPUTE_PGM_RSRC2:TIDIG_COMP_CNT: 0
	.section	.text._ZN7rocprim17ROCPRIM_400000_NS6detail17trampoline_kernelINS0_14default_configENS1_29reduce_by_key_config_selectorItjN6thrust23THRUST_200600_302600_NS4plusIjEEEEZZNS1_33reduce_by_key_impl_wrapped_configILNS1_25lookback_scan_determinismE0ES3_S9_NS6_6detail15normal_iteratorINS6_10device_ptrItEEEENSD_INSE_IjEEEESG_SI_PmS8_NS6_8equal_toItEEEE10hipError_tPvRmT2_T3_mT4_T5_T6_T7_T8_P12ihipStream_tbENKUlT_T0_E_clISt17integral_constantIbLb0EES12_IbLb1EEEEDaSY_SZ_EUlSY_E_NS1_11comp_targetILNS1_3genE4ELNS1_11target_archE910ELNS1_3gpuE8ELNS1_3repE0EEENS1_30default_config_static_selectorELNS0_4arch9wavefront6targetE0EEEvT1_,"axG",@progbits,_ZN7rocprim17ROCPRIM_400000_NS6detail17trampoline_kernelINS0_14default_configENS1_29reduce_by_key_config_selectorItjN6thrust23THRUST_200600_302600_NS4plusIjEEEEZZNS1_33reduce_by_key_impl_wrapped_configILNS1_25lookback_scan_determinismE0ES3_S9_NS6_6detail15normal_iteratorINS6_10device_ptrItEEEENSD_INSE_IjEEEESG_SI_PmS8_NS6_8equal_toItEEEE10hipError_tPvRmT2_T3_mT4_T5_T6_T7_T8_P12ihipStream_tbENKUlT_T0_E_clISt17integral_constantIbLb0EES12_IbLb1EEEEDaSY_SZ_EUlSY_E_NS1_11comp_targetILNS1_3genE4ELNS1_11target_archE910ELNS1_3gpuE8ELNS1_3repE0EEENS1_30default_config_static_selectorELNS0_4arch9wavefront6targetE0EEEvT1_,comdat
	.protected	_ZN7rocprim17ROCPRIM_400000_NS6detail17trampoline_kernelINS0_14default_configENS1_29reduce_by_key_config_selectorItjN6thrust23THRUST_200600_302600_NS4plusIjEEEEZZNS1_33reduce_by_key_impl_wrapped_configILNS1_25lookback_scan_determinismE0ES3_S9_NS6_6detail15normal_iteratorINS6_10device_ptrItEEEENSD_INSE_IjEEEESG_SI_PmS8_NS6_8equal_toItEEEE10hipError_tPvRmT2_T3_mT4_T5_T6_T7_T8_P12ihipStream_tbENKUlT_T0_E_clISt17integral_constantIbLb0EES12_IbLb1EEEEDaSY_SZ_EUlSY_E_NS1_11comp_targetILNS1_3genE4ELNS1_11target_archE910ELNS1_3gpuE8ELNS1_3repE0EEENS1_30default_config_static_selectorELNS0_4arch9wavefront6targetE0EEEvT1_ ; -- Begin function _ZN7rocprim17ROCPRIM_400000_NS6detail17trampoline_kernelINS0_14default_configENS1_29reduce_by_key_config_selectorItjN6thrust23THRUST_200600_302600_NS4plusIjEEEEZZNS1_33reduce_by_key_impl_wrapped_configILNS1_25lookback_scan_determinismE0ES3_S9_NS6_6detail15normal_iteratorINS6_10device_ptrItEEEENSD_INSE_IjEEEESG_SI_PmS8_NS6_8equal_toItEEEE10hipError_tPvRmT2_T3_mT4_T5_T6_T7_T8_P12ihipStream_tbENKUlT_T0_E_clISt17integral_constantIbLb0EES12_IbLb1EEEEDaSY_SZ_EUlSY_E_NS1_11comp_targetILNS1_3genE4ELNS1_11target_archE910ELNS1_3gpuE8ELNS1_3repE0EEENS1_30default_config_static_selectorELNS0_4arch9wavefront6targetE0EEEvT1_
	.globl	_ZN7rocprim17ROCPRIM_400000_NS6detail17trampoline_kernelINS0_14default_configENS1_29reduce_by_key_config_selectorItjN6thrust23THRUST_200600_302600_NS4plusIjEEEEZZNS1_33reduce_by_key_impl_wrapped_configILNS1_25lookback_scan_determinismE0ES3_S9_NS6_6detail15normal_iteratorINS6_10device_ptrItEEEENSD_INSE_IjEEEESG_SI_PmS8_NS6_8equal_toItEEEE10hipError_tPvRmT2_T3_mT4_T5_T6_T7_T8_P12ihipStream_tbENKUlT_T0_E_clISt17integral_constantIbLb0EES12_IbLb1EEEEDaSY_SZ_EUlSY_E_NS1_11comp_targetILNS1_3genE4ELNS1_11target_archE910ELNS1_3gpuE8ELNS1_3repE0EEENS1_30default_config_static_selectorELNS0_4arch9wavefront6targetE0EEEvT1_
	.p2align	8
	.type	_ZN7rocprim17ROCPRIM_400000_NS6detail17trampoline_kernelINS0_14default_configENS1_29reduce_by_key_config_selectorItjN6thrust23THRUST_200600_302600_NS4plusIjEEEEZZNS1_33reduce_by_key_impl_wrapped_configILNS1_25lookback_scan_determinismE0ES3_S9_NS6_6detail15normal_iteratorINS6_10device_ptrItEEEENSD_INSE_IjEEEESG_SI_PmS8_NS6_8equal_toItEEEE10hipError_tPvRmT2_T3_mT4_T5_T6_T7_T8_P12ihipStream_tbENKUlT_T0_E_clISt17integral_constantIbLb0EES12_IbLb1EEEEDaSY_SZ_EUlSY_E_NS1_11comp_targetILNS1_3genE4ELNS1_11target_archE910ELNS1_3gpuE8ELNS1_3repE0EEENS1_30default_config_static_selectorELNS0_4arch9wavefront6targetE0EEEvT1_,@function
_ZN7rocprim17ROCPRIM_400000_NS6detail17trampoline_kernelINS0_14default_configENS1_29reduce_by_key_config_selectorItjN6thrust23THRUST_200600_302600_NS4plusIjEEEEZZNS1_33reduce_by_key_impl_wrapped_configILNS1_25lookback_scan_determinismE0ES3_S9_NS6_6detail15normal_iteratorINS6_10device_ptrItEEEENSD_INSE_IjEEEESG_SI_PmS8_NS6_8equal_toItEEEE10hipError_tPvRmT2_T3_mT4_T5_T6_T7_T8_P12ihipStream_tbENKUlT_T0_E_clISt17integral_constantIbLb0EES12_IbLb1EEEEDaSY_SZ_EUlSY_E_NS1_11comp_targetILNS1_3genE4ELNS1_11target_archE910ELNS1_3gpuE8ELNS1_3repE0EEENS1_30default_config_static_selectorELNS0_4arch9wavefront6targetE0EEEvT1_: ; @_ZN7rocprim17ROCPRIM_400000_NS6detail17trampoline_kernelINS0_14default_configENS1_29reduce_by_key_config_selectorItjN6thrust23THRUST_200600_302600_NS4plusIjEEEEZZNS1_33reduce_by_key_impl_wrapped_configILNS1_25lookback_scan_determinismE0ES3_S9_NS6_6detail15normal_iteratorINS6_10device_ptrItEEEENSD_INSE_IjEEEESG_SI_PmS8_NS6_8equal_toItEEEE10hipError_tPvRmT2_T3_mT4_T5_T6_T7_T8_P12ihipStream_tbENKUlT_T0_E_clISt17integral_constantIbLb0EES12_IbLb1EEEEDaSY_SZ_EUlSY_E_NS1_11comp_targetILNS1_3genE4ELNS1_11target_archE910ELNS1_3gpuE8ELNS1_3repE0EEENS1_30default_config_static_selectorELNS0_4arch9wavefront6targetE0EEEvT1_
; %bb.0:
	.section	.rodata,"a",@progbits
	.p2align	6, 0x0
	.amdhsa_kernel _ZN7rocprim17ROCPRIM_400000_NS6detail17trampoline_kernelINS0_14default_configENS1_29reduce_by_key_config_selectorItjN6thrust23THRUST_200600_302600_NS4plusIjEEEEZZNS1_33reduce_by_key_impl_wrapped_configILNS1_25lookback_scan_determinismE0ES3_S9_NS6_6detail15normal_iteratorINS6_10device_ptrItEEEENSD_INSE_IjEEEESG_SI_PmS8_NS6_8equal_toItEEEE10hipError_tPvRmT2_T3_mT4_T5_T6_T7_T8_P12ihipStream_tbENKUlT_T0_E_clISt17integral_constantIbLb0EES12_IbLb1EEEEDaSY_SZ_EUlSY_E_NS1_11comp_targetILNS1_3genE4ELNS1_11target_archE910ELNS1_3gpuE8ELNS1_3repE0EEENS1_30default_config_static_selectorELNS0_4arch9wavefront6targetE0EEEvT1_
		.amdhsa_group_segment_fixed_size 0
		.amdhsa_private_segment_fixed_size 0
		.amdhsa_kernarg_size 120
		.amdhsa_user_sgpr_count 15
		.amdhsa_user_sgpr_dispatch_ptr 0
		.amdhsa_user_sgpr_queue_ptr 0
		.amdhsa_user_sgpr_kernarg_segment_ptr 1
		.amdhsa_user_sgpr_dispatch_id 0
		.amdhsa_user_sgpr_private_segment_size 0
		.amdhsa_wavefront_size32 1
		.amdhsa_uses_dynamic_stack 0
		.amdhsa_enable_private_segment 0
		.amdhsa_system_sgpr_workgroup_id_x 1
		.amdhsa_system_sgpr_workgroup_id_y 0
		.amdhsa_system_sgpr_workgroup_id_z 0
		.amdhsa_system_sgpr_workgroup_info 0
		.amdhsa_system_vgpr_workitem_id 0
		.amdhsa_next_free_vgpr 1
		.amdhsa_next_free_sgpr 1
		.amdhsa_reserve_vcc 0
		.amdhsa_float_round_mode_32 0
		.amdhsa_float_round_mode_16_64 0
		.amdhsa_float_denorm_mode_32 3
		.amdhsa_float_denorm_mode_16_64 3
		.amdhsa_dx10_clamp 1
		.amdhsa_ieee_mode 1
		.amdhsa_fp16_overflow 0
		.amdhsa_workgroup_processor_mode 1
		.amdhsa_memory_ordered 1
		.amdhsa_forward_progress 0
		.amdhsa_shared_vgpr_count 0
		.amdhsa_exception_fp_ieee_invalid_op 0
		.amdhsa_exception_fp_denorm_src 0
		.amdhsa_exception_fp_ieee_div_zero 0
		.amdhsa_exception_fp_ieee_overflow 0
		.amdhsa_exception_fp_ieee_underflow 0
		.amdhsa_exception_fp_ieee_inexact 0
		.amdhsa_exception_int_div_zero 0
	.end_amdhsa_kernel
	.section	.text._ZN7rocprim17ROCPRIM_400000_NS6detail17trampoline_kernelINS0_14default_configENS1_29reduce_by_key_config_selectorItjN6thrust23THRUST_200600_302600_NS4plusIjEEEEZZNS1_33reduce_by_key_impl_wrapped_configILNS1_25lookback_scan_determinismE0ES3_S9_NS6_6detail15normal_iteratorINS6_10device_ptrItEEEENSD_INSE_IjEEEESG_SI_PmS8_NS6_8equal_toItEEEE10hipError_tPvRmT2_T3_mT4_T5_T6_T7_T8_P12ihipStream_tbENKUlT_T0_E_clISt17integral_constantIbLb0EES12_IbLb1EEEEDaSY_SZ_EUlSY_E_NS1_11comp_targetILNS1_3genE4ELNS1_11target_archE910ELNS1_3gpuE8ELNS1_3repE0EEENS1_30default_config_static_selectorELNS0_4arch9wavefront6targetE0EEEvT1_,"axG",@progbits,_ZN7rocprim17ROCPRIM_400000_NS6detail17trampoline_kernelINS0_14default_configENS1_29reduce_by_key_config_selectorItjN6thrust23THRUST_200600_302600_NS4plusIjEEEEZZNS1_33reduce_by_key_impl_wrapped_configILNS1_25lookback_scan_determinismE0ES3_S9_NS6_6detail15normal_iteratorINS6_10device_ptrItEEEENSD_INSE_IjEEEESG_SI_PmS8_NS6_8equal_toItEEEE10hipError_tPvRmT2_T3_mT4_T5_T6_T7_T8_P12ihipStream_tbENKUlT_T0_E_clISt17integral_constantIbLb0EES12_IbLb1EEEEDaSY_SZ_EUlSY_E_NS1_11comp_targetILNS1_3genE4ELNS1_11target_archE910ELNS1_3gpuE8ELNS1_3repE0EEENS1_30default_config_static_selectorELNS0_4arch9wavefront6targetE0EEEvT1_,comdat
.Lfunc_end762:
	.size	_ZN7rocprim17ROCPRIM_400000_NS6detail17trampoline_kernelINS0_14default_configENS1_29reduce_by_key_config_selectorItjN6thrust23THRUST_200600_302600_NS4plusIjEEEEZZNS1_33reduce_by_key_impl_wrapped_configILNS1_25lookback_scan_determinismE0ES3_S9_NS6_6detail15normal_iteratorINS6_10device_ptrItEEEENSD_INSE_IjEEEESG_SI_PmS8_NS6_8equal_toItEEEE10hipError_tPvRmT2_T3_mT4_T5_T6_T7_T8_P12ihipStream_tbENKUlT_T0_E_clISt17integral_constantIbLb0EES12_IbLb1EEEEDaSY_SZ_EUlSY_E_NS1_11comp_targetILNS1_3genE4ELNS1_11target_archE910ELNS1_3gpuE8ELNS1_3repE0EEENS1_30default_config_static_selectorELNS0_4arch9wavefront6targetE0EEEvT1_, .Lfunc_end762-_ZN7rocprim17ROCPRIM_400000_NS6detail17trampoline_kernelINS0_14default_configENS1_29reduce_by_key_config_selectorItjN6thrust23THRUST_200600_302600_NS4plusIjEEEEZZNS1_33reduce_by_key_impl_wrapped_configILNS1_25lookback_scan_determinismE0ES3_S9_NS6_6detail15normal_iteratorINS6_10device_ptrItEEEENSD_INSE_IjEEEESG_SI_PmS8_NS6_8equal_toItEEEE10hipError_tPvRmT2_T3_mT4_T5_T6_T7_T8_P12ihipStream_tbENKUlT_T0_E_clISt17integral_constantIbLb0EES12_IbLb1EEEEDaSY_SZ_EUlSY_E_NS1_11comp_targetILNS1_3genE4ELNS1_11target_archE910ELNS1_3gpuE8ELNS1_3repE0EEENS1_30default_config_static_selectorELNS0_4arch9wavefront6targetE0EEEvT1_
                                        ; -- End function
	.section	.AMDGPU.csdata,"",@progbits
; Kernel info:
; codeLenInByte = 0
; NumSgprs: 0
; NumVgprs: 0
; ScratchSize: 0
; MemoryBound: 0
; FloatMode: 240
; IeeeMode: 1
; LDSByteSize: 0 bytes/workgroup (compile time only)
; SGPRBlocks: 0
; VGPRBlocks: 0
; NumSGPRsForWavesPerEU: 1
; NumVGPRsForWavesPerEU: 1
; Occupancy: 16
; WaveLimiterHint : 0
; COMPUTE_PGM_RSRC2:SCRATCH_EN: 0
; COMPUTE_PGM_RSRC2:USER_SGPR: 15
; COMPUTE_PGM_RSRC2:TRAP_HANDLER: 0
; COMPUTE_PGM_RSRC2:TGID_X_EN: 1
; COMPUTE_PGM_RSRC2:TGID_Y_EN: 0
; COMPUTE_PGM_RSRC2:TGID_Z_EN: 0
; COMPUTE_PGM_RSRC2:TIDIG_COMP_CNT: 0
	.section	.text._ZN7rocprim17ROCPRIM_400000_NS6detail17trampoline_kernelINS0_14default_configENS1_29reduce_by_key_config_selectorItjN6thrust23THRUST_200600_302600_NS4plusIjEEEEZZNS1_33reduce_by_key_impl_wrapped_configILNS1_25lookback_scan_determinismE0ES3_S9_NS6_6detail15normal_iteratorINS6_10device_ptrItEEEENSD_INSE_IjEEEESG_SI_PmS8_NS6_8equal_toItEEEE10hipError_tPvRmT2_T3_mT4_T5_T6_T7_T8_P12ihipStream_tbENKUlT_T0_E_clISt17integral_constantIbLb0EES12_IbLb1EEEEDaSY_SZ_EUlSY_E_NS1_11comp_targetILNS1_3genE3ELNS1_11target_archE908ELNS1_3gpuE7ELNS1_3repE0EEENS1_30default_config_static_selectorELNS0_4arch9wavefront6targetE0EEEvT1_,"axG",@progbits,_ZN7rocprim17ROCPRIM_400000_NS6detail17trampoline_kernelINS0_14default_configENS1_29reduce_by_key_config_selectorItjN6thrust23THRUST_200600_302600_NS4plusIjEEEEZZNS1_33reduce_by_key_impl_wrapped_configILNS1_25lookback_scan_determinismE0ES3_S9_NS6_6detail15normal_iteratorINS6_10device_ptrItEEEENSD_INSE_IjEEEESG_SI_PmS8_NS6_8equal_toItEEEE10hipError_tPvRmT2_T3_mT4_T5_T6_T7_T8_P12ihipStream_tbENKUlT_T0_E_clISt17integral_constantIbLb0EES12_IbLb1EEEEDaSY_SZ_EUlSY_E_NS1_11comp_targetILNS1_3genE3ELNS1_11target_archE908ELNS1_3gpuE7ELNS1_3repE0EEENS1_30default_config_static_selectorELNS0_4arch9wavefront6targetE0EEEvT1_,comdat
	.protected	_ZN7rocprim17ROCPRIM_400000_NS6detail17trampoline_kernelINS0_14default_configENS1_29reduce_by_key_config_selectorItjN6thrust23THRUST_200600_302600_NS4plusIjEEEEZZNS1_33reduce_by_key_impl_wrapped_configILNS1_25lookback_scan_determinismE0ES3_S9_NS6_6detail15normal_iteratorINS6_10device_ptrItEEEENSD_INSE_IjEEEESG_SI_PmS8_NS6_8equal_toItEEEE10hipError_tPvRmT2_T3_mT4_T5_T6_T7_T8_P12ihipStream_tbENKUlT_T0_E_clISt17integral_constantIbLb0EES12_IbLb1EEEEDaSY_SZ_EUlSY_E_NS1_11comp_targetILNS1_3genE3ELNS1_11target_archE908ELNS1_3gpuE7ELNS1_3repE0EEENS1_30default_config_static_selectorELNS0_4arch9wavefront6targetE0EEEvT1_ ; -- Begin function _ZN7rocprim17ROCPRIM_400000_NS6detail17trampoline_kernelINS0_14default_configENS1_29reduce_by_key_config_selectorItjN6thrust23THRUST_200600_302600_NS4plusIjEEEEZZNS1_33reduce_by_key_impl_wrapped_configILNS1_25lookback_scan_determinismE0ES3_S9_NS6_6detail15normal_iteratorINS6_10device_ptrItEEEENSD_INSE_IjEEEESG_SI_PmS8_NS6_8equal_toItEEEE10hipError_tPvRmT2_T3_mT4_T5_T6_T7_T8_P12ihipStream_tbENKUlT_T0_E_clISt17integral_constantIbLb0EES12_IbLb1EEEEDaSY_SZ_EUlSY_E_NS1_11comp_targetILNS1_3genE3ELNS1_11target_archE908ELNS1_3gpuE7ELNS1_3repE0EEENS1_30default_config_static_selectorELNS0_4arch9wavefront6targetE0EEEvT1_
	.globl	_ZN7rocprim17ROCPRIM_400000_NS6detail17trampoline_kernelINS0_14default_configENS1_29reduce_by_key_config_selectorItjN6thrust23THRUST_200600_302600_NS4plusIjEEEEZZNS1_33reduce_by_key_impl_wrapped_configILNS1_25lookback_scan_determinismE0ES3_S9_NS6_6detail15normal_iteratorINS6_10device_ptrItEEEENSD_INSE_IjEEEESG_SI_PmS8_NS6_8equal_toItEEEE10hipError_tPvRmT2_T3_mT4_T5_T6_T7_T8_P12ihipStream_tbENKUlT_T0_E_clISt17integral_constantIbLb0EES12_IbLb1EEEEDaSY_SZ_EUlSY_E_NS1_11comp_targetILNS1_3genE3ELNS1_11target_archE908ELNS1_3gpuE7ELNS1_3repE0EEENS1_30default_config_static_selectorELNS0_4arch9wavefront6targetE0EEEvT1_
	.p2align	8
	.type	_ZN7rocprim17ROCPRIM_400000_NS6detail17trampoline_kernelINS0_14default_configENS1_29reduce_by_key_config_selectorItjN6thrust23THRUST_200600_302600_NS4plusIjEEEEZZNS1_33reduce_by_key_impl_wrapped_configILNS1_25lookback_scan_determinismE0ES3_S9_NS6_6detail15normal_iteratorINS6_10device_ptrItEEEENSD_INSE_IjEEEESG_SI_PmS8_NS6_8equal_toItEEEE10hipError_tPvRmT2_T3_mT4_T5_T6_T7_T8_P12ihipStream_tbENKUlT_T0_E_clISt17integral_constantIbLb0EES12_IbLb1EEEEDaSY_SZ_EUlSY_E_NS1_11comp_targetILNS1_3genE3ELNS1_11target_archE908ELNS1_3gpuE7ELNS1_3repE0EEENS1_30default_config_static_selectorELNS0_4arch9wavefront6targetE0EEEvT1_,@function
_ZN7rocprim17ROCPRIM_400000_NS6detail17trampoline_kernelINS0_14default_configENS1_29reduce_by_key_config_selectorItjN6thrust23THRUST_200600_302600_NS4plusIjEEEEZZNS1_33reduce_by_key_impl_wrapped_configILNS1_25lookback_scan_determinismE0ES3_S9_NS6_6detail15normal_iteratorINS6_10device_ptrItEEEENSD_INSE_IjEEEESG_SI_PmS8_NS6_8equal_toItEEEE10hipError_tPvRmT2_T3_mT4_T5_T6_T7_T8_P12ihipStream_tbENKUlT_T0_E_clISt17integral_constantIbLb0EES12_IbLb1EEEEDaSY_SZ_EUlSY_E_NS1_11comp_targetILNS1_3genE3ELNS1_11target_archE908ELNS1_3gpuE7ELNS1_3repE0EEENS1_30default_config_static_selectorELNS0_4arch9wavefront6targetE0EEEvT1_: ; @_ZN7rocprim17ROCPRIM_400000_NS6detail17trampoline_kernelINS0_14default_configENS1_29reduce_by_key_config_selectorItjN6thrust23THRUST_200600_302600_NS4plusIjEEEEZZNS1_33reduce_by_key_impl_wrapped_configILNS1_25lookback_scan_determinismE0ES3_S9_NS6_6detail15normal_iteratorINS6_10device_ptrItEEEENSD_INSE_IjEEEESG_SI_PmS8_NS6_8equal_toItEEEE10hipError_tPvRmT2_T3_mT4_T5_T6_T7_T8_P12ihipStream_tbENKUlT_T0_E_clISt17integral_constantIbLb0EES12_IbLb1EEEEDaSY_SZ_EUlSY_E_NS1_11comp_targetILNS1_3genE3ELNS1_11target_archE908ELNS1_3gpuE7ELNS1_3repE0EEENS1_30default_config_static_selectorELNS0_4arch9wavefront6targetE0EEEvT1_
; %bb.0:
	.section	.rodata,"a",@progbits
	.p2align	6, 0x0
	.amdhsa_kernel _ZN7rocprim17ROCPRIM_400000_NS6detail17trampoline_kernelINS0_14default_configENS1_29reduce_by_key_config_selectorItjN6thrust23THRUST_200600_302600_NS4plusIjEEEEZZNS1_33reduce_by_key_impl_wrapped_configILNS1_25lookback_scan_determinismE0ES3_S9_NS6_6detail15normal_iteratorINS6_10device_ptrItEEEENSD_INSE_IjEEEESG_SI_PmS8_NS6_8equal_toItEEEE10hipError_tPvRmT2_T3_mT4_T5_T6_T7_T8_P12ihipStream_tbENKUlT_T0_E_clISt17integral_constantIbLb0EES12_IbLb1EEEEDaSY_SZ_EUlSY_E_NS1_11comp_targetILNS1_3genE3ELNS1_11target_archE908ELNS1_3gpuE7ELNS1_3repE0EEENS1_30default_config_static_selectorELNS0_4arch9wavefront6targetE0EEEvT1_
		.amdhsa_group_segment_fixed_size 0
		.amdhsa_private_segment_fixed_size 0
		.amdhsa_kernarg_size 120
		.amdhsa_user_sgpr_count 15
		.amdhsa_user_sgpr_dispatch_ptr 0
		.amdhsa_user_sgpr_queue_ptr 0
		.amdhsa_user_sgpr_kernarg_segment_ptr 1
		.amdhsa_user_sgpr_dispatch_id 0
		.amdhsa_user_sgpr_private_segment_size 0
		.amdhsa_wavefront_size32 1
		.amdhsa_uses_dynamic_stack 0
		.amdhsa_enable_private_segment 0
		.amdhsa_system_sgpr_workgroup_id_x 1
		.amdhsa_system_sgpr_workgroup_id_y 0
		.amdhsa_system_sgpr_workgroup_id_z 0
		.amdhsa_system_sgpr_workgroup_info 0
		.amdhsa_system_vgpr_workitem_id 0
		.amdhsa_next_free_vgpr 1
		.amdhsa_next_free_sgpr 1
		.amdhsa_reserve_vcc 0
		.amdhsa_float_round_mode_32 0
		.amdhsa_float_round_mode_16_64 0
		.amdhsa_float_denorm_mode_32 3
		.amdhsa_float_denorm_mode_16_64 3
		.amdhsa_dx10_clamp 1
		.amdhsa_ieee_mode 1
		.amdhsa_fp16_overflow 0
		.amdhsa_workgroup_processor_mode 1
		.amdhsa_memory_ordered 1
		.amdhsa_forward_progress 0
		.amdhsa_shared_vgpr_count 0
		.amdhsa_exception_fp_ieee_invalid_op 0
		.amdhsa_exception_fp_denorm_src 0
		.amdhsa_exception_fp_ieee_div_zero 0
		.amdhsa_exception_fp_ieee_overflow 0
		.amdhsa_exception_fp_ieee_underflow 0
		.amdhsa_exception_fp_ieee_inexact 0
		.amdhsa_exception_int_div_zero 0
	.end_amdhsa_kernel
	.section	.text._ZN7rocprim17ROCPRIM_400000_NS6detail17trampoline_kernelINS0_14default_configENS1_29reduce_by_key_config_selectorItjN6thrust23THRUST_200600_302600_NS4plusIjEEEEZZNS1_33reduce_by_key_impl_wrapped_configILNS1_25lookback_scan_determinismE0ES3_S9_NS6_6detail15normal_iteratorINS6_10device_ptrItEEEENSD_INSE_IjEEEESG_SI_PmS8_NS6_8equal_toItEEEE10hipError_tPvRmT2_T3_mT4_T5_T6_T7_T8_P12ihipStream_tbENKUlT_T0_E_clISt17integral_constantIbLb0EES12_IbLb1EEEEDaSY_SZ_EUlSY_E_NS1_11comp_targetILNS1_3genE3ELNS1_11target_archE908ELNS1_3gpuE7ELNS1_3repE0EEENS1_30default_config_static_selectorELNS0_4arch9wavefront6targetE0EEEvT1_,"axG",@progbits,_ZN7rocprim17ROCPRIM_400000_NS6detail17trampoline_kernelINS0_14default_configENS1_29reduce_by_key_config_selectorItjN6thrust23THRUST_200600_302600_NS4plusIjEEEEZZNS1_33reduce_by_key_impl_wrapped_configILNS1_25lookback_scan_determinismE0ES3_S9_NS6_6detail15normal_iteratorINS6_10device_ptrItEEEENSD_INSE_IjEEEESG_SI_PmS8_NS6_8equal_toItEEEE10hipError_tPvRmT2_T3_mT4_T5_T6_T7_T8_P12ihipStream_tbENKUlT_T0_E_clISt17integral_constantIbLb0EES12_IbLb1EEEEDaSY_SZ_EUlSY_E_NS1_11comp_targetILNS1_3genE3ELNS1_11target_archE908ELNS1_3gpuE7ELNS1_3repE0EEENS1_30default_config_static_selectorELNS0_4arch9wavefront6targetE0EEEvT1_,comdat
.Lfunc_end763:
	.size	_ZN7rocprim17ROCPRIM_400000_NS6detail17trampoline_kernelINS0_14default_configENS1_29reduce_by_key_config_selectorItjN6thrust23THRUST_200600_302600_NS4plusIjEEEEZZNS1_33reduce_by_key_impl_wrapped_configILNS1_25lookback_scan_determinismE0ES3_S9_NS6_6detail15normal_iteratorINS6_10device_ptrItEEEENSD_INSE_IjEEEESG_SI_PmS8_NS6_8equal_toItEEEE10hipError_tPvRmT2_T3_mT4_T5_T6_T7_T8_P12ihipStream_tbENKUlT_T0_E_clISt17integral_constantIbLb0EES12_IbLb1EEEEDaSY_SZ_EUlSY_E_NS1_11comp_targetILNS1_3genE3ELNS1_11target_archE908ELNS1_3gpuE7ELNS1_3repE0EEENS1_30default_config_static_selectorELNS0_4arch9wavefront6targetE0EEEvT1_, .Lfunc_end763-_ZN7rocprim17ROCPRIM_400000_NS6detail17trampoline_kernelINS0_14default_configENS1_29reduce_by_key_config_selectorItjN6thrust23THRUST_200600_302600_NS4plusIjEEEEZZNS1_33reduce_by_key_impl_wrapped_configILNS1_25lookback_scan_determinismE0ES3_S9_NS6_6detail15normal_iteratorINS6_10device_ptrItEEEENSD_INSE_IjEEEESG_SI_PmS8_NS6_8equal_toItEEEE10hipError_tPvRmT2_T3_mT4_T5_T6_T7_T8_P12ihipStream_tbENKUlT_T0_E_clISt17integral_constantIbLb0EES12_IbLb1EEEEDaSY_SZ_EUlSY_E_NS1_11comp_targetILNS1_3genE3ELNS1_11target_archE908ELNS1_3gpuE7ELNS1_3repE0EEENS1_30default_config_static_selectorELNS0_4arch9wavefront6targetE0EEEvT1_
                                        ; -- End function
	.section	.AMDGPU.csdata,"",@progbits
; Kernel info:
; codeLenInByte = 0
; NumSgprs: 0
; NumVgprs: 0
; ScratchSize: 0
; MemoryBound: 0
; FloatMode: 240
; IeeeMode: 1
; LDSByteSize: 0 bytes/workgroup (compile time only)
; SGPRBlocks: 0
; VGPRBlocks: 0
; NumSGPRsForWavesPerEU: 1
; NumVGPRsForWavesPerEU: 1
; Occupancy: 16
; WaveLimiterHint : 0
; COMPUTE_PGM_RSRC2:SCRATCH_EN: 0
; COMPUTE_PGM_RSRC2:USER_SGPR: 15
; COMPUTE_PGM_RSRC2:TRAP_HANDLER: 0
; COMPUTE_PGM_RSRC2:TGID_X_EN: 1
; COMPUTE_PGM_RSRC2:TGID_Y_EN: 0
; COMPUTE_PGM_RSRC2:TGID_Z_EN: 0
; COMPUTE_PGM_RSRC2:TIDIG_COMP_CNT: 0
	.section	.text._ZN7rocprim17ROCPRIM_400000_NS6detail17trampoline_kernelINS0_14default_configENS1_29reduce_by_key_config_selectorItjN6thrust23THRUST_200600_302600_NS4plusIjEEEEZZNS1_33reduce_by_key_impl_wrapped_configILNS1_25lookback_scan_determinismE0ES3_S9_NS6_6detail15normal_iteratorINS6_10device_ptrItEEEENSD_INSE_IjEEEESG_SI_PmS8_NS6_8equal_toItEEEE10hipError_tPvRmT2_T3_mT4_T5_T6_T7_T8_P12ihipStream_tbENKUlT_T0_E_clISt17integral_constantIbLb0EES12_IbLb1EEEEDaSY_SZ_EUlSY_E_NS1_11comp_targetILNS1_3genE2ELNS1_11target_archE906ELNS1_3gpuE6ELNS1_3repE0EEENS1_30default_config_static_selectorELNS0_4arch9wavefront6targetE0EEEvT1_,"axG",@progbits,_ZN7rocprim17ROCPRIM_400000_NS6detail17trampoline_kernelINS0_14default_configENS1_29reduce_by_key_config_selectorItjN6thrust23THRUST_200600_302600_NS4plusIjEEEEZZNS1_33reduce_by_key_impl_wrapped_configILNS1_25lookback_scan_determinismE0ES3_S9_NS6_6detail15normal_iteratorINS6_10device_ptrItEEEENSD_INSE_IjEEEESG_SI_PmS8_NS6_8equal_toItEEEE10hipError_tPvRmT2_T3_mT4_T5_T6_T7_T8_P12ihipStream_tbENKUlT_T0_E_clISt17integral_constantIbLb0EES12_IbLb1EEEEDaSY_SZ_EUlSY_E_NS1_11comp_targetILNS1_3genE2ELNS1_11target_archE906ELNS1_3gpuE6ELNS1_3repE0EEENS1_30default_config_static_selectorELNS0_4arch9wavefront6targetE0EEEvT1_,comdat
	.protected	_ZN7rocprim17ROCPRIM_400000_NS6detail17trampoline_kernelINS0_14default_configENS1_29reduce_by_key_config_selectorItjN6thrust23THRUST_200600_302600_NS4plusIjEEEEZZNS1_33reduce_by_key_impl_wrapped_configILNS1_25lookback_scan_determinismE0ES3_S9_NS6_6detail15normal_iteratorINS6_10device_ptrItEEEENSD_INSE_IjEEEESG_SI_PmS8_NS6_8equal_toItEEEE10hipError_tPvRmT2_T3_mT4_T5_T6_T7_T8_P12ihipStream_tbENKUlT_T0_E_clISt17integral_constantIbLb0EES12_IbLb1EEEEDaSY_SZ_EUlSY_E_NS1_11comp_targetILNS1_3genE2ELNS1_11target_archE906ELNS1_3gpuE6ELNS1_3repE0EEENS1_30default_config_static_selectorELNS0_4arch9wavefront6targetE0EEEvT1_ ; -- Begin function _ZN7rocprim17ROCPRIM_400000_NS6detail17trampoline_kernelINS0_14default_configENS1_29reduce_by_key_config_selectorItjN6thrust23THRUST_200600_302600_NS4plusIjEEEEZZNS1_33reduce_by_key_impl_wrapped_configILNS1_25lookback_scan_determinismE0ES3_S9_NS6_6detail15normal_iteratorINS6_10device_ptrItEEEENSD_INSE_IjEEEESG_SI_PmS8_NS6_8equal_toItEEEE10hipError_tPvRmT2_T3_mT4_T5_T6_T7_T8_P12ihipStream_tbENKUlT_T0_E_clISt17integral_constantIbLb0EES12_IbLb1EEEEDaSY_SZ_EUlSY_E_NS1_11comp_targetILNS1_3genE2ELNS1_11target_archE906ELNS1_3gpuE6ELNS1_3repE0EEENS1_30default_config_static_selectorELNS0_4arch9wavefront6targetE0EEEvT1_
	.globl	_ZN7rocprim17ROCPRIM_400000_NS6detail17trampoline_kernelINS0_14default_configENS1_29reduce_by_key_config_selectorItjN6thrust23THRUST_200600_302600_NS4plusIjEEEEZZNS1_33reduce_by_key_impl_wrapped_configILNS1_25lookback_scan_determinismE0ES3_S9_NS6_6detail15normal_iteratorINS6_10device_ptrItEEEENSD_INSE_IjEEEESG_SI_PmS8_NS6_8equal_toItEEEE10hipError_tPvRmT2_T3_mT4_T5_T6_T7_T8_P12ihipStream_tbENKUlT_T0_E_clISt17integral_constantIbLb0EES12_IbLb1EEEEDaSY_SZ_EUlSY_E_NS1_11comp_targetILNS1_3genE2ELNS1_11target_archE906ELNS1_3gpuE6ELNS1_3repE0EEENS1_30default_config_static_selectorELNS0_4arch9wavefront6targetE0EEEvT1_
	.p2align	8
	.type	_ZN7rocprim17ROCPRIM_400000_NS6detail17trampoline_kernelINS0_14default_configENS1_29reduce_by_key_config_selectorItjN6thrust23THRUST_200600_302600_NS4plusIjEEEEZZNS1_33reduce_by_key_impl_wrapped_configILNS1_25lookback_scan_determinismE0ES3_S9_NS6_6detail15normal_iteratorINS6_10device_ptrItEEEENSD_INSE_IjEEEESG_SI_PmS8_NS6_8equal_toItEEEE10hipError_tPvRmT2_T3_mT4_T5_T6_T7_T8_P12ihipStream_tbENKUlT_T0_E_clISt17integral_constantIbLb0EES12_IbLb1EEEEDaSY_SZ_EUlSY_E_NS1_11comp_targetILNS1_3genE2ELNS1_11target_archE906ELNS1_3gpuE6ELNS1_3repE0EEENS1_30default_config_static_selectorELNS0_4arch9wavefront6targetE0EEEvT1_,@function
_ZN7rocprim17ROCPRIM_400000_NS6detail17trampoline_kernelINS0_14default_configENS1_29reduce_by_key_config_selectorItjN6thrust23THRUST_200600_302600_NS4plusIjEEEEZZNS1_33reduce_by_key_impl_wrapped_configILNS1_25lookback_scan_determinismE0ES3_S9_NS6_6detail15normal_iteratorINS6_10device_ptrItEEEENSD_INSE_IjEEEESG_SI_PmS8_NS6_8equal_toItEEEE10hipError_tPvRmT2_T3_mT4_T5_T6_T7_T8_P12ihipStream_tbENKUlT_T0_E_clISt17integral_constantIbLb0EES12_IbLb1EEEEDaSY_SZ_EUlSY_E_NS1_11comp_targetILNS1_3genE2ELNS1_11target_archE906ELNS1_3gpuE6ELNS1_3repE0EEENS1_30default_config_static_selectorELNS0_4arch9wavefront6targetE0EEEvT1_: ; @_ZN7rocprim17ROCPRIM_400000_NS6detail17trampoline_kernelINS0_14default_configENS1_29reduce_by_key_config_selectorItjN6thrust23THRUST_200600_302600_NS4plusIjEEEEZZNS1_33reduce_by_key_impl_wrapped_configILNS1_25lookback_scan_determinismE0ES3_S9_NS6_6detail15normal_iteratorINS6_10device_ptrItEEEENSD_INSE_IjEEEESG_SI_PmS8_NS6_8equal_toItEEEE10hipError_tPvRmT2_T3_mT4_T5_T6_T7_T8_P12ihipStream_tbENKUlT_T0_E_clISt17integral_constantIbLb0EES12_IbLb1EEEEDaSY_SZ_EUlSY_E_NS1_11comp_targetILNS1_3genE2ELNS1_11target_archE906ELNS1_3gpuE6ELNS1_3repE0EEENS1_30default_config_static_selectorELNS0_4arch9wavefront6targetE0EEEvT1_
; %bb.0:
	.section	.rodata,"a",@progbits
	.p2align	6, 0x0
	.amdhsa_kernel _ZN7rocprim17ROCPRIM_400000_NS6detail17trampoline_kernelINS0_14default_configENS1_29reduce_by_key_config_selectorItjN6thrust23THRUST_200600_302600_NS4plusIjEEEEZZNS1_33reduce_by_key_impl_wrapped_configILNS1_25lookback_scan_determinismE0ES3_S9_NS6_6detail15normal_iteratorINS6_10device_ptrItEEEENSD_INSE_IjEEEESG_SI_PmS8_NS6_8equal_toItEEEE10hipError_tPvRmT2_T3_mT4_T5_T6_T7_T8_P12ihipStream_tbENKUlT_T0_E_clISt17integral_constantIbLb0EES12_IbLb1EEEEDaSY_SZ_EUlSY_E_NS1_11comp_targetILNS1_3genE2ELNS1_11target_archE906ELNS1_3gpuE6ELNS1_3repE0EEENS1_30default_config_static_selectorELNS0_4arch9wavefront6targetE0EEEvT1_
		.amdhsa_group_segment_fixed_size 0
		.amdhsa_private_segment_fixed_size 0
		.amdhsa_kernarg_size 120
		.amdhsa_user_sgpr_count 15
		.amdhsa_user_sgpr_dispatch_ptr 0
		.amdhsa_user_sgpr_queue_ptr 0
		.amdhsa_user_sgpr_kernarg_segment_ptr 1
		.amdhsa_user_sgpr_dispatch_id 0
		.amdhsa_user_sgpr_private_segment_size 0
		.amdhsa_wavefront_size32 1
		.amdhsa_uses_dynamic_stack 0
		.amdhsa_enable_private_segment 0
		.amdhsa_system_sgpr_workgroup_id_x 1
		.amdhsa_system_sgpr_workgroup_id_y 0
		.amdhsa_system_sgpr_workgroup_id_z 0
		.amdhsa_system_sgpr_workgroup_info 0
		.amdhsa_system_vgpr_workitem_id 0
		.amdhsa_next_free_vgpr 1
		.amdhsa_next_free_sgpr 1
		.amdhsa_reserve_vcc 0
		.amdhsa_float_round_mode_32 0
		.amdhsa_float_round_mode_16_64 0
		.amdhsa_float_denorm_mode_32 3
		.amdhsa_float_denorm_mode_16_64 3
		.amdhsa_dx10_clamp 1
		.amdhsa_ieee_mode 1
		.amdhsa_fp16_overflow 0
		.amdhsa_workgroup_processor_mode 1
		.amdhsa_memory_ordered 1
		.amdhsa_forward_progress 0
		.amdhsa_shared_vgpr_count 0
		.amdhsa_exception_fp_ieee_invalid_op 0
		.amdhsa_exception_fp_denorm_src 0
		.amdhsa_exception_fp_ieee_div_zero 0
		.amdhsa_exception_fp_ieee_overflow 0
		.amdhsa_exception_fp_ieee_underflow 0
		.amdhsa_exception_fp_ieee_inexact 0
		.amdhsa_exception_int_div_zero 0
	.end_amdhsa_kernel
	.section	.text._ZN7rocprim17ROCPRIM_400000_NS6detail17trampoline_kernelINS0_14default_configENS1_29reduce_by_key_config_selectorItjN6thrust23THRUST_200600_302600_NS4plusIjEEEEZZNS1_33reduce_by_key_impl_wrapped_configILNS1_25lookback_scan_determinismE0ES3_S9_NS6_6detail15normal_iteratorINS6_10device_ptrItEEEENSD_INSE_IjEEEESG_SI_PmS8_NS6_8equal_toItEEEE10hipError_tPvRmT2_T3_mT4_T5_T6_T7_T8_P12ihipStream_tbENKUlT_T0_E_clISt17integral_constantIbLb0EES12_IbLb1EEEEDaSY_SZ_EUlSY_E_NS1_11comp_targetILNS1_3genE2ELNS1_11target_archE906ELNS1_3gpuE6ELNS1_3repE0EEENS1_30default_config_static_selectorELNS0_4arch9wavefront6targetE0EEEvT1_,"axG",@progbits,_ZN7rocprim17ROCPRIM_400000_NS6detail17trampoline_kernelINS0_14default_configENS1_29reduce_by_key_config_selectorItjN6thrust23THRUST_200600_302600_NS4plusIjEEEEZZNS1_33reduce_by_key_impl_wrapped_configILNS1_25lookback_scan_determinismE0ES3_S9_NS6_6detail15normal_iteratorINS6_10device_ptrItEEEENSD_INSE_IjEEEESG_SI_PmS8_NS6_8equal_toItEEEE10hipError_tPvRmT2_T3_mT4_T5_T6_T7_T8_P12ihipStream_tbENKUlT_T0_E_clISt17integral_constantIbLb0EES12_IbLb1EEEEDaSY_SZ_EUlSY_E_NS1_11comp_targetILNS1_3genE2ELNS1_11target_archE906ELNS1_3gpuE6ELNS1_3repE0EEENS1_30default_config_static_selectorELNS0_4arch9wavefront6targetE0EEEvT1_,comdat
.Lfunc_end764:
	.size	_ZN7rocprim17ROCPRIM_400000_NS6detail17trampoline_kernelINS0_14default_configENS1_29reduce_by_key_config_selectorItjN6thrust23THRUST_200600_302600_NS4plusIjEEEEZZNS1_33reduce_by_key_impl_wrapped_configILNS1_25lookback_scan_determinismE0ES3_S9_NS6_6detail15normal_iteratorINS6_10device_ptrItEEEENSD_INSE_IjEEEESG_SI_PmS8_NS6_8equal_toItEEEE10hipError_tPvRmT2_T3_mT4_T5_T6_T7_T8_P12ihipStream_tbENKUlT_T0_E_clISt17integral_constantIbLb0EES12_IbLb1EEEEDaSY_SZ_EUlSY_E_NS1_11comp_targetILNS1_3genE2ELNS1_11target_archE906ELNS1_3gpuE6ELNS1_3repE0EEENS1_30default_config_static_selectorELNS0_4arch9wavefront6targetE0EEEvT1_, .Lfunc_end764-_ZN7rocprim17ROCPRIM_400000_NS6detail17trampoline_kernelINS0_14default_configENS1_29reduce_by_key_config_selectorItjN6thrust23THRUST_200600_302600_NS4plusIjEEEEZZNS1_33reduce_by_key_impl_wrapped_configILNS1_25lookback_scan_determinismE0ES3_S9_NS6_6detail15normal_iteratorINS6_10device_ptrItEEEENSD_INSE_IjEEEESG_SI_PmS8_NS6_8equal_toItEEEE10hipError_tPvRmT2_T3_mT4_T5_T6_T7_T8_P12ihipStream_tbENKUlT_T0_E_clISt17integral_constantIbLb0EES12_IbLb1EEEEDaSY_SZ_EUlSY_E_NS1_11comp_targetILNS1_3genE2ELNS1_11target_archE906ELNS1_3gpuE6ELNS1_3repE0EEENS1_30default_config_static_selectorELNS0_4arch9wavefront6targetE0EEEvT1_
                                        ; -- End function
	.section	.AMDGPU.csdata,"",@progbits
; Kernel info:
; codeLenInByte = 0
; NumSgprs: 0
; NumVgprs: 0
; ScratchSize: 0
; MemoryBound: 0
; FloatMode: 240
; IeeeMode: 1
; LDSByteSize: 0 bytes/workgroup (compile time only)
; SGPRBlocks: 0
; VGPRBlocks: 0
; NumSGPRsForWavesPerEU: 1
; NumVGPRsForWavesPerEU: 1
; Occupancy: 16
; WaveLimiterHint : 0
; COMPUTE_PGM_RSRC2:SCRATCH_EN: 0
; COMPUTE_PGM_RSRC2:USER_SGPR: 15
; COMPUTE_PGM_RSRC2:TRAP_HANDLER: 0
; COMPUTE_PGM_RSRC2:TGID_X_EN: 1
; COMPUTE_PGM_RSRC2:TGID_Y_EN: 0
; COMPUTE_PGM_RSRC2:TGID_Z_EN: 0
; COMPUTE_PGM_RSRC2:TIDIG_COMP_CNT: 0
	.section	.text._ZN7rocprim17ROCPRIM_400000_NS6detail17trampoline_kernelINS0_14default_configENS1_29reduce_by_key_config_selectorItjN6thrust23THRUST_200600_302600_NS4plusIjEEEEZZNS1_33reduce_by_key_impl_wrapped_configILNS1_25lookback_scan_determinismE0ES3_S9_NS6_6detail15normal_iteratorINS6_10device_ptrItEEEENSD_INSE_IjEEEESG_SI_PmS8_NS6_8equal_toItEEEE10hipError_tPvRmT2_T3_mT4_T5_T6_T7_T8_P12ihipStream_tbENKUlT_T0_E_clISt17integral_constantIbLb0EES12_IbLb1EEEEDaSY_SZ_EUlSY_E_NS1_11comp_targetILNS1_3genE10ELNS1_11target_archE1201ELNS1_3gpuE5ELNS1_3repE0EEENS1_30default_config_static_selectorELNS0_4arch9wavefront6targetE0EEEvT1_,"axG",@progbits,_ZN7rocprim17ROCPRIM_400000_NS6detail17trampoline_kernelINS0_14default_configENS1_29reduce_by_key_config_selectorItjN6thrust23THRUST_200600_302600_NS4plusIjEEEEZZNS1_33reduce_by_key_impl_wrapped_configILNS1_25lookback_scan_determinismE0ES3_S9_NS6_6detail15normal_iteratorINS6_10device_ptrItEEEENSD_INSE_IjEEEESG_SI_PmS8_NS6_8equal_toItEEEE10hipError_tPvRmT2_T3_mT4_T5_T6_T7_T8_P12ihipStream_tbENKUlT_T0_E_clISt17integral_constantIbLb0EES12_IbLb1EEEEDaSY_SZ_EUlSY_E_NS1_11comp_targetILNS1_3genE10ELNS1_11target_archE1201ELNS1_3gpuE5ELNS1_3repE0EEENS1_30default_config_static_selectorELNS0_4arch9wavefront6targetE0EEEvT1_,comdat
	.protected	_ZN7rocprim17ROCPRIM_400000_NS6detail17trampoline_kernelINS0_14default_configENS1_29reduce_by_key_config_selectorItjN6thrust23THRUST_200600_302600_NS4plusIjEEEEZZNS1_33reduce_by_key_impl_wrapped_configILNS1_25lookback_scan_determinismE0ES3_S9_NS6_6detail15normal_iteratorINS6_10device_ptrItEEEENSD_INSE_IjEEEESG_SI_PmS8_NS6_8equal_toItEEEE10hipError_tPvRmT2_T3_mT4_T5_T6_T7_T8_P12ihipStream_tbENKUlT_T0_E_clISt17integral_constantIbLb0EES12_IbLb1EEEEDaSY_SZ_EUlSY_E_NS1_11comp_targetILNS1_3genE10ELNS1_11target_archE1201ELNS1_3gpuE5ELNS1_3repE0EEENS1_30default_config_static_selectorELNS0_4arch9wavefront6targetE0EEEvT1_ ; -- Begin function _ZN7rocprim17ROCPRIM_400000_NS6detail17trampoline_kernelINS0_14default_configENS1_29reduce_by_key_config_selectorItjN6thrust23THRUST_200600_302600_NS4plusIjEEEEZZNS1_33reduce_by_key_impl_wrapped_configILNS1_25lookback_scan_determinismE0ES3_S9_NS6_6detail15normal_iteratorINS6_10device_ptrItEEEENSD_INSE_IjEEEESG_SI_PmS8_NS6_8equal_toItEEEE10hipError_tPvRmT2_T3_mT4_T5_T6_T7_T8_P12ihipStream_tbENKUlT_T0_E_clISt17integral_constantIbLb0EES12_IbLb1EEEEDaSY_SZ_EUlSY_E_NS1_11comp_targetILNS1_3genE10ELNS1_11target_archE1201ELNS1_3gpuE5ELNS1_3repE0EEENS1_30default_config_static_selectorELNS0_4arch9wavefront6targetE0EEEvT1_
	.globl	_ZN7rocprim17ROCPRIM_400000_NS6detail17trampoline_kernelINS0_14default_configENS1_29reduce_by_key_config_selectorItjN6thrust23THRUST_200600_302600_NS4plusIjEEEEZZNS1_33reduce_by_key_impl_wrapped_configILNS1_25lookback_scan_determinismE0ES3_S9_NS6_6detail15normal_iteratorINS6_10device_ptrItEEEENSD_INSE_IjEEEESG_SI_PmS8_NS6_8equal_toItEEEE10hipError_tPvRmT2_T3_mT4_T5_T6_T7_T8_P12ihipStream_tbENKUlT_T0_E_clISt17integral_constantIbLb0EES12_IbLb1EEEEDaSY_SZ_EUlSY_E_NS1_11comp_targetILNS1_3genE10ELNS1_11target_archE1201ELNS1_3gpuE5ELNS1_3repE0EEENS1_30default_config_static_selectorELNS0_4arch9wavefront6targetE0EEEvT1_
	.p2align	8
	.type	_ZN7rocprim17ROCPRIM_400000_NS6detail17trampoline_kernelINS0_14default_configENS1_29reduce_by_key_config_selectorItjN6thrust23THRUST_200600_302600_NS4plusIjEEEEZZNS1_33reduce_by_key_impl_wrapped_configILNS1_25lookback_scan_determinismE0ES3_S9_NS6_6detail15normal_iteratorINS6_10device_ptrItEEEENSD_INSE_IjEEEESG_SI_PmS8_NS6_8equal_toItEEEE10hipError_tPvRmT2_T3_mT4_T5_T6_T7_T8_P12ihipStream_tbENKUlT_T0_E_clISt17integral_constantIbLb0EES12_IbLb1EEEEDaSY_SZ_EUlSY_E_NS1_11comp_targetILNS1_3genE10ELNS1_11target_archE1201ELNS1_3gpuE5ELNS1_3repE0EEENS1_30default_config_static_selectorELNS0_4arch9wavefront6targetE0EEEvT1_,@function
_ZN7rocprim17ROCPRIM_400000_NS6detail17trampoline_kernelINS0_14default_configENS1_29reduce_by_key_config_selectorItjN6thrust23THRUST_200600_302600_NS4plusIjEEEEZZNS1_33reduce_by_key_impl_wrapped_configILNS1_25lookback_scan_determinismE0ES3_S9_NS6_6detail15normal_iteratorINS6_10device_ptrItEEEENSD_INSE_IjEEEESG_SI_PmS8_NS6_8equal_toItEEEE10hipError_tPvRmT2_T3_mT4_T5_T6_T7_T8_P12ihipStream_tbENKUlT_T0_E_clISt17integral_constantIbLb0EES12_IbLb1EEEEDaSY_SZ_EUlSY_E_NS1_11comp_targetILNS1_3genE10ELNS1_11target_archE1201ELNS1_3gpuE5ELNS1_3repE0EEENS1_30default_config_static_selectorELNS0_4arch9wavefront6targetE0EEEvT1_: ; @_ZN7rocprim17ROCPRIM_400000_NS6detail17trampoline_kernelINS0_14default_configENS1_29reduce_by_key_config_selectorItjN6thrust23THRUST_200600_302600_NS4plusIjEEEEZZNS1_33reduce_by_key_impl_wrapped_configILNS1_25lookback_scan_determinismE0ES3_S9_NS6_6detail15normal_iteratorINS6_10device_ptrItEEEENSD_INSE_IjEEEESG_SI_PmS8_NS6_8equal_toItEEEE10hipError_tPvRmT2_T3_mT4_T5_T6_T7_T8_P12ihipStream_tbENKUlT_T0_E_clISt17integral_constantIbLb0EES12_IbLb1EEEEDaSY_SZ_EUlSY_E_NS1_11comp_targetILNS1_3genE10ELNS1_11target_archE1201ELNS1_3gpuE5ELNS1_3repE0EEENS1_30default_config_static_selectorELNS0_4arch9wavefront6targetE0EEEvT1_
; %bb.0:
	.section	.rodata,"a",@progbits
	.p2align	6, 0x0
	.amdhsa_kernel _ZN7rocprim17ROCPRIM_400000_NS6detail17trampoline_kernelINS0_14default_configENS1_29reduce_by_key_config_selectorItjN6thrust23THRUST_200600_302600_NS4plusIjEEEEZZNS1_33reduce_by_key_impl_wrapped_configILNS1_25lookback_scan_determinismE0ES3_S9_NS6_6detail15normal_iteratorINS6_10device_ptrItEEEENSD_INSE_IjEEEESG_SI_PmS8_NS6_8equal_toItEEEE10hipError_tPvRmT2_T3_mT4_T5_T6_T7_T8_P12ihipStream_tbENKUlT_T0_E_clISt17integral_constantIbLb0EES12_IbLb1EEEEDaSY_SZ_EUlSY_E_NS1_11comp_targetILNS1_3genE10ELNS1_11target_archE1201ELNS1_3gpuE5ELNS1_3repE0EEENS1_30default_config_static_selectorELNS0_4arch9wavefront6targetE0EEEvT1_
		.amdhsa_group_segment_fixed_size 0
		.amdhsa_private_segment_fixed_size 0
		.amdhsa_kernarg_size 120
		.amdhsa_user_sgpr_count 15
		.amdhsa_user_sgpr_dispatch_ptr 0
		.amdhsa_user_sgpr_queue_ptr 0
		.amdhsa_user_sgpr_kernarg_segment_ptr 1
		.amdhsa_user_sgpr_dispatch_id 0
		.amdhsa_user_sgpr_private_segment_size 0
		.amdhsa_wavefront_size32 1
		.amdhsa_uses_dynamic_stack 0
		.amdhsa_enable_private_segment 0
		.amdhsa_system_sgpr_workgroup_id_x 1
		.amdhsa_system_sgpr_workgroup_id_y 0
		.amdhsa_system_sgpr_workgroup_id_z 0
		.amdhsa_system_sgpr_workgroup_info 0
		.amdhsa_system_vgpr_workitem_id 0
		.amdhsa_next_free_vgpr 1
		.amdhsa_next_free_sgpr 1
		.amdhsa_reserve_vcc 0
		.amdhsa_float_round_mode_32 0
		.amdhsa_float_round_mode_16_64 0
		.amdhsa_float_denorm_mode_32 3
		.amdhsa_float_denorm_mode_16_64 3
		.amdhsa_dx10_clamp 1
		.amdhsa_ieee_mode 1
		.amdhsa_fp16_overflow 0
		.amdhsa_workgroup_processor_mode 1
		.amdhsa_memory_ordered 1
		.amdhsa_forward_progress 0
		.amdhsa_shared_vgpr_count 0
		.amdhsa_exception_fp_ieee_invalid_op 0
		.amdhsa_exception_fp_denorm_src 0
		.amdhsa_exception_fp_ieee_div_zero 0
		.amdhsa_exception_fp_ieee_overflow 0
		.amdhsa_exception_fp_ieee_underflow 0
		.amdhsa_exception_fp_ieee_inexact 0
		.amdhsa_exception_int_div_zero 0
	.end_amdhsa_kernel
	.section	.text._ZN7rocprim17ROCPRIM_400000_NS6detail17trampoline_kernelINS0_14default_configENS1_29reduce_by_key_config_selectorItjN6thrust23THRUST_200600_302600_NS4plusIjEEEEZZNS1_33reduce_by_key_impl_wrapped_configILNS1_25lookback_scan_determinismE0ES3_S9_NS6_6detail15normal_iteratorINS6_10device_ptrItEEEENSD_INSE_IjEEEESG_SI_PmS8_NS6_8equal_toItEEEE10hipError_tPvRmT2_T3_mT4_T5_T6_T7_T8_P12ihipStream_tbENKUlT_T0_E_clISt17integral_constantIbLb0EES12_IbLb1EEEEDaSY_SZ_EUlSY_E_NS1_11comp_targetILNS1_3genE10ELNS1_11target_archE1201ELNS1_3gpuE5ELNS1_3repE0EEENS1_30default_config_static_selectorELNS0_4arch9wavefront6targetE0EEEvT1_,"axG",@progbits,_ZN7rocprim17ROCPRIM_400000_NS6detail17trampoline_kernelINS0_14default_configENS1_29reduce_by_key_config_selectorItjN6thrust23THRUST_200600_302600_NS4plusIjEEEEZZNS1_33reduce_by_key_impl_wrapped_configILNS1_25lookback_scan_determinismE0ES3_S9_NS6_6detail15normal_iteratorINS6_10device_ptrItEEEENSD_INSE_IjEEEESG_SI_PmS8_NS6_8equal_toItEEEE10hipError_tPvRmT2_T3_mT4_T5_T6_T7_T8_P12ihipStream_tbENKUlT_T0_E_clISt17integral_constantIbLb0EES12_IbLb1EEEEDaSY_SZ_EUlSY_E_NS1_11comp_targetILNS1_3genE10ELNS1_11target_archE1201ELNS1_3gpuE5ELNS1_3repE0EEENS1_30default_config_static_selectorELNS0_4arch9wavefront6targetE0EEEvT1_,comdat
.Lfunc_end765:
	.size	_ZN7rocprim17ROCPRIM_400000_NS6detail17trampoline_kernelINS0_14default_configENS1_29reduce_by_key_config_selectorItjN6thrust23THRUST_200600_302600_NS4plusIjEEEEZZNS1_33reduce_by_key_impl_wrapped_configILNS1_25lookback_scan_determinismE0ES3_S9_NS6_6detail15normal_iteratorINS6_10device_ptrItEEEENSD_INSE_IjEEEESG_SI_PmS8_NS6_8equal_toItEEEE10hipError_tPvRmT2_T3_mT4_T5_T6_T7_T8_P12ihipStream_tbENKUlT_T0_E_clISt17integral_constantIbLb0EES12_IbLb1EEEEDaSY_SZ_EUlSY_E_NS1_11comp_targetILNS1_3genE10ELNS1_11target_archE1201ELNS1_3gpuE5ELNS1_3repE0EEENS1_30default_config_static_selectorELNS0_4arch9wavefront6targetE0EEEvT1_, .Lfunc_end765-_ZN7rocprim17ROCPRIM_400000_NS6detail17trampoline_kernelINS0_14default_configENS1_29reduce_by_key_config_selectorItjN6thrust23THRUST_200600_302600_NS4plusIjEEEEZZNS1_33reduce_by_key_impl_wrapped_configILNS1_25lookback_scan_determinismE0ES3_S9_NS6_6detail15normal_iteratorINS6_10device_ptrItEEEENSD_INSE_IjEEEESG_SI_PmS8_NS6_8equal_toItEEEE10hipError_tPvRmT2_T3_mT4_T5_T6_T7_T8_P12ihipStream_tbENKUlT_T0_E_clISt17integral_constantIbLb0EES12_IbLb1EEEEDaSY_SZ_EUlSY_E_NS1_11comp_targetILNS1_3genE10ELNS1_11target_archE1201ELNS1_3gpuE5ELNS1_3repE0EEENS1_30default_config_static_selectorELNS0_4arch9wavefront6targetE0EEEvT1_
                                        ; -- End function
	.section	.AMDGPU.csdata,"",@progbits
; Kernel info:
; codeLenInByte = 0
; NumSgprs: 0
; NumVgprs: 0
; ScratchSize: 0
; MemoryBound: 0
; FloatMode: 240
; IeeeMode: 1
; LDSByteSize: 0 bytes/workgroup (compile time only)
; SGPRBlocks: 0
; VGPRBlocks: 0
; NumSGPRsForWavesPerEU: 1
; NumVGPRsForWavesPerEU: 1
; Occupancy: 16
; WaveLimiterHint : 0
; COMPUTE_PGM_RSRC2:SCRATCH_EN: 0
; COMPUTE_PGM_RSRC2:USER_SGPR: 15
; COMPUTE_PGM_RSRC2:TRAP_HANDLER: 0
; COMPUTE_PGM_RSRC2:TGID_X_EN: 1
; COMPUTE_PGM_RSRC2:TGID_Y_EN: 0
; COMPUTE_PGM_RSRC2:TGID_Z_EN: 0
; COMPUTE_PGM_RSRC2:TIDIG_COMP_CNT: 0
	.section	.text._ZN7rocprim17ROCPRIM_400000_NS6detail17trampoline_kernelINS0_14default_configENS1_29reduce_by_key_config_selectorItjN6thrust23THRUST_200600_302600_NS4plusIjEEEEZZNS1_33reduce_by_key_impl_wrapped_configILNS1_25lookback_scan_determinismE0ES3_S9_NS6_6detail15normal_iteratorINS6_10device_ptrItEEEENSD_INSE_IjEEEESG_SI_PmS8_NS6_8equal_toItEEEE10hipError_tPvRmT2_T3_mT4_T5_T6_T7_T8_P12ihipStream_tbENKUlT_T0_E_clISt17integral_constantIbLb0EES12_IbLb1EEEEDaSY_SZ_EUlSY_E_NS1_11comp_targetILNS1_3genE10ELNS1_11target_archE1200ELNS1_3gpuE4ELNS1_3repE0EEENS1_30default_config_static_selectorELNS0_4arch9wavefront6targetE0EEEvT1_,"axG",@progbits,_ZN7rocprim17ROCPRIM_400000_NS6detail17trampoline_kernelINS0_14default_configENS1_29reduce_by_key_config_selectorItjN6thrust23THRUST_200600_302600_NS4plusIjEEEEZZNS1_33reduce_by_key_impl_wrapped_configILNS1_25lookback_scan_determinismE0ES3_S9_NS6_6detail15normal_iteratorINS6_10device_ptrItEEEENSD_INSE_IjEEEESG_SI_PmS8_NS6_8equal_toItEEEE10hipError_tPvRmT2_T3_mT4_T5_T6_T7_T8_P12ihipStream_tbENKUlT_T0_E_clISt17integral_constantIbLb0EES12_IbLb1EEEEDaSY_SZ_EUlSY_E_NS1_11comp_targetILNS1_3genE10ELNS1_11target_archE1200ELNS1_3gpuE4ELNS1_3repE0EEENS1_30default_config_static_selectorELNS0_4arch9wavefront6targetE0EEEvT1_,comdat
	.protected	_ZN7rocprim17ROCPRIM_400000_NS6detail17trampoline_kernelINS0_14default_configENS1_29reduce_by_key_config_selectorItjN6thrust23THRUST_200600_302600_NS4plusIjEEEEZZNS1_33reduce_by_key_impl_wrapped_configILNS1_25lookback_scan_determinismE0ES3_S9_NS6_6detail15normal_iteratorINS6_10device_ptrItEEEENSD_INSE_IjEEEESG_SI_PmS8_NS6_8equal_toItEEEE10hipError_tPvRmT2_T3_mT4_T5_T6_T7_T8_P12ihipStream_tbENKUlT_T0_E_clISt17integral_constantIbLb0EES12_IbLb1EEEEDaSY_SZ_EUlSY_E_NS1_11comp_targetILNS1_3genE10ELNS1_11target_archE1200ELNS1_3gpuE4ELNS1_3repE0EEENS1_30default_config_static_selectorELNS0_4arch9wavefront6targetE0EEEvT1_ ; -- Begin function _ZN7rocprim17ROCPRIM_400000_NS6detail17trampoline_kernelINS0_14default_configENS1_29reduce_by_key_config_selectorItjN6thrust23THRUST_200600_302600_NS4plusIjEEEEZZNS1_33reduce_by_key_impl_wrapped_configILNS1_25lookback_scan_determinismE0ES3_S9_NS6_6detail15normal_iteratorINS6_10device_ptrItEEEENSD_INSE_IjEEEESG_SI_PmS8_NS6_8equal_toItEEEE10hipError_tPvRmT2_T3_mT4_T5_T6_T7_T8_P12ihipStream_tbENKUlT_T0_E_clISt17integral_constantIbLb0EES12_IbLb1EEEEDaSY_SZ_EUlSY_E_NS1_11comp_targetILNS1_3genE10ELNS1_11target_archE1200ELNS1_3gpuE4ELNS1_3repE0EEENS1_30default_config_static_selectorELNS0_4arch9wavefront6targetE0EEEvT1_
	.globl	_ZN7rocprim17ROCPRIM_400000_NS6detail17trampoline_kernelINS0_14default_configENS1_29reduce_by_key_config_selectorItjN6thrust23THRUST_200600_302600_NS4plusIjEEEEZZNS1_33reduce_by_key_impl_wrapped_configILNS1_25lookback_scan_determinismE0ES3_S9_NS6_6detail15normal_iteratorINS6_10device_ptrItEEEENSD_INSE_IjEEEESG_SI_PmS8_NS6_8equal_toItEEEE10hipError_tPvRmT2_T3_mT4_T5_T6_T7_T8_P12ihipStream_tbENKUlT_T0_E_clISt17integral_constantIbLb0EES12_IbLb1EEEEDaSY_SZ_EUlSY_E_NS1_11comp_targetILNS1_3genE10ELNS1_11target_archE1200ELNS1_3gpuE4ELNS1_3repE0EEENS1_30default_config_static_selectorELNS0_4arch9wavefront6targetE0EEEvT1_
	.p2align	8
	.type	_ZN7rocprim17ROCPRIM_400000_NS6detail17trampoline_kernelINS0_14default_configENS1_29reduce_by_key_config_selectorItjN6thrust23THRUST_200600_302600_NS4plusIjEEEEZZNS1_33reduce_by_key_impl_wrapped_configILNS1_25lookback_scan_determinismE0ES3_S9_NS6_6detail15normal_iteratorINS6_10device_ptrItEEEENSD_INSE_IjEEEESG_SI_PmS8_NS6_8equal_toItEEEE10hipError_tPvRmT2_T3_mT4_T5_T6_T7_T8_P12ihipStream_tbENKUlT_T0_E_clISt17integral_constantIbLb0EES12_IbLb1EEEEDaSY_SZ_EUlSY_E_NS1_11comp_targetILNS1_3genE10ELNS1_11target_archE1200ELNS1_3gpuE4ELNS1_3repE0EEENS1_30default_config_static_selectorELNS0_4arch9wavefront6targetE0EEEvT1_,@function
_ZN7rocprim17ROCPRIM_400000_NS6detail17trampoline_kernelINS0_14default_configENS1_29reduce_by_key_config_selectorItjN6thrust23THRUST_200600_302600_NS4plusIjEEEEZZNS1_33reduce_by_key_impl_wrapped_configILNS1_25lookback_scan_determinismE0ES3_S9_NS6_6detail15normal_iteratorINS6_10device_ptrItEEEENSD_INSE_IjEEEESG_SI_PmS8_NS6_8equal_toItEEEE10hipError_tPvRmT2_T3_mT4_T5_T6_T7_T8_P12ihipStream_tbENKUlT_T0_E_clISt17integral_constantIbLb0EES12_IbLb1EEEEDaSY_SZ_EUlSY_E_NS1_11comp_targetILNS1_3genE10ELNS1_11target_archE1200ELNS1_3gpuE4ELNS1_3repE0EEENS1_30default_config_static_selectorELNS0_4arch9wavefront6targetE0EEEvT1_: ; @_ZN7rocprim17ROCPRIM_400000_NS6detail17trampoline_kernelINS0_14default_configENS1_29reduce_by_key_config_selectorItjN6thrust23THRUST_200600_302600_NS4plusIjEEEEZZNS1_33reduce_by_key_impl_wrapped_configILNS1_25lookback_scan_determinismE0ES3_S9_NS6_6detail15normal_iteratorINS6_10device_ptrItEEEENSD_INSE_IjEEEESG_SI_PmS8_NS6_8equal_toItEEEE10hipError_tPvRmT2_T3_mT4_T5_T6_T7_T8_P12ihipStream_tbENKUlT_T0_E_clISt17integral_constantIbLb0EES12_IbLb1EEEEDaSY_SZ_EUlSY_E_NS1_11comp_targetILNS1_3genE10ELNS1_11target_archE1200ELNS1_3gpuE4ELNS1_3repE0EEENS1_30default_config_static_selectorELNS0_4arch9wavefront6targetE0EEEvT1_
; %bb.0:
	.section	.rodata,"a",@progbits
	.p2align	6, 0x0
	.amdhsa_kernel _ZN7rocprim17ROCPRIM_400000_NS6detail17trampoline_kernelINS0_14default_configENS1_29reduce_by_key_config_selectorItjN6thrust23THRUST_200600_302600_NS4plusIjEEEEZZNS1_33reduce_by_key_impl_wrapped_configILNS1_25lookback_scan_determinismE0ES3_S9_NS6_6detail15normal_iteratorINS6_10device_ptrItEEEENSD_INSE_IjEEEESG_SI_PmS8_NS6_8equal_toItEEEE10hipError_tPvRmT2_T3_mT4_T5_T6_T7_T8_P12ihipStream_tbENKUlT_T0_E_clISt17integral_constantIbLb0EES12_IbLb1EEEEDaSY_SZ_EUlSY_E_NS1_11comp_targetILNS1_3genE10ELNS1_11target_archE1200ELNS1_3gpuE4ELNS1_3repE0EEENS1_30default_config_static_selectorELNS0_4arch9wavefront6targetE0EEEvT1_
		.amdhsa_group_segment_fixed_size 0
		.amdhsa_private_segment_fixed_size 0
		.amdhsa_kernarg_size 120
		.amdhsa_user_sgpr_count 15
		.amdhsa_user_sgpr_dispatch_ptr 0
		.amdhsa_user_sgpr_queue_ptr 0
		.amdhsa_user_sgpr_kernarg_segment_ptr 1
		.amdhsa_user_sgpr_dispatch_id 0
		.amdhsa_user_sgpr_private_segment_size 0
		.amdhsa_wavefront_size32 1
		.amdhsa_uses_dynamic_stack 0
		.amdhsa_enable_private_segment 0
		.amdhsa_system_sgpr_workgroup_id_x 1
		.amdhsa_system_sgpr_workgroup_id_y 0
		.amdhsa_system_sgpr_workgroup_id_z 0
		.amdhsa_system_sgpr_workgroup_info 0
		.amdhsa_system_vgpr_workitem_id 0
		.amdhsa_next_free_vgpr 1
		.amdhsa_next_free_sgpr 1
		.amdhsa_reserve_vcc 0
		.amdhsa_float_round_mode_32 0
		.amdhsa_float_round_mode_16_64 0
		.amdhsa_float_denorm_mode_32 3
		.amdhsa_float_denorm_mode_16_64 3
		.amdhsa_dx10_clamp 1
		.amdhsa_ieee_mode 1
		.amdhsa_fp16_overflow 0
		.amdhsa_workgroup_processor_mode 1
		.amdhsa_memory_ordered 1
		.amdhsa_forward_progress 0
		.amdhsa_shared_vgpr_count 0
		.amdhsa_exception_fp_ieee_invalid_op 0
		.amdhsa_exception_fp_denorm_src 0
		.amdhsa_exception_fp_ieee_div_zero 0
		.amdhsa_exception_fp_ieee_overflow 0
		.amdhsa_exception_fp_ieee_underflow 0
		.amdhsa_exception_fp_ieee_inexact 0
		.amdhsa_exception_int_div_zero 0
	.end_amdhsa_kernel
	.section	.text._ZN7rocprim17ROCPRIM_400000_NS6detail17trampoline_kernelINS0_14default_configENS1_29reduce_by_key_config_selectorItjN6thrust23THRUST_200600_302600_NS4plusIjEEEEZZNS1_33reduce_by_key_impl_wrapped_configILNS1_25lookback_scan_determinismE0ES3_S9_NS6_6detail15normal_iteratorINS6_10device_ptrItEEEENSD_INSE_IjEEEESG_SI_PmS8_NS6_8equal_toItEEEE10hipError_tPvRmT2_T3_mT4_T5_T6_T7_T8_P12ihipStream_tbENKUlT_T0_E_clISt17integral_constantIbLb0EES12_IbLb1EEEEDaSY_SZ_EUlSY_E_NS1_11comp_targetILNS1_3genE10ELNS1_11target_archE1200ELNS1_3gpuE4ELNS1_3repE0EEENS1_30default_config_static_selectorELNS0_4arch9wavefront6targetE0EEEvT1_,"axG",@progbits,_ZN7rocprim17ROCPRIM_400000_NS6detail17trampoline_kernelINS0_14default_configENS1_29reduce_by_key_config_selectorItjN6thrust23THRUST_200600_302600_NS4plusIjEEEEZZNS1_33reduce_by_key_impl_wrapped_configILNS1_25lookback_scan_determinismE0ES3_S9_NS6_6detail15normal_iteratorINS6_10device_ptrItEEEENSD_INSE_IjEEEESG_SI_PmS8_NS6_8equal_toItEEEE10hipError_tPvRmT2_T3_mT4_T5_T6_T7_T8_P12ihipStream_tbENKUlT_T0_E_clISt17integral_constantIbLb0EES12_IbLb1EEEEDaSY_SZ_EUlSY_E_NS1_11comp_targetILNS1_3genE10ELNS1_11target_archE1200ELNS1_3gpuE4ELNS1_3repE0EEENS1_30default_config_static_selectorELNS0_4arch9wavefront6targetE0EEEvT1_,comdat
.Lfunc_end766:
	.size	_ZN7rocprim17ROCPRIM_400000_NS6detail17trampoline_kernelINS0_14default_configENS1_29reduce_by_key_config_selectorItjN6thrust23THRUST_200600_302600_NS4plusIjEEEEZZNS1_33reduce_by_key_impl_wrapped_configILNS1_25lookback_scan_determinismE0ES3_S9_NS6_6detail15normal_iteratorINS6_10device_ptrItEEEENSD_INSE_IjEEEESG_SI_PmS8_NS6_8equal_toItEEEE10hipError_tPvRmT2_T3_mT4_T5_T6_T7_T8_P12ihipStream_tbENKUlT_T0_E_clISt17integral_constantIbLb0EES12_IbLb1EEEEDaSY_SZ_EUlSY_E_NS1_11comp_targetILNS1_3genE10ELNS1_11target_archE1200ELNS1_3gpuE4ELNS1_3repE0EEENS1_30default_config_static_selectorELNS0_4arch9wavefront6targetE0EEEvT1_, .Lfunc_end766-_ZN7rocprim17ROCPRIM_400000_NS6detail17trampoline_kernelINS0_14default_configENS1_29reduce_by_key_config_selectorItjN6thrust23THRUST_200600_302600_NS4plusIjEEEEZZNS1_33reduce_by_key_impl_wrapped_configILNS1_25lookback_scan_determinismE0ES3_S9_NS6_6detail15normal_iteratorINS6_10device_ptrItEEEENSD_INSE_IjEEEESG_SI_PmS8_NS6_8equal_toItEEEE10hipError_tPvRmT2_T3_mT4_T5_T6_T7_T8_P12ihipStream_tbENKUlT_T0_E_clISt17integral_constantIbLb0EES12_IbLb1EEEEDaSY_SZ_EUlSY_E_NS1_11comp_targetILNS1_3genE10ELNS1_11target_archE1200ELNS1_3gpuE4ELNS1_3repE0EEENS1_30default_config_static_selectorELNS0_4arch9wavefront6targetE0EEEvT1_
                                        ; -- End function
	.section	.AMDGPU.csdata,"",@progbits
; Kernel info:
; codeLenInByte = 0
; NumSgprs: 0
; NumVgprs: 0
; ScratchSize: 0
; MemoryBound: 0
; FloatMode: 240
; IeeeMode: 1
; LDSByteSize: 0 bytes/workgroup (compile time only)
; SGPRBlocks: 0
; VGPRBlocks: 0
; NumSGPRsForWavesPerEU: 1
; NumVGPRsForWavesPerEU: 1
; Occupancy: 16
; WaveLimiterHint : 0
; COMPUTE_PGM_RSRC2:SCRATCH_EN: 0
; COMPUTE_PGM_RSRC2:USER_SGPR: 15
; COMPUTE_PGM_RSRC2:TRAP_HANDLER: 0
; COMPUTE_PGM_RSRC2:TGID_X_EN: 1
; COMPUTE_PGM_RSRC2:TGID_Y_EN: 0
; COMPUTE_PGM_RSRC2:TGID_Z_EN: 0
; COMPUTE_PGM_RSRC2:TIDIG_COMP_CNT: 0
	.section	.text._ZN7rocprim17ROCPRIM_400000_NS6detail17trampoline_kernelINS0_14default_configENS1_29reduce_by_key_config_selectorItjN6thrust23THRUST_200600_302600_NS4plusIjEEEEZZNS1_33reduce_by_key_impl_wrapped_configILNS1_25lookback_scan_determinismE0ES3_S9_NS6_6detail15normal_iteratorINS6_10device_ptrItEEEENSD_INSE_IjEEEESG_SI_PmS8_NS6_8equal_toItEEEE10hipError_tPvRmT2_T3_mT4_T5_T6_T7_T8_P12ihipStream_tbENKUlT_T0_E_clISt17integral_constantIbLb0EES12_IbLb1EEEEDaSY_SZ_EUlSY_E_NS1_11comp_targetILNS1_3genE9ELNS1_11target_archE1100ELNS1_3gpuE3ELNS1_3repE0EEENS1_30default_config_static_selectorELNS0_4arch9wavefront6targetE0EEEvT1_,"axG",@progbits,_ZN7rocprim17ROCPRIM_400000_NS6detail17trampoline_kernelINS0_14default_configENS1_29reduce_by_key_config_selectorItjN6thrust23THRUST_200600_302600_NS4plusIjEEEEZZNS1_33reduce_by_key_impl_wrapped_configILNS1_25lookback_scan_determinismE0ES3_S9_NS6_6detail15normal_iteratorINS6_10device_ptrItEEEENSD_INSE_IjEEEESG_SI_PmS8_NS6_8equal_toItEEEE10hipError_tPvRmT2_T3_mT4_T5_T6_T7_T8_P12ihipStream_tbENKUlT_T0_E_clISt17integral_constantIbLb0EES12_IbLb1EEEEDaSY_SZ_EUlSY_E_NS1_11comp_targetILNS1_3genE9ELNS1_11target_archE1100ELNS1_3gpuE3ELNS1_3repE0EEENS1_30default_config_static_selectorELNS0_4arch9wavefront6targetE0EEEvT1_,comdat
	.protected	_ZN7rocprim17ROCPRIM_400000_NS6detail17trampoline_kernelINS0_14default_configENS1_29reduce_by_key_config_selectorItjN6thrust23THRUST_200600_302600_NS4plusIjEEEEZZNS1_33reduce_by_key_impl_wrapped_configILNS1_25lookback_scan_determinismE0ES3_S9_NS6_6detail15normal_iteratorINS6_10device_ptrItEEEENSD_INSE_IjEEEESG_SI_PmS8_NS6_8equal_toItEEEE10hipError_tPvRmT2_T3_mT4_T5_T6_T7_T8_P12ihipStream_tbENKUlT_T0_E_clISt17integral_constantIbLb0EES12_IbLb1EEEEDaSY_SZ_EUlSY_E_NS1_11comp_targetILNS1_3genE9ELNS1_11target_archE1100ELNS1_3gpuE3ELNS1_3repE0EEENS1_30default_config_static_selectorELNS0_4arch9wavefront6targetE0EEEvT1_ ; -- Begin function _ZN7rocprim17ROCPRIM_400000_NS6detail17trampoline_kernelINS0_14default_configENS1_29reduce_by_key_config_selectorItjN6thrust23THRUST_200600_302600_NS4plusIjEEEEZZNS1_33reduce_by_key_impl_wrapped_configILNS1_25lookback_scan_determinismE0ES3_S9_NS6_6detail15normal_iteratorINS6_10device_ptrItEEEENSD_INSE_IjEEEESG_SI_PmS8_NS6_8equal_toItEEEE10hipError_tPvRmT2_T3_mT4_T5_T6_T7_T8_P12ihipStream_tbENKUlT_T0_E_clISt17integral_constantIbLb0EES12_IbLb1EEEEDaSY_SZ_EUlSY_E_NS1_11comp_targetILNS1_3genE9ELNS1_11target_archE1100ELNS1_3gpuE3ELNS1_3repE0EEENS1_30default_config_static_selectorELNS0_4arch9wavefront6targetE0EEEvT1_
	.globl	_ZN7rocprim17ROCPRIM_400000_NS6detail17trampoline_kernelINS0_14default_configENS1_29reduce_by_key_config_selectorItjN6thrust23THRUST_200600_302600_NS4plusIjEEEEZZNS1_33reduce_by_key_impl_wrapped_configILNS1_25lookback_scan_determinismE0ES3_S9_NS6_6detail15normal_iteratorINS6_10device_ptrItEEEENSD_INSE_IjEEEESG_SI_PmS8_NS6_8equal_toItEEEE10hipError_tPvRmT2_T3_mT4_T5_T6_T7_T8_P12ihipStream_tbENKUlT_T0_E_clISt17integral_constantIbLb0EES12_IbLb1EEEEDaSY_SZ_EUlSY_E_NS1_11comp_targetILNS1_3genE9ELNS1_11target_archE1100ELNS1_3gpuE3ELNS1_3repE0EEENS1_30default_config_static_selectorELNS0_4arch9wavefront6targetE0EEEvT1_
	.p2align	8
	.type	_ZN7rocprim17ROCPRIM_400000_NS6detail17trampoline_kernelINS0_14default_configENS1_29reduce_by_key_config_selectorItjN6thrust23THRUST_200600_302600_NS4plusIjEEEEZZNS1_33reduce_by_key_impl_wrapped_configILNS1_25lookback_scan_determinismE0ES3_S9_NS6_6detail15normal_iteratorINS6_10device_ptrItEEEENSD_INSE_IjEEEESG_SI_PmS8_NS6_8equal_toItEEEE10hipError_tPvRmT2_T3_mT4_T5_T6_T7_T8_P12ihipStream_tbENKUlT_T0_E_clISt17integral_constantIbLb0EES12_IbLb1EEEEDaSY_SZ_EUlSY_E_NS1_11comp_targetILNS1_3genE9ELNS1_11target_archE1100ELNS1_3gpuE3ELNS1_3repE0EEENS1_30default_config_static_selectorELNS0_4arch9wavefront6targetE0EEEvT1_,@function
_ZN7rocprim17ROCPRIM_400000_NS6detail17trampoline_kernelINS0_14default_configENS1_29reduce_by_key_config_selectorItjN6thrust23THRUST_200600_302600_NS4plusIjEEEEZZNS1_33reduce_by_key_impl_wrapped_configILNS1_25lookback_scan_determinismE0ES3_S9_NS6_6detail15normal_iteratorINS6_10device_ptrItEEEENSD_INSE_IjEEEESG_SI_PmS8_NS6_8equal_toItEEEE10hipError_tPvRmT2_T3_mT4_T5_T6_T7_T8_P12ihipStream_tbENKUlT_T0_E_clISt17integral_constantIbLb0EES12_IbLb1EEEEDaSY_SZ_EUlSY_E_NS1_11comp_targetILNS1_3genE9ELNS1_11target_archE1100ELNS1_3gpuE3ELNS1_3repE0EEENS1_30default_config_static_selectorELNS0_4arch9wavefront6targetE0EEEvT1_: ; @_ZN7rocprim17ROCPRIM_400000_NS6detail17trampoline_kernelINS0_14default_configENS1_29reduce_by_key_config_selectorItjN6thrust23THRUST_200600_302600_NS4plusIjEEEEZZNS1_33reduce_by_key_impl_wrapped_configILNS1_25lookback_scan_determinismE0ES3_S9_NS6_6detail15normal_iteratorINS6_10device_ptrItEEEENSD_INSE_IjEEEESG_SI_PmS8_NS6_8equal_toItEEEE10hipError_tPvRmT2_T3_mT4_T5_T6_T7_T8_P12ihipStream_tbENKUlT_T0_E_clISt17integral_constantIbLb0EES12_IbLb1EEEEDaSY_SZ_EUlSY_E_NS1_11comp_targetILNS1_3genE9ELNS1_11target_archE1100ELNS1_3gpuE3ELNS1_3repE0EEENS1_30default_config_static_selectorELNS0_4arch9wavefront6targetE0EEEvT1_
; %bb.0:
	s_clause 0x4
	s_load_b256 s[12:19], s[0:1], 0x0
	s_load_b128 s[28:31], s[0:1], 0x20
	s_load_b256 s[20:27], s[0:1], 0x38
	s_load_b64 s[34:35], s[0:1], 0x68
	s_load_b128 s[36:39], s[0:1], 0x58
	v_cmp_ne_u32_e64 s3, 0, v0
	v_cmp_eq_u32_e64 s2, 0, v0
	s_delay_alu instid0(VALU_DEP_1)
	s_and_saveexec_b32 s4, s2
	s_cbranch_execz .LBB767_4
; %bb.1:
	s_mov_b32 s6, exec_lo
	s_mov_b32 s5, exec_lo
	v_mbcnt_lo_u32_b32 v1, s6, 0
                                        ; implicit-def: $vgpr2
	s_delay_alu instid0(VALU_DEP_1)
	v_cmpx_eq_u32_e32 0, v1
	s_cbranch_execz .LBB767_3
; %bb.2:
	s_load_b64 s[0:1], s[0:1], 0x70
	s_bcnt1_i32_b32 s6, s6
	s_delay_alu instid0(SALU_CYCLE_1)
	v_dual_mov_b32 v2, 0 :: v_dual_mov_b32 v3, s6
	s_waitcnt lgkmcnt(0)
	global_atomic_add_u32 v2, v2, v3, s[0:1] glc
.LBB767_3:
	s_or_b32 exec_lo, exec_lo, s5
	s_waitcnt vmcnt(0)
	v_readfirstlane_b32 s0, v2
	s_delay_alu instid0(VALU_DEP_1)
	v_dual_mov_b32 v2, 0 :: v_dual_add_nc_u32 v1, s0, v1
	ds_store_b32 v2, v1
.LBB767_4:
	s_or_b32 exec_lo, exec_lo, s4
	v_mov_b32_e32 v2, 0
	s_waitcnt lgkmcnt(0)
	s_barrier
	buffer_gl0_inv
	s_lshl_b64 s[0:1], s[14:15], 1
	ds_load_b32 v1, v2
	s_add_u32 s10, s12, s0
	s_addc_u32 s1, s13, s1
	s_lshl_b64 s[4:5], s[14:15], 2
	s_mul_i32 s6, s24, s23
	s_mul_hi_u32 s7, s24, s22
	s_add_u32 s11, s16, s4
	s_mul_i32 s8, s25, s22
	s_addc_u32 s12, s17, s5
	s_add_i32 s4, s7, s6
	s_mul_i32 s9, s24, s22
	s_add_i32 s4, s4, s8
	v_mad_u32_u24 v5, v0, 15, 1
	v_mad_u32_u24 v7, v0, 15, 3
	;; [unrolled: 1-line block ×7, first 2 shown]
	s_mov_b32 s0, 0
	s_waitcnt lgkmcnt(0)
	v_readfirstlane_b32 s33, v1
	v_mul_lo_u32 v1, 0xf00, v1
	s_barrier
	buffer_gl0_inv
	s_add_u32 s24, s9, s33
	s_addc_u32 s25, s4, 0
	s_add_u32 s4, s26, -1
	s_addc_u32 s5, s27, -1
	v_lshlrev_b64 v[3:4], 1, v[1:2]
	v_lshlrev_b64 v[1:2], 2, v[1:2]
	s_cmp_eq_u64 s[24:25], s[4:5]
	s_mul_i32 s26, s4, 0xfffff100
	s_cselect_b32 s17, -1, 0
	s_cmp_lg_u64 s[24:25], s[4:5]
	v_add_co_u32 v8, vcc_lo, s10, v3
	v_add_co_ci_u32_e32 v6, vcc_lo, s1, v4, vcc_lo
	v_add_co_u32 v10, vcc_lo, s11, v1
	v_add_co_ci_u32_e32 v12, vcc_lo, s12, v2, vcc_lo
	s_cselect_b32 s40, -1, 0
	s_and_b32 vcc_lo, exec_lo, s17
	s_cbranch_vccnz .LBB767_6
; %bb.5:
	v_lshlrev_b32_e32 v13, 1, v0
	s_delay_alu instid0(VALU_DEP_1) | instskip(SKIP_2) | instid1(VALU_DEP_3)
	v_add_co_u32 v1, vcc_lo, v8, v13
	v_add_co_ci_u32_e32 v2, vcc_lo, 0, v6, vcc_lo
	v_mad_u32_u24 v37, v0, 28, v13
	v_add_co_u32 v3, vcc_lo, 0x1000, v1
	s_delay_alu instid0(VALU_DEP_3)
	v_add_co_ci_u32_e32 v4, vcc_lo, 0, v2, vcc_lo
	s_clause 0xe
	flat_load_u16 v14, v[1:2]
	flat_load_u16 v15, v[1:2] offset:512
	flat_load_u16 v19, v[1:2] offset:1024
	;; [unrolled: 1-line block ×7, first 2 shown]
	flat_load_u16 v2, v[3:4]
	flat_load_u16 v32, v[3:4] offset:512
	flat_load_u16 v33, v[3:4] offset:1024
	;; [unrolled: 1-line block ×6, first 2 shown]
	v_lshlrev_b32_e32 v4, 2, v0
	s_waitcnt vmcnt(14) lgkmcnt(14)
	ds_store_b16 v13, v14
	s_waitcnt vmcnt(13) lgkmcnt(14)
	ds_store_b16 v13, v15 offset:512
	s_waitcnt vmcnt(12) lgkmcnt(14)
	ds_store_b16 v13, v19 offset:1024
	;; [unrolled: 2-line block ×14, first 2 shown]
	v_add_co_u32 v17, vcc_lo, v10, v4
	v_add_co_ci_u32_e32 v18, vcc_lo, 0, v12, vcc_lo
	s_waitcnt lgkmcnt(0)
	s_delay_alu instid0(VALU_DEP_2) | instskip(NEXT) | instid1(VALU_DEP_2)
	v_add_co_u32 v23, vcc_lo, 0x1000, v17
	v_add_co_ci_u32_e32 v24, vcc_lo, 0, v18, vcc_lo
	v_add_co_u32 v25, vcc_lo, 0x2000, v17
	v_add_co_ci_u32_e32 v26, vcc_lo, 0, v18, vcc_lo
	;; [unrolled: 2-line block ×3, first 2 shown]
	s_barrier
	buffer_gl0_inv
	ds_load_u16 v56, v37
	ds_load_b128 v[1:4], v37 offset:2
	ds_load_b96 v[13:15], v37 offset:18
	s_waitcnt lgkmcnt(0)
	s_barrier
	buffer_gl0_inv
	s_clause 0xe
	flat_load_b32 v21, v[17:18]
	flat_load_b32 v29, v[17:18] offset:1024
	flat_load_b32 v30, v[17:18] offset:2048
	flat_load_b32 v17, v[17:18] offset:3072
	flat_load_b32 v18, v[23:24]
	flat_load_b32 v31, v[23:24] offset:1024
	flat_load_b32 v32, v[23:24] offset:2048
	flat_load_b32 v23, v[23:24] offset:3072
	;; [unrolled: 4-line block ×3, first 2 shown]
	flat_load_b32 v26, v[27:28]
	flat_load_b32 v35, v[27:28] offset:1024
	flat_load_b32 v27, v[27:28] offset:2048
	v_mad_i32_i24 v28, 0xffffffe6, v0, v37
	v_mul_u32_u24_e32 v19, 15, v0
	s_waitcnt vmcnt(13) lgkmcnt(13)
	ds_store_2addr_stride64_b32 v28, v21, v29 offset1:4
	s_waitcnt vmcnt(11) lgkmcnt(12)
	ds_store_2addr_stride64_b32 v28, v30, v17 offset0:8 offset1:12
	s_waitcnt vmcnt(9) lgkmcnt(11)
	ds_store_2addr_stride64_b32 v28, v18, v31 offset0:16 offset1:20
	;; [unrolled: 2-line block ×6, first 2 shown]
	s_waitcnt vmcnt(0) lgkmcnt(7)
	ds_store_b32 v28, v27 offset:14336
	s_waitcnt lgkmcnt(0)
	s_barrier
	s_branch .LBB767_7
.LBB767_6:
	s_mov_b32 s0, -1
                                        ; implicit-def: $vgpr1
                                        ; implicit-def: $vgpr13
                                        ; implicit-def: $vgpr19
                                        ; implicit-def: $vgpr56
.LBB767_7:
	v_dual_mov_b32 v25, v22 :: v_dual_mov_b32 v28, v20
	v_dual_mov_b32 v30, v16 :: v_dual_mov_b32 v29, v7
	;; [unrolled: 1-line block ×3, first 2 shown]
	v_mov_b32_e32 v26, v9
	s_and_not1_b32 vcc_lo, exec_lo, s0
	s_add_i32 s26, s26, s36
	s_cbranch_vccnz .LBB767_69
; %bb.8:
	v_cmp_gt_u32_e32 vcc_lo, s26, v0
                                        ; implicit-def: $vgpr1
	s_and_saveexec_b32 s1, vcc_lo
	s_cbranch_execz .LBB767_10
; %bb.9:
	v_lshlrev_b32_e32 v1, 1, v0
	s_delay_alu instid0(VALU_DEP_1) | instskip(NEXT) | instid1(VALU_DEP_1)
	v_add_co_u32 v1, s0, v8, v1
	v_add_co_ci_u32_e64 v2, s0, 0, v6, s0
	flat_load_u16 v1, v[1:2]
.LBB767_10:
	s_or_b32 exec_lo, exec_lo, s1
	v_or_b32_e32 v2, 0x100, v0
	s_delay_alu instid0(VALU_DEP_1) | instskip(NEXT) | instid1(VALU_DEP_1)
	v_cmp_gt_u32_e64 s0, s26, v2
                                        ; implicit-def: $vgpr2
	s_and_saveexec_b32 s4, s0
	s_cbranch_execz .LBB767_12
; %bb.11:
	v_lshlrev_b32_e32 v2, 1, v0
	s_delay_alu instid0(VALU_DEP_1) | instskip(NEXT) | instid1(VALU_DEP_1)
	v_add_co_u32 v2, s1, v8, v2
	v_add_co_ci_u32_e64 v3, s1, 0, v6, s1
	flat_load_u16 v2, v[2:3] offset:512
.LBB767_12:
	s_or_b32 exec_lo, exec_lo, s4
	v_or_b32_e32 v3, 0x200, v0
	s_delay_alu instid0(VALU_DEP_1) | instskip(NEXT) | instid1(VALU_DEP_1)
	v_cmp_gt_u32_e64 s1, s26, v3
                                        ; implicit-def: $vgpr3
	s_and_saveexec_b32 s5, s1
	s_cbranch_execz .LBB767_14
; %bb.13:
	v_lshlrev_b32_e32 v3, 1, v0
	s_delay_alu instid0(VALU_DEP_1) | instskip(NEXT) | instid1(VALU_DEP_1)
	v_add_co_u32 v3, s4, v8, v3
	v_add_co_ci_u32_e64 v4, s4, 0, v6, s4
	flat_load_u16 v3, v[3:4] offset:1024
.LBB767_14:
	s_or_b32 exec_lo, exec_lo, s5
	v_or_b32_e32 v4, 0x300, v0
	s_delay_alu instid0(VALU_DEP_1) | instskip(NEXT) | instid1(VALU_DEP_1)
	v_cmp_gt_u32_e64 s4, s26, v4
                                        ; implicit-def: $vgpr4
	s_and_saveexec_b32 s6, s4
	s_cbranch_execz .LBB767_16
; %bb.15:
	v_lshlrev_b32_e32 v4, 1, v0
	s_delay_alu instid0(VALU_DEP_1) | instskip(NEXT) | instid1(VALU_DEP_1)
	v_add_co_u32 v13, s5, v8, v4
	v_add_co_ci_u32_e64 v14, s5, 0, v6, s5
	flat_load_u16 v4, v[13:14] offset:1536
.LBB767_16:
	s_or_b32 exec_lo, exec_lo, s6
	v_or_b32_e32 v17, 0x400, v0
                                        ; implicit-def: $vgpr13
	s_delay_alu instid0(VALU_DEP_1) | instskip(NEXT) | instid1(VALU_DEP_1)
	v_cmp_gt_u32_e64 s5, s26, v17
	s_and_saveexec_b32 s7, s5
	s_cbranch_execz .LBB767_18
; %bb.17:
	v_lshlrev_b32_e32 v13, 1, v0
	s_delay_alu instid0(VALU_DEP_1) | instskip(NEXT) | instid1(VALU_DEP_1)
	v_add_co_u32 v13, s6, v8, v13
	v_add_co_ci_u32_e64 v14, s6, 0, v6, s6
	flat_load_u16 v13, v[13:14] offset:2048
.LBB767_18:
	s_or_b32 exec_lo, exec_lo, s7
	v_or_b32_e32 v18, 0x500, v0
                                        ; implicit-def: $vgpr14
	s_delay_alu instid0(VALU_DEP_1) | instskip(NEXT) | instid1(VALU_DEP_1)
	v_cmp_gt_u32_e64 s6, s26, v18
	s_and_saveexec_b32 s8, s6
	s_cbranch_execz .LBB767_20
; %bb.19:
	v_lshlrev_b32_e32 v14, 1, v0
	s_delay_alu instid0(VALU_DEP_1) | instskip(NEXT) | instid1(VALU_DEP_1)
	v_add_co_u32 v14, s7, v8, v14
	v_add_co_ci_u32_e64 v15, s7, 0, v6, s7
	flat_load_u16 v14, v[14:15] offset:2560
.LBB767_20:
	s_or_b32 exec_lo, exec_lo, s8
	v_or_b32_e32 v19, 0x600, v0
                                        ; implicit-def: $vgpr15
	s_delay_alu instid0(VALU_DEP_1) | instskip(NEXT) | instid1(VALU_DEP_1)
	v_cmp_gt_u32_e64 s7, s26, v19
	s_and_saveexec_b32 s9, s7
	s_cbranch_execz .LBB767_22
; %bb.21:
	v_lshlrev_b32_e32 v15, 1, v0
	s_delay_alu instid0(VALU_DEP_1) | instskip(NEXT) | instid1(VALU_DEP_1)
	v_add_co_u32 v23, s8, v8, v15
	v_add_co_ci_u32_e64 v24, s8, 0, v6, s8
	flat_load_u16 v15, v[23:24] offset:3072
.LBB767_22:
	s_or_b32 exec_lo, exec_lo, s9
	v_or_b32_e32 v21, 0x700, v0
                                        ; implicit-def: $vgpr30
	s_delay_alu instid0(VALU_DEP_1) | instskip(NEXT) | instid1(VALU_DEP_1)
	v_cmp_gt_u32_e64 s8, s26, v21
	s_and_saveexec_b32 s10, s8
	s_cbranch_execz .LBB767_24
; %bb.23:
	v_lshlrev_b32_e32 v23, 1, v0
	s_delay_alu instid0(VALU_DEP_1) | instskip(NEXT) | instid1(VALU_DEP_1)
	v_add_co_u32 v23, s9, v8, v23
	v_add_co_ci_u32_e64 v24, s9, 0, v6, s9
	flat_load_u16 v30, v[23:24] offset:3584
.LBB767_24:
	s_or_b32 exec_lo, exec_lo, s10
	v_or_b32_e32 v23, 0x800, v0
                                        ; implicit-def: $vgpr31
	s_delay_alu instid0(VALU_DEP_1) | instskip(NEXT) | instid1(VALU_DEP_1)
	v_cmp_gt_u32_e64 s9, s26, v23
	s_and_saveexec_b32 s11, s9
	s_cbranch_execz .LBB767_26
; %bb.25:
	v_lshlrev_b32_e32 v24, 1, v23
	s_delay_alu instid0(VALU_DEP_1) | instskip(NEXT) | instid1(VALU_DEP_1)
	v_add_co_u32 v24, s10, v8, v24
	v_add_co_ci_u32_e64 v25, s10, 0, v6, s10
	flat_load_u16 v31, v[24:25]
.LBB767_26:
	s_or_b32 exec_lo, exec_lo, s11
	v_or_b32_e32 v24, 0x900, v0
                                        ; implicit-def: $vgpr32
	s_delay_alu instid0(VALU_DEP_1) | instskip(NEXT) | instid1(VALU_DEP_1)
	v_cmp_gt_u32_e64 s10, s26, v24
	s_and_saveexec_b32 s12, s10
	s_cbranch_execz .LBB767_28
; %bb.27:
	v_lshlrev_b32_e32 v25, 1, v24
	s_delay_alu instid0(VALU_DEP_1) | instskip(NEXT) | instid1(VALU_DEP_1)
	v_add_co_u32 v25, s11, v8, v25
	v_add_co_ci_u32_e64 v26, s11, 0, v6, s11
	flat_load_u16 v32, v[25:26]
.LBB767_28:
	s_or_b32 exec_lo, exec_lo, s12
	v_or_b32_e32 v25, 0xa00, v0
                                        ; implicit-def: $vgpr33
	s_delay_alu instid0(VALU_DEP_1) | instskip(NEXT) | instid1(VALU_DEP_1)
	v_cmp_gt_u32_e64 s11, s26, v25
	s_and_saveexec_b32 s13, s11
	s_cbranch_execz .LBB767_30
; %bb.29:
	v_lshlrev_b32_e32 v26, 1, v25
	s_delay_alu instid0(VALU_DEP_1) | instskip(NEXT) | instid1(VALU_DEP_1)
	v_add_co_u32 v26, s12, v8, v26
	v_add_co_ci_u32_e64 v27, s12, 0, v6, s12
	flat_load_u16 v33, v[26:27]
.LBB767_30:
	s_or_b32 exec_lo, exec_lo, s13
	v_or_b32_e32 v26, 0xb00, v0
                                        ; implicit-def: $vgpr34
	s_delay_alu instid0(VALU_DEP_1) | instskip(NEXT) | instid1(VALU_DEP_1)
	v_cmp_gt_u32_e64 s12, s26, v26
	s_and_saveexec_b32 s14, s12
	s_cbranch_execz .LBB767_32
; %bb.31:
	v_lshlrev_b32_e32 v27, 1, v26
	s_delay_alu instid0(VALU_DEP_1) | instskip(NEXT) | instid1(VALU_DEP_1)
	v_add_co_u32 v27, s13, v8, v27
	v_add_co_ci_u32_e64 v28, s13, 0, v6, s13
	flat_load_u16 v34, v[27:28]
.LBB767_32:
	s_or_b32 exec_lo, exec_lo, s14
	v_or_b32_e32 v27, 0xc00, v0
                                        ; implicit-def: $vgpr35
	s_delay_alu instid0(VALU_DEP_1) | instskip(NEXT) | instid1(VALU_DEP_1)
	v_cmp_gt_u32_e64 s13, s26, v27
	s_and_saveexec_b32 s15, s13
	s_cbranch_execz .LBB767_34
; %bb.33:
	v_lshlrev_b32_e32 v28, 1, v27
	s_delay_alu instid0(VALU_DEP_1) | instskip(NEXT) | instid1(VALU_DEP_1)
	v_add_co_u32 v28, s14, v8, v28
	v_add_co_ci_u32_e64 v29, s14, 0, v6, s14
	flat_load_u16 v35, v[28:29]
.LBB767_34:
	s_or_b32 exec_lo, exec_lo, s15
	v_or_b32_e32 v28, 0xd00, v0
                                        ; implicit-def: $vgpr36
	s_delay_alu instid0(VALU_DEP_1) | instskip(NEXT) | instid1(VALU_DEP_1)
	v_cmp_gt_u32_e64 s14, s26, v28
	s_and_saveexec_b32 s16, s14
	s_cbranch_execz .LBB767_36
; %bb.35:
	v_lshlrev_b32_e32 v29, 1, v28
	s_delay_alu instid0(VALU_DEP_1) | instskip(NEXT) | instid1(VALU_DEP_1)
	v_add_co_u32 v36, s15, v8, v29
	v_add_co_ci_u32_e64 v37, s15, 0, v6, s15
	flat_load_u16 v36, v[36:37]
.LBB767_36:
	s_or_b32 exec_lo, exec_lo, s16
	v_or_b32_e32 v29, 0xe00, v0
                                        ; implicit-def: $vgpr37
	s_delay_alu instid0(VALU_DEP_1) | instskip(NEXT) | instid1(VALU_DEP_1)
	v_cmp_gt_u32_e64 s15, s26, v29
	s_and_saveexec_b32 s27, s15
	s_cbranch_execz .LBB767_38
; %bb.37:
	v_lshlrev_b32_e32 v37, 1, v29
	s_delay_alu instid0(VALU_DEP_1) | instskip(NEXT) | instid1(VALU_DEP_1)
	v_add_co_u32 v37, s16, v8, v37
	v_add_co_ci_u32_e64 v38, s16, 0, v6, s16
	flat_load_u16 v37, v[37:38]
.LBB767_38:
	s_or_b32 exec_lo, exec_lo, s27
	v_lshlrev_b32_e32 v38, 1, v0
	s_waitcnt vmcnt(0) lgkmcnt(0)
	ds_store_b16 v38, v1
	ds_store_b16 v38, v2 offset:512
	ds_store_b16 v38, v3 offset:1024
	;; [unrolled: 1-line block ×7, first 2 shown]
	v_mad_u32_u24 v30, v0, 28, v38
	ds_store_b16 v38, v31 offset:4096
	ds_store_b16 v38, v32 offset:4608
	;; [unrolled: 1-line block ×7, first 2 shown]
	s_waitcnt lgkmcnt(0)
	s_barrier
	buffer_gl0_inv
	ds_load_u16 v56, v30
	ds_load_b128 v[1:4], v30 offset:2
	ds_load_b96 v[13:15], v30 offset:18
	s_waitcnt lgkmcnt(0)
	s_barrier
	buffer_gl0_inv
                                        ; implicit-def: $vgpr31
	s_and_saveexec_b32 s16, vcc_lo
	s_cbranch_execz .LBB767_52
; %bb.39:
	v_lshlrev_b32_e32 v31, 2, v0
	s_delay_alu instid0(VALU_DEP_1)
	v_add_co_u32 v31, vcc_lo, v10, v31
	v_add_co_ci_u32_e32 v32, vcc_lo, 0, v12, vcc_lo
	flat_load_b32 v31, v[31:32]
	s_or_b32 exec_lo, exec_lo, s16
                                        ; implicit-def: $vgpr32
	s_and_saveexec_b32 s16, s0
	s_cbranch_execnz .LBB767_53
.LBB767_40:
	s_or_b32 exec_lo, exec_lo, s16
                                        ; implicit-def: $vgpr33
	s_and_saveexec_b32 s0, s1
	s_cbranch_execz .LBB767_54
.LBB767_41:
	v_lshlrev_b32_e32 v33, 2, v0
	s_delay_alu instid0(VALU_DEP_1)
	v_add_co_u32 v33, vcc_lo, v10, v33
	v_add_co_ci_u32_e32 v34, vcc_lo, 0, v12, vcc_lo
	flat_load_b32 v33, v[33:34] offset:2048
	s_or_b32 exec_lo, exec_lo, s0
                                        ; implicit-def: $vgpr34
	s_and_saveexec_b32 s0, s4
	s_cbranch_execnz .LBB767_55
.LBB767_42:
	s_or_b32 exec_lo, exec_lo, s0
                                        ; implicit-def: $vgpr35
	s_and_saveexec_b32 s0, s5
	s_cbranch_execz .LBB767_56
.LBB767_43:
	v_lshlrev_b32_e32 v17, 2, v17
	s_delay_alu instid0(VALU_DEP_1)
	v_add_co_u32 v35, vcc_lo, v10, v17
	v_add_co_ci_u32_e32 v36, vcc_lo, 0, v12, vcc_lo
	flat_load_b32 v35, v[35:36]
	s_or_b32 exec_lo, exec_lo, s0
                                        ; implicit-def: $vgpr17
	s_and_saveexec_b32 s0, s6
	s_cbranch_execnz .LBB767_57
.LBB767_44:
	s_or_b32 exec_lo, exec_lo, s0
                                        ; implicit-def: $vgpr18
	s_and_saveexec_b32 s0, s7
	s_cbranch_execz .LBB767_58
.LBB767_45:
	v_lshlrev_b32_e32 v18, 2, v19
	s_delay_alu instid0(VALU_DEP_1)
	v_add_co_u32 v18, vcc_lo, v10, v18
	v_add_co_ci_u32_e32 v19, vcc_lo, 0, v12, vcc_lo
	flat_load_b32 v18, v[18:19]
	s_or_b32 exec_lo, exec_lo, s0
                                        ; implicit-def: $vgpr36
	s_and_saveexec_b32 s0, s8
	s_cbranch_execnz .LBB767_59
.LBB767_46:
	s_or_b32 exec_lo, exec_lo, s0
                                        ; implicit-def: $vgpr21
	s_and_saveexec_b32 s0, s9
	s_cbranch_execz .LBB767_60
.LBB767_47:
	v_lshlrev_b32_e32 v19, 2, v23
	s_delay_alu instid0(VALU_DEP_1)
	v_add_co_u32 v37, vcc_lo, v10, v19
	v_add_co_ci_u32_e32 v38, vcc_lo, 0, v12, vcc_lo
	flat_load_b32 v21, v[37:38]
	s_or_b32 exec_lo, exec_lo, s0
                                        ; implicit-def: $vgpr23
	s_and_saveexec_b32 s0, s10
	s_cbranch_execnz .LBB767_61
.LBB767_48:
	s_or_b32 exec_lo, exec_lo, s0
                                        ; implicit-def: $vgpr24
	s_and_saveexec_b32 s0, s11
	s_cbranch_execz .LBB767_62
.LBB767_49:
	v_lshlrev_b32_e32 v19, 2, v25
	s_delay_alu instid0(VALU_DEP_1)
	v_add_co_u32 v24, vcc_lo, v10, v19
	v_add_co_ci_u32_e32 v25, vcc_lo, 0, v12, vcc_lo
	flat_load_b32 v24, v[24:25]
	s_or_b32 exec_lo, exec_lo, s0
                                        ; implicit-def: $vgpr37
	s_and_saveexec_b32 s0, s12
	s_cbranch_execnz .LBB767_63
.LBB767_50:
	s_or_b32 exec_lo, exec_lo, s0
                                        ; implicit-def: $vgpr39
	s_and_saveexec_b32 s0, s13
	s_cbranch_execz .LBB767_64
.LBB767_51:
	v_lshlrev_b32_e32 v19, 2, v27
	s_delay_alu instid0(VALU_DEP_1)
	v_add_co_u32 v25, vcc_lo, v10, v19
	v_add_co_ci_u32_e32 v26, vcc_lo, 0, v12, vcc_lo
	flat_load_b32 v39, v[25:26]
	s_or_b32 exec_lo, exec_lo, s0
                                        ; implicit-def: $vgpr40
	s_and_saveexec_b32 s0, s14
	s_cbranch_execz .LBB767_66
	s_branch .LBB767_65
.LBB767_52:
	s_or_b32 exec_lo, exec_lo, s16
                                        ; implicit-def: $vgpr32
	s_and_saveexec_b32 s16, s0
	s_cbranch_execz .LBB767_40
.LBB767_53:
	v_lshlrev_b32_e32 v32, 2, v0
	s_delay_alu instid0(VALU_DEP_1)
	v_add_co_u32 v32, vcc_lo, v10, v32
	v_add_co_ci_u32_e32 v33, vcc_lo, 0, v12, vcc_lo
	flat_load_b32 v32, v[32:33] offset:1024
	s_or_b32 exec_lo, exec_lo, s16
                                        ; implicit-def: $vgpr33
	s_and_saveexec_b32 s0, s1
	s_cbranch_execnz .LBB767_41
.LBB767_54:
	s_or_b32 exec_lo, exec_lo, s0
                                        ; implicit-def: $vgpr34
	s_and_saveexec_b32 s0, s4
	s_cbranch_execz .LBB767_42
.LBB767_55:
	v_lshlrev_b32_e32 v34, 2, v0
	s_delay_alu instid0(VALU_DEP_1)
	v_add_co_u32 v34, vcc_lo, v10, v34
	v_add_co_ci_u32_e32 v35, vcc_lo, 0, v12, vcc_lo
	flat_load_b32 v34, v[34:35] offset:3072
	s_or_b32 exec_lo, exec_lo, s0
                                        ; implicit-def: $vgpr35
	s_and_saveexec_b32 s0, s5
	s_cbranch_execnz .LBB767_43
.LBB767_56:
	s_or_b32 exec_lo, exec_lo, s0
                                        ; implicit-def: $vgpr17
	s_and_saveexec_b32 s0, s6
	s_cbranch_execz .LBB767_44
.LBB767_57:
	v_lshlrev_b32_e32 v17, 2, v18
	s_delay_alu instid0(VALU_DEP_1)
	v_add_co_u32 v17, vcc_lo, v10, v17
	v_add_co_ci_u32_e32 v18, vcc_lo, 0, v12, vcc_lo
	flat_load_b32 v17, v[17:18]
	s_or_b32 exec_lo, exec_lo, s0
                                        ; implicit-def: $vgpr18
	s_and_saveexec_b32 s0, s7
	s_cbranch_execnz .LBB767_45
.LBB767_58:
	s_or_b32 exec_lo, exec_lo, s0
                                        ; implicit-def: $vgpr36
	s_and_saveexec_b32 s0, s8
	s_cbranch_execz .LBB767_46
.LBB767_59:
	v_lshlrev_b32_e32 v19, 2, v21
	s_delay_alu instid0(VALU_DEP_1)
	v_add_co_u32 v36, vcc_lo, v10, v19
	v_add_co_ci_u32_e32 v37, vcc_lo, 0, v12, vcc_lo
	flat_load_b32 v36, v[36:37]
	s_or_b32 exec_lo, exec_lo, s0
                                        ; implicit-def: $vgpr21
	s_and_saveexec_b32 s0, s9
	s_cbranch_execnz .LBB767_47
.LBB767_60:
	s_or_b32 exec_lo, exec_lo, s0
                                        ; implicit-def: $vgpr23
	s_and_saveexec_b32 s0, s10
	s_cbranch_execz .LBB767_48
.LBB767_61:
	v_lshlrev_b32_e32 v19, 2, v24
	s_delay_alu instid0(VALU_DEP_1)
	v_add_co_u32 v23, vcc_lo, v10, v19
	v_add_co_ci_u32_e32 v24, vcc_lo, 0, v12, vcc_lo
	flat_load_b32 v23, v[23:24]
	s_or_b32 exec_lo, exec_lo, s0
                                        ; implicit-def: $vgpr24
	s_and_saveexec_b32 s0, s11
	s_cbranch_execnz .LBB767_49
.LBB767_62:
	s_or_b32 exec_lo, exec_lo, s0
                                        ; implicit-def: $vgpr37
	s_and_saveexec_b32 s0, s12
	s_cbranch_execz .LBB767_50
.LBB767_63:
	v_lshlrev_b32_e32 v19, 2, v26
	s_delay_alu instid0(VALU_DEP_1)
	v_add_co_u32 v25, vcc_lo, v10, v19
	v_add_co_ci_u32_e32 v26, vcc_lo, 0, v12, vcc_lo
	flat_load_b32 v37, v[25:26]
	s_or_b32 exec_lo, exec_lo, s0
                                        ; implicit-def: $vgpr39
	s_and_saveexec_b32 s0, s13
	s_cbranch_execnz .LBB767_51
.LBB767_64:
	s_or_b32 exec_lo, exec_lo, s0
                                        ; implicit-def: $vgpr40
	s_and_saveexec_b32 s0, s14
	s_cbranch_execz .LBB767_66
.LBB767_65:
	v_lshlrev_b32_e32 v19, 2, v28
	s_delay_alu instid0(VALU_DEP_1)
	v_add_co_u32 v25, vcc_lo, v10, v19
	v_add_co_ci_u32_e32 v26, vcc_lo, 0, v12, vcc_lo
	flat_load_b32 v40, v[25:26]
.LBB767_66:
	s_or_b32 exec_lo, exec_lo, s0
	v_mul_u32_u24_e32 v19, 15, v0
                                        ; implicit-def: $vgpr41
	s_and_saveexec_b32 s0, s15
	s_cbranch_execz .LBB767_68
; %bb.67:
	v_lshlrev_b32_e32 v25, 2, v29
	s_delay_alu instid0(VALU_DEP_1)
	v_add_co_u32 v25, vcc_lo, v10, v25
	v_add_co_ci_u32_e32 v26, vcc_lo, 0, v12, vcc_lo
	flat_load_b32 v41, v[25:26]
.LBB767_68:
	s_or_b32 exec_lo, exec_lo, s0
	s_delay_alu instid0(VALU_DEP_1)
	v_add_nc_u32_e32 v27, 1, v19
	v_add_nc_u32_e32 v29, 3, v19
	;; [unrolled: 1-line block ×3, first 2 shown]
	v_mad_i32_i24 v10, 0xffffffe6, v0, v30
	v_add_nc_u32_e32 v38, 7, v19
	v_add_nc_u32_e32 v30, 9, v19
	;; [unrolled: 1-line block ×4, first 2 shown]
	s_waitcnt vmcnt(0) lgkmcnt(0)
	ds_store_2addr_stride64_b32 v10, v31, v32 offset1:4
	ds_store_2addr_stride64_b32 v10, v33, v34 offset0:8 offset1:12
	ds_store_2addr_stride64_b32 v10, v35, v17 offset0:16 offset1:20
	;; [unrolled: 1-line block ×6, first 2 shown]
	ds_store_b32 v10, v41 offset:14336
	s_waitcnt lgkmcnt(0)
	s_barrier
.LBB767_69:
	v_lshlrev_b32_e32 v10, 2, v19
	buffer_gl0_inv
	v_lshlrev_b32_e32 v12, 2, v29
	v_lshlrev_b32_e32 v17, 2, v26
	;; [unrolled: 1-line block ×3, first 2 shown]
	ds_load_2addr_b32 v[48:49], v10 offset1:2
	ds_load_2addr_b32 v[46:47], v10 offset0:4 offset1:6
	ds_load_2addr_b32 v[32:33], v10 offset0:8 offset1:10
	;; [unrolled: 1-line block ×3, first 2 shown]
	v_lshlrev_b32_e32 v10, 2, v27
	v_lshlrev_b32_e32 v23, 2, v30
	;; [unrolled: 1-line block ×4, first 2 shown]
	ds_load_b32 v73, v10
	ds_load_b32 v72, v12
	;; [unrolled: 1-line block ×7, first 2 shown]
	s_cmp_eq_u64 s[24:25], 0
	s_waitcnt lgkmcnt(0)
	s_cselect_b32 s27, -1, 0
	s_cmp_lg_u64 s[24:25], 0
	s_barrier
	s_cselect_b32 s41, -1, 0
	s_and_b32 vcc_lo, exec_lo, s40
	buffer_gl0_inv
	s_cbranch_vccz .LBB767_75
; %bb.70:
	s_and_b32 vcc_lo, exec_lo, s41
	s_cbranch_vccz .LBB767_135
; %bb.71:
	v_add_co_u32 v23, vcc_lo, -2, v8
	v_add_co_ci_u32_e32 v24, vcc_lo, -1, v6, vcc_lo
	v_lshrrev_b32_e32 v21, 16, v14
	v_lshrrev_b32_e32 v17, 16, v15
	v_lshlrev_b32_e32 v12, 1, v0
	flat_load_u16 v10, v[23:24]
	v_lshrrev_b32_e32 v23, 16, v13
	v_lshrrev_b32_e32 v24, 16, v4
	v_cmp_ne_u16_e64 s0, v21, v15
	v_cmp_ne_u16_e64 s1, v14, v21
	v_lshrrev_b32_e32 v21, 16, v3
	v_cmp_ne_u16_e64 s4, v23, v14
	v_cmp_ne_u16_e64 s5, v13, v23
	;; [unrolled: 1-line block ×3, first 2 shown]
	v_lshrrev_b32_e32 v23, 16, v2
	v_cmp_ne_u16_e64 s7, v4, v24
	v_lshrrev_b32_e32 v24, 16, v1
	v_cmp_ne_u16_e32 vcc_lo, v15, v17
	v_cmp_ne_u16_e64 s8, v21, v4
	v_cmp_ne_u16_e64 s9, v3, v21
	;; [unrolled: 1-line block ×7, first 2 shown]
	s_mov_b32 s16, -1
	ds_store_b16 v12, v17
	s_waitcnt vmcnt(0) lgkmcnt(0)
	s_barrier
	buffer_gl0_inv
	s_and_saveexec_b32 s15, s3
	s_cbranch_execz .LBB767_73
; %bb.72:
	v_add_nc_u32_e32 v10, -2, v12
	ds_load_u16 v10, v10
.LBB767_73:
	s_or_b32 exec_lo, exec_lo, s15
	v_cndmask_b32_e64 v55, 0, 1, vcc_lo
	v_cndmask_b32_e64 v50, 0, 1, s0
	v_cndmask_b32_e64 v51, 0, 1, s1
	;; [unrolled: 1-line block ×13, first 2 shown]
	s_waitcnt lgkmcnt(0)
	v_cmp_ne_u16_e64 s0, v10, v56
.LBB767_74:
                                        ; implicit-def: $sgpr7
	s_branch .LBB767_76
.LBB767_75:
	s_mov_b32 s16, 0
                                        ; implicit-def: $sgpr0
                                        ; implicit-def: $vgpr55
                                        ; implicit-def: $vgpr50
                                        ; implicit-def: $vgpr51
                                        ; implicit-def: $vgpr52
                                        ; implicit-def: $vgpr53
                                        ; implicit-def: $vgpr54
                                        ; implicit-def: $vgpr57
                                        ; implicit-def: $vgpr58
                                        ; implicit-def: $vgpr59
                                        ; implicit-def: $vgpr60
                                        ; implicit-def: $vgpr61
                                        ; implicit-def: $vgpr62
                                        ; implicit-def: $vgpr63
                                        ; implicit-def: $vgpr64
                                        ; implicit-def: $sgpr7
	s_cbranch_execnz .LBB767_139
.LBB767_76:
	v_mov_b32_e32 v65, s7
	s_and_saveexec_b32 s1, s16
.LBB767_77:
	s_delay_alu instid0(VALU_DEP_2)
	v_cndmask_b32_e64 v65, 0, 1, s0
.LBB767_78:
	s_or_b32 exec_lo, exec_lo, s1
	s_delay_alu instid0(VALU_DEP_1)
	v_add3_u32 v5, v64, v65, v63
	v_cmp_eq_u32_e64 s13, 0, v64
	v_cmp_eq_u32_e64 s12, 0, v63
	;; [unrolled: 1-line block ×4, first 2 shown]
	v_add3_u32 v77, v5, v62, v61
	v_cmp_eq_u32_e64 s9, 0, v60
	v_cmp_eq_u32_e64 s8, 0, v59
	;; [unrolled: 1-line block ×9, first 2 shown]
	v_cmp_eq_u32_e32 vcc_lo, 0, v55
	v_mbcnt_lo_u32_b32 v74, -1, 0
	v_lshrrev_b32_e32 v75, 5, v0
	v_or_b32_e32 v76, 31, v0
	s_cmp_eq_u64 s[22:23], 0
	s_cselect_b32 s16, -1, 0
	s_cmp_lg_u32 s33, 0
	s_cbranch_scc0 .LBB767_104
; %bb.79:
	v_cndmask_b32_e64 v5, 0, v48, s13
	v_add3_u32 v6, v77, v60, v59
	v_and_b32_e32 v8, 15, v74
	s_delay_alu instid0(VALU_DEP_3) | instskip(NEXT) | instid1(VALU_DEP_3)
	v_add_nc_u32_e32 v5, v5, v73
	v_add3_u32 v6, v6, v58, v57
	s_delay_alu instid0(VALU_DEP_3) | instskip(NEXT) | instid1(VALU_DEP_3)
	v_cmp_lt_u32_e64 s14, 1, v8
	v_cndmask_b32_e64 v5, 0, v5, s12
	s_delay_alu instid0(VALU_DEP_3) | instskip(NEXT) | instid1(VALU_DEP_2)
	v_add3_u32 v6, v6, v54, v53
	v_add_nc_u32_e32 v5, v5, v49
	s_delay_alu instid0(VALU_DEP_2) | instskip(NEXT) | instid1(VALU_DEP_2)
	v_add3_u32 v6, v6, v52, v51
	v_cndmask_b32_e64 v5, 0, v5, s11
	s_delay_alu instid0(VALU_DEP_2) | instskip(NEXT) | instid1(VALU_DEP_2)
	v_add3_u32 v6, v6, v50, v55
	v_add_nc_u32_e32 v5, v5, v72
	s_delay_alu instid0(VALU_DEP_2) | instskip(NEXT) | instid1(VALU_DEP_2)
	v_mov_b32_dpp v9, v6 row_shr:1 row_mask:0xf bank_mask:0xf
	v_cndmask_b32_e64 v5, 0, v5, s10
	s_delay_alu instid0(VALU_DEP_1) | instskip(NEXT) | instid1(VALU_DEP_1)
	v_add_nc_u32_e32 v5, v5, v46
	v_cndmask_b32_e64 v5, 0, v5, s9
	s_delay_alu instid0(VALU_DEP_1) | instskip(NEXT) | instid1(VALU_DEP_1)
	v_add_nc_u32_e32 v5, v5, v71
	;; [unrolled: 3-line block ×10, first 2 shown]
	v_cndmask_b32_e32 v5, 0, v5, vcc_lo
	v_cmp_eq_u32_e32 vcc_lo, 0, v6
	s_delay_alu instid0(VALU_DEP_2) | instskip(NEXT) | instid1(VALU_DEP_1)
	v_add_nc_u32_e32 v5, v5, v19
	v_mov_b32_dpp v7, v5 row_shr:1 row_mask:0xf bank_mask:0xf
	s_delay_alu instid0(VALU_DEP_1) | instskip(SKIP_2) | instid1(VALU_DEP_1)
	v_cndmask_b32_e32 v7, 0, v7, vcc_lo
	v_cmp_eq_u32_e32 vcc_lo, 0, v8
	v_cndmask_b32_e64 v9, v9, 0, vcc_lo
	v_add_nc_u32_e32 v6, v9, v6
	s_delay_alu instid0(VALU_DEP_4) | instskip(NEXT) | instid1(VALU_DEP_2)
	v_cndmask_b32_e64 v7, v7, 0, vcc_lo
	v_cmp_eq_u32_e32 vcc_lo, 0, v6
	s_delay_alu instid0(VALU_DEP_2) | instskip(SKIP_2) | instid1(VALU_DEP_2)
	v_add_nc_u32_e32 v5, v7, v5
	v_mov_b32_dpp v7, v6 row_shr:2 row_mask:0xf bank_mask:0xf
	s_and_b32 vcc_lo, s14, vcc_lo
	v_mov_b32_dpp v9, v5 row_shr:2 row_mask:0xf bank_mask:0xf
	s_delay_alu instid0(VALU_DEP_2) | instskip(SKIP_1) | instid1(VALU_DEP_2)
	v_cndmask_b32_e64 v7, 0, v7, s14
	v_cmp_lt_u32_e64 s14, 3, v8
	v_dual_cndmask_b32 v9, 0, v9 :: v_dual_add_nc_u32 v6, v6, v7
	s_delay_alu instid0(VALU_DEP_1) | instskip(NEXT) | instid1(VALU_DEP_2)
	v_add_nc_u32_e32 v5, v9, v5
	v_mov_b32_dpp v7, v6 row_shr:4 row_mask:0xf bank_mask:0xf
	v_cmp_eq_u32_e32 vcc_lo, 0, v6
	s_delay_alu instid0(VALU_DEP_3) | instskip(NEXT) | instid1(VALU_DEP_3)
	v_mov_b32_dpp v9, v5 row_shr:4 row_mask:0xf bank_mask:0xf
	v_cndmask_b32_e64 v7, 0, v7, s14
	s_and_b32 vcc_lo, s14, vcc_lo
	v_cmp_lt_u32_e64 s14, 7, v8
	s_delay_alu instid0(VALU_DEP_2) | instskip(NEXT) | instid1(VALU_DEP_1)
	v_dual_cndmask_b32 v9, 0, v9 :: v_dual_add_nc_u32 v6, v7, v6
	v_add_nc_u32_e32 v5, v5, v9
	s_delay_alu instid0(VALU_DEP_2) | instskip(SKIP_2) | instid1(VALU_DEP_4)
	v_cmp_eq_u32_e32 vcc_lo, 0, v6
	v_mov_b32_dpp v7, v6 row_shr:8 row_mask:0xf bank_mask:0xf
	v_bfe_i32 v9, v74, 4, 1
	v_mov_b32_dpp v8, v5 row_shr:8 row_mask:0xf bank_mask:0xf
	s_and_b32 vcc_lo, s14, vcc_lo
	s_delay_alu instid0(VALU_DEP_3) | instskip(SKIP_1) | instid1(VALU_DEP_2)
	v_cndmask_b32_e64 v7, 0, v7, s14
	s_mov_b32 s14, exec_lo
	v_cndmask_b32_e32 v8, 0, v8, vcc_lo
	s_delay_alu instid0(VALU_DEP_1) | instskip(NEXT) | instid1(VALU_DEP_3)
	v_add_nc_u32_e32 v8, v8, v5
	v_add_nc_u32_e32 v5, v7, v6
	ds_swizzle_b32 v6, v8 offset:swizzle(BROADCAST,32,15)
	ds_swizzle_b32 v7, v5 offset:swizzle(BROADCAST,32,15)
	v_cmp_eq_u32_e32 vcc_lo, 0, v5
	s_waitcnt lgkmcnt(0)
	v_dual_cndmask_b32 v6, 0, v6 :: v_dual_and_b32 v7, v9, v7
	s_delay_alu instid0(VALU_DEP_1) | instskip(NEXT) | instid1(VALU_DEP_2)
	v_and_b32_e32 v6, v9, v6
	v_add_nc_u32_e32 v5, v7, v5
	v_lshlrev_b32_e32 v7, 3, v75
	s_delay_alu instid0(VALU_DEP_3)
	v_add_nc_u32_e32 v6, v6, v8
	v_cmpx_eq_u32_e64 v76, v0
	s_cbranch_execz .LBB767_81
; %bb.80:
	ds_store_b64 v7, v[5:6] offset:1040
.LBB767_81:
	s_or_b32 exec_lo, exec_lo, s14
	s_delay_alu instid0(SALU_CYCLE_1)
	s_mov_b32 s15, exec_lo
	s_waitcnt lgkmcnt(0)
	s_barrier
	buffer_gl0_inv
	v_cmpx_gt_u32_e32 8, v0
	s_cbranch_execz .LBB767_83
; %bb.82:
	v_lshlrev_b32_e32 v10, 3, v0
	v_and_b32_e32 v12, 7, v74
	ds_load_b64 v[8:9], v10 offset:1040
	v_cmp_lt_u32_e64 s14, 1, v12
	s_waitcnt lgkmcnt(0)
	v_mov_b32_dpp v11, v9 row_shr:1 row_mask:0xf bank_mask:0xf
	v_cmp_eq_u32_e32 vcc_lo, 0, v8
	v_mov_b32_dpp v16, v8 row_shr:1 row_mask:0xf bank_mask:0xf
	s_delay_alu instid0(VALU_DEP_3) | instskip(SKIP_1) | instid1(VALU_DEP_3)
	v_cndmask_b32_e32 v11, 0, v11, vcc_lo
	v_cmp_eq_u32_e32 vcc_lo, 0, v12
	v_cndmask_b32_e64 v16, v16, 0, vcc_lo
	s_delay_alu instid0(VALU_DEP_3) | instskip(NEXT) | instid1(VALU_DEP_2)
	v_cndmask_b32_e64 v11, v11, 0, vcc_lo
	v_add_nc_u32_e32 v8, v16, v8
	s_delay_alu instid0(VALU_DEP_1) | instskip(SKIP_1) | instid1(VALU_DEP_3)
	v_cmp_eq_u32_e32 vcc_lo, 0, v8
	s_and_b32 vcc_lo, s14, vcc_lo
	v_add_nc_u32_e32 v9, v11, v9
	v_mov_b32_dpp v11, v8 row_shr:2 row_mask:0xf bank_mask:0xf
	s_delay_alu instid0(VALU_DEP_2) | instskip(NEXT) | instid1(VALU_DEP_2)
	v_mov_b32_dpp v16, v9 row_shr:2 row_mask:0xf bank_mask:0xf
	v_cndmask_b32_e64 v11, 0, v11, s14
	v_cmp_lt_u32_e64 s14, 3, v12
	s_delay_alu instid0(VALU_DEP_3) | instskip(NEXT) | instid1(VALU_DEP_3)
	v_cndmask_b32_e32 v16, 0, v16, vcc_lo
	v_add_nc_u32_e32 v8, v11, v8
	s_delay_alu instid0(VALU_DEP_1) | instskip(SKIP_3) | instid1(VALU_DEP_2)
	v_cmp_eq_u32_e32 vcc_lo, 0, v8
	v_mov_b32_dpp v11, v8 row_shr:4 row_mask:0xf bank_mask:0xf
	s_and_b32 vcc_lo, s14, vcc_lo
	v_add_nc_u32_e32 v9, v16, v9
	v_cndmask_b32_e64 v11, 0, v11, s14
	s_delay_alu instid0(VALU_DEP_2) | instskip(NEXT) | instid1(VALU_DEP_2)
	v_mov_b32_dpp v12, v9 row_shr:4 row_mask:0xf bank_mask:0xf
	v_add_nc_u32_e32 v8, v11, v8
	s_delay_alu instid0(VALU_DEP_2) | instskip(NEXT) | instid1(VALU_DEP_1)
	v_cndmask_b32_e32 v12, 0, v12, vcc_lo
	v_add_nc_u32_e32 v9, v12, v9
	ds_store_b64 v10, v[8:9] offset:1040
.LBB767_83:
	s_or_b32 exec_lo, exec_lo, s15
	v_cmp_gt_u32_e32 vcc_lo, 32, v0
	v_dual_mov_b32 v16, 0 :: v_dual_mov_b32 v17, 0
	s_mov_b32 s15, exec_lo
	s_waitcnt lgkmcnt(0)
	s_barrier
	buffer_gl0_inv
	v_cmpx_lt_u32_e32 31, v0
	s_cbranch_execz .LBB767_85
; %bb.84:
	ds_load_b64 v[16:17], v7 offset:1032
	v_cmp_eq_u32_e64 s14, 0, v5
	s_waitcnt lgkmcnt(0)
	s_delay_alu instid0(VALU_DEP_1) | instskip(SKIP_1) | instid1(VALU_DEP_2)
	v_cndmask_b32_e64 v7, 0, v17, s14
	v_add_nc_u32_e32 v5, v16, v5
	v_add_nc_u32_e32 v6, v7, v6
.LBB767_85:
	s_or_b32 exec_lo, exec_lo, s15
	v_add_nc_u32_e32 v7, -1, v74
	s_delay_alu instid0(VALU_DEP_1) | instskip(NEXT) | instid1(VALU_DEP_1)
	v_cmp_gt_i32_e64 s14, 0, v7
	v_cndmask_b32_e64 v7, v7, v74, s14
	v_cmp_eq_u32_e64 s14, 0, v74
	s_delay_alu instid0(VALU_DEP_2)
	v_lshlrev_b32_e32 v7, 2, v7
	ds_bpermute_b32 v24, v7, v5
	ds_bpermute_b32 v25, v7, v6
	s_and_saveexec_b32 s22, vcc_lo
	s_cbranch_execz .LBB767_103
; %bb.86:
	v_mov_b32_e32 v8, 0
	ds_load_b64 v[5:6], v8 offset:1096
	s_waitcnt lgkmcnt(0)
	v_readfirstlane_b32 s23, v6
	s_and_saveexec_b32 s15, s14
	s_cbranch_execz .LBB767_88
; %bb.87:
	s_add_i32 s24, s33, 32
	s_mov_b32 s25, 0
	v_mov_b32_e32 v7, 1
	s_lshl_b64 s[36:37], s[24:25], 4
	s_mov_b32 s40, s25
	s_add_u32 s36, s20, s36
	s_addc_u32 s37, s21, s37
	s_and_b32 s41, s23, 0xff000000
	s_and_b32 s43, s23, 0xff0000
	s_mov_b32 s42, s25
	v_dual_mov_b32 v9, s36 :: v_dual_mov_b32 v10, s37
	s_or_b64 s[40:41], s[42:43], s[40:41]
	s_and_b32 s43, s23, 0xff00
	s_delay_alu instid0(SALU_CYCLE_1) | instskip(SKIP_1) | instid1(SALU_CYCLE_1)
	s_or_b64 s[40:41], s[40:41], s[42:43]
	s_and_b32 s43, s23, 0xff
	s_or_b64 s[24:25], s[40:41], s[42:43]
	s_delay_alu instid0(SALU_CYCLE_1)
	v_mov_b32_e32 v6, s25
	;;#ASMSTART
	global_store_dwordx4 v[9:10], v[5:8] off	
s_waitcnt vmcnt(0)
	;;#ASMEND
.LBB767_88:
	s_or_b32 exec_lo, exec_lo, s15
	v_xad_u32 v20, v74, -1, s33
	s_mov_b32 s24, 0
	s_mov_b32 s15, exec_lo
	s_delay_alu instid0(VALU_DEP_1) | instskip(NEXT) | instid1(VALU_DEP_1)
	v_add_nc_u32_e32 v7, 32, v20
	v_lshlrev_b64 v[6:7], 4, v[7:8]
	s_delay_alu instid0(VALU_DEP_1) | instskip(NEXT) | instid1(VALU_DEP_2)
	v_add_co_u32 v6, vcc_lo, s20, v6
	v_add_co_ci_u32_e32 v7, vcc_lo, s21, v7, vcc_lo
	;;#ASMSTART
	global_load_dwordx4 v[9:12], v[6:7] off glc	
s_waitcnt vmcnt(0)
	;;#ASMEND
	v_and_b32_e32 v8, 0xff, v10
	v_and_b32_e32 v12, 0xff00, v10
	;; [unrolled: 1-line block ×3, first 2 shown]
	v_or3_b32 v9, v9, 0, 0
	v_and_b32_e32 v10, 0xff000000, v10
	s_delay_alu instid0(VALU_DEP_4) | instskip(SKIP_1) | instid1(VALU_DEP_4)
	v_or3_b32 v8, 0, v8, v12
	v_and_b32_e32 v12, 0xff, v11
	v_or3_b32 v9, v9, 0, 0
	s_delay_alu instid0(VALU_DEP_3) | instskip(NEXT) | instid1(VALU_DEP_3)
	v_or3_b32 v10, v8, v21, v10
	v_cmpx_eq_u16_e32 0, v12
	s_cbranch_execz .LBB767_91
.LBB767_89:                             ; =>This Inner Loop Header: Depth=1
	;;#ASMSTART
	global_load_dwordx4 v[9:12], v[6:7] off glc	
s_waitcnt vmcnt(0)
	;;#ASMEND
	v_and_b32_e32 v8, 0xff, v11
	s_delay_alu instid0(VALU_DEP_1) | instskip(SKIP_1) | instid1(SALU_CYCLE_1)
	v_cmp_ne_u16_e32 vcc_lo, 0, v8
	s_or_b32 s24, vcc_lo, s24
	s_and_not1_b32 exec_lo, exec_lo, s24
	s_cbranch_execnz .LBB767_89
; %bb.90:
	s_or_b32 exec_lo, exec_lo, s24
.LBB767_91:
	s_delay_alu instid0(SALU_CYCLE_1)
	s_or_b32 exec_lo, exec_lo, s15
	v_cmp_ne_u32_e32 vcc_lo, 31, v74
	v_and_b32_e32 v7, 0xff, v11
	v_lshlrev_b32_e64 v26, v74, -1
	v_add_nc_u32_e32 v28, 2, v74
	v_add_nc_u32_e32 v30, 4, v74
	v_add_co_ci_u32_e32 v6, vcc_lo, 0, v74, vcc_lo
	v_cmp_eq_u16_e32 vcc_lo, 2, v7
	v_add_nc_u32_e32 v34, 8, v74
	v_add_nc_u32_e32 v36, 16, v74
	v_and_or_b32 v12, vcc_lo, v26, 0x80000000
	v_cmp_gt_u32_e32 vcc_lo, 30, v74
	s_delay_alu instid0(VALU_DEP_2) | instskip(SKIP_2) | instid1(VALU_DEP_3)
	v_ctz_i32_b32_e32 v12, v12
	v_cndmask_b32_e64 v21, 0, 1, vcc_lo
	v_cmp_eq_u32_e32 vcc_lo, 0, v9
	v_cmp_lt_u32_e64 s15, v74, v12
	s_delay_alu instid0(VALU_DEP_3) | instskip(NEXT) | instid1(VALU_DEP_2)
	v_lshlrev_b32_e32 v21, 1, v21
	s_and_b32 vcc_lo, s15, vcc_lo
	v_lshlrev_b32_e32 v6, 2, v6
	s_delay_alu instid0(VALU_DEP_2)
	v_add_lshl_u32 v27, v21, v74, 2
	ds_bpermute_b32 v7, v6, v10
	s_waitcnt lgkmcnt(0)
	v_cndmask_b32_e32 v7, 0, v7, vcc_lo
	ds_bpermute_b32 v8, v6, v9
	v_cmp_gt_u32_e32 vcc_lo, 28, v74
	v_add_nc_u32_e32 v7, v7, v10
	ds_bpermute_b32 v10, v27, v7
	s_waitcnt lgkmcnt(1)
	v_cndmask_b32_e64 v8, 0, v8, s15
	s_delay_alu instid0(VALU_DEP_1) | instskip(SKIP_1) | instid1(VALU_DEP_2)
	v_add_nc_u32_e32 v8, v8, v9
	v_cndmask_b32_e64 v9, 0, 1, vcc_lo
	v_cmp_eq_u32_e32 vcc_lo, 0, v8
	ds_bpermute_b32 v21, v27, v8
	s_waitcnt lgkmcnt(1)
	v_dual_cndmask_b32 v10, 0, v10 :: v_dual_lshlrev_b32 v9, 2, v9
	v_cmp_gt_u32_e32 vcc_lo, v28, v12
	s_delay_alu instid0(VALU_DEP_2) | instskip(NEXT) | instid1(VALU_DEP_3)
	v_add_lshl_u32 v29, v9, v74, 2
	v_cndmask_b32_e64 v10, v10, 0, vcc_lo
	s_delay_alu instid0(VALU_DEP_1) | instskip(SKIP_4) | instid1(VALU_DEP_2)
	v_add_nc_u32_e32 v7, v10, v7
	ds_bpermute_b32 v9, v29, v7
	s_waitcnt lgkmcnt(1)
	v_cndmask_b32_e64 v10, v21, 0, vcc_lo
	v_cmp_gt_u32_e32 vcc_lo, 24, v74
	v_add_nc_u32_e32 v8, v8, v10
	v_cndmask_b32_e64 v21, 0, 1, vcc_lo
	ds_bpermute_b32 v10, v29, v8
	v_cmp_eq_u32_e32 vcc_lo, 0, v8
	v_lshlrev_b32_e32 v21, 3, v21
	s_delay_alu instid0(VALU_DEP_1) | instskip(SKIP_3) | instid1(VALU_DEP_2)
	v_add_lshl_u32 v31, v21, v74, 2
	s_waitcnt lgkmcnt(1)
	v_cndmask_b32_e32 v9, 0, v9, vcc_lo
	v_cmp_gt_u32_e32 vcc_lo, v30, v12
	v_cndmask_b32_e64 v9, v9, 0, vcc_lo
	s_delay_alu instid0(VALU_DEP_1)
	v_add_nc_u32_e32 v7, v7, v9
	s_waitcnt lgkmcnt(0)
	v_cndmask_b32_e64 v10, v10, 0, vcc_lo
	v_cmp_gt_u32_e32 vcc_lo, 16, v74
	ds_bpermute_b32 v9, v31, v7
	v_add_nc_u32_e32 v8, v8, v10
	v_cndmask_b32_e64 v21, 0, 1, vcc_lo
	ds_bpermute_b32 v10, v31, v8
	v_cmp_eq_u32_e32 vcc_lo, 0, v8
	v_lshlrev_b32_e32 v21, 4, v21
	s_delay_alu instid0(VALU_DEP_1) | instskip(SKIP_4) | instid1(VALU_DEP_2)
	v_add_lshl_u32 v35, v21, v74, 2
	v_mov_b32_e32 v21, 0
	s_waitcnt lgkmcnt(1)
	v_cndmask_b32_e32 v9, 0, v9, vcc_lo
	v_cmp_gt_u32_e32 vcc_lo, v34, v12
	v_cndmask_b32_e64 v9, v9, 0, vcc_lo
	s_delay_alu instid0(VALU_DEP_1)
	v_add_nc_u32_e32 v7, v7, v9
	s_waitcnt lgkmcnt(0)
	v_cndmask_b32_e64 v9, v10, 0, vcc_lo
	ds_bpermute_b32 v10, v35, v7
	v_add_nc_u32_e32 v8, v8, v9
	ds_bpermute_b32 v9, v35, v8
	v_cmp_eq_u32_e32 vcc_lo, 0, v8
	s_waitcnt lgkmcnt(1)
	v_cndmask_b32_e32 v10, 0, v10, vcc_lo
	v_cmp_gt_u32_e32 vcc_lo, v36, v12
	s_delay_alu instid0(VALU_DEP_2) | instskip(SKIP_2) | instid1(VALU_DEP_2)
	v_cndmask_b32_e64 v10, v10, 0, vcc_lo
	s_waitcnt lgkmcnt(0)
	v_cndmask_b32_e64 v9, v9, 0, vcc_lo
	v_add_nc_u32_e32 v10, v10, v7
	s_delay_alu instid0(VALU_DEP_2)
	v_add_nc_u32_e32 v9, v9, v8
	s_branch .LBB767_93
.LBB767_92:                             ;   in Loop: Header=BB767_93 Depth=1
	s_or_b32 exec_lo, exec_lo, s15
	v_and_b32_e32 v12, 0xff, v11
	ds_bpermute_b32 v22, v6, v9
	v_subrev_nc_u32_e32 v20, 32, v20
	v_cmp_eq_u16_e32 vcc_lo, 2, v12
	ds_bpermute_b32 v12, v6, v10
	v_and_or_b32 v23, vcc_lo, v26, 0x80000000
	v_cmp_eq_u32_e32 vcc_lo, 0, v9
	s_delay_alu instid0(VALU_DEP_2) | instskip(NEXT) | instid1(VALU_DEP_1)
	v_ctz_i32_b32_e32 v23, v23
	v_cmp_lt_u32_e64 s15, v74, v23
	s_delay_alu instid0(VALU_DEP_1) | instskip(SKIP_4) | instid1(VALU_DEP_2)
	s_and_b32 vcc_lo, s15, vcc_lo
	s_waitcnt lgkmcnt(1)
	v_cndmask_b32_e64 v22, 0, v22, s15
	s_waitcnt lgkmcnt(0)
	v_cndmask_b32_e32 v12, 0, v12, vcc_lo
	v_add_nc_u32_e32 v9, v22, v9
	s_delay_alu instid0(VALU_DEP_2)
	v_add_nc_u32_e32 v10, v12, v10
	ds_bpermute_b32 v22, v27, v9
	ds_bpermute_b32 v12, v27, v10
	v_cmp_eq_u32_e32 vcc_lo, 0, v9
	s_waitcnt lgkmcnt(0)
	v_cndmask_b32_e32 v12, 0, v12, vcc_lo
	v_cmp_gt_u32_e32 vcc_lo, v28, v23
	v_cndmask_b32_e64 v22, v22, 0, vcc_lo
	s_delay_alu instid0(VALU_DEP_1) | instskip(NEXT) | instid1(VALU_DEP_4)
	v_add_nc_u32_e32 v9, v9, v22
	v_cndmask_b32_e64 v12, v12, 0, vcc_lo
	ds_bpermute_b32 v22, v29, v9
	v_add_nc_u32_e32 v10, v12, v10
	v_cmp_eq_u32_e32 vcc_lo, 0, v9
	ds_bpermute_b32 v12, v29, v10
	s_waitcnt lgkmcnt(0)
	v_cndmask_b32_e32 v12, 0, v12, vcc_lo
	v_cmp_gt_u32_e32 vcc_lo, v30, v23
	v_cndmask_b32_e64 v22, v22, 0, vcc_lo
	s_delay_alu instid0(VALU_DEP_1) | instskip(NEXT) | instid1(VALU_DEP_4)
	v_add_nc_u32_e32 v9, v9, v22
	v_cndmask_b32_e64 v12, v12, 0, vcc_lo
	ds_bpermute_b32 v22, v31, v9
	v_add_nc_u32_e32 v10, v10, v12
	v_cmp_eq_u32_e32 vcc_lo, 0, v9
	ds_bpermute_b32 v12, v31, v10
	;; [unrolled: 11-line block ×3, first 2 shown]
	s_waitcnt lgkmcnt(0)
	v_cndmask_b32_e32 v12, 0, v12, vcc_lo
	v_cmp_gt_u32_e32 vcc_lo, v36, v23
	s_delay_alu instid0(VALU_DEP_2) | instskip(NEXT) | instid1(VALU_DEP_1)
	v_cndmask_b32_e64 v12, v12, 0, vcc_lo
	v_add_nc_u32_e32 v10, v12, v10
	v_cndmask_b32_e64 v12, v22, 0, vcc_lo
	v_cmp_eq_u32_e32 vcc_lo, 0, v7
	s_delay_alu instid0(VALU_DEP_2) | instskip(NEXT) | instid1(VALU_DEP_4)
	v_add3_u32 v9, v9, v7, v12
	v_cndmask_b32_e32 v10, 0, v10, vcc_lo
	s_delay_alu instid0(VALU_DEP_1)
	v_add_nc_u32_e32 v10, v10, v8
.LBB767_93:                             ; =>This Loop Header: Depth=1
                                        ;     Child Loop BB767_96 Depth 2
	s_delay_alu instid0(VALU_DEP_1) | instskip(NEXT) | instid1(VALU_DEP_1)
	v_dual_mov_b32 v8, v10 :: v_dual_and_b32 v7, 0xff, v11
	v_cmp_ne_u16_e32 vcc_lo, 2, v7
	v_cndmask_b32_e64 v7, 0, 1, vcc_lo
	;;#ASMSTART
	;;#ASMEND
	s_delay_alu instid0(VALU_DEP_1)
	v_cmp_ne_u32_e32 vcc_lo, 0, v7
	v_mov_b32_e32 v7, v9
	s_cmp_lg_u32 vcc_lo, exec_lo
	s_cbranch_scc1 .LBB767_98
; %bb.94:                               ;   in Loop: Header=BB767_93 Depth=1
	v_lshlrev_b64 v[9:10], 4, v[20:21]
	s_mov_b32 s15, exec_lo
	s_delay_alu instid0(VALU_DEP_1) | instskip(NEXT) | instid1(VALU_DEP_2)
	v_add_co_u32 v22, vcc_lo, s20, v9
	v_add_co_ci_u32_e32 v23, vcc_lo, s21, v10, vcc_lo
	;;#ASMSTART
	global_load_dwordx4 v[9:12], v[22:23] off glc	
s_waitcnt vmcnt(0)
	;;#ASMEND
	v_and_b32_e32 v12, 0xff, v10
	v_and_b32_e32 v37, 0xff00, v10
	;; [unrolled: 1-line block ×3, first 2 shown]
	v_or3_b32 v9, v9, 0, 0
	v_and_b32_e32 v10, 0xff000000, v10
	s_delay_alu instid0(VALU_DEP_4) | instskip(SKIP_1) | instid1(VALU_DEP_4)
	v_or3_b32 v12, 0, v12, v37
	v_and_b32_e32 v37, 0xff, v11
	v_or3_b32 v9, v9, 0, 0
	s_delay_alu instid0(VALU_DEP_3) | instskip(NEXT) | instid1(VALU_DEP_3)
	v_or3_b32 v10, v12, v38, v10
	v_cmpx_eq_u16_e32 0, v37
	s_cbranch_execz .LBB767_92
; %bb.95:                               ;   in Loop: Header=BB767_93 Depth=1
	s_mov_b32 s24, 0
.LBB767_96:                             ;   Parent Loop BB767_93 Depth=1
                                        ; =>  This Inner Loop Header: Depth=2
	;;#ASMSTART
	global_load_dwordx4 v[9:12], v[22:23] off glc	
s_waitcnt vmcnt(0)
	;;#ASMEND
	v_and_b32_e32 v12, 0xff, v11
	s_delay_alu instid0(VALU_DEP_1) | instskip(SKIP_1) | instid1(SALU_CYCLE_1)
	v_cmp_ne_u16_e32 vcc_lo, 0, v12
	s_or_b32 s24, vcc_lo, s24
	s_and_not1_b32 exec_lo, exec_lo, s24
	s_cbranch_execnz .LBB767_96
; %bb.97:                               ;   in Loop: Header=BB767_93 Depth=1
	s_or_b32 exec_lo, exec_lo, s24
	s_branch .LBB767_92
.LBB767_98:                             ;   in Loop: Header=BB767_93 Depth=1
                                        ; implicit-def: $vgpr10
                                        ; implicit-def: $vgpr9
                                        ; implicit-def: $vgpr11
	s_cbranch_execz .LBB767_93
; %bb.99:
	s_and_saveexec_b32 s15, s14
	s_cbranch_execz .LBB767_101
; %bb.100:
	v_cmp_eq_u32_e32 vcc_lo, 0, v5
	s_mov_b32 s25, 0
	s_add_i32 s24, s33, 32
	v_add_nc_u32_e32 v9, v7, v5
	s_lshl_b64 s[24:25], s[24:25], 4
	v_cndmask_b32_e32 v6, 0, v8, vcc_lo
	s_add_u32 s24, s20, s24
	s_addc_u32 s25, s21, s25
	v_mov_b32_e32 v12, 0
	s_delay_alu instid0(VALU_DEP_2) | instskip(NEXT) | instid1(VALU_DEP_1)
	v_add_nc_u32_e32 v6, s23, v6
	v_and_b32_e32 v10, 0xff000000, v6
	v_and_b32_e32 v11, 0xff0000, v6
	s_delay_alu instid0(VALU_DEP_1) | instskip(SKIP_2) | instid1(VALU_DEP_1)
	v_or_b32_e32 v10, v11, v10
	v_dual_mov_b32 v11, 2 :: v_dual_and_b32 v20, 0xff00, v6
	v_and_b32_e32 v6, 0xff, v6
	v_or3_b32 v10, v10, v20, v6
	v_mov_b32_e32 v6, s23
	v_dual_mov_b32 v20, s24 :: v_dual_mov_b32 v21, s25
	;;#ASMSTART
	global_store_dwordx4 v[20:21], v[9:12] off	
s_waitcnt vmcnt(0)
	;;#ASMEND
	ds_store_b128 v12, v[5:8] offset:1024
.LBB767_101:
	s_or_b32 exec_lo, exec_lo, s15
	s_delay_alu instid0(SALU_CYCLE_1)
	s_and_b32 exec_lo, exec_lo, s2
	s_cbranch_execz .LBB767_103
; %bb.102:
	v_mov_b32_e32 v5, 0
	ds_store_b64 v5, v[7:8] offset:1096
.LBB767_103:
	s_or_b32 exec_lo, exec_lo, s22
	s_waitcnt lgkmcnt(1)
	v_cndmask_b32_e64 v8, v24, v16, s14
	s_waitcnt lgkmcnt(0)
	s_barrier
	buffer_gl0_inv
	v_cndmask_b32_e64 v9, v25, v17, s14
	v_cmp_eq_u32_e32 vcc_lo, 0, v8
	v_mov_b32_e32 v7, 0
	ds_load_b64 v[5:6], v7 offset:1096
	s_waitcnt lgkmcnt(0)
	s_barrier
	buffer_gl0_inv
	v_cndmask_b32_e32 v10, 0, v6, vcc_lo
	v_cmp_eq_u32_e32 vcc_lo, 0, v65
	s_delay_alu instid0(VALU_DEP_2) | instskip(NEXT) | instid1(VALU_DEP_1)
	v_add_nc_u32_e32 v9, v10, v9
	v_cndmask_b32_e64 v37, v9, v6, s2
	s_delay_alu instid0(VALU_DEP_1) | instskip(NEXT) | instid1(VALU_DEP_1)
	v_cndmask_b32_e32 v6, 0, v37, vcc_lo
	v_add_nc_u32_e32 v43, v6, v48
	s_delay_alu instid0(VALU_DEP_1) | instskip(NEXT) | instid1(VALU_DEP_1)
	v_cndmask_b32_e64 v6, 0, v43, s13
	v_add_nc_u32_e32 v39, v6, v73
	s_delay_alu instid0(VALU_DEP_1) | instskip(NEXT) | instid1(VALU_DEP_1)
	v_cndmask_b32_e64 v6, 0, v39, s12
	;; [unrolled: 3-line block ×5, first 2 shown]
	v_add_nc_u32_e32 v21, v6, v71
	v_cndmask_b32_e64 v6, v8, 0, s2
	s_delay_alu instid0(VALU_DEP_2) | instskip(NEXT) | instid1(VALU_DEP_2)
	v_cndmask_b32_e64 v8, 0, v21, s8
	v_add_nc_u32_e32 v36, v5, v6
	s_delay_alu instid0(VALU_DEP_2) | instskip(NEXT) | instid1(VALU_DEP_2)
	v_add_nc_u32_e32 v25, v8, v47
	v_add_nc_u32_e32 v42, v36, v65
	s_delay_alu instid0(VALU_DEP_2) | instskip(NEXT) | instid1(VALU_DEP_2)
	v_cndmask_b32_e64 v5, 0, v25, s7
	v_add_nc_u32_e32 v38, v42, v64
	s_delay_alu instid0(VALU_DEP_2) | instskip(NEXT) | instid1(VALU_DEP_2)
	v_add_nc_u32_e32 v29, v5, v70
	v_add_nc_u32_e32 v34, v38, v63
	;; [unrolled: 6-line block ×4, first 2 shown]
	s_delay_alu instid0(VALU_DEP_2) | instskip(NEXT) | instid1(VALU_DEP_2)
	v_cndmask_b32_e64 v5, 0, v12, s4
	v_add_nc_u32_e32 v28, v24, v58
	s_delay_alu instid0(VALU_DEP_2) | instskip(SKIP_3) | instid1(VALU_DEP_2)
	v_add_nc_u32_e32 v17, v5, v33
	ds_load_b128 v[5:8], v7 offset:1024
	v_add_nc_u32_e32 v9, v28, v57
	v_cndmask_b32_e64 v16, 0, v17, s3
	v_add_nc_u32_e32 v11, v9, v54
	s_delay_alu instid0(VALU_DEP_2) | instskip(NEXT) | instid1(VALU_DEP_2)
	v_add_nc_u32_e32 v45, v16, v68
	v_add_nc_u32_e32 v16, v11, v53
	s_delay_alu instid0(VALU_DEP_2) | instskip(NEXT) | instid1(VALU_DEP_2)
	v_cndmask_b32_e64 v30, 0, v45, s1
	v_add_nc_u32_e32 v44, v16, v52
	s_delay_alu instid0(VALU_DEP_2) | instskip(SKIP_2) | instid1(VALU_DEP_3)
	v_add_nc_u32_e32 v41, v30, v18
	s_waitcnt lgkmcnt(0)
	v_cmp_eq_u32_e32 vcc_lo, 0, v5
	v_add_nc_u32_e32 v40, v44, v51
	s_delay_alu instid0(VALU_DEP_3) | instskip(SKIP_1) | instid1(VALU_DEP_3)
	v_cndmask_b32_e64 v31, 0, v41, s0
	v_cndmask_b32_e32 v8, 0, v8, vcc_lo
	v_add_nc_u32_e32 v30, v40, v50
	s_delay_alu instid0(VALU_DEP_3) | instskip(NEXT) | instid1(VALU_DEP_3)
	v_add_nc_u32_e32 v31, v31, v67
	v_add_nc_u32_e32 v66, v8, v6
	s_branch .LBB767_116
.LBB767_104:
                                        ; implicit-def: $vgpr5
                                        ; implicit-def: $vgpr66
                                        ; implicit-def: $vgpr36_vgpr37
                                        ; implicit-def: $vgpr42_vgpr43
                                        ; implicit-def: $vgpr38_vgpr39
                                        ; implicit-def: $vgpr34_vgpr35
                                        ; implicit-def: $vgpr26_vgpr27
                                        ; implicit-def: $vgpr22_vgpr23
                                        ; implicit-def: $vgpr20_vgpr21
                                        ; implicit-def: $vgpr24_vgpr25
                                        ; implicit-def: $vgpr28_vgpr29
                                        ; implicit-def: $vgpr9_vgpr10
                                        ; implicit-def: $vgpr11_vgpr12
                                        ; implicit-def: $vgpr16_vgpr17
                                        ; implicit-def: $vgpr44_vgpr45
                                        ; implicit-def: $vgpr40_vgpr41
                                        ; implicit-def: $vgpr30_vgpr31
	s_cbranch_execz .LBB767_116
; %bb.105:
	s_and_b32 s0, s16, exec_lo
	v_mov_b32_e32 v30, v48
	s_cselect_b32 s1, 0, s35
	s_cselect_b32 s0, 0, s34
	s_delay_alu instid0(SALU_CYCLE_1)
	s_cmp_eq_u64 s[0:1], 0
	s_cbranch_scc1 .LBB767_107
; %bb.106:
	v_mov_b32_e32 v5, 0
	global_load_b32 v30, v5, s[0:1]
.LBB767_107:
	v_cmp_eq_u32_e64 s7, 0, v64
	v_cmp_eq_u32_e64 s8, 0, v63
	;; [unrolled: 1-line block ×5, first 2 shown]
	v_cndmask_b32_e64 v5, 0, v48, s7
	v_cmp_eq_u32_e64 s12, 0, v59
	v_cmp_eq_u32_e64 s6, 0, v58
	;; [unrolled: 1-line block ×4, first 2 shown]
	v_add_nc_u32_e32 v5, v5, v73
	v_cmp_eq_u32_e64 s3, 0, v53
	v_cmp_eq_u32_e64 s1, 0, v52
	v_cmp_eq_u32_e32 vcc_lo, 0, v51
	v_add3_u32 v6, v77, v60, v59
	v_cndmask_b32_e64 v5, 0, v5, s8
	v_cmp_eq_u32_e64 s0, 0, v50
	v_cmp_eq_u32_e64 s13, 0, v55
	v_and_b32_e32 v8, 15, v74
	v_add3_u32 v6, v6, v58, v57
	v_add_nc_u32_e32 v5, v5, v49
	s_delay_alu instid0(VALU_DEP_3) | instskip(NEXT) | instid1(VALU_DEP_3)
	v_cmp_lt_u32_e64 s14, 1, v8
	v_add3_u32 v6, v6, v54, v53
	s_delay_alu instid0(VALU_DEP_3) | instskip(NEXT) | instid1(VALU_DEP_2)
	v_cndmask_b32_e64 v5, 0, v5, s9
	v_add3_u32 v6, v6, v52, v51
	s_delay_alu instid0(VALU_DEP_2) | instskip(NEXT) | instid1(VALU_DEP_2)
	v_add_nc_u32_e32 v5, v5, v72
	v_add3_u32 v6, v6, v50, v55
	s_delay_alu instid0(VALU_DEP_2) | instskip(NEXT) | instid1(VALU_DEP_2)
	v_cndmask_b32_e64 v5, 0, v5, s10
	v_mov_b32_dpp v9, v6 row_shr:1 row_mask:0xf bank_mask:0xf
	s_delay_alu instid0(VALU_DEP_2) | instskip(NEXT) | instid1(VALU_DEP_1)
	v_add_nc_u32_e32 v5, v5, v46
	v_cndmask_b32_e64 v5, 0, v5, s11
	s_delay_alu instid0(VALU_DEP_1) | instskip(NEXT) | instid1(VALU_DEP_1)
	v_add_nc_u32_e32 v5, v5, v71
	v_cndmask_b32_e64 v5, 0, v5, s12
	s_delay_alu instid0(VALU_DEP_1) | instskip(NEXT) | instid1(VALU_DEP_1)
	;; [unrolled: 3-line block ×7, first 2 shown]
	v_add_nc_u32_e32 v5, v5, v68
	v_cndmask_b32_e32 v5, 0, v5, vcc_lo
	s_delay_alu instid0(VALU_DEP_1) | instskip(NEXT) | instid1(VALU_DEP_1)
	v_add_nc_u32_e32 v5, v5, v18
	v_cndmask_b32_e64 v5, 0, v5, s0
	s_delay_alu instid0(VALU_DEP_1) | instskip(NEXT) | instid1(VALU_DEP_1)
	v_add_nc_u32_e32 v5, v5, v67
	v_cndmask_b32_e64 v5, 0, v5, s13
	v_cmp_eq_u32_e64 s13, 0, v6
	s_delay_alu instid0(VALU_DEP_2) | instskip(NEXT) | instid1(VALU_DEP_1)
	v_add_nc_u32_e32 v5, v5, v19
	v_mov_b32_dpp v7, v5 row_shr:1 row_mask:0xf bank_mask:0xf
	s_delay_alu instid0(VALU_DEP_1) | instskip(SKIP_1) | instid1(VALU_DEP_1)
	v_cndmask_b32_e64 v7, 0, v7, s13
	v_cmp_eq_u32_e64 s13, 0, v8
	v_cndmask_b32_e64 v9, v9, 0, s13
	s_delay_alu instid0(VALU_DEP_3) | instskip(NEXT) | instid1(VALU_DEP_2)
	v_cndmask_b32_e64 v7, v7, 0, s13
	v_add_nc_u32_e32 v6, v9, v6
	s_delay_alu instid0(VALU_DEP_2) | instskip(NEXT) | instid1(VALU_DEP_2)
	v_add_nc_u32_e32 v5, v7, v5
	v_mov_b32_dpp v7, v6 row_shr:2 row_mask:0xf bank_mask:0xf
	v_cmp_eq_u32_e64 s13, 0, v6
	s_delay_alu instid0(VALU_DEP_3) | instskip(NEXT) | instid1(VALU_DEP_3)
	v_mov_b32_dpp v9, v5 row_shr:2 row_mask:0xf bank_mask:0xf
	v_cndmask_b32_e64 v7, 0, v7, s14
	s_delay_alu instid0(VALU_DEP_3) | instskip(SKIP_1) | instid1(VALU_DEP_3)
	s_and_b32 s13, s14, s13
	v_cmp_lt_u32_e64 s14, 3, v8
	v_cndmask_b32_e64 v9, 0, v9, s13
	s_delay_alu instid0(VALU_DEP_3) | instskip(NEXT) | instid1(VALU_DEP_2)
	v_add_nc_u32_e32 v6, v6, v7
	v_add_nc_u32_e32 v5, v9, v5
	s_delay_alu instid0(VALU_DEP_2) | instskip(SKIP_1) | instid1(VALU_DEP_3)
	v_mov_b32_dpp v7, v6 row_shr:4 row_mask:0xf bank_mask:0xf
	v_cmp_eq_u32_e64 s13, 0, v6
	v_mov_b32_dpp v9, v5 row_shr:4 row_mask:0xf bank_mask:0xf
	s_delay_alu instid0(VALU_DEP_3) | instskip(NEXT) | instid1(VALU_DEP_3)
	v_cndmask_b32_e64 v7, 0, v7, s14
	s_and_b32 s13, s14, s13
	v_cmp_lt_u32_e64 s14, 7, v8
	s_delay_alu instid0(VALU_DEP_3) | instskip(NEXT) | instid1(VALU_DEP_3)
	v_cndmask_b32_e64 v9, 0, v9, s13
	v_add_nc_u32_e32 v6, v7, v6
	s_delay_alu instid0(VALU_DEP_2) | instskip(SKIP_1) | instid1(VALU_DEP_3)
	v_add_nc_u32_e32 v5, v5, v9
	v_bfe_i32 v9, v74, 4, 1
	v_cmp_eq_u32_e64 s13, 0, v6
	v_mov_b32_dpp v7, v6 row_shr:8 row_mask:0xf bank_mask:0xf
	s_delay_alu instid0(VALU_DEP_4) | instskip(NEXT) | instid1(VALU_DEP_3)
	v_mov_b32_dpp v8, v5 row_shr:8 row_mask:0xf bank_mask:0xf
	s_and_b32 s13, s14, s13
	s_delay_alu instid0(VALU_DEP_2) | instskip(SKIP_1) | instid1(VALU_DEP_2)
	v_cndmask_b32_e64 v7, 0, v7, s14
	s_mov_b32 s14, exec_lo
	v_cndmask_b32_e64 v8, 0, v8, s13
	s_delay_alu instid0(VALU_DEP_1) | instskip(NEXT) | instid1(VALU_DEP_3)
	v_add_nc_u32_e32 v8, v8, v5
	v_add_nc_u32_e32 v5, v7, v6
	ds_swizzle_b32 v6, v8 offset:swizzle(BROADCAST,32,15)
	ds_swizzle_b32 v7, v5 offset:swizzle(BROADCAST,32,15)
	v_cmp_eq_u32_e64 s13, 0, v5
	s_waitcnt lgkmcnt(1)
	s_delay_alu instid0(VALU_DEP_1) | instskip(SKIP_2) | instid1(VALU_DEP_2)
	v_cndmask_b32_e64 v6, 0, v6, s13
	s_waitcnt lgkmcnt(0)
	v_and_b32_e32 v7, v9, v7
	v_and_b32_e32 v6, v9, v6
	s_delay_alu instid0(VALU_DEP_2) | instskip(NEXT) | instid1(VALU_DEP_2)
	v_add_nc_u32_e32 v5, v7, v5
	v_add_nc_u32_e32 v6, v6, v8
	v_lshlrev_b32_e32 v8, 3, v75
	v_cmpx_eq_u32_e64 v76, v0
	s_cbranch_execz .LBB767_109
; %bb.108:
	ds_store_b64 v8, v[5:6] offset:1040
.LBB767_109:
	s_or_b32 exec_lo, exec_lo, s14
	s_delay_alu instid0(SALU_CYCLE_1)
	s_mov_b32 s15, exec_lo
	s_waitcnt vmcnt(0) lgkmcnt(0)
	s_barrier
	buffer_gl0_inv
	v_cmpx_gt_u32_e32 8, v0
	s_cbranch_execz .LBB767_111
; %bb.110:
	v_lshlrev_b32_e32 v7, 3, v0
	v_and_b32_e32 v12, 7, v74
	ds_load_b64 v[9:10], v7 offset:1040
	v_cmp_lt_u32_e64 s14, 1, v12
	s_waitcnt lgkmcnt(0)
	v_mov_b32_dpp v11, v10 row_shr:1 row_mask:0xf bank_mask:0xf
	v_cmp_eq_u32_e64 s13, 0, v9
	v_mov_b32_dpp v16, v9 row_shr:1 row_mask:0xf bank_mask:0xf
	s_delay_alu instid0(VALU_DEP_2) | instskip(SKIP_1) | instid1(VALU_DEP_1)
	v_cndmask_b32_e64 v11, 0, v11, s13
	v_cmp_eq_u32_e64 s13, 0, v12
	v_cndmask_b32_e64 v16, v16, 0, s13
	s_delay_alu instid0(VALU_DEP_3) | instskip(NEXT) | instid1(VALU_DEP_2)
	v_cndmask_b32_e64 v11, v11, 0, s13
	v_add_nc_u32_e32 v9, v16, v9
	s_delay_alu instid0(VALU_DEP_2) | instskip(NEXT) | instid1(VALU_DEP_2)
	v_add_nc_u32_e32 v10, v11, v10
	v_mov_b32_dpp v11, v9 row_shr:2 row_mask:0xf bank_mask:0xf
	v_cmp_eq_u32_e64 s13, 0, v9
	s_delay_alu instid0(VALU_DEP_3) | instskip(NEXT) | instid1(VALU_DEP_3)
	v_mov_b32_dpp v16, v10 row_shr:2 row_mask:0xf bank_mask:0xf
	v_cndmask_b32_e64 v11, 0, v11, s14
	s_delay_alu instid0(VALU_DEP_3) | instskip(SKIP_1) | instid1(VALU_DEP_3)
	s_and_b32 s13, s14, s13
	v_cmp_lt_u32_e64 s14, 3, v12
	v_cndmask_b32_e64 v16, 0, v16, s13
	s_delay_alu instid0(VALU_DEP_3) | instskip(NEXT) | instid1(VALU_DEP_2)
	v_add_nc_u32_e32 v9, v11, v9
	v_add_nc_u32_e32 v10, v16, v10
	s_delay_alu instid0(VALU_DEP_2) | instskip(SKIP_1) | instid1(VALU_DEP_3)
	v_cmp_eq_u32_e64 s13, 0, v9
	v_mov_b32_dpp v11, v9 row_shr:4 row_mask:0xf bank_mask:0xf
	v_mov_b32_dpp v12, v10 row_shr:4 row_mask:0xf bank_mask:0xf
	s_delay_alu instid0(VALU_DEP_3) | instskip(NEXT) | instid1(VALU_DEP_2)
	s_and_b32 s13, s14, s13
	v_cndmask_b32_e64 v11, 0, v11, s14
	s_delay_alu instid0(VALU_DEP_2) | instskip(NEXT) | instid1(VALU_DEP_2)
	v_cndmask_b32_e64 v12, 0, v12, s13
	v_add_nc_u32_e32 v9, v11, v9
	s_delay_alu instid0(VALU_DEP_2)
	v_add_nc_u32_e32 v10, v12, v10
	ds_store_b64 v7, v[9:10] offset:1040
.LBB767_111:
	s_or_b32 exec_lo, exec_lo, s15
	v_mov_b32_e32 v11, 0
	v_mov_b32_e32 v7, 0
	;; [unrolled: 1-line block ×3, first 2 shown]
	s_mov_b32 s14, exec_lo
	s_waitcnt lgkmcnt(0)
	s_barrier
	buffer_gl0_inv
	v_cmpx_lt_u32_e32 31, v0
	s_cbranch_execz .LBB767_113
; %bb.112:
	ds_load_b64 v[7:8], v8 offset:1032
	s_waitcnt lgkmcnt(0)
	v_cmp_eq_u32_e64 s13, 0, v7
	s_delay_alu instid0(VALU_DEP_1) | instskip(NEXT) | instid1(VALU_DEP_1)
	v_cndmask_b32_e64 v9, 0, v30, s13
	v_add_nc_u32_e32 v9, v9, v8
.LBB767_113:
	s_or_b32 exec_lo, exec_lo, s14
	v_add_nc_u32_e32 v8, -1, v74
	s_delay_alu instid0(VALU_DEP_1) | instskip(NEXT) | instid1(VALU_DEP_1)
	v_cmp_gt_i32_e64 s13, 0, v8
	v_cndmask_b32_e64 v8, v8, v74, s13
	v_cmp_eq_u32_e64 s13, 0, v5
	v_add_nc_u32_e32 v5, v7, v5
	s_delay_alu instid0(VALU_DEP_3) | instskip(NEXT) | instid1(VALU_DEP_3)
	v_lshlrev_b32_e32 v8, 2, v8
	v_cndmask_b32_e64 v10, 0, v9, s13
	v_cmp_eq_u32_e64 s13, 0, v74
	ds_bpermute_b32 v5, v8, v5
	v_add_nc_u32_e32 v6, v10, v6
	ds_bpermute_b32 v6, v8, v6
	s_waitcnt lgkmcnt(1)
	v_cndmask_b32_e64 v5, v5, v7, s13
	s_delay_alu instid0(VALU_DEP_1) | instskip(SKIP_3) | instid1(VALU_DEP_3)
	v_cndmask_b32_e64 v36, v5, 0, s2
	s_waitcnt lgkmcnt(0)
	v_cndmask_b32_e64 v6, v6, v9, s13
	v_cmp_eq_u32_e64 s13, 0, v65
	v_add_nc_u32_e32 v42, v36, v65
	s_delay_alu instid0(VALU_DEP_3) | instskip(NEXT) | instid1(VALU_DEP_2)
	v_cndmask_b32_e64 v37, v6, v30, s2
	v_add_nc_u32_e32 v38, v42, v64
	s_delay_alu instid0(VALU_DEP_2) | instskip(NEXT) | instid1(VALU_DEP_2)
	v_cndmask_b32_e64 v6, 0, v37, s13
	v_add_nc_u32_e32 v34, v38, v63
	s_delay_alu instid0(VALU_DEP_2) | instskip(NEXT) | instid1(VALU_DEP_2)
	v_add_nc_u32_e32 v43, v6, v48
	v_add_nc_u32_e32 v26, v34, v62
	s_delay_alu instid0(VALU_DEP_2) | instskip(NEXT) | instid1(VALU_DEP_2)
	v_cndmask_b32_e64 v6, 0, v43, s7
	v_add_nc_u32_e32 v22, v26, v61
	s_delay_alu instid0(VALU_DEP_2) | instskip(NEXT) | instid1(VALU_DEP_2)
	v_add_nc_u32_e32 v39, v6, v73
	v_add_nc_u32_e32 v20, v22, v60
	s_delay_alu instid0(VALU_DEP_2) | instskip(NEXT) | instid1(VALU_DEP_2)
	v_cndmask_b32_e64 v6, 0, v39, s8
	v_add_nc_u32_e32 v24, v20, v59
	s_delay_alu instid0(VALU_DEP_2) | instskip(NEXT) | instid1(VALU_DEP_2)
	v_add_nc_u32_e32 v35, v6, v49
	v_add_nc_u32_e32 v28, v24, v58
	s_delay_alu instid0(VALU_DEP_2) | instskip(NEXT) | instid1(VALU_DEP_2)
	v_cndmask_b32_e64 v6, 0, v35, s9
	v_add_nc_u32_e32 v9, v28, v57
	s_delay_alu instid0(VALU_DEP_2) | instskip(NEXT) | instid1(VALU_DEP_1)
	v_add_nc_u32_e32 v27, v6, v72
	v_cndmask_b32_e64 v6, 0, v27, s10
	s_delay_alu instid0(VALU_DEP_1) | instskip(NEXT) | instid1(VALU_DEP_1)
	v_add_nc_u32_e32 v23, v6, v46
	v_cndmask_b32_e64 v6, 0, v23, s11
	s_delay_alu instid0(VALU_DEP_1) | instskip(NEXT) | instid1(VALU_DEP_1)
	;; [unrolled: 3-line block ×6, first 2 shown]
	v_add_nc_u32_e32 v12, v5, v69
	v_cndmask_b32_e64 v5, 0, v12, s3
	s_delay_alu instid0(VALU_DEP_1) | instskip(SKIP_3) | instid1(VALU_DEP_2)
	v_add_nc_u32_e32 v17, v5, v33
	ds_load_b64 v[5:6], v11 offset:1096
	v_add_nc_u32_e32 v11, v9, v54
	v_cndmask_b32_e64 v7, 0, v17, s1
	v_add_nc_u32_e32 v16, v11, v53
	s_delay_alu instid0(VALU_DEP_2) | instskip(NEXT) | instid1(VALU_DEP_1)
	v_add_nc_u32_e32 v45, v7, v68
	v_dual_cndmask_b32 v7, 0, v45 :: v_dual_add_nc_u32 v44, v16, v52
	s_delay_alu instid0(VALU_DEP_1) | instskip(NEXT) | instid1(VALU_DEP_2)
	v_add_nc_u32_e32 v40, v44, v51
	v_add_nc_u32_e32 v41, v7, v18
	s_waitcnt lgkmcnt(0)
	v_cmp_eq_u32_e32 vcc_lo, 0, v5
	s_delay_alu instid0(VALU_DEP_2) | instskip(SKIP_2) | instid1(VALU_DEP_3)
	v_cndmask_b32_e64 v7, 0, v41, s0
	v_cndmask_b32_e32 v8, 0, v30, vcc_lo
	v_add_nc_u32_e32 v30, v40, v50
	v_add_nc_u32_e32 v31, v7, v67
	s_delay_alu instid0(VALU_DEP_3)
	v_add_nc_u32_e32 v66, v8, v6
	s_and_saveexec_b32 s0, s2
	s_cbranch_execz .LBB767_115
; %bb.114:
	s_delay_alu instid0(VALU_DEP_1)
	v_and_b32_e32 v6, 0xff000000, v66
	v_dual_mov_b32 v8, 0 :: v_dual_and_b32 v7, 0xff0000, v66
	s_add_u32 s4, s20, 0x200
	v_and_b32_e32 v18, 0xff00, v66
	s_addc_u32 s5, s21, 0
	v_and_b32_e32 v19, 0xff, v66
	v_or_b32_e32 v6, v7, v6
	v_mov_b32_e32 v7, 2
	s_delay_alu instid0(VALU_DEP_2)
	v_or3_b32 v6, v6, v18, v19
	v_dual_mov_b32 v19, s5 :: v_dual_mov_b32 v18, s4
	;;#ASMSTART
	global_store_dwordx4 v[18:19], v[5:8] off	
s_waitcnt vmcnt(0)
	;;#ASMEND
.LBB767_115:
	s_or_b32 exec_lo, exec_lo, s0
	v_mov_b32_e32 v7, 0
.LBB767_116:
	v_mov_b32_e32 v18, 0
	s_and_b32 s0, s16, exec_lo
	v_mov_b32_e32 v19, 0
	s_cselect_b32 s1, 0, s39
	s_cselect_b32 s0, 0, s38
	s_delay_alu instid0(SALU_CYCLE_1)
	s_cmp_eq_u64 s[0:1], 0
	s_barrier
	buffer_gl0_inv
	s_cbranch_scc1 .LBB767_118
; %bb.117:
	v_mov_b32_e32 v6, 0
	global_load_b64 v[18:19], v6, s[0:1]
.LBB767_118:
	v_cmp_eq_u32_e32 vcc_lo, 0, v65
	v_cmp_ne_u32_e64 s15, 0, v65
	v_cmp_ne_u32_e64 s14, 0, v64
	v_cmp_ne_u32_e64 s13, 0, v63
	v_cmp_ne_u32_e64 s12, 0, v62
	v_cndmask_b32_e64 v6, 1, 2, vcc_lo
	v_cmp_eq_u32_e32 vcc_lo, 0, v64
	v_cmp_ne_u32_e64 s11, 0, v61
	v_cmp_ne_u32_e64 s10, 0, v60
	;; [unrolled: 1-line block ×4, first 2 shown]
	v_cndmask_b32_e64 v8, 1, 2, vcc_lo
	v_cmp_eq_u32_e32 vcc_lo, 0, v63
	v_cmp_ne_u32_e64 s9, 0, v57
	v_cmp_ne_u32_e64 s7, 0, v54
	v_cmp_ne_u32_e64 s5, 0, v53
	v_and_b32_e32 v6, v8, v6
	v_cndmask_b32_e64 v32, 1, 2, vcc_lo
	v_cmp_eq_u32_e32 vcc_lo, 0, v62
	v_cmp_ne_u32_e64 s4, 0, v52
	v_cmp_ne_u32_e64 s3, 0, v51
	;; [unrolled: 1-line block ×3, first 2 shown]
	v_and_b32_e32 v6, v6, v32
	v_cndmask_b32_e64 v8, 1, 2, vcc_lo
	v_cmp_eq_u32_e32 vcc_lo, 0, v61
	v_cmp_ne_u32_e64 s0, 0, v55
	s_delay_alu instid0(VALU_DEP_3) | instskip(SKIP_2) | instid1(VALU_DEP_2)
	v_and_b32_e32 v6, v6, v8
	v_cndmask_b32_e64 v32, 1, 2, vcc_lo
	v_cmp_eq_u32_e32 vcc_lo, 0, v60
	v_and_b32_e32 v6, v6, v32
	v_cndmask_b32_e64 v8, 1, 2, vcc_lo
	v_cmp_eq_u32_e32 vcc_lo, 0, v59
	s_waitcnt vmcnt(0)
	v_lshlrev_b64 v[32:33], 1, v[18:19]
	s_delay_alu instid0(VALU_DEP_3) | instskip(SKIP_2) | instid1(VALU_DEP_2)
	v_and_b32_e32 v6, v6, v8
	v_cndmask_b32_e64 v46, 1, 2, vcc_lo
	v_cmp_eq_u32_e32 vcc_lo, 0, v58
	v_and_b32_e32 v6, v6, v46
	v_cndmask_b32_e64 v47, 1, 2, vcc_lo
	v_cmp_eq_u32_e32 vcc_lo, 0, v57
	s_delay_alu instid0(VALU_DEP_2) | instskip(SKIP_2) | instid1(VALU_DEP_2)
	v_and_b32_e32 v6, v6, v47
	v_cndmask_b32_e64 v46, 1, 2, vcc_lo
	v_cmp_eq_u32_e32 vcc_lo, 0, v54
	v_and_b32_e32 v6, v6, v46
	v_cndmask_b32_e64 v47, 1, 2, vcc_lo
	v_cmp_eq_u32_e32 vcc_lo, 0, v53
	s_delay_alu instid0(VALU_DEP_2) | instskip(SKIP_2) | instid1(VALU_DEP_2)
	;; [unrolled: 7-line block ×3, first 2 shown]
	v_and_b32_e32 v6, v6, v48
	v_cndmask_b32_e64 v49, 1, 2, vcc_lo
	v_cmp_eq_u32_e32 vcc_lo, 0, v50
	v_and_b32_e32 v48, v6, v49
	v_cndmask_b32_e64 v67, 1, 2, vcc_lo
	v_mov_b32_e32 v8, 0
	v_add_co_u32 v32, vcc_lo, s18, v32
	v_add_co_ci_u32_e32 v33, vcc_lo, s19, v33, vcc_lo
	s_delay_alu instid0(VALU_DEP_3) | instskip(SKIP_1) | instid1(VALU_DEP_1)
	v_lshlrev_b64 v[46:47], 1, v[7:8]
	s_mov_b32 s18, -1
	v_add_co_u32 v6, vcc_lo, v32, v46
	s_delay_alu instid0(VALU_DEP_2) | instskip(SKIP_4) | instid1(VALU_DEP_2)
	v_add_co_ci_u32_e32 v32, vcc_lo, v33, v47, vcc_lo
	v_and_b32_e32 v33, v48, v67
	v_cmp_eq_u32_e32 vcc_lo, 0, v55
	v_cndmask_b32_e64 v46, 1, 2, vcc_lo
	v_cmp_gt_u32_e32 vcc_lo, 0x100, v5
	v_and_b32_e32 v33, v33, v46
	s_delay_alu instid0(VALU_DEP_1)
	v_cmp_gt_i16_e64 s16, 2, v33
	s_cbranch_vccz .LBB767_167
; %bb.119:
	s_delay_alu instid0(VALU_DEP_1)
	s_and_saveexec_b32 s18, s16
	s_cbranch_execz .LBB767_166
; %bb.120:
	s_mov_b32 s19, 0
	s_mov_b32 s16, exec_lo
	v_cmpx_ne_u16_e32 1, v33
	s_xor_b32 s16, exec_lo, s16
	s_cbranch_execz .LBB767_144
; %bb.121:
	s_and_saveexec_b32 s19, s15
	s_cbranch_execz .LBB767_149
; %bb.122:
	v_sub_nc_u32_e32 v46, v36, v7
	v_mov_b32_e32 v47, 0
	s_delay_alu instid0(VALU_DEP_1) | instskip(NEXT) | instid1(VALU_DEP_1)
	v_lshlrev_b64 v[46:47], 1, v[46:47]
	v_add_co_u32 v46, vcc_lo, v6, v46
	s_delay_alu instid0(VALU_DEP_2)
	v_add_co_ci_u32_e32 v47, vcc_lo, v32, v47, vcc_lo
	global_store_b16 v[46:47], v56, off
	s_or_b32 exec_lo, exec_lo, s19
	s_and_saveexec_b32 s19, s14
	s_cbranch_execnz .LBB767_150
.LBB767_123:
	s_or_b32 exec_lo, exec_lo, s19
	s_and_saveexec_b32 s19, s13
	s_cbranch_execz .LBB767_151
.LBB767_124:
	v_sub_nc_u32_e32 v46, v38, v7
	v_mov_b32_e32 v47, 0
	s_delay_alu instid0(VALU_DEP_1) | instskip(NEXT) | instid1(VALU_DEP_1)
	v_lshlrev_b64 v[46:47], 1, v[46:47]
	v_add_co_u32 v46, vcc_lo, v6, v46
	s_delay_alu instid0(VALU_DEP_2)
	v_add_co_ci_u32_e32 v47, vcc_lo, v32, v47, vcc_lo
	global_store_d16_hi_b16 v[46:47], v1, off
	s_or_b32 exec_lo, exec_lo, s19
	s_and_saveexec_b32 s19, s12
	s_cbranch_execnz .LBB767_152
.LBB767_125:
	s_or_b32 exec_lo, exec_lo, s19
	s_and_saveexec_b32 s19, s11
	s_cbranch_execz .LBB767_153
.LBB767_126:
	v_sub_nc_u32_e32 v46, v26, v7
	v_mov_b32_e32 v47, 0
	s_delay_alu instid0(VALU_DEP_1) | instskip(NEXT) | instid1(VALU_DEP_1)
	v_lshlrev_b64 v[46:47], 1, v[46:47]
	v_add_co_u32 v46, vcc_lo, v6, v46
	s_delay_alu instid0(VALU_DEP_2)
	v_add_co_ci_u32_e32 v47, vcc_lo, v32, v47, vcc_lo
	global_store_d16_hi_b16 v[46:47], v2, off
	s_or_b32 exec_lo, exec_lo, s19
	s_and_saveexec_b32 s19, s10
	s_cbranch_execnz .LBB767_154
.LBB767_127:
	s_or_b32 exec_lo, exec_lo, s19
	s_and_saveexec_b32 s19, s8
	s_cbranch_execz .LBB767_155
.LBB767_128:
	v_sub_nc_u32_e32 v46, v20, v7
	v_mov_b32_e32 v47, 0
	s_delay_alu instid0(VALU_DEP_1) | instskip(NEXT) | instid1(VALU_DEP_1)
	v_lshlrev_b64 v[46:47], 1, v[46:47]
	v_add_co_u32 v46, vcc_lo, v6, v46
	s_delay_alu instid0(VALU_DEP_2)
	v_add_co_ci_u32_e32 v47, vcc_lo, v32, v47, vcc_lo
	global_store_d16_hi_b16 v[46:47], v3, off
	s_or_b32 exec_lo, exec_lo, s19
	s_and_saveexec_b32 s19, s6
	s_cbranch_execnz .LBB767_156
.LBB767_129:
	s_or_b32 exec_lo, exec_lo, s19
	s_and_saveexec_b32 s19, s9
	s_cbranch_execz .LBB767_157
.LBB767_130:
	v_sub_nc_u32_e32 v46, v28, v7
	v_mov_b32_e32 v47, 0
	s_delay_alu instid0(VALU_DEP_1) | instskip(NEXT) | instid1(VALU_DEP_1)
	v_lshlrev_b64 v[46:47], 1, v[46:47]
	v_add_co_u32 v46, vcc_lo, v6, v46
	s_delay_alu instid0(VALU_DEP_2)
	v_add_co_ci_u32_e32 v47, vcc_lo, v32, v47, vcc_lo
	global_store_d16_hi_b16 v[46:47], v4, off
	s_or_b32 exec_lo, exec_lo, s19
	s_and_saveexec_b32 s19, s7
	s_cbranch_execnz .LBB767_158
.LBB767_131:
	s_or_b32 exec_lo, exec_lo, s19
	s_and_saveexec_b32 s19, s5
	s_cbranch_execz .LBB767_159
.LBB767_132:
	v_sub_nc_u32_e32 v46, v11, v7
	v_mov_b32_e32 v47, 0
	s_delay_alu instid0(VALU_DEP_1) | instskip(NEXT) | instid1(VALU_DEP_1)
	v_lshlrev_b64 v[46:47], 1, v[46:47]
	v_add_co_u32 v46, vcc_lo, v6, v46
	s_delay_alu instid0(VALU_DEP_2)
	v_add_co_ci_u32_e32 v47, vcc_lo, v32, v47, vcc_lo
	global_store_d16_hi_b16 v[46:47], v13, off
	s_or_b32 exec_lo, exec_lo, s19
	s_and_saveexec_b32 s19, s4
	s_cbranch_execnz .LBB767_160
.LBB767_133:
	s_or_b32 exec_lo, exec_lo, s19
	s_and_saveexec_b32 s19, s3
	s_cbranch_execz .LBB767_161
.LBB767_134:
	v_sub_nc_u32_e32 v46, v44, v7
	v_mov_b32_e32 v47, 0
	s_delay_alu instid0(VALU_DEP_1) | instskip(NEXT) | instid1(VALU_DEP_1)
	v_lshlrev_b64 v[46:47], 1, v[46:47]
	v_add_co_u32 v46, vcc_lo, v6, v46
	s_delay_alu instid0(VALU_DEP_2)
	v_add_co_ci_u32_e32 v47, vcc_lo, v32, v47, vcc_lo
	global_store_d16_hi_b16 v[46:47], v14, off
	s_or_b32 exec_lo, exec_lo, s19
	s_and_saveexec_b32 s19, s1
	s_cbranch_execnz .LBB767_162
	s_branch .LBB767_163
.LBB767_135:
	s_mov_b32 s16, 0
                                        ; implicit-def: $sgpr0
                                        ; implicit-def: $vgpr55
                                        ; implicit-def: $vgpr50
                                        ; implicit-def: $vgpr51
                                        ; implicit-def: $vgpr52
                                        ; implicit-def: $vgpr53
                                        ; implicit-def: $vgpr54
                                        ; implicit-def: $vgpr57
                                        ; implicit-def: $vgpr58
                                        ; implicit-def: $vgpr59
                                        ; implicit-def: $vgpr60
                                        ; implicit-def: $vgpr61
                                        ; implicit-def: $vgpr62
                                        ; implicit-def: $vgpr63
                                        ; implicit-def: $vgpr64
	s_cbranch_execz .LBB767_74
; %bb.136:
	v_lshrrev_b32_e32 v12, 16, v15
	v_lshrrev_b32_e32 v17, 16, v14
	;; [unrolled: 1-line block ×3, first 2 shown]
	v_lshlrev_b32_e32 v10, 1, v0
	s_mov_b32 s7, 1
	v_cmp_ne_u16_e32 vcc_lo, v15, v12
                                        ; implicit-def: $sgpr0
	ds_store_b16 v10, v12
	s_waitcnt lgkmcnt(0)
	v_cndmask_b32_e64 v55, 0, 1, vcc_lo
	v_cmp_ne_u16_e32 vcc_lo, v17, v15
	s_barrier
	buffer_gl0_inv
	v_cndmask_b32_e64 v50, 0, 1, vcc_lo
	v_cmp_ne_u16_e32 vcc_lo, v14, v17
	v_lshrrev_b32_e32 v17, 16, v4
	v_cndmask_b32_e64 v51, 0, 1, vcc_lo
	v_cmp_ne_u16_e32 vcc_lo, v21, v14
	v_cndmask_b32_e64 v52, 0, 1, vcc_lo
	v_cmp_ne_u16_e32 vcc_lo, v13, v21
	v_lshrrev_b32_e32 v21, 16, v3
	v_cndmask_b32_e64 v53, 0, 1, vcc_lo
	v_cmp_ne_u16_e32 vcc_lo, v17, v13
	;; [unrolled: 5-line block ×4, first 2 shown]
	v_cndmask_b32_e64 v60, 0, 1, vcc_lo
	v_cmp_ne_u16_e32 vcc_lo, v2, v17
	v_cndmask_b32_e64 v61, 0, 1, vcc_lo
	v_cmp_ne_u16_e32 vcc_lo, v21, v2
	;; [unrolled: 2-line block ×4, first 2 shown]
	v_cndmask_b32_e64 v64, 0, 1, vcc_lo
	s_and_saveexec_b32 s1, s3
	s_delay_alu instid0(SALU_CYCLE_1)
	s_xor_b32 s1, exec_lo, s1
	s_cbranch_execz .LBB767_138
; %bb.137:
	v_add_nc_u32_e32 v10, -2, v10
	s_or_b32 s16, s16, exec_lo
	ds_load_u16 v10, v10
	s_waitcnt lgkmcnt(0)
	v_cmp_ne_u16_e32 vcc_lo, v10, v56
	s_and_b32 s0, vcc_lo, exec_lo
.LBB767_138:
	s_or_b32 exec_lo, exec_lo, s1
	s_branch .LBB767_76
.LBB767_139:
	s_mul_hi_u32 s0, s24, 0xfffff100
	s_mul_i32 s1, s25, 0xfffff100
	s_sub_i32 s0, s0, s24
	s_mul_i32 s4, s24, 0xfffff100
	s_add_i32 s0, s0, s1
	s_add_u32 s14, s4, s36
	s_addc_u32 s15, s0, s37
	v_lshrrev_b32_e32 v42, 16, v15
	v_mad_u32_u24 v24, v0, 15, 14
	v_lshrrev_b32_e32 v74, 16, v14
	v_mad_u32_u24 v38, v0, 15, 12
	;; [unrolled: 2-line block ×7, first 2 shown]
	v_cmp_ne_u16_e64 s0, v56, v1
	s_and_b32 vcc_lo, exec_lo, s41
	s_cbranch_vccz .LBB767_146
; %bb.140:
	v_add_co_u32 v39, vcc_lo, -2, v8
	v_add_co_ci_u32_e32 v40, vcc_lo, -1, v6, vcc_lo
	v_mov_b32_e32 v25, 0
	v_cmp_ne_u16_e64 s1, v15, v42
	v_cmp_ne_u16_e64 s5, v74, v15
	flat_load_u16 v63, v[39:40]
	v_dual_mov_b32 v12, v25 :: v_dual_lshlrev_b32 v41, 1, v0
	v_mov_b32_e32 v23, v25
	v_cmp_gt_u64_e32 vcc_lo, s[14:15], v[24:25]
	v_mov_b32_e32 v39, v25
	v_mov_b32_e32 v21, v25
	;; [unrolled: 1-line block ×3, first 2 shown]
	v_cmp_gt_u64_e64 s4, s[14:15], v[22:23]
	v_cmp_ne_u16_e64 s7, v13, v66
	s_and_b32 s24, vcc_lo, s1
	v_cmp_gt_u64_e32 vcc_lo, s[14:15], v[38:39]
	v_cmp_gt_u64_e64 s6, s[14:15], v[36:37]
	v_cmp_ne_u16_e64 s1, v14, v74
	s_and_b32 s25, s4, s5
	v_cmp_gt_u64_e64 s4, s[14:15], v[20:21]
	v_cmp_ne_u16_e64 s5, v66, v14
	v_mov_b32_e32 v17, v25
	v_mov_b32_e32 v35, v25
	s_and_b32 s36, vcc_lo, s1
	s_and_b32 s40, s6, s7
	s_and_b32 s37, s4, s5
	v_cmp_gt_u64_e32 vcc_lo, s[14:15], v[16:17]
	v_cmp_gt_u64_e64 s4, s[14:15], v[34:35]
	v_cmp_gt_u64_e64 s6, s[14:15], v[11:12]
	v_cmp_ne_u16_e64 s1, v65, v13
	v_cmp_ne_u16_e64 s5, v4, v65
	;; [unrolled: 1-line block ×3, first 2 shown]
	v_mov_b32_e32 v31, v25
	v_mov_b32_e32 v10, v25
	;; [unrolled: 1-line block ×6, first 2 shown]
	s_and_b32 s41, vcc_lo, s1
	s_and_b32 s42, s4, s5
	s_and_b32 s43, s6, s7
	v_cmp_gt_u64_e32 vcc_lo, s[14:15], v[30:31]
	v_cmp_gt_u64_e64 s4, s[14:15], v[9:10]
	v_cmp_gt_u64_e64 s6, s[14:15], v[28:29]
	;; [unrolled: 1-line block ×5, first 2 shown]
	v_cmp_ne_u16_e64 s1, v3, v45
	v_cmp_ne_u16_e64 s5, v44, v3
	;; [unrolled: 1-line block ×5, first 2 shown]
	v_mul_u32_u24_e32 v40, 15, v0
	s_mov_b32 s16, -1
	s_mov_b32 s13, 0
	s_and_b32 s44, vcc_lo, s1
	s_and_b32 s5, s4, s5
	s_and_b32 s6, s6, s7
	;; [unrolled: 1-line block ×5, first 2 shown]
	ds_store_b16 v41, v42
	s_waitcnt vmcnt(0) lgkmcnt(0)
	s_barrier
	buffer_gl0_inv
	s_and_saveexec_b32 s0, s3
	s_cbranch_execz .LBB767_142
; %bb.141:
	v_add_nc_u32_e32 v6, -2, v41
	ds_load_u16 v63, v6
.LBB767_142:
	s_or_b32 exec_lo, exec_lo, s0
	v_mov_b32_e32 v41, v25
	s_waitcnt lgkmcnt(0)
	v_cmp_ne_u16_e64 s0, v63, v56
	v_cndmask_b32_e64 v55, 0, 1, s24
	v_cndmask_b32_e64 v50, 0, 1, s25
	;; [unrolled: 1-line block ×3, first 2 shown]
	v_cmp_gt_u64_e32 vcc_lo, s[14:15], v[40:41]
	v_cndmask_b32_e64 v52, 0, 1, s37
	v_cndmask_b32_e64 v53, 0, 1, s40
	;; [unrolled: 1-line block ×11, first 2 shown]
	s_and_b32 s0, vcc_lo, s0
	s_and_b32 vcc_lo, exec_lo, s13
	s_cbranch_vccnz .LBB767_147
.LBB767_143:
                                        ; implicit-def: $sgpr7
	v_mov_b32_e32 v65, s7
	s_and_saveexec_b32 s1, s16
	s_cbranch_execnz .LBB767_77
	s_branch .LBB767_78
.LBB767_144:
	s_and_not1_saveexec_b32 s16, s16
	s_cbranch_execz .LBB767_164
.LBB767_145:
	v_sub_nc_u32_e32 v46, v36, v7
	v_mov_b32_e32 v47, 0
	s_or_b32 s19, s19, exec_lo
	s_delay_alu instid0(VALU_DEP_1) | instskip(SKIP_1) | instid1(VALU_DEP_1)
	v_lshlrev_b64 v[48:49], 1, v[46:47]
	v_sub_nc_u32_e32 v46, v42, v7
	v_lshlrev_b64 v[67:68], 1, v[46:47]
	v_sub_nc_u32_e32 v46, v38, v7
	s_delay_alu instid0(VALU_DEP_4) | instskip(SKIP_1) | instid1(VALU_DEP_3)
	v_add_co_u32 v48, vcc_lo, v6, v48
	v_add_co_ci_u32_e32 v49, vcc_lo, v32, v49, vcc_lo
	v_lshlrev_b64 v[69:70], 1, v[46:47]
	v_sub_nc_u32_e32 v46, v34, v7
	v_add_co_u32 v67, vcc_lo, v6, v67
	v_add_co_ci_u32_e32 v68, vcc_lo, v32, v68, vcc_lo
	global_store_b16 v[48:49], v56, off
	v_lshlrev_b64 v[48:49], 1, v[46:47]
	v_sub_nc_u32_e32 v46, v26, v7
	global_store_b16 v[67:68], v1, off
	v_add_co_u32 v67, vcc_lo, v6, v69
	v_add_co_ci_u32_e32 v68, vcc_lo, v32, v70, vcc_lo
	v_lshlrev_b64 v[69:70], 1, v[46:47]
	v_sub_nc_u32_e32 v46, v22, v7
	v_add_co_u32 v48, vcc_lo, v6, v48
	v_add_co_ci_u32_e32 v49, vcc_lo, v32, v49, vcc_lo
	s_delay_alu instid0(VALU_DEP_3) | instskip(SKIP_3) | instid1(VALU_DEP_3)
	v_lshlrev_b64 v[71:72], 1, v[46:47]
	v_sub_nc_u32_e32 v46, v20, v7
	v_add_co_u32 v69, vcc_lo, v6, v69
	v_add_co_ci_u32_e32 v70, vcc_lo, v32, v70, vcc_lo
	v_lshlrev_b64 v[73:74], 1, v[46:47]
	v_sub_nc_u32_e32 v46, v24, v7
	v_add_co_u32 v71, vcc_lo, v6, v71
	v_add_co_ci_u32_e32 v72, vcc_lo, v32, v72, vcc_lo
	s_clause 0x3
	global_store_d16_hi_b16 v[67:68], v1, off
	global_store_b16 v[48:49], v2, off
	global_store_d16_hi_b16 v[69:70], v2, off
	global_store_b16 v[71:72], v3, off
	v_lshlrev_b64 v[48:49], 1, v[46:47]
	v_sub_nc_u32_e32 v46, v28, v7
	v_add_co_u32 v67, vcc_lo, v6, v73
	v_add_co_ci_u32_e32 v68, vcc_lo, v32, v74, vcc_lo
	s_delay_alu instid0(VALU_DEP_3) | instskip(SKIP_3) | instid1(VALU_DEP_3)
	v_lshlrev_b64 v[69:70], 1, v[46:47]
	v_sub_nc_u32_e32 v46, v9, v7
	v_add_co_u32 v48, vcc_lo, v6, v48
	v_add_co_ci_u32_e32 v49, vcc_lo, v32, v49, vcc_lo
	v_lshlrev_b64 v[71:72], 1, v[46:47]
	v_sub_nc_u32_e32 v46, v11, v7
	v_add_co_u32 v69, vcc_lo, v6, v69
	v_add_co_ci_u32_e32 v70, vcc_lo, v32, v70, vcc_lo
	s_delay_alu instid0(VALU_DEP_3)
	v_lshlrev_b64 v[73:74], 1, v[46:47]
	v_sub_nc_u32_e32 v46, v16, v7
	v_add_co_u32 v71, vcc_lo, v6, v71
	v_add_co_ci_u32_e32 v72, vcc_lo, v32, v72, vcc_lo
	s_clause 0x3
	global_store_d16_hi_b16 v[67:68], v3, off
	global_store_b16 v[48:49], v4, off
	global_store_d16_hi_b16 v[69:70], v4, off
	global_store_b16 v[71:72], v13, off
	v_lshlrev_b64 v[48:49], 1, v[46:47]
	v_sub_nc_u32_e32 v46, v44, v7
	v_add_co_u32 v67, vcc_lo, v6, v73
	v_add_co_ci_u32_e32 v68, vcc_lo, v32, v74, vcc_lo
	s_delay_alu instid0(VALU_DEP_3) | instskip(SKIP_3) | instid1(VALU_DEP_3)
	v_lshlrev_b64 v[69:70], 1, v[46:47]
	v_sub_nc_u32_e32 v46, v40, v7
	v_add_co_u32 v48, vcc_lo, v6, v48
	v_add_co_ci_u32_e32 v49, vcc_lo, v32, v49, vcc_lo
	v_lshlrev_b64 v[46:47], 1, v[46:47]
	v_add_co_u32 v69, vcc_lo, v6, v69
	v_add_co_ci_u32_e32 v70, vcc_lo, v32, v70, vcc_lo
	s_clause 0x2
	global_store_d16_hi_b16 v[67:68], v13, off
	global_store_b16 v[48:49], v14, off
	global_store_d16_hi_b16 v[69:70], v14, off
	v_add_co_u32 v46, vcc_lo, v6, v46
	v_add_co_ci_u32_e32 v47, vcc_lo, v32, v47, vcc_lo
	global_store_b16 v[46:47], v15, off
	s_or_b32 exec_lo, exec_lo, s16
	s_delay_alu instid0(SALU_CYCLE_1)
	s_and_b32 exec_lo, exec_lo, s19
	s_cbranch_execnz .LBB767_165
	s_branch .LBB767_166
.LBB767_146:
                                        ; implicit-def: $sgpr0
                                        ; implicit-def: $vgpr55
                                        ; implicit-def: $vgpr50
                                        ; implicit-def: $vgpr51
                                        ; implicit-def: $vgpr52
                                        ; implicit-def: $vgpr53
                                        ; implicit-def: $vgpr54
                                        ; implicit-def: $vgpr57
                                        ; implicit-def: $vgpr58
                                        ; implicit-def: $vgpr59
                                        ; implicit-def: $vgpr60
                                        ; implicit-def: $vgpr61
                                        ; implicit-def: $vgpr62
                                        ; implicit-def: $vgpr63
                                        ; implicit-def: $vgpr64
	s_cbranch_execz .LBB767_143
.LBB767_147:
	v_dual_mov_b32 v25, 0 :: v_dual_lshlrev_b32 v40, 1, v0
	v_cmp_ne_u16_e32 vcc_lo, v15, v42
	v_cmp_ne_u16_e64 s4, v14, v74
	v_cmp_ne_u16_e64 s0, v74, v15
	s_delay_alu instid0(VALU_DEP_4)
	v_mov_b32_e32 v39, v25
	v_mov_b32_e32 v23, v25
	v_cmp_gt_u64_e64 s1, s[14:15], v[24:25]
	v_mov_b32_e32 v37, v25
	v_mov_b32_e32 v21, v25
	v_cmp_gt_u64_e64 s6, s[14:15], v[38:39]
	v_cmp_gt_u64_e64 s5, s[14:15], v[22:23]
	v_mov_b32_e32 v17, v25
	s_and_b32 s1, s1, vcc_lo
	v_cmp_gt_u64_e32 vcc_lo, s[14:15], v[20:21]
	v_cndmask_b32_e64 v55, 0, 1, s1
	s_and_b32 s1, s6, s4
	s_and_b32 s0, s5, s0
	v_cndmask_b32_e64 v51, 0, 1, s1
	v_cmp_gt_u64_e64 s1, s[14:15], v[36:37]
	v_cmp_ne_u16_e64 s4, v13, v66
	v_cndmask_b32_e64 v50, 0, 1, s0
	v_cmp_ne_u16_e64 s0, v66, v14
	v_mov_b32_e32 v35, v25
	v_mov_b32_e32 v12, v25
	s_and_b32 s1, s1, s4
	v_cmp_ne_u16_e64 s4, v4, v65
	s_and_b32 s0, vcc_lo, s0
	v_cmp_gt_u64_e32 vcc_lo, s[14:15], v[16:17]
	v_cndmask_b32_e64 v53, 0, 1, s1
	v_cmp_gt_u64_e64 s1, s[14:15], v[34:35]
	v_cndmask_b32_e64 v52, 0, 1, s0
	v_cmp_ne_u16_e64 s0, v65, v13
	v_mov_b32_e32 v31, v25
	v_mov_b32_e32 v10, v25
	v_mov_b32_e32 v29, v25
	s_and_b32 s1, s1, s4
	s_and_b32 s0, vcc_lo, s0
	v_cmp_gt_u64_e32 vcc_lo, s[14:15], v[11:12]
	v_cndmask_b32_e64 v54, 0, 1, s0
	v_cmp_ne_u16_e64 s0, v45, v4
	v_cndmask_b32_e64 v57, 0, 1, s1
	v_cmp_gt_u64_e64 s1, s[14:15], v[30:31]
	v_cmp_ne_u16_e64 s4, v3, v45
	v_mov_b32_e32 v8, v25
	s_and_b32 s0, vcc_lo, s0
	v_cmp_gt_u64_e32 vcc_lo, s[14:15], v[9:10]
	v_cndmask_b32_e64 v58, 0, 1, s0
	s_and_b32 s1, s1, s4
	v_cmp_ne_u16_e64 s0, v44, v3
	v_cndmask_b32_e64 v59, 0, 1, s1
	v_cmp_gt_u64_e64 s1, s[14:15], v[28:29]
	v_cmp_ne_u16_e64 s4, v2, v44
	v_mov_b32_e32 v27, v25
	s_and_b32 s0, vcc_lo, s0
	v_mov_b32_e32 v6, v25
	v_cndmask_b32_e64 v60, 0, 1, s0
	s_and_b32 s0, s1, s4
	v_cmp_gt_u64_e32 vcc_lo, s[14:15], v[7:8]
	v_cndmask_b32_e64 v61, 0, 1, s0
	v_cmp_ne_u16_e64 s0, v43, v2
	v_cmp_gt_u64_e64 s1, s[14:15], v[26:27]
	v_cmp_ne_u16_e64 s4, v1, v43
	v_cmp_gt_u64_e64 s5, s[14:15], v[5:6]
	v_cmp_ne_u16_e64 s6, v56, v1
	s_and_b32 s0, vcc_lo, s0
	s_mov_b32 s7, 1
	v_cndmask_b32_e64 v62, 0, 1, s0
	s_and_b32 s0, s1, s4
	ds_store_b16 v40, v42
	v_cndmask_b32_e64 v63, 0, 1, s0
	s_and_b32 s0, s5, s6
	s_waitcnt lgkmcnt(0)
	v_cndmask_b32_e64 v64, 0, 1, s0
	s_barrier
	buffer_gl0_inv
                                        ; implicit-def: $sgpr0
	s_and_saveexec_b32 s1, s3
	s_cbranch_execz .LBB767_186
; %bb.148:
	v_add_nc_u32_e32 v5, -2, v40
	v_mul_u32_u24_e32 v24, 15, v0
	s_or_b32 s16, s16, exec_lo
	ds_load_u16 v5, v5
	v_cmp_gt_u64_e32 vcc_lo, s[14:15], v[24:25]
	s_waitcnt lgkmcnt(0)
	v_cmp_ne_u16_e64 s0, v5, v56
	s_delay_alu instid0(VALU_DEP_1) | instskip(NEXT) | instid1(SALU_CYCLE_1)
	s_and_b32 s0, vcc_lo, s0
	s_and_b32 s0, s0, exec_lo
	s_or_b32 exec_lo, exec_lo, s1
	v_mov_b32_e32 v65, s7
	s_and_saveexec_b32 s1, s16
	s_cbranch_execz .LBB767_78
	s_branch .LBB767_77
.LBB767_149:
	s_or_b32 exec_lo, exec_lo, s19
	s_and_saveexec_b32 s19, s14
	s_cbranch_execz .LBB767_123
.LBB767_150:
	v_sub_nc_u32_e32 v46, v42, v7
	v_mov_b32_e32 v47, 0
	s_delay_alu instid0(VALU_DEP_1) | instskip(NEXT) | instid1(VALU_DEP_1)
	v_lshlrev_b64 v[46:47], 1, v[46:47]
	v_add_co_u32 v46, vcc_lo, v6, v46
	s_delay_alu instid0(VALU_DEP_2)
	v_add_co_ci_u32_e32 v47, vcc_lo, v32, v47, vcc_lo
	global_store_b16 v[46:47], v1, off
	s_or_b32 exec_lo, exec_lo, s19
	s_and_saveexec_b32 s19, s13
	s_cbranch_execnz .LBB767_124
.LBB767_151:
	s_or_b32 exec_lo, exec_lo, s19
	s_and_saveexec_b32 s19, s12
	s_cbranch_execz .LBB767_125
.LBB767_152:
	v_sub_nc_u32_e32 v46, v34, v7
	v_mov_b32_e32 v47, 0
	s_delay_alu instid0(VALU_DEP_1) | instskip(NEXT) | instid1(VALU_DEP_1)
	v_lshlrev_b64 v[46:47], 1, v[46:47]
	v_add_co_u32 v46, vcc_lo, v6, v46
	s_delay_alu instid0(VALU_DEP_2)
	v_add_co_ci_u32_e32 v47, vcc_lo, v32, v47, vcc_lo
	global_store_b16 v[46:47], v2, off
	s_or_b32 exec_lo, exec_lo, s19
	s_and_saveexec_b32 s19, s11
	s_cbranch_execnz .LBB767_126
.LBB767_153:
	s_or_b32 exec_lo, exec_lo, s19
	s_and_saveexec_b32 s19, s10
	s_cbranch_execz .LBB767_127
.LBB767_154:
	v_sub_nc_u32_e32 v46, v22, v7
	v_mov_b32_e32 v47, 0
	s_delay_alu instid0(VALU_DEP_1) | instskip(NEXT) | instid1(VALU_DEP_1)
	v_lshlrev_b64 v[46:47], 1, v[46:47]
	v_add_co_u32 v46, vcc_lo, v6, v46
	s_delay_alu instid0(VALU_DEP_2)
	v_add_co_ci_u32_e32 v47, vcc_lo, v32, v47, vcc_lo
	global_store_b16 v[46:47], v3, off
	s_or_b32 exec_lo, exec_lo, s19
	s_and_saveexec_b32 s19, s8
	s_cbranch_execnz .LBB767_128
.LBB767_155:
	s_or_b32 exec_lo, exec_lo, s19
	s_and_saveexec_b32 s19, s6
	s_cbranch_execz .LBB767_129
.LBB767_156:
	v_sub_nc_u32_e32 v46, v24, v7
	v_mov_b32_e32 v47, 0
	s_delay_alu instid0(VALU_DEP_1) | instskip(NEXT) | instid1(VALU_DEP_1)
	v_lshlrev_b64 v[46:47], 1, v[46:47]
	v_add_co_u32 v46, vcc_lo, v6, v46
	s_delay_alu instid0(VALU_DEP_2)
	v_add_co_ci_u32_e32 v47, vcc_lo, v32, v47, vcc_lo
	global_store_b16 v[46:47], v4, off
	s_or_b32 exec_lo, exec_lo, s19
	s_and_saveexec_b32 s19, s9
	s_cbranch_execnz .LBB767_130
.LBB767_157:
	s_or_b32 exec_lo, exec_lo, s19
	s_and_saveexec_b32 s19, s7
	s_cbranch_execz .LBB767_131
.LBB767_158:
	v_sub_nc_u32_e32 v46, v9, v7
	v_mov_b32_e32 v47, 0
	s_delay_alu instid0(VALU_DEP_1) | instskip(NEXT) | instid1(VALU_DEP_1)
	v_lshlrev_b64 v[46:47], 1, v[46:47]
	v_add_co_u32 v46, vcc_lo, v6, v46
	s_delay_alu instid0(VALU_DEP_2)
	v_add_co_ci_u32_e32 v47, vcc_lo, v32, v47, vcc_lo
	global_store_b16 v[46:47], v13, off
	s_or_b32 exec_lo, exec_lo, s19
	s_and_saveexec_b32 s19, s5
	s_cbranch_execnz .LBB767_132
.LBB767_159:
	s_or_b32 exec_lo, exec_lo, s19
	s_and_saveexec_b32 s19, s4
	s_cbranch_execz .LBB767_133
.LBB767_160:
	v_sub_nc_u32_e32 v46, v16, v7
	v_mov_b32_e32 v47, 0
	s_delay_alu instid0(VALU_DEP_1) | instskip(NEXT) | instid1(VALU_DEP_1)
	v_lshlrev_b64 v[46:47], 1, v[46:47]
	v_add_co_u32 v46, vcc_lo, v6, v46
	s_delay_alu instid0(VALU_DEP_2)
	v_add_co_ci_u32_e32 v47, vcc_lo, v32, v47, vcc_lo
	global_store_b16 v[46:47], v14, off
	s_or_b32 exec_lo, exec_lo, s19
	s_and_saveexec_b32 s19, s3
	s_cbranch_execnz .LBB767_134
.LBB767_161:
	s_or_b32 exec_lo, exec_lo, s19
	s_and_saveexec_b32 s19, s1
	s_cbranch_execz .LBB767_163
.LBB767_162:
	v_sub_nc_u32_e32 v46, v40, v7
	v_mov_b32_e32 v47, 0
	s_delay_alu instid0(VALU_DEP_1) | instskip(NEXT) | instid1(VALU_DEP_1)
	v_lshlrev_b64 v[46:47], 1, v[46:47]
	v_add_co_u32 v46, vcc_lo, v6, v46
	s_delay_alu instid0(VALU_DEP_2)
	v_add_co_ci_u32_e32 v47, vcc_lo, v32, v47, vcc_lo
	global_store_b16 v[46:47], v15, off
.LBB767_163:
	s_or_b32 exec_lo, exec_lo, s19
	s_delay_alu instid0(SALU_CYCLE_1)
	s_and_b32 s19, s0, exec_lo
	s_and_not1_saveexec_b32 s16, s16
	s_cbranch_execnz .LBB767_145
.LBB767_164:
	s_or_b32 exec_lo, exec_lo, s16
	s_delay_alu instid0(SALU_CYCLE_1)
	s_and_b32 exec_lo, exec_lo, s19
	s_cbranch_execz .LBB767_166
.LBB767_165:
	v_sub_nc_u32_e32 v46, v30, v7
	v_mov_b32_e32 v47, 0
	s_delay_alu instid0(VALU_DEP_1) | instskip(NEXT) | instid1(VALU_DEP_1)
	v_lshlrev_b64 v[46:47], 1, v[46:47]
	v_add_co_u32 v46, vcc_lo, v6, v46
	s_delay_alu instid0(VALU_DEP_2)
	v_add_co_ci_u32_e32 v47, vcc_lo, v32, v47, vcc_lo
	global_store_d16_hi_b16 v[46:47], v15, off
.LBB767_166:
	s_or_b32 exec_lo, exec_lo, s18
	s_mov_b32 s18, 0
.LBB767_167:
	s_delay_alu instid0(SALU_CYCLE_1)
	s_and_b32 vcc_lo, exec_lo, s18
	s_cbranch_vccz .LBB767_220
; %bb.168:
	s_mov_b32 s16, exec_lo
	v_cmpx_gt_i16_e32 2, v33
	s_cbranch_execz .LBB767_204
; %bb.169:
	s_mov_b32 s19, 0
	s_mov_b32 s18, exec_lo
	v_cmpx_ne_u16_e32 1, v33
	s_xor_b32 s18, exec_lo, s18
	s_cbranch_execz .LBB767_184
; %bb.170:
	s_and_saveexec_b32 s19, s15
	s_cbranch_execz .LBB767_187
; %bb.171:
	v_sub_nc_u32_e32 v33, v36, v7
	s_delay_alu instid0(VALU_DEP_1)
	v_lshlrev_b32_e32 v33, 1, v33
	ds_store_b16 v33, v56
	s_or_b32 exec_lo, exec_lo, s19
	s_and_saveexec_b32 s15, s14
	s_cbranch_execnz .LBB767_188
.LBB767_172:
	s_or_b32 exec_lo, exec_lo, s15
	s_and_saveexec_b32 s14, s13
	s_cbranch_execz .LBB767_189
.LBB767_173:
	v_sub_nc_u32_e32 v33, v38, v7
	s_delay_alu instid0(VALU_DEP_1)
	v_lshlrev_b32_e32 v33, 1, v33
	ds_store_b16_d16_hi v33, v1
	s_or_b32 exec_lo, exec_lo, s14
	s_and_saveexec_b32 s13, s12
	s_cbranch_execnz .LBB767_190
.LBB767_174:
	s_or_b32 exec_lo, exec_lo, s13
	s_and_saveexec_b32 s12, s11
	s_cbranch_execz .LBB767_191
.LBB767_175:
	v_sub_nc_u32_e32 v1, v26, v7
	s_delay_alu instid0(VALU_DEP_1)
	v_lshlrev_b32_e32 v1, 1, v1
	ds_store_b16_d16_hi v1, v2
	s_or_b32 exec_lo, exec_lo, s12
	s_and_saveexec_b32 s11, s10
	s_cbranch_execnz .LBB767_192
.LBB767_176:
	s_or_b32 exec_lo, exec_lo, s11
	s_and_saveexec_b32 s10, s8
	s_cbranch_execz .LBB767_193
.LBB767_177:
	v_sub_nc_u32_e32 v1, v20, v7
	s_delay_alu instid0(VALU_DEP_1)
	v_lshlrev_b32_e32 v1, 1, v1
	ds_store_b16_d16_hi v1, v3
	s_or_b32 exec_lo, exec_lo, s10
	s_and_saveexec_b32 s8, s6
	s_cbranch_execnz .LBB767_194
.LBB767_178:
	s_or_b32 exec_lo, exec_lo, s8
	s_and_saveexec_b32 s6, s9
	s_cbranch_execz .LBB767_195
.LBB767_179:
	v_sub_nc_u32_e32 v1, v28, v7
	s_delay_alu instid0(VALU_DEP_1)
	v_lshlrev_b32_e32 v1, 1, v1
	ds_store_b16_d16_hi v1, v4
	s_or_b32 exec_lo, exec_lo, s6
	s_and_saveexec_b32 s6, s7
	s_cbranch_execnz .LBB767_196
.LBB767_180:
	s_or_b32 exec_lo, exec_lo, s6
	s_and_saveexec_b32 s6, s5
	s_cbranch_execz .LBB767_197
.LBB767_181:
	v_sub_nc_u32_e32 v1, v11, v7
	s_delay_alu instid0(VALU_DEP_1)
	v_lshlrev_b32_e32 v1, 1, v1
	ds_store_b16_d16_hi v1, v13
	s_or_b32 exec_lo, exec_lo, s6
	s_and_saveexec_b32 s5, s4
	s_cbranch_execnz .LBB767_198
.LBB767_182:
	s_or_b32 exec_lo, exec_lo, s5
	s_and_saveexec_b32 s4, s3
	s_cbranch_execz .LBB767_199
.LBB767_183:
	v_sub_nc_u32_e32 v1, v44, v7
	s_delay_alu instid0(VALU_DEP_1)
	v_lshlrev_b32_e32 v1, 1, v1
	ds_store_b16_d16_hi v1, v14
	s_or_b32 exec_lo, exec_lo, s4
	s_and_saveexec_b32 s3, s1
	s_cbranch_execnz .LBB767_200
	s_branch .LBB767_201
.LBB767_184:
	s_and_not1_saveexec_b32 s0, s18
	s_cbranch_execz .LBB767_202
.LBB767_185:
	v_sub_nc_u32_e32 v33, v36, v7
	v_sub_nc_u32_e32 v46, v42, v7
	;; [unrolled: 1-line block ×4, first 2 shown]
	s_or_b32 s19, s19, exec_lo
	v_lshlrev_b32_e32 v33, 1, v33
	v_lshlrev_b32_e32 v46, 1, v46
	;; [unrolled: 1-line block ×4, first 2 shown]
	ds_store_b16 v33, v56
	ds_store_b16 v46, v1
	ds_store_b16_d16_hi v47, v1
	v_sub_nc_u32_e32 v1, v26, v7
	v_sub_nc_u32_e32 v33, v22, v7
	ds_store_b16 v48, v2
	v_sub_nc_u32_e32 v48, v28, v7
	v_sub_nc_u32_e32 v46, v20, v7
	v_lshlrev_b32_e32 v1, 1, v1
	v_sub_nc_u32_e32 v47, v24, v7
	v_lshlrev_b32_e32 v33, 1, v33
	s_delay_alu instid0(VALU_DEP_4)
	v_lshlrev_b32_e32 v46, 1, v46
	ds_store_b16_d16_hi v1, v2
	v_lshlrev_b32_e32 v1, 1, v48
	v_sub_nc_u32_e32 v2, v9, v7
	v_lshlrev_b32_e32 v47, 1, v47
	ds_store_b16 v33, v3
	ds_store_b16_d16_hi v46, v3
	ds_store_b16 v47, v4
	ds_store_b16_d16_hi v1, v4
	v_sub_nc_u32_e32 v1, v11, v7
	v_lshlrev_b32_e32 v2, 1, v2
	v_sub_nc_u32_e32 v33, v40, v7
	v_sub_nc_u32_e32 v3, v16, v7
	;; [unrolled: 1-line block ×3, first 2 shown]
	v_lshlrev_b32_e32 v1, 1, v1
	ds_store_b16 v2, v13
	v_lshlrev_b32_e32 v2, 1, v33
	v_lshlrev_b32_e32 v3, 1, v3
	;; [unrolled: 1-line block ×3, first 2 shown]
	ds_store_b16_d16_hi v1, v13
	ds_store_b16 v3, v14
	ds_store_b16_d16_hi v4, v14
	ds_store_b16 v2, v15
	s_or_b32 exec_lo, exec_lo, s0
	s_delay_alu instid0(SALU_CYCLE_1)
	s_and_b32 exec_lo, exec_lo, s19
	s_cbranch_execnz .LBB767_203
	s_branch .LBB767_204
.LBB767_186:
	s_or_b32 exec_lo, exec_lo, s1
	v_mov_b32_e32 v65, s7
	s_and_saveexec_b32 s1, s16
	s_cbranch_execnz .LBB767_77
	s_branch .LBB767_78
.LBB767_187:
	s_or_b32 exec_lo, exec_lo, s19
	s_and_saveexec_b32 s15, s14
	s_cbranch_execz .LBB767_172
.LBB767_188:
	v_sub_nc_u32_e32 v33, v42, v7
	s_delay_alu instid0(VALU_DEP_1)
	v_lshlrev_b32_e32 v33, 1, v33
	ds_store_b16 v33, v1
	s_or_b32 exec_lo, exec_lo, s15
	s_and_saveexec_b32 s14, s13
	s_cbranch_execnz .LBB767_173
.LBB767_189:
	s_or_b32 exec_lo, exec_lo, s14
	s_and_saveexec_b32 s13, s12
	s_cbranch_execz .LBB767_174
.LBB767_190:
	v_sub_nc_u32_e32 v1, v34, v7
	s_delay_alu instid0(VALU_DEP_1)
	v_lshlrev_b32_e32 v1, 1, v1
	ds_store_b16 v1, v2
	s_or_b32 exec_lo, exec_lo, s13
	s_and_saveexec_b32 s12, s11
	s_cbranch_execnz .LBB767_175
.LBB767_191:
	s_or_b32 exec_lo, exec_lo, s12
	s_and_saveexec_b32 s11, s10
	s_cbranch_execz .LBB767_176
.LBB767_192:
	v_sub_nc_u32_e32 v1, v22, v7
	s_delay_alu instid0(VALU_DEP_1)
	v_lshlrev_b32_e32 v1, 1, v1
	ds_store_b16 v1, v3
	s_or_b32 exec_lo, exec_lo, s11
	s_and_saveexec_b32 s10, s8
	s_cbranch_execnz .LBB767_177
.LBB767_193:
	s_or_b32 exec_lo, exec_lo, s10
	s_and_saveexec_b32 s8, s6
	s_cbranch_execz .LBB767_178
.LBB767_194:
	v_sub_nc_u32_e32 v1, v24, v7
	s_delay_alu instid0(VALU_DEP_1)
	v_lshlrev_b32_e32 v1, 1, v1
	ds_store_b16 v1, v4
	s_or_b32 exec_lo, exec_lo, s8
	s_and_saveexec_b32 s6, s9
	s_cbranch_execnz .LBB767_179
.LBB767_195:
	s_or_b32 exec_lo, exec_lo, s6
	s_and_saveexec_b32 s6, s7
	s_cbranch_execz .LBB767_180
.LBB767_196:
	v_sub_nc_u32_e32 v1, v9, v7
	s_delay_alu instid0(VALU_DEP_1)
	v_lshlrev_b32_e32 v1, 1, v1
	ds_store_b16 v1, v13
	s_or_b32 exec_lo, exec_lo, s6
	s_and_saveexec_b32 s6, s5
	s_cbranch_execnz .LBB767_181
.LBB767_197:
	s_or_b32 exec_lo, exec_lo, s6
	s_and_saveexec_b32 s5, s4
	s_cbranch_execz .LBB767_182
.LBB767_198:
	v_sub_nc_u32_e32 v1, v16, v7
	s_delay_alu instid0(VALU_DEP_1)
	v_lshlrev_b32_e32 v1, 1, v1
	ds_store_b16 v1, v14
	s_or_b32 exec_lo, exec_lo, s5
	s_and_saveexec_b32 s4, s3
	s_cbranch_execnz .LBB767_183
.LBB767_199:
	s_or_b32 exec_lo, exec_lo, s4
	s_and_saveexec_b32 s3, s1
	s_cbranch_execz .LBB767_201
.LBB767_200:
	v_sub_nc_u32_e32 v1, v40, v7
	s_delay_alu instid0(VALU_DEP_1)
	v_lshlrev_b32_e32 v1, 1, v1
	ds_store_b16 v1, v15
.LBB767_201:
	s_or_b32 exec_lo, exec_lo, s3
	s_delay_alu instid0(SALU_CYCLE_1)
	s_and_b32 s19, s0, exec_lo
                                        ; implicit-def: $vgpr56
                                        ; implicit-def: $vgpr1
	s_and_not1_saveexec_b32 s0, s18
	s_cbranch_execnz .LBB767_185
.LBB767_202:
	s_or_b32 exec_lo, exec_lo, s0
	s_delay_alu instid0(SALU_CYCLE_1)
	s_and_b32 exec_lo, exec_lo, s19
	s_cbranch_execz .LBB767_204
.LBB767_203:
	v_sub_nc_u32_e32 v1, v30, v7
	s_delay_alu instid0(VALU_DEP_1)
	v_lshlrev_b32_e32 v1, 1, v1
	ds_store_b16_d16_hi v1, v15
.LBB767_204:
	s_or_b32 exec_lo, exec_lo, s16
	s_delay_alu instid0(SALU_CYCLE_1)
	s_mov_b32 s1, exec_lo
	s_waitcnt lgkmcnt(0)
	s_waitcnt_vscnt null, 0x0
	s_barrier
	buffer_gl0_inv
	v_cmpx_lt_u32_e64 v0, v5
	s_cbranch_execz .LBB767_219
; %bb.205:
	v_xad_u32 v2, v0, -1, v5
	v_mov_b32_e32 v1, v0
	s_mov_b32 s0, -1
	s_mov_b32 s4, exec_lo
	s_delay_alu instid0(VALU_DEP_2)
	v_cmp_gt_u32_e64 s3, 0x1900, v2
	v_cmpx_lt_u32_e32 0x18ff, v2
	s_cbranch_execz .LBB767_216
; %bb.206:
	v_sub_nc_u32_e32 v1, v0, v5
	s_delay_alu instid0(VALU_DEP_1) | instskip(NEXT) | instid1(VALU_DEP_1)
	v_or_b32_e32 v1, 0xff, v1
	v_cmp_ge_u32_e32 vcc_lo, v1, v0
	v_mov_b32_e32 v1, v0
	s_and_saveexec_b32 s5, vcc_lo
	s_cbranch_execz .LBB767_215
; %bb.207:
	v_lshrrev_b32_e32 v4, 8, v2
	v_or_b32_e32 v1, 0x100, v0
	v_dual_mov_b32 v48, 0 :: v_dual_lshlrev_b32 v15, 1, v0
	s_delay_alu instid0(VALU_DEP_3) | instskip(NEXT) | instid1(VALU_DEP_1)
	v_add_nc_u32_e32 v2, -1, v4
	v_lshrrev_b32_e32 v3, 1, v2
	v_cmp_lt_u32_e32 vcc_lo, 13, v2
	s_delay_alu instid0(VALU_DEP_2)
	v_add_nc_u32_e32 v33, 1, v3
	v_dual_mov_b32 v3, v1 :: v_dual_mov_b32 v2, v0
	s_and_saveexec_b32 s0, vcc_lo
	s_cbranch_execz .LBB767_211
; %bb.208:
	v_dual_mov_b32 v14, 0 :: v_dual_mov_b32 v3, v1
	v_dual_mov_b32 v47, v15 :: v_dual_and_b32 v46, -8, v33
	v_mov_b32_e32 v2, v0
	s_mov_b32 s6, 0
	s_mov_b32 s7, 0
.LBB767_209:                            ; =>This Inner Loop Header: Depth=1
	s_delay_alu instid0(VALU_DEP_1) | instskip(SKIP_2) | instid1(VALU_DEP_3)
	v_dual_mov_b32 v13, v2 :: v_dual_add_nc_u32 v46, -8, v46
	v_dual_mov_b32 v68, v14 :: v_dual_add_nc_u32 v67, 0x200, v3
	v_dual_mov_b32 v70, v14 :: v_dual_add_nc_u32 v69, 0x400, v3
	v_lshlrev_b64 v[81:82], 1, v[13:14]
	s_delay_alu instid0(VALU_DEP_4) | instskip(NEXT) | instid1(VALU_DEP_4)
	v_cmp_eq_u32_e32 vcc_lo, 0, v46
	v_lshlrev_b64 v[67:68], 1, v[67:68]
	v_dual_mov_b32 v72, v14 :: v_dual_add_nc_u32 v71, 0x600, v3
	s_add_i32 s7, s7, 16
	v_lshlrev_b64 v[69:70], 1, v[69:70]
	s_or_b32 s6, vcc_lo, s6
	v_add_co_u32 v81, vcc_lo, v6, v81
	v_dual_mov_b32 v74, v14 :: v_dual_add_nc_u32 v73, 0x800, v3
	v_add_co_ci_u32_e32 v82, vcc_lo, v32, v82, vcc_lo
	v_lshlrev_b64 v[71:72], 1, v[71:72]
	v_add_co_u32 v67, vcc_lo, v6, v67
	v_dual_mov_b32 v76, v14 :: v_dual_add_nc_u32 v75, 0xa00, v3
	v_add_co_ci_u32_e32 v68, vcc_lo, v32, v68, vcc_lo
	v_lshlrev_b64 v[73:74], 1, v[73:74]
	v_add_co_u32 v69, vcc_lo, v6, v69
	v_dual_mov_b32 v78, v14 :: v_dual_add_nc_u32 v77, 0xc00, v3
	v_add_co_ci_u32_e32 v70, vcc_lo, v32, v70, vcc_lo
	v_lshlrev_b64 v[75:76], 1, v[75:76]
	v_add_co_u32 v71, vcc_lo, v6, v71
	v_dual_mov_b32 v80, v14 :: v_dual_add_nc_u32 v79, 0xe00, v3
	v_mov_b32_e32 v13, v3
	v_add_co_ci_u32_e32 v72, vcc_lo, v32, v72, vcc_lo
	v_lshlrev_b64 v[77:78], 1, v[77:78]
	v_add_co_u32 v73, vcc_lo, v6, v73
	ds_load_u16 v1, v47
	ds_load_u16 v49, v47 offset:512
	ds_load_u16 v56, v47 offset:1024
	;; [unrolled: 1-line block ×7, first 2 shown]
	v_add_co_ci_u32_e32 v74, vcc_lo, v32, v74, vcc_lo
	v_lshlrev_b64 v[79:80], 1, v[79:80]
	v_add_co_u32 v75, vcc_lo, v6, v75
	v_lshlrev_b64 v[83:84], 1, v[13:14]
	v_add_nc_u32_e32 v13, 0x200, v2
	v_add_co_ci_u32_e32 v76, vcc_lo, v32, v76, vcc_lo
	v_add_co_u32 v77, vcc_lo, v6, v77
	v_add_co_ci_u32_e32 v78, vcc_lo, v32, v78, vcc_lo
	v_add_co_u32 v79, vcc_lo, v6, v79
	v_lshlrev_b64 v[85:86], 1, v[13:14]
	v_add_nc_u32_e32 v13, 0x400, v2
	v_add_co_ci_u32_e32 v80, vcc_lo, v32, v80, vcc_lo
	v_add_co_u32 v83, vcc_lo, v6, v83
	ds_load_u16 v92, v47 offset:4096
	ds_load_u16 v93, v47 offset:4608
	;; [unrolled: 1-line block ×8, first 2 shown]
	v_add_co_ci_u32_e32 v84, vcc_lo, v32, v84, vcc_lo
	s_waitcnt lgkmcnt(15)
	global_store_b16 v[81:82], v1, off
	v_lshlrev_b64 v[81:82], 1, v[13:14]
	v_add_nc_u32_e32 v13, 0x600, v2
	v_add_co_u32 v85, vcc_lo, v6, v85
	v_add_co_ci_u32_e32 v86, vcc_lo, v32, v86, vcc_lo
	s_waitcnt lgkmcnt(14)
	global_store_b16 v[83:84], v49, off
	v_lshlrev_b64 v[83:84], 1, v[13:14]
	v_add_nc_u32_e32 v13, 0x800, v2
	s_waitcnt lgkmcnt(13)
	global_store_b16 v[85:86], v56, off
	s_waitcnt lgkmcnt(12)
	global_store_b16 v[67:68], v87, off
	v_add_co_u32 v67, vcc_lo, v6, v81
	v_add_co_ci_u32_e32 v68, vcc_lo, v32, v82, vcc_lo
	v_lshlrev_b64 v[81:82], 1, v[13:14]
	v_add_nc_u32_e32 v13, 0xa00, v2
	v_add_co_u32 v83, vcc_lo, v6, v83
	v_add_co_ci_u32_e32 v84, vcc_lo, v32, v84, vcc_lo
	s_waitcnt lgkmcnt(11)
	global_store_b16 v[67:68], v88, off
	s_waitcnt lgkmcnt(10)
	global_store_b16 v[69:70], v89, off
	v_lshlrev_b64 v[67:68], 1, v[13:14]
	v_add_nc_u32_e32 v13, 0xc00, v2
	v_add_co_u32 v69, vcc_lo, v6, v81
	s_waitcnt lgkmcnt(9)
	global_store_b16 v[83:84], v90, off
	s_waitcnt lgkmcnt(8)
	global_store_b16 v[71:72], v91, off
	v_add_co_ci_u32_e32 v70, vcc_lo, v32, v82, vcc_lo
	v_lshlrev_b64 v[71:72], 1, v[13:14]
	v_add_nc_u32_e32 v13, 0xe00, v2
	v_add_nc_u32_e32 v2, 0x1000, v2
	v_add_co_u32 v67, vcc_lo, v6, v67
	v_add_co_ci_u32_e32 v68, vcc_lo, v32, v68, vcc_lo
	s_waitcnt lgkmcnt(7)
	global_store_b16 v[69:70], v92, off
	s_waitcnt lgkmcnt(6)
	global_store_b16 v[73:74], v93, off
	v_lshlrev_b64 v[69:70], 1, v[13:14]
	v_dual_mov_b32 v48, s7 :: v_dual_add_nc_u32 v47, 0x2000, v47
	s_waitcnt lgkmcnt(5)
	global_store_b16 v[67:68], v94, off
	v_add_co_u32 v67, vcc_lo, v6, v71
	v_add_nc_u32_e32 v3, 0x1000, v3
	v_add_co_ci_u32_e32 v68, vcc_lo, v32, v72, vcc_lo
	v_add_co_u32 v69, vcc_lo, v6, v69
	v_add_co_ci_u32_e32 v70, vcc_lo, v32, v70, vcc_lo
	s_waitcnt lgkmcnt(4)
	global_store_b16 v[75:76], v95, off
	s_waitcnt lgkmcnt(3)
	global_store_b16 v[67:68], v96, off
	;; [unrolled: 2-line block ×5, first 2 shown]
	s_and_not1_b32 exec_lo, exec_lo, s6
	s_cbranch_execnz .LBB767_209
; %bb.210:
	s_or_b32 exec_lo, exec_lo, s6
.LBB767_211:
	s_delay_alu instid0(SALU_CYCLE_1) | instskip(SKIP_3) | instid1(VALU_DEP_1)
	s_or_b32 exec_lo, exec_lo, s0
	v_and_b32_e32 v1, 7, v33
	s_mov_b32 s7, 0
	s_mov_b32 s6, exec_lo
	v_cmpx_ne_u32_e32 0, v1
	s_cbranch_execz .LBB767_214
; %bb.212:
	v_lshl_or_b32 v15, v48, 9, v15
	v_mov_b32_e32 v14, 0
	s_set_inst_prefetch_distance 0x1
	.p2align	6
.LBB767_213:                            ; =>This Inner Loop Header: Depth=1
	v_dual_mov_b32 v13, v2 :: v_dual_add_nc_u32 v2, 0x200, v2
	ds_load_u16 v33, v15
	ds_load_u16 v56, v15 offset:512
	v_add_nc_u32_e32 v1, -1, v1
	v_add_nc_u32_e32 v15, 0x400, v15
	v_lshlrev_b64 v[46:47], 1, v[13:14]
	v_mov_b32_e32 v13, v3
	v_add_nc_u32_e32 v3, 0x200, v3
	v_cmp_eq_u32_e32 vcc_lo, 0, v1
	s_delay_alu instid0(VALU_DEP_3) | instskip(SKIP_1) | instid1(VALU_DEP_1)
	v_lshlrev_b64 v[48:49], 1, v[13:14]
	v_add_co_u32 v46, s0, v6, v46
	v_add_co_ci_u32_e64 v47, s0, v32, v47, s0
	s_or_b32 s7, vcc_lo, s7
	s_delay_alu instid0(VALU_DEP_3) | instskip(NEXT) | instid1(VALU_DEP_1)
	v_add_co_u32 v48, s0, v6, v48
	v_add_co_ci_u32_e64 v49, s0, v32, v49, s0
	s_waitcnt lgkmcnt(1)
	global_store_b16 v[46:47], v33, off
	s_waitcnt lgkmcnt(0)
	global_store_b16 v[48:49], v56, off
	s_and_not1_b32 exec_lo, exec_lo, s7
	s_cbranch_execnz .LBB767_213
.LBB767_214:
	s_set_inst_prefetch_distance 0x2
	s_or_b32 exec_lo, exec_lo, s6
	v_add_nc_u32_e32 v1, 1, v4
	s_delay_alu instid0(VALU_DEP_1) | instskip(NEXT) | instid1(VALU_DEP_1)
	v_and_b32_e32 v2, 0x1fffffe, v1
	v_cmp_ne_u32_e32 vcc_lo, v1, v2
	v_lshl_or_b32 v1, v2, 8, v0
	s_or_not1_b32 s0, vcc_lo, exec_lo
.LBB767_215:
	s_or_b32 exec_lo, exec_lo, s5
	s_delay_alu instid0(SALU_CYCLE_1) | instskip(SKIP_1) | instid1(SALU_CYCLE_1)
	s_and_not1_b32 s3, s3, exec_lo
	s_and_b32 s0, s0, exec_lo
	s_or_b32 s3, s3, s0
.LBB767_216:
	s_or_b32 exec_lo, exec_lo, s4
	s_delay_alu instid0(VALU_DEP_2) | instid1(SALU_CYCLE_1)
	s_and_b32 exec_lo, exec_lo, s3
	s_cbranch_execz .LBB767_219
; %bb.217:
	v_dual_mov_b32 v2, 0 :: v_dual_lshlrev_b32 v3, 1, v1
	s_mov_b32 s3, 0
	.p2align	6
.LBB767_218:                            ; =>This Inner Loop Header: Depth=1
	ds_load_u16 v4, v3
	v_lshlrev_b64 v[13:14], 1, v[1:2]
	v_add_nc_u32_e32 v1, 0x100, v1
	v_add_nc_u32_e32 v3, 0x200, v3
	s_delay_alu instid0(VALU_DEP_2) | instskip(NEXT) | instid1(VALU_DEP_4)
	v_cmp_ge_u32_e32 vcc_lo, v1, v5
	v_add_co_u32 v13, s0, v6, v13
	s_delay_alu instid0(VALU_DEP_1)
	v_add_co_ci_u32_e64 v14, s0, v32, v14, s0
	s_or_b32 s3, vcc_lo, s3
	s_waitcnt lgkmcnt(0)
	global_store_b16 v[13:14], v4, off
	s_and_not1_b32 exec_lo, exec_lo, s3
	s_cbranch_execnz .LBB767_218
.LBB767_219:
	s_or_b32 exec_lo, exec_lo, s1
.LBB767_220:
	s_cmpk_lg_i32 s26, 0xf00
	v_cndmask_b32_e64 v15, 0, 1, s27
	s_cselect_b32 s0, -1, 0
	v_mad_i32_i24 v4, v0, -15, s26
	s_and_b32 s0, s0, s17
	s_and_b32 s1, s2, s27
	v_cndmask_b32_e64 v2, 0, 1, s0
	s_mul_hi_u32 s0, s26, 0x88888889
	v_sub_nc_u32_e32 v1, v5, v15
	s_lshr_b32 s0, s0, 3
	v_cndmask_b32_e64 v6, v65, 0, s1
	v_cmp_eq_u32_e32 vcc_lo, s0, v0
	v_cmp_ne_u32_e64 s0, 0, v4
	s_mov_b32 s16, -1
	s_waitcnt_vscnt null, 0x0
	s_barrier
	s_and_b32 vcc_lo, vcc_lo, s17
	v_add_nc_u32_e32 v3, v1, v2
	v_cndmask_b32_e64 v1, 1, v6, s0
	v_cmp_ne_u32_e64 s0, 1, v4
	buffer_gl0_inv
	v_cndmask_b32_e32 v47, v6, v1, vcc_lo
	v_cndmask_b32_e64 v2, 1, v64, s0
	v_cmp_ne_u32_e64 s0, 2, v4
	s_delay_alu instid0(VALU_DEP_3) | instskip(NEXT) | instid1(VALU_DEP_2)
	v_cmp_ne_u32_e64 s14, 0, v47
	v_cndmask_b32_e64 v13, 1, v63, s0
	v_cmp_ne_u32_e64 s0, 14, v4
	s_delay_alu instid0(VALU_DEP_2) | instskip(NEXT) | instid1(VALU_DEP_2)
	v_dual_cndmask_b32 v48, v64, v2 :: v_dual_cndmask_b32 v49, v63, v13
	v_cndmask_b32_e64 v14, 1, v55, s0
	v_cmp_ne_u32_e64 s0, 3, v4
	s_delay_alu instid0(VALU_DEP_3) | instskip(NEXT) | instid1(VALU_DEP_4)
	v_cmp_ne_u32_e64 s13, 0, v48
	v_cmp_ne_u32_e64 s12, 0, v49
	s_delay_alu instid0(VALU_DEP_4) | instskip(NEXT) | instid1(VALU_DEP_4)
	v_cndmask_b32_e32 v46, v55, v14, vcc_lo
	v_cndmask_b32_e64 v32, 1, v62, s0
	v_cmp_ne_u32_e64 s0, 4, v4
	s_delay_alu instid0(VALU_DEP_2) | instskip(NEXT) | instid1(VALU_DEP_2)
	v_cndmask_b32_e32 v32, v62, v32, vcc_lo
	v_cndmask_b32_e64 v33, 1, v61, s0
	v_cmp_ne_u32_e64 s0, 5, v4
	s_delay_alu instid0(VALU_DEP_3) | instskip(NEXT) | instid1(VALU_DEP_3)
	v_cmp_ne_u32_e64 s11, 0, v32
	v_cndmask_b32_e32 v33, v61, v33, vcc_lo
	s_delay_alu instid0(VALU_DEP_3) | instskip(SKIP_1) | instid1(VALU_DEP_3)
	v_cndmask_b32_e64 v1, 1, v60, s0
	v_cmp_ne_u32_e64 s0, 6, v4
	v_cmp_ne_u32_e64 s10, 0, v33
	s_delay_alu instid0(VALU_DEP_2) | instskip(SKIP_1) | instid1(VALU_DEP_1)
	v_cndmask_b32_e64 v2, 1, v59, s0
	v_cmp_eq_u32_e64 s0, 0, v47
	v_cndmask_b32_e64 v6, 1, 2, s0
	v_cmp_eq_u32_e64 s0, 0, v48
	s_delay_alu instid0(VALU_DEP_1) | instskip(SKIP_1) | instid1(VALU_DEP_2)
	v_cndmask_b32_e64 v14, 1, 2, s0
	v_cmp_ne_u32_e64 s0, 7, v4
	v_and_b32_e32 v6, v14, v6
	s_delay_alu instid0(VALU_DEP_2) | instskip(SKIP_1) | instid1(VALU_DEP_2)
	v_cndmask_b32_e64 v13, 1, v58, s0
	v_cmp_eq_u32_e64 s0, 0, v49
	v_cndmask_b32_e32 v58, v58, v13, vcc_lo
	s_delay_alu instid0(VALU_DEP_2) | instskip(SKIP_1) | instid1(VALU_DEP_3)
	v_cndmask_b32_e64 v14, 1, 2, s0
	v_cmp_ne_u32_e64 s0, 8, v4
	v_cmp_ne_u32_e64 s7, 0, v58
	s_delay_alu instid0(VALU_DEP_3) | instskip(NEXT) | instid1(VALU_DEP_3)
	v_and_b32_e32 v6, v6, v14
	v_cndmask_b32_e64 v55, 1, v57, s0
	v_cmp_ne_u32_e64 s0, 9, v4
	s_delay_alu instid0(VALU_DEP_2) | instskip(NEXT) | instid1(VALU_DEP_2)
	v_cndmask_b32_e32 v55, v57, v55, vcc_lo
	v_cndmask_b32_e64 v56, 1, v54, s0
	v_cmp_eq_u32_e64 s0, 0, v32
	s_delay_alu instid0(VALU_DEP_3) | instskip(NEXT) | instid1(VALU_DEP_3)
	v_cmp_ne_u32_e64 s6, 0, v55
	v_cndmask_b32_e32 v54, v54, v56, vcc_lo
	s_delay_alu instid0(VALU_DEP_3) | instskip(SKIP_1) | instid1(VALU_DEP_3)
	v_cndmask_b32_e64 v14, 1, 2, s0
	v_cmp_ne_u32_e64 s0, 10, v4
	v_cmp_ne_u32_e64 s5, 0, v54
	s_delay_alu instid0(VALU_DEP_2) | instskip(SKIP_1) | instid1(VALU_DEP_2)
	v_cndmask_b32_e64 v61, 1, v53, s0
	v_cmp_eq_u32_e64 s0, 0, v33
	v_cndmask_b32_e32 v53, v53, v61, vcc_lo
	v_dual_cndmask_b32 v60, v60, v1 :: v_dual_and_b32 v1, v6, v14
	s_delay_alu instid0(VALU_DEP_3) | instskip(SKIP_1) | instid1(VALU_DEP_4)
	v_cndmask_b32_e64 v6, 1, 2, s0
	v_cmp_ne_u32_e64 s0, 11, v4
	v_cmp_ne_u32_e64 s4, 0, v53
	s_delay_alu instid0(VALU_DEP_4) | instskip(NEXT) | instid1(VALU_DEP_4)
	v_cmp_ne_u32_e64 s9, 0, v60
	v_and_b32_e32 v1, v1, v6
	s_delay_alu instid0(VALU_DEP_4) | instskip(SKIP_1) | instid1(VALU_DEP_2)
	v_cndmask_b32_e64 v14, 1, v52, s0
	v_cmp_ne_u32_e64 s0, 13, v4
	v_cndmask_b32_e32 v52, v52, v14, vcc_lo
	s_delay_alu instid0(VALU_DEP_2) | instskip(SKIP_2) | instid1(VALU_DEP_3)
	v_cndmask_b32_e64 v62, 1, v50, s0
	v_cmp_eq_u32_e64 s0, 0, v60
	v_lshlrev_b64 v[13:14], 2, v[7:8]
	v_cndmask_b32_e32 v50, v50, v62, vcc_lo
	s_delay_alu instid0(VALU_DEP_3) | instskip(SKIP_1) | instid1(VALU_DEP_3)
	v_cndmask_b32_e64 v6, 1, 2, s0
	v_cmp_ne_u32_e64 s0, 12, v4
	v_cmp_ne_u32_e64 s1, 0, v50
	s_delay_alu instid0(VALU_DEP_3) | instskip(SKIP_1) | instid1(VALU_DEP_4)
	v_and_b32_e32 v1, v1, v6
	v_cndmask_b32_e32 v59, v59, v2, vcc_lo
	v_cndmask_b32_e64 v2, 1, v51, s0
	s_delay_alu instid0(VALU_DEP_2) | instskip(NEXT) | instid1(VALU_DEP_2)
	v_cmp_eq_u32_e64 s0, 0, v59
	v_cndmask_b32_e32 v51, v51, v2, vcc_lo
	v_cmp_eq_u32_e32 vcc_lo, 0, v55
	s_delay_alu instid0(VALU_DEP_3) | instskip(SKIP_1) | instid1(VALU_DEP_2)
	v_cndmask_b32_e64 v4, 1, 2, s0
	v_cmp_eq_u32_e64 s0, 0, v58
	v_and_b32_e32 v4, v1, v4
	v_lshlrev_b64 v[1:2], 2, v[18:19]
	s_delay_alu instid0(VALU_DEP_3) | instskip(SKIP_2) | instid1(VALU_DEP_3)
	v_cndmask_b32_e64 v6, 1, 2, s0
	v_cmp_ne_u32_e64 s8, 0, v59
	v_cmp_ne_u32_e64 s0, 0, v46
	v_and_b32_e32 v4, v4, v6
	v_cndmask_b32_e64 v6, 1, 2, vcc_lo
	v_add_co_u32 v1, vcc_lo, s28, v1
	v_add_co_ci_u32_e32 v2, vcc_lo, s29, v2, vcc_lo
	v_cmp_eq_u32_e32 vcc_lo, 0, v54
	s_delay_alu instid0(VALU_DEP_4) | instskip(SKIP_3) | instid1(VALU_DEP_3)
	v_and_b32_e32 v6, v4, v6
	v_cndmask_b32_e64 v56, 1, 2, vcc_lo
	v_add_co_u32 v4, vcc_lo, v1, v13
	v_add_co_ci_u32_e32 v8, vcc_lo, v2, v14, vcc_lo
	v_and_b32_e32 v2, v6, v56
	v_lshlrev_b32_e32 v1, 2, v15
	v_cmp_eq_u32_e32 vcc_lo, 0, v53
	v_cmp_ne_u32_e64 s3, 0, v52
	v_cmp_ne_u32_e64 s2, 0, v51
	v_cndmask_b32_e64 v6, 1, 2, vcc_lo
	v_add_co_u32 v1, vcc_lo, v1, v4
	v_add_co_ci_u32_e32 v13, vcc_lo, 0, v8, vcc_lo
	v_cmp_eq_u32_e32 vcc_lo, 0, v52
	s_delay_alu instid0(VALU_DEP_4) | instskip(SKIP_4) | instid1(VALU_DEP_4)
	v_and_b32_e32 v2, v2, v6
	v_cndmask_b32_e64 v14, 1, 2, vcc_lo
	v_add_co_u32 v6, vcc_lo, v1, -4
	v_add_co_ci_u32_e32 v13, vcc_lo, -1, v13, vcc_lo
	v_cmp_eq_u32_e32 vcc_lo, 0, v51
	v_and_b32_e32 v2, v2, v14
	v_add_nc_u32_e32 v1, v7, v15
	v_cndmask_b32_e64 v14, 1, 2, vcc_lo
	v_cmp_eq_u32_e32 vcc_lo, 0, v50
	s_delay_alu instid0(VALU_DEP_2) | instskip(SKIP_2) | instid1(VALU_DEP_2)
	v_and_b32_e32 v2, v2, v14
	v_cndmask_b32_e64 v14, 1, 2, vcc_lo
	v_cmp_eq_u32_e32 vcc_lo, 0, v46
	v_and_b32_e32 v2, v2, v14
	v_cndmask_b32_e64 v14, 1, 2, vcc_lo
	v_cmp_gt_u32_e32 vcc_lo, 0x100, v3
	s_delay_alu instid0(VALU_DEP_2) | instskip(NEXT) | instid1(VALU_DEP_1)
	v_and_b32_e32 v2, v2, v14
	v_cmp_gt_i16_e64 s15, 2, v2
	s_cbranch_vccz .LBB767_237
; %bb.221:
	s_delay_alu instid0(VALU_DEP_1)
	s_and_saveexec_b32 s16, s15
	s_cbranch_execz .LBB767_275
; %bb.222:
	s_mov_b32 s18, 0
	s_mov_b32 s15, exec_lo
	v_cmpx_ne_u16_e32 1, v2
	s_xor_b32 s15, exec_lo, s15
	s_cbranch_execz .LBB767_254
; %bb.223:
	s_and_saveexec_b32 s18, s14
	s_cbranch_execz .LBB767_258
; %bb.224:
	v_sub_nc_u32_e32 v14, v36, v1
	v_mov_b32_e32 v15, 0
	s_delay_alu instid0(VALU_DEP_1) | instskip(NEXT) | instid1(VALU_DEP_1)
	v_lshlrev_b64 v[14:15], 2, v[14:15]
	v_add_co_u32 v14, vcc_lo, v6, v14
	s_delay_alu instid0(VALU_DEP_2)
	v_add_co_ci_u32_e32 v15, vcc_lo, v13, v15, vcc_lo
	global_store_b32 v[14:15], v37, off
	s_or_b32 exec_lo, exec_lo, s18
	s_and_saveexec_b32 s18, s13
	s_cbranch_execnz .LBB767_259
.LBB767_225:
	s_or_b32 exec_lo, exec_lo, s18
	s_and_saveexec_b32 s18, s12
	s_cbranch_execz .LBB767_260
.LBB767_226:
	v_sub_nc_u32_e32 v14, v38, v1
	v_mov_b32_e32 v15, 0
	s_delay_alu instid0(VALU_DEP_1) | instskip(NEXT) | instid1(VALU_DEP_1)
	v_lshlrev_b64 v[14:15], 2, v[14:15]
	v_add_co_u32 v14, vcc_lo, v6, v14
	s_delay_alu instid0(VALU_DEP_2)
	v_add_co_ci_u32_e32 v15, vcc_lo, v13, v15, vcc_lo
	global_store_b32 v[14:15], v39, off
	s_or_b32 exec_lo, exec_lo, s18
	s_and_saveexec_b32 s18, s11
	s_cbranch_execnz .LBB767_261
.LBB767_227:
	s_or_b32 exec_lo, exec_lo, s18
	s_and_saveexec_b32 s18, s10
	s_cbranch_execz .LBB767_262
.LBB767_228:
	v_sub_nc_u32_e32 v14, v26, v1
	v_mov_b32_e32 v15, 0
	s_delay_alu instid0(VALU_DEP_1) | instskip(NEXT) | instid1(VALU_DEP_1)
	v_lshlrev_b64 v[14:15], 2, v[14:15]
	v_add_co_u32 v14, vcc_lo, v6, v14
	s_delay_alu instid0(VALU_DEP_2)
	v_add_co_ci_u32_e32 v15, vcc_lo, v13, v15, vcc_lo
	global_store_b32 v[14:15], v27, off
	s_or_b32 exec_lo, exec_lo, s18
	s_and_saveexec_b32 s18, s9
	s_cbranch_execnz .LBB767_263
.LBB767_229:
	s_or_b32 exec_lo, exec_lo, s18
	s_and_saveexec_b32 s18, s8
	s_cbranch_execz .LBB767_264
.LBB767_230:
	v_sub_nc_u32_e32 v14, v20, v1
	v_mov_b32_e32 v15, 0
	s_delay_alu instid0(VALU_DEP_1) | instskip(NEXT) | instid1(VALU_DEP_1)
	v_lshlrev_b64 v[14:15], 2, v[14:15]
	v_add_co_u32 v14, vcc_lo, v6, v14
	s_delay_alu instid0(VALU_DEP_2)
	v_add_co_ci_u32_e32 v15, vcc_lo, v13, v15, vcc_lo
	global_store_b32 v[14:15], v21, off
	s_or_b32 exec_lo, exec_lo, s18
	s_and_saveexec_b32 s18, s7
	s_cbranch_execnz .LBB767_265
.LBB767_231:
	s_or_b32 exec_lo, exec_lo, s18
	s_and_saveexec_b32 s18, s6
	s_cbranch_execz .LBB767_266
.LBB767_232:
	v_sub_nc_u32_e32 v14, v28, v1
	v_mov_b32_e32 v15, 0
	s_delay_alu instid0(VALU_DEP_1) | instskip(NEXT) | instid1(VALU_DEP_1)
	v_lshlrev_b64 v[14:15], 2, v[14:15]
	v_add_co_u32 v14, vcc_lo, v6, v14
	s_delay_alu instid0(VALU_DEP_2)
	v_add_co_ci_u32_e32 v15, vcc_lo, v13, v15, vcc_lo
	global_store_b32 v[14:15], v29, off
	s_or_b32 exec_lo, exec_lo, s18
	s_and_saveexec_b32 s18, s5
	s_cbranch_execnz .LBB767_267
.LBB767_233:
	s_or_b32 exec_lo, exec_lo, s18
	s_and_saveexec_b32 s18, s4
	s_cbranch_execz .LBB767_268
.LBB767_234:
	v_sub_nc_u32_e32 v14, v11, v1
	v_mov_b32_e32 v15, 0
	s_delay_alu instid0(VALU_DEP_1) | instskip(NEXT) | instid1(VALU_DEP_1)
	v_lshlrev_b64 v[14:15], 2, v[14:15]
	v_add_co_u32 v14, vcc_lo, v6, v14
	s_delay_alu instid0(VALU_DEP_2)
	v_add_co_ci_u32_e32 v15, vcc_lo, v13, v15, vcc_lo
	global_store_b32 v[14:15], v12, off
	s_or_b32 exec_lo, exec_lo, s18
	s_and_saveexec_b32 s18, s3
	s_cbranch_execnz .LBB767_269
.LBB767_235:
	s_or_b32 exec_lo, exec_lo, s18
	s_and_saveexec_b32 s18, s2
	s_cbranch_execz .LBB767_270
.LBB767_236:
	v_sub_nc_u32_e32 v14, v44, v1
	v_mov_b32_e32 v15, 0
	s_delay_alu instid0(VALU_DEP_1) | instskip(NEXT) | instid1(VALU_DEP_1)
	v_lshlrev_b64 v[14:15], 2, v[14:15]
	v_add_co_u32 v14, vcc_lo, v6, v14
	s_delay_alu instid0(VALU_DEP_2)
	v_add_co_ci_u32_e32 v15, vcc_lo, v13, v15, vcc_lo
	global_store_b32 v[14:15], v45, off
	s_or_b32 exec_lo, exec_lo, s18
	s_and_saveexec_b32 s18, s1
	s_cbranch_execnz .LBB767_271
	s_branch .LBB767_272
.LBB767_237:
	s_and_b32 vcc_lo, exec_lo, s16
	s_cbranch_vccz .LBB767_276
; %bb.238:
	s_mov_b32 s15, exec_lo
	v_cmpx_gt_i16_e32 2, v2
	s_cbranch_execz .LBB767_294
; %bb.239:
	s_mov_b32 s18, 0
	s_mov_b32 s16, exec_lo
	v_cmpx_ne_u16_e32 1, v2
	s_xor_b32 s16, exec_lo, s16
	s_cbranch_execz .LBB767_256
; %bb.240:
	s_and_saveexec_b32 s18, s14
	s_cbranch_execz .LBB767_277
; %bb.241:
	v_sub_nc_u32_e32 v2, v36, v1
	s_delay_alu instid0(VALU_DEP_1)
	v_lshlrev_b32_e32 v2, 2, v2
	ds_store_b32 v2, v37
	s_or_b32 exec_lo, exec_lo, s18
	s_and_saveexec_b32 s14, s13
	s_cbranch_execnz .LBB767_278
.LBB767_242:
	s_or_b32 exec_lo, exec_lo, s14
	s_and_saveexec_b32 s13, s12
	s_cbranch_execz .LBB767_279
.LBB767_243:
	v_sub_nc_u32_e32 v2, v38, v1
	s_delay_alu instid0(VALU_DEP_1)
	v_lshlrev_b32_e32 v2, 2, v2
	ds_store_b32 v2, v39
	s_or_b32 exec_lo, exec_lo, s13
	s_and_saveexec_b32 s12, s11
	s_cbranch_execnz .LBB767_280
.LBB767_244:
	s_or_b32 exec_lo, exec_lo, s12
	s_and_saveexec_b32 s11, s10
	s_cbranch_execz .LBB767_281
.LBB767_245:
	v_sub_nc_u32_e32 v2, v26, v1
	s_delay_alu instid0(VALU_DEP_1)
	v_lshlrev_b32_e32 v2, 2, v2
	ds_store_b32 v2, v27
	s_or_b32 exec_lo, exec_lo, s11
	s_and_saveexec_b32 s10, s9
	s_cbranch_execnz .LBB767_282
.LBB767_246:
	s_or_b32 exec_lo, exec_lo, s10
	s_and_saveexec_b32 s9, s8
	s_cbranch_execz .LBB767_283
.LBB767_247:
	v_sub_nc_u32_e32 v2, v20, v1
	s_delay_alu instid0(VALU_DEP_1)
	v_lshlrev_b32_e32 v2, 2, v2
	ds_store_b32 v2, v21
	s_or_b32 exec_lo, exec_lo, s9
	s_and_saveexec_b32 s8, s7
	s_cbranch_execnz .LBB767_284
.LBB767_248:
	s_or_b32 exec_lo, exec_lo, s8
	s_and_saveexec_b32 s7, s6
	s_cbranch_execz .LBB767_285
.LBB767_249:
	v_sub_nc_u32_e32 v2, v28, v1
	s_delay_alu instid0(VALU_DEP_1)
	v_lshlrev_b32_e32 v2, 2, v2
	ds_store_b32 v2, v29
	s_or_b32 exec_lo, exec_lo, s7
	s_and_saveexec_b32 s6, s5
	s_cbranch_execnz .LBB767_286
.LBB767_250:
	s_or_b32 exec_lo, exec_lo, s6
	s_and_saveexec_b32 s5, s4
	s_cbranch_execz .LBB767_287
.LBB767_251:
	v_sub_nc_u32_e32 v2, v11, v1
	s_delay_alu instid0(VALU_DEP_1)
	v_lshlrev_b32_e32 v2, 2, v2
	ds_store_b32 v2, v12
	s_or_b32 exec_lo, exec_lo, s5
	s_and_saveexec_b32 s4, s3
	s_cbranch_execnz .LBB767_288
.LBB767_252:
	s_or_b32 exec_lo, exec_lo, s4
	s_and_saveexec_b32 s3, s2
	s_cbranch_execz .LBB767_289
.LBB767_253:
	v_sub_nc_u32_e32 v2, v44, v1
	s_delay_alu instid0(VALU_DEP_1)
	v_lshlrev_b32_e32 v2, 2, v2
	ds_store_b32 v2, v45
	s_or_b32 exec_lo, exec_lo, s3
	s_and_saveexec_b32 s2, s1
	s_cbranch_execnz .LBB767_290
	s_branch .LBB767_291
.LBB767_254:
	s_and_not1_saveexec_b32 s15, s15
	s_cbranch_execz .LBB767_273
.LBB767_255:
	v_sub_nc_u32_e32 v14, v36, v1
	v_mov_b32_e32 v15, 0
	s_or_b32 s18, s18, exec_lo
	s_delay_alu instid0(VALU_DEP_1) | instskip(SKIP_1) | instid1(VALU_DEP_1)
	v_lshlrev_b64 v[32:33], 2, v[14:15]
	v_sub_nc_u32_e32 v14, v42, v1
	v_lshlrev_b64 v[46:47], 2, v[14:15]
	v_sub_nc_u32_e32 v14, v38, v1
	s_delay_alu instid0(VALU_DEP_4) | instskip(SKIP_1) | instid1(VALU_DEP_3)
	v_add_co_u32 v32, vcc_lo, v6, v32
	v_add_co_ci_u32_e32 v33, vcc_lo, v13, v33, vcc_lo
	v_lshlrev_b64 v[48:49], 2, v[14:15]
	v_sub_nc_u32_e32 v14, v34, v1
	v_add_co_u32 v46, vcc_lo, v6, v46
	v_add_co_ci_u32_e32 v47, vcc_lo, v13, v47, vcc_lo
	global_store_b32 v[32:33], v37, off
	v_lshlrev_b64 v[32:33], 2, v[14:15]
	v_sub_nc_u32_e32 v14, v26, v1
	global_store_b32 v[46:47], v43, off
	v_add_co_u32 v46, vcc_lo, v6, v48
	v_add_co_ci_u32_e32 v47, vcc_lo, v13, v49, vcc_lo
	v_lshlrev_b64 v[48:49], 2, v[14:15]
	v_sub_nc_u32_e32 v14, v22, v1
	v_add_co_u32 v32, vcc_lo, v6, v32
	v_add_co_ci_u32_e32 v33, vcc_lo, v13, v33, vcc_lo
	s_delay_alu instid0(VALU_DEP_3) | instskip(SKIP_3) | instid1(VALU_DEP_3)
	v_lshlrev_b64 v[50:51], 2, v[14:15]
	v_sub_nc_u32_e32 v14, v20, v1
	v_add_co_u32 v48, vcc_lo, v6, v48
	v_add_co_ci_u32_e32 v49, vcc_lo, v13, v49, vcc_lo
	v_lshlrev_b64 v[52:53], 2, v[14:15]
	v_sub_nc_u32_e32 v14, v24, v1
	v_add_co_u32 v50, vcc_lo, v6, v50
	v_add_co_ci_u32_e32 v51, vcc_lo, v13, v51, vcc_lo
	s_clause 0x3
	global_store_b32 v[46:47], v39, off
	global_store_b32 v[32:33], v35, off
	;; [unrolled: 1-line block ×4, first 2 shown]
	v_lshlrev_b64 v[32:33], 2, v[14:15]
	v_sub_nc_u32_e32 v14, v28, v1
	v_add_co_u32 v46, vcc_lo, v6, v52
	v_add_co_ci_u32_e32 v47, vcc_lo, v13, v53, vcc_lo
	s_delay_alu instid0(VALU_DEP_3) | instskip(SKIP_3) | instid1(VALU_DEP_3)
	v_lshlrev_b64 v[48:49], 2, v[14:15]
	v_sub_nc_u32_e32 v14, v9, v1
	v_add_co_u32 v32, vcc_lo, v6, v32
	v_add_co_ci_u32_e32 v33, vcc_lo, v13, v33, vcc_lo
	v_lshlrev_b64 v[50:51], 2, v[14:15]
	v_sub_nc_u32_e32 v14, v11, v1
	v_add_co_u32 v48, vcc_lo, v6, v48
	v_add_co_ci_u32_e32 v49, vcc_lo, v13, v49, vcc_lo
	s_delay_alu instid0(VALU_DEP_3)
	v_lshlrev_b64 v[52:53], 2, v[14:15]
	v_sub_nc_u32_e32 v14, v16, v1
	v_add_co_u32 v50, vcc_lo, v6, v50
	v_add_co_ci_u32_e32 v51, vcc_lo, v13, v51, vcc_lo
	s_clause 0x3
	global_store_b32 v[46:47], v21, off
	global_store_b32 v[32:33], v25, off
	;; [unrolled: 1-line block ×4, first 2 shown]
	v_lshlrev_b64 v[32:33], 2, v[14:15]
	v_sub_nc_u32_e32 v14, v44, v1
	v_add_co_u32 v46, vcc_lo, v6, v52
	v_add_co_ci_u32_e32 v47, vcc_lo, v13, v53, vcc_lo
	s_delay_alu instid0(VALU_DEP_3) | instskip(SKIP_3) | instid1(VALU_DEP_3)
	v_lshlrev_b64 v[48:49], 2, v[14:15]
	v_sub_nc_u32_e32 v14, v40, v1
	v_add_co_u32 v32, vcc_lo, v6, v32
	v_add_co_ci_u32_e32 v33, vcc_lo, v13, v33, vcc_lo
	v_lshlrev_b64 v[14:15], 2, v[14:15]
	v_add_co_u32 v48, vcc_lo, v6, v48
	v_add_co_ci_u32_e32 v49, vcc_lo, v13, v49, vcc_lo
	s_clause 0x2
	global_store_b32 v[46:47], v12, off
	global_store_b32 v[32:33], v17, off
	;; [unrolled: 1-line block ×3, first 2 shown]
	v_add_co_u32 v14, vcc_lo, v6, v14
	v_add_co_ci_u32_e32 v15, vcc_lo, v13, v15, vcc_lo
	global_store_b32 v[14:15], v41, off
	s_or_b32 exec_lo, exec_lo, s15
	s_delay_alu instid0(SALU_CYCLE_1)
	s_and_b32 exec_lo, exec_lo, s18
	s_cbranch_execnz .LBB767_274
	s_branch .LBB767_275
.LBB767_256:
	s_and_not1_saveexec_b32 s0, s16
	s_cbranch_execz .LBB767_292
.LBB767_257:
	v_sub_nc_u32_e32 v2, v36, v1
	v_sub_nc_u32_e32 v14, v42, v1
	;; [unrolled: 1-line block ×5, first 2 shown]
	v_lshlrev_b32_e32 v2, 2, v2
	v_lshlrev_b32_e32 v14, 2, v14
	;; [unrolled: 1-line block ×5, first 2 shown]
	ds_store_b32 v2, v37
	ds_store_b32 v14, v43
	;; [unrolled: 1-line block ×3, first 2 shown]
	v_sub_nc_u32_e32 v2, v26, v1
	v_sub_nc_u32_e32 v14, v22, v1
	;; [unrolled: 1-line block ×5, first 2 shown]
	v_lshlrev_b32_e32 v2, 2, v2
	ds_store_b32 v32, v35
	v_lshlrev_b32_e32 v14, 2, v14
	v_lshlrev_b32_e32 v15, 2, v15
	;; [unrolled: 1-line block ×3, first 2 shown]
	ds_store_b32 v2, v27
	v_lshlrev_b32_e32 v2, 2, v22
	ds_store_b32 v14, v23
	ds_store_b32 v15, v21
	;; [unrolled: 1-line block ×3, first 2 shown]
	v_sub_nc_u32_e32 v15, v40, v1
	v_sub_nc_u32_e32 v14, v44, v1
	s_or_b32 s18, s18, exec_lo
	ds_store_b32 v2, v29
	v_sub_nc_u32_e32 v2, v11, v1
	v_sub_nc_u32_e32 v11, v16, v1
	ds_store_b32 v9, v10
	v_lshlrev_b32_e32 v9, 2, v15
	v_lshlrev_b32_e32 v14, 2, v14
	;; [unrolled: 1-line block ×4, first 2 shown]
	ds_store_b32 v2, v12
	ds_store_b32 v11, v17
	;; [unrolled: 1-line block ×4, first 2 shown]
	s_or_b32 exec_lo, exec_lo, s0
	s_delay_alu instid0(SALU_CYCLE_1)
	s_and_b32 exec_lo, exec_lo, s18
	s_cbranch_execnz .LBB767_293
	s_branch .LBB767_294
.LBB767_258:
	s_or_b32 exec_lo, exec_lo, s18
	s_and_saveexec_b32 s18, s13
	s_cbranch_execz .LBB767_225
.LBB767_259:
	v_sub_nc_u32_e32 v14, v42, v1
	v_mov_b32_e32 v15, 0
	s_delay_alu instid0(VALU_DEP_1) | instskip(NEXT) | instid1(VALU_DEP_1)
	v_lshlrev_b64 v[14:15], 2, v[14:15]
	v_add_co_u32 v14, vcc_lo, v6, v14
	s_delay_alu instid0(VALU_DEP_2)
	v_add_co_ci_u32_e32 v15, vcc_lo, v13, v15, vcc_lo
	global_store_b32 v[14:15], v43, off
	s_or_b32 exec_lo, exec_lo, s18
	s_and_saveexec_b32 s18, s12
	s_cbranch_execnz .LBB767_226
.LBB767_260:
	s_or_b32 exec_lo, exec_lo, s18
	s_and_saveexec_b32 s18, s11
	s_cbranch_execz .LBB767_227
.LBB767_261:
	v_sub_nc_u32_e32 v14, v34, v1
	v_mov_b32_e32 v15, 0
	s_delay_alu instid0(VALU_DEP_1) | instskip(NEXT) | instid1(VALU_DEP_1)
	v_lshlrev_b64 v[14:15], 2, v[14:15]
	v_add_co_u32 v14, vcc_lo, v6, v14
	s_delay_alu instid0(VALU_DEP_2)
	v_add_co_ci_u32_e32 v15, vcc_lo, v13, v15, vcc_lo
	global_store_b32 v[14:15], v35, off
	s_or_b32 exec_lo, exec_lo, s18
	s_and_saveexec_b32 s18, s10
	s_cbranch_execnz .LBB767_228
.LBB767_262:
	s_or_b32 exec_lo, exec_lo, s18
	s_and_saveexec_b32 s18, s9
	s_cbranch_execz .LBB767_229
.LBB767_263:
	v_sub_nc_u32_e32 v14, v22, v1
	v_mov_b32_e32 v15, 0
	s_delay_alu instid0(VALU_DEP_1) | instskip(NEXT) | instid1(VALU_DEP_1)
	v_lshlrev_b64 v[14:15], 2, v[14:15]
	v_add_co_u32 v14, vcc_lo, v6, v14
	s_delay_alu instid0(VALU_DEP_2)
	v_add_co_ci_u32_e32 v15, vcc_lo, v13, v15, vcc_lo
	global_store_b32 v[14:15], v23, off
	s_or_b32 exec_lo, exec_lo, s18
	s_and_saveexec_b32 s18, s8
	s_cbranch_execnz .LBB767_230
.LBB767_264:
	s_or_b32 exec_lo, exec_lo, s18
	s_and_saveexec_b32 s18, s7
	s_cbranch_execz .LBB767_231
.LBB767_265:
	v_sub_nc_u32_e32 v14, v24, v1
	v_mov_b32_e32 v15, 0
	s_delay_alu instid0(VALU_DEP_1) | instskip(NEXT) | instid1(VALU_DEP_1)
	v_lshlrev_b64 v[14:15], 2, v[14:15]
	v_add_co_u32 v14, vcc_lo, v6, v14
	s_delay_alu instid0(VALU_DEP_2)
	v_add_co_ci_u32_e32 v15, vcc_lo, v13, v15, vcc_lo
	global_store_b32 v[14:15], v25, off
	s_or_b32 exec_lo, exec_lo, s18
	s_and_saveexec_b32 s18, s6
	s_cbranch_execnz .LBB767_232
.LBB767_266:
	s_or_b32 exec_lo, exec_lo, s18
	s_and_saveexec_b32 s18, s5
	s_cbranch_execz .LBB767_233
.LBB767_267:
	v_sub_nc_u32_e32 v14, v9, v1
	v_mov_b32_e32 v15, 0
	s_delay_alu instid0(VALU_DEP_1) | instskip(NEXT) | instid1(VALU_DEP_1)
	v_lshlrev_b64 v[14:15], 2, v[14:15]
	v_add_co_u32 v14, vcc_lo, v6, v14
	s_delay_alu instid0(VALU_DEP_2)
	v_add_co_ci_u32_e32 v15, vcc_lo, v13, v15, vcc_lo
	global_store_b32 v[14:15], v10, off
	s_or_b32 exec_lo, exec_lo, s18
	s_and_saveexec_b32 s18, s4
	s_cbranch_execnz .LBB767_234
.LBB767_268:
	s_or_b32 exec_lo, exec_lo, s18
	s_and_saveexec_b32 s18, s3
	s_cbranch_execz .LBB767_235
.LBB767_269:
	v_sub_nc_u32_e32 v14, v16, v1
	v_mov_b32_e32 v15, 0
	s_delay_alu instid0(VALU_DEP_1) | instskip(NEXT) | instid1(VALU_DEP_1)
	v_lshlrev_b64 v[14:15], 2, v[14:15]
	v_add_co_u32 v14, vcc_lo, v6, v14
	s_delay_alu instid0(VALU_DEP_2)
	v_add_co_ci_u32_e32 v15, vcc_lo, v13, v15, vcc_lo
	global_store_b32 v[14:15], v17, off
	s_or_b32 exec_lo, exec_lo, s18
	s_and_saveexec_b32 s18, s2
	s_cbranch_execnz .LBB767_236
.LBB767_270:
	s_or_b32 exec_lo, exec_lo, s18
	s_and_saveexec_b32 s18, s1
	s_cbranch_execz .LBB767_272
.LBB767_271:
	v_sub_nc_u32_e32 v14, v40, v1
	v_mov_b32_e32 v15, 0
	s_delay_alu instid0(VALU_DEP_1) | instskip(NEXT) | instid1(VALU_DEP_1)
	v_lshlrev_b64 v[14:15], 2, v[14:15]
	v_add_co_u32 v14, vcc_lo, v6, v14
	s_delay_alu instid0(VALU_DEP_2)
	v_add_co_ci_u32_e32 v15, vcc_lo, v13, v15, vcc_lo
	global_store_b32 v[14:15], v41, off
.LBB767_272:
	s_or_b32 exec_lo, exec_lo, s18
	s_delay_alu instid0(SALU_CYCLE_1)
	s_and_b32 s18, s0, exec_lo
	s_and_not1_saveexec_b32 s15, s15
	s_cbranch_execnz .LBB767_255
.LBB767_273:
	s_or_b32 exec_lo, exec_lo, s15
	s_delay_alu instid0(SALU_CYCLE_1)
	s_and_b32 exec_lo, exec_lo, s18
	s_cbranch_execz .LBB767_275
.LBB767_274:
	v_sub_nc_u32_e32 v14, v30, v1
	v_mov_b32_e32 v15, 0
	s_delay_alu instid0(VALU_DEP_1) | instskip(NEXT) | instid1(VALU_DEP_1)
	v_lshlrev_b64 v[14:15], 2, v[14:15]
	v_add_co_u32 v14, vcc_lo, v6, v14
	s_delay_alu instid0(VALU_DEP_2)
	v_add_co_ci_u32_e32 v15, vcc_lo, v13, v15, vcc_lo
	global_store_b32 v[14:15], v31, off
.LBB767_275:
	s_or_b32 exec_lo, exec_lo, s16
.LBB767_276:
	v_cmp_eq_u32_e32 vcc_lo, 0xff, v0
	s_and_b32 s0, vcc_lo, s17
	s_delay_alu instid0(SALU_CYCLE_1)
	s_and_saveexec_b32 s1, s0
	s_cbranch_execnz .LBB767_298
	s_branch .LBB767_300
.LBB767_277:
	s_or_b32 exec_lo, exec_lo, s18
	s_and_saveexec_b32 s14, s13
	s_cbranch_execz .LBB767_242
.LBB767_278:
	v_sub_nc_u32_e32 v2, v42, v1
	s_delay_alu instid0(VALU_DEP_1)
	v_lshlrev_b32_e32 v2, 2, v2
	ds_store_b32 v2, v43
	s_or_b32 exec_lo, exec_lo, s14
	s_and_saveexec_b32 s13, s12
	s_cbranch_execnz .LBB767_243
.LBB767_279:
	s_or_b32 exec_lo, exec_lo, s13
	s_and_saveexec_b32 s12, s11
	s_cbranch_execz .LBB767_244
.LBB767_280:
	v_sub_nc_u32_e32 v2, v34, v1
	s_delay_alu instid0(VALU_DEP_1)
	v_lshlrev_b32_e32 v2, 2, v2
	ds_store_b32 v2, v35
	s_or_b32 exec_lo, exec_lo, s12
	s_and_saveexec_b32 s11, s10
	s_cbranch_execnz .LBB767_245
.LBB767_281:
	s_or_b32 exec_lo, exec_lo, s11
	s_and_saveexec_b32 s10, s9
	s_cbranch_execz .LBB767_246
.LBB767_282:
	v_sub_nc_u32_e32 v2, v22, v1
	s_delay_alu instid0(VALU_DEP_1)
	v_lshlrev_b32_e32 v2, 2, v2
	ds_store_b32 v2, v23
	s_or_b32 exec_lo, exec_lo, s10
	s_and_saveexec_b32 s9, s8
	s_cbranch_execnz .LBB767_247
.LBB767_283:
	s_or_b32 exec_lo, exec_lo, s9
	s_and_saveexec_b32 s8, s7
	s_cbranch_execz .LBB767_248
.LBB767_284:
	v_sub_nc_u32_e32 v2, v24, v1
	s_delay_alu instid0(VALU_DEP_1)
	v_lshlrev_b32_e32 v2, 2, v2
	ds_store_b32 v2, v25
	s_or_b32 exec_lo, exec_lo, s8
	s_and_saveexec_b32 s7, s6
	s_cbranch_execnz .LBB767_249
.LBB767_285:
	s_or_b32 exec_lo, exec_lo, s7
	s_and_saveexec_b32 s6, s5
	s_cbranch_execz .LBB767_250
.LBB767_286:
	v_sub_nc_u32_e32 v2, v9, v1
	s_delay_alu instid0(VALU_DEP_1)
	v_lshlrev_b32_e32 v2, 2, v2
	ds_store_b32 v2, v10
	s_or_b32 exec_lo, exec_lo, s6
	s_and_saveexec_b32 s5, s4
	s_cbranch_execnz .LBB767_251
.LBB767_287:
	s_or_b32 exec_lo, exec_lo, s5
	s_and_saveexec_b32 s4, s3
	s_cbranch_execz .LBB767_252
.LBB767_288:
	v_sub_nc_u32_e32 v2, v16, v1
	s_delay_alu instid0(VALU_DEP_1)
	v_lshlrev_b32_e32 v2, 2, v2
	ds_store_b32 v2, v17
	s_or_b32 exec_lo, exec_lo, s4
	s_and_saveexec_b32 s3, s2
	s_cbranch_execnz .LBB767_253
.LBB767_289:
	s_or_b32 exec_lo, exec_lo, s3
	s_and_saveexec_b32 s2, s1
	s_cbranch_execz .LBB767_291
.LBB767_290:
	v_sub_nc_u32_e32 v2, v40, v1
	s_delay_alu instid0(VALU_DEP_1)
	v_lshlrev_b32_e32 v2, 2, v2
	ds_store_b32 v2, v41
.LBB767_291:
	s_or_b32 exec_lo, exec_lo, s2
	s_delay_alu instid0(SALU_CYCLE_1)
	s_and_b32 s18, s0, exec_lo
                                        ; implicit-def: $vgpr36_vgpr37
                                        ; implicit-def: $vgpr42_vgpr43
                                        ; implicit-def: $vgpr38_vgpr39
                                        ; implicit-def: $vgpr34_vgpr35
                                        ; implicit-def: $vgpr26_vgpr27
                                        ; implicit-def: $vgpr22_vgpr23
                                        ; implicit-def: $vgpr20_vgpr21
                                        ; implicit-def: $vgpr24_vgpr25
                                        ; implicit-def: $vgpr28_vgpr29
                                        ; implicit-def: $vgpr9_vgpr10
                                        ; implicit-def: $vgpr11_vgpr12
                                        ; implicit-def: $vgpr16_vgpr17
                                        ; implicit-def: $vgpr44_vgpr45
                                        ; implicit-def: $vgpr40_vgpr41
	s_and_not1_saveexec_b32 s0, s16
	s_cbranch_execnz .LBB767_257
.LBB767_292:
	s_or_b32 exec_lo, exec_lo, s0
	s_delay_alu instid0(SALU_CYCLE_1)
	s_and_b32 exec_lo, exec_lo, s18
	s_cbranch_execz .LBB767_294
.LBB767_293:
	v_sub_nc_u32_e32 v1, v30, v1
	s_delay_alu instid0(VALU_DEP_1)
	v_lshlrev_b32_e32 v1, 2, v1
	ds_store_b32 v1, v31
.LBB767_294:
	s_or_b32 exec_lo, exec_lo, s15
	s_delay_alu instid0(SALU_CYCLE_1)
	s_mov_b32 s1, exec_lo
	s_waitcnt lgkmcnt(0)
	s_waitcnt_vscnt null, 0x0
	s_barrier
	buffer_gl0_inv
	v_cmpx_lt_u32_e64 v0, v3
	s_cbranch_execz .LBB767_297
; %bb.295:
	v_dual_mov_b32 v2, 0 :: v_dual_lshlrev_b32 v9, 2, v0
	v_mov_b32_e32 v1, v0
	s_mov_b32 s2, 0
	.p2align	6
.LBB767_296:                            ; =>This Inner Loop Header: Depth=1
	ds_load_b32 v12, v9
	v_lshlrev_b64 v[10:11], 2, v[1:2]
	v_add_nc_u32_e32 v1, 0x100, v1
	v_add_nc_u32_e32 v9, 0x400, v9
	s_delay_alu instid0(VALU_DEP_2) | instskip(NEXT) | instid1(VALU_DEP_4)
	v_cmp_ge_u32_e32 vcc_lo, v1, v3
	v_add_co_u32 v10, s0, v6, v10
	s_delay_alu instid0(VALU_DEP_1)
	v_add_co_ci_u32_e64 v11, s0, v13, v11, s0
	s_or_b32 s2, vcc_lo, s2
	s_waitcnt lgkmcnt(0)
	global_store_b32 v[10:11], v12, off
	s_and_not1_b32 exec_lo, exec_lo, s2
	s_cbranch_execnz .LBB767_296
.LBB767_297:
	s_or_b32 exec_lo, exec_lo, s1
	v_cmp_eq_u32_e32 vcc_lo, 0xff, v0
	s_and_b32 s0, vcc_lo, s17
	s_delay_alu instid0(SALU_CYCLE_1)
	s_and_saveexec_b32 s1, s0
	s_cbranch_execz .LBB767_300
.LBB767_298:
	v_add_co_u32 v0, s0, v5, v7
	s_delay_alu instid0(VALU_DEP_1) | instskip(SKIP_1) | instid1(VALU_DEP_3)
	v_add_co_ci_u32_e64 v1, null, 0, 0, s0
	v_mov_b32_e32 v6, 0
	v_add_co_u32 v0, vcc_lo, v0, v18
	s_delay_alu instid0(VALU_DEP_3)
	v_add_co_ci_u32_e32 v1, vcc_lo, v1, v19, vcc_lo
	s_cmpk_lg_i32 s26, 0xf00
	global_store_b64 v6, v[0:1], s[30:31]
	s_cbranch_scc1 .LBB767_300
; %bb.299:
	v_lshlrev_b64 v[0:1], 2, v[5:6]
	s_delay_alu instid0(VALU_DEP_1) | instskip(NEXT) | instid1(VALU_DEP_2)
	v_add_co_u32 v0, vcc_lo, v4, v0
	v_add_co_ci_u32_e32 v1, vcc_lo, v8, v1, vcc_lo
	global_store_b32 v[0:1], v66, off offset:-4
	s_nop 0
	s_sendmsg sendmsg(MSG_DEALLOC_VGPRS)
	s_endpgm
.LBB767_300:
	s_nop 0
	s_sendmsg sendmsg(MSG_DEALLOC_VGPRS)
	s_endpgm
	.section	.rodata,"a",@progbits
	.p2align	6, 0x0
	.amdhsa_kernel _ZN7rocprim17ROCPRIM_400000_NS6detail17trampoline_kernelINS0_14default_configENS1_29reduce_by_key_config_selectorItjN6thrust23THRUST_200600_302600_NS4plusIjEEEEZZNS1_33reduce_by_key_impl_wrapped_configILNS1_25lookback_scan_determinismE0ES3_S9_NS6_6detail15normal_iteratorINS6_10device_ptrItEEEENSD_INSE_IjEEEESG_SI_PmS8_NS6_8equal_toItEEEE10hipError_tPvRmT2_T3_mT4_T5_T6_T7_T8_P12ihipStream_tbENKUlT_T0_E_clISt17integral_constantIbLb0EES12_IbLb1EEEEDaSY_SZ_EUlSY_E_NS1_11comp_targetILNS1_3genE9ELNS1_11target_archE1100ELNS1_3gpuE3ELNS1_3repE0EEENS1_30default_config_static_selectorELNS0_4arch9wavefront6targetE0EEEvT1_
		.amdhsa_group_segment_fixed_size 15360
		.amdhsa_private_segment_fixed_size 0
		.amdhsa_kernarg_size 120
		.amdhsa_user_sgpr_count 15
		.amdhsa_user_sgpr_dispatch_ptr 0
		.amdhsa_user_sgpr_queue_ptr 0
		.amdhsa_user_sgpr_kernarg_segment_ptr 1
		.amdhsa_user_sgpr_dispatch_id 0
		.amdhsa_user_sgpr_private_segment_size 0
		.amdhsa_wavefront_size32 1
		.amdhsa_uses_dynamic_stack 0
		.amdhsa_enable_private_segment 0
		.amdhsa_system_sgpr_workgroup_id_x 1
		.amdhsa_system_sgpr_workgroup_id_y 0
		.amdhsa_system_sgpr_workgroup_id_z 0
		.amdhsa_system_sgpr_workgroup_info 0
		.amdhsa_system_vgpr_workitem_id 0
		.amdhsa_next_free_vgpr 100
		.amdhsa_next_free_sgpr 45
		.amdhsa_reserve_vcc 1
		.amdhsa_float_round_mode_32 0
		.amdhsa_float_round_mode_16_64 0
		.amdhsa_float_denorm_mode_32 3
		.amdhsa_float_denorm_mode_16_64 3
		.amdhsa_dx10_clamp 1
		.amdhsa_ieee_mode 1
		.amdhsa_fp16_overflow 0
		.amdhsa_workgroup_processor_mode 1
		.amdhsa_memory_ordered 1
		.amdhsa_forward_progress 0
		.amdhsa_shared_vgpr_count 0
		.amdhsa_exception_fp_ieee_invalid_op 0
		.amdhsa_exception_fp_denorm_src 0
		.amdhsa_exception_fp_ieee_div_zero 0
		.amdhsa_exception_fp_ieee_overflow 0
		.amdhsa_exception_fp_ieee_underflow 0
		.amdhsa_exception_fp_ieee_inexact 0
		.amdhsa_exception_int_div_zero 0
	.end_amdhsa_kernel
	.section	.text._ZN7rocprim17ROCPRIM_400000_NS6detail17trampoline_kernelINS0_14default_configENS1_29reduce_by_key_config_selectorItjN6thrust23THRUST_200600_302600_NS4plusIjEEEEZZNS1_33reduce_by_key_impl_wrapped_configILNS1_25lookback_scan_determinismE0ES3_S9_NS6_6detail15normal_iteratorINS6_10device_ptrItEEEENSD_INSE_IjEEEESG_SI_PmS8_NS6_8equal_toItEEEE10hipError_tPvRmT2_T3_mT4_T5_T6_T7_T8_P12ihipStream_tbENKUlT_T0_E_clISt17integral_constantIbLb0EES12_IbLb1EEEEDaSY_SZ_EUlSY_E_NS1_11comp_targetILNS1_3genE9ELNS1_11target_archE1100ELNS1_3gpuE3ELNS1_3repE0EEENS1_30default_config_static_selectorELNS0_4arch9wavefront6targetE0EEEvT1_,"axG",@progbits,_ZN7rocprim17ROCPRIM_400000_NS6detail17trampoline_kernelINS0_14default_configENS1_29reduce_by_key_config_selectorItjN6thrust23THRUST_200600_302600_NS4plusIjEEEEZZNS1_33reduce_by_key_impl_wrapped_configILNS1_25lookback_scan_determinismE0ES3_S9_NS6_6detail15normal_iteratorINS6_10device_ptrItEEEENSD_INSE_IjEEEESG_SI_PmS8_NS6_8equal_toItEEEE10hipError_tPvRmT2_T3_mT4_T5_T6_T7_T8_P12ihipStream_tbENKUlT_T0_E_clISt17integral_constantIbLb0EES12_IbLb1EEEEDaSY_SZ_EUlSY_E_NS1_11comp_targetILNS1_3genE9ELNS1_11target_archE1100ELNS1_3gpuE3ELNS1_3repE0EEENS1_30default_config_static_selectorELNS0_4arch9wavefront6targetE0EEEvT1_,comdat
.Lfunc_end767:
	.size	_ZN7rocprim17ROCPRIM_400000_NS6detail17trampoline_kernelINS0_14default_configENS1_29reduce_by_key_config_selectorItjN6thrust23THRUST_200600_302600_NS4plusIjEEEEZZNS1_33reduce_by_key_impl_wrapped_configILNS1_25lookback_scan_determinismE0ES3_S9_NS6_6detail15normal_iteratorINS6_10device_ptrItEEEENSD_INSE_IjEEEESG_SI_PmS8_NS6_8equal_toItEEEE10hipError_tPvRmT2_T3_mT4_T5_T6_T7_T8_P12ihipStream_tbENKUlT_T0_E_clISt17integral_constantIbLb0EES12_IbLb1EEEEDaSY_SZ_EUlSY_E_NS1_11comp_targetILNS1_3genE9ELNS1_11target_archE1100ELNS1_3gpuE3ELNS1_3repE0EEENS1_30default_config_static_selectorELNS0_4arch9wavefront6targetE0EEEvT1_, .Lfunc_end767-_ZN7rocprim17ROCPRIM_400000_NS6detail17trampoline_kernelINS0_14default_configENS1_29reduce_by_key_config_selectorItjN6thrust23THRUST_200600_302600_NS4plusIjEEEEZZNS1_33reduce_by_key_impl_wrapped_configILNS1_25lookback_scan_determinismE0ES3_S9_NS6_6detail15normal_iteratorINS6_10device_ptrItEEEENSD_INSE_IjEEEESG_SI_PmS8_NS6_8equal_toItEEEE10hipError_tPvRmT2_T3_mT4_T5_T6_T7_T8_P12ihipStream_tbENKUlT_T0_E_clISt17integral_constantIbLb0EES12_IbLb1EEEEDaSY_SZ_EUlSY_E_NS1_11comp_targetILNS1_3genE9ELNS1_11target_archE1100ELNS1_3gpuE3ELNS1_3repE0EEENS1_30default_config_static_selectorELNS0_4arch9wavefront6targetE0EEEvT1_
                                        ; -- End function
	.section	.AMDGPU.csdata,"",@progbits
; Kernel info:
; codeLenInByte = 18824
; NumSgprs: 47
; NumVgprs: 100
; ScratchSize: 0
; MemoryBound: 0
; FloatMode: 240
; IeeeMode: 1
; LDSByteSize: 15360 bytes/workgroup (compile time only)
; SGPRBlocks: 5
; VGPRBlocks: 12
; NumSGPRsForWavesPerEU: 47
; NumVGPRsForWavesPerEU: 100
; Occupancy: 12
; WaveLimiterHint : 1
; COMPUTE_PGM_RSRC2:SCRATCH_EN: 0
; COMPUTE_PGM_RSRC2:USER_SGPR: 15
; COMPUTE_PGM_RSRC2:TRAP_HANDLER: 0
; COMPUTE_PGM_RSRC2:TGID_X_EN: 1
; COMPUTE_PGM_RSRC2:TGID_Y_EN: 0
; COMPUTE_PGM_RSRC2:TGID_Z_EN: 0
; COMPUTE_PGM_RSRC2:TIDIG_COMP_CNT: 0
	.section	.text._ZN7rocprim17ROCPRIM_400000_NS6detail17trampoline_kernelINS0_14default_configENS1_29reduce_by_key_config_selectorItjN6thrust23THRUST_200600_302600_NS4plusIjEEEEZZNS1_33reduce_by_key_impl_wrapped_configILNS1_25lookback_scan_determinismE0ES3_S9_NS6_6detail15normal_iteratorINS6_10device_ptrItEEEENSD_INSE_IjEEEESG_SI_PmS8_NS6_8equal_toItEEEE10hipError_tPvRmT2_T3_mT4_T5_T6_T7_T8_P12ihipStream_tbENKUlT_T0_E_clISt17integral_constantIbLb0EES12_IbLb1EEEEDaSY_SZ_EUlSY_E_NS1_11comp_targetILNS1_3genE8ELNS1_11target_archE1030ELNS1_3gpuE2ELNS1_3repE0EEENS1_30default_config_static_selectorELNS0_4arch9wavefront6targetE0EEEvT1_,"axG",@progbits,_ZN7rocprim17ROCPRIM_400000_NS6detail17trampoline_kernelINS0_14default_configENS1_29reduce_by_key_config_selectorItjN6thrust23THRUST_200600_302600_NS4plusIjEEEEZZNS1_33reduce_by_key_impl_wrapped_configILNS1_25lookback_scan_determinismE0ES3_S9_NS6_6detail15normal_iteratorINS6_10device_ptrItEEEENSD_INSE_IjEEEESG_SI_PmS8_NS6_8equal_toItEEEE10hipError_tPvRmT2_T3_mT4_T5_T6_T7_T8_P12ihipStream_tbENKUlT_T0_E_clISt17integral_constantIbLb0EES12_IbLb1EEEEDaSY_SZ_EUlSY_E_NS1_11comp_targetILNS1_3genE8ELNS1_11target_archE1030ELNS1_3gpuE2ELNS1_3repE0EEENS1_30default_config_static_selectorELNS0_4arch9wavefront6targetE0EEEvT1_,comdat
	.protected	_ZN7rocprim17ROCPRIM_400000_NS6detail17trampoline_kernelINS0_14default_configENS1_29reduce_by_key_config_selectorItjN6thrust23THRUST_200600_302600_NS4plusIjEEEEZZNS1_33reduce_by_key_impl_wrapped_configILNS1_25lookback_scan_determinismE0ES3_S9_NS6_6detail15normal_iteratorINS6_10device_ptrItEEEENSD_INSE_IjEEEESG_SI_PmS8_NS6_8equal_toItEEEE10hipError_tPvRmT2_T3_mT4_T5_T6_T7_T8_P12ihipStream_tbENKUlT_T0_E_clISt17integral_constantIbLb0EES12_IbLb1EEEEDaSY_SZ_EUlSY_E_NS1_11comp_targetILNS1_3genE8ELNS1_11target_archE1030ELNS1_3gpuE2ELNS1_3repE0EEENS1_30default_config_static_selectorELNS0_4arch9wavefront6targetE0EEEvT1_ ; -- Begin function _ZN7rocprim17ROCPRIM_400000_NS6detail17trampoline_kernelINS0_14default_configENS1_29reduce_by_key_config_selectorItjN6thrust23THRUST_200600_302600_NS4plusIjEEEEZZNS1_33reduce_by_key_impl_wrapped_configILNS1_25lookback_scan_determinismE0ES3_S9_NS6_6detail15normal_iteratorINS6_10device_ptrItEEEENSD_INSE_IjEEEESG_SI_PmS8_NS6_8equal_toItEEEE10hipError_tPvRmT2_T3_mT4_T5_T6_T7_T8_P12ihipStream_tbENKUlT_T0_E_clISt17integral_constantIbLb0EES12_IbLb1EEEEDaSY_SZ_EUlSY_E_NS1_11comp_targetILNS1_3genE8ELNS1_11target_archE1030ELNS1_3gpuE2ELNS1_3repE0EEENS1_30default_config_static_selectorELNS0_4arch9wavefront6targetE0EEEvT1_
	.globl	_ZN7rocprim17ROCPRIM_400000_NS6detail17trampoline_kernelINS0_14default_configENS1_29reduce_by_key_config_selectorItjN6thrust23THRUST_200600_302600_NS4plusIjEEEEZZNS1_33reduce_by_key_impl_wrapped_configILNS1_25lookback_scan_determinismE0ES3_S9_NS6_6detail15normal_iteratorINS6_10device_ptrItEEEENSD_INSE_IjEEEESG_SI_PmS8_NS6_8equal_toItEEEE10hipError_tPvRmT2_T3_mT4_T5_T6_T7_T8_P12ihipStream_tbENKUlT_T0_E_clISt17integral_constantIbLb0EES12_IbLb1EEEEDaSY_SZ_EUlSY_E_NS1_11comp_targetILNS1_3genE8ELNS1_11target_archE1030ELNS1_3gpuE2ELNS1_3repE0EEENS1_30default_config_static_selectorELNS0_4arch9wavefront6targetE0EEEvT1_
	.p2align	8
	.type	_ZN7rocprim17ROCPRIM_400000_NS6detail17trampoline_kernelINS0_14default_configENS1_29reduce_by_key_config_selectorItjN6thrust23THRUST_200600_302600_NS4plusIjEEEEZZNS1_33reduce_by_key_impl_wrapped_configILNS1_25lookback_scan_determinismE0ES3_S9_NS6_6detail15normal_iteratorINS6_10device_ptrItEEEENSD_INSE_IjEEEESG_SI_PmS8_NS6_8equal_toItEEEE10hipError_tPvRmT2_T3_mT4_T5_T6_T7_T8_P12ihipStream_tbENKUlT_T0_E_clISt17integral_constantIbLb0EES12_IbLb1EEEEDaSY_SZ_EUlSY_E_NS1_11comp_targetILNS1_3genE8ELNS1_11target_archE1030ELNS1_3gpuE2ELNS1_3repE0EEENS1_30default_config_static_selectorELNS0_4arch9wavefront6targetE0EEEvT1_,@function
_ZN7rocprim17ROCPRIM_400000_NS6detail17trampoline_kernelINS0_14default_configENS1_29reduce_by_key_config_selectorItjN6thrust23THRUST_200600_302600_NS4plusIjEEEEZZNS1_33reduce_by_key_impl_wrapped_configILNS1_25lookback_scan_determinismE0ES3_S9_NS6_6detail15normal_iteratorINS6_10device_ptrItEEEENSD_INSE_IjEEEESG_SI_PmS8_NS6_8equal_toItEEEE10hipError_tPvRmT2_T3_mT4_T5_T6_T7_T8_P12ihipStream_tbENKUlT_T0_E_clISt17integral_constantIbLb0EES12_IbLb1EEEEDaSY_SZ_EUlSY_E_NS1_11comp_targetILNS1_3genE8ELNS1_11target_archE1030ELNS1_3gpuE2ELNS1_3repE0EEENS1_30default_config_static_selectorELNS0_4arch9wavefront6targetE0EEEvT1_: ; @_ZN7rocprim17ROCPRIM_400000_NS6detail17trampoline_kernelINS0_14default_configENS1_29reduce_by_key_config_selectorItjN6thrust23THRUST_200600_302600_NS4plusIjEEEEZZNS1_33reduce_by_key_impl_wrapped_configILNS1_25lookback_scan_determinismE0ES3_S9_NS6_6detail15normal_iteratorINS6_10device_ptrItEEEENSD_INSE_IjEEEESG_SI_PmS8_NS6_8equal_toItEEEE10hipError_tPvRmT2_T3_mT4_T5_T6_T7_T8_P12ihipStream_tbENKUlT_T0_E_clISt17integral_constantIbLb0EES12_IbLb1EEEEDaSY_SZ_EUlSY_E_NS1_11comp_targetILNS1_3genE8ELNS1_11target_archE1030ELNS1_3gpuE2ELNS1_3repE0EEENS1_30default_config_static_selectorELNS0_4arch9wavefront6targetE0EEEvT1_
; %bb.0:
	.section	.rodata,"a",@progbits
	.p2align	6, 0x0
	.amdhsa_kernel _ZN7rocprim17ROCPRIM_400000_NS6detail17trampoline_kernelINS0_14default_configENS1_29reduce_by_key_config_selectorItjN6thrust23THRUST_200600_302600_NS4plusIjEEEEZZNS1_33reduce_by_key_impl_wrapped_configILNS1_25lookback_scan_determinismE0ES3_S9_NS6_6detail15normal_iteratorINS6_10device_ptrItEEEENSD_INSE_IjEEEESG_SI_PmS8_NS6_8equal_toItEEEE10hipError_tPvRmT2_T3_mT4_T5_T6_T7_T8_P12ihipStream_tbENKUlT_T0_E_clISt17integral_constantIbLb0EES12_IbLb1EEEEDaSY_SZ_EUlSY_E_NS1_11comp_targetILNS1_3genE8ELNS1_11target_archE1030ELNS1_3gpuE2ELNS1_3repE0EEENS1_30default_config_static_selectorELNS0_4arch9wavefront6targetE0EEEvT1_
		.amdhsa_group_segment_fixed_size 0
		.amdhsa_private_segment_fixed_size 0
		.amdhsa_kernarg_size 120
		.amdhsa_user_sgpr_count 15
		.amdhsa_user_sgpr_dispatch_ptr 0
		.amdhsa_user_sgpr_queue_ptr 0
		.amdhsa_user_sgpr_kernarg_segment_ptr 1
		.amdhsa_user_sgpr_dispatch_id 0
		.amdhsa_user_sgpr_private_segment_size 0
		.amdhsa_wavefront_size32 1
		.amdhsa_uses_dynamic_stack 0
		.amdhsa_enable_private_segment 0
		.amdhsa_system_sgpr_workgroup_id_x 1
		.amdhsa_system_sgpr_workgroup_id_y 0
		.amdhsa_system_sgpr_workgroup_id_z 0
		.amdhsa_system_sgpr_workgroup_info 0
		.amdhsa_system_vgpr_workitem_id 0
		.amdhsa_next_free_vgpr 1
		.amdhsa_next_free_sgpr 1
		.amdhsa_reserve_vcc 0
		.amdhsa_float_round_mode_32 0
		.amdhsa_float_round_mode_16_64 0
		.amdhsa_float_denorm_mode_32 3
		.amdhsa_float_denorm_mode_16_64 3
		.amdhsa_dx10_clamp 1
		.amdhsa_ieee_mode 1
		.amdhsa_fp16_overflow 0
		.amdhsa_workgroup_processor_mode 1
		.amdhsa_memory_ordered 1
		.amdhsa_forward_progress 0
		.amdhsa_shared_vgpr_count 0
		.amdhsa_exception_fp_ieee_invalid_op 0
		.amdhsa_exception_fp_denorm_src 0
		.amdhsa_exception_fp_ieee_div_zero 0
		.amdhsa_exception_fp_ieee_overflow 0
		.amdhsa_exception_fp_ieee_underflow 0
		.amdhsa_exception_fp_ieee_inexact 0
		.amdhsa_exception_int_div_zero 0
	.end_amdhsa_kernel
	.section	.text._ZN7rocprim17ROCPRIM_400000_NS6detail17trampoline_kernelINS0_14default_configENS1_29reduce_by_key_config_selectorItjN6thrust23THRUST_200600_302600_NS4plusIjEEEEZZNS1_33reduce_by_key_impl_wrapped_configILNS1_25lookback_scan_determinismE0ES3_S9_NS6_6detail15normal_iteratorINS6_10device_ptrItEEEENSD_INSE_IjEEEESG_SI_PmS8_NS6_8equal_toItEEEE10hipError_tPvRmT2_T3_mT4_T5_T6_T7_T8_P12ihipStream_tbENKUlT_T0_E_clISt17integral_constantIbLb0EES12_IbLb1EEEEDaSY_SZ_EUlSY_E_NS1_11comp_targetILNS1_3genE8ELNS1_11target_archE1030ELNS1_3gpuE2ELNS1_3repE0EEENS1_30default_config_static_selectorELNS0_4arch9wavefront6targetE0EEEvT1_,"axG",@progbits,_ZN7rocprim17ROCPRIM_400000_NS6detail17trampoline_kernelINS0_14default_configENS1_29reduce_by_key_config_selectorItjN6thrust23THRUST_200600_302600_NS4plusIjEEEEZZNS1_33reduce_by_key_impl_wrapped_configILNS1_25lookback_scan_determinismE0ES3_S9_NS6_6detail15normal_iteratorINS6_10device_ptrItEEEENSD_INSE_IjEEEESG_SI_PmS8_NS6_8equal_toItEEEE10hipError_tPvRmT2_T3_mT4_T5_T6_T7_T8_P12ihipStream_tbENKUlT_T0_E_clISt17integral_constantIbLb0EES12_IbLb1EEEEDaSY_SZ_EUlSY_E_NS1_11comp_targetILNS1_3genE8ELNS1_11target_archE1030ELNS1_3gpuE2ELNS1_3repE0EEENS1_30default_config_static_selectorELNS0_4arch9wavefront6targetE0EEEvT1_,comdat
.Lfunc_end768:
	.size	_ZN7rocprim17ROCPRIM_400000_NS6detail17trampoline_kernelINS0_14default_configENS1_29reduce_by_key_config_selectorItjN6thrust23THRUST_200600_302600_NS4plusIjEEEEZZNS1_33reduce_by_key_impl_wrapped_configILNS1_25lookback_scan_determinismE0ES3_S9_NS6_6detail15normal_iteratorINS6_10device_ptrItEEEENSD_INSE_IjEEEESG_SI_PmS8_NS6_8equal_toItEEEE10hipError_tPvRmT2_T3_mT4_T5_T6_T7_T8_P12ihipStream_tbENKUlT_T0_E_clISt17integral_constantIbLb0EES12_IbLb1EEEEDaSY_SZ_EUlSY_E_NS1_11comp_targetILNS1_3genE8ELNS1_11target_archE1030ELNS1_3gpuE2ELNS1_3repE0EEENS1_30default_config_static_selectorELNS0_4arch9wavefront6targetE0EEEvT1_, .Lfunc_end768-_ZN7rocprim17ROCPRIM_400000_NS6detail17trampoline_kernelINS0_14default_configENS1_29reduce_by_key_config_selectorItjN6thrust23THRUST_200600_302600_NS4plusIjEEEEZZNS1_33reduce_by_key_impl_wrapped_configILNS1_25lookback_scan_determinismE0ES3_S9_NS6_6detail15normal_iteratorINS6_10device_ptrItEEEENSD_INSE_IjEEEESG_SI_PmS8_NS6_8equal_toItEEEE10hipError_tPvRmT2_T3_mT4_T5_T6_T7_T8_P12ihipStream_tbENKUlT_T0_E_clISt17integral_constantIbLb0EES12_IbLb1EEEEDaSY_SZ_EUlSY_E_NS1_11comp_targetILNS1_3genE8ELNS1_11target_archE1030ELNS1_3gpuE2ELNS1_3repE0EEENS1_30default_config_static_selectorELNS0_4arch9wavefront6targetE0EEEvT1_
                                        ; -- End function
	.section	.AMDGPU.csdata,"",@progbits
; Kernel info:
; codeLenInByte = 0
; NumSgprs: 0
; NumVgprs: 0
; ScratchSize: 0
; MemoryBound: 0
; FloatMode: 240
; IeeeMode: 1
; LDSByteSize: 0 bytes/workgroup (compile time only)
; SGPRBlocks: 0
; VGPRBlocks: 0
; NumSGPRsForWavesPerEU: 1
; NumVGPRsForWavesPerEU: 1
; Occupancy: 16
; WaveLimiterHint : 0
; COMPUTE_PGM_RSRC2:SCRATCH_EN: 0
; COMPUTE_PGM_RSRC2:USER_SGPR: 15
; COMPUTE_PGM_RSRC2:TRAP_HANDLER: 0
; COMPUTE_PGM_RSRC2:TGID_X_EN: 1
; COMPUTE_PGM_RSRC2:TGID_Y_EN: 0
; COMPUTE_PGM_RSRC2:TGID_Z_EN: 0
; COMPUTE_PGM_RSRC2:TIDIG_COMP_CNT: 0
	.section	.text._ZN7rocprim17ROCPRIM_400000_NS6detail17trampoline_kernelINS0_14default_configENS1_29reduce_by_key_config_selectorIxjN6thrust23THRUST_200600_302600_NS4plusIjEEEEZZNS1_33reduce_by_key_impl_wrapped_configILNS1_25lookback_scan_determinismE0ES3_S9_NS6_6detail15normal_iteratorINS6_10device_ptrIxEEEENSD_INSE_IjEEEESG_SI_PmS8_NS6_8equal_toIxEEEE10hipError_tPvRmT2_T3_mT4_T5_T6_T7_T8_P12ihipStream_tbENKUlT_T0_E_clISt17integral_constantIbLb0EES13_EEDaSY_SZ_EUlSY_E_NS1_11comp_targetILNS1_3genE0ELNS1_11target_archE4294967295ELNS1_3gpuE0ELNS1_3repE0EEENS1_30default_config_static_selectorELNS0_4arch9wavefront6targetE0EEEvT1_,"axG",@progbits,_ZN7rocprim17ROCPRIM_400000_NS6detail17trampoline_kernelINS0_14default_configENS1_29reduce_by_key_config_selectorIxjN6thrust23THRUST_200600_302600_NS4plusIjEEEEZZNS1_33reduce_by_key_impl_wrapped_configILNS1_25lookback_scan_determinismE0ES3_S9_NS6_6detail15normal_iteratorINS6_10device_ptrIxEEEENSD_INSE_IjEEEESG_SI_PmS8_NS6_8equal_toIxEEEE10hipError_tPvRmT2_T3_mT4_T5_T6_T7_T8_P12ihipStream_tbENKUlT_T0_E_clISt17integral_constantIbLb0EES13_EEDaSY_SZ_EUlSY_E_NS1_11comp_targetILNS1_3genE0ELNS1_11target_archE4294967295ELNS1_3gpuE0ELNS1_3repE0EEENS1_30default_config_static_selectorELNS0_4arch9wavefront6targetE0EEEvT1_,comdat
	.protected	_ZN7rocprim17ROCPRIM_400000_NS6detail17trampoline_kernelINS0_14default_configENS1_29reduce_by_key_config_selectorIxjN6thrust23THRUST_200600_302600_NS4plusIjEEEEZZNS1_33reduce_by_key_impl_wrapped_configILNS1_25lookback_scan_determinismE0ES3_S9_NS6_6detail15normal_iteratorINS6_10device_ptrIxEEEENSD_INSE_IjEEEESG_SI_PmS8_NS6_8equal_toIxEEEE10hipError_tPvRmT2_T3_mT4_T5_T6_T7_T8_P12ihipStream_tbENKUlT_T0_E_clISt17integral_constantIbLb0EES13_EEDaSY_SZ_EUlSY_E_NS1_11comp_targetILNS1_3genE0ELNS1_11target_archE4294967295ELNS1_3gpuE0ELNS1_3repE0EEENS1_30default_config_static_selectorELNS0_4arch9wavefront6targetE0EEEvT1_ ; -- Begin function _ZN7rocprim17ROCPRIM_400000_NS6detail17trampoline_kernelINS0_14default_configENS1_29reduce_by_key_config_selectorIxjN6thrust23THRUST_200600_302600_NS4plusIjEEEEZZNS1_33reduce_by_key_impl_wrapped_configILNS1_25lookback_scan_determinismE0ES3_S9_NS6_6detail15normal_iteratorINS6_10device_ptrIxEEEENSD_INSE_IjEEEESG_SI_PmS8_NS6_8equal_toIxEEEE10hipError_tPvRmT2_T3_mT4_T5_T6_T7_T8_P12ihipStream_tbENKUlT_T0_E_clISt17integral_constantIbLb0EES13_EEDaSY_SZ_EUlSY_E_NS1_11comp_targetILNS1_3genE0ELNS1_11target_archE4294967295ELNS1_3gpuE0ELNS1_3repE0EEENS1_30default_config_static_selectorELNS0_4arch9wavefront6targetE0EEEvT1_
	.globl	_ZN7rocprim17ROCPRIM_400000_NS6detail17trampoline_kernelINS0_14default_configENS1_29reduce_by_key_config_selectorIxjN6thrust23THRUST_200600_302600_NS4plusIjEEEEZZNS1_33reduce_by_key_impl_wrapped_configILNS1_25lookback_scan_determinismE0ES3_S9_NS6_6detail15normal_iteratorINS6_10device_ptrIxEEEENSD_INSE_IjEEEESG_SI_PmS8_NS6_8equal_toIxEEEE10hipError_tPvRmT2_T3_mT4_T5_T6_T7_T8_P12ihipStream_tbENKUlT_T0_E_clISt17integral_constantIbLb0EES13_EEDaSY_SZ_EUlSY_E_NS1_11comp_targetILNS1_3genE0ELNS1_11target_archE4294967295ELNS1_3gpuE0ELNS1_3repE0EEENS1_30default_config_static_selectorELNS0_4arch9wavefront6targetE0EEEvT1_
	.p2align	8
	.type	_ZN7rocprim17ROCPRIM_400000_NS6detail17trampoline_kernelINS0_14default_configENS1_29reduce_by_key_config_selectorIxjN6thrust23THRUST_200600_302600_NS4plusIjEEEEZZNS1_33reduce_by_key_impl_wrapped_configILNS1_25lookback_scan_determinismE0ES3_S9_NS6_6detail15normal_iteratorINS6_10device_ptrIxEEEENSD_INSE_IjEEEESG_SI_PmS8_NS6_8equal_toIxEEEE10hipError_tPvRmT2_T3_mT4_T5_T6_T7_T8_P12ihipStream_tbENKUlT_T0_E_clISt17integral_constantIbLb0EES13_EEDaSY_SZ_EUlSY_E_NS1_11comp_targetILNS1_3genE0ELNS1_11target_archE4294967295ELNS1_3gpuE0ELNS1_3repE0EEENS1_30default_config_static_selectorELNS0_4arch9wavefront6targetE0EEEvT1_,@function
_ZN7rocprim17ROCPRIM_400000_NS6detail17trampoline_kernelINS0_14default_configENS1_29reduce_by_key_config_selectorIxjN6thrust23THRUST_200600_302600_NS4plusIjEEEEZZNS1_33reduce_by_key_impl_wrapped_configILNS1_25lookback_scan_determinismE0ES3_S9_NS6_6detail15normal_iteratorINS6_10device_ptrIxEEEENSD_INSE_IjEEEESG_SI_PmS8_NS6_8equal_toIxEEEE10hipError_tPvRmT2_T3_mT4_T5_T6_T7_T8_P12ihipStream_tbENKUlT_T0_E_clISt17integral_constantIbLb0EES13_EEDaSY_SZ_EUlSY_E_NS1_11comp_targetILNS1_3genE0ELNS1_11target_archE4294967295ELNS1_3gpuE0ELNS1_3repE0EEENS1_30default_config_static_selectorELNS0_4arch9wavefront6targetE0EEEvT1_: ; @_ZN7rocprim17ROCPRIM_400000_NS6detail17trampoline_kernelINS0_14default_configENS1_29reduce_by_key_config_selectorIxjN6thrust23THRUST_200600_302600_NS4plusIjEEEEZZNS1_33reduce_by_key_impl_wrapped_configILNS1_25lookback_scan_determinismE0ES3_S9_NS6_6detail15normal_iteratorINS6_10device_ptrIxEEEENSD_INSE_IjEEEESG_SI_PmS8_NS6_8equal_toIxEEEE10hipError_tPvRmT2_T3_mT4_T5_T6_T7_T8_P12ihipStream_tbENKUlT_T0_E_clISt17integral_constantIbLb0EES13_EEDaSY_SZ_EUlSY_E_NS1_11comp_targetILNS1_3genE0ELNS1_11target_archE4294967295ELNS1_3gpuE0ELNS1_3repE0EEENS1_30default_config_static_selectorELNS0_4arch9wavefront6targetE0EEEvT1_
; %bb.0:
	.section	.rodata,"a",@progbits
	.p2align	6, 0x0
	.amdhsa_kernel _ZN7rocprim17ROCPRIM_400000_NS6detail17trampoline_kernelINS0_14default_configENS1_29reduce_by_key_config_selectorIxjN6thrust23THRUST_200600_302600_NS4plusIjEEEEZZNS1_33reduce_by_key_impl_wrapped_configILNS1_25lookback_scan_determinismE0ES3_S9_NS6_6detail15normal_iteratorINS6_10device_ptrIxEEEENSD_INSE_IjEEEESG_SI_PmS8_NS6_8equal_toIxEEEE10hipError_tPvRmT2_T3_mT4_T5_T6_T7_T8_P12ihipStream_tbENKUlT_T0_E_clISt17integral_constantIbLb0EES13_EEDaSY_SZ_EUlSY_E_NS1_11comp_targetILNS1_3genE0ELNS1_11target_archE4294967295ELNS1_3gpuE0ELNS1_3repE0EEENS1_30default_config_static_selectorELNS0_4arch9wavefront6targetE0EEEvT1_
		.amdhsa_group_segment_fixed_size 0
		.amdhsa_private_segment_fixed_size 0
		.amdhsa_kernarg_size 120
		.amdhsa_user_sgpr_count 15
		.amdhsa_user_sgpr_dispatch_ptr 0
		.amdhsa_user_sgpr_queue_ptr 0
		.amdhsa_user_sgpr_kernarg_segment_ptr 1
		.amdhsa_user_sgpr_dispatch_id 0
		.amdhsa_user_sgpr_private_segment_size 0
		.amdhsa_wavefront_size32 1
		.amdhsa_uses_dynamic_stack 0
		.amdhsa_enable_private_segment 0
		.amdhsa_system_sgpr_workgroup_id_x 1
		.amdhsa_system_sgpr_workgroup_id_y 0
		.amdhsa_system_sgpr_workgroup_id_z 0
		.amdhsa_system_sgpr_workgroup_info 0
		.amdhsa_system_vgpr_workitem_id 0
		.amdhsa_next_free_vgpr 1
		.amdhsa_next_free_sgpr 1
		.amdhsa_reserve_vcc 0
		.amdhsa_float_round_mode_32 0
		.amdhsa_float_round_mode_16_64 0
		.amdhsa_float_denorm_mode_32 3
		.amdhsa_float_denorm_mode_16_64 3
		.amdhsa_dx10_clamp 1
		.amdhsa_ieee_mode 1
		.amdhsa_fp16_overflow 0
		.amdhsa_workgroup_processor_mode 1
		.amdhsa_memory_ordered 1
		.amdhsa_forward_progress 0
		.amdhsa_shared_vgpr_count 0
		.amdhsa_exception_fp_ieee_invalid_op 0
		.amdhsa_exception_fp_denorm_src 0
		.amdhsa_exception_fp_ieee_div_zero 0
		.amdhsa_exception_fp_ieee_overflow 0
		.amdhsa_exception_fp_ieee_underflow 0
		.amdhsa_exception_fp_ieee_inexact 0
		.amdhsa_exception_int_div_zero 0
	.end_amdhsa_kernel
	.section	.text._ZN7rocprim17ROCPRIM_400000_NS6detail17trampoline_kernelINS0_14default_configENS1_29reduce_by_key_config_selectorIxjN6thrust23THRUST_200600_302600_NS4plusIjEEEEZZNS1_33reduce_by_key_impl_wrapped_configILNS1_25lookback_scan_determinismE0ES3_S9_NS6_6detail15normal_iteratorINS6_10device_ptrIxEEEENSD_INSE_IjEEEESG_SI_PmS8_NS6_8equal_toIxEEEE10hipError_tPvRmT2_T3_mT4_T5_T6_T7_T8_P12ihipStream_tbENKUlT_T0_E_clISt17integral_constantIbLb0EES13_EEDaSY_SZ_EUlSY_E_NS1_11comp_targetILNS1_3genE0ELNS1_11target_archE4294967295ELNS1_3gpuE0ELNS1_3repE0EEENS1_30default_config_static_selectorELNS0_4arch9wavefront6targetE0EEEvT1_,"axG",@progbits,_ZN7rocprim17ROCPRIM_400000_NS6detail17trampoline_kernelINS0_14default_configENS1_29reduce_by_key_config_selectorIxjN6thrust23THRUST_200600_302600_NS4plusIjEEEEZZNS1_33reduce_by_key_impl_wrapped_configILNS1_25lookback_scan_determinismE0ES3_S9_NS6_6detail15normal_iteratorINS6_10device_ptrIxEEEENSD_INSE_IjEEEESG_SI_PmS8_NS6_8equal_toIxEEEE10hipError_tPvRmT2_T3_mT4_T5_T6_T7_T8_P12ihipStream_tbENKUlT_T0_E_clISt17integral_constantIbLb0EES13_EEDaSY_SZ_EUlSY_E_NS1_11comp_targetILNS1_3genE0ELNS1_11target_archE4294967295ELNS1_3gpuE0ELNS1_3repE0EEENS1_30default_config_static_selectorELNS0_4arch9wavefront6targetE0EEEvT1_,comdat
.Lfunc_end769:
	.size	_ZN7rocprim17ROCPRIM_400000_NS6detail17trampoline_kernelINS0_14default_configENS1_29reduce_by_key_config_selectorIxjN6thrust23THRUST_200600_302600_NS4plusIjEEEEZZNS1_33reduce_by_key_impl_wrapped_configILNS1_25lookback_scan_determinismE0ES3_S9_NS6_6detail15normal_iteratorINS6_10device_ptrIxEEEENSD_INSE_IjEEEESG_SI_PmS8_NS6_8equal_toIxEEEE10hipError_tPvRmT2_T3_mT4_T5_T6_T7_T8_P12ihipStream_tbENKUlT_T0_E_clISt17integral_constantIbLb0EES13_EEDaSY_SZ_EUlSY_E_NS1_11comp_targetILNS1_3genE0ELNS1_11target_archE4294967295ELNS1_3gpuE0ELNS1_3repE0EEENS1_30default_config_static_selectorELNS0_4arch9wavefront6targetE0EEEvT1_, .Lfunc_end769-_ZN7rocprim17ROCPRIM_400000_NS6detail17trampoline_kernelINS0_14default_configENS1_29reduce_by_key_config_selectorIxjN6thrust23THRUST_200600_302600_NS4plusIjEEEEZZNS1_33reduce_by_key_impl_wrapped_configILNS1_25lookback_scan_determinismE0ES3_S9_NS6_6detail15normal_iteratorINS6_10device_ptrIxEEEENSD_INSE_IjEEEESG_SI_PmS8_NS6_8equal_toIxEEEE10hipError_tPvRmT2_T3_mT4_T5_T6_T7_T8_P12ihipStream_tbENKUlT_T0_E_clISt17integral_constantIbLb0EES13_EEDaSY_SZ_EUlSY_E_NS1_11comp_targetILNS1_3genE0ELNS1_11target_archE4294967295ELNS1_3gpuE0ELNS1_3repE0EEENS1_30default_config_static_selectorELNS0_4arch9wavefront6targetE0EEEvT1_
                                        ; -- End function
	.section	.AMDGPU.csdata,"",@progbits
; Kernel info:
; codeLenInByte = 0
; NumSgprs: 0
; NumVgprs: 0
; ScratchSize: 0
; MemoryBound: 0
; FloatMode: 240
; IeeeMode: 1
; LDSByteSize: 0 bytes/workgroup (compile time only)
; SGPRBlocks: 0
; VGPRBlocks: 0
; NumSGPRsForWavesPerEU: 1
; NumVGPRsForWavesPerEU: 1
; Occupancy: 16
; WaveLimiterHint : 0
; COMPUTE_PGM_RSRC2:SCRATCH_EN: 0
; COMPUTE_PGM_RSRC2:USER_SGPR: 15
; COMPUTE_PGM_RSRC2:TRAP_HANDLER: 0
; COMPUTE_PGM_RSRC2:TGID_X_EN: 1
; COMPUTE_PGM_RSRC2:TGID_Y_EN: 0
; COMPUTE_PGM_RSRC2:TGID_Z_EN: 0
; COMPUTE_PGM_RSRC2:TIDIG_COMP_CNT: 0
	.section	.text._ZN7rocprim17ROCPRIM_400000_NS6detail17trampoline_kernelINS0_14default_configENS1_29reduce_by_key_config_selectorIxjN6thrust23THRUST_200600_302600_NS4plusIjEEEEZZNS1_33reduce_by_key_impl_wrapped_configILNS1_25lookback_scan_determinismE0ES3_S9_NS6_6detail15normal_iteratorINS6_10device_ptrIxEEEENSD_INSE_IjEEEESG_SI_PmS8_NS6_8equal_toIxEEEE10hipError_tPvRmT2_T3_mT4_T5_T6_T7_T8_P12ihipStream_tbENKUlT_T0_E_clISt17integral_constantIbLb0EES13_EEDaSY_SZ_EUlSY_E_NS1_11comp_targetILNS1_3genE5ELNS1_11target_archE942ELNS1_3gpuE9ELNS1_3repE0EEENS1_30default_config_static_selectorELNS0_4arch9wavefront6targetE0EEEvT1_,"axG",@progbits,_ZN7rocprim17ROCPRIM_400000_NS6detail17trampoline_kernelINS0_14default_configENS1_29reduce_by_key_config_selectorIxjN6thrust23THRUST_200600_302600_NS4plusIjEEEEZZNS1_33reduce_by_key_impl_wrapped_configILNS1_25lookback_scan_determinismE0ES3_S9_NS6_6detail15normal_iteratorINS6_10device_ptrIxEEEENSD_INSE_IjEEEESG_SI_PmS8_NS6_8equal_toIxEEEE10hipError_tPvRmT2_T3_mT4_T5_T6_T7_T8_P12ihipStream_tbENKUlT_T0_E_clISt17integral_constantIbLb0EES13_EEDaSY_SZ_EUlSY_E_NS1_11comp_targetILNS1_3genE5ELNS1_11target_archE942ELNS1_3gpuE9ELNS1_3repE0EEENS1_30default_config_static_selectorELNS0_4arch9wavefront6targetE0EEEvT1_,comdat
	.protected	_ZN7rocprim17ROCPRIM_400000_NS6detail17trampoline_kernelINS0_14default_configENS1_29reduce_by_key_config_selectorIxjN6thrust23THRUST_200600_302600_NS4plusIjEEEEZZNS1_33reduce_by_key_impl_wrapped_configILNS1_25lookback_scan_determinismE0ES3_S9_NS6_6detail15normal_iteratorINS6_10device_ptrIxEEEENSD_INSE_IjEEEESG_SI_PmS8_NS6_8equal_toIxEEEE10hipError_tPvRmT2_T3_mT4_T5_T6_T7_T8_P12ihipStream_tbENKUlT_T0_E_clISt17integral_constantIbLb0EES13_EEDaSY_SZ_EUlSY_E_NS1_11comp_targetILNS1_3genE5ELNS1_11target_archE942ELNS1_3gpuE9ELNS1_3repE0EEENS1_30default_config_static_selectorELNS0_4arch9wavefront6targetE0EEEvT1_ ; -- Begin function _ZN7rocprim17ROCPRIM_400000_NS6detail17trampoline_kernelINS0_14default_configENS1_29reduce_by_key_config_selectorIxjN6thrust23THRUST_200600_302600_NS4plusIjEEEEZZNS1_33reduce_by_key_impl_wrapped_configILNS1_25lookback_scan_determinismE0ES3_S9_NS6_6detail15normal_iteratorINS6_10device_ptrIxEEEENSD_INSE_IjEEEESG_SI_PmS8_NS6_8equal_toIxEEEE10hipError_tPvRmT2_T3_mT4_T5_T6_T7_T8_P12ihipStream_tbENKUlT_T0_E_clISt17integral_constantIbLb0EES13_EEDaSY_SZ_EUlSY_E_NS1_11comp_targetILNS1_3genE5ELNS1_11target_archE942ELNS1_3gpuE9ELNS1_3repE0EEENS1_30default_config_static_selectorELNS0_4arch9wavefront6targetE0EEEvT1_
	.globl	_ZN7rocprim17ROCPRIM_400000_NS6detail17trampoline_kernelINS0_14default_configENS1_29reduce_by_key_config_selectorIxjN6thrust23THRUST_200600_302600_NS4plusIjEEEEZZNS1_33reduce_by_key_impl_wrapped_configILNS1_25lookback_scan_determinismE0ES3_S9_NS6_6detail15normal_iteratorINS6_10device_ptrIxEEEENSD_INSE_IjEEEESG_SI_PmS8_NS6_8equal_toIxEEEE10hipError_tPvRmT2_T3_mT4_T5_T6_T7_T8_P12ihipStream_tbENKUlT_T0_E_clISt17integral_constantIbLb0EES13_EEDaSY_SZ_EUlSY_E_NS1_11comp_targetILNS1_3genE5ELNS1_11target_archE942ELNS1_3gpuE9ELNS1_3repE0EEENS1_30default_config_static_selectorELNS0_4arch9wavefront6targetE0EEEvT1_
	.p2align	8
	.type	_ZN7rocprim17ROCPRIM_400000_NS6detail17trampoline_kernelINS0_14default_configENS1_29reduce_by_key_config_selectorIxjN6thrust23THRUST_200600_302600_NS4plusIjEEEEZZNS1_33reduce_by_key_impl_wrapped_configILNS1_25lookback_scan_determinismE0ES3_S9_NS6_6detail15normal_iteratorINS6_10device_ptrIxEEEENSD_INSE_IjEEEESG_SI_PmS8_NS6_8equal_toIxEEEE10hipError_tPvRmT2_T3_mT4_T5_T6_T7_T8_P12ihipStream_tbENKUlT_T0_E_clISt17integral_constantIbLb0EES13_EEDaSY_SZ_EUlSY_E_NS1_11comp_targetILNS1_3genE5ELNS1_11target_archE942ELNS1_3gpuE9ELNS1_3repE0EEENS1_30default_config_static_selectorELNS0_4arch9wavefront6targetE0EEEvT1_,@function
_ZN7rocprim17ROCPRIM_400000_NS6detail17trampoline_kernelINS0_14default_configENS1_29reduce_by_key_config_selectorIxjN6thrust23THRUST_200600_302600_NS4plusIjEEEEZZNS1_33reduce_by_key_impl_wrapped_configILNS1_25lookback_scan_determinismE0ES3_S9_NS6_6detail15normal_iteratorINS6_10device_ptrIxEEEENSD_INSE_IjEEEESG_SI_PmS8_NS6_8equal_toIxEEEE10hipError_tPvRmT2_T3_mT4_T5_T6_T7_T8_P12ihipStream_tbENKUlT_T0_E_clISt17integral_constantIbLb0EES13_EEDaSY_SZ_EUlSY_E_NS1_11comp_targetILNS1_3genE5ELNS1_11target_archE942ELNS1_3gpuE9ELNS1_3repE0EEENS1_30default_config_static_selectorELNS0_4arch9wavefront6targetE0EEEvT1_: ; @_ZN7rocprim17ROCPRIM_400000_NS6detail17trampoline_kernelINS0_14default_configENS1_29reduce_by_key_config_selectorIxjN6thrust23THRUST_200600_302600_NS4plusIjEEEEZZNS1_33reduce_by_key_impl_wrapped_configILNS1_25lookback_scan_determinismE0ES3_S9_NS6_6detail15normal_iteratorINS6_10device_ptrIxEEEENSD_INSE_IjEEEESG_SI_PmS8_NS6_8equal_toIxEEEE10hipError_tPvRmT2_T3_mT4_T5_T6_T7_T8_P12ihipStream_tbENKUlT_T0_E_clISt17integral_constantIbLb0EES13_EEDaSY_SZ_EUlSY_E_NS1_11comp_targetILNS1_3genE5ELNS1_11target_archE942ELNS1_3gpuE9ELNS1_3repE0EEENS1_30default_config_static_selectorELNS0_4arch9wavefront6targetE0EEEvT1_
; %bb.0:
	.section	.rodata,"a",@progbits
	.p2align	6, 0x0
	.amdhsa_kernel _ZN7rocprim17ROCPRIM_400000_NS6detail17trampoline_kernelINS0_14default_configENS1_29reduce_by_key_config_selectorIxjN6thrust23THRUST_200600_302600_NS4plusIjEEEEZZNS1_33reduce_by_key_impl_wrapped_configILNS1_25lookback_scan_determinismE0ES3_S9_NS6_6detail15normal_iteratorINS6_10device_ptrIxEEEENSD_INSE_IjEEEESG_SI_PmS8_NS6_8equal_toIxEEEE10hipError_tPvRmT2_T3_mT4_T5_T6_T7_T8_P12ihipStream_tbENKUlT_T0_E_clISt17integral_constantIbLb0EES13_EEDaSY_SZ_EUlSY_E_NS1_11comp_targetILNS1_3genE5ELNS1_11target_archE942ELNS1_3gpuE9ELNS1_3repE0EEENS1_30default_config_static_selectorELNS0_4arch9wavefront6targetE0EEEvT1_
		.amdhsa_group_segment_fixed_size 0
		.amdhsa_private_segment_fixed_size 0
		.amdhsa_kernarg_size 120
		.amdhsa_user_sgpr_count 15
		.amdhsa_user_sgpr_dispatch_ptr 0
		.amdhsa_user_sgpr_queue_ptr 0
		.amdhsa_user_sgpr_kernarg_segment_ptr 1
		.amdhsa_user_sgpr_dispatch_id 0
		.amdhsa_user_sgpr_private_segment_size 0
		.amdhsa_wavefront_size32 1
		.amdhsa_uses_dynamic_stack 0
		.amdhsa_enable_private_segment 0
		.amdhsa_system_sgpr_workgroup_id_x 1
		.amdhsa_system_sgpr_workgroup_id_y 0
		.amdhsa_system_sgpr_workgroup_id_z 0
		.amdhsa_system_sgpr_workgroup_info 0
		.amdhsa_system_vgpr_workitem_id 0
		.amdhsa_next_free_vgpr 1
		.amdhsa_next_free_sgpr 1
		.amdhsa_reserve_vcc 0
		.amdhsa_float_round_mode_32 0
		.amdhsa_float_round_mode_16_64 0
		.amdhsa_float_denorm_mode_32 3
		.amdhsa_float_denorm_mode_16_64 3
		.amdhsa_dx10_clamp 1
		.amdhsa_ieee_mode 1
		.amdhsa_fp16_overflow 0
		.amdhsa_workgroup_processor_mode 1
		.amdhsa_memory_ordered 1
		.amdhsa_forward_progress 0
		.amdhsa_shared_vgpr_count 0
		.amdhsa_exception_fp_ieee_invalid_op 0
		.amdhsa_exception_fp_denorm_src 0
		.amdhsa_exception_fp_ieee_div_zero 0
		.amdhsa_exception_fp_ieee_overflow 0
		.amdhsa_exception_fp_ieee_underflow 0
		.amdhsa_exception_fp_ieee_inexact 0
		.amdhsa_exception_int_div_zero 0
	.end_amdhsa_kernel
	.section	.text._ZN7rocprim17ROCPRIM_400000_NS6detail17trampoline_kernelINS0_14default_configENS1_29reduce_by_key_config_selectorIxjN6thrust23THRUST_200600_302600_NS4plusIjEEEEZZNS1_33reduce_by_key_impl_wrapped_configILNS1_25lookback_scan_determinismE0ES3_S9_NS6_6detail15normal_iteratorINS6_10device_ptrIxEEEENSD_INSE_IjEEEESG_SI_PmS8_NS6_8equal_toIxEEEE10hipError_tPvRmT2_T3_mT4_T5_T6_T7_T8_P12ihipStream_tbENKUlT_T0_E_clISt17integral_constantIbLb0EES13_EEDaSY_SZ_EUlSY_E_NS1_11comp_targetILNS1_3genE5ELNS1_11target_archE942ELNS1_3gpuE9ELNS1_3repE0EEENS1_30default_config_static_selectorELNS0_4arch9wavefront6targetE0EEEvT1_,"axG",@progbits,_ZN7rocprim17ROCPRIM_400000_NS6detail17trampoline_kernelINS0_14default_configENS1_29reduce_by_key_config_selectorIxjN6thrust23THRUST_200600_302600_NS4plusIjEEEEZZNS1_33reduce_by_key_impl_wrapped_configILNS1_25lookback_scan_determinismE0ES3_S9_NS6_6detail15normal_iteratorINS6_10device_ptrIxEEEENSD_INSE_IjEEEESG_SI_PmS8_NS6_8equal_toIxEEEE10hipError_tPvRmT2_T3_mT4_T5_T6_T7_T8_P12ihipStream_tbENKUlT_T0_E_clISt17integral_constantIbLb0EES13_EEDaSY_SZ_EUlSY_E_NS1_11comp_targetILNS1_3genE5ELNS1_11target_archE942ELNS1_3gpuE9ELNS1_3repE0EEENS1_30default_config_static_selectorELNS0_4arch9wavefront6targetE0EEEvT1_,comdat
.Lfunc_end770:
	.size	_ZN7rocprim17ROCPRIM_400000_NS6detail17trampoline_kernelINS0_14default_configENS1_29reduce_by_key_config_selectorIxjN6thrust23THRUST_200600_302600_NS4plusIjEEEEZZNS1_33reduce_by_key_impl_wrapped_configILNS1_25lookback_scan_determinismE0ES3_S9_NS6_6detail15normal_iteratorINS6_10device_ptrIxEEEENSD_INSE_IjEEEESG_SI_PmS8_NS6_8equal_toIxEEEE10hipError_tPvRmT2_T3_mT4_T5_T6_T7_T8_P12ihipStream_tbENKUlT_T0_E_clISt17integral_constantIbLb0EES13_EEDaSY_SZ_EUlSY_E_NS1_11comp_targetILNS1_3genE5ELNS1_11target_archE942ELNS1_3gpuE9ELNS1_3repE0EEENS1_30default_config_static_selectorELNS0_4arch9wavefront6targetE0EEEvT1_, .Lfunc_end770-_ZN7rocprim17ROCPRIM_400000_NS6detail17trampoline_kernelINS0_14default_configENS1_29reduce_by_key_config_selectorIxjN6thrust23THRUST_200600_302600_NS4plusIjEEEEZZNS1_33reduce_by_key_impl_wrapped_configILNS1_25lookback_scan_determinismE0ES3_S9_NS6_6detail15normal_iteratorINS6_10device_ptrIxEEEENSD_INSE_IjEEEESG_SI_PmS8_NS6_8equal_toIxEEEE10hipError_tPvRmT2_T3_mT4_T5_T6_T7_T8_P12ihipStream_tbENKUlT_T0_E_clISt17integral_constantIbLb0EES13_EEDaSY_SZ_EUlSY_E_NS1_11comp_targetILNS1_3genE5ELNS1_11target_archE942ELNS1_3gpuE9ELNS1_3repE0EEENS1_30default_config_static_selectorELNS0_4arch9wavefront6targetE0EEEvT1_
                                        ; -- End function
	.section	.AMDGPU.csdata,"",@progbits
; Kernel info:
; codeLenInByte = 0
; NumSgprs: 0
; NumVgprs: 0
; ScratchSize: 0
; MemoryBound: 0
; FloatMode: 240
; IeeeMode: 1
; LDSByteSize: 0 bytes/workgroup (compile time only)
; SGPRBlocks: 0
; VGPRBlocks: 0
; NumSGPRsForWavesPerEU: 1
; NumVGPRsForWavesPerEU: 1
; Occupancy: 16
; WaveLimiterHint : 0
; COMPUTE_PGM_RSRC2:SCRATCH_EN: 0
; COMPUTE_PGM_RSRC2:USER_SGPR: 15
; COMPUTE_PGM_RSRC2:TRAP_HANDLER: 0
; COMPUTE_PGM_RSRC2:TGID_X_EN: 1
; COMPUTE_PGM_RSRC2:TGID_Y_EN: 0
; COMPUTE_PGM_RSRC2:TGID_Z_EN: 0
; COMPUTE_PGM_RSRC2:TIDIG_COMP_CNT: 0
	.section	.text._ZN7rocprim17ROCPRIM_400000_NS6detail17trampoline_kernelINS0_14default_configENS1_29reduce_by_key_config_selectorIxjN6thrust23THRUST_200600_302600_NS4plusIjEEEEZZNS1_33reduce_by_key_impl_wrapped_configILNS1_25lookback_scan_determinismE0ES3_S9_NS6_6detail15normal_iteratorINS6_10device_ptrIxEEEENSD_INSE_IjEEEESG_SI_PmS8_NS6_8equal_toIxEEEE10hipError_tPvRmT2_T3_mT4_T5_T6_T7_T8_P12ihipStream_tbENKUlT_T0_E_clISt17integral_constantIbLb0EES13_EEDaSY_SZ_EUlSY_E_NS1_11comp_targetILNS1_3genE4ELNS1_11target_archE910ELNS1_3gpuE8ELNS1_3repE0EEENS1_30default_config_static_selectorELNS0_4arch9wavefront6targetE0EEEvT1_,"axG",@progbits,_ZN7rocprim17ROCPRIM_400000_NS6detail17trampoline_kernelINS0_14default_configENS1_29reduce_by_key_config_selectorIxjN6thrust23THRUST_200600_302600_NS4plusIjEEEEZZNS1_33reduce_by_key_impl_wrapped_configILNS1_25lookback_scan_determinismE0ES3_S9_NS6_6detail15normal_iteratorINS6_10device_ptrIxEEEENSD_INSE_IjEEEESG_SI_PmS8_NS6_8equal_toIxEEEE10hipError_tPvRmT2_T3_mT4_T5_T6_T7_T8_P12ihipStream_tbENKUlT_T0_E_clISt17integral_constantIbLb0EES13_EEDaSY_SZ_EUlSY_E_NS1_11comp_targetILNS1_3genE4ELNS1_11target_archE910ELNS1_3gpuE8ELNS1_3repE0EEENS1_30default_config_static_selectorELNS0_4arch9wavefront6targetE0EEEvT1_,comdat
	.protected	_ZN7rocprim17ROCPRIM_400000_NS6detail17trampoline_kernelINS0_14default_configENS1_29reduce_by_key_config_selectorIxjN6thrust23THRUST_200600_302600_NS4plusIjEEEEZZNS1_33reduce_by_key_impl_wrapped_configILNS1_25lookback_scan_determinismE0ES3_S9_NS6_6detail15normal_iteratorINS6_10device_ptrIxEEEENSD_INSE_IjEEEESG_SI_PmS8_NS6_8equal_toIxEEEE10hipError_tPvRmT2_T3_mT4_T5_T6_T7_T8_P12ihipStream_tbENKUlT_T0_E_clISt17integral_constantIbLb0EES13_EEDaSY_SZ_EUlSY_E_NS1_11comp_targetILNS1_3genE4ELNS1_11target_archE910ELNS1_3gpuE8ELNS1_3repE0EEENS1_30default_config_static_selectorELNS0_4arch9wavefront6targetE0EEEvT1_ ; -- Begin function _ZN7rocprim17ROCPRIM_400000_NS6detail17trampoline_kernelINS0_14default_configENS1_29reduce_by_key_config_selectorIxjN6thrust23THRUST_200600_302600_NS4plusIjEEEEZZNS1_33reduce_by_key_impl_wrapped_configILNS1_25lookback_scan_determinismE0ES3_S9_NS6_6detail15normal_iteratorINS6_10device_ptrIxEEEENSD_INSE_IjEEEESG_SI_PmS8_NS6_8equal_toIxEEEE10hipError_tPvRmT2_T3_mT4_T5_T6_T7_T8_P12ihipStream_tbENKUlT_T0_E_clISt17integral_constantIbLb0EES13_EEDaSY_SZ_EUlSY_E_NS1_11comp_targetILNS1_3genE4ELNS1_11target_archE910ELNS1_3gpuE8ELNS1_3repE0EEENS1_30default_config_static_selectorELNS0_4arch9wavefront6targetE0EEEvT1_
	.globl	_ZN7rocprim17ROCPRIM_400000_NS6detail17trampoline_kernelINS0_14default_configENS1_29reduce_by_key_config_selectorIxjN6thrust23THRUST_200600_302600_NS4plusIjEEEEZZNS1_33reduce_by_key_impl_wrapped_configILNS1_25lookback_scan_determinismE0ES3_S9_NS6_6detail15normal_iteratorINS6_10device_ptrIxEEEENSD_INSE_IjEEEESG_SI_PmS8_NS6_8equal_toIxEEEE10hipError_tPvRmT2_T3_mT4_T5_T6_T7_T8_P12ihipStream_tbENKUlT_T0_E_clISt17integral_constantIbLb0EES13_EEDaSY_SZ_EUlSY_E_NS1_11comp_targetILNS1_3genE4ELNS1_11target_archE910ELNS1_3gpuE8ELNS1_3repE0EEENS1_30default_config_static_selectorELNS0_4arch9wavefront6targetE0EEEvT1_
	.p2align	8
	.type	_ZN7rocprim17ROCPRIM_400000_NS6detail17trampoline_kernelINS0_14default_configENS1_29reduce_by_key_config_selectorIxjN6thrust23THRUST_200600_302600_NS4plusIjEEEEZZNS1_33reduce_by_key_impl_wrapped_configILNS1_25lookback_scan_determinismE0ES3_S9_NS6_6detail15normal_iteratorINS6_10device_ptrIxEEEENSD_INSE_IjEEEESG_SI_PmS8_NS6_8equal_toIxEEEE10hipError_tPvRmT2_T3_mT4_T5_T6_T7_T8_P12ihipStream_tbENKUlT_T0_E_clISt17integral_constantIbLb0EES13_EEDaSY_SZ_EUlSY_E_NS1_11comp_targetILNS1_3genE4ELNS1_11target_archE910ELNS1_3gpuE8ELNS1_3repE0EEENS1_30default_config_static_selectorELNS0_4arch9wavefront6targetE0EEEvT1_,@function
_ZN7rocprim17ROCPRIM_400000_NS6detail17trampoline_kernelINS0_14default_configENS1_29reduce_by_key_config_selectorIxjN6thrust23THRUST_200600_302600_NS4plusIjEEEEZZNS1_33reduce_by_key_impl_wrapped_configILNS1_25lookback_scan_determinismE0ES3_S9_NS6_6detail15normal_iteratorINS6_10device_ptrIxEEEENSD_INSE_IjEEEESG_SI_PmS8_NS6_8equal_toIxEEEE10hipError_tPvRmT2_T3_mT4_T5_T6_T7_T8_P12ihipStream_tbENKUlT_T0_E_clISt17integral_constantIbLb0EES13_EEDaSY_SZ_EUlSY_E_NS1_11comp_targetILNS1_3genE4ELNS1_11target_archE910ELNS1_3gpuE8ELNS1_3repE0EEENS1_30default_config_static_selectorELNS0_4arch9wavefront6targetE0EEEvT1_: ; @_ZN7rocprim17ROCPRIM_400000_NS6detail17trampoline_kernelINS0_14default_configENS1_29reduce_by_key_config_selectorIxjN6thrust23THRUST_200600_302600_NS4plusIjEEEEZZNS1_33reduce_by_key_impl_wrapped_configILNS1_25lookback_scan_determinismE0ES3_S9_NS6_6detail15normal_iteratorINS6_10device_ptrIxEEEENSD_INSE_IjEEEESG_SI_PmS8_NS6_8equal_toIxEEEE10hipError_tPvRmT2_T3_mT4_T5_T6_T7_T8_P12ihipStream_tbENKUlT_T0_E_clISt17integral_constantIbLb0EES13_EEDaSY_SZ_EUlSY_E_NS1_11comp_targetILNS1_3genE4ELNS1_11target_archE910ELNS1_3gpuE8ELNS1_3repE0EEENS1_30default_config_static_selectorELNS0_4arch9wavefront6targetE0EEEvT1_
; %bb.0:
	.section	.rodata,"a",@progbits
	.p2align	6, 0x0
	.amdhsa_kernel _ZN7rocprim17ROCPRIM_400000_NS6detail17trampoline_kernelINS0_14default_configENS1_29reduce_by_key_config_selectorIxjN6thrust23THRUST_200600_302600_NS4plusIjEEEEZZNS1_33reduce_by_key_impl_wrapped_configILNS1_25lookback_scan_determinismE0ES3_S9_NS6_6detail15normal_iteratorINS6_10device_ptrIxEEEENSD_INSE_IjEEEESG_SI_PmS8_NS6_8equal_toIxEEEE10hipError_tPvRmT2_T3_mT4_T5_T6_T7_T8_P12ihipStream_tbENKUlT_T0_E_clISt17integral_constantIbLb0EES13_EEDaSY_SZ_EUlSY_E_NS1_11comp_targetILNS1_3genE4ELNS1_11target_archE910ELNS1_3gpuE8ELNS1_3repE0EEENS1_30default_config_static_selectorELNS0_4arch9wavefront6targetE0EEEvT1_
		.amdhsa_group_segment_fixed_size 0
		.amdhsa_private_segment_fixed_size 0
		.amdhsa_kernarg_size 120
		.amdhsa_user_sgpr_count 15
		.amdhsa_user_sgpr_dispatch_ptr 0
		.amdhsa_user_sgpr_queue_ptr 0
		.amdhsa_user_sgpr_kernarg_segment_ptr 1
		.amdhsa_user_sgpr_dispatch_id 0
		.amdhsa_user_sgpr_private_segment_size 0
		.amdhsa_wavefront_size32 1
		.amdhsa_uses_dynamic_stack 0
		.amdhsa_enable_private_segment 0
		.amdhsa_system_sgpr_workgroup_id_x 1
		.amdhsa_system_sgpr_workgroup_id_y 0
		.amdhsa_system_sgpr_workgroup_id_z 0
		.amdhsa_system_sgpr_workgroup_info 0
		.amdhsa_system_vgpr_workitem_id 0
		.amdhsa_next_free_vgpr 1
		.amdhsa_next_free_sgpr 1
		.amdhsa_reserve_vcc 0
		.amdhsa_float_round_mode_32 0
		.amdhsa_float_round_mode_16_64 0
		.amdhsa_float_denorm_mode_32 3
		.amdhsa_float_denorm_mode_16_64 3
		.amdhsa_dx10_clamp 1
		.amdhsa_ieee_mode 1
		.amdhsa_fp16_overflow 0
		.amdhsa_workgroup_processor_mode 1
		.amdhsa_memory_ordered 1
		.amdhsa_forward_progress 0
		.amdhsa_shared_vgpr_count 0
		.amdhsa_exception_fp_ieee_invalid_op 0
		.amdhsa_exception_fp_denorm_src 0
		.amdhsa_exception_fp_ieee_div_zero 0
		.amdhsa_exception_fp_ieee_overflow 0
		.amdhsa_exception_fp_ieee_underflow 0
		.amdhsa_exception_fp_ieee_inexact 0
		.amdhsa_exception_int_div_zero 0
	.end_amdhsa_kernel
	.section	.text._ZN7rocprim17ROCPRIM_400000_NS6detail17trampoline_kernelINS0_14default_configENS1_29reduce_by_key_config_selectorIxjN6thrust23THRUST_200600_302600_NS4plusIjEEEEZZNS1_33reduce_by_key_impl_wrapped_configILNS1_25lookback_scan_determinismE0ES3_S9_NS6_6detail15normal_iteratorINS6_10device_ptrIxEEEENSD_INSE_IjEEEESG_SI_PmS8_NS6_8equal_toIxEEEE10hipError_tPvRmT2_T3_mT4_T5_T6_T7_T8_P12ihipStream_tbENKUlT_T0_E_clISt17integral_constantIbLb0EES13_EEDaSY_SZ_EUlSY_E_NS1_11comp_targetILNS1_3genE4ELNS1_11target_archE910ELNS1_3gpuE8ELNS1_3repE0EEENS1_30default_config_static_selectorELNS0_4arch9wavefront6targetE0EEEvT1_,"axG",@progbits,_ZN7rocprim17ROCPRIM_400000_NS6detail17trampoline_kernelINS0_14default_configENS1_29reduce_by_key_config_selectorIxjN6thrust23THRUST_200600_302600_NS4plusIjEEEEZZNS1_33reduce_by_key_impl_wrapped_configILNS1_25lookback_scan_determinismE0ES3_S9_NS6_6detail15normal_iteratorINS6_10device_ptrIxEEEENSD_INSE_IjEEEESG_SI_PmS8_NS6_8equal_toIxEEEE10hipError_tPvRmT2_T3_mT4_T5_T6_T7_T8_P12ihipStream_tbENKUlT_T0_E_clISt17integral_constantIbLb0EES13_EEDaSY_SZ_EUlSY_E_NS1_11comp_targetILNS1_3genE4ELNS1_11target_archE910ELNS1_3gpuE8ELNS1_3repE0EEENS1_30default_config_static_selectorELNS0_4arch9wavefront6targetE0EEEvT1_,comdat
.Lfunc_end771:
	.size	_ZN7rocprim17ROCPRIM_400000_NS6detail17trampoline_kernelINS0_14default_configENS1_29reduce_by_key_config_selectorIxjN6thrust23THRUST_200600_302600_NS4plusIjEEEEZZNS1_33reduce_by_key_impl_wrapped_configILNS1_25lookback_scan_determinismE0ES3_S9_NS6_6detail15normal_iteratorINS6_10device_ptrIxEEEENSD_INSE_IjEEEESG_SI_PmS8_NS6_8equal_toIxEEEE10hipError_tPvRmT2_T3_mT4_T5_T6_T7_T8_P12ihipStream_tbENKUlT_T0_E_clISt17integral_constantIbLb0EES13_EEDaSY_SZ_EUlSY_E_NS1_11comp_targetILNS1_3genE4ELNS1_11target_archE910ELNS1_3gpuE8ELNS1_3repE0EEENS1_30default_config_static_selectorELNS0_4arch9wavefront6targetE0EEEvT1_, .Lfunc_end771-_ZN7rocprim17ROCPRIM_400000_NS6detail17trampoline_kernelINS0_14default_configENS1_29reduce_by_key_config_selectorIxjN6thrust23THRUST_200600_302600_NS4plusIjEEEEZZNS1_33reduce_by_key_impl_wrapped_configILNS1_25lookback_scan_determinismE0ES3_S9_NS6_6detail15normal_iteratorINS6_10device_ptrIxEEEENSD_INSE_IjEEEESG_SI_PmS8_NS6_8equal_toIxEEEE10hipError_tPvRmT2_T3_mT4_T5_T6_T7_T8_P12ihipStream_tbENKUlT_T0_E_clISt17integral_constantIbLb0EES13_EEDaSY_SZ_EUlSY_E_NS1_11comp_targetILNS1_3genE4ELNS1_11target_archE910ELNS1_3gpuE8ELNS1_3repE0EEENS1_30default_config_static_selectorELNS0_4arch9wavefront6targetE0EEEvT1_
                                        ; -- End function
	.section	.AMDGPU.csdata,"",@progbits
; Kernel info:
; codeLenInByte = 0
; NumSgprs: 0
; NumVgprs: 0
; ScratchSize: 0
; MemoryBound: 0
; FloatMode: 240
; IeeeMode: 1
; LDSByteSize: 0 bytes/workgroup (compile time only)
; SGPRBlocks: 0
; VGPRBlocks: 0
; NumSGPRsForWavesPerEU: 1
; NumVGPRsForWavesPerEU: 1
; Occupancy: 16
; WaveLimiterHint : 0
; COMPUTE_PGM_RSRC2:SCRATCH_EN: 0
; COMPUTE_PGM_RSRC2:USER_SGPR: 15
; COMPUTE_PGM_RSRC2:TRAP_HANDLER: 0
; COMPUTE_PGM_RSRC2:TGID_X_EN: 1
; COMPUTE_PGM_RSRC2:TGID_Y_EN: 0
; COMPUTE_PGM_RSRC2:TGID_Z_EN: 0
; COMPUTE_PGM_RSRC2:TIDIG_COMP_CNT: 0
	.section	.text._ZN7rocprim17ROCPRIM_400000_NS6detail17trampoline_kernelINS0_14default_configENS1_29reduce_by_key_config_selectorIxjN6thrust23THRUST_200600_302600_NS4plusIjEEEEZZNS1_33reduce_by_key_impl_wrapped_configILNS1_25lookback_scan_determinismE0ES3_S9_NS6_6detail15normal_iteratorINS6_10device_ptrIxEEEENSD_INSE_IjEEEESG_SI_PmS8_NS6_8equal_toIxEEEE10hipError_tPvRmT2_T3_mT4_T5_T6_T7_T8_P12ihipStream_tbENKUlT_T0_E_clISt17integral_constantIbLb0EES13_EEDaSY_SZ_EUlSY_E_NS1_11comp_targetILNS1_3genE3ELNS1_11target_archE908ELNS1_3gpuE7ELNS1_3repE0EEENS1_30default_config_static_selectorELNS0_4arch9wavefront6targetE0EEEvT1_,"axG",@progbits,_ZN7rocprim17ROCPRIM_400000_NS6detail17trampoline_kernelINS0_14default_configENS1_29reduce_by_key_config_selectorIxjN6thrust23THRUST_200600_302600_NS4plusIjEEEEZZNS1_33reduce_by_key_impl_wrapped_configILNS1_25lookback_scan_determinismE0ES3_S9_NS6_6detail15normal_iteratorINS6_10device_ptrIxEEEENSD_INSE_IjEEEESG_SI_PmS8_NS6_8equal_toIxEEEE10hipError_tPvRmT2_T3_mT4_T5_T6_T7_T8_P12ihipStream_tbENKUlT_T0_E_clISt17integral_constantIbLb0EES13_EEDaSY_SZ_EUlSY_E_NS1_11comp_targetILNS1_3genE3ELNS1_11target_archE908ELNS1_3gpuE7ELNS1_3repE0EEENS1_30default_config_static_selectorELNS0_4arch9wavefront6targetE0EEEvT1_,comdat
	.protected	_ZN7rocprim17ROCPRIM_400000_NS6detail17trampoline_kernelINS0_14default_configENS1_29reduce_by_key_config_selectorIxjN6thrust23THRUST_200600_302600_NS4plusIjEEEEZZNS1_33reduce_by_key_impl_wrapped_configILNS1_25lookback_scan_determinismE0ES3_S9_NS6_6detail15normal_iteratorINS6_10device_ptrIxEEEENSD_INSE_IjEEEESG_SI_PmS8_NS6_8equal_toIxEEEE10hipError_tPvRmT2_T3_mT4_T5_T6_T7_T8_P12ihipStream_tbENKUlT_T0_E_clISt17integral_constantIbLb0EES13_EEDaSY_SZ_EUlSY_E_NS1_11comp_targetILNS1_3genE3ELNS1_11target_archE908ELNS1_3gpuE7ELNS1_3repE0EEENS1_30default_config_static_selectorELNS0_4arch9wavefront6targetE0EEEvT1_ ; -- Begin function _ZN7rocprim17ROCPRIM_400000_NS6detail17trampoline_kernelINS0_14default_configENS1_29reduce_by_key_config_selectorIxjN6thrust23THRUST_200600_302600_NS4plusIjEEEEZZNS1_33reduce_by_key_impl_wrapped_configILNS1_25lookback_scan_determinismE0ES3_S9_NS6_6detail15normal_iteratorINS6_10device_ptrIxEEEENSD_INSE_IjEEEESG_SI_PmS8_NS6_8equal_toIxEEEE10hipError_tPvRmT2_T3_mT4_T5_T6_T7_T8_P12ihipStream_tbENKUlT_T0_E_clISt17integral_constantIbLb0EES13_EEDaSY_SZ_EUlSY_E_NS1_11comp_targetILNS1_3genE3ELNS1_11target_archE908ELNS1_3gpuE7ELNS1_3repE0EEENS1_30default_config_static_selectorELNS0_4arch9wavefront6targetE0EEEvT1_
	.globl	_ZN7rocprim17ROCPRIM_400000_NS6detail17trampoline_kernelINS0_14default_configENS1_29reduce_by_key_config_selectorIxjN6thrust23THRUST_200600_302600_NS4plusIjEEEEZZNS1_33reduce_by_key_impl_wrapped_configILNS1_25lookback_scan_determinismE0ES3_S9_NS6_6detail15normal_iteratorINS6_10device_ptrIxEEEENSD_INSE_IjEEEESG_SI_PmS8_NS6_8equal_toIxEEEE10hipError_tPvRmT2_T3_mT4_T5_T6_T7_T8_P12ihipStream_tbENKUlT_T0_E_clISt17integral_constantIbLb0EES13_EEDaSY_SZ_EUlSY_E_NS1_11comp_targetILNS1_3genE3ELNS1_11target_archE908ELNS1_3gpuE7ELNS1_3repE0EEENS1_30default_config_static_selectorELNS0_4arch9wavefront6targetE0EEEvT1_
	.p2align	8
	.type	_ZN7rocprim17ROCPRIM_400000_NS6detail17trampoline_kernelINS0_14default_configENS1_29reduce_by_key_config_selectorIxjN6thrust23THRUST_200600_302600_NS4plusIjEEEEZZNS1_33reduce_by_key_impl_wrapped_configILNS1_25lookback_scan_determinismE0ES3_S9_NS6_6detail15normal_iteratorINS6_10device_ptrIxEEEENSD_INSE_IjEEEESG_SI_PmS8_NS6_8equal_toIxEEEE10hipError_tPvRmT2_T3_mT4_T5_T6_T7_T8_P12ihipStream_tbENKUlT_T0_E_clISt17integral_constantIbLb0EES13_EEDaSY_SZ_EUlSY_E_NS1_11comp_targetILNS1_3genE3ELNS1_11target_archE908ELNS1_3gpuE7ELNS1_3repE0EEENS1_30default_config_static_selectorELNS0_4arch9wavefront6targetE0EEEvT1_,@function
_ZN7rocprim17ROCPRIM_400000_NS6detail17trampoline_kernelINS0_14default_configENS1_29reduce_by_key_config_selectorIxjN6thrust23THRUST_200600_302600_NS4plusIjEEEEZZNS1_33reduce_by_key_impl_wrapped_configILNS1_25lookback_scan_determinismE0ES3_S9_NS6_6detail15normal_iteratorINS6_10device_ptrIxEEEENSD_INSE_IjEEEESG_SI_PmS8_NS6_8equal_toIxEEEE10hipError_tPvRmT2_T3_mT4_T5_T6_T7_T8_P12ihipStream_tbENKUlT_T0_E_clISt17integral_constantIbLb0EES13_EEDaSY_SZ_EUlSY_E_NS1_11comp_targetILNS1_3genE3ELNS1_11target_archE908ELNS1_3gpuE7ELNS1_3repE0EEENS1_30default_config_static_selectorELNS0_4arch9wavefront6targetE0EEEvT1_: ; @_ZN7rocprim17ROCPRIM_400000_NS6detail17trampoline_kernelINS0_14default_configENS1_29reduce_by_key_config_selectorIxjN6thrust23THRUST_200600_302600_NS4plusIjEEEEZZNS1_33reduce_by_key_impl_wrapped_configILNS1_25lookback_scan_determinismE0ES3_S9_NS6_6detail15normal_iteratorINS6_10device_ptrIxEEEENSD_INSE_IjEEEESG_SI_PmS8_NS6_8equal_toIxEEEE10hipError_tPvRmT2_T3_mT4_T5_T6_T7_T8_P12ihipStream_tbENKUlT_T0_E_clISt17integral_constantIbLb0EES13_EEDaSY_SZ_EUlSY_E_NS1_11comp_targetILNS1_3genE3ELNS1_11target_archE908ELNS1_3gpuE7ELNS1_3repE0EEENS1_30default_config_static_selectorELNS0_4arch9wavefront6targetE0EEEvT1_
; %bb.0:
	.section	.rodata,"a",@progbits
	.p2align	6, 0x0
	.amdhsa_kernel _ZN7rocprim17ROCPRIM_400000_NS6detail17trampoline_kernelINS0_14default_configENS1_29reduce_by_key_config_selectorIxjN6thrust23THRUST_200600_302600_NS4plusIjEEEEZZNS1_33reduce_by_key_impl_wrapped_configILNS1_25lookback_scan_determinismE0ES3_S9_NS6_6detail15normal_iteratorINS6_10device_ptrIxEEEENSD_INSE_IjEEEESG_SI_PmS8_NS6_8equal_toIxEEEE10hipError_tPvRmT2_T3_mT4_T5_T6_T7_T8_P12ihipStream_tbENKUlT_T0_E_clISt17integral_constantIbLb0EES13_EEDaSY_SZ_EUlSY_E_NS1_11comp_targetILNS1_3genE3ELNS1_11target_archE908ELNS1_3gpuE7ELNS1_3repE0EEENS1_30default_config_static_selectorELNS0_4arch9wavefront6targetE0EEEvT1_
		.amdhsa_group_segment_fixed_size 0
		.amdhsa_private_segment_fixed_size 0
		.amdhsa_kernarg_size 120
		.amdhsa_user_sgpr_count 15
		.amdhsa_user_sgpr_dispatch_ptr 0
		.amdhsa_user_sgpr_queue_ptr 0
		.amdhsa_user_sgpr_kernarg_segment_ptr 1
		.amdhsa_user_sgpr_dispatch_id 0
		.amdhsa_user_sgpr_private_segment_size 0
		.amdhsa_wavefront_size32 1
		.amdhsa_uses_dynamic_stack 0
		.amdhsa_enable_private_segment 0
		.amdhsa_system_sgpr_workgroup_id_x 1
		.amdhsa_system_sgpr_workgroup_id_y 0
		.amdhsa_system_sgpr_workgroup_id_z 0
		.amdhsa_system_sgpr_workgroup_info 0
		.amdhsa_system_vgpr_workitem_id 0
		.amdhsa_next_free_vgpr 1
		.amdhsa_next_free_sgpr 1
		.amdhsa_reserve_vcc 0
		.amdhsa_float_round_mode_32 0
		.amdhsa_float_round_mode_16_64 0
		.amdhsa_float_denorm_mode_32 3
		.amdhsa_float_denorm_mode_16_64 3
		.amdhsa_dx10_clamp 1
		.amdhsa_ieee_mode 1
		.amdhsa_fp16_overflow 0
		.amdhsa_workgroup_processor_mode 1
		.amdhsa_memory_ordered 1
		.amdhsa_forward_progress 0
		.amdhsa_shared_vgpr_count 0
		.amdhsa_exception_fp_ieee_invalid_op 0
		.amdhsa_exception_fp_denorm_src 0
		.amdhsa_exception_fp_ieee_div_zero 0
		.amdhsa_exception_fp_ieee_overflow 0
		.amdhsa_exception_fp_ieee_underflow 0
		.amdhsa_exception_fp_ieee_inexact 0
		.amdhsa_exception_int_div_zero 0
	.end_amdhsa_kernel
	.section	.text._ZN7rocprim17ROCPRIM_400000_NS6detail17trampoline_kernelINS0_14default_configENS1_29reduce_by_key_config_selectorIxjN6thrust23THRUST_200600_302600_NS4plusIjEEEEZZNS1_33reduce_by_key_impl_wrapped_configILNS1_25lookback_scan_determinismE0ES3_S9_NS6_6detail15normal_iteratorINS6_10device_ptrIxEEEENSD_INSE_IjEEEESG_SI_PmS8_NS6_8equal_toIxEEEE10hipError_tPvRmT2_T3_mT4_T5_T6_T7_T8_P12ihipStream_tbENKUlT_T0_E_clISt17integral_constantIbLb0EES13_EEDaSY_SZ_EUlSY_E_NS1_11comp_targetILNS1_3genE3ELNS1_11target_archE908ELNS1_3gpuE7ELNS1_3repE0EEENS1_30default_config_static_selectorELNS0_4arch9wavefront6targetE0EEEvT1_,"axG",@progbits,_ZN7rocprim17ROCPRIM_400000_NS6detail17trampoline_kernelINS0_14default_configENS1_29reduce_by_key_config_selectorIxjN6thrust23THRUST_200600_302600_NS4plusIjEEEEZZNS1_33reduce_by_key_impl_wrapped_configILNS1_25lookback_scan_determinismE0ES3_S9_NS6_6detail15normal_iteratorINS6_10device_ptrIxEEEENSD_INSE_IjEEEESG_SI_PmS8_NS6_8equal_toIxEEEE10hipError_tPvRmT2_T3_mT4_T5_T6_T7_T8_P12ihipStream_tbENKUlT_T0_E_clISt17integral_constantIbLb0EES13_EEDaSY_SZ_EUlSY_E_NS1_11comp_targetILNS1_3genE3ELNS1_11target_archE908ELNS1_3gpuE7ELNS1_3repE0EEENS1_30default_config_static_selectorELNS0_4arch9wavefront6targetE0EEEvT1_,comdat
.Lfunc_end772:
	.size	_ZN7rocprim17ROCPRIM_400000_NS6detail17trampoline_kernelINS0_14default_configENS1_29reduce_by_key_config_selectorIxjN6thrust23THRUST_200600_302600_NS4plusIjEEEEZZNS1_33reduce_by_key_impl_wrapped_configILNS1_25lookback_scan_determinismE0ES3_S9_NS6_6detail15normal_iteratorINS6_10device_ptrIxEEEENSD_INSE_IjEEEESG_SI_PmS8_NS6_8equal_toIxEEEE10hipError_tPvRmT2_T3_mT4_T5_T6_T7_T8_P12ihipStream_tbENKUlT_T0_E_clISt17integral_constantIbLb0EES13_EEDaSY_SZ_EUlSY_E_NS1_11comp_targetILNS1_3genE3ELNS1_11target_archE908ELNS1_3gpuE7ELNS1_3repE0EEENS1_30default_config_static_selectorELNS0_4arch9wavefront6targetE0EEEvT1_, .Lfunc_end772-_ZN7rocprim17ROCPRIM_400000_NS6detail17trampoline_kernelINS0_14default_configENS1_29reduce_by_key_config_selectorIxjN6thrust23THRUST_200600_302600_NS4plusIjEEEEZZNS1_33reduce_by_key_impl_wrapped_configILNS1_25lookback_scan_determinismE0ES3_S9_NS6_6detail15normal_iteratorINS6_10device_ptrIxEEEENSD_INSE_IjEEEESG_SI_PmS8_NS6_8equal_toIxEEEE10hipError_tPvRmT2_T3_mT4_T5_T6_T7_T8_P12ihipStream_tbENKUlT_T0_E_clISt17integral_constantIbLb0EES13_EEDaSY_SZ_EUlSY_E_NS1_11comp_targetILNS1_3genE3ELNS1_11target_archE908ELNS1_3gpuE7ELNS1_3repE0EEENS1_30default_config_static_selectorELNS0_4arch9wavefront6targetE0EEEvT1_
                                        ; -- End function
	.section	.AMDGPU.csdata,"",@progbits
; Kernel info:
; codeLenInByte = 0
; NumSgprs: 0
; NumVgprs: 0
; ScratchSize: 0
; MemoryBound: 0
; FloatMode: 240
; IeeeMode: 1
; LDSByteSize: 0 bytes/workgroup (compile time only)
; SGPRBlocks: 0
; VGPRBlocks: 0
; NumSGPRsForWavesPerEU: 1
; NumVGPRsForWavesPerEU: 1
; Occupancy: 16
; WaveLimiterHint : 0
; COMPUTE_PGM_RSRC2:SCRATCH_EN: 0
; COMPUTE_PGM_RSRC2:USER_SGPR: 15
; COMPUTE_PGM_RSRC2:TRAP_HANDLER: 0
; COMPUTE_PGM_RSRC2:TGID_X_EN: 1
; COMPUTE_PGM_RSRC2:TGID_Y_EN: 0
; COMPUTE_PGM_RSRC2:TGID_Z_EN: 0
; COMPUTE_PGM_RSRC2:TIDIG_COMP_CNT: 0
	.section	.text._ZN7rocprim17ROCPRIM_400000_NS6detail17trampoline_kernelINS0_14default_configENS1_29reduce_by_key_config_selectorIxjN6thrust23THRUST_200600_302600_NS4plusIjEEEEZZNS1_33reduce_by_key_impl_wrapped_configILNS1_25lookback_scan_determinismE0ES3_S9_NS6_6detail15normal_iteratorINS6_10device_ptrIxEEEENSD_INSE_IjEEEESG_SI_PmS8_NS6_8equal_toIxEEEE10hipError_tPvRmT2_T3_mT4_T5_T6_T7_T8_P12ihipStream_tbENKUlT_T0_E_clISt17integral_constantIbLb0EES13_EEDaSY_SZ_EUlSY_E_NS1_11comp_targetILNS1_3genE2ELNS1_11target_archE906ELNS1_3gpuE6ELNS1_3repE0EEENS1_30default_config_static_selectorELNS0_4arch9wavefront6targetE0EEEvT1_,"axG",@progbits,_ZN7rocprim17ROCPRIM_400000_NS6detail17trampoline_kernelINS0_14default_configENS1_29reduce_by_key_config_selectorIxjN6thrust23THRUST_200600_302600_NS4plusIjEEEEZZNS1_33reduce_by_key_impl_wrapped_configILNS1_25lookback_scan_determinismE0ES3_S9_NS6_6detail15normal_iteratorINS6_10device_ptrIxEEEENSD_INSE_IjEEEESG_SI_PmS8_NS6_8equal_toIxEEEE10hipError_tPvRmT2_T3_mT4_T5_T6_T7_T8_P12ihipStream_tbENKUlT_T0_E_clISt17integral_constantIbLb0EES13_EEDaSY_SZ_EUlSY_E_NS1_11comp_targetILNS1_3genE2ELNS1_11target_archE906ELNS1_3gpuE6ELNS1_3repE0EEENS1_30default_config_static_selectorELNS0_4arch9wavefront6targetE0EEEvT1_,comdat
	.protected	_ZN7rocprim17ROCPRIM_400000_NS6detail17trampoline_kernelINS0_14default_configENS1_29reduce_by_key_config_selectorIxjN6thrust23THRUST_200600_302600_NS4plusIjEEEEZZNS1_33reduce_by_key_impl_wrapped_configILNS1_25lookback_scan_determinismE0ES3_S9_NS6_6detail15normal_iteratorINS6_10device_ptrIxEEEENSD_INSE_IjEEEESG_SI_PmS8_NS6_8equal_toIxEEEE10hipError_tPvRmT2_T3_mT4_T5_T6_T7_T8_P12ihipStream_tbENKUlT_T0_E_clISt17integral_constantIbLb0EES13_EEDaSY_SZ_EUlSY_E_NS1_11comp_targetILNS1_3genE2ELNS1_11target_archE906ELNS1_3gpuE6ELNS1_3repE0EEENS1_30default_config_static_selectorELNS0_4arch9wavefront6targetE0EEEvT1_ ; -- Begin function _ZN7rocprim17ROCPRIM_400000_NS6detail17trampoline_kernelINS0_14default_configENS1_29reduce_by_key_config_selectorIxjN6thrust23THRUST_200600_302600_NS4plusIjEEEEZZNS1_33reduce_by_key_impl_wrapped_configILNS1_25lookback_scan_determinismE0ES3_S9_NS6_6detail15normal_iteratorINS6_10device_ptrIxEEEENSD_INSE_IjEEEESG_SI_PmS8_NS6_8equal_toIxEEEE10hipError_tPvRmT2_T3_mT4_T5_T6_T7_T8_P12ihipStream_tbENKUlT_T0_E_clISt17integral_constantIbLb0EES13_EEDaSY_SZ_EUlSY_E_NS1_11comp_targetILNS1_3genE2ELNS1_11target_archE906ELNS1_3gpuE6ELNS1_3repE0EEENS1_30default_config_static_selectorELNS0_4arch9wavefront6targetE0EEEvT1_
	.globl	_ZN7rocprim17ROCPRIM_400000_NS6detail17trampoline_kernelINS0_14default_configENS1_29reduce_by_key_config_selectorIxjN6thrust23THRUST_200600_302600_NS4plusIjEEEEZZNS1_33reduce_by_key_impl_wrapped_configILNS1_25lookback_scan_determinismE0ES3_S9_NS6_6detail15normal_iteratorINS6_10device_ptrIxEEEENSD_INSE_IjEEEESG_SI_PmS8_NS6_8equal_toIxEEEE10hipError_tPvRmT2_T3_mT4_T5_T6_T7_T8_P12ihipStream_tbENKUlT_T0_E_clISt17integral_constantIbLb0EES13_EEDaSY_SZ_EUlSY_E_NS1_11comp_targetILNS1_3genE2ELNS1_11target_archE906ELNS1_3gpuE6ELNS1_3repE0EEENS1_30default_config_static_selectorELNS0_4arch9wavefront6targetE0EEEvT1_
	.p2align	8
	.type	_ZN7rocprim17ROCPRIM_400000_NS6detail17trampoline_kernelINS0_14default_configENS1_29reduce_by_key_config_selectorIxjN6thrust23THRUST_200600_302600_NS4plusIjEEEEZZNS1_33reduce_by_key_impl_wrapped_configILNS1_25lookback_scan_determinismE0ES3_S9_NS6_6detail15normal_iteratorINS6_10device_ptrIxEEEENSD_INSE_IjEEEESG_SI_PmS8_NS6_8equal_toIxEEEE10hipError_tPvRmT2_T3_mT4_T5_T6_T7_T8_P12ihipStream_tbENKUlT_T0_E_clISt17integral_constantIbLb0EES13_EEDaSY_SZ_EUlSY_E_NS1_11comp_targetILNS1_3genE2ELNS1_11target_archE906ELNS1_3gpuE6ELNS1_3repE0EEENS1_30default_config_static_selectorELNS0_4arch9wavefront6targetE0EEEvT1_,@function
_ZN7rocprim17ROCPRIM_400000_NS6detail17trampoline_kernelINS0_14default_configENS1_29reduce_by_key_config_selectorIxjN6thrust23THRUST_200600_302600_NS4plusIjEEEEZZNS1_33reduce_by_key_impl_wrapped_configILNS1_25lookback_scan_determinismE0ES3_S9_NS6_6detail15normal_iteratorINS6_10device_ptrIxEEEENSD_INSE_IjEEEESG_SI_PmS8_NS6_8equal_toIxEEEE10hipError_tPvRmT2_T3_mT4_T5_T6_T7_T8_P12ihipStream_tbENKUlT_T0_E_clISt17integral_constantIbLb0EES13_EEDaSY_SZ_EUlSY_E_NS1_11comp_targetILNS1_3genE2ELNS1_11target_archE906ELNS1_3gpuE6ELNS1_3repE0EEENS1_30default_config_static_selectorELNS0_4arch9wavefront6targetE0EEEvT1_: ; @_ZN7rocprim17ROCPRIM_400000_NS6detail17trampoline_kernelINS0_14default_configENS1_29reduce_by_key_config_selectorIxjN6thrust23THRUST_200600_302600_NS4plusIjEEEEZZNS1_33reduce_by_key_impl_wrapped_configILNS1_25lookback_scan_determinismE0ES3_S9_NS6_6detail15normal_iteratorINS6_10device_ptrIxEEEENSD_INSE_IjEEEESG_SI_PmS8_NS6_8equal_toIxEEEE10hipError_tPvRmT2_T3_mT4_T5_T6_T7_T8_P12ihipStream_tbENKUlT_T0_E_clISt17integral_constantIbLb0EES13_EEDaSY_SZ_EUlSY_E_NS1_11comp_targetILNS1_3genE2ELNS1_11target_archE906ELNS1_3gpuE6ELNS1_3repE0EEENS1_30default_config_static_selectorELNS0_4arch9wavefront6targetE0EEEvT1_
; %bb.0:
	.section	.rodata,"a",@progbits
	.p2align	6, 0x0
	.amdhsa_kernel _ZN7rocprim17ROCPRIM_400000_NS6detail17trampoline_kernelINS0_14default_configENS1_29reduce_by_key_config_selectorIxjN6thrust23THRUST_200600_302600_NS4plusIjEEEEZZNS1_33reduce_by_key_impl_wrapped_configILNS1_25lookback_scan_determinismE0ES3_S9_NS6_6detail15normal_iteratorINS6_10device_ptrIxEEEENSD_INSE_IjEEEESG_SI_PmS8_NS6_8equal_toIxEEEE10hipError_tPvRmT2_T3_mT4_T5_T6_T7_T8_P12ihipStream_tbENKUlT_T0_E_clISt17integral_constantIbLb0EES13_EEDaSY_SZ_EUlSY_E_NS1_11comp_targetILNS1_3genE2ELNS1_11target_archE906ELNS1_3gpuE6ELNS1_3repE0EEENS1_30default_config_static_selectorELNS0_4arch9wavefront6targetE0EEEvT1_
		.amdhsa_group_segment_fixed_size 0
		.amdhsa_private_segment_fixed_size 0
		.amdhsa_kernarg_size 120
		.amdhsa_user_sgpr_count 15
		.amdhsa_user_sgpr_dispatch_ptr 0
		.amdhsa_user_sgpr_queue_ptr 0
		.amdhsa_user_sgpr_kernarg_segment_ptr 1
		.amdhsa_user_sgpr_dispatch_id 0
		.amdhsa_user_sgpr_private_segment_size 0
		.amdhsa_wavefront_size32 1
		.amdhsa_uses_dynamic_stack 0
		.amdhsa_enable_private_segment 0
		.amdhsa_system_sgpr_workgroup_id_x 1
		.amdhsa_system_sgpr_workgroup_id_y 0
		.amdhsa_system_sgpr_workgroup_id_z 0
		.amdhsa_system_sgpr_workgroup_info 0
		.amdhsa_system_vgpr_workitem_id 0
		.amdhsa_next_free_vgpr 1
		.amdhsa_next_free_sgpr 1
		.amdhsa_reserve_vcc 0
		.amdhsa_float_round_mode_32 0
		.amdhsa_float_round_mode_16_64 0
		.amdhsa_float_denorm_mode_32 3
		.amdhsa_float_denorm_mode_16_64 3
		.amdhsa_dx10_clamp 1
		.amdhsa_ieee_mode 1
		.amdhsa_fp16_overflow 0
		.amdhsa_workgroup_processor_mode 1
		.amdhsa_memory_ordered 1
		.amdhsa_forward_progress 0
		.amdhsa_shared_vgpr_count 0
		.amdhsa_exception_fp_ieee_invalid_op 0
		.amdhsa_exception_fp_denorm_src 0
		.amdhsa_exception_fp_ieee_div_zero 0
		.amdhsa_exception_fp_ieee_overflow 0
		.amdhsa_exception_fp_ieee_underflow 0
		.amdhsa_exception_fp_ieee_inexact 0
		.amdhsa_exception_int_div_zero 0
	.end_amdhsa_kernel
	.section	.text._ZN7rocprim17ROCPRIM_400000_NS6detail17trampoline_kernelINS0_14default_configENS1_29reduce_by_key_config_selectorIxjN6thrust23THRUST_200600_302600_NS4plusIjEEEEZZNS1_33reduce_by_key_impl_wrapped_configILNS1_25lookback_scan_determinismE0ES3_S9_NS6_6detail15normal_iteratorINS6_10device_ptrIxEEEENSD_INSE_IjEEEESG_SI_PmS8_NS6_8equal_toIxEEEE10hipError_tPvRmT2_T3_mT4_T5_T6_T7_T8_P12ihipStream_tbENKUlT_T0_E_clISt17integral_constantIbLb0EES13_EEDaSY_SZ_EUlSY_E_NS1_11comp_targetILNS1_3genE2ELNS1_11target_archE906ELNS1_3gpuE6ELNS1_3repE0EEENS1_30default_config_static_selectorELNS0_4arch9wavefront6targetE0EEEvT1_,"axG",@progbits,_ZN7rocprim17ROCPRIM_400000_NS6detail17trampoline_kernelINS0_14default_configENS1_29reduce_by_key_config_selectorIxjN6thrust23THRUST_200600_302600_NS4plusIjEEEEZZNS1_33reduce_by_key_impl_wrapped_configILNS1_25lookback_scan_determinismE0ES3_S9_NS6_6detail15normal_iteratorINS6_10device_ptrIxEEEENSD_INSE_IjEEEESG_SI_PmS8_NS6_8equal_toIxEEEE10hipError_tPvRmT2_T3_mT4_T5_T6_T7_T8_P12ihipStream_tbENKUlT_T0_E_clISt17integral_constantIbLb0EES13_EEDaSY_SZ_EUlSY_E_NS1_11comp_targetILNS1_3genE2ELNS1_11target_archE906ELNS1_3gpuE6ELNS1_3repE0EEENS1_30default_config_static_selectorELNS0_4arch9wavefront6targetE0EEEvT1_,comdat
.Lfunc_end773:
	.size	_ZN7rocprim17ROCPRIM_400000_NS6detail17trampoline_kernelINS0_14default_configENS1_29reduce_by_key_config_selectorIxjN6thrust23THRUST_200600_302600_NS4plusIjEEEEZZNS1_33reduce_by_key_impl_wrapped_configILNS1_25lookback_scan_determinismE0ES3_S9_NS6_6detail15normal_iteratorINS6_10device_ptrIxEEEENSD_INSE_IjEEEESG_SI_PmS8_NS6_8equal_toIxEEEE10hipError_tPvRmT2_T3_mT4_T5_T6_T7_T8_P12ihipStream_tbENKUlT_T0_E_clISt17integral_constantIbLb0EES13_EEDaSY_SZ_EUlSY_E_NS1_11comp_targetILNS1_3genE2ELNS1_11target_archE906ELNS1_3gpuE6ELNS1_3repE0EEENS1_30default_config_static_selectorELNS0_4arch9wavefront6targetE0EEEvT1_, .Lfunc_end773-_ZN7rocprim17ROCPRIM_400000_NS6detail17trampoline_kernelINS0_14default_configENS1_29reduce_by_key_config_selectorIxjN6thrust23THRUST_200600_302600_NS4plusIjEEEEZZNS1_33reduce_by_key_impl_wrapped_configILNS1_25lookback_scan_determinismE0ES3_S9_NS6_6detail15normal_iteratorINS6_10device_ptrIxEEEENSD_INSE_IjEEEESG_SI_PmS8_NS6_8equal_toIxEEEE10hipError_tPvRmT2_T3_mT4_T5_T6_T7_T8_P12ihipStream_tbENKUlT_T0_E_clISt17integral_constantIbLb0EES13_EEDaSY_SZ_EUlSY_E_NS1_11comp_targetILNS1_3genE2ELNS1_11target_archE906ELNS1_3gpuE6ELNS1_3repE0EEENS1_30default_config_static_selectorELNS0_4arch9wavefront6targetE0EEEvT1_
                                        ; -- End function
	.section	.AMDGPU.csdata,"",@progbits
; Kernel info:
; codeLenInByte = 0
; NumSgprs: 0
; NumVgprs: 0
; ScratchSize: 0
; MemoryBound: 0
; FloatMode: 240
; IeeeMode: 1
; LDSByteSize: 0 bytes/workgroup (compile time only)
; SGPRBlocks: 0
; VGPRBlocks: 0
; NumSGPRsForWavesPerEU: 1
; NumVGPRsForWavesPerEU: 1
; Occupancy: 16
; WaveLimiterHint : 0
; COMPUTE_PGM_RSRC2:SCRATCH_EN: 0
; COMPUTE_PGM_RSRC2:USER_SGPR: 15
; COMPUTE_PGM_RSRC2:TRAP_HANDLER: 0
; COMPUTE_PGM_RSRC2:TGID_X_EN: 1
; COMPUTE_PGM_RSRC2:TGID_Y_EN: 0
; COMPUTE_PGM_RSRC2:TGID_Z_EN: 0
; COMPUTE_PGM_RSRC2:TIDIG_COMP_CNT: 0
	.section	.text._ZN7rocprim17ROCPRIM_400000_NS6detail17trampoline_kernelINS0_14default_configENS1_29reduce_by_key_config_selectorIxjN6thrust23THRUST_200600_302600_NS4plusIjEEEEZZNS1_33reduce_by_key_impl_wrapped_configILNS1_25lookback_scan_determinismE0ES3_S9_NS6_6detail15normal_iteratorINS6_10device_ptrIxEEEENSD_INSE_IjEEEESG_SI_PmS8_NS6_8equal_toIxEEEE10hipError_tPvRmT2_T3_mT4_T5_T6_T7_T8_P12ihipStream_tbENKUlT_T0_E_clISt17integral_constantIbLb0EES13_EEDaSY_SZ_EUlSY_E_NS1_11comp_targetILNS1_3genE10ELNS1_11target_archE1201ELNS1_3gpuE5ELNS1_3repE0EEENS1_30default_config_static_selectorELNS0_4arch9wavefront6targetE0EEEvT1_,"axG",@progbits,_ZN7rocprim17ROCPRIM_400000_NS6detail17trampoline_kernelINS0_14default_configENS1_29reduce_by_key_config_selectorIxjN6thrust23THRUST_200600_302600_NS4plusIjEEEEZZNS1_33reduce_by_key_impl_wrapped_configILNS1_25lookback_scan_determinismE0ES3_S9_NS6_6detail15normal_iteratorINS6_10device_ptrIxEEEENSD_INSE_IjEEEESG_SI_PmS8_NS6_8equal_toIxEEEE10hipError_tPvRmT2_T3_mT4_T5_T6_T7_T8_P12ihipStream_tbENKUlT_T0_E_clISt17integral_constantIbLb0EES13_EEDaSY_SZ_EUlSY_E_NS1_11comp_targetILNS1_3genE10ELNS1_11target_archE1201ELNS1_3gpuE5ELNS1_3repE0EEENS1_30default_config_static_selectorELNS0_4arch9wavefront6targetE0EEEvT1_,comdat
	.protected	_ZN7rocprim17ROCPRIM_400000_NS6detail17trampoline_kernelINS0_14default_configENS1_29reduce_by_key_config_selectorIxjN6thrust23THRUST_200600_302600_NS4plusIjEEEEZZNS1_33reduce_by_key_impl_wrapped_configILNS1_25lookback_scan_determinismE0ES3_S9_NS6_6detail15normal_iteratorINS6_10device_ptrIxEEEENSD_INSE_IjEEEESG_SI_PmS8_NS6_8equal_toIxEEEE10hipError_tPvRmT2_T3_mT4_T5_T6_T7_T8_P12ihipStream_tbENKUlT_T0_E_clISt17integral_constantIbLb0EES13_EEDaSY_SZ_EUlSY_E_NS1_11comp_targetILNS1_3genE10ELNS1_11target_archE1201ELNS1_3gpuE5ELNS1_3repE0EEENS1_30default_config_static_selectorELNS0_4arch9wavefront6targetE0EEEvT1_ ; -- Begin function _ZN7rocprim17ROCPRIM_400000_NS6detail17trampoline_kernelINS0_14default_configENS1_29reduce_by_key_config_selectorIxjN6thrust23THRUST_200600_302600_NS4plusIjEEEEZZNS1_33reduce_by_key_impl_wrapped_configILNS1_25lookback_scan_determinismE0ES3_S9_NS6_6detail15normal_iteratorINS6_10device_ptrIxEEEENSD_INSE_IjEEEESG_SI_PmS8_NS6_8equal_toIxEEEE10hipError_tPvRmT2_T3_mT4_T5_T6_T7_T8_P12ihipStream_tbENKUlT_T0_E_clISt17integral_constantIbLb0EES13_EEDaSY_SZ_EUlSY_E_NS1_11comp_targetILNS1_3genE10ELNS1_11target_archE1201ELNS1_3gpuE5ELNS1_3repE0EEENS1_30default_config_static_selectorELNS0_4arch9wavefront6targetE0EEEvT1_
	.globl	_ZN7rocprim17ROCPRIM_400000_NS6detail17trampoline_kernelINS0_14default_configENS1_29reduce_by_key_config_selectorIxjN6thrust23THRUST_200600_302600_NS4plusIjEEEEZZNS1_33reduce_by_key_impl_wrapped_configILNS1_25lookback_scan_determinismE0ES3_S9_NS6_6detail15normal_iteratorINS6_10device_ptrIxEEEENSD_INSE_IjEEEESG_SI_PmS8_NS6_8equal_toIxEEEE10hipError_tPvRmT2_T3_mT4_T5_T6_T7_T8_P12ihipStream_tbENKUlT_T0_E_clISt17integral_constantIbLb0EES13_EEDaSY_SZ_EUlSY_E_NS1_11comp_targetILNS1_3genE10ELNS1_11target_archE1201ELNS1_3gpuE5ELNS1_3repE0EEENS1_30default_config_static_selectorELNS0_4arch9wavefront6targetE0EEEvT1_
	.p2align	8
	.type	_ZN7rocprim17ROCPRIM_400000_NS6detail17trampoline_kernelINS0_14default_configENS1_29reduce_by_key_config_selectorIxjN6thrust23THRUST_200600_302600_NS4plusIjEEEEZZNS1_33reduce_by_key_impl_wrapped_configILNS1_25lookback_scan_determinismE0ES3_S9_NS6_6detail15normal_iteratorINS6_10device_ptrIxEEEENSD_INSE_IjEEEESG_SI_PmS8_NS6_8equal_toIxEEEE10hipError_tPvRmT2_T3_mT4_T5_T6_T7_T8_P12ihipStream_tbENKUlT_T0_E_clISt17integral_constantIbLb0EES13_EEDaSY_SZ_EUlSY_E_NS1_11comp_targetILNS1_3genE10ELNS1_11target_archE1201ELNS1_3gpuE5ELNS1_3repE0EEENS1_30default_config_static_selectorELNS0_4arch9wavefront6targetE0EEEvT1_,@function
_ZN7rocprim17ROCPRIM_400000_NS6detail17trampoline_kernelINS0_14default_configENS1_29reduce_by_key_config_selectorIxjN6thrust23THRUST_200600_302600_NS4plusIjEEEEZZNS1_33reduce_by_key_impl_wrapped_configILNS1_25lookback_scan_determinismE0ES3_S9_NS6_6detail15normal_iteratorINS6_10device_ptrIxEEEENSD_INSE_IjEEEESG_SI_PmS8_NS6_8equal_toIxEEEE10hipError_tPvRmT2_T3_mT4_T5_T6_T7_T8_P12ihipStream_tbENKUlT_T0_E_clISt17integral_constantIbLb0EES13_EEDaSY_SZ_EUlSY_E_NS1_11comp_targetILNS1_3genE10ELNS1_11target_archE1201ELNS1_3gpuE5ELNS1_3repE0EEENS1_30default_config_static_selectorELNS0_4arch9wavefront6targetE0EEEvT1_: ; @_ZN7rocprim17ROCPRIM_400000_NS6detail17trampoline_kernelINS0_14default_configENS1_29reduce_by_key_config_selectorIxjN6thrust23THRUST_200600_302600_NS4plusIjEEEEZZNS1_33reduce_by_key_impl_wrapped_configILNS1_25lookback_scan_determinismE0ES3_S9_NS6_6detail15normal_iteratorINS6_10device_ptrIxEEEENSD_INSE_IjEEEESG_SI_PmS8_NS6_8equal_toIxEEEE10hipError_tPvRmT2_T3_mT4_T5_T6_T7_T8_P12ihipStream_tbENKUlT_T0_E_clISt17integral_constantIbLb0EES13_EEDaSY_SZ_EUlSY_E_NS1_11comp_targetILNS1_3genE10ELNS1_11target_archE1201ELNS1_3gpuE5ELNS1_3repE0EEENS1_30default_config_static_selectorELNS0_4arch9wavefront6targetE0EEEvT1_
; %bb.0:
	.section	.rodata,"a",@progbits
	.p2align	6, 0x0
	.amdhsa_kernel _ZN7rocprim17ROCPRIM_400000_NS6detail17trampoline_kernelINS0_14default_configENS1_29reduce_by_key_config_selectorIxjN6thrust23THRUST_200600_302600_NS4plusIjEEEEZZNS1_33reduce_by_key_impl_wrapped_configILNS1_25lookback_scan_determinismE0ES3_S9_NS6_6detail15normal_iteratorINS6_10device_ptrIxEEEENSD_INSE_IjEEEESG_SI_PmS8_NS6_8equal_toIxEEEE10hipError_tPvRmT2_T3_mT4_T5_T6_T7_T8_P12ihipStream_tbENKUlT_T0_E_clISt17integral_constantIbLb0EES13_EEDaSY_SZ_EUlSY_E_NS1_11comp_targetILNS1_3genE10ELNS1_11target_archE1201ELNS1_3gpuE5ELNS1_3repE0EEENS1_30default_config_static_selectorELNS0_4arch9wavefront6targetE0EEEvT1_
		.amdhsa_group_segment_fixed_size 0
		.amdhsa_private_segment_fixed_size 0
		.amdhsa_kernarg_size 120
		.amdhsa_user_sgpr_count 15
		.amdhsa_user_sgpr_dispatch_ptr 0
		.amdhsa_user_sgpr_queue_ptr 0
		.amdhsa_user_sgpr_kernarg_segment_ptr 1
		.amdhsa_user_sgpr_dispatch_id 0
		.amdhsa_user_sgpr_private_segment_size 0
		.amdhsa_wavefront_size32 1
		.amdhsa_uses_dynamic_stack 0
		.amdhsa_enable_private_segment 0
		.amdhsa_system_sgpr_workgroup_id_x 1
		.amdhsa_system_sgpr_workgroup_id_y 0
		.amdhsa_system_sgpr_workgroup_id_z 0
		.amdhsa_system_sgpr_workgroup_info 0
		.amdhsa_system_vgpr_workitem_id 0
		.amdhsa_next_free_vgpr 1
		.amdhsa_next_free_sgpr 1
		.amdhsa_reserve_vcc 0
		.amdhsa_float_round_mode_32 0
		.amdhsa_float_round_mode_16_64 0
		.amdhsa_float_denorm_mode_32 3
		.amdhsa_float_denorm_mode_16_64 3
		.amdhsa_dx10_clamp 1
		.amdhsa_ieee_mode 1
		.amdhsa_fp16_overflow 0
		.amdhsa_workgroup_processor_mode 1
		.amdhsa_memory_ordered 1
		.amdhsa_forward_progress 0
		.amdhsa_shared_vgpr_count 0
		.amdhsa_exception_fp_ieee_invalid_op 0
		.amdhsa_exception_fp_denorm_src 0
		.amdhsa_exception_fp_ieee_div_zero 0
		.amdhsa_exception_fp_ieee_overflow 0
		.amdhsa_exception_fp_ieee_underflow 0
		.amdhsa_exception_fp_ieee_inexact 0
		.amdhsa_exception_int_div_zero 0
	.end_amdhsa_kernel
	.section	.text._ZN7rocprim17ROCPRIM_400000_NS6detail17trampoline_kernelINS0_14default_configENS1_29reduce_by_key_config_selectorIxjN6thrust23THRUST_200600_302600_NS4plusIjEEEEZZNS1_33reduce_by_key_impl_wrapped_configILNS1_25lookback_scan_determinismE0ES3_S9_NS6_6detail15normal_iteratorINS6_10device_ptrIxEEEENSD_INSE_IjEEEESG_SI_PmS8_NS6_8equal_toIxEEEE10hipError_tPvRmT2_T3_mT4_T5_T6_T7_T8_P12ihipStream_tbENKUlT_T0_E_clISt17integral_constantIbLb0EES13_EEDaSY_SZ_EUlSY_E_NS1_11comp_targetILNS1_3genE10ELNS1_11target_archE1201ELNS1_3gpuE5ELNS1_3repE0EEENS1_30default_config_static_selectorELNS0_4arch9wavefront6targetE0EEEvT1_,"axG",@progbits,_ZN7rocprim17ROCPRIM_400000_NS6detail17trampoline_kernelINS0_14default_configENS1_29reduce_by_key_config_selectorIxjN6thrust23THRUST_200600_302600_NS4plusIjEEEEZZNS1_33reduce_by_key_impl_wrapped_configILNS1_25lookback_scan_determinismE0ES3_S9_NS6_6detail15normal_iteratorINS6_10device_ptrIxEEEENSD_INSE_IjEEEESG_SI_PmS8_NS6_8equal_toIxEEEE10hipError_tPvRmT2_T3_mT4_T5_T6_T7_T8_P12ihipStream_tbENKUlT_T0_E_clISt17integral_constantIbLb0EES13_EEDaSY_SZ_EUlSY_E_NS1_11comp_targetILNS1_3genE10ELNS1_11target_archE1201ELNS1_3gpuE5ELNS1_3repE0EEENS1_30default_config_static_selectorELNS0_4arch9wavefront6targetE0EEEvT1_,comdat
.Lfunc_end774:
	.size	_ZN7rocprim17ROCPRIM_400000_NS6detail17trampoline_kernelINS0_14default_configENS1_29reduce_by_key_config_selectorIxjN6thrust23THRUST_200600_302600_NS4plusIjEEEEZZNS1_33reduce_by_key_impl_wrapped_configILNS1_25lookback_scan_determinismE0ES3_S9_NS6_6detail15normal_iteratorINS6_10device_ptrIxEEEENSD_INSE_IjEEEESG_SI_PmS8_NS6_8equal_toIxEEEE10hipError_tPvRmT2_T3_mT4_T5_T6_T7_T8_P12ihipStream_tbENKUlT_T0_E_clISt17integral_constantIbLb0EES13_EEDaSY_SZ_EUlSY_E_NS1_11comp_targetILNS1_3genE10ELNS1_11target_archE1201ELNS1_3gpuE5ELNS1_3repE0EEENS1_30default_config_static_selectorELNS0_4arch9wavefront6targetE0EEEvT1_, .Lfunc_end774-_ZN7rocprim17ROCPRIM_400000_NS6detail17trampoline_kernelINS0_14default_configENS1_29reduce_by_key_config_selectorIxjN6thrust23THRUST_200600_302600_NS4plusIjEEEEZZNS1_33reduce_by_key_impl_wrapped_configILNS1_25lookback_scan_determinismE0ES3_S9_NS6_6detail15normal_iteratorINS6_10device_ptrIxEEEENSD_INSE_IjEEEESG_SI_PmS8_NS6_8equal_toIxEEEE10hipError_tPvRmT2_T3_mT4_T5_T6_T7_T8_P12ihipStream_tbENKUlT_T0_E_clISt17integral_constantIbLb0EES13_EEDaSY_SZ_EUlSY_E_NS1_11comp_targetILNS1_3genE10ELNS1_11target_archE1201ELNS1_3gpuE5ELNS1_3repE0EEENS1_30default_config_static_selectorELNS0_4arch9wavefront6targetE0EEEvT1_
                                        ; -- End function
	.section	.AMDGPU.csdata,"",@progbits
; Kernel info:
; codeLenInByte = 0
; NumSgprs: 0
; NumVgprs: 0
; ScratchSize: 0
; MemoryBound: 0
; FloatMode: 240
; IeeeMode: 1
; LDSByteSize: 0 bytes/workgroup (compile time only)
; SGPRBlocks: 0
; VGPRBlocks: 0
; NumSGPRsForWavesPerEU: 1
; NumVGPRsForWavesPerEU: 1
; Occupancy: 16
; WaveLimiterHint : 0
; COMPUTE_PGM_RSRC2:SCRATCH_EN: 0
; COMPUTE_PGM_RSRC2:USER_SGPR: 15
; COMPUTE_PGM_RSRC2:TRAP_HANDLER: 0
; COMPUTE_PGM_RSRC2:TGID_X_EN: 1
; COMPUTE_PGM_RSRC2:TGID_Y_EN: 0
; COMPUTE_PGM_RSRC2:TGID_Z_EN: 0
; COMPUTE_PGM_RSRC2:TIDIG_COMP_CNT: 0
	.section	.text._ZN7rocprim17ROCPRIM_400000_NS6detail17trampoline_kernelINS0_14default_configENS1_29reduce_by_key_config_selectorIxjN6thrust23THRUST_200600_302600_NS4plusIjEEEEZZNS1_33reduce_by_key_impl_wrapped_configILNS1_25lookback_scan_determinismE0ES3_S9_NS6_6detail15normal_iteratorINS6_10device_ptrIxEEEENSD_INSE_IjEEEESG_SI_PmS8_NS6_8equal_toIxEEEE10hipError_tPvRmT2_T3_mT4_T5_T6_T7_T8_P12ihipStream_tbENKUlT_T0_E_clISt17integral_constantIbLb0EES13_EEDaSY_SZ_EUlSY_E_NS1_11comp_targetILNS1_3genE10ELNS1_11target_archE1200ELNS1_3gpuE4ELNS1_3repE0EEENS1_30default_config_static_selectorELNS0_4arch9wavefront6targetE0EEEvT1_,"axG",@progbits,_ZN7rocprim17ROCPRIM_400000_NS6detail17trampoline_kernelINS0_14default_configENS1_29reduce_by_key_config_selectorIxjN6thrust23THRUST_200600_302600_NS4plusIjEEEEZZNS1_33reduce_by_key_impl_wrapped_configILNS1_25lookback_scan_determinismE0ES3_S9_NS6_6detail15normal_iteratorINS6_10device_ptrIxEEEENSD_INSE_IjEEEESG_SI_PmS8_NS6_8equal_toIxEEEE10hipError_tPvRmT2_T3_mT4_T5_T6_T7_T8_P12ihipStream_tbENKUlT_T0_E_clISt17integral_constantIbLb0EES13_EEDaSY_SZ_EUlSY_E_NS1_11comp_targetILNS1_3genE10ELNS1_11target_archE1200ELNS1_3gpuE4ELNS1_3repE0EEENS1_30default_config_static_selectorELNS0_4arch9wavefront6targetE0EEEvT1_,comdat
	.protected	_ZN7rocprim17ROCPRIM_400000_NS6detail17trampoline_kernelINS0_14default_configENS1_29reduce_by_key_config_selectorIxjN6thrust23THRUST_200600_302600_NS4plusIjEEEEZZNS1_33reduce_by_key_impl_wrapped_configILNS1_25lookback_scan_determinismE0ES3_S9_NS6_6detail15normal_iteratorINS6_10device_ptrIxEEEENSD_INSE_IjEEEESG_SI_PmS8_NS6_8equal_toIxEEEE10hipError_tPvRmT2_T3_mT4_T5_T6_T7_T8_P12ihipStream_tbENKUlT_T0_E_clISt17integral_constantIbLb0EES13_EEDaSY_SZ_EUlSY_E_NS1_11comp_targetILNS1_3genE10ELNS1_11target_archE1200ELNS1_3gpuE4ELNS1_3repE0EEENS1_30default_config_static_selectorELNS0_4arch9wavefront6targetE0EEEvT1_ ; -- Begin function _ZN7rocprim17ROCPRIM_400000_NS6detail17trampoline_kernelINS0_14default_configENS1_29reduce_by_key_config_selectorIxjN6thrust23THRUST_200600_302600_NS4plusIjEEEEZZNS1_33reduce_by_key_impl_wrapped_configILNS1_25lookback_scan_determinismE0ES3_S9_NS6_6detail15normal_iteratorINS6_10device_ptrIxEEEENSD_INSE_IjEEEESG_SI_PmS8_NS6_8equal_toIxEEEE10hipError_tPvRmT2_T3_mT4_T5_T6_T7_T8_P12ihipStream_tbENKUlT_T0_E_clISt17integral_constantIbLb0EES13_EEDaSY_SZ_EUlSY_E_NS1_11comp_targetILNS1_3genE10ELNS1_11target_archE1200ELNS1_3gpuE4ELNS1_3repE0EEENS1_30default_config_static_selectorELNS0_4arch9wavefront6targetE0EEEvT1_
	.globl	_ZN7rocprim17ROCPRIM_400000_NS6detail17trampoline_kernelINS0_14default_configENS1_29reduce_by_key_config_selectorIxjN6thrust23THRUST_200600_302600_NS4plusIjEEEEZZNS1_33reduce_by_key_impl_wrapped_configILNS1_25lookback_scan_determinismE0ES3_S9_NS6_6detail15normal_iteratorINS6_10device_ptrIxEEEENSD_INSE_IjEEEESG_SI_PmS8_NS6_8equal_toIxEEEE10hipError_tPvRmT2_T3_mT4_T5_T6_T7_T8_P12ihipStream_tbENKUlT_T0_E_clISt17integral_constantIbLb0EES13_EEDaSY_SZ_EUlSY_E_NS1_11comp_targetILNS1_3genE10ELNS1_11target_archE1200ELNS1_3gpuE4ELNS1_3repE0EEENS1_30default_config_static_selectorELNS0_4arch9wavefront6targetE0EEEvT1_
	.p2align	8
	.type	_ZN7rocprim17ROCPRIM_400000_NS6detail17trampoline_kernelINS0_14default_configENS1_29reduce_by_key_config_selectorIxjN6thrust23THRUST_200600_302600_NS4plusIjEEEEZZNS1_33reduce_by_key_impl_wrapped_configILNS1_25lookback_scan_determinismE0ES3_S9_NS6_6detail15normal_iteratorINS6_10device_ptrIxEEEENSD_INSE_IjEEEESG_SI_PmS8_NS6_8equal_toIxEEEE10hipError_tPvRmT2_T3_mT4_T5_T6_T7_T8_P12ihipStream_tbENKUlT_T0_E_clISt17integral_constantIbLb0EES13_EEDaSY_SZ_EUlSY_E_NS1_11comp_targetILNS1_3genE10ELNS1_11target_archE1200ELNS1_3gpuE4ELNS1_3repE0EEENS1_30default_config_static_selectorELNS0_4arch9wavefront6targetE0EEEvT1_,@function
_ZN7rocprim17ROCPRIM_400000_NS6detail17trampoline_kernelINS0_14default_configENS1_29reduce_by_key_config_selectorIxjN6thrust23THRUST_200600_302600_NS4plusIjEEEEZZNS1_33reduce_by_key_impl_wrapped_configILNS1_25lookback_scan_determinismE0ES3_S9_NS6_6detail15normal_iteratorINS6_10device_ptrIxEEEENSD_INSE_IjEEEESG_SI_PmS8_NS6_8equal_toIxEEEE10hipError_tPvRmT2_T3_mT4_T5_T6_T7_T8_P12ihipStream_tbENKUlT_T0_E_clISt17integral_constantIbLb0EES13_EEDaSY_SZ_EUlSY_E_NS1_11comp_targetILNS1_3genE10ELNS1_11target_archE1200ELNS1_3gpuE4ELNS1_3repE0EEENS1_30default_config_static_selectorELNS0_4arch9wavefront6targetE0EEEvT1_: ; @_ZN7rocprim17ROCPRIM_400000_NS6detail17trampoline_kernelINS0_14default_configENS1_29reduce_by_key_config_selectorIxjN6thrust23THRUST_200600_302600_NS4plusIjEEEEZZNS1_33reduce_by_key_impl_wrapped_configILNS1_25lookback_scan_determinismE0ES3_S9_NS6_6detail15normal_iteratorINS6_10device_ptrIxEEEENSD_INSE_IjEEEESG_SI_PmS8_NS6_8equal_toIxEEEE10hipError_tPvRmT2_T3_mT4_T5_T6_T7_T8_P12ihipStream_tbENKUlT_T0_E_clISt17integral_constantIbLb0EES13_EEDaSY_SZ_EUlSY_E_NS1_11comp_targetILNS1_3genE10ELNS1_11target_archE1200ELNS1_3gpuE4ELNS1_3repE0EEENS1_30default_config_static_selectorELNS0_4arch9wavefront6targetE0EEEvT1_
; %bb.0:
	.section	.rodata,"a",@progbits
	.p2align	6, 0x0
	.amdhsa_kernel _ZN7rocprim17ROCPRIM_400000_NS6detail17trampoline_kernelINS0_14default_configENS1_29reduce_by_key_config_selectorIxjN6thrust23THRUST_200600_302600_NS4plusIjEEEEZZNS1_33reduce_by_key_impl_wrapped_configILNS1_25lookback_scan_determinismE0ES3_S9_NS6_6detail15normal_iteratorINS6_10device_ptrIxEEEENSD_INSE_IjEEEESG_SI_PmS8_NS6_8equal_toIxEEEE10hipError_tPvRmT2_T3_mT4_T5_T6_T7_T8_P12ihipStream_tbENKUlT_T0_E_clISt17integral_constantIbLb0EES13_EEDaSY_SZ_EUlSY_E_NS1_11comp_targetILNS1_3genE10ELNS1_11target_archE1200ELNS1_3gpuE4ELNS1_3repE0EEENS1_30default_config_static_selectorELNS0_4arch9wavefront6targetE0EEEvT1_
		.amdhsa_group_segment_fixed_size 0
		.amdhsa_private_segment_fixed_size 0
		.amdhsa_kernarg_size 120
		.amdhsa_user_sgpr_count 15
		.amdhsa_user_sgpr_dispatch_ptr 0
		.amdhsa_user_sgpr_queue_ptr 0
		.amdhsa_user_sgpr_kernarg_segment_ptr 1
		.amdhsa_user_sgpr_dispatch_id 0
		.amdhsa_user_sgpr_private_segment_size 0
		.amdhsa_wavefront_size32 1
		.amdhsa_uses_dynamic_stack 0
		.amdhsa_enable_private_segment 0
		.amdhsa_system_sgpr_workgroup_id_x 1
		.amdhsa_system_sgpr_workgroup_id_y 0
		.amdhsa_system_sgpr_workgroup_id_z 0
		.amdhsa_system_sgpr_workgroup_info 0
		.amdhsa_system_vgpr_workitem_id 0
		.amdhsa_next_free_vgpr 1
		.amdhsa_next_free_sgpr 1
		.amdhsa_reserve_vcc 0
		.amdhsa_float_round_mode_32 0
		.amdhsa_float_round_mode_16_64 0
		.amdhsa_float_denorm_mode_32 3
		.amdhsa_float_denorm_mode_16_64 3
		.amdhsa_dx10_clamp 1
		.amdhsa_ieee_mode 1
		.amdhsa_fp16_overflow 0
		.amdhsa_workgroup_processor_mode 1
		.amdhsa_memory_ordered 1
		.amdhsa_forward_progress 0
		.amdhsa_shared_vgpr_count 0
		.amdhsa_exception_fp_ieee_invalid_op 0
		.amdhsa_exception_fp_denorm_src 0
		.amdhsa_exception_fp_ieee_div_zero 0
		.amdhsa_exception_fp_ieee_overflow 0
		.amdhsa_exception_fp_ieee_underflow 0
		.amdhsa_exception_fp_ieee_inexact 0
		.amdhsa_exception_int_div_zero 0
	.end_amdhsa_kernel
	.section	.text._ZN7rocprim17ROCPRIM_400000_NS6detail17trampoline_kernelINS0_14default_configENS1_29reduce_by_key_config_selectorIxjN6thrust23THRUST_200600_302600_NS4plusIjEEEEZZNS1_33reduce_by_key_impl_wrapped_configILNS1_25lookback_scan_determinismE0ES3_S9_NS6_6detail15normal_iteratorINS6_10device_ptrIxEEEENSD_INSE_IjEEEESG_SI_PmS8_NS6_8equal_toIxEEEE10hipError_tPvRmT2_T3_mT4_T5_T6_T7_T8_P12ihipStream_tbENKUlT_T0_E_clISt17integral_constantIbLb0EES13_EEDaSY_SZ_EUlSY_E_NS1_11comp_targetILNS1_3genE10ELNS1_11target_archE1200ELNS1_3gpuE4ELNS1_3repE0EEENS1_30default_config_static_selectorELNS0_4arch9wavefront6targetE0EEEvT1_,"axG",@progbits,_ZN7rocprim17ROCPRIM_400000_NS6detail17trampoline_kernelINS0_14default_configENS1_29reduce_by_key_config_selectorIxjN6thrust23THRUST_200600_302600_NS4plusIjEEEEZZNS1_33reduce_by_key_impl_wrapped_configILNS1_25lookback_scan_determinismE0ES3_S9_NS6_6detail15normal_iteratorINS6_10device_ptrIxEEEENSD_INSE_IjEEEESG_SI_PmS8_NS6_8equal_toIxEEEE10hipError_tPvRmT2_T3_mT4_T5_T6_T7_T8_P12ihipStream_tbENKUlT_T0_E_clISt17integral_constantIbLb0EES13_EEDaSY_SZ_EUlSY_E_NS1_11comp_targetILNS1_3genE10ELNS1_11target_archE1200ELNS1_3gpuE4ELNS1_3repE0EEENS1_30default_config_static_selectorELNS0_4arch9wavefront6targetE0EEEvT1_,comdat
.Lfunc_end775:
	.size	_ZN7rocprim17ROCPRIM_400000_NS6detail17trampoline_kernelINS0_14default_configENS1_29reduce_by_key_config_selectorIxjN6thrust23THRUST_200600_302600_NS4plusIjEEEEZZNS1_33reduce_by_key_impl_wrapped_configILNS1_25lookback_scan_determinismE0ES3_S9_NS6_6detail15normal_iteratorINS6_10device_ptrIxEEEENSD_INSE_IjEEEESG_SI_PmS8_NS6_8equal_toIxEEEE10hipError_tPvRmT2_T3_mT4_T5_T6_T7_T8_P12ihipStream_tbENKUlT_T0_E_clISt17integral_constantIbLb0EES13_EEDaSY_SZ_EUlSY_E_NS1_11comp_targetILNS1_3genE10ELNS1_11target_archE1200ELNS1_3gpuE4ELNS1_3repE0EEENS1_30default_config_static_selectorELNS0_4arch9wavefront6targetE0EEEvT1_, .Lfunc_end775-_ZN7rocprim17ROCPRIM_400000_NS6detail17trampoline_kernelINS0_14default_configENS1_29reduce_by_key_config_selectorIxjN6thrust23THRUST_200600_302600_NS4plusIjEEEEZZNS1_33reduce_by_key_impl_wrapped_configILNS1_25lookback_scan_determinismE0ES3_S9_NS6_6detail15normal_iteratorINS6_10device_ptrIxEEEENSD_INSE_IjEEEESG_SI_PmS8_NS6_8equal_toIxEEEE10hipError_tPvRmT2_T3_mT4_T5_T6_T7_T8_P12ihipStream_tbENKUlT_T0_E_clISt17integral_constantIbLb0EES13_EEDaSY_SZ_EUlSY_E_NS1_11comp_targetILNS1_3genE10ELNS1_11target_archE1200ELNS1_3gpuE4ELNS1_3repE0EEENS1_30default_config_static_selectorELNS0_4arch9wavefront6targetE0EEEvT1_
                                        ; -- End function
	.section	.AMDGPU.csdata,"",@progbits
; Kernel info:
; codeLenInByte = 0
; NumSgprs: 0
; NumVgprs: 0
; ScratchSize: 0
; MemoryBound: 0
; FloatMode: 240
; IeeeMode: 1
; LDSByteSize: 0 bytes/workgroup (compile time only)
; SGPRBlocks: 0
; VGPRBlocks: 0
; NumSGPRsForWavesPerEU: 1
; NumVGPRsForWavesPerEU: 1
; Occupancy: 16
; WaveLimiterHint : 0
; COMPUTE_PGM_RSRC2:SCRATCH_EN: 0
; COMPUTE_PGM_RSRC2:USER_SGPR: 15
; COMPUTE_PGM_RSRC2:TRAP_HANDLER: 0
; COMPUTE_PGM_RSRC2:TGID_X_EN: 1
; COMPUTE_PGM_RSRC2:TGID_Y_EN: 0
; COMPUTE_PGM_RSRC2:TGID_Z_EN: 0
; COMPUTE_PGM_RSRC2:TIDIG_COMP_CNT: 0
	.section	.text._ZN7rocprim17ROCPRIM_400000_NS6detail17trampoline_kernelINS0_14default_configENS1_29reduce_by_key_config_selectorIxjN6thrust23THRUST_200600_302600_NS4plusIjEEEEZZNS1_33reduce_by_key_impl_wrapped_configILNS1_25lookback_scan_determinismE0ES3_S9_NS6_6detail15normal_iteratorINS6_10device_ptrIxEEEENSD_INSE_IjEEEESG_SI_PmS8_NS6_8equal_toIxEEEE10hipError_tPvRmT2_T3_mT4_T5_T6_T7_T8_P12ihipStream_tbENKUlT_T0_E_clISt17integral_constantIbLb0EES13_EEDaSY_SZ_EUlSY_E_NS1_11comp_targetILNS1_3genE9ELNS1_11target_archE1100ELNS1_3gpuE3ELNS1_3repE0EEENS1_30default_config_static_selectorELNS0_4arch9wavefront6targetE0EEEvT1_,"axG",@progbits,_ZN7rocprim17ROCPRIM_400000_NS6detail17trampoline_kernelINS0_14default_configENS1_29reduce_by_key_config_selectorIxjN6thrust23THRUST_200600_302600_NS4plusIjEEEEZZNS1_33reduce_by_key_impl_wrapped_configILNS1_25lookback_scan_determinismE0ES3_S9_NS6_6detail15normal_iteratorINS6_10device_ptrIxEEEENSD_INSE_IjEEEESG_SI_PmS8_NS6_8equal_toIxEEEE10hipError_tPvRmT2_T3_mT4_T5_T6_T7_T8_P12ihipStream_tbENKUlT_T0_E_clISt17integral_constantIbLb0EES13_EEDaSY_SZ_EUlSY_E_NS1_11comp_targetILNS1_3genE9ELNS1_11target_archE1100ELNS1_3gpuE3ELNS1_3repE0EEENS1_30default_config_static_selectorELNS0_4arch9wavefront6targetE0EEEvT1_,comdat
	.protected	_ZN7rocprim17ROCPRIM_400000_NS6detail17trampoline_kernelINS0_14default_configENS1_29reduce_by_key_config_selectorIxjN6thrust23THRUST_200600_302600_NS4plusIjEEEEZZNS1_33reduce_by_key_impl_wrapped_configILNS1_25lookback_scan_determinismE0ES3_S9_NS6_6detail15normal_iteratorINS6_10device_ptrIxEEEENSD_INSE_IjEEEESG_SI_PmS8_NS6_8equal_toIxEEEE10hipError_tPvRmT2_T3_mT4_T5_T6_T7_T8_P12ihipStream_tbENKUlT_T0_E_clISt17integral_constantIbLb0EES13_EEDaSY_SZ_EUlSY_E_NS1_11comp_targetILNS1_3genE9ELNS1_11target_archE1100ELNS1_3gpuE3ELNS1_3repE0EEENS1_30default_config_static_selectorELNS0_4arch9wavefront6targetE0EEEvT1_ ; -- Begin function _ZN7rocprim17ROCPRIM_400000_NS6detail17trampoline_kernelINS0_14default_configENS1_29reduce_by_key_config_selectorIxjN6thrust23THRUST_200600_302600_NS4plusIjEEEEZZNS1_33reduce_by_key_impl_wrapped_configILNS1_25lookback_scan_determinismE0ES3_S9_NS6_6detail15normal_iteratorINS6_10device_ptrIxEEEENSD_INSE_IjEEEESG_SI_PmS8_NS6_8equal_toIxEEEE10hipError_tPvRmT2_T3_mT4_T5_T6_T7_T8_P12ihipStream_tbENKUlT_T0_E_clISt17integral_constantIbLb0EES13_EEDaSY_SZ_EUlSY_E_NS1_11comp_targetILNS1_3genE9ELNS1_11target_archE1100ELNS1_3gpuE3ELNS1_3repE0EEENS1_30default_config_static_selectorELNS0_4arch9wavefront6targetE0EEEvT1_
	.globl	_ZN7rocprim17ROCPRIM_400000_NS6detail17trampoline_kernelINS0_14default_configENS1_29reduce_by_key_config_selectorIxjN6thrust23THRUST_200600_302600_NS4plusIjEEEEZZNS1_33reduce_by_key_impl_wrapped_configILNS1_25lookback_scan_determinismE0ES3_S9_NS6_6detail15normal_iteratorINS6_10device_ptrIxEEEENSD_INSE_IjEEEESG_SI_PmS8_NS6_8equal_toIxEEEE10hipError_tPvRmT2_T3_mT4_T5_T6_T7_T8_P12ihipStream_tbENKUlT_T0_E_clISt17integral_constantIbLb0EES13_EEDaSY_SZ_EUlSY_E_NS1_11comp_targetILNS1_3genE9ELNS1_11target_archE1100ELNS1_3gpuE3ELNS1_3repE0EEENS1_30default_config_static_selectorELNS0_4arch9wavefront6targetE0EEEvT1_
	.p2align	8
	.type	_ZN7rocprim17ROCPRIM_400000_NS6detail17trampoline_kernelINS0_14default_configENS1_29reduce_by_key_config_selectorIxjN6thrust23THRUST_200600_302600_NS4plusIjEEEEZZNS1_33reduce_by_key_impl_wrapped_configILNS1_25lookback_scan_determinismE0ES3_S9_NS6_6detail15normal_iteratorINS6_10device_ptrIxEEEENSD_INSE_IjEEEESG_SI_PmS8_NS6_8equal_toIxEEEE10hipError_tPvRmT2_T3_mT4_T5_T6_T7_T8_P12ihipStream_tbENKUlT_T0_E_clISt17integral_constantIbLb0EES13_EEDaSY_SZ_EUlSY_E_NS1_11comp_targetILNS1_3genE9ELNS1_11target_archE1100ELNS1_3gpuE3ELNS1_3repE0EEENS1_30default_config_static_selectorELNS0_4arch9wavefront6targetE0EEEvT1_,@function
_ZN7rocprim17ROCPRIM_400000_NS6detail17trampoline_kernelINS0_14default_configENS1_29reduce_by_key_config_selectorIxjN6thrust23THRUST_200600_302600_NS4plusIjEEEEZZNS1_33reduce_by_key_impl_wrapped_configILNS1_25lookback_scan_determinismE0ES3_S9_NS6_6detail15normal_iteratorINS6_10device_ptrIxEEEENSD_INSE_IjEEEESG_SI_PmS8_NS6_8equal_toIxEEEE10hipError_tPvRmT2_T3_mT4_T5_T6_T7_T8_P12ihipStream_tbENKUlT_T0_E_clISt17integral_constantIbLb0EES13_EEDaSY_SZ_EUlSY_E_NS1_11comp_targetILNS1_3genE9ELNS1_11target_archE1100ELNS1_3gpuE3ELNS1_3repE0EEENS1_30default_config_static_selectorELNS0_4arch9wavefront6targetE0EEEvT1_: ; @_ZN7rocprim17ROCPRIM_400000_NS6detail17trampoline_kernelINS0_14default_configENS1_29reduce_by_key_config_selectorIxjN6thrust23THRUST_200600_302600_NS4plusIjEEEEZZNS1_33reduce_by_key_impl_wrapped_configILNS1_25lookback_scan_determinismE0ES3_S9_NS6_6detail15normal_iteratorINS6_10device_ptrIxEEEENSD_INSE_IjEEEESG_SI_PmS8_NS6_8equal_toIxEEEE10hipError_tPvRmT2_T3_mT4_T5_T6_T7_T8_P12ihipStream_tbENKUlT_T0_E_clISt17integral_constantIbLb0EES13_EEDaSY_SZ_EUlSY_E_NS1_11comp_targetILNS1_3genE9ELNS1_11target_archE1100ELNS1_3gpuE3ELNS1_3repE0EEENS1_30default_config_static_selectorELNS0_4arch9wavefront6targetE0EEEvT1_
; %bb.0:
	s_clause 0x4
	s_load_b256 s[16:23], s[0:1], 0x0
	s_load_b256 s[24:31], s[0:1], 0x38
	s_load_b128 s[36:39], s[0:1], 0x20
	s_load_b64 s[34:35], s[0:1], 0x68
	s_load_b128 s[40:43], s[0:1], 0x58
	s_mov_b32 s3, 0
	s_mul_i32 s2, s15, 0xf00
	v_mad_u32_u24 v31, v0, 15, 1
	v_mad_u32_u24 v33, v0, 15, 2
	;; [unrolled: 1-line block ×14, first 2 shown]
	s_waitcnt lgkmcnt(0)
	s_lshl_b64 s[0:1], s[18:19], 3
	s_mul_i32 s4, s28, s27
	s_add_u32 s6, s16, s0
	s_addc_u32 s7, s17, s1
	s_lshl_b64 s[0:1], s[18:19], 2
	s_mul_hi_u32 s5, s28, s26
	s_add_u32 s9, s20, s0
	s_mul_i32 s8, s29, s26
	s_addc_u32 s10, s21, s1
	s_add_i32 s4, s5, s4
	s_lshl_b64 s[0:1], s[2:3], 3
	s_add_i32 s4, s4, s8
	s_add_u32 s33, s6, s0
	s_addc_u32 s29, s7, s1
	s_lshl_b64 s[0:1], s[2:3], 2
	s_mul_i32 s2, s28, s26
	s_add_u32 s18, s9, s0
	s_addc_u32 s19, s10, s1
	s_add_u32 s16, s2, s15
	s_addc_u32 s17, s4, 0
	s_add_u32 s0, s30, -1
	s_addc_u32 s1, s31, -1
	s_mul_i32 s21, s0, 0xfffff100
	s_cmp_eq_u64 s[16:17], s[0:1]
	s_cselect_b32 s20, -1, 0
	s_cmp_lg_u64 s[16:17], s[0:1]
	s_cselect_b32 s14, -1, 0
	s_and_b32 vcc_lo, exec_lo, s20
	s_cbranch_vccnz .LBB776_2
; %bb.1:
	v_lshlrev_b32_e32 v30, 3, v0
	v_lshlrev_b32_e32 v32, 2, v0
	s_delay_alu instid0(VALU_DEP_2) | instskip(NEXT) | instid1(VALU_DEP_1)
	v_add_co_u32 v1, s0, s33, v30
	v_add_co_ci_u32_e64 v2, null, s29, 0, s0
	s_delay_alu instid0(VALU_DEP_3) | instskip(NEXT) | instid1(VALU_DEP_3)
	v_add_co_u32 v58, s0, s18, v32
	v_add_co_u32 v3, vcc_lo, 0x1000, v1
	s_delay_alu instid0(VALU_DEP_3)
	v_add_co_ci_u32_e32 v4, vcc_lo, 0, v2, vcc_lo
	v_add_co_u32 v5, vcc_lo, 0x2000, v1
	v_add_co_ci_u32_e32 v6, vcc_lo, 0, v2, vcc_lo
	v_add_co_u32 v7, vcc_lo, 0x3000, v1
	;; [unrolled: 2-line block ×5, first 2 shown]
	v_add_co_ci_u32_e32 v24, vcc_lo, 0, v2, vcc_lo
	s_clause 0x7
	flat_load_b64 v[9:10], v[1:2]
	flat_load_b64 v[11:12], v[1:2] offset:2048
	flat_load_b64 v[13:14], v[3:4]
	flat_load_b64 v[3:4], v[3:4] offset:2048
	;; [unrolled: 2-line block ×4, first 2 shown]
	v_add_co_u32 v1, vcc_lo, 0x7000, v1
	v_add_co_ci_u32_e32 v2, vcc_lo, 0, v2, vcc_lo
	s_clause 0x6
	flat_load_b64 v[25:26], v[19:20]
	flat_load_b64 v[19:20], v[19:20] offset:2048
	flat_load_b64 v[27:28], v[21:22]
	flat_load_b64 v[21:22], v[21:22] offset:2048
	;; [unrolled: 2-line block ×3, first 2 shown]
	flat_load_b64 v[1:2], v[1:2]
	v_add_co_ci_u32_e64 v59, null, s19, 0, s0
	v_add_co_u32 v60, vcc_lo, 0x1000, v58
	v_mad_u32_u24 v32, 0x70, v0, v30
	s_delay_alu instid0(VALU_DEP_3)
	v_add_co_ci_u32_e32 v61, vcc_lo, 0, v59, vcc_lo
	v_add_co_u32 v62, vcc_lo, 0x2000, v58
	v_add_co_ci_u32_e32 v63, vcc_lo, 0, v59, vcc_lo
	v_add_co_u32 v64, vcc_lo, 0x3000, v58
	v_add_co_ci_u32_e32 v65, vcc_lo, 0, v59, vcc_lo
	s_waitcnt vmcnt(13) lgkmcnt(13)
	ds_store_2addr_stride64_b64 v30, v[9:10], v[11:12] offset1:4
	s_waitcnt vmcnt(11) lgkmcnt(12)
	ds_store_2addr_stride64_b64 v30, v[13:14], v[3:4] offset0:8 offset1:12
	s_waitcnt vmcnt(9) lgkmcnt(11)
	ds_store_2addr_stride64_b64 v30, v[15:16], v[5:6] offset0:16 offset1:20
	;; [unrolled: 2-line block ×6, first 2 shown]
	s_waitcnt vmcnt(0) lgkmcnt(7)
	ds_store_b64 v30, v[1:2] offset:28672
	s_waitcnt lgkmcnt(0)
	s_barrier
	buffer_gl0_inv
	ds_load_2addr_b64 v[25:28], v32 offset1:1
	ds_load_2addr_b64 v[21:24], v32 offset0:2 offset1:3
	ds_load_2addr_b64 v[17:20], v32 offset0:4 offset1:5
	;; [unrolled: 1-line block ×6, first 2 shown]
	ds_load_b64 v[37:38], v32 offset:112
	s_waitcnt lgkmcnt(0)
	s_barrier
	buffer_gl0_inv
	s_clause 0xe
	flat_load_b32 v30, v[58:59]
	flat_load_b32 v34, v[58:59] offset:1024
	flat_load_b32 v40, v[58:59] offset:2048
	flat_load_b32 v42, v[58:59] offset:3072
	flat_load_b32 v44, v[60:61]
	flat_load_b32 v46, v[60:61] offset:1024
	flat_load_b32 v48, v[60:61] offset:2048
	flat_load_b32 v50, v[60:61] offset:3072
	;; [unrolled: 4-line block ×3, first 2 shown]
	flat_load_b32 v59, v[64:65]
	flat_load_b32 v60, v[64:65] offset:1024
	flat_load_b32 v61, v[64:65] offset:2048
	v_mad_i32_i24 v32, 0xffffff8c, v0, v32
	v_mul_u32_u24_e32 v36, 15, v0
	s_waitcnt vmcnt(13) lgkmcnt(13)
	ds_store_2addr_stride64_b32 v32, v30, v34 offset1:4
	s_waitcnt vmcnt(11) lgkmcnt(12)
	ds_store_2addr_stride64_b32 v32, v40, v42 offset0:8 offset1:12
	s_waitcnt vmcnt(9) lgkmcnt(11)
	ds_store_2addr_stride64_b32 v32, v44, v46 offset0:16 offset1:20
	;; [unrolled: 2-line block ×6, first 2 shown]
	s_waitcnt vmcnt(0) lgkmcnt(7)
	ds_store_b32 v32, v61 offset:14336
	s_waitcnt lgkmcnt(0)
	s_barrier
	s_branch .LBB776_3
.LBB776_2:
	s_mov_b32 s3, -1
                                        ; implicit-def: $vgpr36
                                        ; implicit-def: $vgpr25_vgpr26
                                        ; implicit-def: $vgpr21_vgpr22
                                        ; implicit-def: $vgpr17_vgpr18
                                        ; implicit-def: $vgpr13_vgpr14
                                        ; implicit-def: $vgpr9_vgpr10
                                        ; implicit-def: $vgpr5_vgpr6
                                        ; implicit-def: $vgpr1_vgpr2
                                        ; implicit-def: $vgpr37_vgpr38
.LBB776_3:
	v_dual_mov_b32 v30, v29 :: v_dual_mov_b32 v65, v51
	v_dual_mov_b32 v69, v57 :: v_dual_mov_b32 v70, v55
	;; [unrolled: 1-line block ×5, first 2 shown]
	v_mov_b32_e32 v64, v41
	v_mov_b32_e32 v58, v35
	;; [unrolled: 1-line block ×4, first 2 shown]
	s_and_not1_b32 vcc_lo, exec_lo, s3
	s_add_i32 s21, s21, s40
	s_cbranch_vccnz .LBB776_65
; %bb.4:
	v_cmp_gt_u32_e32 vcc_lo, s21, v0
                                        ; implicit-def: $vgpr1_vgpr2
	s_and_saveexec_b32 s0, vcc_lo
	s_cbranch_execz .LBB776_6
; %bb.5:
	v_lshlrev_b32_e32 v1, 3, v0
	s_delay_alu instid0(VALU_DEP_1) | instskip(NEXT) | instid1(VALU_DEP_1)
	v_add_co_u32 v1, s1, s33, v1
	v_add_co_ci_u32_e64 v2, null, s29, 0, s1
	flat_load_b64 v[1:2], v[1:2]
.LBB776_6:
	s_or_b32 exec_lo, exec_lo, s0
	v_or_b32_e32 v3, 0x100, v0
	s_delay_alu instid0(VALU_DEP_1) | instskip(NEXT) | instid1(VALU_DEP_1)
	v_cmp_gt_u32_e64 s0, s21, v3
                                        ; implicit-def: $vgpr3_vgpr4
	s_and_saveexec_b32 s1, s0
	s_cbranch_execz .LBB776_8
; %bb.7:
	v_lshlrev_b32_e32 v3, 3, v0
	s_delay_alu instid0(VALU_DEP_1) | instskip(NEXT) | instid1(VALU_DEP_1)
	v_add_co_u32 v3, s2, s33, v3
	v_add_co_ci_u32_e64 v4, null, s29, 0, s2
	flat_load_b64 v[3:4], v[3:4] offset:2048
.LBB776_8:
	s_or_b32 exec_lo, exec_lo, s1
	v_or_b32_e32 v7, 0x200, v0
                                        ; implicit-def: $vgpr5_vgpr6
	s_delay_alu instid0(VALU_DEP_1) | instskip(NEXT) | instid1(VALU_DEP_1)
	v_cmp_gt_u32_e64 s1, s21, v7
	s_and_saveexec_b32 s2, s1
	s_cbranch_execz .LBB776_10
; %bb.9:
	v_lshlrev_b32_e32 v5, 3, v7
	s_delay_alu instid0(VALU_DEP_1) | instskip(NEXT) | instid1(VALU_DEP_1)
	v_add_co_u32 v5, s3, s33, v5
	v_add_co_ci_u32_e64 v6, null, s29, 0, s3
	flat_load_b64 v[5:6], v[5:6]
.LBB776_10:
	s_or_b32 exec_lo, exec_lo, s2
	v_or_b32_e32 v9, 0x300, v0
                                        ; implicit-def: $vgpr7_vgpr8
	s_delay_alu instid0(VALU_DEP_1) | instskip(NEXT) | instid1(VALU_DEP_1)
	v_cmp_gt_u32_e64 s2, s21, v9
	s_and_saveexec_b32 s3, s2
	s_cbranch_execz .LBB776_12
; %bb.11:
	v_lshlrev_b32_e32 v7, 3, v9
	s_delay_alu instid0(VALU_DEP_1) | instskip(NEXT) | instid1(VALU_DEP_1)
	v_add_co_u32 v7, s4, s33, v7
	v_add_co_ci_u32_e64 v8, null, s29, 0, s4
	flat_load_b64 v[7:8], v[7:8]
.LBB776_12:
	s_or_b32 exec_lo, exec_lo, s3
	v_or_b32_e32 v40, 0x400, v0
                                        ; implicit-def: $vgpr9_vgpr10
	s_delay_alu instid0(VALU_DEP_1) | instskip(NEXT) | instid1(VALU_DEP_1)
	v_cmp_gt_u32_e64 s3, s21, v40
	s_and_saveexec_b32 s4, s3
	s_cbranch_execz .LBB776_14
; %bb.13:
	v_lshlrev_b32_e32 v9, 3, v40
	s_delay_alu instid0(VALU_DEP_1) | instskip(NEXT) | instid1(VALU_DEP_1)
	v_add_co_u32 v9, s5, s33, v9
	v_add_co_ci_u32_e64 v10, null, s29, 0, s5
	flat_load_b64 v[9:10], v[9:10]
.LBB776_14:
	s_or_b32 exec_lo, exec_lo, s4
	v_or_b32_e32 v42, 0x500, v0
                                        ; implicit-def: $vgpr11_vgpr12
	s_delay_alu instid0(VALU_DEP_1) | instskip(NEXT) | instid1(VALU_DEP_1)
	v_cmp_gt_u32_e64 s4, s21, v42
	s_and_saveexec_b32 s5, s4
	s_cbranch_execz .LBB776_16
; %bb.15:
	v_lshlrev_b32_e32 v11, 3, v42
	s_delay_alu instid0(VALU_DEP_1) | instskip(NEXT) | instid1(VALU_DEP_1)
	v_add_co_u32 v11, s6, s33, v11
	v_add_co_ci_u32_e64 v12, null, s29, 0, s6
	flat_load_b64 v[11:12], v[11:12]
.LBB776_16:
	s_or_b32 exec_lo, exec_lo, s5
	v_or_b32_e32 v44, 0x600, v0
                                        ; implicit-def: $vgpr13_vgpr14
	s_delay_alu instid0(VALU_DEP_1) | instskip(NEXT) | instid1(VALU_DEP_1)
	v_cmp_gt_u32_e64 s5, s21, v44
	s_and_saveexec_b32 s6, s5
	s_cbranch_execz .LBB776_18
; %bb.17:
	v_lshlrev_b32_e32 v13, 3, v44
	s_delay_alu instid0(VALU_DEP_1) | instskip(NEXT) | instid1(VALU_DEP_1)
	v_add_co_u32 v13, s7, s33, v13
	v_add_co_ci_u32_e64 v14, null, s29, 0, s7
	flat_load_b64 v[13:14], v[13:14]
.LBB776_18:
	s_or_b32 exec_lo, exec_lo, s6
	v_or_b32_e32 v46, 0x700, v0
                                        ; implicit-def: $vgpr15_vgpr16
	s_delay_alu instid0(VALU_DEP_1) | instskip(NEXT) | instid1(VALU_DEP_1)
	v_cmp_gt_u32_e64 s6, s21, v46
	s_and_saveexec_b32 s7, s6
	s_cbranch_execz .LBB776_20
; %bb.19:
	v_lshlrev_b32_e32 v15, 3, v46
	s_delay_alu instid0(VALU_DEP_1) | instskip(NEXT) | instid1(VALU_DEP_1)
	v_add_co_u32 v15, s8, s33, v15
	v_add_co_ci_u32_e64 v16, null, s29, 0, s8
	flat_load_b64 v[15:16], v[15:16]
.LBB776_20:
	s_or_b32 exec_lo, exec_lo, s7
	v_or_b32_e32 v50, 0x800, v0
                                        ; implicit-def: $vgpr17_vgpr18
	s_delay_alu instid0(VALU_DEP_1) | instskip(NEXT) | instid1(VALU_DEP_1)
	v_cmp_gt_u32_e64 s7, s21, v50
	s_and_saveexec_b32 s8, s7
	s_cbranch_execz .LBB776_22
; %bb.21:
	v_lshlrev_b32_e32 v17, 3, v50
	s_delay_alu instid0(VALU_DEP_1) | instskip(NEXT) | instid1(VALU_DEP_1)
	v_add_co_u32 v17, s9, s33, v17
	v_add_co_ci_u32_e64 v18, null, s29, 0, s9
	flat_load_b64 v[17:18], v[17:18]
.LBB776_22:
	s_or_b32 exec_lo, exec_lo, s8
	v_or_b32_e32 v52, 0x900, v0
                                        ; implicit-def: $vgpr19_vgpr20
	s_delay_alu instid0(VALU_DEP_1) | instskip(NEXT) | instid1(VALU_DEP_1)
	v_cmp_gt_u32_e64 s8, s21, v52
	s_and_saveexec_b32 s9, s8
	s_cbranch_execz .LBB776_24
; %bb.23:
	v_lshlrev_b32_e32 v19, 3, v52
	s_delay_alu instid0(VALU_DEP_1) | instskip(NEXT) | instid1(VALU_DEP_1)
	v_add_co_u32 v19, s10, s33, v19
	v_add_co_ci_u32_e64 v20, null, s29, 0, s10
	flat_load_b64 v[19:20], v[19:20]
.LBB776_24:
	s_or_b32 exec_lo, exec_lo, s9
	v_or_b32_e32 v54, 0xa00, v0
                                        ; implicit-def: $vgpr21_vgpr22
	s_delay_alu instid0(VALU_DEP_1) | instskip(NEXT) | instid1(VALU_DEP_1)
	v_cmp_gt_u32_e64 s9, s21, v54
	s_and_saveexec_b32 s10, s9
	s_cbranch_execz .LBB776_26
; %bb.25:
	v_lshlrev_b32_e32 v21, 3, v54
	s_delay_alu instid0(VALU_DEP_1) | instskip(NEXT) | instid1(VALU_DEP_1)
	v_add_co_u32 v21, s11, s33, v21
	v_add_co_ci_u32_e64 v22, null, s29, 0, s11
	flat_load_b64 v[21:22], v[21:22]
.LBB776_26:
	s_or_b32 exec_lo, exec_lo, s10
	v_or_b32_e32 v56, 0xb00, v0
                                        ; implicit-def: $vgpr23_vgpr24
	s_delay_alu instid0(VALU_DEP_1) | instskip(NEXT) | instid1(VALU_DEP_1)
	v_cmp_gt_u32_e64 s10, s21, v56
	s_and_saveexec_b32 s11, s10
	s_cbranch_execz .LBB776_28
; %bb.27:
	v_lshlrev_b32_e32 v23, 3, v56
	s_delay_alu instid0(VALU_DEP_1) | instskip(NEXT) | instid1(VALU_DEP_1)
	v_add_co_u32 v23, s12, s33, v23
	v_add_co_ci_u32_e64 v24, null, s29, 0, s12
	flat_load_b64 v[23:24], v[23:24]
.LBB776_28:
	s_or_b32 exec_lo, exec_lo, s11
	v_or_b32_e32 v58, 0xc00, v0
                                        ; implicit-def: $vgpr25_vgpr26
	s_delay_alu instid0(VALU_DEP_1) | instskip(NEXT) | instid1(VALU_DEP_1)
	v_cmp_gt_u32_e64 s11, s21, v58
	s_and_saveexec_b32 s12, s11
	s_cbranch_execz .LBB776_30
; %bb.29:
	v_lshlrev_b32_e32 v25, 3, v58
	s_delay_alu instid0(VALU_DEP_1) | instskip(NEXT) | instid1(VALU_DEP_1)
	v_add_co_u32 v25, s13, s33, v25
	v_add_co_ci_u32_e64 v26, null, s29, 0, s13
	flat_load_b64 v[25:26], v[25:26]
.LBB776_30:
	s_or_b32 exec_lo, exec_lo, s12
	v_or_b32_e32 v59, 0xd00, v0
                                        ; implicit-def: $vgpr27_vgpr28
	s_delay_alu instid0(VALU_DEP_1) | instskip(NEXT) | instid1(VALU_DEP_1)
	v_cmp_gt_u32_e64 s12, s21, v59
	s_and_saveexec_b32 s13, s12
	s_cbranch_execz .LBB776_32
; %bb.31:
	v_lshlrev_b32_e32 v27, 3, v59
	s_delay_alu instid0(VALU_DEP_1) | instskip(NEXT) | instid1(VALU_DEP_1)
	v_add_co_u32 v27, s28, s33, v27
	v_add_co_ci_u32_e64 v28, null, s29, 0, s28
	flat_load_b64 v[27:28], v[27:28]
.LBB776_32:
	s_or_b32 exec_lo, exec_lo, s13
	v_or_b32_e32 v60, 0xe00, v0
                                        ; implicit-def: $vgpr36_vgpr37
	s_delay_alu instid0(VALU_DEP_1) | instskip(NEXT) | instid1(VALU_DEP_1)
	v_cmp_gt_u32_e64 s13, s21, v60
	s_and_saveexec_b32 s28, s13
	s_cbranch_execz .LBB776_34
; %bb.33:
	v_lshlrev_b32_e32 v30, 3, v60
	s_delay_alu instid0(VALU_DEP_1) | instskip(NEXT) | instid1(VALU_DEP_1)
	v_add_co_u32 v36, s30, s33, v30
	v_add_co_ci_u32_e64 v37, null, s29, 0, s30
	flat_load_b64 v[36:37], v[36:37]
.LBB776_34:
	s_or_b32 exec_lo, exec_lo, s28
	v_lshlrev_b32_e32 v32, 3, v0
	s_waitcnt vmcnt(0) lgkmcnt(0)
	ds_store_2addr_stride64_b64 v32, v[1:2], v[3:4] offset1:4
	ds_store_2addr_stride64_b64 v32, v[5:6], v[7:8] offset0:8 offset1:12
	ds_store_2addr_stride64_b64 v32, v[9:10], v[11:12] offset0:16 offset1:20
	ds_store_2addr_stride64_b64 v32, v[13:14], v[15:16] offset0:24 offset1:28
	ds_store_2addr_stride64_b64 v32, v[17:18], v[19:20] offset0:32 offset1:36
	ds_store_2addr_stride64_b64 v32, v[21:22], v[23:24] offset0:40 offset1:44
	ds_store_2addr_stride64_b64 v32, v[25:26], v[27:28] offset0:48 offset1:52
	v_mad_u32_u24 v30, 0x70, v0, v32
	ds_store_b64 v32, v[36:37] offset:28672
	s_waitcnt lgkmcnt(0)
	s_barrier
	buffer_gl0_inv
	ds_load_2addr_b64 v[25:28], v30 offset1:1
	ds_load_2addr_b64 v[21:24], v30 offset0:2 offset1:3
	ds_load_2addr_b64 v[17:20], v30 offset0:4 offset1:5
	;; [unrolled: 1-line block ×6, first 2 shown]
	ds_load_b64 v[37:38], v30 offset:112
	s_waitcnt lgkmcnt(0)
	s_barrier
	buffer_gl0_inv
                                        ; implicit-def: $vgpr32
	s_and_saveexec_b32 s28, vcc_lo
	s_cbranch_execz .LBB776_48
; %bb.35:
	v_lshlrev_b32_e32 v32, 2, v0
	s_delay_alu instid0(VALU_DEP_1) | instskip(NEXT) | instid1(VALU_DEP_1)
	v_add_co_u32 v61, s30, s18, v32
	v_add_co_ci_u32_e64 v62, null, s19, 0, s30
	flat_load_b32 v32, v[61:62]
	s_or_b32 exec_lo, exec_lo, s28
                                        ; implicit-def: $vgpr34
	s_and_saveexec_b32 s28, s0
	s_cbranch_execnz .LBB776_49
.LBB776_36:
	s_or_b32 exec_lo, exec_lo, s28
                                        ; implicit-def: $vgpr48
	s_and_saveexec_b32 s0, s1
	s_cbranch_execz .LBB776_50
.LBB776_37:
	v_lshlrev_b32_e32 v36, 2, v0
	s_delay_alu instid0(VALU_DEP_1) | instskip(NEXT) | instid1(VALU_DEP_1)
	v_add_co_u32 v61, s1, s18, v36
	v_add_co_ci_u32_e64 v62, null, s19, 0, s1
	flat_load_b32 v48, v[61:62] offset:2048
	s_or_b32 exec_lo, exec_lo, s0
                                        ; implicit-def: $vgpr61
	s_and_saveexec_b32 s0, s2
	s_cbranch_execnz .LBB776_51
.LBB776_38:
	s_or_b32 exec_lo, exec_lo, s0
                                        ; implicit-def: $vgpr62
	s_and_saveexec_b32 s0, s3
	s_cbranch_execz .LBB776_52
.LBB776_39:
	v_lshlrev_b32_e32 v36, 2, v40
	s_delay_alu instid0(VALU_DEP_1) | instskip(NEXT) | instid1(VALU_DEP_1)
	v_add_co_u32 v62, s1, s18, v36
	v_add_co_ci_u32_e64 v63, null, s19, 0, s1
	flat_load_b32 v62, v[62:63]
	s_or_b32 exec_lo, exec_lo, s0
                                        ; implicit-def: $vgpr40
	s_and_saveexec_b32 s0, s4
	s_cbranch_execnz .LBB776_53
.LBB776_40:
	s_or_b32 exec_lo, exec_lo, s0
                                        ; implicit-def: $vgpr42
	s_and_saveexec_b32 s0, s5
	s_cbranch_execz .LBB776_54
.LBB776_41:
	v_lshlrev_b32_e32 v36, 2, v44
	s_delay_alu instid0(VALU_DEP_1) | instskip(NEXT) | instid1(VALU_DEP_1)
	v_add_co_u32 v63, s1, s18, v36
	v_add_co_ci_u32_e64 v64, null, s19, 0, s1
	flat_load_b32 v42, v[63:64]
	s_or_b32 exec_lo, exec_lo, s0
                                        ; implicit-def: $vgpr44
	s_and_saveexec_b32 s0, s6
	s_cbranch_execnz .LBB776_55
.LBB776_42:
	s_or_b32 exec_lo, exec_lo, s0
                                        ; implicit-def: $vgpr46
	s_and_saveexec_b32 s0, s7
	s_cbranch_execz .LBB776_56
.LBB776_43:
	v_lshlrev_b32_e32 v36, 2, v50
	s_delay_alu instid0(VALU_DEP_1) | instskip(NEXT) | instid1(VALU_DEP_1)
	v_add_co_u32 v63, s1, s18, v36
	v_add_co_ci_u32_e64 v64, null, s19, 0, s1
	flat_load_b32 v46, v[63:64]
	s_or_b32 exec_lo, exec_lo, s0
                                        ; implicit-def: $vgpr50
	s_and_saveexec_b32 s0, s8
	s_cbranch_execnz .LBB776_57
.LBB776_44:
	s_or_b32 exec_lo, exec_lo, s0
                                        ; implicit-def: $vgpr63
	s_and_saveexec_b32 s0, s9
	s_cbranch_execz .LBB776_58
.LBB776_45:
	v_lshlrev_b32_e32 v36, 2, v54
	s_delay_alu instid0(VALU_DEP_1) | instskip(NEXT) | instid1(VALU_DEP_1)
	v_add_co_u32 v63, s1, s18, v36
	v_add_co_ci_u32_e64 v64, null, s19, 0, s1
	flat_load_b32 v63, v[63:64]
	s_or_b32 exec_lo, exec_lo, s0
                                        ; implicit-def: $vgpr68
	s_and_saveexec_b32 s0, s10
	s_cbranch_execnz .LBB776_59
.LBB776_46:
	s_or_b32 exec_lo, exec_lo, s0
                                        ; implicit-def: $vgpr72
	s_and_saveexec_b32 s0, s11
	s_cbranch_execz .LBB776_60
.LBB776_47:
	v_lshlrev_b32_e32 v36, 2, v58
	s_delay_alu instid0(VALU_DEP_1) | instskip(NEXT) | instid1(VALU_DEP_1)
	v_add_co_u32 v64, s1, s18, v36
	v_add_co_ci_u32_e64 v65, null, s19, 0, s1
	flat_load_b32 v72, v[64:65]
	s_or_b32 exec_lo, exec_lo, s0
                                        ; implicit-def: $vgpr73
	s_and_saveexec_b32 s0, s12
	s_cbranch_execz .LBB776_62
	s_branch .LBB776_61
.LBB776_48:
	s_or_b32 exec_lo, exec_lo, s28
                                        ; implicit-def: $vgpr34
	s_and_saveexec_b32 s28, s0
	s_cbranch_execz .LBB776_36
.LBB776_49:
	v_lshlrev_b32_e32 v34, 2, v0
	s_delay_alu instid0(VALU_DEP_1) | instskip(NEXT) | instid1(VALU_DEP_1)
	v_add_co_u32 v61, s0, s18, v34
	v_add_co_ci_u32_e64 v62, null, s19, 0, s0
	flat_load_b32 v34, v[61:62] offset:1024
	s_or_b32 exec_lo, exec_lo, s28
                                        ; implicit-def: $vgpr48
	s_and_saveexec_b32 s0, s1
	s_cbranch_execnz .LBB776_37
.LBB776_50:
	s_or_b32 exec_lo, exec_lo, s0
                                        ; implicit-def: $vgpr61
	s_and_saveexec_b32 s0, s2
	s_cbranch_execz .LBB776_38
.LBB776_51:
	v_lshlrev_b32_e32 v36, 2, v0
	s_delay_alu instid0(VALU_DEP_1) | instskip(NEXT) | instid1(VALU_DEP_1)
	v_add_co_u32 v61, s1, s18, v36
	v_add_co_ci_u32_e64 v62, null, s19, 0, s1
	flat_load_b32 v61, v[61:62] offset:3072
	s_or_b32 exec_lo, exec_lo, s0
                                        ; implicit-def: $vgpr62
	s_and_saveexec_b32 s0, s3
	s_cbranch_execnz .LBB776_39
.LBB776_52:
	s_or_b32 exec_lo, exec_lo, s0
                                        ; implicit-def: $vgpr40
	s_and_saveexec_b32 s0, s4
	s_cbranch_execz .LBB776_40
.LBB776_53:
	v_lshlrev_b32_e32 v36, 2, v42
	s_delay_alu instid0(VALU_DEP_1) | instskip(NEXT) | instid1(VALU_DEP_1)
	v_add_co_u32 v63, s1, s18, v36
	v_add_co_ci_u32_e64 v64, null, s19, 0, s1
	flat_load_b32 v40, v[63:64]
	s_or_b32 exec_lo, exec_lo, s0
                                        ; implicit-def: $vgpr42
	s_and_saveexec_b32 s0, s5
	s_cbranch_execnz .LBB776_41
.LBB776_54:
	s_or_b32 exec_lo, exec_lo, s0
                                        ; implicit-def: $vgpr44
	s_and_saveexec_b32 s0, s6
	s_cbranch_execz .LBB776_42
.LBB776_55:
	v_lshlrev_b32_e32 v36, 2, v46
	s_delay_alu instid0(VALU_DEP_1) | instskip(NEXT) | instid1(VALU_DEP_1)
	v_add_co_u32 v63, s1, s18, v36
	v_add_co_ci_u32_e64 v64, null, s19, 0, s1
	flat_load_b32 v44, v[63:64]
	s_or_b32 exec_lo, exec_lo, s0
                                        ; implicit-def: $vgpr46
	s_and_saveexec_b32 s0, s7
	s_cbranch_execnz .LBB776_43
.LBB776_56:
	s_or_b32 exec_lo, exec_lo, s0
                                        ; implicit-def: $vgpr50
	s_and_saveexec_b32 s0, s8
	s_cbranch_execz .LBB776_44
.LBB776_57:
	v_lshlrev_b32_e32 v36, 2, v52
	s_delay_alu instid0(VALU_DEP_1) | instskip(NEXT) | instid1(VALU_DEP_1)
	v_add_co_u32 v63, s1, s18, v36
	v_add_co_ci_u32_e64 v64, null, s19, 0, s1
	flat_load_b32 v50, v[63:64]
	s_or_b32 exec_lo, exec_lo, s0
                                        ; implicit-def: $vgpr63
	s_and_saveexec_b32 s0, s9
	s_cbranch_execnz .LBB776_45
.LBB776_58:
	s_or_b32 exec_lo, exec_lo, s0
                                        ; implicit-def: $vgpr68
	s_and_saveexec_b32 s0, s10
	s_cbranch_execz .LBB776_46
.LBB776_59:
	v_lshlrev_b32_e32 v36, 2, v56
	s_delay_alu instid0(VALU_DEP_1) | instskip(NEXT) | instid1(VALU_DEP_1)
	v_add_co_u32 v64, s1, s18, v36
	v_add_co_ci_u32_e64 v65, null, s19, 0, s1
	flat_load_b32 v68, v[64:65]
	s_or_b32 exec_lo, exec_lo, s0
                                        ; implicit-def: $vgpr72
	s_and_saveexec_b32 s0, s11
	s_cbranch_execnz .LBB776_47
.LBB776_60:
	s_or_b32 exec_lo, exec_lo, s0
                                        ; implicit-def: $vgpr73
	s_and_saveexec_b32 s0, s12
	s_cbranch_execz .LBB776_62
.LBB776_61:
	v_lshlrev_b32_e32 v36, 2, v59
	s_delay_alu instid0(VALU_DEP_1) | instskip(NEXT) | instid1(VALU_DEP_1)
	v_add_co_u32 v58, s1, s18, v36
	v_add_co_ci_u32_e64 v59, null, s19, 0, s1
	flat_load_b32 v73, v[58:59]
.LBB776_62:
	s_or_b32 exec_lo, exec_lo, s0
	v_mul_u32_u24_e32 v36, 15, v0
                                        ; implicit-def: $vgpr74
	s_and_saveexec_b32 s0, s13
	s_cbranch_execz .LBB776_64
; %bb.63:
	v_lshlrev_b32_e32 v52, 2, v60
	s_delay_alu instid0(VALU_DEP_1) | instskip(NEXT) | instid1(VALU_DEP_1)
	v_add_co_u32 v58, s1, s18, v52
	v_add_co_ci_u32_e64 v59, null, s19, 0, s1
	flat_load_b32 v74, v[58:59]
.LBB776_64:
	s_or_b32 exec_lo, exec_lo, s0
	s_delay_alu instid0(VALU_DEP_1)
	v_add_nc_u32_e32 v54, 1, v36
	v_add_nc_u32_e32 v52, 2, v36
	;; [unrolled: 1-line block ×10, first 2 shown]
	v_mad_i32_i24 v75, 0xffffff8c, v0, v30
	v_add_nc_u32_e32 v71, 11, v36
	v_add_nc_u32_e32 v70, 12, v36
	;; [unrolled: 1-line block ×4, first 2 shown]
	s_waitcnt vmcnt(0) lgkmcnt(0)
	ds_store_2addr_stride64_b32 v75, v32, v34 offset1:4
	ds_store_2addr_stride64_b32 v75, v48, v61 offset0:8 offset1:12
	ds_store_2addr_stride64_b32 v75, v62, v40 offset0:16 offset1:20
	;; [unrolled: 1-line block ×6, first 2 shown]
	ds_store_b32 v75, v74 offset:14336
	s_waitcnt lgkmcnt(0)
	s_barrier
.LBB776_65:
	v_lshlrev_b32_e32 v32, 2, v36
	v_lshlrev_b32_e32 v34, 2, v54
	;; [unrolled: 1-line block ×5, first 2 shown]
	buffer_gl0_inv
	v_lshlrev_b32_e32 v44, 2, v64
	v_lshlrev_b32_e32 v46, 2, v60
	;; [unrolled: 1-line block ×3, first 2 shown]
	ds_load_b32 v92, v32
	ds_load_b32 v91, v34
	;; [unrolled: 1-line block ×8, first 2 shown]
	v_lshlrev_b32_e32 v32, 2, v59
	v_lshlrev_b32_e32 v34, 2, v66
	v_lshlrev_b32_e32 v36, 2, v65
	v_lshlrev_b32_e32 v40, 2, v71
	v_lshlrev_b32_e32 v42, 2, v70
	v_lshlrev_b32_e32 v44, 2, v69
	v_lshlrev_b32_e32 v30, 2, v30
	ds_load_b32 v88, v32
	ds_load_b32 v85, v34
	;; [unrolled: 1-line block ×7, first 2 shown]
	s_cmp_eq_u64 s[16:17], 0
	s_waitcnt lgkmcnt(0)
	s_cselect_b32 s28, -1, 0
	s_cmp_lg_u64 s[16:17], 0
	s_barrier
	s_cselect_b32 s31, -1, 0
	s_and_b32 vcc_lo, exec_lo, s14
	buffer_gl0_inv
	s_cbranch_vccz .LBB776_71
; %bb.66:
	s_and_b32 vcc_lo, exec_lo, s31
	s_cbranch_vccz .LBB776_131
; %bb.67:
	v_add_co_u32 v58, s0, -8, s33
	s_delay_alu instid0(VALU_DEP_1)
	v_add_co_ci_u32_e64 v59, null, -1, s29, s0
	v_cmp_ne_u64_e64 s0, v[3:4], v[37:38]
	v_cmp_ne_u64_e64 s1, v[1:2], v[3:4]
	v_cmp_ne_u64_e64 s2, v[7:8], v[1:2]
	flat_load_b64 v[58:59], v[58:59]
	v_cmp_ne_u64_e64 s3, v[5:6], v[7:8]
	v_cmp_ne_u64_e64 s4, v[11:12], v[5:6]
	;; [unrolled: 1-line block ×10, first 2 shown]
	v_cmp_ne_u64_e32 vcc_lo, v[25:26], v[27:28]
	v_lshlrev_b32_e32 v30, 3, v0
	s_mov_b32 s30, -1
	s_mov_b32 s14, 0
	s_mov_b32 s18, exec_lo
	ds_store_b64 v30, v[37:38]
	s_waitcnt vmcnt(0) lgkmcnt(0)
	s_barrier
	buffer_gl0_inv
	v_cmpx_ne_u32_e32 0, v0
	s_cbranch_execz .LBB776_69
; %bb.68:
	v_add_nc_u32_e32 v30, -8, v30
	ds_load_b64 v[58:59], v30
.LBB776_69:
	s_or_b32 exec_lo, exec_lo, s18
	v_cndmask_b32_e64 v72, 0, 1, s0
	v_cndmask_b32_e64 v67, 0, 1, s1
	;; [unrolled: 1-line block ×13, first 2 shown]
	s_waitcnt lgkmcnt(0)
	v_cmp_ne_u64_e64 s0, v[58:59], v[25:26]
	v_cndmask_b32_e64 v80, 0, 1, vcc_lo
	s_and_b32 vcc_lo, exec_lo, s14
	s_cbranch_vccnz .LBB776_132
.LBB776_70:
                                        ; implicit-def: $sgpr1
	s_branch .LBB776_72
.LBB776_71:
	s_mov_b32 s30, 0
                                        ; implicit-def: $sgpr0
                                        ; implicit-def: $vgpr72
                                        ; implicit-def: $vgpr67
                                        ; implicit-def: $vgpr68
                                        ; implicit-def: $vgpr69
                                        ; implicit-def: $vgpr70
                                        ; implicit-def: $vgpr71
                                        ; implicit-def: $vgpr73
                                        ; implicit-def: $vgpr74
                                        ; implicit-def: $vgpr75
                                        ; implicit-def: $vgpr76
                                        ; implicit-def: $vgpr77
                                        ; implicit-def: $vgpr78
                                        ; implicit-def: $vgpr79
                                        ; implicit-def: $vgpr80
                                        ; implicit-def: $sgpr1
	s_cbranch_execnz .LBB776_135
.LBB776_72:
	v_mov_b32_e32 v93, s1
	s_and_saveexec_b32 s1, s30
.LBB776_73:
	v_cndmask_b32_e64 v93, 0, 1, s0
.LBB776_74:
	s_or_b32 exec_lo, exec_lo, s1
	s_delay_alu instid0(VALU_DEP_1)
	v_add3_u32 v29, v80, v93, v79
	v_cmp_eq_u32_e64 s12, 0, v80
	v_cmp_eq_u32_e64 s11, 0, v79
	;; [unrolled: 1-line block ×4, first 2 shown]
	v_add3_u32 v99, v29, v78, v77
	v_cmp_eq_u32_e64 s8, 0, v76
	v_cmp_eq_u32_e64 s7, 0, v75
	v_cmp_eq_u32_e64 s6, 0, v74
	v_cmp_eq_u32_e64 s5, 0, v73
	v_cmp_eq_u32_e64 s4, 0, v71
	v_cmp_eq_u32_e64 s3, 0, v70
	v_cmp_eq_u32_e64 s2, 0, v69
	v_cmp_eq_u32_e64 s1, 0, v68
	v_cmp_eq_u32_e64 s0, 0, v67
	v_cmp_eq_u32_e32 vcc_lo, 0, v72
	v_mbcnt_lo_u32_b32 v96, -1, 0
	v_lshrrev_b32_e32 v97, 5, v0
	v_or_b32_e32 v98, 31, v0
	s_cmp_eq_u64 s[26:27], 0
	s_cselect_b32 s16, -1, 0
	s_cmp_lg_u32 s15, 0
	s_cbranch_scc0 .LBB776_100
; %bb.75:
	v_cndmask_b32_e64 v29, 0, v92, s12
	v_add3_u32 v30, v99, v76, v75
	v_and_b32_e32 v32, 15, v96
	s_delay_alu instid0(VALU_DEP_3) | instskip(NEXT) | instid1(VALU_DEP_3)
	v_add_nc_u32_e32 v29, v29, v91
	v_add3_u32 v30, v30, v74, v73
	s_delay_alu instid0(VALU_DEP_3) | instskip(NEXT) | instid1(VALU_DEP_3)
	v_cmp_lt_u32_e64 s13, 1, v32
	v_cndmask_b32_e64 v29, 0, v29, s11
	s_delay_alu instid0(VALU_DEP_3) | instskip(NEXT) | instid1(VALU_DEP_2)
	v_add3_u32 v30, v30, v71, v70
	v_add_nc_u32_e32 v29, v29, v90
	s_delay_alu instid0(VALU_DEP_2) | instskip(NEXT) | instid1(VALU_DEP_2)
	v_add3_u32 v30, v30, v69, v68
	v_cndmask_b32_e64 v29, 0, v29, s10
	s_delay_alu instid0(VALU_DEP_2) | instskip(NEXT) | instid1(VALU_DEP_2)
	v_add3_u32 v30, v30, v67, v72
	v_add_nc_u32_e32 v29, v29, v89
	s_delay_alu instid0(VALU_DEP_2) | instskip(NEXT) | instid1(VALU_DEP_2)
	v_mov_b32_dpp v33, v30 row_shr:1 row_mask:0xf bank_mask:0xf
	v_cndmask_b32_e64 v29, 0, v29, s9
	s_delay_alu instid0(VALU_DEP_1) | instskip(NEXT) | instid1(VALU_DEP_1)
	v_add_nc_u32_e32 v29, v29, v87
	v_cndmask_b32_e64 v29, 0, v29, s8
	s_delay_alu instid0(VALU_DEP_1) | instskip(NEXT) | instid1(VALU_DEP_1)
	v_add_nc_u32_e32 v29, v29, v86
	;; [unrolled: 3-line block ×10, first 2 shown]
	v_cndmask_b32_e32 v29, 0, v29, vcc_lo
	v_cmp_eq_u32_e32 vcc_lo, 0, v30
	s_delay_alu instid0(VALU_DEP_2) | instskip(NEXT) | instid1(VALU_DEP_1)
	v_add_nc_u32_e32 v29, v29, v95
	v_mov_b32_dpp v31, v29 row_shr:1 row_mask:0xf bank_mask:0xf
	s_delay_alu instid0(VALU_DEP_1) | instskip(SKIP_2) | instid1(VALU_DEP_1)
	v_cndmask_b32_e32 v31, 0, v31, vcc_lo
	v_cmp_eq_u32_e32 vcc_lo, 0, v32
	v_cndmask_b32_e64 v33, v33, 0, vcc_lo
	v_add_nc_u32_e32 v30, v33, v30
	s_delay_alu instid0(VALU_DEP_4) | instskip(NEXT) | instid1(VALU_DEP_2)
	v_cndmask_b32_e64 v31, v31, 0, vcc_lo
	v_cmp_eq_u32_e32 vcc_lo, 0, v30
	s_delay_alu instid0(VALU_DEP_2) | instskip(SKIP_2) | instid1(VALU_DEP_2)
	v_add_nc_u32_e32 v29, v31, v29
	v_mov_b32_dpp v31, v30 row_shr:2 row_mask:0xf bank_mask:0xf
	s_and_b32 vcc_lo, s13, vcc_lo
	v_mov_b32_dpp v33, v29 row_shr:2 row_mask:0xf bank_mask:0xf
	s_delay_alu instid0(VALU_DEP_2) | instskip(SKIP_1) | instid1(VALU_DEP_2)
	v_cndmask_b32_e64 v31, 0, v31, s13
	v_cmp_lt_u32_e64 s13, 3, v32
	v_dual_cndmask_b32 v33, 0, v33 :: v_dual_add_nc_u32 v30, v30, v31
	s_delay_alu instid0(VALU_DEP_1) | instskip(NEXT) | instid1(VALU_DEP_2)
	v_add_nc_u32_e32 v29, v33, v29
	v_mov_b32_dpp v31, v30 row_shr:4 row_mask:0xf bank_mask:0xf
	v_cmp_eq_u32_e32 vcc_lo, 0, v30
	s_delay_alu instid0(VALU_DEP_3) | instskip(NEXT) | instid1(VALU_DEP_3)
	v_mov_b32_dpp v33, v29 row_shr:4 row_mask:0xf bank_mask:0xf
	v_cndmask_b32_e64 v31, 0, v31, s13
	s_and_b32 vcc_lo, s13, vcc_lo
	v_cmp_lt_u32_e64 s13, 7, v32
	s_delay_alu instid0(VALU_DEP_2) | instskip(NEXT) | instid1(VALU_DEP_1)
	v_dual_cndmask_b32 v33, 0, v33 :: v_dual_add_nc_u32 v30, v31, v30
	v_add_nc_u32_e32 v29, v29, v33
	s_delay_alu instid0(VALU_DEP_2) | instskip(SKIP_2) | instid1(VALU_DEP_4)
	v_cmp_eq_u32_e32 vcc_lo, 0, v30
	v_mov_b32_dpp v31, v30 row_shr:8 row_mask:0xf bank_mask:0xf
	v_bfe_i32 v33, v96, 4, 1
	v_mov_b32_dpp v32, v29 row_shr:8 row_mask:0xf bank_mask:0xf
	s_and_b32 vcc_lo, s13, vcc_lo
	s_delay_alu instid0(VALU_DEP_3) | instskip(SKIP_1) | instid1(VALU_DEP_2)
	v_cndmask_b32_e64 v31, 0, v31, s13
	s_mov_b32 s13, exec_lo
	v_cndmask_b32_e32 v32, 0, v32, vcc_lo
	s_delay_alu instid0(VALU_DEP_1) | instskip(NEXT) | instid1(VALU_DEP_3)
	v_add_nc_u32_e32 v32, v32, v29
	v_add_nc_u32_e32 v29, v31, v30
	ds_swizzle_b32 v30, v32 offset:swizzle(BROADCAST,32,15)
	ds_swizzle_b32 v31, v29 offset:swizzle(BROADCAST,32,15)
	v_cmp_eq_u32_e32 vcc_lo, 0, v29
	s_waitcnt lgkmcnt(0)
	v_dual_cndmask_b32 v30, 0, v30 :: v_dual_and_b32 v31, v33, v31
	s_delay_alu instid0(VALU_DEP_1) | instskip(NEXT) | instid1(VALU_DEP_2)
	v_and_b32_e32 v30, v33, v30
	v_add_nc_u32_e32 v29, v31, v29
	v_lshlrev_b32_e32 v31, 3, v97
	s_delay_alu instid0(VALU_DEP_3)
	v_add_nc_u32_e32 v30, v30, v32
	v_cmpx_eq_u32_e64 v98, v0
	s_cbranch_execz .LBB776_77
; %bb.76:
	ds_store_b64 v31, v[29:30] offset:4112
.LBB776_77:
	s_or_b32 exec_lo, exec_lo, s13
	s_delay_alu instid0(SALU_CYCLE_1)
	s_mov_b32 s14, exec_lo
	s_waitcnt lgkmcnt(0)
	s_barrier
	buffer_gl0_inv
	v_cmpx_gt_u32_e32 8, v0
	s_cbranch_execz .LBB776_79
; %bb.78:
	v_lshlrev_b32_e32 v34, 3, v0
	v_and_b32_e32 v36, 7, v96
	ds_load_b64 v[32:33], v34 offset:4112
	v_cmp_lt_u32_e64 s13, 1, v36
	s_waitcnt lgkmcnt(0)
	v_mov_b32_dpp v35, v33 row_shr:1 row_mask:0xf bank_mask:0xf
	v_cmp_eq_u32_e32 vcc_lo, 0, v32
	v_mov_b32_dpp v39, v32 row_shr:1 row_mask:0xf bank_mask:0xf
	s_delay_alu instid0(VALU_DEP_3) | instskip(SKIP_1) | instid1(VALU_DEP_3)
	v_cndmask_b32_e32 v35, 0, v35, vcc_lo
	v_cmp_eq_u32_e32 vcc_lo, 0, v36
	v_cndmask_b32_e64 v39, v39, 0, vcc_lo
	s_delay_alu instid0(VALU_DEP_3) | instskip(NEXT) | instid1(VALU_DEP_2)
	v_cndmask_b32_e64 v35, v35, 0, vcc_lo
	v_add_nc_u32_e32 v32, v39, v32
	s_delay_alu instid0(VALU_DEP_2) | instskip(NEXT) | instid1(VALU_DEP_2)
	v_add_nc_u32_e32 v33, v35, v33
	v_mov_b32_dpp v35, v32 row_shr:2 row_mask:0xf bank_mask:0xf
	v_cmp_eq_u32_e32 vcc_lo, 0, v32
	s_delay_alu instid0(VALU_DEP_3) | instskip(NEXT) | instid1(VALU_DEP_3)
	v_mov_b32_dpp v39, v33 row_shr:2 row_mask:0xf bank_mask:0xf
	v_cndmask_b32_e64 v35, 0, v35, s13
	s_and_b32 vcc_lo, s13, vcc_lo
	s_delay_alu instid0(VALU_DEP_2) | instskip(SKIP_1) | instid1(VALU_DEP_3)
	v_cndmask_b32_e32 v39, 0, v39, vcc_lo
	v_cmp_lt_u32_e64 s13, 3, v36
	v_add_nc_u32_e32 v32, v35, v32
	s_delay_alu instid0(VALU_DEP_3) | instskip(NEXT) | instid1(VALU_DEP_2)
	v_add_nc_u32_e32 v33, v39, v33
	v_cmp_eq_u32_e32 vcc_lo, 0, v32
	v_mov_b32_dpp v35, v32 row_shr:4 row_mask:0xf bank_mask:0xf
	s_delay_alu instid0(VALU_DEP_3) | instskip(SKIP_1) | instid1(VALU_DEP_2)
	v_mov_b32_dpp v36, v33 row_shr:4 row_mask:0xf bank_mask:0xf
	s_and_b32 vcc_lo, s13, vcc_lo
	v_cndmask_b32_e64 v35, 0, v35, s13
	s_delay_alu instid0(VALU_DEP_2) | instskip(NEXT) | instid1(VALU_DEP_2)
	v_cndmask_b32_e32 v36, 0, v36, vcc_lo
	v_add_nc_u32_e32 v32, v35, v32
	s_delay_alu instid0(VALU_DEP_2)
	v_add_nc_u32_e32 v33, v36, v33
	ds_store_b64 v34, v[32:33] offset:4112
.LBB776_79:
	s_or_b32 exec_lo, exec_lo, s14
	v_cmp_gt_u32_e32 vcc_lo, 32, v0
	v_dual_mov_b32 v39, 0 :: v_dual_mov_b32 v40, 0
	s_mov_b32 s14, exec_lo
	s_waitcnt lgkmcnt(0)
	s_barrier
	buffer_gl0_inv
	v_cmpx_lt_u32_e32 31, v0
	s_cbranch_execz .LBB776_81
; %bb.80:
	ds_load_b64 v[39:40], v31 offset:4104
	v_cmp_eq_u32_e64 s13, 0, v29
	s_waitcnt lgkmcnt(0)
	s_delay_alu instid0(VALU_DEP_1) | instskip(SKIP_1) | instid1(VALU_DEP_2)
	v_cndmask_b32_e64 v31, 0, v40, s13
	v_add_nc_u32_e32 v29, v39, v29
	v_add_nc_u32_e32 v30, v31, v30
.LBB776_81:
	s_or_b32 exec_lo, exec_lo, s14
	v_add_nc_u32_e32 v31, -1, v96
	s_delay_alu instid0(VALU_DEP_1) | instskip(NEXT) | instid1(VALU_DEP_1)
	v_cmp_gt_i32_e64 s13, 0, v31
	v_cndmask_b32_e64 v31, v31, v96, s13
	v_cmp_eq_u32_e64 s13, 0, v96
	s_delay_alu instid0(VALU_DEP_2)
	v_lshlrev_b32_e32 v31, 2, v31
	ds_bpermute_b32 v45, v31, v29
	ds_bpermute_b32 v46, v31, v30
	s_and_saveexec_b32 s17, vcc_lo
	s_cbranch_execz .LBB776_99
; %bb.82:
	v_mov_b32_e32 v32, 0
	ds_load_b64 v[29:30], v32 offset:4168
	s_waitcnt lgkmcnt(0)
	v_readfirstlane_b32 s18, v30
	s_and_saveexec_b32 s14, s13
	s_cbranch_execz .LBB776_84
; %bb.83:
	s_add_i32 s26, s15, 32
	s_mov_b32 s27, 0
	v_mov_b32_e32 v31, 1
	s_lshl_b64 s[30:31], s[26:27], 4
	s_mov_b32 s40, s27
	s_add_u32 s30, s24, s30
	s_addc_u32 s31, s25, s31
	s_and_b32 s41, s18, 0xff000000
	s_and_b32 s45, s18, 0xff0000
	s_mov_b32 s44, s27
	v_dual_mov_b32 v34, s31 :: v_dual_mov_b32 v33, s30
	s_or_b64 s[40:41], s[44:45], s[40:41]
	s_and_b32 s45, s18, 0xff00
	s_delay_alu instid0(SALU_CYCLE_1) | instskip(SKIP_1) | instid1(SALU_CYCLE_1)
	s_or_b64 s[40:41], s[40:41], s[44:45]
	s_and_b32 s45, s18, 0xff
	s_or_b64 s[26:27], s[40:41], s[44:45]
	s_delay_alu instid0(SALU_CYCLE_1)
	v_mov_b32_e32 v30, s27
	;;#ASMSTART
	global_store_dwordx4 v[33:34], v[29:32] off	
s_waitcnt vmcnt(0)
	;;#ASMEND
.LBB776_84:
	s_or_b32 exec_lo, exec_lo, s14
	v_xad_u32 v41, v96, -1, s15
	s_mov_b32 s19, 0
	s_mov_b32 s14, exec_lo
	s_delay_alu instid0(VALU_DEP_1) | instskip(NEXT) | instid1(VALU_DEP_1)
	v_add_nc_u32_e32 v31, 32, v41
	v_lshlrev_b64 v[30:31], 4, v[31:32]
	s_delay_alu instid0(VALU_DEP_1) | instskip(NEXT) | instid1(VALU_DEP_2)
	v_add_co_u32 v30, vcc_lo, s24, v30
	v_add_co_ci_u32_e32 v31, vcc_lo, s25, v31, vcc_lo
	;;#ASMSTART
	global_load_dwordx4 v[33:36], v[30:31] off glc	
s_waitcnt vmcnt(0)
	;;#ASMEND
	v_and_b32_e32 v32, 0xff, v34
	v_and_b32_e32 v36, 0xff00, v34
	;; [unrolled: 1-line block ×3, first 2 shown]
	v_or3_b32 v33, v33, 0, 0
	v_and_b32_e32 v34, 0xff000000, v34
	s_delay_alu instid0(VALU_DEP_4) | instskip(SKIP_1) | instid1(VALU_DEP_4)
	v_or3_b32 v32, 0, v32, v36
	v_and_b32_e32 v36, 0xff, v35
	v_or3_b32 v33, v33, 0, 0
	s_delay_alu instid0(VALU_DEP_3) | instskip(NEXT) | instid1(VALU_DEP_3)
	v_or3_b32 v34, v32, v42, v34
	v_cmpx_eq_u16_e32 0, v36
	s_cbranch_execz .LBB776_87
.LBB776_85:                             ; =>This Inner Loop Header: Depth=1
	;;#ASMSTART
	global_load_dwordx4 v[33:36], v[30:31] off glc	
s_waitcnt vmcnt(0)
	;;#ASMEND
	v_and_b32_e32 v32, 0xff, v35
	s_delay_alu instid0(VALU_DEP_1) | instskip(SKIP_1) | instid1(SALU_CYCLE_1)
	v_cmp_ne_u16_e32 vcc_lo, 0, v32
	s_or_b32 s19, vcc_lo, s19
	s_and_not1_b32 exec_lo, exec_lo, s19
	s_cbranch_execnz .LBB776_85
; %bb.86:
	s_or_b32 exec_lo, exec_lo, s19
.LBB776_87:
	s_delay_alu instid0(SALU_CYCLE_1)
	s_or_b32 exec_lo, exec_lo, s14
	v_cmp_ne_u32_e32 vcc_lo, 31, v96
	v_and_b32_e32 v31, 0xff, v35
	v_lshlrev_b32_e64 v47, v96, -1
	v_add_nc_u32_e32 v49, 2, v96
	v_add_nc_u32_e32 v51, 4, v96
	v_add_co_ci_u32_e32 v30, vcc_lo, 0, v96, vcc_lo
	v_cmp_eq_u16_e32 vcc_lo, 2, v31
	v_add_nc_u32_e32 v53, 8, v96
	v_add_nc_u32_e32 v55, 16, v96
	v_and_or_b32 v36, vcc_lo, v47, 0x80000000
	v_cmp_gt_u32_e32 vcc_lo, 30, v96
	s_delay_alu instid0(VALU_DEP_2) | instskip(SKIP_2) | instid1(VALU_DEP_3)
	v_ctz_i32_b32_e32 v36, v36
	v_cndmask_b32_e64 v42, 0, 1, vcc_lo
	v_cmp_eq_u32_e32 vcc_lo, 0, v33
	v_cmp_lt_u32_e64 s14, v96, v36
	s_delay_alu instid0(VALU_DEP_3) | instskip(NEXT) | instid1(VALU_DEP_2)
	v_lshlrev_b32_e32 v42, 1, v42
	s_and_b32 vcc_lo, s14, vcc_lo
	v_lshlrev_b32_e32 v30, 2, v30
	s_delay_alu instid0(VALU_DEP_2)
	v_add_lshl_u32 v48, v42, v96, 2
	ds_bpermute_b32 v31, v30, v34
	s_waitcnt lgkmcnt(0)
	v_cndmask_b32_e32 v31, 0, v31, vcc_lo
	ds_bpermute_b32 v32, v30, v33
	v_cmp_gt_u32_e32 vcc_lo, 28, v96
	v_add_nc_u32_e32 v31, v31, v34
	ds_bpermute_b32 v34, v48, v31
	s_waitcnt lgkmcnt(1)
	v_cndmask_b32_e64 v32, 0, v32, s14
	s_delay_alu instid0(VALU_DEP_1) | instskip(SKIP_1) | instid1(VALU_DEP_2)
	v_add_nc_u32_e32 v32, v32, v33
	v_cndmask_b32_e64 v33, 0, 1, vcc_lo
	v_cmp_eq_u32_e32 vcc_lo, 0, v32
	ds_bpermute_b32 v42, v48, v32
	s_waitcnt lgkmcnt(1)
	v_dual_cndmask_b32 v34, 0, v34 :: v_dual_lshlrev_b32 v33, 2, v33
	v_cmp_gt_u32_e32 vcc_lo, v49, v36
	s_delay_alu instid0(VALU_DEP_2) | instskip(NEXT) | instid1(VALU_DEP_3)
	v_add_lshl_u32 v50, v33, v96, 2
	v_cndmask_b32_e64 v34, v34, 0, vcc_lo
	s_delay_alu instid0(VALU_DEP_1) | instskip(SKIP_4) | instid1(VALU_DEP_2)
	v_add_nc_u32_e32 v31, v34, v31
	ds_bpermute_b32 v33, v50, v31
	s_waitcnt lgkmcnt(1)
	v_cndmask_b32_e64 v34, v42, 0, vcc_lo
	v_cmp_gt_u32_e32 vcc_lo, 24, v96
	v_add_nc_u32_e32 v32, v32, v34
	v_cndmask_b32_e64 v42, 0, 1, vcc_lo
	ds_bpermute_b32 v34, v50, v32
	v_cmp_eq_u32_e32 vcc_lo, 0, v32
	v_lshlrev_b32_e32 v42, 3, v42
	s_delay_alu instid0(VALU_DEP_1) | instskip(SKIP_3) | instid1(VALU_DEP_2)
	v_add_lshl_u32 v52, v42, v96, 2
	s_waitcnt lgkmcnt(1)
	v_cndmask_b32_e32 v33, 0, v33, vcc_lo
	v_cmp_gt_u32_e32 vcc_lo, v51, v36
	v_cndmask_b32_e64 v33, v33, 0, vcc_lo
	s_delay_alu instid0(VALU_DEP_1)
	v_add_nc_u32_e32 v31, v31, v33
	s_waitcnt lgkmcnt(0)
	v_cndmask_b32_e64 v34, v34, 0, vcc_lo
	v_cmp_gt_u32_e32 vcc_lo, 16, v96
	ds_bpermute_b32 v33, v52, v31
	v_add_nc_u32_e32 v32, v32, v34
	v_cndmask_b32_e64 v42, 0, 1, vcc_lo
	ds_bpermute_b32 v34, v52, v32
	v_cmp_eq_u32_e32 vcc_lo, 0, v32
	v_lshlrev_b32_e32 v42, 4, v42
	s_delay_alu instid0(VALU_DEP_1) | instskip(SKIP_3) | instid1(VALU_DEP_2)
	v_add_lshl_u32 v54, v42, v96, 2
	s_waitcnt lgkmcnt(1)
	v_dual_mov_b32 v42, 0 :: v_dual_cndmask_b32 v33, 0, v33
	v_cmp_gt_u32_e32 vcc_lo, v53, v36
	v_cndmask_b32_e64 v33, v33, 0, vcc_lo
	s_delay_alu instid0(VALU_DEP_1)
	v_add_nc_u32_e32 v31, v31, v33
	s_waitcnt lgkmcnt(0)
	v_cndmask_b32_e64 v33, v34, 0, vcc_lo
	ds_bpermute_b32 v34, v54, v31
	v_add_nc_u32_e32 v32, v32, v33
	ds_bpermute_b32 v33, v54, v32
	v_cmp_eq_u32_e32 vcc_lo, 0, v32
	s_waitcnt lgkmcnt(1)
	v_cndmask_b32_e32 v34, 0, v34, vcc_lo
	v_cmp_gt_u32_e32 vcc_lo, v55, v36
	s_delay_alu instid0(VALU_DEP_2) | instskip(SKIP_2) | instid1(VALU_DEP_2)
	v_cndmask_b32_e64 v34, v34, 0, vcc_lo
	s_waitcnt lgkmcnt(0)
	v_cndmask_b32_e64 v33, v33, 0, vcc_lo
	v_add_nc_u32_e32 v34, v34, v31
	s_delay_alu instid0(VALU_DEP_2)
	v_add_nc_u32_e32 v33, v33, v32
	s_branch .LBB776_89
.LBB776_88:                             ;   in Loop: Header=BB776_89 Depth=1
	s_or_b32 exec_lo, exec_lo, s14
	v_and_b32_e32 v36, 0xff, v35
	ds_bpermute_b32 v43, v30, v33
	v_subrev_nc_u32_e32 v41, 32, v41
	v_cmp_eq_u16_e32 vcc_lo, 2, v36
	ds_bpermute_b32 v36, v30, v34
	v_and_or_b32 v44, vcc_lo, v47, 0x80000000
	v_cmp_eq_u32_e32 vcc_lo, 0, v33
	s_delay_alu instid0(VALU_DEP_2) | instskip(NEXT) | instid1(VALU_DEP_1)
	v_ctz_i32_b32_e32 v44, v44
	v_cmp_lt_u32_e64 s14, v96, v44
	s_delay_alu instid0(VALU_DEP_1) | instskip(SKIP_4) | instid1(VALU_DEP_2)
	s_and_b32 vcc_lo, s14, vcc_lo
	s_waitcnt lgkmcnt(1)
	v_cndmask_b32_e64 v43, 0, v43, s14
	s_waitcnt lgkmcnt(0)
	v_cndmask_b32_e32 v36, 0, v36, vcc_lo
	v_add_nc_u32_e32 v33, v43, v33
	s_delay_alu instid0(VALU_DEP_2)
	v_add_nc_u32_e32 v34, v36, v34
	ds_bpermute_b32 v43, v48, v33
	ds_bpermute_b32 v36, v48, v34
	v_cmp_eq_u32_e32 vcc_lo, 0, v33
	s_waitcnt lgkmcnt(0)
	v_cndmask_b32_e32 v36, 0, v36, vcc_lo
	v_cmp_gt_u32_e32 vcc_lo, v49, v44
	v_cndmask_b32_e64 v43, v43, 0, vcc_lo
	s_delay_alu instid0(VALU_DEP_1) | instskip(NEXT) | instid1(VALU_DEP_4)
	v_add_nc_u32_e32 v33, v33, v43
	v_cndmask_b32_e64 v36, v36, 0, vcc_lo
	ds_bpermute_b32 v43, v50, v33
	v_add_nc_u32_e32 v34, v36, v34
	v_cmp_eq_u32_e32 vcc_lo, 0, v33
	ds_bpermute_b32 v36, v50, v34
	s_waitcnt lgkmcnt(0)
	v_cndmask_b32_e32 v36, 0, v36, vcc_lo
	v_cmp_gt_u32_e32 vcc_lo, v51, v44
	v_cndmask_b32_e64 v43, v43, 0, vcc_lo
	s_delay_alu instid0(VALU_DEP_1) | instskip(NEXT) | instid1(VALU_DEP_4)
	v_add_nc_u32_e32 v33, v33, v43
	v_cndmask_b32_e64 v36, v36, 0, vcc_lo
	ds_bpermute_b32 v43, v52, v33
	v_add_nc_u32_e32 v34, v34, v36
	v_cmp_eq_u32_e32 vcc_lo, 0, v33
	ds_bpermute_b32 v36, v52, v34
	;; [unrolled: 11-line block ×3, first 2 shown]
	s_waitcnt lgkmcnt(0)
	v_cndmask_b32_e32 v36, 0, v36, vcc_lo
	v_cmp_gt_u32_e32 vcc_lo, v55, v44
	s_delay_alu instid0(VALU_DEP_2) | instskip(NEXT) | instid1(VALU_DEP_1)
	v_cndmask_b32_e64 v36, v36, 0, vcc_lo
	v_add_nc_u32_e32 v34, v36, v34
	v_cndmask_b32_e64 v36, v43, 0, vcc_lo
	v_cmp_eq_u32_e32 vcc_lo, 0, v31
	s_delay_alu instid0(VALU_DEP_2) | instskip(NEXT) | instid1(VALU_DEP_4)
	v_add3_u32 v33, v33, v31, v36
	v_cndmask_b32_e32 v34, 0, v34, vcc_lo
	s_delay_alu instid0(VALU_DEP_1)
	v_add_nc_u32_e32 v34, v34, v32
.LBB776_89:                             ; =>This Loop Header: Depth=1
                                        ;     Child Loop BB776_92 Depth 2
	s_delay_alu instid0(VALU_DEP_1) | instskip(NEXT) | instid1(VALU_DEP_1)
	v_dual_mov_b32 v32, v34 :: v_dual_and_b32 v31, 0xff, v35
	v_cmp_ne_u16_e32 vcc_lo, 2, v31
	v_cndmask_b32_e64 v31, 0, 1, vcc_lo
	;;#ASMSTART
	;;#ASMEND
	s_delay_alu instid0(VALU_DEP_1)
	v_cmp_ne_u32_e32 vcc_lo, 0, v31
	v_mov_b32_e32 v31, v33
	s_cmp_lg_u32 vcc_lo, exec_lo
	s_cbranch_scc1 .LBB776_94
; %bb.90:                               ;   in Loop: Header=BB776_89 Depth=1
	v_lshlrev_b64 v[33:34], 4, v[41:42]
	s_mov_b32 s14, exec_lo
	s_delay_alu instid0(VALU_DEP_1) | instskip(NEXT) | instid1(VALU_DEP_2)
	v_add_co_u32 v43, vcc_lo, s24, v33
	v_add_co_ci_u32_e32 v44, vcc_lo, s25, v34, vcc_lo
	;;#ASMSTART
	global_load_dwordx4 v[33:36], v[43:44] off glc	
s_waitcnt vmcnt(0)
	;;#ASMEND
	v_and_b32_e32 v36, 0xff, v34
	v_and_b32_e32 v56, 0xff00, v34
	;; [unrolled: 1-line block ×3, first 2 shown]
	v_or3_b32 v33, v33, 0, 0
	v_and_b32_e32 v34, 0xff000000, v34
	s_delay_alu instid0(VALU_DEP_4) | instskip(SKIP_1) | instid1(VALU_DEP_4)
	v_or3_b32 v36, 0, v36, v56
	v_and_b32_e32 v56, 0xff, v35
	v_or3_b32 v33, v33, 0, 0
	s_delay_alu instid0(VALU_DEP_3) | instskip(NEXT) | instid1(VALU_DEP_3)
	v_or3_b32 v34, v36, v57, v34
	v_cmpx_eq_u16_e32 0, v56
	s_cbranch_execz .LBB776_88
; %bb.91:                               ;   in Loop: Header=BB776_89 Depth=1
	s_mov_b32 s19, 0
.LBB776_92:                             ;   Parent Loop BB776_89 Depth=1
                                        ; =>  This Inner Loop Header: Depth=2
	;;#ASMSTART
	global_load_dwordx4 v[33:36], v[43:44] off glc	
s_waitcnt vmcnt(0)
	;;#ASMEND
	v_and_b32_e32 v36, 0xff, v35
	s_delay_alu instid0(VALU_DEP_1) | instskip(SKIP_1) | instid1(SALU_CYCLE_1)
	v_cmp_ne_u16_e32 vcc_lo, 0, v36
	s_or_b32 s19, vcc_lo, s19
	s_and_not1_b32 exec_lo, exec_lo, s19
	s_cbranch_execnz .LBB776_92
; %bb.93:                               ;   in Loop: Header=BB776_89 Depth=1
	s_or_b32 exec_lo, exec_lo, s19
	s_branch .LBB776_88
.LBB776_94:                             ;   in Loop: Header=BB776_89 Depth=1
                                        ; implicit-def: $vgpr34
                                        ; implicit-def: $vgpr33
                                        ; implicit-def: $vgpr35
	s_cbranch_execz .LBB776_89
; %bb.95:
	s_and_saveexec_b32 s14, s13
	s_cbranch_execz .LBB776_97
; %bb.96:
	v_cmp_eq_u32_e32 vcc_lo, 0, v29
	s_mov_b32 s27, 0
	s_add_i32 s26, s15, 32
	v_add_nc_u32_e32 v33, v31, v29
	s_lshl_b64 s[26:27], s[26:27], 4
	v_cndmask_b32_e32 v30, 0, v32, vcc_lo
	s_add_u32 s26, s24, s26
	s_addc_u32 s27, s25, s27
	v_mov_b32_e32 v36, 0
	s_delay_alu instid0(VALU_DEP_2) | instskip(NEXT) | instid1(VALU_DEP_1)
	v_add_nc_u32_e32 v30, s18, v30
	v_and_b32_e32 v34, 0xff000000, v30
	v_and_b32_e32 v35, 0xff0000, v30
	s_delay_alu instid0(VALU_DEP_1) | instskip(SKIP_3) | instid1(VALU_DEP_1)
	v_or_b32_e32 v34, v35, v34
	v_mov_b32_e32 v35, 2
	v_and_b32_e32 v41, 0xff00, v30
	v_and_b32_e32 v30, 0xff, v30
	v_or3_b32 v34, v34, v41, v30
	v_mov_b32_e32 v30, s18
	v_dual_mov_b32 v42, s27 :: v_dual_mov_b32 v41, s26
	;;#ASMSTART
	global_store_dwordx4 v[41:42], v[33:36] off	
s_waitcnt vmcnt(0)
	;;#ASMEND
	ds_store_b128 v36, v[29:32] offset:4096
.LBB776_97:
	s_or_b32 exec_lo, exec_lo, s14
	v_cmp_eq_u32_e32 vcc_lo, 0, v0
	s_and_b32 exec_lo, exec_lo, vcc_lo
	s_cbranch_execz .LBB776_99
; %bb.98:
	v_mov_b32_e32 v29, 0
	ds_store_b64 v29, v[31:32] offset:4168
.LBB776_99:
	s_or_b32 exec_lo, exec_lo, s17
	s_waitcnt lgkmcnt(1)
	v_cndmask_b32_e64 v32, v45, v39, s13
	s_waitcnt lgkmcnt(0)
	s_barrier
	buffer_gl0_inv
	v_cndmask_b32_e64 v33, v46, v40, s13
	v_cmp_eq_u32_e32 vcc_lo, 0, v32
	v_mov_b32_e32 v31, 0
	v_cmp_eq_u32_e64 s13, 0, v93
	ds_load_b64 v[29:30], v31 offset:4168
	s_waitcnt lgkmcnt(0)
	s_barrier
	buffer_gl0_inv
	v_cndmask_b32_e32 v34, 0, v30, vcc_lo
	v_cmp_eq_u32_e32 vcc_lo, 0, v0
	s_delay_alu instid0(VALU_DEP_2) | instskip(NEXT) | instid1(VALU_DEP_1)
	v_add_nc_u32_e32 v33, v34, v33
	v_cndmask_b32_e32 v56, v33, v30, vcc_lo
	s_delay_alu instid0(VALU_DEP_1) | instskip(NEXT) | instid1(VALU_DEP_1)
	v_cndmask_b32_e64 v30, 0, v56, s13
	v_add_nc_u32_e32 v62, v30, v92
	s_delay_alu instid0(VALU_DEP_1) | instskip(NEXT) | instid1(VALU_DEP_1)
	v_cndmask_b32_e64 v30, 0, v62, s12
	v_add_nc_u32_e32 v58, v30, v91
	;; [unrolled: 3-line block ×6, first 2 shown]
	v_cndmask_b32_e64 v30, v32, 0, vcc_lo
	s_delay_alu instid0(VALU_DEP_2) | instskip(NEXT) | instid1(VALU_DEP_2)
	v_cndmask_b32_e64 v32, 0, v42, s7
	v_add_nc_u32_e32 v55, v29, v30
	s_delay_alu instid0(VALU_DEP_2) | instskip(NEXT) | instid1(VALU_DEP_2)
	v_add_nc_u32_e32 v46, v32, v84
	v_add_nc_u32_e32 v61, v55, v93
	s_delay_alu instid0(VALU_DEP_2) | instskip(NEXT) | instid1(VALU_DEP_2)
	v_cndmask_b32_e64 v29, 0, v46, s6
	v_add_nc_u32_e32 v57, v61, v80
	s_delay_alu instid0(VALU_DEP_2) | instskip(NEXT) | instid1(VALU_DEP_2)
	v_add_nc_u32_e32 v50, v29, v82
	v_add_nc_u32_e32 v53, v57, v79
	;; [unrolled: 6-line block ×4, first 2 shown]
	s_delay_alu instid0(VALU_DEP_2) | instskip(NEXT) | instid1(VALU_DEP_2)
	v_cndmask_b32_e64 v29, 0, v36, s3
	v_add_nc_u32_e32 v49, v45, v74
	s_delay_alu instid0(VALU_DEP_2) | instskip(SKIP_3) | instid1(VALU_DEP_2)
	v_add_nc_u32_e32 v40, v29, v83
	ds_load_b128 v[29:32], v31 offset:4096
	v_add_nc_u32_e32 v33, v49, v73
	v_cndmask_b32_e64 v39, 0, v40, s2
	v_add_nc_u32_e32 v35, v33, v71
	s_delay_alu instid0(VALU_DEP_2) | instskip(NEXT) | instid1(VALU_DEP_2)
	v_add_nc_u32_e32 v64, v39, v81
	v_add_nc_u32_e32 v39, v35, v70
	s_delay_alu instid0(VALU_DEP_2) | instskip(NEXT) | instid1(VALU_DEP_2)
	v_cndmask_b32_e64 v51, 0, v64, s1
	v_add_nc_u32_e32 v63, v39, v69
	s_delay_alu instid0(VALU_DEP_2) | instskip(SKIP_2) | instid1(VALU_DEP_3)
	v_add_nc_u32_e32 v60, v51, v66
	s_waitcnt lgkmcnt(0)
	v_cmp_eq_u32_e32 vcc_lo, 0, v29
	v_add_nc_u32_e32 v59, v63, v68
	s_delay_alu instid0(VALU_DEP_3) | instskip(NEXT) | instid1(VALU_DEP_2)
	v_cndmask_b32_e64 v52, 0, v60, s0
	v_dual_cndmask_b32 v32, 0, v32 :: v_dual_add_nc_u32 v51, v59, v67
	s_delay_alu instid0(VALU_DEP_2) | instskip(NEXT) | instid1(VALU_DEP_2)
	v_add_nc_u32_e32 v52, v52, v65
	v_add_nc_u32_e32 v94, v32, v30
	s_branch .LBB776_112
.LBB776_100:
                                        ; implicit-def: $vgpr29
                                        ; implicit-def: $vgpr94
                                        ; implicit-def: $vgpr55_vgpr56
                                        ; implicit-def: $vgpr61_vgpr62
                                        ; implicit-def: $vgpr57_vgpr58
                                        ; implicit-def: $vgpr53_vgpr54
                                        ; implicit-def: $vgpr47_vgpr48
                                        ; implicit-def: $vgpr43_vgpr44
                                        ; implicit-def: $vgpr41_vgpr42
                                        ; implicit-def: $vgpr45_vgpr46
                                        ; implicit-def: $vgpr49_vgpr50
                                        ; implicit-def: $vgpr33_vgpr34
                                        ; implicit-def: $vgpr35_vgpr36
                                        ; implicit-def: $vgpr39_vgpr40
                                        ; implicit-def: $vgpr63_vgpr64
                                        ; implicit-def: $vgpr59_vgpr60
                                        ; implicit-def: $vgpr51_vgpr52
	s_cbranch_execz .LBB776_112
; %bb.101:
	s_and_b32 s0, s16, exec_lo
	v_mov_b32_e32 v51, v92
	s_cselect_b32 s1, 0, s35
	s_cselect_b32 s0, 0, s34
	s_delay_alu instid0(SALU_CYCLE_1)
	s_cmp_eq_u64 s[0:1], 0
	s_cbranch_scc1 .LBB776_103
; %bb.102:
	v_mov_b32_e32 v29, 0
	global_load_b32 v51, v29, s[0:1]
.LBB776_103:
	v_cmp_eq_u32_e64 s6, 0, v80
	v_cmp_eq_u32_e64 s7, 0, v79
	;; [unrolled: 1-line block ×5, first 2 shown]
	v_cndmask_b32_e64 v29, 0, v92, s6
	v_cmp_eq_u32_e64 s11, 0, v75
	v_cmp_eq_u32_e64 s5, 0, v74
	;; [unrolled: 1-line block ×4, first 2 shown]
	v_add_nc_u32_e32 v29, v29, v91
	v_cmp_eq_u32_e64 s2, 0, v70
	v_cmp_eq_u32_e64 s1, 0, v69
	v_cmp_eq_u32_e32 vcc_lo, 0, v68
	v_add3_u32 v30, v99, v76, v75
	v_cndmask_b32_e64 v29, 0, v29, s7
	v_cmp_eq_u32_e64 s0, 0, v67
	v_cmp_eq_u32_e64 s12, 0, v72
	v_and_b32_e32 v32, 15, v96
	v_add3_u32 v30, v30, v74, v73
	v_add_nc_u32_e32 v29, v29, v90
	s_delay_alu instid0(VALU_DEP_3) | instskip(NEXT) | instid1(VALU_DEP_3)
	v_cmp_lt_u32_e64 s13, 1, v32
	v_add3_u32 v30, v30, v71, v70
	s_delay_alu instid0(VALU_DEP_3) | instskip(NEXT) | instid1(VALU_DEP_2)
	v_cndmask_b32_e64 v29, 0, v29, s8
	v_add3_u32 v30, v30, v69, v68
	s_delay_alu instid0(VALU_DEP_2) | instskip(NEXT) | instid1(VALU_DEP_2)
	v_add_nc_u32_e32 v29, v29, v89
	v_add3_u32 v30, v30, v67, v72
	s_delay_alu instid0(VALU_DEP_2) | instskip(NEXT) | instid1(VALU_DEP_2)
	v_cndmask_b32_e64 v29, 0, v29, s9
	v_mov_b32_dpp v33, v30 row_shr:1 row_mask:0xf bank_mask:0xf
	s_delay_alu instid0(VALU_DEP_2) | instskip(NEXT) | instid1(VALU_DEP_1)
	v_add_nc_u32_e32 v29, v29, v87
	v_cndmask_b32_e64 v29, 0, v29, s10
	s_delay_alu instid0(VALU_DEP_1) | instskip(NEXT) | instid1(VALU_DEP_1)
	v_add_nc_u32_e32 v29, v29, v86
	v_cndmask_b32_e64 v29, 0, v29, s11
	s_delay_alu instid0(VALU_DEP_1) | instskip(NEXT) | instid1(VALU_DEP_1)
	;; [unrolled: 3-line block ×7, first 2 shown]
	v_add_nc_u32_e32 v29, v29, v81
	v_cndmask_b32_e32 v29, 0, v29, vcc_lo
	s_delay_alu instid0(VALU_DEP_1) | instskip(NEXT) | instid1(VALU_DEP_1)
	v_add_nc_u32_e32 v29, v29, v66
	v_cndmask_b32_e64 v29, 0, v29, s0
	s_delay_alu instid0(VALU_DEP_1) | instskip(NEXT) | instid1(VALU_DEP_1)
	v_add_nc_u32_e32 v29, v29, v65
	v_cndmask_b32_e64 v29, 0, v29, s12
	v_cmp_eq_u32_e64 s12, 0, v30
	s_delay_alu instid0(VALU_DEP_2) | instskip(NEXT) | instid1(VALU_DEP_1)
	v_add_nc_u32_e32 v29, v29, v95
	v_mov_b32_dpp v31, v29 row_shr:1 row_mask:0xf bank_mask:0xf
	s_delay_alu instid0(VALU_DEP_1) | instskip(SKIP_1) | instid1(VALU_DEP_1)
	v_cndmask_b32_e64 v31, 0, v31, s12
	v_cmp_eq_u32_e64 s12, 0, v32
	v_cndmask_b32_e64 v33, v33, 0, s12
	s_delay_alu instid0(VALU_DEP_3) | instskip(NEXT) | instid1(VALU_DEP_2)
	v_cndmask_b32_e64 v31, v31, 0, s12
	v_add_nc_u32_e32 v30, v33, v30
	s_delay_alu instid0(VALU_DEP_2) | instskip(NEXT) | instid1(VALU_DEP_2)
	v_add_nc_u32_e32 v29, v31, v29
	v_mov_b32_dpp v31, v30 row_shr:2 row_mask:0xf bank_mask:0xf
	v_cmp_eq_u32_e64 s12, 0, v30
	s_delay_alu instid0(VALU_DEP_3) | instskip(NEXT) | instid1(VALU_DEP_3)
	v_mov_b32_dpp v33, v29 row_shr:2 row_mask:0xf bank_mask:0xf
	v_cndmask_b32_e64 v31, 0, v31, s13
	s_delay_alu instid0(VALU_DEP_3) | instskip(SKIP_1) | instid1(VALU_DEP_3)
	s_and_b32 s12, s13, s12
	v_cmp_lt_u32_e64 s13, 3, v32
	v_cndmask_b32_e64 v33, 0, v33, s12
	s_delay_alu instid0(VALU_DEP_3) | instskip(NEXT) | instid1(VALU_DEP_2)
	v_add_nc_u32_e32 v30, v30, v31
	v_add_nc_u32_e32 v29, v33, v29
	s_delay_alu instid0(VALU_DEP_2) | instskip(SKIP_1) | instid1(VALU_DEP_3)
	v_mov_b32_dpp v31, v30 row_shr:4 row_mask:0xf bank_mask:0xf
	v_cmp_eq_u32_e64 s12, 0, v30
	v_mov_b32_dpp v33, v29 row_shr:4 row_mask:0xf bank_mask:0xf
	s_delay_alu instid0(VALU_DEP_3) | instskip(NEXT) | instid1(VALU_DEP_3)
	v_cndmask_b32_e64 v31, 0, v31, s13
	s_and_b32 s12, s13, s12
	v_cmp_lt_u32_e64 s13, 7, v32
	s_delay_alu instid0(VALU_DEP_3) | instskip(NEXT) | instid1(VALU_DEP_3)
	v_cndmask_b32_e64 v33, 0, v33, s12
	v_add_nc_u32_e32 v30, v31, v30
	s_delay_alu instid0(VALU_DEP_2) | instskip(SKIP_1) | instid1(VALU_DEP_3)
	v_add_nc_u32_e32 v29, v29, v33
	v_bfe_i32 v33, v96, 4, 1
	v_cmp_eq_u32_e64 s12, 0, v30
	v_mov_b32_dpp v31, v30 row_shr:8 row_mask:0xf bank_mask:0xf
	s_delay_alu instid0(VALU_DEP_4) | instskip(NEXT) | instid1(VALU_DEP_3)
	v_mov_b32_dpp v32, v29 row_shr:8 row_mask:0xf bank_mask:0xf
	s_and_b32 s12, s13, s12
	s_delay_alu instid0(VALU_DEP_2) | instskip(SKIP_1) | instid1(VALU_DEP_2)
	v_cndmask_b32_e64 v31, 0, v31, s13
	s_mov_b32 s13, exec_lo
	v_cndmask_b32_e64 v32, 0, v32, s12
	s_delay_alu instid0(VALU_DEP_1) | instskip(NEXT) | instid1(VALU_DEP_3)
	v_add_nc_u32_e32 v32, v32, v29
	v_add_nc_u32_e32 v29, v31, v30
	ds_swizzle_b32 v30, v32 offset:swizzle(BROADCAST,32,15)
	ds_swizzle_b32 v31, v29 offset:swizzle(BROADCAST,32,15)
	v_cmp_eq_u32_e64 s12, 0, v29
	s_waitcnt lgkmcnt(1)
	s_delay_alu instid0(VALU_DEP_1) | instskip(SKIP_2) | instid1(VALU_DEP_2)
	v_cndmask_b32_e64 v30, 0, v30, s12
	s_waitcnt lgkmcnt(0)
	v_and_b32_e32 v31, v33, v31
	v_and_b32_e32 v30, v33, v30
	s_delay_alu instid0(VALU_DEP_2) | instskip(NEXT) | instid1(VALU_DEP_2)
	v_add_nc_u32_e32 v29, v31, v29
	v_add_nc_u32_e32 v30, v30, v32
	v_lshlrev_b32_e32 v32, 3, v97
	v_cmpx_eq_u32_e64 v98, v0
	s_cbranch_execz .LBB776_105
; %bb.104:
	ds_store_b64 v32, v[29:30] offset:4112
.LBB776_105:
	s_or_b32 exec_lo, exec_lo, s13
	s_delay_alu instid0(SALU_CYCLE_1)
	s_mov_b32 s14, exec_lo
	s_waitcnt vmcnt(0) lgkmcnt(0)
	s_barrier
	buffer_gl0_inv
	v_cmpx_gt_u32_e32 8, v0
	s_cbranch_execz .LBB776_107
; %bb.106:
	v_lshlrev_b32_e32 v31, 3, v0
	v_and_b32_e32 v36, 7, v96
	ds_load_b64 v[33:34], v31 offset:4112
	v_cmp_lt_u32_e64 s13, 1, v36
	s_waitcnt lgkmcnt(0)
	v_mov_b32_dpp v35, v34 row_shr:1 row_mask:0xf bank_mask:0xf
	v_cmp_eq_u32_e64 s12, 0, v33
	v_mov_b32_dpp v39, v33 row_shr:1 row_mask:0xf bank_mask:0xf
	s_delay_alu instid0(VALU_DEP_2) | instskip(SKIP_1) | instid1(VALU_DEP_1)
	v_cndmask_b32_e64 v35, 0, v35, s12
	v_cmp_eq_u32_e64 s12, 0, v36
	v_cndmask_b32_e64 v39, v39, 0, s12
	s_delay_alu instid0(VALU_DEP_3) | instskip(NEXT) | instid1(VALU_DEP_2)
	v_cndmask_b32_e64 v35, v35, 0, s12
	v_add_nc_u32_e32 v33, v39, v33
	s_delay_alu instid0(VALU_DEP_2) | instskip(NEXT) | instid1(VALU_DEP_2)
	v_add_nc_u32_e32 v34, v35, v34
	v_mov_b32_dpp v35, v33 row_shr:2 row_mask:0xf bank_mask:0xf
	v_cmp_eq_u32_e64 s12, 0, v33
	s_delay_alu instid0(VALU_DEP_3) | instskip(NEXT) | instid1(VALU_DEP_3)
	v_mov_b32_dpp v39, v34 row_shr:2 row_mask:0xf bank_mask:0xf
	v_cndmask_b32_e64 v35, 0, v35, s13
	s_delay_alu instid0(VALU_DEP_3) | instskip(SKIP_1) | instid1(VALU_DEP_3)
	s_and_b32 s12, s13, s12
	v_cmp_lt_u32_e64 s13, 3, v36
	v_cndmask_b32_e64 v39, 0, v39, s12
	s_delay_alu instid0(VALU_DEP_3) | instskip(NEXT) | instid1(VALU_DEP_2)
	v_add_nc_u32_e32 v33, v35, v33
	v_add_nc_u32_e32 v34, v39, v34
	s_delay_alu instid0(VALU_DEP_2) | instskip(SKIP_1) | instid1(VALU_DEP_3)
	v_cmp_eq_u32_e64 s12, 0, v33
	v_mov_b32_dpp v35, v33 row_shr:4 row_mask:0xf bank_mask:0xf
	v_mov_b32_dpp v36, v34 row_shr:4 row_mask:0xf bank_mask:0xf
	s_delay_alu instid0(VALU_DEP_3) | instskip(NEXT) | instid1(VALU_DEP_2)
	s_and_b32 s12, s13, s12
	v_cndmask_b32_e64 v35, 0, v35, s13
	s_delay_alu instid0(VALU_DEP_2) | instskip(NEXT) | instid1(VALU_DEP_2)
	v_cndmask_b32_e64 v36, 0, v36, s12
	v_add_nc_u32_e32 v33, v35, v33
	s_delay_alu instid0(VALU_DEP_2)
	v_add_nc_u32_e32 v34, v36, v34
	ds_store_b64 v31, v[33:34] offset:4112
.LBB776_107:
	s_or_b32 exec_lo, exec_lo, s14
	v_mov_b32_e32 v35, 0
	v_mov_b32_e32 v31, 0
	;; [unrolled: 1-line block ×3, first 2 shown]
	s_mov_b32 s13, exec_lo
	s_waitcnt lgkmcnt(0)
	s_barrier
	buffer_gl0_inv
	v_cmpx_lt_u32_e32 31, v0
	s_cbranch_execz .LBB776_109
; %bb.108:
	ds_load_b64 v[31:32], v32 offset:4104
	s_waitcnt lgkmcnt(0)
	v_cmp_eq_u32_e64 s12, 0, v31
	s_delay_alu instid0(VALU_DEP_1) | instskip(NEXT) | instid1(VALU_DEP_1)
	v_cndmask_b32_e64 v33, 0, v51, s12
	v_add_nc_u32_e32 v33, v33, v32
.LBB776_109:
	s_or_b32 exec_lo, exec_lo, s13
	v_add_nc_u32_e32 v32, -1, v96
	v_cmp_eq_u32_e64 s13, 0, v93
	s_delay_alu instid0(VALU_DEP_2) | instskip(NEXT) | instid1(VALU_DEP_1)
	v_cmp_gt_i32_e64 s12, 0, v32
	v_cndmask_b32_e64 v32, v32, v96, s12
	v_cmp_eq_u32_e64 s12, 0, v29
	v_add_nc_u32_e32 v29, v31, v29
	s_delay_alu instid0(VALU_DEP_3) | instskip(NEXT) | instid1(VALU_DEP_3)
	v_lshlrev_b32_e32 v32, 2, v32
	v_cndmask_b32_e64 v34, 0, v33, s12
	v_cmp_eq_u32_e64 s12, 0, v96
	ds_bpermute_b32 v29, v32, v29
	v_add_nc_u32_e32 v30, v34, v30
	ds_bpermute_b32 v30, v32, v30
	s_waitcnt lgkmcnt(1)
	v_cndmask_b32_e64 v29, v29, v31, s12
	s_waitcnt lgkmcnt(0)
	v_cndmask_b32_e64 v30, v30, v33, s12
	v_cmp_eq_u32_e64 s12, 0, v0
	s_delay_alu instid0(VALU_DEP_1) | instskip(SKIP_1) | instid1(VALU_DEP_2)
	v_cndmask_b32_e64 v56, v30, v51, s12
	v_cndmask_b32_e64 v55, v29, 0, s12
	;; [unrolled: 1-line block ×3, first 2 shown]
	s_delay_alu instid0(VALU_DEP_2) | instskip(NEXT) | instid1(VALU_DEP_2)
	v_add_nc_u32_e32 v61, v55, v93
	v_add_nc_u32_e32 v62, v30, v92
	s_delay_alu instid0(VALU_DEP_2) | instskip(NEXT) | instid1(VALU_DEP_2)
	v_add_nc_u32_e32 v57, v61, v80
	v_cndmask_b32_e64 v30, 0, v62, s6
	s_delay_alu instid0(VALU_DEP_2) | instskip(NEXT) | instid1(VALU_DEP_2)
	v_add_nc_u32_e32 v53, v57, v79
	v_add_nc_u32_e32 v58, v30, v91
	s_delay_alu instid0(VALU_DEP_2) | instskip(NEXT) | instid1(VALU_DEP_2)
	v_add_nc_u32_e32 v47, v53, v78
	v_cndmask_b32_e64 v30, 0, v58, s7
	;; [unrolled: 6-line block ×4, first 2 shown]
	s_delay_alu instid0(VALU_DEP_2) | instskip(NEXT) | instid1(VALU_DEP_2)
	v_add_nc_u32_e32 v33, v49, v73
	v_add_nc_u32_e32 v44, v30, v87
	s_delay_alu instid0(VALU_DEP_1) | instskip(NEXT) | instid1(VALU_DEP_1)
	v_cndmask_b32_e64 v30, 0, v44, s10
	v_add_nc_u32_e32 v42, v30, v86
	s_delay_alu instid0(VALU_DEP_1) | instskip(NEXT) | instid1(VALU_DEP_1)
	v_cndmask_b32_e64 v30, 0, v42, s11
	;; [unrolled: 3-line block ×6, first 2 shown]
	v_add_nc_u32_e32 v40, v29, v83
	ds_load_b64 v[29:30], v35 offset:4168
	v_add_nc_u32_e32 v35, v33, v71
	v_cndmask_b32_e64 v31, 0, v40, s1
	s_delay_alu instid0(VALU_DEP_2) | instskip(NEXT) | instid1(VALU_DEP_2)
	v_add_nc_u32_e32 v39, v35, v70
	v_add_nc_u32_e32 v64, v31, v81
	s_delay_alu instid0(VALU_DEP_2) | instskip(NEXT) | instid1(VALU_DEP_2)
	v_add_nc_u32_e32 v63, v39, v69
	v_cndmask_b32_e32 v31, 0, v64, vcc_lo
	s_delay_alu instid0(VALU_DEP_2) | instskip(NEXT) | instid1(VALU_DEP_2)
	v_add_nc_u32_e32 v59, v63, v68
	v_add_nc_u32_e32 v60, v31, v66
	s_waitcnt lgkmcnt(0)
	v_cmp_eq_u32_e32 vcc_lo, 0, v29
	s_delay_alu instid0(VALU_DEP_2) | instskip(SKIP_2) | instid1(VALU_DEP_3)
	v_cndmask_b32_e64 v31, 0, v60, s0
	v_cndmask_b32_e32 v32, 0, v51, vcc_lo
	v_add_nc_u32_e32 v51, v59, v67
	v_add_nc_u32_e32 v52, v31, v65
	s_delay_alu instid0(VALU_DEP_3)
	v_add_nc_u32_e32 v94, v32, v30
	s_and_saveexec_b32 s0, s12
	s_cbranch_execz .LBB776_111
; %bb.110:
	s_delay_alu instid0(VALU_DEP_1)
	v_and_b32_e32 v30, 0xff000000, v94
	v_dual_mov_b32 v32, 0 :: v_dual_and_b32 v31, 0xff0000, v94
	s_add_u32 s2, s24, 0x200
	v_and_b32_e32 v65, 0xff00, v94
	s_addc_u32 s3, s25, 0
	v_and_b32_e32 v66, 0xff, v94
	v_or_b32_e32 v30, v31, v30
	v_mov_b32_e32 v31, 2
	s_delay_alu instid0(VALU_DEP_2)
	v_or3_b32 v30, v30, v65, v66
	v_dual_mov_b32 v66, s3 :: v_dual_mov_b32 v65, s2
	;;#ASMSTART
	global_store_dwordx4 v[65:66], v[29:32] off	
s_waitcnt vmcnt(0)
	;;#ASMEND
.LBB776_111:
	s_or_b32 exec_lo, exec_lo, s0
	v_mov_b32_e32 v31, 0
.LBB776_112:
	v_mov_b32_e32 v65, 0
	s_and_b32 s0, s16, exec_lo
	v_mov_b32_e32 v66, 0
	s_cselect_b32 s1, 0, s43
	s_cselect_b32 s0, 0, s42
	s_delay_alu instid0(SALU_CYCLE_1)
	s_cmp_eq_u64 s[0:1], 0
	s_barrier
	buffer_gl0_inv
	s_cbranch_scc1 .LBB776_114
; %bb.113:
	v_mov_b32_e32 v30, 0
	global_load_b64 v[65:66], v30, s[0:1]
.LBB776_114:
	v_cmp_eq_u32_e32 vcc_lo, 0, v93
	v_cmp_ne_u32_e64 s14, 0, v93
	v_cmp_ne_u32_e64 s13, 0, v80
	;; [unrolled: 1-line block ×4, first 2 shown]
	v_cndmask_b32_e64 v30, 1, 2, vcc_lo
	v_cmp_eq_u32_e32 vcc_lo, 0, v80
	v_cmp_ne_u32_e64 s10, 0, v77
	v_cmp_ne_u32_e64 s9, 0, v76
	v_cmp_ne_u32_e64 s7, 0, v75
	v_cmp_ne_u32_e64 s5, 0, v74
	v_cndmask_b32_e64 v32, 1, 2, vcc_lo
	v_cmp_eq_u32_e32 vcc_lo, 0, v79
	v_cmp_ne_u32_e64 s8, 0, v73
	v_cmp_ne_u32_e64 s6, 0, v71
	;; [unrolled: 1-line block ×3, first 2 shown]
	v_and_b32_e32 v30, v32, v30
	v_cndmask_b32_e64 v81, 1, 2, vcc_lo
	v_cmp_eq_u32_e32 vcc_lo, 0, v78
	v_cmp_ne_u32_e64 s3, 0, v69
	v_cmp_ne_u32_e64 s2, 0, v68
	v_cmp_ne_u32_e64 s1, 0, v67
	v_and_b32_e32 v30, v30, v81
	v_cndmask_b32_e64 v32, 1, 2, vcc_lo
	v_cmp_eq_u32_e32 vcc_lo, 0, v77
	v_cmp_ne_u32_e64 s0, 0, v72
	s_mov_b32 s16, -1
	s_delay_alu instid0(VALU_DEP_3) | instskip(SKIP_2) | instid1(VALU_DEP_2)
	v_and_b32_e32 v30, v30, v32
	v_cndmask_b32_e64 v81, 1, 2, vcc_lo
	v_cmp_eq_u32_e32 vcc_lo, 0, v76
	v_and_b32_e32 v30, v30, v81
	v_cndmask_b32_e64 v32, 1, 2, vcc_lo
	v_cmp_eq_u32_e32 vcc_lo, 0, v75
	s_waitcnt vmcnt(0)
	v_lshlrev_b64 v[81:82], 3, v[65:66]
	s_delay_alu instid0(VALU_DEP_3) | instskip(SKIP_2) | instid1(VALU_DEP_2)
	v_and_b32_e32 v30, v30, v32
	v_cndmask_b32_e64 v83, 1, 2, vcc_lo
	v_cmp_eq_u32_e32 vcc_lo, 0, v74
	v_and_b32_e32 v30, v30, v83
	v_cndmask_b32_e64 v84, 1, 2, vcc_lo
	v_cmp_eq_u32_e32 vcc_lo, 0, v73
	s_delay_alu instid0(VALU_DEP_2) | instskip(SKIP_2) | instid1(VALU_DEP_2)
	v_and_b32_e32 v30, v30, v84
	v_cndmask_b32_e64 v83, 1, 2, vcc_lo
	v_cmp_eq_u32_e32 vcc_lo, 0, v71
	v_and_b32_e32 v30, v30, v83
	v_cndmask_b32_e64 v84, 1, 2, vcc_lo
	v_cmp_eq_u32_e32 vcc_lo, 0, v70
	s_delay_alu instid0(VALU_DEP_2) | instskip(SKIP_2) | instid1(VALU_DEP_2)
	v_and_b32_e32 v30, v30, v84
	v_cndmask_b32_e64 v83, 1, 2, vcc_lo
	v_cmp_eq_u32_e32 vcc_lo, 0, v69
	v_and_b32_e32 v30, v30, v83
	v_cndmask_b32_e64 v85, 1, 2, vcc_lo
	v_cmp_eq_u32_e32 vcc_lo, 0, v68
	s_delay_alu instid0(VALU_DEP_2) | instskip(SKIP_3) | instid1(VALU_DEP_3)
	v_and_b32_e32 v30, v30, v85
	v_cndmask_b32_e64 v86, 1, 2, vcc_lo
	v_mov_b32_e32 v32, 0
	v_cmp_eq_u32_e32 vcc_lo, 0, v67
	v_and_b32_e32 v85, v30, v86
	s_delay_alu instid0(VALU_DEP_3) | instskip(SKIP_3) | instid1(VALU_DEP_2)
	v_lshlrev_b64 v[83:84], 3, v[31:32]
	v_cndmask_b32_e64 v87, 1, 2, vcc_lo
	v_add_co_u32 v81, vcc_lo, s22, v81
	v_add_co_ci_u32_e32 v82, vcc_lo, s23, v82, vcc_lo
	v_add_co_u32 v30, vcc_lo, v81, v83
	s_delay_alu instid0(VALU_DEP_2) | instskip(SKIP_4) | instid1(VALU_DEP_2)
	v_add_co_ci_u32_e32 v81, vcc_lo, v82, v84, vcc_lo
	v_cmp_eq_u32_e32 vcc_lo, 0, v72
	v_and_b32_e32 v82, v85, v87
	v_cndmask_b32_e64 v83, 1, 2, vcc_lo
	v_cmp_gt_u32_e32 vcc_lo, 0x100, v29
	v_and_b32_e32 v82, v82, v83
	s_delay_alu instid0(VALU_DEP_1)
	v_cmp_gt_i16_e64 s15, 2, v82
	s_cbranch_vccz .LBB776_163
; %bb.115:
	s_delay_alu instid0(VALU_DEP_1)
	s_and_saveexec_b32 s16, s15
	s_cbranch_execz .LBB776_162
; %bb.116:
	s_mov_b32 s17, 0
	s_mov_b32 s15, exec_lo
	v_cmpx_ne_u16_e32 1, v82
	s_xor_b32 s15, exec_lo, s15
	s_cbranch_execz .LBB776_140
; %bb.117:
	s_and_saveexec_b32 s17, s14
	s_cbranch_execz .LBB776_145
; %bb.118:
	v_sub_nc_u32_e32 v83, v55, v31
	v_mov_b32_e32 v84, 0
	s_delay_alu instid0(VALU_DEP_1) | instskip(NEXT) | instid1(VALU_DEP_1)
	v_lshlrev_b64 v[83:84], 3, v[83:84]
	v_add_co_u32 v83, vcc_lo, v30, v83
	s_delay_alu instid0(VALU_DEP_2)
	v_add_co_ci_u32_e32 v84, vcc_lo, v81, v84, vcc_lo
	global_store_b64 v[83:84], v[25:26], off
	s_or_b32 exec_lo, exec_lo, s17
	s_and_saveexec_b32 s17, s13
	s_cbranch_execnz .LBB776_146
.LBB776_119:
	s_or_b32 exec_lo, exec_lo, s17
	s_and_saveexec_b32 s17, s12
	s_cbranch_execz .LBB776_147
.LBB776_120:
	v_sub_nc_u32_e32 v83, v57, v31
	v_mov_b32_e32 v84, 0
	s_delay_alu instid0(VALU_DEP_1) | instskip(NEXT) | instid1(VALU_DEP_1)
	v_lshlrev_b64 v[83:84], 3, v[83:84]
	v_add_co_u32 v83, vcc_lo, v30, v83
	s_delay_alu instid0(VALU_DEP_2)
	v_add_co_ci_u32_e32 v84, vcc_lo, v81, v84, vcc_lo
	global_store_b64 v[83:84], v[21:22], off
	s_or_b32 exec_lo, exec_lo, s17
	s_and_saveexec_b32 s17, s11
	s_cbranch_execnz .LBB776_148
.LBB776_121:
	s_or_b32 exec_lo, exec_lo, s17
	s_and_saveexec_b32 s17, s10
	s_cbranch_execz .LBB776_149
.LBB776_122:
	v_sub_nc_u32_e32 v83, v47, v31
	v_mov_b32_e32 v84, 0
	s_delay_alu instid0(VALU_DEP_1) | instskip(NEXT) | instid1(VALU_DEP_1)
	v_lshlrev_b64 v[83:84], 3, v[83:84]
	v_add_co_u32 v83, vcc_lo, v30, v83
	s_delay_alu instid0(VALU_DEP_2)
	v_add_co_ci_u32_e32 v84, vcc_lo, v81, v84, vcc_lo
	global_store_b64 v[83:84], v[17:18], off
	s_or_b32 exec_lo, exec_lo, s17
	s_and_saveexec_b32 s17, s9
	s_cbranch_execnz .LBB776_150
.LBB776_123:
	s_or_b32 exec_lo, exec_lo, s17
	s_and_saveexec_b32 s17, s7
	s_cbranch_execz .LBB776_151
.LBB776_124:
	v_sub_nc_u32_e32 v83, v41, v31
	v_mov_b32_e32 v84, 0
	s_delay_alu instid0(VALU_DEP_1) | instskip(NEXT) | instid1(VALU_DEP_1)
	v_lshlrev_b64 v[83:84], 3, v[83:84]
	v_add_co_u32 v83, vcc_lo, v30, v83
	s_delay_alu instid0(VALU_DEP_2)
	v_add_co_ci_u32_e32 v84, vcc_lo, v81, v84, vcc_lo
	global_store_b64 v[83:84], v[13:14], off
	s_or_b32 exec_lo, exec_lo, s17
	s_and_saveexec_b32 s17, s5
	s_cbranch_execnz .LBB776_152
.LBB776_125:
	s_or_b32 exec_lo, exec_lo, s17
	s_and_saveexec_b32 s17, s8
	s_cbranch_execz .LBB776_153
.LBB776_126:
	v_sub_nc_u32_e32 v83, v49, v31
	v_mov_b32_e32 v84, 0
	s_delay_alu instid0(VALU_DEP_1) | instskip(NEXT) | instid1(VALU_DEP_1)
	v_lshlrev_b64 v[83:84], 3, v[83:84]
	v_add_co_u32 v83, vcc_lo, v30, v83
	s_delay_alu instid0(VALU_DEP_2)
	v_add_co_ci_u32_e32 v84, vcc_lo, v81, v84, vcc_lo
	global_store_b64 v[83:84], v[9:10], off
	s_or_b32 exec_lo, exec_lo, s17
	s_and_saveexec_b32 s17, s6
	s_cbranch_execnz .LBB776_154
.LBB776_127:
	s_or_b32 exec_lo, exec_lo, s17
	s_and_saveexec_b32 s17, s4
	s_cbranch_execz .LBB776_155
.LBB776_128:
	v_sub_nc_u32_e32 v83, v35, v31
	v_mov_b32_e32 v84, 0
	s_delay_alu instid0(VALU_DEP_1) | instskip(NEXT) | instid1(VALU_DEP_1)
	v_lshlrev_b64 v[83:84], 3, v[83:84]
	v_add_co_u32 v83, vcc_lo, v30, v83
	s_delay_alu instid0(VALU_DEP_2)
	v_add_co_ci_u32_e32 v84, vcc_lo, v81, v84, vcc_lo
	global_store_b64 v[83:84], v[5:6], off
	s_or_b32 exec_lo, exec_lo, s17
	s_and_saveexec_b32 s17, s3
	s_cbranch_execnz .LBB776_156
.LBB776_129:
	s_or_b32 exec_lo, exec_lo, s17
	s_and_saveexec_b32 s17, s2
	s_cbranch_execz .LBB776_157
.LBB776_130:
	v_sub_nc_u32_e32 v83, v63, v31
	v_mov_b32_e32 v84, 0
	s_delay_alu instid0(VALU_DEP_1) | instskip(NEXT) | instid1(VALU_DEP_1)
	v_lshlrev_b64 v[83:84], 3, v[83:84]
	v_add_co_u32 v83, vcc_lo, v30, v83
	s_delay_alu instid0(VALU_DEP_2)
	v_add_co_ci_u32_e32 v84, vcc_lo, v81, v84, vcc_lo
	global_store_b64 v[83:84], v[1:2], off
	s_or_b32 exec_lo, exec_lo, s17
	s_and_saveexec_b32 s17, s1
	s_cbranch_execnz .LBB776_158
	s_branch .LBB776_159
.LBB776_131:
	s_mov_b32 s30, 0
                                        ; implicit-def: $sgpr0
                                        ; implicit-def: $vgpr72
                                        ; implicit-def: $vgpr67
                                        ; implicit-def: $vgpr68
                                        ; implicit-def: $vgpr69
                                        ; implicit-def: $vgpr70
                                        ; implicit-def: $vgpr71
                                        ; implicit-def: $vgpr73
                                        ; implicit-def: $vgpr74
                                        ; implicit-def: $vgpr75
                                        ; implicit-def: $vgpr76
                                        ; implicit-def: $vgpr77
                                        ; implicit-def: $vgpr78
                                        ; implicit-def: $vgpr79
                                        ; implicit-def: $vgpr80
	s_cbranch_execz .LBB776_70
.LBB776_132:
	v_cmp_ne_u64_e32 vcc_lo, v[3:4], v[37:38]
	v_lshlrev_b32_e32 v30, 3, v0
	s_mov_b32 s1, exec_lo
                                        ; implicit-def: $sgpr0
	ds_store_b64 v30, v[37:38]
	v_cndmask_b32_e64 v72, 0, 1, vcc_lo
	v_cmp_ne_u64_e32 vcc_lo, v[1:2], v[3:4]
	s_waitcnt lgkmcnt(0)
	s_barrier
	buffer_gl0_inv
	v_cndmask_b32_e64 v67, 0, 1, vcc_lo
	v_cmp_ne_u64_e32 vcc_lo, v[7:8], v[1:2]
	v_cndmask_b32_e64 v68, 0, 1, vcc_lo
	v_cmp_ne_u64_e32 vcc_lo, v[5:6], v[7:8]
	;; [unrolled: 2-line block ×12, first 2 shown]
	v_cndmask_b32_e64 v80, 0, 1, vcc_lo
	v_cmpx_ne_u32_e32 0, v0
	s_xor_b32 s1, exec_lo, s1
	s_cbranch_execz .LBB776_134
; %bb.133:
	v_add_nc_u32_e32 v30, -8, v30
	s_or_b32 s30, s30, exec_lo
	ds_load_b64 v[58:59], v30
	s_waitcnt lgkmcnt(0)
	v_cmp_ne_u64_e32 vcc_lo, v[58:59], v[25:26]
	s_and_b32 s0, vcc_lo, exec_lo
.LBB776_134:
	s_or_b32 exec_lo, exec_lo, s1
	s_mov_b32 s1, 1
	s_branch .LBB776_72
.LBB776_135:
	s_mul_hi_u32 s0, s16, 0xfffff100
	s_mul_i32 s1, s17, 0xfffff100
	s_sub_i32 s0, s0, s16
	s_mul_i32 s2, s16, 0xfffff100
	s_add_i32 s0, s0, s1
	s_add_u32 s18, s2, s40
	v_cmp_ne_u64_e64 s13, v[3:4], v[37:38]
	v_cmp_ne_u64_e64 s14, v[1:2], v[3:4]
	v_cmp_ne_u64_e64 s12, v[7:8], v[1:2]
	v_cmp_ne_u64_e64 s11, v[5:6], v[7:8]
	v_cmp_ne_u64_e64 s7, v[11:12], v[5:6]
	v_cmp_ne_u64_e64 s8, v[9:10], v[11:12]
	v_cmp_ne_u64_e64 s9, v[15:16], v[9:10]
	v_cmp_ne_u64_e64 s10, v[13:14], v[15:16]
	v_cmp_ne_u64_e64 s1, v[19:20], v[13:14]
	v_cmp_ne_u64_e64 s2, v[17:18], v[19:20]
	v_cmp_ne_u64_e64 s3, v[23:24], v[17:18]
	v_cmp_ne_u64_e64 s4, v[21:22], v[23:24]
	v_cmp_ne_u64_e64 s5, v[27:28], v[21:22]
	v_cmp_ne_u64_e64 s6, v[25:26], v[27:28]
	s_addc_u32 s19, s0, s41
	v_cmp_ne_u32_e64 s0, 0, v0
	s_and_b32 vcc_lo, exec_lo, s31
	s_cbranch_vccz .LBB776_142
; %bb.136:
	v_add_co_u32 v58, s16, -8, s33
	s_delay_alu instid0(VALU_DEP_1)
	v_add_co_ci_u32_e64 v59, null, -1, s29, s16
	v_mov_b32_e32 v30, 0
	v_lshlrev_b32_e32 v62, 3, v0
	v_mul_u32_u24_e32 v61, 15, v0
	flat_load_b64 v[59:60], v[58:59]
	s_mov_b32 s30, -1
	v_cmp_gt_u64_e32 vcc_lo, s[18:19], v[29:30]
	v_mov_b32_e32 v58, v30
	v_mov_b32_e32 v56, v30
	;; [unrolled: 1-line block ×5, first 2 shown]
	v_cmp_gt_u64_e64 s16, s[18:19], v[57:58]
	s_and_b32 s29, vcc_lo, s13
	v_cmp_gt_u64_e32 vcc_lo, s[18:19], v[55:56]
	v_mov_b32_e32 v48, v30
	v_mov_b32_e32 v46, v30
	v_cmp_gt_u64_e64 s13, s[18:19], v[53:54]
	s_and_b32 s31, s16, s14
	v_mov_b32_e32 v44, v30
	s_and_b32 s33, vcc_lo, s12
	v_cmp_gt_u64_e32 vcc_lo, s[18:19], v[51:52]
	v_cmp_gt_u64_e64 s12, s[18:19], v[49:50]
	v_cmp_gt_u64_e64 s14, s[18:19], v[47:48]
	;; [unrolled: 1-line block ×3, first 2 shown]
	v_mov_b32_e32 v42, v30
	v_mov_b32_e32 v40, v30
	;; [unrolled: 1-line block ×5, first 2 shown]
	s_and_b32 s13, s13, s11
	s_and_b32 s40, vcc_lo, s7
	s_and_b32 s41, s12, s8
	s_and_b32 s14, s14, s9
	;; [unrolled: 1-line block ×3, first 2 shown]
	v_cmp_gt_u64_e32 vcc_lo, s[18:19], v[43:44]
	v_cmp_gt_u64_e64 s7, s[18:19], v[41:42]
	v_cmp_gt_u64_e64 s8, s[18:19], v[39:40]
	;; [unrolled: 1-line block ×5, first 2 shown]
	s_mov_b32 s17, 0
	s_and_b32 s16, vcc_lo, s1
	s_and_b32 s7, s7, s2
	s_and_b32 s8, s8, s3
	;; [unrolled: 1-line block ×5, first 2 shown]
	ds_store_b64 v62, v[37:38]
	s_waitcnt vmcnt(0) lgkmcnt(0)
	s_barrier
	buffer_gl0_inv
	s_and_saveexec_b32 s4, s0
	s_cbranch_execz .LBB776_138
; %bb.137:
	v_add_nc_u32_e32 v32, -8, v62
	ds_load_b64 v[59:60], v32
.LBB776_138:
	s_or_b32 exec_lo, exec_lo, s4
	v_mov_b32_e32 v62, v30
	s_waitcnt lgkmcnt(0)
	v_cmp_ne_u64_e64 s0, v[59:60], v[25:26]
	v_cndmask_b32_e64 v72, 0, 1, s29
	v_cndmask_b32_e64 v67, 0, 1, s31
	;; [unrolled: 1-line block ×3, first 2 shown]
	v_cmp_gt_u64_e32 vcc_lo, s[18:19], v[61:62]
	v_cndmask_b32_e64 v69, 0, 1, s13
	v_cndmask_b32_e64 v70, 0, 1, s40
	;; [unrolled: 1-line block ×11, first 2 shown]
	s_and_b32 s0, vcc_lo, s0
	s_and_b32 vcc_lo, exec_lo, s17
	s_cbranch_vccnz .LBB776_143
.LBB776_139:
                                        ; implicit-def: $sgpr1
	v_mov_b32_e32 v93, s1
	s_and_saveexec_b32 s1, s30
	s_cbranch_execnz .LBB776_73
	s_branch .LBB776_74
.LBB776_140:
	s_and_not1_saveexec_b32 s15, s15
	s_cbranch_execz .LBB776_160
.LBB776_141:
	v_sub_nc_u32_e32 v83, v55, v31
	v_mov_b32_e32 v84, 0
	s_or_b32 s17, s17, exec_lo
	s_delay_alu instid0(VALU_DEP_1) | instskip(SKIP_1) | instid1(VALU_DEP_1)
	v_lshlrev_b64 v[85:86], 3, v[83:84]
	v_sub_nc_u32_e32 v83, v61, v31
	v_lshlrev_b64 v[87:88], 3, v[83:84]
	v_sub_nc_u32_e32 v83, v57, v31
	s_delay_alu instid0(VALU_DEP_4) | instskip(SKIP_1) | instid1(VALU_DEP_3)
	v_add_co_u32 v85, vcc_lo, v30, v85
	v_add_co_ci_u32_e32 v86, vcc_lo, v81, v86, vcc_lo
	v_lshlrev_b64 v[89:90], 3, v[83:84]
	v_sub_nc_u32_e32 v83, v53, v31
	v_add_co_u32 v87, vcc_lo, v30, v87
	v_add_co_ci_u32_e32 v88, vcc_lo, v81, v88, vcc_lo
	global_store_b64 v[85:86], v[25:26], off
	v_lshlrev_b64 v[85:86], 3, v[83:84]
	v_sub_nc_u32_e32 v83, v47, v31
	global_store_b64 v[87:88], v[27:28], off
	v_add_co_u32 v87, vcc_lo, v30, v89
	v_add_co_ci_u32_e32 v88, vcc_lo, v81, v90, vcc_lo
	v_lshlrev_b64 v[89:90], 3, v[83:84]
	v_sub_nc_u32_e32 v83, v43, v31
	v_add_co_u32 v85, vcc_lo, v30, v85
	v_add_co_ci_u32_e32 v86, vcc_lo, v81, v86, vcc_lo
	s_delay_alu instid0(VALU_DEP_3) | instskip(SKIP_3) | instid1(VALU_DEP_3)
	v_lshlrev_b64 v[91:92], 3, v[83:84]
	v_sub_nc_u32_e32 v83, v41, v31
	v_add_co_u32 v89, vcc_lo, v30, v89
	v_add_co_ci_u32_e32 v90, vcc_lo, v81, v90, vcc_lo
	v_lshlrev_b64 v[95:96], 3, v[83:84]
	v_sub_nc_u32_e32 v83, v45, v31
	v_add_co_u32 v91, vcc_lo, v30, v91
	v_add_co_ci_u32_e32 v92, vcc_lo, v81, v92, vcc_lo
	s_clause 0x3
	global_store_b64 v[87:88], v[21:22], off
	global_store_b64 v[85:86], v[23:24], off
	;; [unrolled: 1-line block ×4, first 2 shown]
	v_lshlrev_b64 v[85:86], 3, v[83:84]
	v_sub_nc_u32_e32 v83, v49, v31
	v_add_co_u32 v87, vcc_lo, v30, v95
	v_add_co_ci_u32_e32 v88, vcc_lo, v81, v96, vcc_lo
	s_delay_alu instid0(VALU_DEP_3) | instskip(SKIP_3) | instid1(VALU_DEP_3)
	v_lshlrev_b64 v[89:90], 3, v[83:84]
	v_sub_nc_u32_e32 v83, v33, v31
	v_add_co_u32 v85, vcc_lo, v30, v85
	v_add_co_ci_u32_e32 v86, vcc_lo, v81, v86, vcc_lo
	v_lshlrev_b64 v[91:92], 3, v[83:84]
	v_sub_nc_u32_e32 v83, v35, v31
	v_add_co_u32 v89, vcc_lo, v30, v89
	v_add_co_ci_u32_e32 v90, vcc_lo, v81, v90, vcc_lo
	s_delay_alu instid0(VALU_DEP_3)
	v_lshlrev_b64 v[95:96], 3, v[83:84]
	v_sub_nc_u32_e32 v83, v39, v31
	v_add_co_u32 v91, vcc_lo, v30, v91
	v_add_co_ci_u32_e32 v92, vcc_lo, v81, v92, vcc_lo
	s_clause 0x3
	global_store_b64 v[87:88], v[13:14], off
	global_store_b64 v[85:86], v[15:16], off
	;; [unrolled: 1-line block ×4, first 2 shown]
	v_lshlrev_b64 v[85:86], 3, v[83:84]
	v_sub_nc_u32_e32 v83, v63, v31
	v_add_co_u32 v87, vcc_lo, v30, v95
	v_add_co_ci_u32_e32 v88, vcc_lo, v81, v96, vcc_lo
	s_delay_alu instid0(VALU_DEP_3) | instskip(SKIP_3) | instid1(VALU_DEP_3)
	v_lshlrev_b64 v[89:90], 3, v[83:84]
	v_sub_nc_u32_e32 v83, v59, v31
	v_add_co_u32 v85, vcc_lo, v30, v85
	v_add_co_ci_u32_e32 v86, vcc_lo, v81, v86, vcc_lo
	v_lshlrev_b64 v[83:84], 3, v[83:84]
	v_add_co_u32 v89, vcc_lo, v30, v89
	v_add_co_ci_u32_e32 v90, vcc_lo, v81, v90, vcc_lo
	s_clause 0x2
	global_store_b64 v[87:88], v[5:6], off
	global_store_b64 v[85:86], v[7:8], off
	;; [unrolled: 1-line block ×3, first 2 shown]
	v_add_co_u32 v83, vcc_lo, v30, v83
	v_add_co_ci_u32_e32 v84, vcc_lo, v81, v84, vcc_lo
	global_store_b64 v[83:84], v[3:4], off
	s_or_b32 exec_lo, exec_lo, s15
	s_delay_alu instid0(SALU_CYCLE_1)
	s_and_b32 exec_lo, exec_lo, s17
	s_cbranch_execnz .LBB776_161
	s_branch .LBB776_162
.LBB776_142:
                                        ; implicit-def: $sgpr0
                                        ; implicit-def: $vgpr72
                                        ; implicit-def: $vgpr67
                                        ; implicit-def: $vgpr68
                                        ; implicit-def: $vgpr69
                                        ; implicit-def: $vgpr70
                                        ; implicit-def: $vgpr71
                                        ; implicit-def: $vgpr73
                                        ; implicit-def: $vgpr74
                                        ; implicit-def: $vgpr75
                                        ; implicit-def: $vgpr76
                                        ; implicit-def: $vgpr77
                                        ; implicit-def: $vgpr78
                                        ; implicit-def: $vgpr79
                                        ; implicit-def: $vgpr80
	s_cbranch_execz .LBB776_139
.LBB776_143:
	v_dual_mov_b32 v30, 0 :: v_dual_lshlrev_b32 v59, 3, v0
	v_cmp_ne_u64_e64 s0, v[1:2], v[3:4]
	v_cmp_ne_u64_e32 vcc_lo, v[3:4], v[37:38]
	v_cmp_ne_u64_e64 s2, v[7:8], v[1:2]
	s_delay_alu instid0(VALU_DEP_4)
	v_mov_b32_e32 v58, v30
	v_mov_b32_e32 v56, v30
	v_cmp_gt_u64_e64 s1, s[18:19], v[29:30]
	v_mov_b32_e32 v52, v30
	v_mov_b32_e32 v54, v30
	v_cmp_gt_u64_e64 s3, s[18:19], v[57:58]
	v_cmp_gt_u64_e64 s4, s[18:19], v[55:56]
	v_mov_b32_e32 v48, v30
	s_and_b32 s1, s1, vcc_lo
	v_cmp_gt_u64_e64 s5, s[18:19], v[53:54]
	v_cndmask_b32_e64 v72, 0, 1, s1
	s_and_b32 s0, s3, s0
	v_cmp_ne_u64_e64 s1, v[11:12], v[5:6]
	v_cndmask_b32_e64 v67, 0, 1, s0
	s_and_b32 s0, s4, s2
	v_cmp_ne_u64_e32 vcc_lo, v[5:6], v[7:8]
	v_cndmask_b32_e64 v68, 0, 1, s0
	v_cmp_gt_u64_e64 s0, s[18:19], v[51:52]
	v_mov_b32_e32 v50, v30
	v_mov_b32_e32 v44, v30
	;; [unrolled: 1-line block ×3, first 2 shown]
	s_and_b32 s2, s5, vcc_lo
	v_mov_b32_e32 v46, v30
	s_and_b32 s0, s0, s1
	v_cmp_ne_u64_e64 s1, v[15:16], v[9:10]
	v_cndmask_b32_e64 v70, 0, 1, s0
	v_cmp_gt_u64_e64 s0, s[18:19], v[47:48]
	v_cndmask_b32_e64 v69, 0, 1, s2
	v_cmp_gt_u64_e32 vcc_lo, s[18:19], v[49:50]
	v_cmp_ne_u64_e64 s2, v[9:10], v[11:12]
	v_cmp_gt_u64_e64 s3, s[18:19], v[41:42]
	v_cmp_ne_u64_e64 s4, v[17:18], v[19:20]
	s_and_b32 s0, s0, s1
	v_cmp_ne_u64_e64 s1, v[19:20], v[13:14]
	v_cndmask_b32_e64 v73, 0, 1, s0
	v_cmp_gt_u64_e64 s0, s[18:19], v[43:44]
	s_and_b32 s2, vcc_lo, s2
	v_cmp_gt_u64_e32 vcc_lo, s[18:19], v[45:46]
	v_cndmask_b32_e64 v71, 0, 1, s2
	v_cmp_ne_u64_e64 s2, v[13:14], v[15:16]
	v_mov_b32_e32 v40, v30
	s_and_b32 s0, s0, s1
	v_mov_b32_e32 v36, v30
	v_cndmask_b32_e64 v75, 0, 1, s0
	s_and_b32 s0, s3, s4
	v_mov_b32_e32 v34, v30
	s_and_b32 s2, vcc_lo, s2
	v_cndmask_b32_e64 v76, 0, 1, s0
	v_cmp_gt_u64_e32 vcc_lo, s[18:19], v[39:40]
	v_cmp_ne_u64_e64 s0, v[23:24], v[17:18]
	v_mov_b32_e32 v32, v30
	v_cndmask_b32_e64 v74, 0, 1, s2
	v_cmp_gt_u64_e64 s1, s[18:19], v[35:36]
	v_cmp_ne_u64_e64 s2, v[21:22], v[23:24]
	v_cmp_gt_u64_e64 s3, s[18:19], v[33:34]
	v_cmp_ne_u64_e64 s4, v[27:28], v[21:22]
	;; [unrolled: 2-line block ×3, first 2 shown]
	s_and_b32 s0, vcc_lo, s0
	ds_store_b64 v59, v[37:38]
	v_cndmask_b32_e64 v77, 0, 1, s0
	s_and_b32 s0, s1, s2
	s_mov_b32 s1, 1
	v_cndmask_b32_e64 v78, 0, 1, s0
	s_and_b32 s0, s3, s4
	s_mov_b32 s2, exec_lo
	v_cndmask_b32_e64 v79, 0, 1, s0
	s_and_b32 s0, s5, s6
	s_waitcnt lgkmcnt(0)
	v_cndmask_b32_e64 v80, 0, 1, s0
	s_barrier
	buffer_gl0_inv
                                        ; implicit-def: $sgpr0
	v_cmpx_ne_u32_e32 0, v0
	s_cbranch_execz .LBB776_182
; %bb.144:
	v_add_nc_u32_e32 v29, -8, v59
	s_or_b32 s30, s30, exec_lo
	ds_load_b64 v[31:32], v29
	v_mul_u32_u24_e32 v29, 15, v0
	s_delay_alu instid0(VALU_DEP_1) | instskip(SKIP_2) | instid1(VALU_DEP_1)
	v_cmp_gt_u64_e32 vcc_lo, s[18:19], v[29:30]
	s_waitcnt lgkmcnt(0)
	v_cmp_ne_u64_e64 s0, v[31:32], v[25:26]
	s_and_b32 s0, vcc_lo, s0
	s_delay_alu instid0(SALU_CYCLE_1)
	s_and_b32 s0, s0, exec_lo
	s_or_b32 exec_lo, exec_lo, s2
	v_mov_b32_e32 v93, s1
	s_and_saveexec_b32 s1, s30
	s_cbranch_execz .LBB776_74
	s_branch .LBB776_73
.LBB776_145:
	s_or_b32 exec_lo, exec_lo, s17
	s_and_saveexec_b32 s17, s13
	s_cbranch_execz .LBB776_119
.LBB776_146:
	v_sub_nc_u32_e32 v83, v61, v31
	v_mov_b32_e32 v84, 0
	s_delay_alu instid0(VALU_DEP_1) | instskip(NEXT) | instid1(VALU_DEP_1)
	v_lshlrev_b64 v[83:84], 3, v[83:84]
	v_add_co_u32 v83, vcc_lo, v30, v83
	s_delay_alu instid0(VALU_DEP_2)
	v_add_co_ci_u32_e32 v84, vcc_lo, v81, v84, vcc_lo
	global_store_b64 v[83:84], v[27:28], off
	s_or_b32 exec_lo, exec_lo, s17
	s_and_saveexec_b32 s17, s12
	s_cbranch_execnz .LBB776_120
.LBB776_147:
	s_or_b32 exec_lo, exec_lo, s17
	s_and_saveexec_b32 s17, s11
	s_cbranch_execz .LBB776_121
.LBB776_148:
	v_sub_nc_u32_e32 v83, v53, v31
	v_mov_b32_e32 v84, 0
	s_delay_alu instid0(VALU_DEP_1) | instskip(NEXT) | instid1(VALU_DEP_1)
	v_lshlrev_b64 v[83:84], 3, v[83:84]
	v_add_co_u32 v83, vcc_lo, v30, v83
	s_delay_alu instid0(VALU_DEP_2)
	v_add_co_ci_u32_e32 v84, vcc_lo, v81, v84, vcc_lo
	global_store_b64 v[83:84], v[23:24], off
	s_or_b32 exec_lo, exec_lo, s17
	s_and_saveexec_b32 s17, s10
	s_cbranch_execnz .LBB776_122
.LBB776_149:
	s_or_b32 exec_lo, exec_lo, s17
	s_and_saveexec_b32 s17, s9
	s_cbranch_execz .LBB776_123
.LBB776_150:
	v_sub_nc_u32_e32 v83, v43, v31
	v_mov_b32_e32 v84, 0
	s_delay_alu instid0(VALU_DEP_1) | instskip(NEXT) | instid1(VALU_DEP_1)
	v_lshlrev_b64 v[83:84], 3, v[83:84]
	v_add_co_u32 v83, vcc_lo, v30, v83
	s_delay_alu instid0(VALU_DEP_2)
	v_add_co_ci_u32_e32 v84, vcc_lo, v81, v84, vcc_lo
	global_store_b64 v[83:84], v[19:20], off
	s_or_b32 exec_lo, exec_lo, s17
	s_and_saveexec_b32 s17, s7
	s_cbranch_execnz .LBB776_124
.LBB776_151:
	s_or_b32 exec_lo, exec_lo, s17
	s_and_saveexec_b32 s17, s5
	s_cbranch_execz .LBB776_125
.LBB776_152:
	v_sub_nc_u32_e32 v83, v45, v31
	v_mov_b32_e32 v84, 0
	s_delay_alu instid0(VALU_DEP_1) | instskip(NEXT) | instid1(VALU_DEP_1)
	v_lshlrev_b64 v[83:84], 3, v[83:84]
	v_add_co_u32 v83, vcc_lo, v30, v83
	s_delay_alu instid0(VALU_DEP_2)
	v_add_co_ci_u32_e32 v84, vcc_lo, v81, v84, vcc_lo
	global_store_b64 v[83:84], v[15:16], off
	s_or_b32 exec_lo, exec_lo, s17
	s_and_saveexec_b32 s17, s8
	s_cbranch_execnz .LBB776_126
.LBB776_153:
	s_or_b32 exec_lo, exec_lo, s17
	s_and_saveexec_b32 s17, s6
	s_cbranch_execz .LBB776_127
.LBB776_154:
	v_sub_nc_u32_e32 v83, v33, v31
	v_mov_b32_e32 v84, 0
	s_delay_alu instid0(VALU_DEP_1) | instskip(NEXT) | instid1(VALU_DEP_1)
	v_lshlrev_b64 v[83:84], 3, v[83:84]
	v_add_co_u32 v83, vcc_lo, v30, v83
	s_delay_alu instid0(VALU_DEP_2)
	v_add_co_ci_u32_e32 v84, vcc_lo, v81, v84, vcc_lo
	global_store_b64 v[83:84], v[11:12], off
	s_or_b32 exec_lo, exec_lo, s17
	s_and_saveexec_b32 s17, s4
	s_cbranch_execnz .LBB776_128
.LBB776_155:
	s_or_b32 exec_lo, exec_lo, s17
	s_and_saveexec_b32 s17, s3
	s_cbranch_execz .LBB776_129
.LBB776_156:
	v_sub_nc_u32_e32 v83, v39, v31
	v_mov_b32_e32 v84, 0
	s_delay_alu instid0(VALU_DEP_1) | instskip(NEXT) | instid1(VALU_DEP_1)
	v_lshlrev_b64 v[83:84], 3, v[83:84]
	v_add_co_u32 v83, vcc_lo, v30, v83
	s_delay_alu instid0(VALU_DEP_2)
	v_add_co_ci_u32_e32 v84, vcc_lo, v81, v84, vcc_lo
	global_store_b64 v[83:84], v[7:8], off
	s_or_b32 exec_lo, exec_lo, s17
	s_and_saveexec_b32 s17, s2
	s_cbranch_execnz .LBB776_130
.LBB776_157:
	s_or_b32 exec_lo, exec_lo, s17
	s_and_saveexec_b32 s17, s1
	s_cbranch_execz .LBB776_159
.LBB776_158:
	v_sub_nc_u32_e32 v83, v59, v31
	v_mov_b32_e32 v84, 0
	s_delay_alu instid0(VALU_DEP_1) | instskip(NEXT) | instid1(VALU_DEP_1)
	v_lshlrev_b64 v[83:84], 3, v[83:84]
	v_add_co_u32 v83, vcc_lo, v30, v83
	s_delay_alu instid0(VALU_DEP_2)
	v_add_co_ci_u32_e32 v84, vcc_lo, v81, v84, vcc_lo
	global_store_b64 v[83:84], v[3:4], off
.LBB776_159:
	s_or_b32 exec_lo, exec_lo, s17
	s_delay_alu instid0(SALU_CYCLE_1)
	s_and_b32 s17, s0, exec_lo
	s_and_not1_saveexec_b32 s15, s15
	s_cbranch_execnz .LBB776_141
.LBB776_160:
	s_or_b32 exec_lo, exec_lo, s15
	s_delay_alu instid0(SALU_CYCLE_1)
	s_and_b32 exec_lo, exec_lo, s17
	s_cbranch_execz .LBB776_162
.LBB776_161:
	v_sub_nc_u32_e32 v83, v51, v31
	v_mov_b32_e32 v84, 0
	s_delay_alu instid0(VALU_DEP_1) | instskip(NEXT) | instid1(VALU_DEP_1)
	v_lshlrev_b64 v[83:84], 3, v[83:84]
	v_add_co_u32 v83, vcc_lo, v30, v83
	s_delay_alu instid0(VALU_DEP_2)
	v_add_co_ci_u32_e32 v84, vcc_lo, v81, v84, vcc_lo
	global_store_b64 v[83:84], v[37:38], off
.LBB776_162:
	s_or_b32 exec_lo, exec_lo, s16
	s_mov_b32 s16, 0
.LBB776_163:
	s_delay_alu instid0(SALU_CYCLE_1)
	s_and_b32 vcc_lo, exec_lo, s16
	s_cbranch_vccz .LBB776_204
; %bb.164:
	s_mov_b32 s15, exec_lo
	v_cmpx_gt_i16_e32 2, v82
	s_cbranch_execz .LBB776_200
; %bb.165:
	s_mov_b32 s17, 0
	s_mov_b32 s16, exec_lo
	v_cmpx_ne_u16_e32 1, v82
	s_xor_b32 s16, exec_lo, s16
	s_cbranch_execz .LBB776_180
; %bb.166:
	s_and_saveexec_b32 s17, s14
	s_cbranch_execz .LBB776_183
; %bb.167:
	v_sub_nc_u32_e32 v82, v55, v31
	s_delay_alu instid0(VALU_DEP_1)
	v_lshlrev_b32_e32 v82, 3, v82
	ds_store_b64 v82, v[25:26]
	s_or_b32 exec_lo, exec_lo, s17
	s_and_saveexec_b32 s14, s13
	s_cbranch_execnz .LBB776_184
.LBB776_168:
	s_or_b32 exec_lo, exec_lo, s14
	s_and_saveexec_b32 s13, s12
	s_cbranch_execz .LBB776_185
.LBB776_169:
	v_sub_nc_u32_e32 v25, v57, v31
	s_delay_alu instid0(VALU_DEP_1)
	v_lshlrev_b32_e32 v25, 3, v25
	ds_store_b64 v25, v[21:22]
	s_or_b32 exec_lo, exec_lo, s13
	s_and_saveexec_b32 s12, s11
	s_cbranch_execnz .LBB776_186
.LBB776_170:
	s_or_b32 exec_lo, exec_lo, s12
	s_and_saveexec_b32 s11, s10
	s_cbranch_execz .LBB776_187
.LBB776_171:
	v_sub_nc_u32_e32 v21, v47, v31
	s_delay_alu instid0(VALU_DEP_1)
	v_lshlrev_b32_e32 v21, 3, v21
	ds_store_b64 v21, v[17:18]
	s_or_b32 exec_lo, exec_lo, s11
	s_and_saveexec_b32 s10, s9
	s_cbranch_execnz .LBB776_188
.LBB776_172:
	s_or_b32 exec_lo, exec_lo, s10
	s_and_saveexec_b32 s9, s7
	s_cbranch_execz .LBB776_189
.LBB776_173:
	v_sub_nc_u32_e32 v17, v41, v31
	s_delay_alu instid0(VALU_DEP_1)
	v_lshlrev_b32_e32 v17, 3, v17
	ds_store_b64 v17, v[13:14]
	s_or_b32 exec_lo, exec_lo, s9
	s_and_saveexec_b32 s7, s5
	s_cbranch_execnz .LBB776_190
.LBB776_174:
	s_or_b32 exec_lo, exec_lo, s7
	s_and_saveexec_b32 s5, s8
	s_cbranch_execz .LBB776_191
.LBB776_175:
	v_sub_nc_u32_e32 v13, v49, v31
	s_delay_alu instid0(VALU_DEP_1)
	v_lshlrev_b32_e32 v13, 3, v13
	ds_store_b64 v13, v[9:10]
	s_or_b32 exec_lo, exec_lo, s5
	s_and_saveexec_b32 s5, s6
	s_cbranch_execnz .LBB776_192
.LBB776_176:
	s_or_b32 exec_lo, exec_lo, s5
	s_and_saveexec_b32 s5, s4
	s_cbranch_execz .LBB776_193
.LBB776_177:
	v_sub_nc_u32_e32 v9, v35, v31
	s_delay_alu instid0(VALU_DEP_1)
	v_lshlrev_b32_e32 v9, 3, v9
	ds_store_b64 v9, v[5:6]
	s_or_b32 exec_lo, exec_lo, s5
	s_and_saveexec_b32 s4, s3
	s_cbranch_execnz .LBB776_194
.LBB776_178:
	s_or_b32 exec_lo, exec_lo, s4
	s_and_saveexec_b32 s3, s2
	s_cbranch_execz .LBB776_195
.LBB776_179:
	v_sub_nc_u32_e32 v5, v63, v31
	s_delay_alu instid0(VALU_DEP_1)
	v_lshlrev_b32_e32 v5, 3, v5
	ds_store_b64 v5, v[1:2]
	s_or_b32 exec_lo, exec_lo, s3
	s_and_saveexec_b32 s2, s1
	s_cbranch_execnz .LBB776_196
	s_branch .LBB776_197
.LBB776_180:
	s_and_not1_saveexec_b32 s0, s16
	s_cbranch_execz .LBB776_198
.LBB776_181:
	v_sub_nc_u32_e32 v82, v55, v31
	v_sub_nc_u32_e32 v83, v61, v31
	v_sub_nc_u32_e32 v85, v53, v31
	v_sub_nc_u32_e32 v84, v57, v31
	s_or_b32 s17, s17, exec_lo
	v_lshlrev_b32_e32 v82, 3, v82
	v_lshlrev_b32_e32 v83, 3, v83
	;; [unrolled: 1-line block ×4, first 2 shown]
	ds_store_b64 v82, v[25:26]
	ds_store_b64 v83, v[27:28]
	;; [unrolled: 1-line block ×3, first 2 shown]
	v_sub_nc_u32_e32 v21, v47, v31
	v_sub_nc_u32_e32 v22, v43, v31
	ds_store_b64 v85, v[23:24]
	v_sub_nc_u32_e32 v23, v41, v31
	v_sub_nc_u32_e32 v24, v45, v31
	v_lshlrev_b32_e32 v21, 3, v21
	v_sub_nc_u32_e32 v25, v49, v31
	v_lshlrev_b32_e32 v22, 3, v22
	v_lshlrev_b32_e32 v23, 3, v23
	;; [unrolled: 1-line block ×3, first 2 shown]
	ds_store_b64 v21, v[17:18]
	v_lshlrev_b32_e32 v17, 3, v25
	ds_store_b64 v22, v[19:20]
	ds_store_b64 v23, v[13:14]
	;; [unrolled: 1-line block ×3, first 2 shown]
	v_sub_nc_u32_e32 v13, v33, v31
	v_sub_nc_u32_e32 v15, v59, v31
	;; [unrolled: 1-line block ×3, first 2 shown]
	ds_store_b64 v17, v[9:10]
	v_sub_nc_u32_e32 v9, v35, v31
	v_lshlrev_b32_e32 v13, 3, v13
	v_sub_nc_u32_e32 v10, v39, v31
	v_lshlrev_b32_e32 v14, 3, v14
	s_delay_alu instid0(VALU_DEP_4)
	v_lshlrev_b32_e32 v9, 3, v9
	ds_store_b64 v13, v[11:12]
	v_lshlrev_b32_e32 v11, 3, v15
	v_lshlrev_b32_e32 v10, 3, v10
	ds_store_b64 v9, v[5:6]
	ds_store_b64 v10, v[7:8]
	;; [unrolled: 1-line block ×4, first 2 shown]
	s_or_b32 exec_lo, exec_lo, s0
	s_delay_alu instid0(SALU_CYCLE_1)
	s_and_b32 exec_lo, exec_lo, s17
	s_cbranch_execnz .LBB776_199
	s_branch .LBB776_200
.LBB776_182:
	s_or_b32 exec_lo, exec_lo, s2
	v_mov_b32_e32 v93, s1
	s_and_saveexec_b32 s1, s30
	s_cbranch_execnz .LBB776_73
	s_branch .LBB776_74
.LBB776_183:
	s_or_b32 exec_lo, exec_lo, s17
	s_and_saveexec_b32 s14, s13
	s_cbranch_execz .LBB776_168
.LBB776_184:
	v_sub_nc_u32_e32 v25, v61, v31
	s_delay_alu instid0(VALU_DEP_1)
	v_lshlrev_b32_e32 v25, 3, v25
	ds_store_b64 v25, v[27:28]
	s_or_b32 exec_lo, exec_lo, s14
	s_and_saveexec_b32 s13, s12
	s_cbranch_execnz .LBB776_169
.LBB776_185:
	s_or_b32 exec_lo, exec_lo, s13
	s_and_saveexec_b32 s12, s11
	s_cbranch_execz .LBB776_170
.LBB776_186:
	v_sub_nc_u32_e32 v21, v53, v31
	s_delay_alu instid0(VALU_DEP_1)
	v_lshlrev_b32_e32 v21, 3, v21
	ds_store_b64 v21, v[23:24]
	s_or_b32 exec_lo, exec_lo, s12
	s_and_saveexec_b32 s11, s10
	s_cbranch_execnz .LBB776_171
.LBB776_187:
	s_or_b32 exec_lo, exec_lo, s11
	s_and_saveexec_b32 s10, s9
	s_cbranch_execz .LBB776_172
.LBB776_188:
	v_sub_nc_u32_e32 v17, v43, v31
	s_delay_alu instid0(VALU_DEP_1)
	v_lshlrev_b32_e32 v17, 3, v17
	ds_store_b64 v17, v[19:20]
	s_or_b32 exec_lo, exec_lo, s10
	s_and_saveexec_b32 s9, s7
	s_cbranch_execnz .LBB776_173
.LBB776_189:
	s_or_b32 exec_lo, exec_lo, s9
	s_and_saveexec_b32 s7, s5
	s_cbranch_execz .LBB776_174
.LBB776_190:
	v_sub_nc_u32_e32 v13, v45, v31
	s_delay_alu instid0(VALU_DEP_1)
	v_lshlrev_b32_e32 v13, 3, v13
	ds_store_b64 v13, v[15:16]
	s_or_b32 exec_lo, exec_lo, s7
	s_and_saveexec_b32 s5, s8
	s_cbranch_execnz .LBB776_175
.LBB776_191:
	s_or_b32 exec_lo, exec_lo, s5
	s_and_saveexec_b32 s5, s6
	s_cbranch_execz .LBB776_176
.LBB776_192:
	v_sub_nc_u32_e32 v9, v33, v31
	s_delay_alu instid0(VALU_DEP_1)
	v_lshlrev_b32_e32 v9, 3, v9
	ds_store_b64 v9, v[11:12]
	s_or_b32 exec_lo, exec_lo, s5
	s_and_saveexec_b32 s5, s4
	s_cbranch_execnz .LBB776_177
.LBB776_193:
	s_or_b32 exec_lo, exec_lo, s5
	s_and_saveexec_b32 s4, s3
	s_cbranch_execz .LBB776_178
.LBB776_194:
	v_sub_nc_u32_e32 v5, v39, v31
	s_delay_alu instid0(VALU_DEP_1)
	v_lshlrev_b32_e32 v5, 3, v5
	ds_store_b64 v5, v[7:8]
	s_or_b32 exec_lo, exec_lo, s4
	s_and_saveexec_b32 s3, s2
	s_cbranch_execnz .LBB776_179
.LBB776_195:
	s_or_b32 exec_lo, exec_lo, s3
	s_and_saveexec_b32 s2, s1
	s_cbranch_execz .LBB776_197
.LBB776_196:
	v_sub_nc_u32_e32 v1, v59, v31
	s_delay_alu instid0(VALU_DEP_1)
	v_lshlrev_b32_e32 v1, 3, v1
	ds_store_b64 v1, v[3:4]
.LBB776_197:
	s_or_b32 exec_lo, exec_lo, s2
	s_delay_alu instid0(SALU_CYCLE_1)
	s_and_b32 s17, s0, exec_lo
                                        ; implicit-def: $vgpr25_vgpr26
                                        ; implicit-def: $vgpr21_vgpr22
                                        ; implicit-def: $vgpr17_vgpr18
                                        ; implicit-def: $vgpr13_vgpr14
                                        ; implicit-def: $vgpr9_vgpr10
                                        ; implicit-def: $vgpr5_vgpr6
                                        ; implicit-def: $vgpr1_vgpr2
	s_and_not1_saveexec_b32 s0, s16
	s_cbranch_execnz .LBB776_181
.LBB776_198:
	s_or_b32 exec_lo, exec_lo, s0
	s_delay_alu instid0(SALU_CYCLE_1)
	s_and_b32 exec_lo, exec_lo, s17
	s_cbranch_execz .LBB776_200
.LBB776_199:
	v_sub_nc_u32_e32 v1, v51, v31
	s_delay_alu instid0(VALU_DEP_1)
	v_lshlrev_b32_e32 v1, 3, v1
	ds_store_b64 v1, v[37:38]
.LBB776_200:
	s_or_b32 exec_lo, exec_lo, s15
	s_delay_alu instid0(SALU_CYCLE_1)
	s_mov_b32 s1, exec_lo
	s_waitcnt lgkmcnt(0)
	s_waitcnt_vscnt null, 0x0
	s_barrier
	buffer_gl0_inv
	v_cmpx_lt_u32_e64 v0, v29
	s_cbranch_execz .LBB776_203
; %bb.201:
	v_dual_mov_b32 v2, 0 :: v_dual_lshlrev_b32 v3, 3, v0
	v_mov_b32_e32 v1, v0
	s_mov_b32 s2, 0
	.p2align	6
.LBB776_202:                            ; =>This Inner Loop Header: Depth=1
	ds_load_b64 v[4:5], v3
	v_lshlrev_b64 v[6:7], 3, v[1:2]
	v_add_nc_u32_e32 v1, 0x100, v1
	v_add_nc_u32_e32 v3, 0x800, v3
	s_delay_alu instid0(VALU_DEP_2) | instskip(NEXT) | instid1(VALU_DEP_4)
	v_cmp_ge_u32_e32 vcc_lo, v1, v29
	v_add_co_u32 v6, s0, v30, v6
	s_delay_alu instid0(VALU_DEP_1)
	v_add_co_ci_u32_e64 v7, s0, v81, v7, s0
	s_or_b32 s2, vcc_lo, s2
	s_waitcnt lgkmcnt(0)
	global_store_b64 v[6:7], v[4:5], off
	s_and_not1_b32 exec_lo, exec_lo, s2
	s_cbranch_execnz .LBB776_202
.LBB776_203:
	s_or_b32 exec_lo, exec_lo, s1
.LBB776_204:
	s_cmpk_lg_i32 s21, 0xf00
	v_cmp_eq_u32_e32 vcc_lo, 0, v0
	s_cselect_b32 s0, -1, 0
	v_cndmask_b32_e64 v8, 0, 1, s28
	s_and_b32 s0, s20, s0
	v_mad_i32_i24 v4, v0, -15, s21
	v_cndmask_b32_e64 v2, 0, 1, s0
	s_mul_hi_u32 s0, s21, 0x88888889
	s_and_b32 s1, vcc_lo, s28
	s_lshr_b32 s0, s0, 3
	v_sub_nc_u32_e32 v1, v29, v8
	v_cndmask_b32_e64 v5, v93, 0, s1
	v_cmp_eq_u32_e32 vcc_lo, s0, v0
	v_cmp_ne_u32_e64 s0, 0, v4
	s_mov_b32 s16, -1
	s_waitcnt_vscnt null, 0x0
	s_barrier
	s_and_b32 vcc_lo, s20, vcc_lo
	v_add_nc_u32_e32 v3, v1, v2
	v_cndmask_b32_e64 v1, 1, v5, s0
	v_cmp_ne_u32_e64 s0, 1, v4
	buffer_gl0_inv
	v_cndmask_b32_e32 v12, v5, v1, vcc_lo
	v_cndmask_b32_e64 v2, 1, v80, s0
	v_cmp_ne_u32_e64 s0, 2, v4
	s_delay_alu instid0(VALU_DEP_3) | instskip(NEXT) | instid1(VALU_DEP_3)
	v_cmp_ne_u32_e64 s14, 0, v12
	v_cndmask_b32_e32 v13, v80, v2, vcc_lo
	s_delay_alu instid0(VALU_DEP_3) | instskip(SKIP_1) | instid1(VALU_DEP_1)
	v_cndmask_b32_e64 v6, 1, v79, s0
	v_cmp_ne_u32_e64 s0, 14, v4
	v_cndmask_b32_e64 v7, 1, v72, s0
	v_cmp_ne_u32_e64 s0, 3, v4
	s_delay_alu instid0(VALU_DEP_2) | instskip(NEXT) | instid1(VALU_DEP_2)
	v_cndmask_b32_e32 v11, v72, v7, vcc_lo
	v_cndmask_b32_e64 v9, 1, v78, s0
	v_cmp_ne_u32_e64 s0, 4, v4
	s_delay_alu instid0(VALU_DEP_2) | instskip(NEXT) | instid1(VALU_DEP_2)
	v_dual_cndmask_b32 v14, v79, v6 :: v_dual_cndmask_b32 v9, v78, v9
	v_cndmask_b32_e64 v10, 1, v77, s0
	v_cmp_ne_u32_e64 s0, 5, v4
	s_delay_alu instid0(VALU_DEP_3) | instskip(NEXT) | instid1(VALU_DEP_4)
	v_cmp_ne_u32_e64 s12, 0, v14
	v_cmp_ne_u32_e64 s11, 0, v9
	s_delay_alu instid0(VALU_DEP_4) | instskip(NEXT) | instid1(VALU_DEP_4)
	v_cndmask_b32_e32 v10, v77, v10, vcc_lo
	v_cndmask_b32_e64 v1, 1, v76, s0
	v_cmp_ne_u32_e64 s0, 6, v4
	s_delay_alu instid0(VALU_DEP_3) | instskip(NEXT) | instid1(VALU_DEP_3)
	v_cmp_ne_u32_e64 s10, 0, v10
	v_cndmask_b32_e32 v18, v76, v1, vcc_lo
	s_delay_alu instid0(VALU_DEP_3) | instskip(SKIP_1) | instid1(VALU_DEP_3)
	v_cndmask_b32_e64 v2, 1, v75, s0
	v_cmp_eq_u32_e64 s0, 0, v12
	v_cmp_ne_u32_e64 s9, 0, v18
	s_delay_alu instid0(VALU_DEP_3) | instskip(NEXT) | instid1(VALU_DEP_3)
	v_cndmask_b32_e32 v20, v75, v2, vcc_lo
	v_cndmask_b32_e64 v5, 1, 2, s0
	v_cmp_eq_u32_e64 s0, 0, v13
	s_delay_alu instid0(VALU_DEP_3) | instskip(NEXT) | instid1(VALU_DEP_2)
	v_cmp_ne_u32_e64 s8, 0, v20
	v_cndmask_b32_e64 v7, 1, 2, s0
	v_cmp_ne_u32_e64 s0, 7, v4
	s_delay_alu instid0(VALU_DEP_2) | instskip(NEXT) | instid1(VALU_DEP_2)
	v_and_b32_e32 v5, v7, v5
	v_cndmask_b32_e64 v6, 1, v74, s0
	v_cmp_eq_u32_e64 s0, 0, v14
	s_delay_alu instid0(VALU_DEP_2) | instskip(NEXT) | instid1(VALU_DEP_2)
	v_cndmask_b32_e32 v21, v74, v6, vcc_lo
	v_cndmask_b32_e64 v7, 1, 2, s0
	v_cmp_ne_u32_e64 s0, 8, v4
	s_delay_alu instid0(VALU_DEP_3) | instskip(NEXT) | instid1(VALU_DEP_3)
	v_cmp_ne_u32_e64 s7, 0, v21
	v_and_b32_e32 v5, v5, v7
	s_delay_alu instid0(VALU_DEP_3) | instskip(SKIP_1) | instid1(VALU_DEP_2)
	v_cndmask_b32_e64 v15, 1, v73, s0
	v_cmp_ne_u32_e64 s0, 9, v4
	v_cndmask_b32_e32 v15, v73, v15, vcc_lo
	s_delay_alu instid0(VALU_DEP_2) | instskip(SKIP_1) | instid1(VALU_DEP_2)
	v_cndmask_b32_e64 v16, 1, v71, s0
	v_cmp_eq_u32_e64 s0, 0, v9
	v_cndmask_b32_e32 v16, v71, v16, vcc_lo
	s_delay_alu instid0(VALU_DEP_2) | instskip(SKIP_1) | instid1(VALU_DEP_3)
	v_cndmask_b32_e64 v7, 1, 2, s0
	v_cmp_ne_u32_e64 s0, 10, v4
	v_cmp_ne_u32_e64 s5, 0, v16
	s_delay_alu instid0(VALU_DEP_3) | instskip(NEXT) | instid1(VALU_DEP_3)
	v_and_b32_e32 v1, v5, v7
	v_cndmask_b32_e64 v17, 1, v70, s0
	v_cmp_eq_u32_e64 s0, 0, v10
	s_delay_alu instid0(VALU_DEP_2) | instskip(NEXT) | instid1(VALU_DEP_2)
	v_cndmask_b32_e32 v17, v70, v17, vcc_lo
	v_cndmask_b32_e64 v5, 1, 2, s0
	v_cmp_ne_u32_e64 s0, 11, v4
	s_delay_alu instid0(VALU_DEP_3) | instskip(NEXT) | instid1(VALU_DEP_3)
	v_cmp_ne_u32_e64 s4, 0, v17
	v_and_b32_e32 v1, v1, v5
	s_delay_alu instid0(VALU_DEP_3) | instskip(SKIP_1) | instid1(VALU_DEP_2)
	v_cndmask_b32_e64 v7, 1, v69, s0
	v_cmp_ne_u32_e64 s0, 13, v4
	v_cndmask_b32_e32 v23, v69, v7, vcc_lo
	s_delay_alu instid0(VALU_DEP_2) | instskip(SKIP_1) | instid1(VALU_DEP_2)
	v_cndmask_b32_e64 v19, 1, v67, s0
	v_cmp_eq_u32_e64 s0, 0, v18
	v_cndmask_b32_e32 v19, v67, v19, vcc_lo
	s_delay_alu instid0(VALU_DEP_2) | instskip(SKIP_1) | instid1(VALU_DEP_2)
	v_cndmask_b32_e64 v5, 1, 2, s0
	v_cmp_ne_u32_e64 s0, 12, v4
	v_and_b32_e32 v1, v1, v5
	s_delay_alu instid0(VALU_DEP_2) | instskip(SKIP_1) | instid1(VALU_DEP_2)
	v_cndmask_b32_e64 v2, 1, v68, s0
	v_cmp_eq_u32_e64 s0, 0, v20
	v_cndmask_b32_e32 v22, v68, v2, vcc_lo
	s_delay_alu instid0(VALU_DEP_2) | instskip(SKIP_2) | instid1(VALU_DEP_4)
	v_cndmask_b32_e64 v4, 1, 2, s0
	v_cmp_eq_u32_e64 s0, 0, v21
	v_cmp_eq_u32_e32 vcc_lo, 0, v15
	v_cmp_ne_u32_e64 s2, 0, v22
	s_delay_alu instid0(VALU_DEP_4)
	v_and_b32_e32 v6, v1, v4
	v_lshlrev_b64 v[1:2], 2, v[65:66]
	v_cndmask_b32_e64 v7, 1, 2, s0
	v_lshlrev_b64 v[4:5], 2, v[31:32]
	v_cmp_ne_u32_e64 s13, 0, v13
	v_cmp_ne_u32_e64 s0, 0, v11
	s_delay_alu instid0(VALU_DEP_4) | instskip(SKIP_4) | instid1(VALU_DEP_4)
	v_and_b32_e32 v6, v6, v7
	v_cndmask_b32_e64 v7, 1, 2, vcc_lo
	v_add_co_u32 v1, vcc_lo, s36, v1
	v_add_co_ci_u32_e32 v2, vcc_lo, s37, v2, vcc_lo
	v_cmp_eq_u32_e32 vcc_lo, 0, v16
	v_and_b32_e32 v6, v6, v7
	v_cndmask_b32_e64 v7, 1, 2, vcc_lo
	v_add_co_u32 v4, vcc_lo, v1, v4
	v_add_co_ci_u32_e32 v5, vcc_lo, v2, v5, vcc_lo
	v_lshlrev_b32_e32 v1, 2, v8
	v_cmp_eq_u32_e32 vcc_lo, 0, v17
	v_and_b32_e32 v2, v6, v7
	v_cndmask_b32_e64 v6, 1, 2, vcc_lo
	s_delay_alu instid0(VALU_DEP_4) | instskip(SKIP_1) | instid1(VALU_DEP_3)
	v_add_co_u32 v1, vcc_lo, v1, v4
	v_add_co_ci_u32_e32 v7, vcc_lo, 0, v5, vcc_lo
	v_and_b32_e32 v2, v2, v6
	v_cmp_eq_u32_e32 vcc_lo, 0, v23
	v_cmp_ne_u32_e64 s1, 0, v19
	v_cndmask_b32_e64 v24, 1, 2, vcc_lo
	v_add_co_u32 v6, vcc_lo, v1, -4
	v_add_co_ci_u32_e32 v7, vcc_lo, -1, v7, vcc_lo
	v_cmp_eq_u32_e32 vcc_lo, 0, v22
	v_add_nc_u32_e32 v1, v31, v8
	v_and_b32_e32 v2, v2, v24
	v_cmp_ne_u32_e64 s3, 0, v23
	v_cndmask_b32_e64 v8, 1, 2, vcc_lo
	v_cmp_eq_u32_e32 vcc_lo, 0, v19
	s_delay_alu instid0(VALU_DEP_2) | instskip(SKIP_3) | instid1(VALU_DEP_3)
	v_and_b32_e32 v2, v2, v8
	v_cndmask_b32_e64 v8, 1, 2, vcc_lo
	v_cmp_eq_u32_e32 vcc_lo, 0, v11
	v_cmp_ne_u32_e64 s6, 0, v15
	v_and_b32_e32 v2, v2, v8
	v_cndmask_b32_e64 v8, 1, 2, vcc_lo
	v_cmp_gt_u32_e32 vcc_lo, 0x100, v3
	s_delay_alu instid0(VALU_DEP_2) | instskip(NEXT) | instid1(VALU_DEP_1)
	v_and_b32_e32 v2, v2, v8
	v_cmp_gt_i16_e64 s15, 2, v2
	s_cbranch_vccz .LBB776_221
; %bb.205:
	s_delay_alu instid0(VALU_DEP_1)
	s_and_saveexec_b32 s16, s15
	s_cbranch_execz .LBB776_259
; %bb.206:
	s_mov_b32 s17, 0
	s_mov_b32 s15, exec_lo
	v_cmpx_ne_u16_e32 1, v2
	s_xor_b32 s15, exec_lo, s15
	s_cbranch_execz .LBB776_238
; %bb.207:
	s_and_saveexec_b32 s17, s14
	s_cbranch_execz .LBB776_242
; %bb.208:
	v_sub_nc_u32_e32 v8, v55, v1
	v_mov_b32_e32 v9, 0
	s_delay_alu instid0(VALU_DEP_1) | instskip(NEXT) | instid1(VALU_DEP_1)
	v_lshlrev_b64 v[8:9], 2, v[8:9]
	v_add_co_u32 v8, vcc_lo, v6, v8
	s_delay_alu instid0(VALU_DEP_2)
	v_add_co_ci_u32_e32 v9, vcc_lo, v7, v9, vcc_lo
	global_store_b32 v[8:9], v56, off
	s_or_b32 exec_lo, exec_lo, s17
	s_and_saveexec_b32 s17, s13
	s_cbranch_execnz .LBB776_243
.LBB776_209:
	s_or_b32 exec_lo, exec_lo, s17
	s_and_saveexec_b32 s17, s12
	s_cbranch_execz .LBB776_244
.LBB776_210:
	v_sub_nc_u32_e32 v8, v57, v1
	v_mov_b32_e32 v9, 0
	s_delay_alu instid0(VALU_DEP_1) | instskip(NEXT) | instid1(VALU_DEP_1)
	v_lshlrev_b64 v[8:9], 2, v[8:9]
	v_add_co_u32 v8, vcc_lo, v6, v8
	s_delay_alu instid0(VALU_DEP_2)
	v_add_co_ci_u32_e32 v9, vcc_lo, v7, v9, vcc_lo
	global_store_b32 v[8:9], v58, off
	s_or_b32 exec_lo, exec_lo, s17
	s_and_saveexec_b32 s17, s11
	s_cbranch_execnz .LBB776_245
.LBB776_211:
	s_or_b32 exec_lo, exec_lo, s17
	s_and_saveexec_b32 s17, s10
	s_cbranch_execz .LBB776_246
.LBB776_212:
	v_sub_nc_u32_e32 v8, v47, v1
	v_mov_b32_e32 v9, 0
	s_delay_alu instid0(VALU_DEP_1) | instskip(NEXT) | instid1(VALU_DEP_1)
	v_lshlrev_b64 v[8:9], 2, v[8:9]
	v_add_co_u32 v8, vcc_lo, v6, v8
	s_delay_alu instid0(VALU_DEP_2)
	v_add_co_ci_u32_e32 v9, vcc_lo, v7, v9, vcc_lo
	global_store_b32 v[8:9], v48, off
	s_or_b32 exec_lo, exec_lo, s17
	s_and_saveexec_b32 s17, s9
	s_cbranch_execnz .LBB776_247
.LBB776_213:
	s_or_b32 exec_lo, exec_lo, s17
	s_and_saveexec_b32 s17, s8
	s_cbranch_execz .LBB776_248
.LBB776_214:
	v_sub_nc_u32_e32 v8, v41, v1
	v_mov_b32_e32 v9, 0
	s_delay_alu instid0(VALU_DEP_1) | instskip(NEXT) | instid1(VALU_DEP_1)
	v_lshlrev_b64 v[8:9], 2, v[8:9]
	v_add_co_u32 v8, vcc_lo, v6, v8
	s_delay_alu instid0(VALU_DEP_2)
	v_add_co_ci_u32_e32 v9, vcc_lo, v7, v9, vcc_lo
	global_store_b32 v[8:9], v42, off
	s_or_b32 exec_lo, exec_lo, s17
	s_and_saveexec_b32 s17, s7
	s_cbranch_execnz .LBB776_249
.LBB776_215:
	s_or_b32 exec_lo, exec_lo, s17
	s_and_saveexec_b32 s17, s6
	s_cbranch_execz .LBB776_250
.LBB776_216:
	v_sub_nc_u32_e32 v8, v49, v1
	v_mov_b32_e32 v9, 0
	s_delay_alu instid0(VALU_DEP_1) | instskip(NEXT) | instid1(VALU_DEP_1)
	v_lshlrev_b64 v[8:9], 2, v[8:9]
	v_add_co_u32 v8, vcc_lo, v6, v8
	s_delay_alu instid0(VALU_DEP_2)
	v_add_co_ci_u32_e32 v9, vcc_lo, v7, v9, vcc_lo
	global_store_b32 v[8:9], v50, off
	s_or_b32 exec_lo, exec_lo, s17
	s_and_saveexec_b32 s17, s5
	s_cbranch_execnz .LBB776_251
.LBB776_217:
	s_or_b32 exec_lo, exec_lo, s17
	s_and_saveexec_b32 s17, s4
	s_cbranch_execz .LBB776_252
.LBB776_218:
	v_sub_nc_u32_e32 v8, v35, v1
	v_mov_b32_e32 v9, 0
	s_delay_alu instid0(VALU_DEP_1) | instskip(NEXT) | instid1(VALU_DEP_1)
	v_lshlrev_b64 v[8:9], 2, v[8:9]
	v_add_co_u32 v8, vcc_lo, v6, v8
	s_delay_alu instid0(VALU_DEP_2)
	v_add_co_ci_u32_e32 v9, vcc_lo, v7, v9, vcc_lo
	global_store_b32 v[8:9], v36, off
	s_or_b32 exec_lo, exec_lo, s17
	s_and_saveexec_b32 s17, s3
	s_cbranch_execnz .LBB776_253
.LBB776_219:
	s_or_b32 exec_lo, exec_lo, s17
	s_and_saveexec_b32 s17, s2
	s_cbranch_execz .LBB776_254
.LBB776_220:
	v_sub_nc_u32_e32 v8, v63, v1
	v_mov_b32_e32 v9, 0
	s_delay_alu instid0(VALU_DEP_1) | instskip(NEXT) | instid1(VALU_DEP_1)
	v_lshlrev_b64 v[8:9], 2, v[8:9]
	v_add_co_u32 v8, vcc_lo, v6, v8
	s_delay_alu instid0(VALU_DEP_2)
	v_add_co_ci_u32_e32 v9, vcc_lo, v7, v9, vcc_lo
	global_store_b32 v[8:9], v64, off
	s_or_b32 exec_lo, exec_lo, s17
	s_and_saveexec_b32 s17, s1
	s_cbranch_execnz .LBB776_255
	s_branch .LBB776_256
.LBB776_221:
	s_and_b32 vcc_lo, exec_lo, s16
	s_cbranch_vccz .LBB776_260
; %bb.222:
	s_mov_b32 s15, exec_lo
	v_cmpx_gt_i16_e32 2, v2
	s_cbranch_execz .LBB776_278
; %bb.223:
	s_mov_b32 s17, 0
	s_mov_b32 s16, exec_lo
	v_cmpx_ne_u16_e32 1, v2
	s_xor_b32 s16, exec_lo, s16
	s_cbranch_execz .LBB776_240
; %bb.224:
	s_and_saveexec_b32 s17, s14
	s_cbranch_execz .LBB776_261
; %bb.225:
	v_sub_nc_u32_e32 v2, v55, v1
	s_delay_alu instid0(VALU_DEP_1)
	v_lshlrev_b32_e32 v2, 2, v2
	ds_store_b32 v2, v56
	s_or_b32 exec_lo, exec_lo, s17
	s_and_saveexec_b32 s14, s13
	s_cbranch_execnz .LBB776_262
.LBB776_226:
	s_or_b32 exec_lo, exec_lo, s14
	s_and_saveexec_b32 s13, s12
	s_cbranch_execz .LBB776_263
.LBB776_227:
	v_sub_nc_u32_e32 v2, v57, v1
	s_delay_alu instid0(VALU_DEP_1)
	v_lshlrev_b32_e32 v2, 2, v2
	ds_store_b32 v2, v58
	s_or_b32 exec_lo, exec_lo, s13
	s_and_saveexec_b32 s12, s11
	s_cbranch_execnz .LBB776_264
.LBB776_228:
	s_or_b32 exec_lo, exec_lo, s12
	s_and_saveexec_b32 s11, s10
	s_cbranch_execz .LBB776_265
.LBB776_229:
	v_sub_nc_u32_e32 v2, v47, v1
	s_delay_alu instid0(VALU_DEP_1)
	v_lshlrev_b32_e32 v2, 2, v2
	ds_store_b32 v2, v48
	s_or_b32 exec_lo, exec_lo, s11
	s_and_saveexec_b32 s10, s9
	s_cbranch_execnz .LBB776_266
.LBB776_230:
	s_or_b32 exec_lo, exec_lo, s10
	s_and_saveexec_b32 s9, s8
	s_cbranch_execz .LBB776_267
.LBB776_231:
	v_sub_nc_u32_e32 v2, v41, v1
	s_delay_alu instid0(VALU_DEP_1)
	v_lshlrev_b32_e32 v2, 2, v2
	ds_store_b32 v2, v42
	s_or_b32 exec_lo, exec_lo, s9
	s_and_saveexec_b32 s8, s7
	s_cbranch_execnz .LBB776_268
.LBB776_232:
	s_or_b32 exec_lo, exec_lo, s8
	s_and_saveexec_b32 s7, s6
	s_cbranch_execz .LBB776_269
.LBB776_233:
	v_sub_nc_u32_e32 v2, v49, v1
	s_delay_alu instid0(VALU_DEP_1)
	v_lshlrev_b32_e32 v2, 2, v2
	ds_store_b32 v2, v50
	s_or_b32 exec_lo, exec_lo, s7
	s_and_saveexec_b32 s6, s5
	s_cbranch_execnz .LBB776_270
.LBB776_234:
	s_or_b32 exec_lo, exec_lo, s6
	s_and_saveexec_b32 s5, s4
	s_cbranch_execz .LBB776_271
.LBB776_235:
	v_sub_nc_u32_e32 v2, v35, v1
	s_delay_alu instid0(VALU_DEP_1)
	v_lshlrev_b32_e32 v2, 2, v2
	ds_store_b32 v2, v36
	s_or_b32 exec_lo, exec_lo, s5
	s_and_saveexec_b32 s4, s3
	s_cbranch_execnz .LBB776_272
.LBB776_236:
	s_or_b32 exec_lo, exec_lo, s4
	s_and_saveexec_b32 s3, s2
	s_cbranch_execz .LBB776_273
.LBB776_237:
	v_sub_nc_u32_e32 v2, v63, v1
	s_delay_alu instid0(VALU_DEP_1)
	v_lshlrev_b32_e32 v2, 2, v2
	ds_store_b32 v2, v64
	s_or_b32 exec_lo, exec_lo, s3
	s_and_saveexec_b32 s2, s1
	s_cbranch_execnz .LBB776_274
	s_branch .LBB776_275
.LBB776_238:
	s_and_not1_saveexec_b32 s15, s15
	s_cbranch_execz .LBB776_257
.LBB776_239:
	v_sub_nc_u32_e32 v8, v55, v1
	v_mov_b32_e32 v9, 0
	s_or_b32 s17, s17, exec_lo
	s_delay_alu instid0(VALU_DEP_1) | instskip(SKIP_1) | instid1(VALU_DEP_1)
	v_lshlrev_b64 v[10:11], 2, v[8:9]
	v_sub_nc_u32_e32 v8, v61, v1
	v_lshlrev_b64 v[12:13], 2, v[8:9]
	v_sub_nc_u32_e32 v8, v57, v1
	s_delay_alu instid0(VALU_DEP_4) | instskip(SKIP_1) | instid1(VALU_DEP_3)
	v_add_co_u32 v10, vcc_lo, v6, v10
	v_add_co_ci_u32_e32 v11, vcc_lo, v7, v11, vcc_lo
	v_lshlrev_b64 v[14:15], 2, v[8:9]
	v_sub_nc_u32_e32 v8, v53, v1
	v_add_co_u32 v12, vcc_lo, v6, v12
	v_add_co_ci_u32_e32 v13, vcc_lo, v7, v13, vcc_lo
	global_store_b32 v[10:11], v56, off
	v_lshlrev_b64 v[10:11], 2, v[8:9]
	v_sub_nc_u32_e32 v8, v47, v1
	global_store_b32 v[12:13], v62, off
	v_add_co_u32 v12, vcc_lo, v6, v14
	v_add_co_ci_u32_e32 v13, vcc_lo, v7, v15, vcc_lo
	v_lshlrev_b64 v[14:15], 2, v[8:9]
	v_sub_nc_u32_e32 v8, v43, v1
	v_add_co_u32 v10, vcc_lo, v6, v10
	v_add_co_ci_u32_e32 v11, vcc_lo, v7, v11, vcc_lo
	s_delay_alu instid0(VALU_DEP_3) | instskip(SKIP_3) | instid1(VALU_DEP_3)
	v_lshlrev_b64 v[16:17], 2, v[8:9]
	v_sub_nc_u32_e32 v8, v41, v1
	v_add_co_u32 v14, vcc_lo, v6, v14
	v_add_co_ci_u32_e32 v15, vcc_lo, v7, v15, vcc_lo
	v_lshlrev_b64 v[18:19], 2, v[8:9]
	v_sub_nc_u32_e32 v8, v45, v1
	v_add_co_u32 v16, vcc_lo, v6, v16
	v_add_co_ci_u32_e32 v17, vcc_lo, v7, v17, vcc_lo
	s_clause 0x3
	global_store_b32 v[12:13], v58, off
	global_store_b32 v[10:11], v54, off
	;; [unrolled: 1-line block ×4, first 2 shown]
	v_lshlrev_b64 v[10:11], 2, v[8:9]
	v_sub_nc_u32_e32 v8, v49, v1
	v_add_co_u32 v12, vcc_lo, v6, v18
	v_add_co_ci_u32_e32 v13, vcc_lo, v7, v19, vcc_lo
	s_delay_alu instid0(VALU_DEP_3) | instskip(SKIP_3) | instid1(VALU_DEP_3)
	v_lshlrev_b64 v[14:15], 2, v[8:9]
	v_sub_nc_u32_e32 v8, v33, v1
	v_add_co_u32 v10, vcc_lo, v6, v10
	v_add_co_ci_u32_e32 v11, vcc_lo, v7, v11, vcc_lo
	v_lshlrev_b64 v[16:17], 2, v[8:9]
	v_sub_nc_u32_e32 v8, v35, v1
	v_add_co_u32 v14, vcc_lo, v6, v14
	v_add_co_ci_u32_e32 v15, vcc_lo, v7, v15, vcc_lo
	s_delay_alu instid0(VALU_DEP_3)
	v_lshlrev_b64 v[18:19], 2, v[8:9]
	v_sub_nc_u32_e32 v8, v39, v1
	v_add_co_u32 v16, vcc_lo, v6, v16
	v_add_co_ci_u32_e32 v17, vcc_lo, v7, v17, vcc_lo
	s_clause 0x3
	global_store_b32 v[12:13], v42, off
	global_store_b32 v[10:11], v46, off
	;; [unrolled: 1-line block ×4, first 2 shown]
	v_lshlrev_b64 v[10:11], 2, v[8:9]
	v_sub_nc_u32_e32 v8, v63, v1
	v_add_co_u32 v12, vcc_lo, v6, v18
	v_add_co_ci_u32_e32 v13, vcc_lo, v7, v19, vcc_lo
	s_delay_alu instid0(VALU_DEP_3) | instskip(SKIP_3) | instid1(VALU_DEP_3)
	v_lshlrev_b64 v[14:15], 2, v[8:9]
	v_sub_nc_u32_e32 v8, v59, v1
	v_add_co_u32 v10, vcc_lo, v6, v10
	v_add_co_ci_u32_e32 v11, vcc_lo, v7, v11, vcc_lo
	v_lshlrev_b64 v[8:9], 2, v[8:9]
	v_add_co_u32 v14, vcc_lo, v6, v14
	v_add_co_ci_u32_e32 v15, vcc_lo, v7, v15, vcc_lo
	s_clause 0x2
	global_store_b32 v[12:13], v36, off
	global_store_b32 v[10:11], v40, off
	;; [unrolled: 1-line block ×3, first 2 shown]
	v_add_co_u32 v8, vcc_lo, v6, v8
	v_add_co_ci_u32_e32 v9, vcc_lo, v7, v9, vcc_lo
	global_store_b32 v[8:9], v60, off
	s_or_b32 exec_lo, exec_lo, s15
	s_delay_alu instid0(SALU_CYCLE_1)
	s_and_b32 exec_lo, exec_lo, s17
	s_cbranch_execnz .LBB776_258
	s_branch .LBB776_259
.LBB776_240:
	s_and_not1_saveexec_b32 s0, s16
	s_cbranch_execz .LBB776_276
.LBB776_241:
	v_sub_nc_u32_e32 v2, v55, v1
	v_sub_nc_u32_e32 v8, v61, v1
	v_sub_nc_u32_e32 v9, v57, v1
	v_sub_nc_u32_e32 v10, v53, v1
	v_sub_nc_u32_e32 v11, v49, v1
	v_lshlrev_b32_e32 v2, 2, v2
	v_lshlrev_b32_e32 v8, 2, v8
	;; [unrolled: 1-line block ×4, first 2 shown]
	s_or_b32 s17, s17, exec_lo
	ds_store_b32 v2, v56
	ds_store_b32 v8, v62
	;; [unrolled: 1-line block ×3, first 2 shown]
	v_sub_nc_u32_e32 v2, v47, v1
	v_sub_nc_u32_e32 v8, v43, v1
	;; [unrolled: 1-line block ×3, first 2 shown]
	ds_store_b32 v10, v54
	v_sub_nc_u32_e32 v10, v45, v1
	v_lshlrev_b32_e32 v2, 2, v2
	v_lshlrev_b32_e32 v8, 2, v8
	;; [unrolled: 1-line block ×3, first 2 shown]
	s_delay_alu instid0(VALU_DEP_4)
	v_lshlrev_b32_e32 v10, 2, v10
	ds_store_b32 v2, v48
	v_lshlrev_b32_e32 v2, 2, v11
	ds_store_b32 v8, v44
	ds_store_b32 v9, v42
	;; [unrolled: 1-line block ×3, first 2 shown]
	v_sub_nc_u32_e32 v8, v33, v1
	v_sub_nc_u32_e32 v11, v59, v1
	;; [unrolled: 1-line block ×3, first 2 shown]
	ds_store_b32 v2, v50
	v_sub_nc_u32_e32 v2, v35, v1
	v_lshlrev_b32_e32 v8, 2, v8
	v_sub_nc_u32_e32 v10, v63, v1
	v_lshlrev_b32_e32 v9, 2, v9
	s_delay_alu instid0(VALU_DEP_4)
	v_lshlrev_b32_e32 v2, 2, v2
	ds_store_b32 v8, v34
	v_lshlrev_b32_e32 v8, 2, v11
	v_lshlrev_b32_e32 v10, 2, v10
	ds_store_b32 v2, v36
	ds_store_b32 v9, v40
	ds_store_b32 v10, v64
	ds_store_b32 v8, v60
	s_or_b32 exec_lo, exec_lo, s0
	s_delay_alu instid0(SALU_CYCLE_1)
	s_and_b32 exec_lo, exec_lo, s17
	s_cbranch_execnz .LBB776_277
	s_branch .LBB776_278
.LBB776_242:
	s_or_b32 exec_lo, exec_lo, s17
	s_and_saveexec_b32 s17, s13
	s_cbranch_execz .LBB776_209
.LBB776_243:
	v_sub_nc_u32_e32 v8, v61, v1
	v_mov_b32_e32 v9, 0
	s_delay_alu instid0(VALU_DEP_1) | instskip(NEXT) | instid1(VALU_DEP_1)
	v_lshlrev_b64 v[8:9], 2, v[8:9]
	v_add_co_u32 v8, vcc_lo, v6, v8
	s_delay_alu instid0(VALU_DEP_2)
	v_add_co_ci_u32_e32 v9, vcc_lo, v7, v9, vcc_lo
	global_store_b32 v[8:9], v62, off
	s_or_b32 exec_lo, exec_lo, s17
	s_and_saveexec_b32 s17, s12
	s_cbranch_execnz .LBB776_210
.LBB776_244:
	s_or_b32 exec_lo, exec_lo, s17
	s_and_saveexec_b32 s17, s11
	s_cbranch_execz .LBB776_211
.LBB776_245:
	v_sub_nc_u32_e32 v8, v53, v1
	v_mov_b32_e32 v9, 0
	s_delay_alu instid0(VALU_DEP_1) | instskip(NEXT) | instid1(VALU_DEP_1)
	v_lshlrev_b64 v[8:9], 2, v[8:9]
	v_add_co_u32 v8, vcc_lo, v6, v8
	s_delay_alu instid0(VALU_DEP_2)
	v_add_co_ci_u32_e32 v9, vcc_lo, v7, v9, vcc_lo
	global_store_b32 v[8:9], v54, off
	s_or_b32 exec_lo, exec_lo, s17
	s_and_saveexec_b32 s17, s10
	s_cbranch_execnz .LBB776_212
.LBB776_246:
	s_or_b32 exec_lo, exec_lo, s17
	s_and_saveexec_b32 s17, s9
	s_cbranch_execz .LBB776_213
.LBB776_247:
	v_sub_nc_u32_e32 v8, v43, v1
	v_mov_b32_e32 v9, 0
	s_delay_alu instid0(VALU_DEP_1) | instskip(NEXT) | instid1(VALU_DEP_1)
	v_lshlrev_b64 v[8:9], 2, v[8:9]
	v_add_co_u32 v8, vcc_lo, v6, v8
	s_delay_alu instid0(VALU_DEP_2)
	v_add_co_ci_u32_e32 v9, vcc_lo, v7, v9, vcc_lo
	global_store_b32 v[8:9], v44, off
	s_or_b32 exec_lo, exec_lo, s17
	s_and_saveexec_b32 s17, s8
	s_cbranch_execnz .LBB776_214
.LBB776_248:
	s_or_b32 exec_lo, exec_lo, s17
	s_and_saveexec_b32 s17, s7
	s_cbranch_execz .LBB776_215
.LBB776_249:
	v_sub_nc_u32_e32 v8, v45, v1
	v_mov_b32_e32 v9, 0
	s_delay_alu instid0(VALU_DEP_1) | instskip(NEXT) | instid1(VALU_DEP_1)
	v_lshlrev_b64 v[8:9], 2, v[8:9]
	v_add_co_u32 v8, vcc_lo, v6, v8
	s_delay_alu instid0(VALU_DEP_2)
	v_add_co_ci_u32_e32 v9, vcc_lo, v7, v9, vcc_lo
	global_store_b32 v[8:9], v46, off
	s_or_b32 exec_lo, exec_lo, s17
	s_and_saveexec_b32 s17, s6
	s_cbranch_execnz .LBB776_216
.LBB776_250:
	s_or_b32 exec_lo, exec_lo, s17
	s_and_saveexec_b32 s17, s5
	s_cbranch_execz .LBB776_217
.LBB776_251:
	v_sub_nc_u32_e32 v8, v33, v1
	v_mov_b32_e32 v9, 0
	s_delay_alu instid0(VALU_DEP_1) | instskip(NEXT) | instid1(VALU_DEP_1)
	v_lshlrev_b64 v[8:9], 2, v[8:9]
	v_add_co_u32 v8, vcc_lo, v6, v8
	s_delay_alu instid0(VALU_DEP_2)
	v_add_co_ci_u32_e32 v9, vcc_lo, v7, v9, vcc_lo
	global_store_b32 v[8:9], v34, off
	s_or_b32 exec_lo, exec_lo, s17
	s_and_saveexec_b32 s17, s4
	s_cbranch_execnz .LBB776_218
.LBB776_252:
	s_or_b32 exec_lo, exec_lo, s17
	s_and_saveexec_b32 s17, s3
	s_cbranch_execz .LBB776_219
.LBB776_253:
	v_sub_nc_u32_e32 v8, v39, v1
	v_mov_b32_e32 v9, 0
	s_delay_alu instid0(VALU_DEP_1) | instskip(NEXT) | instid1(VALU_DEP_1)
	v_lshlrev_b64 v[8:9], 2, v[8:9]
	v_add_co_u32 v8, vcc_lo, v6, v8
	s_delay_alu instid0(VALU_DEP_2)
	v_add_co_ci_u32_e32 v9, vcc_lo, v7, v9, vcc_lo
	global_store_b32 v[8:9], v40, off
	s_or_b32 exec_lo, exec_lo, s17
	s_and_saveexec_b32 s17, s2
	s_cbranch_execnz .LBB776_220
.LBB776_254:
	s_or_b32 exec_lo, exec_lo, s17
	s_and_saveexec_b32 s17, s1
	s_cbranch_execz .LBB776_256
.LBB776_255:
	v_sub_nc_u32_e32 v8, v59, v1
	v_mov_b32_e32 v9, 0
	s_delay_alu instid0(VALU_DEP_1) | instskip(NEXT) | instid1(VALU_DEP_1)
	v_lshlrev_b64 v[8:9], 2, v[8:9]
	v_add_co_u32 v8, vcc_lo, v6, v8
	s_delay_alu instid0(VALU_DEP_2)
	v_add_co_ci_u32_e32 v9, vcc_lo, v7, v9, vcc_lo
	global_store_b32 v[8:9], v60, off
.LBB776_256:
	s_or_b32 exec_lo, exec_lo, s17
	s_delay_alu instid0(SALU_CYCLE_1)
	s_and_b32 s17, s0, exec_lo
	s_and_not1_saveexec_b32 s15, s15
	s_cbranch_execnz .LBB776_239
.LBB776_257:
	s_or_b32 exec_lo, exec_lo, s15
	s_delay_alu instid0(SALU_CYCLE_1)
	s_and_b32 exec_lo, exec_lo, s17
	s_cbranch_execz .LBB776_259
.LBB776_258:
	v_sub_nc_u32_e32 v8, v51, v1
	v_mov_b32_e32 v9, 0
	s_delay_alu instid0(VALU_DEP_1) | instskip(NEXT) | instid1(VALU_DEP_1)
	v_lshlrev_b64 v[8:9], 2, v[8:9]
	v_add_co_u32 v8, vcc_lo, v6, v8
	s_delay_alu instid0(VALU_DEP_2)
	v_add_co_ci_u32_e32 v9, vcc_lo, v7, v9, vcc_lo
	global_store_b32 v[8:9], v52, off
.LBB776_259:
	s_or_b32 exec_lo, exec_lo, s16
.LBB776_260:
	v_cmp_eq_u32_e32 vcc_lo, 0xff, v0
	s_and_b32 s0, vcc_lo, s20
	s_delay_alu instid0(SALU_CYCLE_1)
	s_and_saveexec_b32 s1, s0
	s_cbranch_execnz .LBB776_282
	s_branch .LBB776_284
.LBB776_261:
	s_or_b32 exec_lo, exec_lo, s17
	s_and_saveexec_b32 s14, s13
	s_cbranch_execz .LBB776_226
.LBB776_262:
	v_sub_nc_u32_e32 v2, v61, v1
	s_delay_alu instid0(VALU_DEP_1)
	v_lshlrev_b32_e32 v2, 2, v2
	ds_store_b32 v2, v62
	s_or_b32 exec_lo, exec_lo, s14
	s_and_saveexec_b32 s13, s12
	s_cbranch_execnz .LBB776_227
.LBB776_263:
	s_or_b32 exec_lo, exec_lo, s13
	s_and_saveexec_b32 s12, s11
	s_cbranch_execz .LBB776_228
.LBB776_264:
	v_sub_nc_u32_e32 v2, v53, v1
	s_delay_alu instid0(VALU_DEP_1)
	v_lshlrev_b32_e32 v2, 2, v2
	ds_store_b32 v2, v54
	s_or_b32 exec_lo, exec_lo, s12
	s_and_saveexec_b32 s11, s10
	s_cbranch_execnz .LBB776_229
.LBB776_265:
	s_or_b32 exec_lo, exec_lo, s11
	s_and_saveexec_b32 s10, s9
	s_cbranch_execz .LBB776_230
.LBB776_266:
	v_sub_nc_u32_e32 v2, v43, v1
	s_delay_alu instid0(VALU_DEP_1)
	v_lshlrev_b32_e32 v2, 2, v2
	ds_store_b32 v2, v44
	s_or_b32 exec_lo, exec_lo, s10
	s_and_saveexec_b32 s9, s8
	s_cbranch_execnz .LBB776_231
.LBB776_267:
	s_or_b32 exec_lo, exec_lo, s9
	s_and_saveexec_b32 s8, s7
	s_cbranch_execz .LBB776_232
.LBB776_268:
	v_sub_nc_u32_e32 v2, v45, v1
	s_delay_alu instid0(VALU_DEP_1)
	v_lshlrev_b32_e32 v2, 2, v2
	ds_store_b32 v2, v46
	s_or_b32 exec_lo, exec_lo, s8
	s_and_saveexec_b32 s7, s6
	s_cbranch_execnz .LBB776_233
.LBB776_269:
	s_or_b32 exec_lo, exec_lo, s7
	s_and_saveexec_b32 s6, s5
	s_cbranch_execz .LBB776_234
.LBB776_270:
	v_sub_nc_u32_e32 v2, v33, v1
	s_delay_alu instid0(VALU_DEP_1)
	v_lshlrev_b32_e32 v2, 2, v2
	ds_store_b32 v2, v34
	s_or_b32 exec_lo, exec_lo, s6
	s_and_saveexec_b32 s5, s4
	s_cbranch_execnz .LBB776_235
.LBB776_271:
	s_or_b32 exec_lo, exec_lo, s5
	s_and_saveexec_b32 s4, s3
	s_cbranch_execz .LBB776_236
.LBB776_272:
	v_sub_nc_u32_e32 v2, v39, v1
	s_delay_alu instid0(VALU_DEP_1)
	v_lshlrev_b32_e32 v2, 2, v2
	ds_store_b32 v2, v40
	s_or_b32 exec_lo, exec_lo, s4
	s_and_saveexec_b32 s3, s2
	s_cbranch_execnz .LBB776_237
.LBB776_273:
	s_or_b32 exec_lo, exec_lo, s3
	s_and_saveexec_b32 s2, s1
	s_cbranch_execz .LBB776_275
.LBB776_274:
	v_sub_nc_u32_e32 v2, v59, v1
	s_delay_alu instid0(VALU_DEP_1)
	v_lshlrev_b32_e32 v2, 2, v2
	ds_store_b32 v2, v60
.LBB776_275:
	s_or_b32 exec_lo, exec_lo, s2
	s_delay_alu instid0(SALU_CYCLE_1)
	s_and_b32 s17, s0, exec_lo
                                        ; implicit-def: $vgpr55_vgpr56
                                        ; implicit-def: $vgpr61_vgpr62
                                        ; implicit-def: $vgpr57_vgpr58
                                        ; implicit-def: $vgpr53_vgpr54
                                        ; implicit-def: $vgpr47_vgpr48
                                        ; implicit-def: $vgpr43_vgpr44
                                        ; implicit-def: $vgpr41_vgpr42
                                        ; implicit-def: $vgpr45_vgpr46
                                        ; implicit-def: $vgpr49_vgpr50
                                        ; implicit-def: $vgpr33_vgpr34
                                        ; implicit-def: $vgpr35_vgpr36
                                        ; implicit-def: $vgpr39_vgpr40
                                        ; implicit-def: $vgpr63_vgpr64
                                        ; implicit-def: $vgpr59_vgpr60
	s_and_not1_saveexec_b32 s0, s16
	s_cbranch_execnz .LBB776_241
.LBB776_276:
	s_or_b32 exec_lo, exec_lo, s0
	s_delay_alu instid0(SALU_CYCLE_1)
	s_and_b32 exec_lo, exec_lo, s17
	s_cbranch_execz .LBB776_278
.LBB776_277:
	v_sub_nc_u32_e32 v1, v51, v1
	s_delay_alu instid0(VALU_DEP_1)
	v_lshlrev_b32_e32 v1, 2, v1
	ds_store_b32 v1, v52
.LBB776_278:
	s_or_b32 exec_lo, exec_lo, s15
	s_delay_alu instid0(SALU_CYCLE_1)
	s_mov_b32 s1, exec_lo
	s_waitcnt lgkmcnt(0)
	s_waitcnt_vscnt null, 0x0
	s_barrier
	buffer_gl0_inv
	v_cmpx_lt_u32_e64 v0, v3
	s_cbranch_execz .LBB776_281
; %bb.279:
	v_dual_mov_b32 v1, v0 :: v_dual_lshlrev_b32 v8, 2, v0
	v_mov_b32_e32 v2, 0
	s_mov_b32 s2, 0
	.p2align	6
.LBB776_280:                            ; =>This Inner Loop Header: Depth=1
	ds_load_b32 v11, v8
	v_lshlrev_b64 v[9:10], 2, v[1:2]
	v_add_nc_u32_e32 v1, 0x100, v1
	v_add_nc_u32_e32 v8, 0x400, v8
	s_delay_alu instid0(VALU_DEP_2) | instskip(NEXT) | instid1(VALU_DEP_4)
	v_cmp_ge_u32_e32 vcc_lo, v1, v3
	v_add_co_u32 v9, s0, v6, v9
	s_delay_alu instid0(VALU_DEP_1)
	v_add_co_ci_u32_e64 v10, s0, v7, v10, s0
	s_or_b32 s2, vcc_lo, s2
	s_waitcnt lgkmcnt(0)
	global_store_b32 v[9:10], v11, off
	s_and_not1_b32 exec_lo, exec_lo, s2
	s_cbranch_execnz .LBB776_280
.LBB776_281:
	s_or_b32 exec_lo, exec_lo, s1
	v_cmp_eq_u32_e32 vcc_lo, 0xff, v0
	s_and_b32 s0, vcc_lo, s20
	s_delay_alu instid0(SALU_CYCLE_1)
	s_and_saveexec_b32 s1, s0
	s_cbranch_execz .LBB776_284
.LBB776_282:
	v_add_co_u32 v0, s0, v29, v31
	s_delay_alu instid0(VALU_DEP_1) | instskip(SKIP_1) | instid1(VALU_DEP_3)
	v_add_co_ci_u32_e64 v1, null, 0, 0, s0
	v_mov_b32_e32 v30, 0
	v_add_co_u32 v0, vcc_lo, v0, v65
	s_delay_alu instid0(VALU_DEP_3)
	v_add_co_ci_u32_e32 v1, vcc_lo, v1, v66, vcc_lo
	s_cmpk_lg_i32 s21, 0xf00
	global_store_b64 v30, v[0:1], s[38:39]
	s_cbranch_scc1 .LBB776_284
; %bb.283:
	v_lshlrev_b64 v[0:1], 2, v[29:30]
	s_delay_alu instid0(VALU_DEP_1) | instskip(NEXT) | instid1(VALU_DEP_2)
	v_add_co_u32 v0, vcc_lo, v4, v0
	v_add_co_ci_u32_e32 v1, vcc_lo, v5, v1, vcc_lo
	global_store_b32 v[0:1], v94, off offset:-4
	s_nop 0
	s_sendmsg sendmsg(MSG_DEALLOC_VGPRS)
	s_endpgm
.LBB776_284:
	s_nop 0
	s_sendmsg sendmsg(MSG_DEALLOC_VGPRS)
	s_endpgm
	.section	.rodata,"a",@progbits
	.p2align	6, 0x0
	.amdhsa_kernel _ZN7rocprim17ROCPRIM_400000_NS6detail17trampoline_kernelINS0_14default_configENS1_29reduce_by_key_config_selectorIxjN6thrust23THRUST_200600_302600_NS4plusIjEEEEZZNS1_33reduce_by_key_impl_wrapped_configILNS1_25lookback_scan_determinismE0ES3_S9_NS6_6detail15normal_iteratorINS6_10device_ptrIxEEEENSD_INSE_IjEEEESG_SI_PmS8_NS6_8equal_toIxEEEE10hipError_tPvRmT2_T3_mT4_T5_T6_T7_T8_P12ihipStream_tbENKUlT_T0_E_clISt17integral_constantIbLb0EES13_EEDaSY_SZ_EUlSY_E_NS1_11comp_targetILNS1_3genE9ELNS1_11target_archE1100ELNS1_3gpuE3ELNS1_3repE0EEENS1_30default_config_static_selectorELNS0_4arch9wavefront6targetE0EEEvT1_
		.amdhsa_group_segment_fixed_size 30720
		.amdhsa_private_segment_fixed_size 0
		.amdhsa_kernarg_size 120
		.amdhsa_user_sgpr_count 15
		.amdhsa_user_sgpr_dispatch_ptr 0
		.amdhsa_user_sgpr_queue_ptr 0
		.amdhsa_user_sgpr_kernarg_segment_ptr 1
		.amdhsa_user_sgpr_dispatch_id 0
		.amdhsa_user_sgpr_private_segment_size 0
		.amdhsa_wavefront_size32 1
		.amdhsa_uses_dynamic_stack 0
		.amdhsa_enable_private_segment 0
		.amdhsa_system_sgpr_workgroup_id_x 1
		.amdhsa_system_sgpr_workgroup_id_y 0
		.amdhsa_system_sgpr_workgroup_id_z 0
		.amdhsa_system_sgpr_workgroup_info 0
		.amdhsa_system_vgpr_workitem_id 0
		.amdhsa_next_free_vgpr 100
		.amdhsa_next_free_sgpr 46
		.amdhsa_reserve_vcc 1
		.amdhsa_float_round_mode_32 0
		.amdhsa_float_round_mode_16_64 0
		.amdhsa_float_denorm_mode_32 3
		.amdhsa_float_denorm_mode_16_64 3
		.amdhsa_dx10_clamp 1
		.amdhsa_ieee_mode 1
		.amdhsa_fp16_overflow 0
		.amdhsa_workgroup_processor_mode 1
		.amdhsa_memory_ordered 1
		.amdhsa_forward_progress 0
		.amdhsa_shared_vgpr_count 0
		.amdhsa_exception_fp_ieee_invalid_op 0
		.amdhsa_exception_fp_denorm_src 0
		.amdhsa_exception_fp_ieee_div_zero 0
		.amdhsa_exception_fp_ieee_overflow 0
		.amdhsa_exception_fp_ieee_underflow 0
		.amdhsa_exception_fp_ieee_inexact 0
		.amdhsa_exception_int_div_zero 0
	.end_amdhsa_kernel
	.section	.text._ZN7rocprim17ROCPRIM_400000_NS6detail17trampoline_kernelINS0_14default_configENS1_29reduce_by_key_config_selectorIxjN6thrust23THRUST_200600_302600_NS4plusIjEEEEZZNS1_33reduce_by_key_impl_wrapped_configILNS1_25lookback_scan_determinismE0ES3_S9_NS6_6detail15normal_iteratorINS6_10device_ptrIxEEEENSD_INSE_IjEEEESG_SI_PmS8_NS6_8equal_toIxEEEE10hipError_tPvRmT2_T3_mT4_T5_T6_T7_T8_P12ihipStream_tbENKUlT_T0_E_clISt17integral_constantIbLb0EES13_EEDaSY_SZ_EUlSY_E_NS1_11comp_targetILNS1_3genE9ELNS1_11target_archE1100ELNS1_3gpuE3ELNS1_3repE0EEENS1_30default_config_static_selectorELNS0_4arch9wavefront6targetE0EEEvT1_,"axG",@progbits,_ZN7rocprim17ROCPRIM_400000_NS6detail17trampoline_kernelINS0_14default_configENS1_29reduce_by_key_config_selectorIxjN6thrust23THRUST_200600_302600_NS4plusIjEEEEZZNS1_33reduce_by_key_impl_wrapped_configILNS1_25lookback_scan_determinismE0ES3_S9_NS6_6detail15normal_iteratorINS6_10device_ptrIxEEEENSD_INSE_IjEEEESG_SI_PmS8_NS6_8equal_toIxEEEE10hipError_tPvRmT2_T3_mT4_T5_T6_T7_T8_P12ihipStream_tbENKUlT_T0_E_clISt17integral_constantIbLb0EES13_EEDaSY_SZ_EUlSY_E_NS1_11comp_targetILNS1_3genE9ELNS1_11target_archE1100ELNS1_3gpuE3ELNS1_3repE0EEENS1_30default_config_static_selectorELNS0_4arch9wavefront6targetE0EEEvT1_,comdat
.Lfunc_end776:
	.size	_ZN7rocprim17ROCPRIM_400000_NS6detail17trampoline_kernelINS0_14default_configENS1_29reduce_by_key_config_selectorIxjN6thrust23THRUST_200600_302600_NS4plusIjEEEEZZNS1_33reduce_by_key_impl_wrapped_configILNS1_25lookback_scan_determinismE0ES3_S9_NS6_6detail15normal_iteratorINS6_10device_ptrIxEEEENSD_INSE_IjEEEESG_SI_PmS8_NS6_8equal_toIxEEEE10hipError_tPvRmT2_T3_mT4_T5_T6_T7_T8_P12ihipStream_tbENKUlT_T0_E_clISt17integral_constantIbLb0EES13_EEDaSY_SZ_EUlSY_E_NS1_11comp_targetILNS1_3genE9ELNS1_11target_archE1100ELNS1_3gpuE3ELNS1_3repE0EEENS1_30default_config_static_selectorELNS0_4arch9wavefront6targetE0EEEvT1_, .Lfunc_end776-_ZN7rocprim17ROCPRIM_400000_NS6detail17trampoline_kernelINS0_14default_configENS1_29reduce_by_key_config_selectorIxjN6thrust23THRUST_200600_302600_NS4plusIjEEEEZZNS1_33reduce_by_key_impl_wrapped_configILNS1_25lookback_scan_determinismE0ES3_S9_NS6_6detail15normal_iteratorINS6_10device_ptrIxEEEENSD_INSE_IjEEEESG_SI_PmS8_NS6_8equal_toIxEEEE10hipError_tPvRmT2_T3_mT4_T5_T6_T7_T8_P12ihipStream_tbENKUlT_T0_E_clISt17integral_constantIbLb0EES13_EEDaSY_SZ_EUlSY_E_NS1_11comp_targetILNS1_3genE9ELNS1_11target_archE1100ELNS1_3gpuE3ELNS1_3repE0EEENS1_30default_config_static_selectorELNS0_4arch9wavefront6targetE0EEEvT1_
                                        ; -- End function
	.section	.AMDGPU.csdata,"",@progbits
; Kernel info:
; codeLenInByte = 17580
; NumSgprs: 48
; NumVgprs: 100
; ScratchSize: 0
; MemoryBound: 0
; FloatMode: 240
; IeeeMode: 1
; LDSByteSize: 30720 bytes/workgroup (compile time only)
; SGPRBlocks: 5
; VGPRBlocks: 12
; NumSGPRsForWavesPerEU: 48
; NumVGPRsForWavesPerEU: 100
; Occupancy: 8
; WaveLimiterHint : 1
; COMPUTE_PGM_RSRC2:SCRATCH_EN: 0
; COMPUTE_PGM_RSRC2:USER_SGPR: 15
; COMPUTE_PGM_RSRC2:TRAP_HANDLER: 0
; COMPUTE_PGM_RSRC2:TGID_X_EN: 1
; COMPUTE_PGM_RSRC2:TGID_Y_EN: 0
; COMPUTE_PGM_RSRC2:TGID_Z_EN: 0
; COMPUTE_PGM_RSRC2:TIDIG_COMP_CNT: 0
	.section	.text._ZN7rocprim17ROCPRIM_400000_NS6detail17trampoline_kernelINS0_14default_configENS1_29reduce_by_key_config_selectorIxjN6thrust23THRUST_200600_302600_NS4plusIjEEEEZZNS1_33reduce_by_key_impl_wrapped_configILNS1_25lookback_scan_determinismE0ES3_S9_NS6_6detail15normal_iteratorINS6_10device_ptrIxEEEENSD_INSE_IjEEEESG_SI_PmS8_NS6_8equal_toIxEEEE10hipError_tPvRmT2_T3_mT4_T5_T6_T7_T8_P12ihipStream_tbENKUlT_T0_E_clISt17integral_constantIbLb0EES13_EEDaSY_SZ_EUlSY_E_NS1_11comp_targetILNS1_3genE8ELNS1_11target_archE1030ELNS1_3gpuE2ELNS1_3repE0EEENS1_30default_config_static_selectorELNS0_4arch9wavefront6targetE0EEEvT1_,"axG",@progbits,_ZN7rocprim17ROCPRIM_400000_NS6detail17trampoline_kernelINS0_14default_configENS1_29reduce_by_key_config_selectorIxjN6thrust23THRUST_200600_302600_NS4plusIjEEEEZZNS1_33reduce_by_key_impl_wrapped_configILNS1_25lookback_scan_determinismE0ES3_S9_NS6_6detail15normal_iteratorINS6_10device_ptrIxEEEENSD_INSE_IjEEEESG_SI_PmS8_NS6_8equal_toIxEEEE10hipError_tPvRmT2_T3_mT4_T5_T6_T7_T8_P12ihipStream_tbENKUlT_T0_E_clISt17integral_constantIbLb0EES13_EEDaSY_SZ_EUlSY_E_NS1_11comp_targetILNS1_3genE8ELNS1_11target_archE1030ELNS1_3gpuE2ELNS1_3repE0EEENS1_30default_config_static_selectorELNS0_4arch9wavefront6targetE0EEEvT1_,comdat
	.protected	_ZN7rocprim17ROCPRIM_400000_NS6detail17trampoline_kernelINS0_14default_configENS1_29reduce_by_key_config_selectorIxjN6thrust23THRUST_200600_302600_NS4plusIjEEEEZZNS1_33reduce_by_key_impl_wrapped_configILNS1_25lookback_scan_determinismE0ES3_S9_NS6_6detail15normal_iteratorINS6_10device_ptrIxEEEENSD_INSE_IjEEEESG_SI_PmS8_NS6_8equal_toIxEEEE10hipError_tPvRmT2_T3_mT4_T5_T6_T7_T8_P12ihipStream_tbENKUlT_T0_E_clISt17integral_constantIbLb0EES13_EEDaSY_SZ_EUlSY_E_NS1_11comp_targetILNS1_3genE8ELNS1_11target_archE1030ELNS1_3gpuE2ELNS1_3repE0EEENS1_30default_config_static_selectorELNS0_4arch9wavefront6targetE0EEEvT1_ ; -- Begin function _ZN7rocprim17ROCPRIM_400000_NS6detail17trampoline_kernelINS0_14default_configENS1_29reduce_by_key_config_selectorIxjN6thrust23THRUST_200600_302600_NS4plusIjEEEEZZNS1_33reduce_by_key_impl_wrapped_configILNS1_25lookback_scan_determinismE0ES3_S9_NS6_6detail15normal_iteratorINS6_10device_ptrIxEEEENSD_INSE_IjEEEESG_SI_PmS8_NS6_8equal_toIxEEEE10hipError_tPvRmT2_T3_mT4_T5_T6_T7_T8_P12ihipStream_tbENKUlT_T0_E_clISt17integral_constantIbLb0EES13_EEDaSY_SZ_EUlSY_E_NS1_11comp_targetILNS1_3genE8ELNS1_11target_archE1030ELNS1_3gpuE2ELNS1_3repE0EEENS1_30default_config_static_selectorELNS0_4arch9wavefront6targetE0EEEvT1_
	.globl	_ZN7rocprim17ROCPRIM_400000_NS6detail17trampoline_kernelINS0_14default_configENS1_29reduce_by_key_config_selectorIxjN6thrust23THRUST_200600_302600_NS4plusIjEEEEZZNS1_33reduce_by_key_impl_wrapped_configILNS1_25lookback_scan_determinismE0ES3_S9_NS6_6detail15normal_iteratorINS6_10device_ptrIxEEEENSD_INSE_IjEEEESG_SI_PmS8_NS6_8equal_toIxEEEE10hipError_tPvRmT2_T3_mT4_T5_T6_T7_T8_P12ihipStream_tbENKUlT_T0_E_clISt17integral_constantIbLb0EES13_EEDaSY_SZ_EUlSY_E_NS1_11comp_targetILNS1_3genE8ELNS1_11target_archE1030ELNS1_3gpuE2ELNS1_3repE0EEENS1_30default_config_static_selectorELNS0_4arch9wavefront6targetE0EEEvT1_
	.p2align	8
	.type	_ZN7rocprim17ROCPRIM_400000_NS6detail17trampoline_kernelINS0_14default_configENS1_29reduce_by_key_config_selectorIxjN6thrust23THRUST_200600_302600_NS4plusIjEEEEZZNS1_33reduce_by_key_impl_wrapped_configILNS1_25lookback_scan_determinismE0ES3_S9_NS6_6detail15normal_iteratorINS6_10device_ptrIxEEEENSD_INSE_IjEEEESG_SI_PmS8_NS6_8equal_toIxEEEE10hipError_tPvRmT2_T3_mT4_T5_T6_T7_T8_P12ihipStream_tbENKUlT_T0_E_clISt17integral_constantIbLb0EES13_EEDaSY_SZ_EUlSY_E_NS1_11comp_targetILNS1_3genE8ELNS1_11target_archE1030ELNS1_3gpuE2ELNS1_3repE0EEENS1_30default_config_static_selectorELNS0_4arch9wavefront6targetE0EEEvT1_,@function
_ZN7rocprim17ROCPRIM_400000_NS6detail17trampoline_kernelINS0_14default_configENS1_29reduce_by_key_config_selectorIxjN6thrust23THRUST_200600_302600_NS4plusIjEEEEZZNS1_33reduce_by_key_impl_wrapped_configILNS1_25lookback_scan_determinismE0ES3_S9_NS6_6detail15normal_iteratorINS6_10device_ptrIxEEEENSD_INSE_IjEEEESG_SI_PmS8_NS6_8equal_toIxEEEE10hipError_tPvRmT2_T3_mT4_T5_T6_T7_T8_P12ihipStream_tbENKUlT_T0_E_clISt17integral_constantIbLb0EES13_EEDaSY_SZ_EUlSY_E_NS1_11comp_targetILNS1_3genE8ELNS1_11target_archE1030ELNS1_3gpuE2ELNS1_3repE0EEENS1_30default_config_static_selectorELNS0_4arch9wavefront6targetE0EEEvT1_: ; @_ZN7rocprim17ROCPRIM_400000_NS6detail17trampoline_kernelINS0_14default_configENS1_29reduce_by_key_config_selectorIxjN6thrust23THRUST_200600_302600_NS4plusIjEEEEZZNS1_33reduce_by_key_impl_wrapped_configILNS1_25lookback_scan_determinismE0ES3_S9_NS6_6detail15normal_iteratorINS6_10device_ptrIxEEEENSD_INSE_IjEEEESG_SI_PmS8_NS6_8equal_toIxEEEE10hipError_tPvRmT2_T3_mT4_T5_T6_T7_T8_P12ihipStream_tbENKUlT_T0_E_clISt17integral_constantIbLb0EES13_EEDaSY_SZ_EUlSY_E_NS1_11comp_targetILNS1_3genE8ELNS1_11target_archE1030ELNS1_3gpuE2ELNS1_3repE0EEENS1_30default_config_static_selectorELNS0_4arch9wavefront6targetE0EEEvT1_
; %bb.0:
	.section	.rodata,"a",@progbits
	.p2align	6, 0x0
	.amdhsa_kernel _ZN7rocprim17ROCPRIM_400000_NS6detail17trampoline_kernelINS0_14default_configENS1_29reduce_by_key_config_selectorIxjN6thrust23THRUST_200600_302600_NS4plusIjEEEEZZNS1_33reduce_by_key_impl_wrapped_configILNS1_25lookback_scan_determinismE0ES3_S9_NS6_6detail15normal_iteratorINS6_10device_ptrIxEEEENSD_INSE_IjEEEESG_SI_PmS8_NS6_8equal_toIxEEEE10hipError_tPvRmT2_T3_mT4_T5_T6_T7_T8_P12ihipStream_tbENKUlT_T0_E_clISt17integral_constantIbLb0EES13_EEDaSY_SZ_EUlSY_E_NS1_11comp_targetILNS1_3genE8ELNS1_11target_archE1030ELNS1_3gpuE2ELNS1_3repE0EEENS1_30default_config_static_selectorELNS0_4arch9wavefront6targetE0EEEvT1_
		.amdhsa_group_segment_fixed_size 0
		.amdhsa_private_segment_fixed_size 0
		.amdhsa_kernarg_size 120
		.amdhsa_user_sgpr_count 15
		.amdhsa_user_sgpr_dispatch_ptr 0
		.amdhsa_user_sgpr_queue_ptr 0
		.amdhsa_user_sgpr_kernarg_segment_ptr 1
		.amdhsa_user_sgpr_dispatch_id 0
		.amdhsa_user_sgpr_private_segment_size 0
		.amdhsa_wavefront_size32 1
		.amdhsa_uses_dynamic_stack 0
		.amdhsa_enable_private_segment 0
		.amdhsa_system_sgpr_workgroup_id_x 1
		.amdhsa_system_sgpr_workgroup_id_y 0
		.amdhsa_system_sgpr_workgroup_id_z 0
		.amdhsa_system_sgpr_workgroup_info 0
		.amdhsa_system_vgpr_workitem_id 0
		.amdhsa_next_free_vgpr 1
		.amdhsa_next_free_sgpr 1
		.amdhsa_reserve_vcc 0
		.amdhsa_float_round_mode_32 0
		.amdhsa_float_round_mode_16_64 0
		.amdhsa_float_denorm_mode_32 3
		.amdhsa_float_denorm_mode_16_64 3
		.amdhsa_dx10_clamp 1
		.amdhsa_ieee_mode 1
		.amdhsa_fp16_overflow 0
		.amdhsa_workgroup_processor_mode 1
		.amdhsa_memory_ordered 1
		.amdhsa_forward_progress 0
		.amdhsa_shared_vgpr_count 0
		.amdhsa_exception_fp_ieee_invalid_op 0
		.amdhsa_exception_fp_denorm_src 0
		.amdhsa_exception_fp_ieee_div_zero 0
		.amdhsa_exception_fp_ieee_overflow 0
		.amdhsa_exception_fp_ieee_underflow 0
		.amdhsa_exception_fp_ieee_inexact 0
		.amdhsa_exception_int_div_zero 0
	.end_amdhsa_kernel
	.section	.text._ZN7rocprim17ROCPRIM_400000_NS6detail17trampoline_kernelINS0_14default_configENS1_29reduce_by_key_config_selectorIxjN6thrust23THRUST_200600_302600_NS4plusIjEEEEZZNS1_33reduce_by_key_impl_wrapped_configILNS1_25lookback_scan_determinismE0ES3_S9_NS6_6detail15normal_iteratorINS6_10device_ptrIxEEEENSD_INSE_IjEEEESG_SI_PmS8_NS6_8equal_toIxEEEE10hipError_tPvRmT2_T3_mT4_T5_T6_T7_T8_P12ihipStream_tbENKUlT_T0_E_clISt17integral_constantIbLb0EES13_EEDaSY_SZ_EUlSY_E_NS1_11comp_targetILNS1_3genE8ELNS1_11target_archE1030ELNS1_3gpuE2ELNS1_3repE0EEENS1_30default_config_static_selectorELNS0_4arch9wavefront6targetE0EEEvT1_,"axG",@progbits,_ZN7rocprim17ROCPRIM_400000_NS6detail17trampoline_kernelINS0_14default_configENS1_29reduce_by_key_config_selectorIxjN6thrust23THRUST_200600_302600_NS4plusIjEEEEZZNS1_33reduce_by_key_impl_wrapped_configILNS1_25lookback_scan_determinismE0ES3_S9_NS6_6detail15normal_iteratorINS6_10device_ptrIxEEEENSD_INSE_IjEEEESG_SI_PmS8_NS6_8equal_toIxEEEE10hipError_tPvRmT2_T3_mT4_T5_T6_T7_T8_P12ihipStream_tbENKUlT_T0_E_clISt17integral_constantIbLb0EES13_EEDaSY_SZ_EUlSY_E_NS1_11comp_targetILNS1_3genE8ELNS1_11target_archE1030ELNS1_3gpuE2ELNS1_3repE0EEENS1_30default_config_static_selectorELNS0_4arch9wavefront6targetE0EEEvT1_,comdat
.Lfunc_end777:
	.size	_ZN7rocprim17ROCPRIM_400000_NS6detail17trampoline_kernelINS0_14default_configENS1_29reduce_by_key_config_selectorIxjN6thrust23THRUST_200600_302600_NS4plusIjEEEEZZNS1_33reduce_by_key_impl_wrapped_configILNS1_25lookback_scan_determinismE0ES3_S9_NS6_6detail15normal_iteratorINS6_10device_ptrIxEEEENSD_INSE_IjEEEESG_SI_PmS8_NS6_8equal_toIxEEEE10hipError_tPvRmT2_T3_mT4_T5_T6_T7_T8_P12ihipStream_tbENKUlT_T0_E_clISt17integral_constantIbLb0EES13_EEDaSY_SZ_EUlSY_E_NS1_11comp_targetILNS1_3genE8ELNS1_11target_archE1030ELNS1_3gpuE2ELNS1_3repE0EEENS1_30default_config_static_selectorELNS0_4arch9wavefront6targetE0EEEvT1_, .Lfunc_end777-_ZN7rocprim17ROCPRIM_400000_NS6detail17trampoline_kernelINS0_14default_configENS1_29reduce_by_key_config_selectorIxjN6thrust23THRUST_200600_302600_NS4plusIjEEEEZZNS1_33reduce_by_key_impl_wrapped_configILNS1_25lookback_scan_determinismE0ES3_S9_NS6_6detail15normal_iteratorINS6_10device_ptrIxEEEENSD_INSE_IjEEEESG_SI_PmS8_NS6_8equal_toIxEEEE10hipError_tPvRmT2_T3_mT4_T5_T6_T7_T8_P12ihipStream_tbENKUlT_T0_E_clISt17integral_constantIbLb0EES13_EEDaSY_SZ_EUlSY_E_NS1_11comp_targetILNS1_3genE8ELNS1_11target_archE1030ELNS1_3gpuE2ELNS1_3repE0EEENS1_30default_config_static_selectorELNS0_4arch9wavefront6targetE0EEEvT1_
                                        ; -- End function
	.section	.AMDGPU.csdata,"",@progbits
; Kernel info:
; codeLenInByte = 0
; NumSgprs: 0
; NumVgprs: 0
; ScratchSize: 0
; MemoryBound: 0
; FloatMode: 240
; IeeeMode: 1
; LDSByteSize: 0 bytes/workgroup (compile time only)
; SGPRBlocks: 0
; VGPRBlocks: 0
; NumSGPRsForWavesPerEU: 1
; NumVGPRsForWavesPerEU: 1
; Occupancy: 16
; WaveLimiterHint : 0
; COMPUTE_PGM_RSRC2:SCRATCH_EN: 0
; COMPUTE_PGM_RSRC2:USER_SGPR: 15
; COMPUTE_PGM_RSRC2:TRAP_HANDLER: 0
; COMPUTE_PGM_RSRC2:TGID_X_EN: 1
; COMPUTE_PGM_RSRC2:TGID_Y_EN: 0
; COMPUTE_PGM_RSRC2:TGID_Z_EN: 0
; COMPUTE_PGM_RSRC2:TIDIG_COMP_CNT: 0
	.section	.text._ZN7rocprim17ROCPRIM_400000_NS6detail17trampoline_kernelINS0_14default_configENS1_29reduce_by_key_config_selectorIxjN6thrust23THRUST_200600_302600_NS4plusIjEEEEZZNS1_33reduce_by_key_impl_wrapped_configILNS1_25lookback_scan_determinismE0ES3_S9_NS6_6detail15normal_iteratorINS6_10device_ptrIxEEEENSD_INSE_IjEEEESG_SI_PmS8_NS6_8equal_toIxEEEE10hipError_tPvRmT2_T3_mT4_T5_T6_T7_T8_P12ihipStream_tbENKUlT_T0_E_clISt17integral_constantIbLb1EES13_EEDaSY_SZ_EUlSY_E_NS1_11comp_targetILNS1_3genE0ELNS1_11target_archE4294967295ELNS1_3gpuE0ELNS1_3repE0EEENS1_30default_config_static_selectorELNS0_4arch9wavefront6targetE0EEEvT1_,"axG",@progbits,_ZN7rocprim17ROCPRIM_400000_NS6detail17trampoline_kernelINS0_14default_configENS1_29reduce_by_key_config_selectorIxjN6thrust23THRUST_200600_302600_NS4plusIjEEEEZZNS1_33reduce_by_key_impl_wrapped_configILNS1_25lookback_scan_determinismE0ES3_S9_NS6_6detail15normal_iteratorINS6_10device_ptrIxEEEENSD_INSE_IjEEEESG_SI_PmS8_NS6_8equal_toIxEEEE10hipError_tPvRmT2_T3_mT4_T5_T6_T7_T8_P12ihipStream_tbENKUlT_T0_E_clISt17integral_constantIbLb1EES13_EEDaSY_SZ_EUlSY_E_NS1_11comp_targetILNS1_3genE0ELNS1_11target_archE4294967295ELNS1_3gpuE0ELNS1_3repE0EEENS1_30default_config_static_selectorELNS0_4arch9wavefront6targetE0EEEvT1_,comdat
	.protected	_ZN7rocprim17ROCPRIM_400000_NS6detail17trampoline_kernelINS0_14default_configENS1_29reduce_by_key_config_selectorIxjN6thrust23THRUST_200600_302600_NS4plusIjEEEEZZNS1_33reduce_by_key_impl_wrapped_configILNS1_25lookback_scan_determinismE0ES3_S9_NS6_6detail15normal_iteratorINS6_10device_ptrIxEEEENSD_INSE_IjEEEESG_SI_PmS8_NS6_8equal_toIxEEEE10hipError_tPvRmT2_T3_mT4_T5_T6_T7_T8_P12ihipStream_tbENKUlT_T0_E_clISt17integral_constantIbLb1EES13_EEDaSY_SZ_EUlSY_E_NS1_11comp_targetILNS1_3genE0ELNS1_11target_archE4294967295ELNS1_3gpuE0ELNS1_3repE0EEENS1_30default_config_static_selectorELNS0_4arch9wavefront6targetE0EEEvT1_ ; -- Begin function _ZN7rocprim17ROCPRIM_400000_NS6detail17trampoline_kernelINS0_14default_configENS1_29reduce_by_key_config_selectorIxjN6thrust23THRUST_200600_302600_NS4plusIjEEEEZZNS1_33reduce_by_key_impl_wrapped_configILNS1_25lookback_scan_determinismE0ES3_S9_NS6_6detail15normal_iteratorINS6_10device_ptrIxEEEENSD_INSE_IjEEEESG_SI_PmS8_NS6_8equal_toIxEEEE10hipError_tPvRmT2_T3_mT4_T5_T6_T7_T8_P12ihipStream_tbENKUlT_T0_E_clISt17integral_constantIbLb1EES13_EEDaSY_SZ_EUlSY_E_NS1_11comp_targetILNS1_3genE0ELNS1_11target_archE4294967295ELNS1_3gpuE0ELNS1_3repE0EEENS1_30default_config_static_selectorELNS0_4arch9wavefront6targetE0EEEvT1_
	.globl	_ZN7rocprim17ROCPRIM_400000_NS6detail17trampoline_kernelINS0_14default_configENS1_29reduce_by_key_config_selectorIxjN6thrust23THRUST_200600_302600_NS4plusIjEEEEZZNS1_33reduce_by_key_impl_wrapped_configILNS1_25lookback_scan_determinismE0ES3_S9_NS6_6detail15normal_iteratorINS6_10device_ptrIxEEEENSD_INSE_IjEEEESG_SI_PmS8_NS6_8equal_toIxEEEE10hipError_tPvRmT2_T3_mT4_T5_T6_T7_T8_P12ihipStream_tbENKUlT_T0_E_clISt17integral_constantIbLb1EES13_EEDaSY_SZ_EUlSY_E_NS1_11comp_targetILNS1_3genE0ELNS1_11target_archE4294967295ELNS1_3gpuE0ELNS1_3repE0EEENS1_30default_config_static_selectorELNS0_4arch9wavefront6targetE0EEEvT1_
	.p2align	8
	.type	_ZN7rocprim17ROCPRIM_400000_NS6detail17trampoline_kernelINS0_14default_configENS1_29reduce_by_key_config_selectorIxjN6thrust23THRUST_200600_302600_NS4plusIjEEEEZZNS1_33reduce_by_key_impl_wrapped_configILNS1_25lookback_scan_determinismE0ES3_S9_NS6_6detail15normal_iteratorINS6_10device_ptrIxEEEENSD_INSE_IjEEEESG_SI_PmS8_NS6_8equal_toIxEEEE10hipError_tPvRmT2_T3_mT4_T5_T6_T7_T8_P12ihipStream_tbENKUlT_T0_E_clISt17integral_constantIbLb1EES13_EEDaSY_SZ_EUlSY_E_NS1_11comp_targetILNS1_3genE0ELNS1_11target_archE4294967295ELNS1_3gpuE0ELNS1_3repE0EEENS1_30default_config_static_selectorELNS0_4arch9wavefront6targetE0EEEvT1_,@function
_ZN7rocprim17ROCPRIM_400000_NS6detail17trampoline_kernelINS0_14default_configENS1_29reduce_by_key_config_selectorIxjN6thrust23THRUST_200600_302600_NS4plusIjEEEEZZNS1_33reduce_by_key_impl_wrapped_configILNS1_25lookback_scan_determinismE0ES3_S9_NS6_6detail15normal_iteratorINS6_10device_ptrIxEEEENSD_INSE_IjEEEESG_SI_PmS8_NS6_8equal_toIxEEEE10hipError_tPvRmT2_T3_mT4_T5_T6_T7_T8_P12ihipStream_tbENKUlT_T0_E_clISt17integral_constantIbLb1EES13_EEDaSY_SZ_EUlSY_E_NS1_11comp_targetILNS1_3genE0ELNS1_11target_archE4294967295ELNS1_3gpuE0ELNS1_3repE0EEENS1_30default_config_static_selectorELNS0_4arch9wavefront6targetE0EEEvT1_: ; @_ZN7rocprim17ROCPRIM_400000_NS6detail17trampoline_kernelINS0_14default_configENS1_29reduce_by_key_config_selectorIxjN6thrust23THRUST_200600_302600_NS4plusIjEEEEZZNS1_33reduce_by_key_impl_wrapped_configILNS1_25lookback_scan_determinismE0ES3_S9_NS6_6detail15normal_iteratorINS6_10device_ptrIxEEEENSD_INSE_IjEEEESG_SI_PmS8_NS6_8equal_toIxEEEE10hipError_tPvRmT2_T3_mT4_T5_T6_T7_T8_P12ihipStream_tbENKUlT_T0_E_clISt17integral_constantIbLb1EES13_EEDaSY_SZ_EUlSY_E_NS1_11comp_targetILNS1_3genE0ELNS1_11target_archE4294967295ELNS1_3gpuE0ELNS1_3repE0EEENS1_30default_config_static_selectorELNS0_4arch9wavefront6targetE0EEEvT1_
; %bb.0:
	.section	.rodata,"a",@progbits
	.p2align	6, 0x0
	.amdhsa_kernel _ZN7rocprim17ROCPRIM_400000_NS6detail17trampoline_kernelINS0_14default_configENS1_29reduce_by_key_config_selectorIxjN6thrust23THRUST_200600_302600_NS4plusIjEEEEZZNS1_33reduce_by_key_impl_wrapped_configILNS1_25lookback_scan_determinismE0ES3_S9_NS6_6detail15normal_iteratorINS6_10device_ptrIxEEEENSD_INSE_IjEEEESG_SI_PmS8_NS6_8equal_toIxEEEE10hipError_tPvRmT2_T3_mT4_T5_T6_T7_T8_P12ihipStream_tbENKUlT_T0_E_clISt17integral_constantIbLb1EES13_EEDaSY_SZ_EUlSY_E_NS1_11comp_targetILNS1_3genE0ELNS1_11target_archE4294967295ELNS1_3gpuE0ELNS1_3repE0EEENS1_30default_config_static_selectorELNS0_4arch9wavefront6targetE0EEEvT1_
		.amdhsa_group_segment_fixed_size 0
		.amdhsa_private_segment_fixed_size 0
		.amdhsa_kernarg_size 120
		.amdhsa_user_sgpr_count 15
		.amdhsa_user_sgpr_dispatch_ptr 0
		.amdhsa_user_sgpr_queue_ptr 0
		.amdhsa_user_sgpr_kernarg_segment_ptr 1
		.amdhsa_user_sgpr_dispatch_id 0
		.amdhsa_user_sgpr_private_segment_size 0
		.amdhsa_wavefront_size32 1
		.amdhsa_uses_dynamic_stack 0
		.amdhsa_enable_private_segment 0
		.amdhsa_system_sgpr_workgroup_id_x 1
		.amdhsa_system_sgpr_workgroup_id_y 0
		.amdhsa_system_sgpr_workgroup_id_z 0
		.amdhsa_system_sgpr_workgroup_info 0
		.amdhsa_system_vgpr_workitem_id 0
		.amdhsa_next_free_vgpr 1
		.amdhsa_next_free_sgpr 1
		.amdhsa_reserve_vcc 0
		.amdhsa_float_round_mode_32 0
		.amdhsa_float_round_mode_16_64 0
		.amdhsa_float_denorm_mode_32 3
		.amdhsa_float_denorm_mode_16_64 3
		.amdhsa_dx10_clamp 1
		.amdhsa_ieee_mode 1
		.amdhsa_fp16_overflow 0
		.amdhsa_workgroup_processor_mode 1
		.amdhsa_memory_ordered 1
		.amdhsa_forward_progress 0
		.amdhsa_shared_vgpr_count 0
		.amdhsa_exception_fp_ieee_invalid_op 0
		.amdhsa_exception_fp_denorm_src 0
		.amdhsa_exception_fp_ieee_div_zero 0
		.amdhsa_exception_fp_ieee_overflow 0
		.amdhsa_exception_fp_ieee_underflow 0
		.amdhsa_exception_fp_ieee_inexact 0
		.amdhsa_exception_int_div_zero 0
	.end_amdhsa_kernel
	.section	.text._ZN7rocprim17ROCPRIM_400000_NS6detail17trampoline_kernelINS0_14default_configENS1_29reduce_by_key_config_selectorIxjN6thrust23THRUST_200600_302600_NS4plusIjEEEEZZNS1_33reduce_by_key_impl_wrapped_configILNS1_25lookback_scan_determinismE0ES3_S9_NS6_6detail15normal_iteratorINS6_10device_ptrIxEEEENSD_INSE_IjEEEESG_SI_PmS8_NS6_8equal_toIxEEEE10hipError_tPvRmT2_T3_mT4_T5_T6_T7_T8_P12ihipStream_tbENKUlT_T0_E_clISt17integral_constantIbLb1EES13_EEDaSY_SZ_EUlSY_E_NS1_11comp_targetILNS1_3genE0ELNS1_11target_archE4294967295ELNS1_3gpuE0ELNS1_3repE0EEENS1_30default_config_static_selectorELNS0_4arch9wavefront6targetE0EEEvT1_,"axG",@progbits,_ZN7rocprim17ROCPRIM_400000_NS6detail17trampoline_kernelINS0_14default_configENS1_29reduce_by_key_config_selectorIxjN6thrust23THRUST_200600_302600_NS4plusIjEEEEZZNS1_33reduce_by_key_impl_wrapped_configILNS1_25lookback_scan_determinismE0ES3_S9_NS6_6detail15normal_iteratorINS6_10device_ptrIxEEEENSD_INSE_IjEEEESG_SI_PmS8_NS6_8equal_toIxEEEE10hipError_tPvRmT2_T3_mT4_T5_T6_T7_T8_P12ihipStream_tbENKUlT_T0_E_clISt17integral_constantIbLb1EES13_EEDaSY_SZ_EUlSY_E_NS1_11comp_targetILNS1_3genE0ELNS1_11target_archE4294967295ELNS1_3gpuE0ELNS1_3repE0EEENS1_30default_config_static_selectorELNS0_4arch9wavefront6targetE0EEEvT1_,comdat
.Lfunc_end778:
	.size	_ZN7rocprim17ROCPRIM_400000_NS6detail17trampoline_kernelINS0_14default_configENS1_29reduce_by_key_config_selectorIxjN6thrust23THRUST_200600_302600_NS4plusIjEEEEZZNS1_33reduce_by_key_impl_wrapped_configILNS1_25lookback_scan_determinismE0ES3_S9_NS6_6detail15normal_iteratorINS6_10device_ptrIxEEEENSD_INSE_IjEEEESG_SI_PmS8_NS6_8equal_toIxEEEE10hipError_tPvRmT2_T3_mT4_T5_T6_T7_T8_P12ihipStream_tbENKUlT_T0_E_clISt17integral_constantIbLb1EES13_EEDaSY_SZ_EUlSY_E_NS1_11comp_targetILNS1_3genE0ELNS1_11target_archE4294967295ELNS1_3gpuE0ELNS1_3repE0EEENS1_30default_config_static_selectorELNS0_4arch9wavefront6targetE0EEEvT1_, .Lfunc_end778-_ZN7rocprim17ROCPRIM_400000_NS6detail17trampoline_kernelINS0_14default_configENS1_29reduce_by_key_config_selectorIxjN6thrust23THRUST_200600_302600_NS4plusIjEEEEZZNS1_33reduce_by_key_impl_wrapped_configILNS1_25lookback_scan_determinismE0ES3_S9_NS6_6detail15normal_iteratorINS6_10device_ptrIxEEEENSD_INSE_IjEEEESG_SI_PmS8_NS6_8equal_toIxEEEE10hipError_tPvRmT2_T3_mT4_T5_T6_T7_T8_P12ihipStream_tbENKUlT_T0_E_clISt17integral_constantIbLb1EES13_EEDaSY_SZ_EUlSY_E_NS1_11comp_targetILNS1_3genE0ELNS1_11target_archE4294967295ELNS1_3gpuE0ELNS1_3repE0EEENS1_30default_config_static_selectorELNS0_4arch9wavefront6targetE0EEEvT1_
                                        ; -- End function
	.section	.AMDGPU.csdata,"",@progbits
; Kernel info:
; codeLenInByte = 0
; NumSgprs: 0
; NumVgprs: 0
; ScratchSize: 0
; MemoryBound: 0
; FloatMode: 240
; IeeeMode: 1
; LDSByteSize: 0 bytes/workgroup (compile time only)
; SGPRBlocks: 0
; VGPRBlocks: 0
; NumSGPRsForWavesPerEU: 1
; NumVGPRsForWavesPerEU: 1
; Occupancy: 16
; WaveLimiterHint : 0
; COMPUTE_PGM_RSRC2:SCRATCH_EN: 0
; COMPUTE_PGM_RSRC2:USER_SGPR: 15
; COMPUTE_PGM_RSRC2:TRAP_HANDLER: 0
; COMPUTE_PGM_RSRC2:TGID_X_EN: 1
; COMPUTE_PGM_RSRC2:TGID_Y_EN: 0
; COMPUTE_PGM_RSRC2:TGID_Z_EN: 0
; COMPUTE_PGM_RSRC2:TIDIG_COMP_CNT: 0
	.section	.text._ZN7rocprim17ROCPRIM_400000_NS6detail17trampoline_kernelINS0_14default_configENS1_29reduce_by_key_config_selectorIxjN6thrust23THRUST_200600_302600_NS4plusIjEEEEZZNS1_33reduce_by_key_impl_wrapped_configILNS1_25lookback_scan_determinismE0ES3_S9_NS6_6detail15normal_iteratorINS6_10device_ptrIxEEEENSD_INSE_IjEEEESG_SI_PmS8_NS6_8equal_toIxEEEE10hipError_tPvRmT2_T3_mT4_T5_T6_T7_T8_P12ihipStream_tbENKUlT_T0_E_clISt17integral_constantIbLb1EES13_EEDaSY_SZ_EUlSY_E_NS1_11comp_targetILNS1_3genE5ELNS1_11target_archE942ELNS1_3gpuE9ELNS1_3repE0EEENS1_30default_config_static_selectorELNS0_4arch9wavefront6targetE0EEEvT1_,"axG",@progbits,_ZN7rocprim17ROCPRIM_400000_NS6detail17trampoline_kernelINS0_14default_configENS1_29reduce_by_key_config_selectorIxjN6thrust23THRUST_200600_302600_NS4plusIjEEEEZZNS1_33reduce_by_key_impl_wrapped_configILNS1_25lookback_scan_determinismE0ES3_S9_NS6_6detail15normal_iteratorINS6_10device_ptrIxEEEENSD_INSE_IjEEEESG_SI_PmS8_NS6_8equal_toIxEEEE10hipError_tPvRmT2_T3_mT4_T5_T6_T7_T8_P12ihipStream_tbENKUlT_T0_E_clISt17integral_constantIbLb1EES13_EEDaSY_SZ_EUlSY_E_NS1_11comp_targetILNS1_3genE5ELNS1_11target_archE942ELNS1_3gpuE9ELNS1_3repE0EEENS1_30default_config_static_selectorELNS0_4arch9wavefront6targetE0EEEvT1_,comdat
	.protected	_ZN7rocprim17ROCPRIM_400000_NS6detail17trampoline_kernelINS0_14default_configENS1_29reduce_by_key_config_selectorIxjN6thrust23THRUST_200600_302600_NS4plusIjEEEEZZNS1_33reduce_by_key_impl_wrapped_configILNS1_25lookback_scan_determinismE0ES3_S9_NS6_6detail15normal_iteratorINS6_10device_ptrIxEEEENSD_INSE_IjEEEESG_SI_PmS8_NS6_8equal_toIxEEEE10hipError_tPvRmT2_T3_mT4_T5_T6_T7_T8_P12ihipStream_tbENKUlT_T0_E_clISt17integral_constantIbLb1EES13_EEDaSY_SZ_EUlSY_E_NS1_11comp_targetILNS1_3genE5ELNS1_11target_archE942ELNS1_3gpuE9ELNS1_3repE0EEENS1_30default_config_static_selectorELNS0_4arch9wavefront6targetE0EEEvT1_ ; -- Begin function _ZN7rocprim17ROCPRIM_400000_NS6detail17trampoline_kernelINS0_14default_configENS1_29reduce_by_key_config_selectorIxjN6thrust23THRUST_200600_302600_NS4plusIjEEEEZZNS1_33reduce_by_key_impl_wrapped_configILNS1_25lookback_scan_determinismE0ES3_S9_NS6_6detail15normal_iteratorINS6_10device_ptrIxEEEENSD_INSE_IjEEEESG_SI_PmS8_NS6_8equal_toIxEEEE10hipError_tPvRmT2_T3_mT4_T5_T6_T7_T8_P12ihipStream_tbENKUlT_T0_E_clISt17integral_constantIbLb1EES13_EEDaSY_SZ_EUlSY_E_NS1_11comp_targetILNS1_3genE5ELNS1_11target_archE942ELNS1_3gpuE9ELNS1_3repE0EEENS1_30default_config_static_selectorELNS0_4arch9wavefront6targetE0EEEvT1_
	.globl	_ZN7rocprim17ROCPRIM_400000_NS6detail17trampoline_kernelINS0_14default_configENS1_29reduce_by_key_config_selectorIxjN6thrust23THRUST_200600_302600_NS4plusIjEEEEZZNS1_33reduce_by_key_impl_wrapped_configILNS1_25lookback_scan_determinismE0ES3_S9_NS6_6detail15normal_iteratorINS6_10device_ptrIxEEEENSD_INSE_IjEEEESG_SI_PmS8_NS6_8equal_toIxEEEE10hipError_tPvRmT2_T3_mT4_T5_T6_T7_T8_P12ihipStream_tbENKUlT_T0_E_clISt17integral_constantIbLb1EES13_EEDaSY_SZ_EUlSY_E_NS1_11comp_targetILNS1_3genE5ELNS1_11target_archE942ELNS1_3gpuE9ELNS1_3repE0EEENS1_30default_config_static_selectorELNS0_4arch9wavefront6targetE0EEEvT1_
	.p2align	8
	.type	_ZN7rocprim17ROCPRIM_400000_NS6detail17trampoline_kernelINS0_14default_configENS1_29reduce_by_key_config_selectorIxjN6thrust23THRUST_200600_302600_NS4plusIjEEEEZZNS1_33reduce_by_key_impl_wrapped_configILNS1_25lookback_scan_determinismE0ES3_S9_NS6_6detail15normal_iteratorINS6_10device_ptrIxEEEENSD_INSE_IjEEEESG_SI_PmS8_NS6_8equal_toIxEEEE10hipError_tPvRmT2_T3_mT4_T5_T6_T7_T8_P12ihipStream_tbENKUlT_T0_E_clISt17integral_constantIbLb1EES13_EEDaSY_SZ_EUlSY_E_NS1_11comp_targetILNS1_3genE5ELNS1_11target_archE942ELNS1_3gpuE9ELNS1_3repE0EEENS1_30default_config_static_selectorELNS0_4arch9wavefront6targetE0EEEvT1_,@function
_ZN7rocprim17ROCPRIM_400000_NS6detail17trampoline_kernelINS0_14default_configENS1_29reduce_by_key_config_selectorIxjN6thrust23THRUST_200600_302600_NS4plusIjEEEEZZNS1_33reduce_by_key_impl_wrapped_configILNS1_25lookback_scan_determinismE0ES3_S9_NS6_6detail15normal_iteratorINS6_10device_ptrIxEEEENSD_INSE_IjEEEESG_SI_PmS8_NS6_8equal_toIxEEEE10hipError_tPvRmT2_T3_mT4_T5_T6_T7_T8_P12ihipStream_tbENKUlT_T0_E_clISt17integral_constantIbLb1EES13_EEDaSY_SZ_EUlSY_E_NS1_11comp_targetILNS1_3genE5ELNS1_11target_archE942ELNS1_3gpuE9ELNS1_3repE0EEENS1_30default_config_static_selectorELNS0_4arch9wavefront6targetE0EEEvT1_: ; @_ZN7rocprim17ROCPRIM_400000_NS6detail17trampoline_kernelINS0_14default_configENS1_29reduce_by_key_config_selectorIxjN6thrust23THRUST_200600_302600_NS4plusIjEEEEZZNS1_33reduce_by_key_impl_wrapped_configILNS1_25lookback_scan_determinismE0ES3_S9_NS6_6detail15normal_iteratorINS6_10device_ptrIxEEEENSD_INSE_IjEEEESG_SI_PmS8_NS6_8equal_toIxEEEE10hipError_tPvRmT2_T3_mT4_T5_T6_T7_T8_P12ihipStream_tbENKUlT_T0_E_clISt17integral_constantIbLb1EES13_EEDaSY_SZ_EUlSY_E_NS1_11comp_targetILNS1_3genE5ELNS1_11target_archE942ELNS1_3gpuE9ELNS1_3repE0EEENS1_30default_config_static_selectorELNS0_4arch9wavefront6targetE0EEEvT1_
; %bb.0:
	.section	.rodata,"a",@progbits
	.p2align	6, 0x0
	.amdhsa_kernel _ZN7rocprim17ROCPRIM_400000_NS6detail17trampoline_kernelINS0_14default_configENS1_29reduce_by_key_config_selectorIxjN6thrust23THRUST_200600_302600_NS4plusIjEEEEZZNS1_33reduce_by_key_impl_wrapped_configILNS1_25lookback_scan_determinismE0ES3_S9_NS6_6detail15normal_iteratorINS6_10device_ptrIxEEEENSD_INSE_IjEEEESG_SI_PmS8_NS6_8equal_toIxEEEE10hipError_tPvRmT2_T3_mT4_T5_T6_T7_T8_P12ihipStream_tbENKUlT_T0_E_clISt17integral_constantIbLb1EES13_EEDaSY_SZ_EUlSY_E_NS1_11comp_targetILNS1_3genE5ELNS1_11target_archE942ELNS1_3gpuE9ELNS1_3repE0EEENS1_30default_config_static_selectorELNS0_4arch9wavefront6targetE0EEEvT1_
		.amdhsa_group_segment_fixed_size 0
		.amdhsa_private_segment_fixed_size 0
		.amdhsa_kernarg_size 120
		.amdhsa_user_sgpr_count 15
		.amdhsa_user_sgpr_dispatch_ptr 0
		.amdhsa_user_sgpr_queue_ptr 0
		.amdhsa_user_sgpr_kernarg_segment_ptr 1
		.amdhsa_user_sgpr_dispatch_id 0
		.amdhsa_user_sgpr_private_segment_size 0
		.amdhsa_wavefront_size32 1
		.amdhsa_uses_dynamic_stack 0
		.amdhsa_enable_private_segment 0
		.amdhsa_system_sgpr_workgroup_id_x 1
		.amdhsa_system_sgpr_workgroup_id_y 0
		.amdhsa_system_sgpr_workgroup_id_z 0
		.amdhsa_system_sgpr_workgroup_info 0
		.amdhsa_system_vgpr_workitem_id 0
		.amdhsa_next_free_vgpr 1
		.amdhsa_next_free_sgpr 1
		.amdhsa_reserve_vcc 0
		.amdhsa_float_round_mode_32 0
		.amdhsa_float_round_mode_16_64 0
		.amdhsa_float_denorm_mode_32 3
		.amdhsa_float_denorm_mode_16_64 3
		.amdhsa_dx10_clamp 1
		.amdhsa_ieee_mode 1
		.amdhsa_fp16_overflow 0
		.amdhsa_workgroup_processor_mode 1
		.amdhsa_memory_ordered 1
		.amdhsa_forward_progress 0
		.amdhsa_shared_vgpr_count 0
		.amdhsa_exception_fp_ieee_invalid_op 0
		.amdhsa_exception_fp_denorm_src 0
		.amdhsa_exception_fp_ieee_div_zero 0
		.amdhsa_exception_fp_ieee_overflow 0
		.amdhsa_exception_fp_ieee_underflow 0
		.amdhsa_exception_fp_ieee_inexact 0
		.amdhsa_exception_int_div_zero 0
	.end_amdhsa_kernel
	.section	.text._ZN7rocprim17ROCPRIM_400000_NS6detail17trampoline_kernelINS0_14default_configENS1_29reduce_by_key_config_selectorIxjN6thrust23THRUST_200600_302600_NS4plusIjEEEEZZNS1_33reduce_by_key_impl_wrapped_configILNS1_25lookback_scan_determinismE0ES3_S9_NS6_6detail15normal_iteratorINS6_10device_ptrIxEEEENSD_INSE_IjEEEESG_SI_PmS8_NS6_8equal_toIxEEEE10hipError_tPvRmT2_T3_mT4_T5_T6_T7_T8_P12ihipStream_tbENKUlT_T0_E_clISt17integral_constantIbLb1EES13_EEDaSY_SZ_EUlSY_E_NS1_11comp_targetILNS1_3genE5ELNS1_11target_archE942ELNS1_3gpuE9ELNS1_3repE0EEENS1_30default_config_static_selectorELNS0_4arch9wavefront6targetE0EEEvT1_,"axG",@progbits,_ZN7rocprim17ROCPRIM_400000_NS6detail17trampoline_kernelINS0_14default_configENS1_29reduce_by_key_config_selectorIxjN6thrust23THRUST_200600_302600_NS4plusIjEEEEZZNS1_33reduce_by_key_impl_wrapped_configILNS1_25lookback_scan_determinismE0ES3_S9_NS6_6detail15normal_iteratorINS6_10device_ptrIxEEEENSD_INSE_IjEEEESG_SI_PmS8_NS6_8equal_toIxEEEE10hipError_tPvRmT2_T3_mT4_T5_T6_T7_T8_P12ihipStream_tbENKUlT_T0_E_clISt17integral_constantIbLb1EES13_EEDaSY_SZ_EUlSY_E_NS1_11comp_targetILNS1_3genE5ELNS1_11target_archE942ELNS1_3gpuE9ELNS1_3repE0EEENS1_30default_config_static_selectorELNS0_4arch9wavefront6targetE0EEEvT1_,comdat
.Lfunc_end779:
	.size	_ZN7rocprim17ROCPRIM_400000_NS6detail17trampoline_kernelINS0_14default_configENS1_29reduce_by_key_config_selectorIxjN6thrust23THRUST_200600_302600_NS4plusIjEEEEZZNS1_33reduce_by_key_impl_wrapped_configILNS1_25lookback_scan_determinismE0ES3_S9_NS6_6detail15normal_iteratorINS6_10device_ptrIxEEEENSD_INSE_IjEEEESG_SI_PmS8_NS6_8equal_toIxEEEE10hipError_tPvRmT2_T3_mT4_T5_T6_T7_T8_P12ihipStream_tbENKUlT_T0_E_clISt17integral_constantIbLb1EES13_EEDaSY_SZ_EUlSY_E_NS1_11comp_targetILNS1_3genE5ELNS1_11target_archE942ELNS1_3gpuE9ELNS1_3repE0EEENS1_30default_config_static_selectorELNS0_4arch9wavefront6targetE0EEEvT1_, .Lfunc_end779-_ZN7rocprim17ROCPRIM_400000_NS6detail17trampoline_kernelINS0_14default_configENS1_29reduce_by_key_config_selectorIxjN6thrust23THRUST_200600_302600_NS4plusIjEEEEZZNS1_33reduce_by_key_impl_wrapped_configILNS1_25lookback_scan_determinismE0ES3_S9_NS6_6detail15normal_iteratorINS6_10device_ptrIxEEEENSD_INSE_IjEEEESG_SI_PmS8_NS6_8equal_toIxEEEE10hipError_tPvRmT2_T3_mT4_T5_T6_T7_T8_P12ihipStream_tbENKUlT_T0_E_clISt17integral_constantIbLb1EES13_EEDaSY_SZ_EUlSY_E_NS1_11comp_targetILNS1_3genE5ELNS1_11target_archE942ELNS1_3gpuE9ELNS1_3repE0EEENS1_30default_config_static_selectorELNS0_4arch9wavefront6targetE0EEEvT1_
                                        ; -- End function
	.section	.AMDGPU.csdata,"",@progbits
; Kernel info:
; codeLenInByte = 0
; NumSgprs: 0
; NumVgprs: 0
; ScratchSize: 0
; MemoryBound: 0
; FloatMode: 240
; IeeeMode: 1
; LDSByteSize: 0 bytes/workgroup (compile time only)
; SGPRBlocks: 0
; VGPRBlocks: 0
; NumSGPRsForWavesPerEU: 1
; NumVGPRsForWavesPerEU: 1
; Occupancy: 16
; WaveLimiterHint : 0
; COMPUTE_PGM_RSRC2:SCRATCH_EN: 0
; COMPUTE_PGM_RSRC2:USER_SGPR: 15
; COMPUTE_PGM_RSRC2:TRAP_HANDLER: 0
; COMPUTE_PGM_RSRC2:TGID_X_EN: 1
; COMPUTE_PGM_RSRC2:TGID_Y_EN: 0
; COMPUTE_PGM_RSRC2:TGID_Z_EN: 0
; COMPUTE_PGM_RSRC2:TIDIG_COMP_CNT: 0
	.section	.text._ZN7rocprim17ROCPRIM_400000_NS6detail17trampoline_kernelINS0_14default_configENS1_29reduce_by_key_config_selectorIxjN6thrust23THRUST_200600_302600_NS4plusIjEEEEZZNS1_33reduce_by_key_impl_wrapped_configILNS1_25lookback_scan_determinismE0ES3_S9_NS6_6detail15normal_iteratorINS6_10device_ptrIxEEEENSD_INSE_IjEEEESG_SI_PmS8_NS6_8equal_toIxEEEE10hipError_tPvRmT2_T3_mT4_T5_T6_T7_T8_P12ihipStream_tbENKUlT_T0_E_clISt17integral_constantIbLb1EES13_EEDaSY_SZ_EUlSY_E_NS1_11comp_targetILNS1_3genE4ELNS1_11target_archE910ELNS1_3gpuE8ELNS1_3repE0EEENS1_30default_config_static_selectorELNS0_4arch9wavefront6targetE0EEEvT1_,"axG",@progbits,_ZN7rocprim17ROCPRIM_400000_NS6detail17trampoline_kernelINS0_14default_configENS1_29reduce_by_key_config_selectorIxjN6thrust23THRUST_200600_302600_NS4plusIjEEEEZZNS1_33reduce_by_key_impl_wrapped_configILNS1_25lookback_scan_determinismE0ES3_S9_NS6_6detail15normal_iteratorINS6_10device_ptrIxEEEENSD_INSE_IjEEEESG_SI_PmS8_NS6_8equal_toIxEEEE10hipError_tPvRmT2_T3_mT4_T5_T6_T7_T8_P12ihipStream_tbENKUlT_T0_E_clISt17integral_constantIbLb1EES13_EEDaSY_SZ_EUlSY_E_NS1_11comp_targetILNS1_3genE4ELNS1_11target_archE910ELNS1_3gpuE8ELNS1_3repE0EEENS1_30default_config_static_selectorELNS0_4arch9wavefront6targetE0EEEvT1_,comdat
	.protected	_ZN7rocprim17ROCPRIM_400000_NS6detail17trampoline_kernelINS0_14default_configENS1_29reduce_by_key_config_selectorIxjN6thrust23THRUST_200600_302600_NS4plusIjEEEEZZNS1_33reduce_by_key_impl_wrapped_configILNS1_25lookback_scan_determinismE0ES3_S9_NS6_6detail15normal_iteratorINS6_10device_ptrIxEEEENSD_INSE_IjEEEESG_SI_PmS8_NS6_8equal_toIxEEEE10hipError_tPvRmT2_T3_mT4_T5_T6_T7_T8_P12ihipStream_tbENKUlT_T0_E_clISt17integral_constantIbLb1EES13_EEDaSY_SZ_EUlSY_E_NS1_11comp_targetILNS1_3genE4ELNS1_11target_archE910ELNS1_3gpuE8ELNS1_3repE0EEENS1_30default_config_static_selectorELNS0_4arch9wavefront6targetE0EEEvT1_ ; -- Begin function _ZN7rocprim17ROCPRIM_400000_NS6detail17trampoline_kernelINS0_14default_configENS1_29reduce_by_key_config_selectorIxjN6thrust23THRUST_200600_302600_NS4plusIjEEEEZZNS1_33reduce_by_key_impl_wrapped_configILNS1_25lookback_scan_determinismE0ES3_S9_NS6_6detail15normal_iteratorINS6_10device_ptrIxEEEENSD_INSE_IjEEEESG_SI_PmS8_NS6_8equal_toIxEEEE10hipError_tPvRmT2_T3_mT4_T5_T6_T7_T8_P12ihipStream_tbENKUlT_T0_E_clISt17integral_constantIbLb1EES13_EEDaSY_SZ_EUlSY_E_NS1_11comp_targetILNS1_3genE4ELNS1_11target_archE910ELNS1_3gpuE8ELNS1_3repE0EEENS1_30default_config_static_selectorELNS0_4arch9wavefront6targetE0EEEvT1_
	.globl	_ZN7rocprim17ROCPRIM_400000_NS6detail17trampoline_kernelINS0_14default_configENS1_29reduce_by_key_config_selectorIxjN6thrust23THRUST_200600_302600_NS4plusIjEEEEZZNS1_33reduce_by_key_impl_wrapped_configILNS1_25lookback_scan_determinismE0ES3_S9_NS6_6detail15normal_iteratorINS6_10device_ptrIxEEEENSD_INSE_IjEEEESG_SI_PmS8_NS6_8equal_toIxEEEE10hipError_tPvRmT2_T3_mT4_T5_T6_T7_T8_P12ihipStream_tbENKUlT_T0_E_clISt17integral_constantIbLb1EES13_EEDaSY_SZ_EUlSY_E_NS1_11comp_targetILNS1_3genE4ELNS1_11target_archE910ELNS1_3gpuE8ELNS1_3repE0EEENS1_30default_config_static_selectorELNS0_4arch9wavefront6targetE0EEEvT1_
	.p2align	8
	.type	_ZN7rocprim17ROCPRIM_400000_NS6detail17trampoline_kernelINS0_14default_configENS1_29reduce_by_key_config_selectorIxjN6thrust23THRUST_200600_302600_NS4plusIjEEEEZZNS1_33reduce_by_key_impl_wrapped_configILNS1_25lookback_scan_determinismE0ES3_S9_NS6_6detail15normal_iteratorINS6_10device_ptrIxEEEENSD_INSE_IjEEEESG_SI_PmS8_NS6_8equal_toIxEEEE10hipError_tPvRmT2_T3_mT4_T5_T6_T7_T8_P12ihipStream_tbENKUlT_T0_E_clISt17integral_constantIbLb1EES13_EEDaSY_SZ_EUlSY_E_NS1_11comp_targetILNS1_3genE4ELNS1_11target_archE910ELNS1_3gpuE8ELNS1_3repE0EEENS1_30default_config_static_selectorELNS0_4arch9wavefront6targetE0EEEvT1_,@function
_ZN7rocprim17ROCPRIM_400000_NS6detail17trampoline_kernelINS0_14default_configENS1_29reduce_by_key_config_selectorIxjN6thrust23THRUST_200600_302600_NS4plusIjEEEEZZNS1_33reduce_by_key_impl_wrapped_configILNS1_25lookback_scan_determinismE0ES3_S9_NS6_6detail15normal_iteratorINS6_10device_ptrIxEEEENSD_INSE_IjEEEESG_SI_PmS8_NS6_8equal_toIxEEEE10hipError_tPvRmT2_T3_mT4_T5_T6_T7_T8_P12ihipStream_tbENKUlT_T0_E_clISt17integral_constantIbLb1EES13_EEDaSY_SZ_EUlSY_E_NS1_11comp_targetILNS1_3genE4ELNS1_11target_archE910ELNS1_3gpuE8ELNS1_3repE0EEENS1_30default_config_static_selectorELNS0_4arch9wavefront6targetE0EEEvT1_: ; @_ZN7rocprim17ROCPRIM_400000_NS6detail17trampoline_kernelINS0_14default_configENS1_29reduce_by_key_config_selectorIxjN6thrust23THRUST_200600_302600_NS4plusIjEEEEZZNS1_33reduce_by_key_impl_wrapped_configILNS1_25lookback_scan_determinismE0ES3_S9_NS6_6detail15normal_iteratorINS6_10device_ptrIxEEEENSD_INSE_IjEEEESG_SI_PmS8_NS6_8equal_toIxEEEE10hipError_tPvRmT2_T3_mT4_T5_T6_T7_T8_P12ihipStream_tbENKUlT_T0_E_clISt17integral_constantIbLb1EES13_EEDaSY_SZ_EUlSY_E_NS1_11comp_targetILNS1_3genE4ELNS1_11target_archE910ELNS1_3gpuE8ELNS1_3repE0EEENS1_30default_config_static_selectorELNS0_4arch9wavefront6targetE0EEEvT1_
; %bb.0:
	.section	.rodata,"a",@progbits
	.p2align	6, 0x0
	.amdhsa_kernel _ZN7rocprim17ROCPRIM_400000_NS6detail17trampoline_kernelINS0_14default_configENS1_29reduce_by_key_config_selectorIxjN6thrust23THRUST_200600_302600_NS4plusIjEEEEZZNS1_33reduce_by_key_impl_wrapped_configILNS1_25lookback_scan_determinismE0ES3_S9_NS6_6detail15normal_iteratorINS6_10device_ptrIxEEEENSD_INSE_IjEEEESG_SI_PmS8_NS6_8equal_toIxEEEE10hipError_tPvRmT2_T3_mT4_T5_T6_T7_T8_P12ihipStream_tbENKUlT_T0_E_clISt17integral_constantIbLb1EES13_EEDaSY_SZ_EUlSY_E_NS1_11comp_targetILNS1_3genE4ELNS1_11target_archE910ELNS1_3gpuE8ELNS1_3repE0EEENS1_30default_config_static_selectorELNS0_4arch9wavefront6targetE0EEEvT1_
		.amdhsa_group_segment_fixed_size 0
		.amdhsa_private_segment_fixed_size 0
		.amdhsa_kernarg_size 120
		.amdhsa_user_sgpr_count 15
		.amdhsa_user_sgpr_dispatch_ptr 0
		.amdhsa_user_sgpr_queue_ptr 0
		.amdhsa_user_sgpr_kernarg_segment_ptr 1
		.amdhsa_user_sgpr_dispatch_id 0
		.amdhsa_user_sgpr_private_segment_size 0
		.amdhsa_wavefront_size32 1
		.amdhsa_uses_dynamic_stack 0
		.amdhsa_enable_private_segment 0
		.amdhsa_system_sgpr_workgroup_id_x 1
		.amdhsa_system_sgpr_workgroup_id_y 0
		.amdhsa_system_sgpr_workgroup_id_z 0
		.amdhsa_system_sgpr_workgroup_info 0
		.amdhsa_system_vgpr_workitem_id 0
		.amdhsa_next_free_vgpr 1
		.amdhsa_next_free_sgpr 1
		.amdhsa_reserve_vcc 0
		.amdhsa_float_round_mode_32 0
		.amdhsa_float_round_mode_16_64 0
		.amdhsa_float_denorm_mode_32 3
		.amdhsa_float_denorm_mode_16_64 3
		.amdhsa_dx10_clamp 1
		.amdhsa_ieee_mode 1
		.amdhsa_fp16_overflow 0
		.amdhsa_workgroup_processor_mode 1
		.amdhsa_memory_ordered 1
		.amdhsa_forward_progress 0
		.amdhsa_shared_vgpr_count 0
		.amdhsa_exception_fp_ieee_invalid_op 0
		.amdhsa_exception_fp_denorm_src 0
		.amdhsa_exception_fp_ieee_div_zero 0
		.amdhsa_exception_fp_ieee_overflow 0
		.amdhsa_exception_fp_ieee_underflow 0
		.amdhsa_exception_fp_ieee_inexact 0
		.amdhsa_exception_int_div_zero 0
	.end_amdhsa_kernel
	.section	.text._ZN7rocprim17ROCPRIM_400000_NS6detail17trampoline_kernelINS0_14default_configENS1_29reduce_by_key_config_selectorIxjN6thrust23THRUST_200600_302600_NS4plusIjEEEEZZNS1_33reduce_by_key_impl_wrapped_configILNS1_25lookback_scan_determinismE0ES3_S9_NS6_6detail15normal_iteratorINS6_10device_ptrIxEEEENSD_INSE_IjEEEESG_SI_PmS8_NS6_8equal_toIxEEEE10hipError_tPvRmT2_T3_mT4_T5_T6_T7_T8_P12ihipStream_tbENKUlT_T0_E_clISt17integral_constantIbLb1EES13_EEDaSY_SZ_EUlSY_E_NS1_11comp_targetILNS1_3genE4ELNS1_11target_archE910ELNS1_3gpuE8ELNS1_3repE0EEENS1_30default_config_static_selectorELNS0_4arch9wavefront6targetE0EEEvT1_,"axG",@progbits,_ZN7rocprim17ROCPRIM_400000_NS6detail17trampoline_kernelINS0_14default_configENS1_29reduce_by_key_config_selectorIxjN6thrust23THRUST_200600_302600_NS4plusIjEEEEZZNS1_33reduce_by_key_impl_wrapped_configILNS1_25lookback_scan_determinismE0ES3_S9_NS6_6detail15normal_iteratorINS6_10device_ptrIxEEEENSD_INSE_IjEEEESG_SI_PmS8_NS6_8equal_toIxEEEE10hipError_tPvRmT2_T3_mT4_T5_T6_T7_T8_P12ihipStream_tbENKUlT_T0_E_clISt17integral_constantIbLb1EES13_EEDaSY_SZ_EUlSY_E_NS1_11comp_targetILNS1_3genE4ELNS1_11target_archE910ELNS1_3gpuE8ELNS1_3repE0EEENS1_30default_config_static_selectorELNS0_4arch9wavefront6targetE0EEEvT1_,comdat
.Lfunc_end780:
	.size	_ZN7rocprim17ROCPRIM_400000_NS6detail17trampoline_kernelINS0_14default_configENS1_29reduce_by_key_config_selectorIxjN6thrust23THRUST_200600_302600_NS4plusIjEEEEZZNS1_33reduce_by_key_impl_wrapped_configILNS1_25lookback_scan_determinismE0ES3_S9_NS6_6detail15normal_iteratorINS6_10device_ptrIxEEEENSD_INSE_IjEEEESG_SI_PmS8_NS6_8equal_toIxEEEE10hipError_tPvRmT2_T3_mT4_T5_T6_T7_T8_P12ihipStream_tbENKUlT_T0_E_clISt17integral_constantIbLb1EES13_EEDaSY_SZ_EUlSY_E_NS1_11comp_targetILNS1_3genE4ELNS1_11target_archE910ELNS1_3gpuE8ELNS1_3repE0EEENS1_30default_config_static_selectorELNS0_4arch9wavefront6targetE0EEEvT1_, .Lfunc_end780-_ZN7rocprim17ROCPRIM_400000_NS6detail17trampoline_kernelINS0_14default_configENS1_29reduce_by_key_config_selectorIxjN6thrust23THRUST_200600_302600_NS4plusIjEEEEZZNS1_33reduce_by_key_impl_wrapped_configILNS1_25lookback_scan_determinismE0ES3_S9_NS6_6detail15normal_iteratorINS6_10device_ptrIxEEEENSD_INSE_IjEEEESG_SI_PmS8_NS6_8equal_toIxEEEE10hipError_tPvRmT2_T3_mT4_T5_T6_T7_T8_P12ihipStream_tbENKUlT_T0_E_clISt17integral_constantIbLb1EES13_EEDaSY_SZ_EUlSY_E_NS1_11comp_targetILNS1_3genE4ELNS1_11target_archE910ELNS1_3gpuE8ELNS1_3repE0EEENS1_30default_config_static_selectorELNS0_4arch9wavefront6targetE0EEEvT1_
                                        ; -- End function
	.section	.AMDGPU.csdata,"",@progbits
; Kernel info:
; codeLenInByte = 0
; NumSgprs: 0
; NumVgprs: 0
; ScratchSize: 0
; MemoryBound: 0
; FloatMode: 240
; IeeeMode: 1
; LDSByteSize: 0 bytes/workgroup (compile time only)
; SGPRBlocks: 0
; VGPRBlocks: 0
; NumSGPRsForWavesPerEU: 1
; NumVGPRsForWavesPerEU: 1
; Occupancy: 16
; WaveLimiterHint : 0
; COMPUTE_PGM_RSRC2:SCRATCH_EN: 0
; COMPUTE_PGM_RSRC2:USER_SGPR: 15
; COMPUTE_PGM_RSRC2:TRAP_HANDLER: 0
; COMPUTE_PGM_RSRC2:TGID_X_EN: 1
; COMPUTE_PGM_RSRC2:TGID_Y_EN: 0
; COMPUTE_PGM_RSRC2:TGID_Z_EN: 0
; COMPUTE_PGM_RSRC2:TIDIG_COMP_CNT: 0
	.section	.text._ZN7rocprim17ROCPRIM_400000_NS6detail17trampoline_kernelINS0_14default_configENS1_29reduce_by_key_config_selectorIxjN6thrust23THRUST_200600_302600_NS4plusIjEEEEZZNS1_33reduce_by_key_impl_wrapped_configILNS1_25lookback_scan_determinismE0ES3_S9_NS6_6detail15normal_iteratorINS6_10device_ptrIxEEEENSD_INSE_IjEEEESG_SI_PmS8_NS6_8equal_toIxEEEE10hipError_tPvRmT2_T3_mT4_T5_T6_T7_T8_P12ihipStream_tbENKUlT_T0_E_clISt17integral_constantIbLb1EES13_EEDaSY_SZ_EUlSY_E_NS1_11comp_targetILNS1_3genE3ELNS1_11target_archE908ELNS1_3gpuE7ELNS1_3repE0EEENS1_30default_config_static_selectorELNS0_4arch9wavefront6targetE0EEEvT1_,"axG",@progbits,_ZN7rocprim17ROCPRIM_400000_NS6detail17trampoline_kernelINS0_14default_configENS1_29reduce_by_key_config_selectorIxjN6thrust23THRUST_200600_302600_NS4plusIjEEEEZZNS1_33reduce_by_key_impl_wrapped_configILNS1_25lookback_scan_determinismE0ES3_S9_NS6_6detail15normal_iteratorINS6_10device_ptrIxEEEENSD_INSE_IjEEEESG_SI_PmS8_NS6_8equal_toIxEEEE10hipError_tPvRmT2_T3_mT4_T5_T6_T7_T8_P12ihipStream_tbENKUlT_T0_E_clISt17integral_constantIbLb1EES13_EEDaSY_SZ_EUlSY_E_NS1_11comp_targetILNS1_3genE3ELNS1_11target_archE908ELNS1_3gpuE7ELNS1_3repE0EEENS1_30default_config_static_selectorELNS0_4arch9wavefront6targetE0EEEvT1_,comdat
	.protected	_ZN7rocprim17ROCPRIM_400000_NS6detail17trampoline_kernelINS0_14default_configENS1_29reduce_by_key_config_selectorIxjN6thrust23THRUST_200600_302600_NS4plusIjEEEEZZNS1_33reduce_by_key_impl_wrapped_configILNS1_25lookback_scan_determinismE0ES3_S9_NS6_6detail15normal_iteratorINS6_10device_ptrIxEEEENSD_INSE_IjEEEESG_SI_PmS8_NS6_8equal_toIxEEEE10hipError_tPvRmT2_T3_mT4_T5_T6_T7_T8_P12ihipStream_tbENKUlT_T0_E_clISt17integral_constantIbLb1EES13_EEDaSY_SZ_EUlSY_E_NS1_11comp_targetILNS1_3genE3ELNS1_11target_archE908ELNS1_3gpuE7ELNS1_3repE0EEENS1_30default_config_static_selectorELNS0_4arch9wavefront6targetE0EEEvT1_ ; -- Begin function _ZN7rocprim17ROCPRIM_400000_NS6detail17trampoline_kernelINS0_14default_configENS1_29reduce_by_key_config_selectorIxjN6thrust23THRUST_200600_302600_NS4plusIjEEEEZZNS1_33reduce_by_key_impl_wrapped_configILNS1_25lookback_scan_determinismE0ES3_S9_NS6_6detail15normal_iteratorINS6_10device_ptrIxEEEENSD_INSE_IjEEEESG_SI_PmS8_NS6_8equal_toIxEEEE10hipError_tPvRmT2_T3_mT4_T5_T6_T7_T8_P12ihipStream_tbENKUlT_T0_E_clISt17integral_constantIbLb1EES13_EEDaSY_SZ_EUlSY_E_NS1_11comp_targetILNS1_3genE3ELNS1_11target_archE908ELNS1_3gpuE7ELNS1_3repE0EEENS1_30default_config_static_selectorELNS0_4arch9wavefront6targetE0EEEvT1_
	.globl	_ZN7rocprim17ROCPRIM_400000_NS6detail17trampoline_kernelINS0_14default_configENS1_29reduce_by_key_config_selectorIxjN6thrust23THRUST_200600_302600_NS4plusIjEEEEZZNS1_33reduce_by_key_impl_wrapped_configILNS1_25lookback_scan_determinismE0ES3_S9_NS6_6detail15normal_iteratorINS6_10device_ptrIxEEEENSD_INSE_IjEEEESG_SI_PmS8_NS6_8equal_toIxEEEE10hipError_tPvRmT2_T3_mT4_T5_T6_T7_T8_P12ihipStream_tbENKUlT_T0_E_clISt17integral_constantIbLb1EES13_EEDaSY_SZ_EUlSY_E_NS1_11comp_targetILNS1_3genE3ELNS1_11target_archE908ELNS1_3gpuE7ELNS1_3repE0EEENS1_30default_config_static_selectorELNS0_4arch9wavefront6targetE0EEEvT1_
	.p2align	8
	.type	_ZN7rocprim17ROCPRIM_400000_NS6detail17trampoline_kernelINS0_14default_configENS1_29reduce_by_key_config_selectorIxjN6thrust23THRUST_200600_302600_NS4plusIjEEEEZZNS1_33reduce_by_key_impl_wrapped_configILNS1_25lookback_scan_determinismE0ES3_S9_NS6_6detail15normal_iteratorINS6_10device_ptrIxEEEENSD_INSE_IjEEEESG_SI_PmS8_NS6_8equal_toIxEEEE10hipError_tPvRmT2_T3_mT4_T5_T6_T7_T8_P12ihipStream_tbENKUlT_T0_E_clISt17integral_constantIbLb1EES13_EEDaSY_SZ_EUlSY_E_NS1_11comp_targetILNS1_3genE3ELNS1_11target_archE908ELNS1_3gpuE7ELNS1_3repE0EEENS1_30default_config_static_selectorELNS0_4arch9wavefront6targetE0EEEvT1_,@function
_ZN7rocprim17ROCPRIM_400000_NS6detail17trampoline_kernelINS0_14default_configENS1_29reduce_by_key_config_selectorIxjN6thrust23THRUST_200600_302600_NS4plusIjEEEEZZNS1_33reduce_by_key_impl_wrapped_configILNS1_25lookback_scan_determinismE0ES3_S9_NS6_6detail15normal_iteratorINS6_10device_ptrIxEEEENSD_INSE_IjEEEESG_SI_PmS8_NS6_8equal_toIxEEEE10hipError_tPvRmT2_T3_mT4_T5_T6_T7_T8_P12ihipStream_tbENKUlT_T0_E_clISt17integral_constantIbLb1EES13_EEDaSY_SZ_EUlSY_E_NS1_11comp_targetILNS1_3genE3ELNS1_11target_archE908ELNS1_3gpuE7ELNS1_3repE0EEENS1_30default_config_static_selectorELNS0_4arch9wavefront6targetE0EEEvT1_: ; @_ZN7rocprim17ROCPRIM_400000_NS6detail17trampoline_kernelINS0_14default_configENS1_29reduce_by_key_config_selectorIxjN6thrust23THRUST_200600_302600_NS4plusIjEEEEZZNS1_33reduce_by_key_impl_wrapped_configILNS1_25lookback_scan_determinismE0ES3_S9_NS6_6detail15normal_iteratorINS6_10device_ptrIxEEEENSD_INSE_IjEEEESG_SI_PmS8_NS6_8equal_toIxEEEE10hipError_tPvRmT2_T3_mT4_T5_T6_T7_T8_P12ihipStream_tbENKUlT_T0_E_clISt17integral_constantIbLb1EES13_EEDaSY_SZ_EUlSY_E_NS1_11comp_targetILNS1_3genE3ELNS1_11target_archE908ELNS1_3gpuE7ELNS1_3repE0EEENS1_30default_config_static_selectorELNS0_4arch9wavefront6targetE0EEEvT1_
; %bb.0:
	.section	.rodata,"a",@progbits
	.p2align	6, 0x0
	.amdhsa_kernel _ZN7rocprim17ROCPRIM_400000_NS6detail17trampoline_kernelINS0_14default_configENS1_29reduce_by_key_config_selectorIxjN6thrust23THRUST_200600_302600_NS4plusIjEEEEZZNS1_33reduce_by_key_impl_wrapped_configILNS1_25lookback_scan_determinismE0ES3_S9_NS6_6detail15normal_iteratorINS6_10device_ptrIxEEEENSD_INSE_IjEEEESG_SI_PmS8_NS6_8equal_toIxEEEE10hipError_tPvRmT2_T3_mT4_T5_T6_T7_T8_P12ihipStream_tbENKUlT_T0_E_clISt17integral_constantIbLb1EES13_EEDaSY_SZ_EUlSY_E_NS1_11comp_targetILNS1_3genE3ELNS1_11target_archE908ELNS1_3gpuE7ELNS1_3repE0EEENS1_30default_config_static_selectorELNS0_4arch9wavefront6targetE0EEEvT1_
		.amdhsa_group_segment_fixed_size 0
		.amdhsa_private_segment_fixed_size 0
		.amdhsa_kernarg_size 120
		.amdhsa_user_sgpr_count 15
		.amdhsa_user_sgpr_dispatch_ptr 0
		.amdhsa_user_sgpr_queue_ptr 0
		.amdhsa_user_sgpr_kernarg_segment_ptr 1
		.amdhsa_user_sgpr_dispatch_id 0
		.amdhsa_user_sgpr_private_segment_size 0
		.amdhsa_wavefront_size32 1
		.amdhsa_uses_dynamic_stack 0
		.amdhsa_enable_private_segment 0
		.amdhsa_system_sgpr_workgroup_id_x 1
		.amdhsa_system_sgpr_workgroup_id_y 0
		.amdhsa_system_sgpr_workgroup_id_z 0
		.amdhsa_system_sgpr_workgroup_info 0
		.amdhsa_system_vgpr_workitem_id 0
		.amdhsa_next_free_vgpr 1
		.amdhsa_next_free_sgpr 1
		.amdhsa_reserve_vcc 0
		.amdhsa_float_round_mode_32 0
		.amdhsa_float_round_mode_16_64 0
		.amdhsa_float_denorm_mode_32 3
		.amdhsa_float_denorm_mode_16_64 3
		.amdhsa_dx10_clamp 1
		.amdhsa_ieee_mode 1
		.amdhsa_fp16_overflow 0
		.amdhsa_workgroup_processor_mode 1
		.amdhsa_memory_ordered 1
		.amdhsa_forward_progress 0
		.amdhsa_shared_vgpr_count 0
		.amdhsa_exception_fp_ieee_invalid_op 0
		.amdhsa_exception_fp_denorm_src 0
		.amdhsa_exception_fp_ieee_div_zero 0
		.amdhsa_exception_fp_ieee_overflow 0
		.amdhsa_exception_fp_ieee_underflow 0
		.amdhsa_exception_fp_ieee_inexact 0
		.amdhsa_exception_int_div_zero 0
	.end_amdhsa_kernel
	.section	.text._ZN7rocprim17ROCPRIM_400000_NS6detail17trampoline_kernelINS0_14default_configENS1_29reduce_by_key_config_selectorIxjN6thrust23THRUST_200600_302600_NS4plusIjEEEEZZNS1_33reduce_by_key_impl_wrapped_configILNS1_25lookback_scan_determinismE0ES3_S9_NS6_6detail15normal_iteratorINS6_10device_ptrIxEEEENSD_INSE_IjEEEESG_SI_PmS8_NS6_8equal_toIxEEEE10hipError_tPvRmT2_T3_mT4_T5_T6_T7_T8_P12ihipStream_tbENKUlT_T0_E_clISt17integral_constantIbLb1EES13_EEDaSY_SZ_EUlSY_E_NS1_11comp_targetILNS1_3genE3ELNS1_11target_archE908ELNS1_3gpuE7ELNS1_3repE0EEENS1_30default_config_static_selectorELNS0_4arch9wavefront6targetE0EEEvT1_,"axG",@progbits,_ZN7rocprim17ROCPRIM_400000_NS6detail17trampoline_kernelINS0_14default_configENS1_29reduce_by_key_config_selectorIxjN6thrust23THRUST_200600_302600_NS4plusIjEEEEZZNS1_33reduce_by_key_impl_wrapped_configILNS1_25lookback_scan_determinismE0ES3_S9_NS6_6detail15normal_iteratorINS6_10device_ptrIxEEEENSD_INSE_IjEEEESG_SI_PmS8_NS6_8equal_toIxEEEE10hipError_tPvRmT2_T3_mT4_T5_T6_T7_T8_P12ihipStream_tbENKUlT_T0_E_clISt17integral_constantIbLb1EES13_EEDaSY_SZ_EUlSY_E_NS1_11comp_targetILNS1_3genE3ELNS1_11target_archE908ELNS1_3gpuE7ELNS1_3repE0EEENS1_30default_config_static_selectorELNS0_4arch9wavefront6targetE0EEEvT1_,comdat
.Lfunc_end781:
	.size	_ZN7rocprim17ROCPRIM_400000_NS6detail17trampoline_kernelINS0_14default_configENS1_29reduce_by_key_config_selectorIxjN6thrust23THRUST_200600_302600_NS4plusIjEEEEZZNS1_33reduce_by_key_impl_wrapped_configILNS1_25lookback_scan_determinismE0ES3_S9_NS6_6detail15normal_iteratorINS6_10device_ptrIxEEEENSD_INSE_IjEEEESG_SI_PmS8_NS6_8equal_toIxEEEE10hipError_tPvRmT2_T3_mT4_T5_T6_T7_T8_P12ihipStream_tbENKUlT_T0_E_clISt17integral_constantIbLb1EES13_EEDaSY_SZ_EUlSY_E_NS1_11comp_targetILNS1_3genE3ELNS1_11target_archE908ELNS1_3gpuE7ELNS1_3repE0EEENS1_30default_config_static_selectorELNS0_4arch9wavefront6targetE0EEEvT1_, .Lfunc_end781-_ZN7rocprim17ROCPRIM_400000_NS6detail17trampoline_kernelINS0_14default_configENS1_29reduce_by_key_config_selectorIxjN6thrust23THRUST_200600_302600_NS4plusIjEEEEZZNS1_33reduce_by_key_impl_wrapped_configILNS1_25lookback_scan_determinismE0ES3_S9_NS6_6detail15normal_iteratorINS6_10device_ptrIxEEEENSD_INSE_IjEEEESG_SI_PmS8_NS6_8equal_toIxEEEE10hipError_tPvRmT2_T3_mT4_T5_T6_T7_T8_P12ihipStream_tbENKUlT_T0_E_clISt17integral_constantIbLb1EES13_EEDaSY_SZ_EUlSY_E_NS1_11comp_targetILNS1_3genE3ELNS1_11target_archE908ELNS1_3gpuE7ELNS1_3repE0EEENS1_30default_config_static_selectorELNS0_4arch9wavefront6targetE0EEEvT1_
                                        ; -- End function
	.section	.AMDGPU.csdata,"",@progbits
; Kernel info:
; codeLenInByte = 0
; NumSgprs: 0
; NumVgprs: 0
; ScratchSize: 0
; MemoryBound: 0
; FloatMode: 240
; IeeeMode: 1
; LDSByteSize: 0 bytes/workgroup (compile time only)
; SGPRBlocks: 0
; VGPRBlocks: 0
; NumSGPRsForWavesPerEU: 1
; NumVGPRsForWavesPerEU: 1
; Occupancy: 16
; WaveLimiterHint : 0
; COMPUTE_PGM_RSRC2:SCRATCH_EN: 0
; COMPUTE_PGM_RSRC2:USER_SGPR: 15
; COMPUTE_PGM_RSRC2:TRAP_HANDLER: 0
; COMPUTE_PGM_RSRC2:TGID_X_EN: 1
; COMPUTE_PGM_RSRC2:TGID_Y_EN: 0
; COMPUTE_PGM_RSRC2:TGID_Z_EN: 0
; COMPUTE_PGM_RSRC2:TIDIG_COMP_CNT: 0
	.section	.text._ZN7rocprim17ROCPRIM_400000_NS6detail17trampoline_kernelINS0_14default_configENS1_29reduce_by_key_config_selectorIxjN6thrust23THRUST_200600_302600_NS4plusIjEEEEZZNS1_33reduce_by_key_impl_wrapped_configILNS1_25lookback_scan_determinismE0ES3_S9_NS6_6detail15normal_iteratorINS6_10device_ptrIxEEEENSD_INSE_IjEEEESG_SI_PmS8_NS6_8equal_toIxEEEE10hipError_tPvRmT2_T3_mT4_T5_T6_T7_T8_P12ihipStream_tbENKUlT_T0_E_clISt17integral_constantIbLb1EES13_EEDaSY_SZ_EUlSY_E_NS1_11comp_targetILNS1_3genE2ELNS1_11target_archE906ELNS1_3gpuE6ELNS1_3repE0EEENS1_30default_config_static_selectorELNS0_4arch9wavefront6targetE0EEEvT1_,"axG",@progbits,_ZN7rocprim17ROCPRIM_400000_NS6detail17trampoline_kernelINS0_14default_configENS1_29reduce_by_key_config_selectorIxjN6thrust23THRUST_200600_302600_NS4plusIjEEEEZZNS1_33reduce_by_key_impl_wrapped_configILNS1_25lookback_scan_determinismE0ES3_S9_NS6_6detail15normal_iteratorINS6_10device_ptrIxEEEENSD_INSE_IjEEEESG_SI_PmS8_NS6_8equal_toIxEEEE10hipError_tPvRmT2_T3_mT4_T5_T6_T7_T8_P12ihipStream_tbENKUlT_T0_E_clISt17integral_constantIbLb1EES13_EEDaSY_SZ_EUlSY_E_NS1_11comp_targetILNS1_3genE2ELNS1_11target_archE906ELNS1_3gpuE6ELNS1_3repE0EEENS1_30default_config_static_selectorELNS0_4arch9wavefront6targetE0EEEvT1_,comdat
	.protected	_ZN7rocprim17ROCPRIM_400000_NS6detail17trampoline_kernelINS0_14default_configENS1_29reduce_by_key_config_selectorIxjN6thrust23THRUST_200600_302600_NS4plusIjEEEEZZNS1_33reduce_by_key_impl_wrapped_configILNS1_25lookback_scan_determinismE0ES3_S9_NS6_6detail15normal_iteratorINS6_10device_ptrIxEEEENSD_INSE_IjEEEESG_SI_PmS8_NS6_8equal_toIxEEEE10hipError_tPvRmT2_T3_mT4_T5_T6_T7_T8_P12ihipStream_tbENKUlT_T0_E_clISt17integral_constantIbLb1EES13_EEDaSY_SZ_EUlSY_E_NS1_11comp_targetILNS1_3genE2ELNS1_11target_archE906ELNS1_3gpuE6ELNS1_3repE0EEENS1_30default_config_static_selectorELNS0_4arch9wavefront6targetE0EEEvT1_ ; -- Begin function _ZN7rocprim17ROCPRIM_400000_NS6detail17trampoline_kernelINS0_14default_configENS1_29reduce_by_key_config_selectorIxjN6thrust23THRUST_200600_302600_NS4plusIjEEEEZZNS1_33reduce_by_key_impl_wrapped_configILNS1_25lookback_scan_determinismE0ES3_S9_NS6_6detail15normal_iteratorINS6_10device_ptrIxEEEENSD_INSE_IjEEEESG_SI_PmS8_NS6_8equal_toIxEEEE10hipError_tPvRmT2_T3_mT4_T5_T6_T7_T8_P12ihipStream_tbENKUlT_T0_E_clISt17integral_constantIbLb1EES13_EEDaSY_SZ_EUlSY_E_NS1_11comp_targetILNS1_3genE2ELNS1_11target_archE906ELNS1_3gpuE6ELNS1_3repE0EEENS1_30default_config_static_selectorELNS0_4arch9wavefront6targetE0EEEvT1_
	.globl	_ZN7rocprim17ROCPRIM_400000_NS6detail17trampoline_kernelINS0_14default_configENS1_29reduce_by_key_config_selectorIxjN6thrust23THRUST_200600_302600_NS4plusIjEEEEZZNS1_33reduce_by_key_impl_wrapped_configILNS1_25lookback_scan_determinismE0ES3_S9_NS6_6detail15normal_iteratorINS6_10device_ptrIxEEEENSD_INSE_IjEEEESG_SI_PmS8_NS6_8equal_toIxEEEE10hipError_tPvRmT2_T3_mT4_T5_T6_T7_T8_P12ihipStream_tbENKUlT_T0_E_clISt17integral_constantIbLb1EES13_EEDaSY_SZ_EUlSY_E_NS1_11comp_targetILNS1_3genE2ELNS1_11target_archE906ELNS1_3gpuE6ELNS1_3repE0EEENS1_30default_config_static_selectorELNS0_4arch9wavefront6targetE0EEEvT1_
	.p2align	8
	.type	_ZN7rocprim17ROCPRIM_400000_NS6detail17trampoline_kernelINS0_14default_configENS1_29reduce_by_key_config_selectorIxjN6thrust23THRUST_200600_302600_NS4plusIjEEEEZZNS1_33reduce_by_key_impl_wrapped_configILNS1_25lookback_scan_determinismE0ES3_S9_NS6_6detail15normal_iteratorINS6_10device_ptrIxEEEENSD_INSE_IjEEEESG_SI_PmS8_NS6_8equal_toIxEEEE10hipError_tPvRmT2_T3_mT4_T5_T6_T7_T8_P12ihipStream_tbENKUlT_T0_E_clISt17integral_constantIbLb1EES13_EEDaSY_SZ_EUlSY_E_NS1_11comp_targetILNS1_3genE2ELNS1_11target_archE906ELNS1_3gpuE6ELNS1_3repE0EEENS1_30default_config_static_selectorELNS0_4arch9wavefront6targetE0EEEvT1_,@function
_ZN7rocprim17ROCPRIM_400000_NS6detail17trampoline_kernelINS0_14default_configENS1_29reduce_by_key_config_selectorIxjN6thrust23THRUST_200600_302600_NS4plusIjEEEEZZNS1_33reduce_by_key_impl_wrapped_configILNS1_25lookback_scan_determinismE0ES3_S9_NS6_6detail15normal_iteratorINS6_10device_ptrIxEEEENSD_INSE_IjEEEESG_SI_PmS8_NS6_8equal_toIxEEEE10hipError_tPvRmT2_T3_mT4_T5_T6_T7_T8_P12ihipStream_tbENKUlT_T0_E_clISt17integral_constantIbLb1EES13_EEDaSY_SZ_EUlSY_E_NS1_11comp_targetILNS1_3genE2ELNS1_11target_archE906ELNS1_3gpuE6ELNS1_3repE0EEENS1_30default_config_static_selectorELNS0_4arch9wavefront6targetE0EEEvT1_: ; @_ZN7rocprim17ROCPRIM_400000_NS6detail17trampoline_kernelINS0_14default_configENS1_29reduce_by_key_config_selectorIxjN6thrust23THRUST_200600_302600_NS4plusIjEEEEZZNS1_33reduce_by_key_impl_wrapped_configILNS1_25lookback_scan_determinismE0ES3_S9_NS6_6detail15normal_iteratorINS6_10device_ptrIxEEEENSD_INSE_IjEEEESG_SI_PmS8_NS6_8equal_toIxEEEE10hipError_tPvRmT2_T3_mT4_T5_T6_T7_T8_P12ihipStream_tbENKUlT_T0_E_clISt17integral_constantIbLb1EES13_EEDaSY_SZ_EUlSY_E_NS1_11comp_targetILNS1_3genE2ELNS1_11target_archE906ELNS1_3gpuE6ELNS1_3repE0EEENS1_30default_config_static_selectorELNS0_4arch9wavefront6targetE0EEEvT1_
; %bb.0:
	.section	.rodata,"a",@progbits
	.p2align	6, 0x0
	.amdhsa_kernel _ZN7rocprim17ROCPRIM_400000_NS6detail17trampoline_kernelINS0_14default_configENS1_29reduce_by_key_config_selectorIxjN6thrust23THRUST_200600_302600_NS4plusIjEEEEZZNS1_33reduce_by_key_impl_wrapped_configILNS1_25lookback_scan_determinismE0ES3_S9_NS6_6detail15normal_iteratorINS6_10device_ptrIxEEEENSD_INSE_IjEEEESG_SI_PmS8_NS6_8equal_toIxEEEE10hipError_tPvRmT2_T3_mT4_T5_T6_T7_T8_P12ihipStream_tbENKUlT_T0_E_clISt17integral_constantIbLb1EES13_EEDaSY_SZ_EUlSY_E_NS1_11comp_targetILNS1_3genE2ELNS1_11target_archE906ELNS1_3gpuE6ELNS1_3repE0EEENS1_30default_config_static_selectorELNS0_4arch9wavefront6targetE0EEEvT1_
		.amdhsa_group_segment_fixed_size 0
		.amdhsa_private_segment_fixed_size 0
		.amdhsa_kernarg_size 120
		.amdhsa_user_sgpr_count 15
		.amdhsa_user_sgpr_dispatch_ptr 0
		.amdhsa_user_sgpr_queue_ptr 0
		.amdhsa_user_sgpr_kernarg_segment_ptr 1
		.amdhsa_user_sgpr_dispatch_id 0
		.amdhsa_user_sgpr_private_segment_size 0
		.amdhsa_wavefront_size32 1
		.amdhsa_uses_dynamic_stack 0
		.amdhsa_enable_private_segment 0
		.amdhsa_system_sgpr_workgroup_id_x 1
		.amdhsa_system_sgpr_workgroup_id_y 0
		.amdhsa_system_sgpr_workgroup_id_z 0
		.amdhsa_system_sgpr_workgroup_info 0
		.amdhsa_system_vgpr_workitem_id 0
		.amdhsa_next_free_vgpr 1
		.amdhsa_next_free_sgpr 1
		.amdhsa_reserve_vcc 0
		.amdhsa_float_round_mode_32 0
		.amdhsa_float_round_mode_16_64 0
		.amdhsa_float_denorm_mode_32 3
		.amdhsa_float_denorm_mode_16_64 3
		.amdhsa_dx10_clamp 1
		.amdhsa_ieee_mode 1
		.amdhsa_fp16_overflow 0
		.amdhsa_workgroup_processor_mode 1
		.amdhsa_memory_ordered 1
		.amdhsa_forward_progress 0
		.amdhsa_shared_vgpr_count 0
		.amdhsa_exception_fp_ieee_invalid_op 0
		.amdhsa_exception_fp_denorm_src 0
		.amdhsa_exception_fp_ieee_div_zero 0
		.amdhsa_exception_fp_ieee_overflow 0
		.amdhsa_exception_fp_ieee_underflow 0
		.amdhsa_exception_fp_ieee_inexact 0
		.amdhsa_exception_int_div_zero 0
	.end_amdhsa_kernel
	.section	.text._ZN7rocprim17ROCPRIM_400000_NS6detail17trampoline_kernelINS0_14default_configENS1_29reduce_by_key_config_selectorIxjN6thrust23THRUST_200600_302600_NS4plusIjEEEEZZNS1_33reduce_by_key_impl_wrapped_configILNS1_25lookback_scan_determinismE0ES3_S9_NS6_6detail15normal_iteratorINS6_10device_ptrIxEEEENSD_INSE_IjEEEESG_SI_PmS8_NS6_8equal_toIxEEEE10hipError_tPvRmT2_T3_mT4_T5_T6_T7_T8_P12ihipStream_tbENKUlT_T0_E_clISt17integral_constantIbLb1EES13_EEDaSY_SZ_EUlSY_E_NS1_11comp_targetILNS1_3genE2ELNS1_11target_archE906ELNS1_3gpuE6ELNS1_3repE0EEENS1_30default_config_static_selectorELNS0_4arch9wavefront6targetE0EEEvT1_,"axG",@progbits,_ZN7rocprim17ROCPRIM_400000_NS6detail17trampoline_kernelINS0_14default_configENS1_29reduce_by_key_config_selectorIxjN6thrust23THRUST_200600_302600_NS4plusIjEEEEZZNS1_33reduce_by_key_impl_wrapped_configILNS1_25lookback_scan_determinismE0ES3_S9_NS6_6detail15normal_iteratorINS6_10device_ptrIxEEEENSD_INSE_IjEEEESG_SI_PmS8_NS6_8equal_toIxEEEE10hipError_tPvRmT2_T3_mT4_T5_T6_T7_T8_P12ihipStream_tbENKUlT_T0_E_clISt17integral_constantIbLb1EES13_EEDaSY_SZ_EUlSY_E_NS1_11comp_targetILNS1_3genE2ELNS1_11target_archE906ELNS1_3gpuE6ELNS1_3repE0EEENS1_30default_config_static_selectorELNS0_4arch9wavefront6targetE0EEEvT1_,comdat
.Lfunc_end782:
	.size	_ZN7rocprim17ROCPRIM_400000_NS6detail17trampoline_kernelINS0_14default_configENS1_29reduce_by_key_config_selectorIxjN6thrust23THRUST_200600_302600_NS4plusIjEEEEZZNS1_33reduce_by_key_impl_wrapped_configILNS1_25lookback_scan_determinismE0ES3_S9_NS6_6detail15normal_iteratorINS6_10device_ptrIxEEEENSD_INSE_IjEEEESG_SI_PmS8_NS6_8equal_toIxEEEE10hipError_tPvRmT2_T3_mT4_T5_T6_T7_T8_P12ihipStream_tbENKUlT_T0_E_clISt17integral_constantIbLb1EES13_EEDaSY_SZ_EUlSY_E_NS1_11comp_targetILNS1_3genE2ELNS1_11target_archE906ELNS1_3gpuE6ELNS1_3repE0EEENS1_30default_config_static_selectorELNS0_4arch9wavefront6targetE0EEEvT1_, .Lfunc_end782-_ZN7rocprim17ROCPRIM_400000_NS6detail17trampoline_kernelINS0_14default_configENS1_29reduce_by_key_config_selectorIxjN6thrust23THRUST_200600_302600_NS4plusIjEEEEZZNS1_33reduce_by_key_impl_wrapped_configILNS1_25lookback_scan_determinismE0ES3_S9_NS6_6detail15normal_iteratorINS6_10device_ptrIxEEEENSD_INSE_IjEEEESG_SI_PmS8_NS6_8equal_toIxEEEE10hipError_tPvRmT2_T3_mT4_T5_T6_T7_T8_P12ihipStream_tbENKUlT_T0_E_clISt17integral_constantIbLb1EES13_EEDaSY_SZ_EUlSY_E_NS1_11comp_targetILNS1_3genE2ELNS1_11target_archE906ELNS1_3gpuE6ELNS1_3repE0EEENS1_30default_config_static_selectorELNS0_4arch9wavefront6targetE0EEEvT1_
                                        ; -- End function
	.section	.AMDGPU.csdata,"",@progbits
; Kernel info:
; codeLenInByte = 0
; NumSgprs: 0
; NumVgprs: 0
; ScratchSize: 0
; MemoryBound: 0
; FloatMode: 240
; IeeeMode: 1
; LDSByteSize: 0 bytes/workgroup (compile time only)
; SGPRBlocks: 0
; VGPRBlocks: 0
; NumSGPRsForWavesPerEU: 1
; NumVGPRsForWavesPerEU: 1
; Occupancy: 16
; WaveLimiterHint : 0
; COMPUTE_PGM_RSRC2:SCRATCH_EN: 0
; COMPUTE_PGM_RSRC2:USER_SGPR: 15
; COMPUTE_PGM_RSRC2:TRAP_HANDLER: 0
; COMPUTE_PGM_RSRC2:TGID_X_EN: 1
; COMPUTE_PGM_RSRC2:TGID_Y_EN: 0
; COMPUTE_PGM_RSRC2:TGID_Z_EN: 0
; COMPUTE_PGM_RSRC2:TIDIG_COMP_CNT: 0
	.section	.text._ZN7rocprim17ROCPRIM_400000_NS6detail17trampoline_kernelINS0_14default_configENS1_29reduce_by_key_config_selectorIxjN6thrust23THRUST_200600_302600_NS4plusIjEEEEZZNS1_33reduce_by_key_impl_wrapped_configILNS1_25lookback_scan_determinismE0ES3_S9_NS6_6detail15normal_iteratorINS6_10device_ptrIxEEEENSD_INSE_IjEEEESG_SI_PmS8_NS6_8equal_toIxEEEE10hipError_tPvRmT2_T3_mT4_T5_T6_T7_T8_P12ihipStream_tbENKUlT_T0_E_clISt17integral_constantIbLb1EES13_EEDaSY_SZ_EUlSY_E_NS1_11comp_targetILNS1_3genE10ELNS1_11target_archE1201ELNS1_3gpuE5ELNS1_3repE0EEENS1_30default_config_static_selectorELNS0_4arch9wavefront6targetE0EEEvT1_,"axG",@progbits,_ZN7rocprim17ROCPRIM_400000_NS6detail17trampoline_kernelINS0_14default_configENS1_29reduce_by_key_config_selectorIxjN6thrust23THRUST_200600_302600_NS4plusIjEEEEZZNS1_33reduce_by_key_impl_wrapped_configILNS1_25lookback_scan_determinismE0ES3_S9_NS6_6detail15normal_iteratorINS6_10device_ptrIxEEEENSD_INSE_IjEEEESG_SI_PmS8_NS6_8equal_toIxEEEE10hipError_tPvRmT2_T3_mT4_T5_T6_T7_T8_P12ihipStream_tbENKUlT_T0_E_clISt17integral_constantIbLb1EES13_EEDaSY_SZ_EUlSY_E_NS1_11comp_targetILNS1_3genE10ELNS1_11target_archE1201ELNS1_3gpuE5ELNS1_3repE0EEENS1_30default_config_static_selectorELNS0_4arch9wavefront6targetE0EEEvT1_,comdat
	.protected	_ZN7rocprim17ROCPRIM_400000_NS6detail17trampoline_kernelINS0_14default_configENS1_29reduce_by_key_config_selectorIxjN6thrust23THRUST_200600_302600_NS4plusIjEEEEZZNS1_33reduce_by_key_impl_wrapped_configILNS1_25lookback_scan_determinismE0ES3_S9_NS6_6detail15normal_iteratorINS6_10device_ptrIxEEEENSD_INSE_IjEEEESG_SI_PmS8_NS6_8equal_toIxEEEE10hipError_tPvRmT2_T3_mT4_T5_T6_T7_T8_P12ihipStream_tbENKUlT_T0_E_clISt17integral_constantIbLb1EES13_EEDaSY_SZ_EUlSY_E_NS1_11comp_targetILNS1_3genE10ELNS1_11target_archE1201ELNS1_3gpuE5ELNS1_3repE0EEENS1_30default_config_static_selectorELNS0_4arch9wavefront6targetE0EEEvT1_ ; -- Begin function _ZN7rocprim17ROCPRIM_400000_NS6detail17trampoline_kernelINS0_14default_configENS1_29reduce_by_key_config_selectorIxjN6thrust23THRUST_200600_302600_NS4plusIjEEEEZZNS1_33reduce_by_key_impl_wrapped_configILNS1_25lookback_scan_determinismE0ES3_S9_NS6_6detail15normal_iteratorINS6_10device_ptrIxEEEENSD_INSE_IjEEEESG_SI_PmS8_NS6_8equal_toIxEEEE10hipError_tPvRmT2_T3_mT4_T5_T6_T7_T8_P12ihipStream_tbENKUlT_T0_E_clISt17integral_constantIbLb1EES13_EEDaSY_SZ_EUlSY_E_NS1_11comp_targetILNS1_3genE10ELNS1_11target_archE1201ELNS1_3gpuE5ELNS1_3repE0EEENS1_30default_config_static_selectorELNS0_4arch9wavefront6targetE0EEEvT1_
	.globl	_ZN7rocprim17ROCPRIM_400000_NS6detail17trampoline_kernelINS0_14default_configENS1_29reduce_by_key_config_selectorIxjN6thrust23THRUST_200600_302600_NS4plusIjEEEEZZNS1_33reduce_by_key_impl_wrapped_configILNS1_25lookback_scan_determinismE0ES3_S9_NS6_6detail15normal_iteratorINS6_10device_ptrIxEEEENSD_INSE_IjEEEESG_SI_PmS8_NS6_8equal_toIxEEEE10hipError_tPvRmT2_T3_mT4_T5_T6_T7_T8_P12ihipStream_tbENKUlT_T0_E_clISt17integral_constantIbLb1EES13_EEDaSY_SZ_EUlSY_E_NS1_11comp_targetILNS1_3genE10ELNS1_11target_archE1201ELNS1_3gpuE5ELNS1_3repE0EEENS1_30default_config_static_selectorELNS0_4arch9wavefront6targetE0EEEvT1_
	.p2align	8
	.type	_ZN7rocprim17ROCPRIM_400000_NS6detail17trampoline_kernelINS0_14default_configENS1_29reduce_by_key_config_selectorIxjN6thrust23THRUST_200600_302600_NS4plusIjEEEEZZNS1_33reduce_by_key_impl_wrapped_configILNS1_25lookback_scan_determinismE0ES3_S9_NS6_6detail15normal_iteratorINS6_10device_ptrIxEEEENSD_INSE_IjEEEESG_SI_PmS8_NS6_8equal_toIxEEEE10hipError_tPvRmT2_T3_mT4_T5_T6_T7_T8_P12ihipStream_tbENKUlT_T0_E_clISt17integral_constantIbLb1EES13_EEDaSY_SZ_EUlSY_E_NS1_11comp_targetILNS1_3genE10ELNS1_11target_archE1201ELNS1_3gpuE5ELNS1_3repE0EEENS1_30default_config_static_selectorELNS0_4arch9wavefront6targetE0EEEvT1_,@function
_ZN7rocprim17ROCPRIM_400000_NS6detail17trampoline_kernelINS0_14default_configENS1_29reduce_by_key_config_selectorIxjN6thrust23THRUST_200600_302600_NS4plusIjEEEEZZNS1_33reduce_by_key_impl_wrapped_configILNS1_25lookback_scan_determinismE0ES3_S9_NS6_6detail15normal_iteratorINS6_10device_ptrIxEEEENSD_INSE_IjEEEESG_SI_PmS8_NS6_8equal_toIxEEEE10hipError_tPvRmT2_T3_mT4_T5_T6_T7_T8_P12ihipStream_tbENKUlT_T0_E_clISt17integral_constantIbLb1EES13_EEDaSY_SZ_EUlSY_E_NS1_11comp_targetILNS1_3genE10ELNS1_11target_archE1201ELNS1_3gpuE5ELNS1_3repE0EEENS1_30default_config_static_selectorELNS0_4arch9wavefront6targetE0EEEvT1_: ; @_ZN7rocprim17ROCPRIM_400000_NS6detail17trampoline_kernelINS0_14default_configENS1_29reduce_by_key_config_selectorIxjN6thrust23THRUST_200600_302600_NS4plusIjEEEEZZNS1_33reduce_by_key_impl_wrapped_configILNS1_25lookback_scan_determinismE0ES3_S9_NS6_6detail15normal_iteratorINS6_10device_ptrIxEEEENSD_INSE_IjEEEESG_SI_PmS8_NS6_8equal_toIxEEEE10hipError_tPvRmT2_T3_mT4_T5_T6_T7_T8_P12ihipStream_tbENKUlT_T0_E_clISt17integral_constantIbLb1EES13_EEDaSY_SZ_EUlSY_E_NS1_11comp_targetILNS1_3genE10ELNS1_11target_archE1201ELNS1_3gpuE5ELNS1_3repE0EEENS1_30default_config_static_selectorELNS0_4arch9wavefront6targetE0EEEvT1_
; %bb.0:
	.section	.rodata,"a",@progbits
	.p2align	6, 0x0
	.amdhsa_kernel _ZN7rocprim17ROCPRIM_400000_NS6detail17trampoline_kernelINS0_14default_configENS1_29reduce_by_key_config_selectorIxjN6thrust23THRUST_200600_302600_NS4plusIjEEEEZZNS1_33reduce_by_key_impl_wrapped_configILNS1_25lookback_scan_determinismE0ES3_S9_NS6_6detail15normal_iteratorINS6_10device_ptrIxEEEENSD_INSE_IjEEEESG_SI_PmS8_NS6_8equal_toIxEEEE10hipError_tPvRmT2_T3_mT4_T5_T6_T7_T8_P12ihipStream_tbENKUlT_T0_E_clISt17integral_constantIbLb1EES13_EEDaSY_SZ_EUlSY_E_NS1_11comp_targetILNS1_3genE10ELNS1_11target_archE1201ELNS1_3gpuE5ELNS1_3repE0EEENS1_30default_config_static_selectorELNS0_4arch9wavefront6targetE0EEEvT1_
		.amdhsa_group_segment_fixed_size 0
		.amdhsa_private_segment_fixed_size 0
		.amdhsa_kernarg_size 120
		.amdhsa_user_sgpr_count 15
		.amdhsa_user_sgpr_dispatch_ptr 0
		.amdhsa_user_sgpr_queue_ptr 0
		.amdhsa_user_sgpr_kernarg_segment_ptr 1
		.amdhsa_user_sgpr_dispatch_id 0
		.amdhsa_user_sgpr_private_segment_size 0
		.amdhsa_wavefront_size32 1
		.amdhsa_uses_dynamic_stack 0
		.amdhsa_enable_private_segment 0
		.amdhsa_system_sgpr_workgroup_id_x 1
		.amdhsa_system_sgpr_workgroup_id_y 0
		.amdhsa_system_sgpr_workgroup_id_z 0
		.amdhsa_system_sgpr_workgroup_info 0
		.amdhsa_system_vgpr_workitem_id 0
		.amdhsa_next_free_vgpr 1
		.amdhsa_next_free_sgpr 1
		.amdhsa_reserve_vcc 0
		.amdhsa_float_round_mode_32 0
		.amdhsa_float_round_mode_16_64 0
		.amdhsa_float_denorm_mode_32 3
		.amdhsa_float_denorm_mode_16_64 3
		.amdhsa_dx10_clamp 1
		.amdhsa_ieee_mode 1
		.amdhsa_fp16_overflow 0
		.amdhsa_workgroup_processor_mode 1
		.amdhsa_memory_ordered 1
		.amdhsa_forward_progress 0
		.amdhsa_shared_vgpr_count 0
		.amdhsa_exception_fp_ieee_invalid_op 0
		.amdhsa_exception_fp_denorm_src 0
		.amdhsa_exception_fp_ieee_div_zero 0
		.amdhsa_exception_fp_ieee_overflow 0
		.amdhsa_exception_fp_ieee_underflow 0
		.amdhsa_exception_fp_ieee_inexact 0
		.amdhsa_exception_int_div_zero 0
	.end_amdhsa_kernel
	.section	.text._ZN7rocprim17ROCPRIM_400000_NS6detail17trampoline_kernelINS0_14default_configENS1_29reduce_by_key_config_selectorIxjN6thrust23THRUST_200600_302600_NS4plusIjEEEEZZNS1_33reduce_by_key_impl_wrapped_configILNS1_25lookback_scan_determinismE0ES3_S9_NS6_6detail15normal_iteratorINS6_10device_ptrIxEEEENSD_INSE_IjEEEESG_SI_PmS8_NS6_8equal_toIxEEEE10hipError_tPvRmT2_T3_mT4_T5_T6_T7_T8_P12ihipStream_tbENKUlT_T0_E_clISt17integral_constantIbLb1EES13_EEDaSY_SZ_EUlSY_E_NS1_11comp_targetILNS1_3genE10ELNS1_11target_archE1201ELNS1_3gpuE5ELNS1_3repE0EEENS1_30default_config_static_selectorELNS0_4arch9wavefront6targetE0EEEvT1_,"axG",@progbits,_ZN7rocprim17ROCPRIM_400000_NS6detail17trampoline_kernelINS0_14default_configENS1_29reduce_by_key_config_selectorIxjN6thrust23THRUST_200600_302600_NS4plusIjEEEEZZNS1_33reduce_by_key_impl_wrapped_configILNS1_25lookback_scan_determinismE0ES3_S9_NS6_6detail15normal_iteratorINS6_10device_ptrIxEEEENSD_INSE_IjEEEESG_SI_PmS8_NS6_8equal_toIxEEEE10hipError_tPvRmT2_T3_mT4_T5_T6_T7_T8_P12ihipStream_tbENKUlT_T0_E_clISt17integral_constantIbLb1EES13_EEDaSY_SZ_EUlSY_E_NS1_11comp_targetILNS1_3genE10ELNS1_11target_archE1201ELNS1_3gpuE5ELNS1_3repE0EEENS1_30default_config_static_selectorELNS0_4arch9wavefront6targetE0EEEvT1_,comdat
.Lfunc_end783:
	.size	_ZN7rocprim17ROCPRIM_400000_NS6detail17trampoline_kernelINS0_14default_configENS1_29reduce_by_key_config_selectorIxjN6thrust23THRUST_200600_302600_NS4plusIjEEEEZZNS1_33reduce_by_key_impl_wrapped_configILNS1_25lookback_scan_determinismE0ES3_S9_NS6_6detail15normal_iteratorINS6_10device_ptrIxEEEENSD_INSE_IjEEEESG_SI_PmS8_NS6_8equal_toIxEEEE10hipError_tPvRmT2_T3_mT4_T5_T6_T7_T8_P12ihipStream_tbENKUlT_T0_E_clISt17integral_constantIbLb1EES13_EEDaSY_SZ_EUlSY_E_NS1_11comp_targetILNS1_3genE10ELNS1_11target_archE1201ELNS1_3gpuE5ELNS1_3repE0EEENS1_30default_config_static_selectorELNS0_4arch9wavefront6targetE0EEEvT1_, .Lfunc_end783-_ZN7rocprim17ROCPRIM_400000_NS6detail17trampoline_kernelINS0_14default_configENS1_29reduce_by_key_config_selectorIxjN6thrust23THRUST_200600_302600_NS4plusIjEEEEZZNS1_33reduce_by_key_impl_wrapped_configILNS1_25lookback_scan_determinismE0ES3_S9_NS6_6detail15normal_iteratorINS6_10device_ptrIxEEEENSD_INSE_IjEEEESG_SI_PmS8_NS6_8equal_toIxEEEE10hipError_tPvRmT2_T3_mT4_T5_T6_T7_T8_P12ihipStream_tbENKUlT_T0_E_clISt17integral_constantIbLb1EES13_EEDaSY_SZ_EUlSY_E_NS1_11comp_targetILNS1_3genE10ELNS1_11target_archE1201ELNS1_3gpuE5ELNS1_3repE0EEENS1_30default_config_static_selectorELNS0_4arch9wavefront6targetE0EEEvT1_
                                        ; -- End function
	.section	.AMDGPU.csdata,"",@progbits
; Kernel info:
; codeLenInByte = 0
; NumSgprs: 0
; NumVgprs: 0
; ScratchSize: 0
; MemoryBound: 0
; FloatMode: 240
; IeeeMode: 1
; LDSByteSize: 0 bytes/workgroup (compile time only)
; SGPRBlocks: 0
; VGPRBlocks: 0
; NumSGPRsForWavesPerEU: 1
; NumVGPRsForWavesPerEU: 1
; Occupancy: 16
; WaveLimiterHint : 0
; COMPUTE_PGM_RSRC2:SCRATCH_EN: 0
; COMPUTE_PGM_RSRC2:USER_SGPR: 15
; COMPUTE_PGM_RSRC2:TRAP_HANDLER: 0
; COMPUTE_PGM_RSRC2:TGID_X_EN: 1
; COMPUTE_PGM_RSRC2:TGID_Y_EN: 0
; COMPUTE_PGM_RSRC2:TGID_Z_EN: 0
; COMPUTE_PGM_RSRC2:TIDIG_COMP_CNT: 0
	.section	.text._ZN7rocprim17ROCPRIM_400000_NS6detail17trampoline_kernelINS0_14default_configENS1_29reduce_by_key_config_selectorIxjN6thrust23THRUST_200600_302600_NS4plusIjEEEEZZNS1_33reduce_by_key_impl_wrapped_configILNS1_25lookback_scan_determinismE0ES3_S9_NS6_6detail15normal_iteratorINS6_10device_ptrIxEEEENSD_INSE_IjEEEESG_SI_PmS8_NS6_8equal_toIxEEEE10hipError_tPvRmT2_T3_mT4_T5_T6_T7_T8_P12ihipStream_tbENKUlT_T0_E_clISt17integral_constantIbLb1EES13_EEDaSY_SZ_EUlSY_E_NS1_11comp_targetILNS1_3genE10ELNS1_11target_archE1200ELNS1_3gpuE4ELNS1_3repE0EEENS1_30default_config_static_selectorELNS0_4arch9wavefront6targetE0EEEvT1_,"axG",@progbits,_ZN7rocprim17ROCPRIM_400000_NS6detail17trampoline_kernelINS0_14default_configENS1_29reduce_by_key_config_selectorIxjN6thrust23THRUST_200600_302600_NS4plusIjEEEEZZNS1_33reduce_by_key_impl_wrapped_configILNS1_25lookback_scan_determinismE0ES3_S9_NS6_6detail15normal_iteratorINS6_10device_ptrIxEEEENSD_INSE_IjEEEESG_SI_PmS8_NS6_8equal_toIxEEEE10hipError_tPvRmT2_T3_mT4_T5_T6_T7_T8_P12ihipStream_tbENKUlT_T0_E_clISt17integral_constantIbLb1EES13_EEDaSY_SZ_EUlSY_E_NS1_11comp_targetILNS1_3genE10ELNS1_11target_archE1200ELNS1_3gpuE4ELNS1_3repE0EEENS1_30default_config_static_selectorELNS0_4arch9wavefront6targetE0EEEvT1_,comdat
	.protected	_ZN7rocprim17ROCPRIM_400000_NS6detail17trampoline_kernelINS0_14default_configENS1_29reduce_by_key_config_selectorIxjN6thrust23THRUST_200600_302600_NS4plusIjEEEEZZNS1_33reduce_by_key_impl_wrapped_configILNS1_25lookback_scan_determinismE0ES3_S9_NS6_6detail15normal_iteratorINS6_10device_ptrIxEEEENSD_INSE_IjEEEESG_SI_PmS8_NS6_8equal_toIxEEEE10hipError_tPvRmT2_T3_mT4_T5_T6_T7_T8_P12ihipStream_tbENKUlT_T0_E_clISt17integral_constantIbLb1EES13_EEDaSY_SZ_EUlSY_E_NS1_11comp_targetILNS1_3genE10ELNS1_11target_archE1200ELNS1_3gpuE4ELNS1_3repE0EEENS1_30default_config_static_selectorELNS0_4arch9wavefront6targetE0EEEvT1_ ; -- Begin function _ZN7rocprim17ROCPRIM_400000_NS6detail17trampoline_kernelINS0_14default_configENS1_29reduce_by_key_config_selectorIxjN6thrust23THRUST_200600_302600_NS4plusIjEEEEZZNS1_33reduce_by_key_impl_wrapped_configILNS1_25lookback_scan_determinismE0ES3_S9_NS6_6detail15normal_iteratorINS6_10device_ptrIxEEEENSD_INSE_IjEEEESG_SI_PmS8_NS6_8equal_toIxEEEE10hipError_tPvRmT2_T3_mT4_T5_T6_T7_T8_P12ihipStream_tbENKUlT_T0_E_clISt17integral_constantIbLb1EES13_EEDaSY_SZ_EUlSY_E_NS1_11comp_targetILNS1_3genE10ELNS1_11target_archE1200ELNS1_3gpuE4ELNS1_3repE0EEENS1_30default_config_static_selectorELNS0_4arch9wavefront6targetE0EEEvT1_
	.globl	_ZN7rocprim17ROCPRIM_400000_NS6detail17trampoline_kernelINS0_14default_configENS1_29reduce_by_key_config_selectorIxjN6thrust23THRUST_200600_302600_NS4plusIjEEEEZZNS1_33reduce_by_key_impl_wrapped_configILNS1_25lookback_scan_determinismE0ES3_S9_NS6_6detail15normal_iteratorINS6_10device_ptrIxEEEENSD_INSE_IjEEEESG_SI_PmS8_NS6_8equal_toIxEEEE10hipError_tPvRmT2_T3_mT4_T5_T6_T7_T8_P12ihipStream_tbENKUlT_T0_E_clISt17integral_constantIbLb1EES13_EEDaSY_SZ_EUlSY_E_NS1_11comp_targetILNS1_3genE10ELNS1_11target_archE1200ELNS1_3gpuE4ELNS1_3repE0EEENS1_30default_config_static_selectorELNS0_4arch9wavefront6targetE0EEEvT1_
	.p2align	8
	.type	_ZN7rocprim17ROCPRIM_400000_NS6detail17trampoline_kernelINS0_14default_configENS1_29reduce_by_key_config_selectorIxjN6thrust23THRUST_200600_302600_NS4plusIjEEEEZZNS1_33reduce_by_key_impl_wrapped_configILNS1_25lookback_scan_determinismE0ES3_S9_NS6_6detail15normal_iteratorINS6_10device_ptrIxEEEENSD_INSE_IjEEEESG_SI_PmS8_NS6_8equal_toIxEEEE10hipError_tPvRmT2_T3_mT4_T5_T6_T7_T8_P12ihipStream_tbENKUlT_T0_E_clISt17integral_constantIbLb1EES13_EEDaSY_SZ_EUlSY_E_NS1_11comp_targetILNS1_3genE10ELNS1_11target_archE1200ELNS1_3gpuE4ELNS1_3repE0EEENS1_30default_config_static_selectorELNS0_4arch9wavefront6targetE0EEEvT1_,@function
_ZN7rocprim17ROCPRIM_400000_NS6detail17trampoline_kernelINS0_14default_configENS1_29reduce_by_key_config_selectorIxjN6thrust23THRUST_200600_302600_NS4plusIjEEEEZZNS1_33reduce_by_key_impl_wrapped_configILNS1_25lookback_scan_determinismE0ES3_S9_NS6_6detail15normal_iteratorINS6_10device_ptrIxEEEENSD_INSE_IjEEEESG_SI_PmS8_NS6_8equal_toIxEEEE10hipError_tPvRmT2_T3_mT4_T5_T6_T7_T8_P12ihipStream_tbENKUlT_T0_E_clISt17integral_constantIbLb1EES13_EEDaSY_SZ_EUlSY_E_NS1_11comp_targetILNS1_3genE10ELNS1_11target_archE1200ELNS1_3gpuE4ELNS1_3repE0EEENS1_30default_config_static_selectorELNS0_4arch9wavefront6targetE0EEEvT1_: ; @_ZN7rocprim17ROCPRIM_400000_NS6detail17trampoline_kernelINS0_14default_configENS1_29reduce_by_key_config_selectorIxjN6thrust23THRUST_200600_302600_NS4plusIjEEEEZZNS1_33reduce_by_key_impl_wrapped_configILNS1_25lookback_scan_determinismE0ES3_S9_NS6_6detail15normal_iteratorINS6_10device_ptrIxEEEENSD_INSE_IjEEEESG_SI_PmS8_NS6_8equal_toIxEEEE10hipError_tPvRmT2_T3_mT4_T5_T6_T7_T8_P12ihipStream_tbENKUlT_T0_E_clISt17integral_constantIbLb1EES13_EEDaSY_SZ_EUlSY_E_NS1_11comp_targetILNS1_3genE10ELNS1_11target_archE1200ELNS1_3gpuE4ELNS1_3repE0EEENS1_30default_config_static_selectorELNS0_4arch9wavefront6targetE0EEEvT1_
; %bb.0:
	.section	.rodata,"a",@progbits
	.p2align	6, 0x0
	.amdhsa_kernel _ZN7rocprim17ROCPRIM_400000_NS6detail17trampoline_kernelINS0_14default_configENS1_29reduce_by_key_config_selectorIxjN6thrust23THRUST_200600_302600_NS4plusIjEEEEZZNS1_33reduce_by_key_impl_wrapped_configILNS1_25lookback_scan_determinismE0ES3_S9_NS6_6detail15normal_iteratorINS6_10device_ptrIxEEEENSD_INSE_IjEEEESG_SI_PmS8_NS6_8equal_toIxEEEE10hipError_tPvRmT2_T3_mT4_T5_T6_T7_T8_P12ihipStream_tbENKUlT_T0_E_clISt17integral_constantIbLb1EES13_EEDaSY_SZ_EUlSY_E_NS1_11comp_targetILNS1_3genE10ELNS1_11target_archE1200ELNS1_3gpuE4ELNS1_3repE0EEENS1_30default_config_static_selectorELNS0_4arch9wavefront6targetE0EEEvT1_
		.amdhsa_group_segment_fixed_size 0
		.amdhsa_private_segment_fixed_size 0
		.amdhsa_kernarg_size 120
		.amdhsa_user_sgpr_count 15
		.amdhsa_user_sgpr_dispatch_ptr 0
		.amdhsa_user_sgpr_queue_ptr 0
		.amdhsa_user_sgpr_kernarg_segment_ptr 1
		.amdhsa_user_sgpr_dispatch_id 0
		.amdhsa_user_sgpr_private_segment_size 0
		.amdhsa_wavefront_size32 1
		.amdhsa_uses_dynamic_stack 0
		.amdhsa_enable_private_segment 0
		.amdhsa_system_sgpr_workgroup_id_x 1
		.amdhsa_system_sgpr_workgroup_id_y 0
		.amdhsa_system_sgpr_workgroup_id_z 0
		.amdhsa_system_sgpr_workgroup_info 0
		.amdhsa_system_vgpr_workitem_id 0
		.amdhsa_next_free_vgpr 1
		.amdhsa_next_free_sgpr 1
		.amdhsa_reserve_vcc 0
		.amdhsa_float_round_mode_32 0
		.amdhsa_float_round_mode_16_64 0
		.amdhsa_float_denorm_mode_32 3
		.amdhsa_float_denorm_mode_16_64 3
		.amdhsa_dx10_clamp 1
		.amdhsa_ieee_mode 1
		.amdhsa_fp16_overflow 0
		.amdhsa_workgroup_processor_mode 1
		.amdhsa_memory_ordered 1
		.amdhsa_forward_progress 0
		.amdhsa_shared_vgpr_count 0
		.amdhsa_exception_fp_ieee_invalid_op 0
		.amdhsa_exception_fp_denorm_src 0
		.amdhsa_exception_fp_ieee_div_zero 0
		.amdhsa_exception_fp_ieee_overflow 0
		.amdhsa_exception_fp_ieee_underflow 0
		.amdhsa_exception_fp_ieee_inexact 0
		.amdhsa_exception_int_div_zero 0
	.end_amdhsa_kernel
	.section	.text._ZN7rocprim17ROCPRIM_400000_NS6detail17trampoline_kernelINS0_14default_configENS1_29reduce_by_key_config_selectorIxjN6thrust23THRUST_200600_302600_NS4plusIjEEEEZZNS1_33reduce_by_key_impl_wrapped_configILNS1_25lookback_scan_determinismE0ES3_S9_NS6_6detail15normal_iteratorINS6_10device_ptrIxEEEENSD_INSE_IjEEEESG_SI_PmS8_NS6_8equal_toIxEEEE10hipError_tPvRmT2_T3_mT4_T5_T6_T7_T8_P12ihipStream_tbENKUlT_T0_E_clISt17integral_constantIbLb1EES13_EEDaSY_SZ_EUlSY_E_NS1_11comp_targetILNS1_3genE10ELNS1_11target_archE1200ELNS1_3gpuE4ELNS1_3repE0EEENS1_30default_config_static_selectorELNS0_4arch9wavefront6targetE0EEEvT1_,"axG",@progbits,_ZN7rocprim17ROCPRIM_400000_NS6detail17trampoline_kernelINS0_14default_configENS1_29reduce_by_key_config_selectorIxjN6thrust23THRUST_200600_302600_NS4plusIjEEEEZZNS1_33reduce_by_key_impl_wrapped_configILNS1_25lookback_scan_determinismE0ES3_S9_NS6_6detail15normal_iteratorINS6_10device_ptrIxEEEENSD_INSE_IjEEEESG_SI_PmS8_NS6_8equal_toIxEEEE10hipError_tPvRmT2_T3_mT4_T5_T6_T7_T8_P12ihipStream_tbENKUlT_T0_E_clISt17integral_constantIbLb1EES13_EEDaSY_SZ_EUlSY_E_NS1_11comp_targetILNS1_3genE10ELNS1_11target_archE1200ELNS1_3gpuE4ELNS1_3repE0EEENS1_30default_config_static_selectorELNS0_4arch9wavefront6targetE0EEEvT1_,comdat
.Lfunc_end784:
	.size	_ZN7rocprim17ROCPRIM_400000_NS6detail17trampoline_kernelINS0_14default_configENS1_29reduce_by_key_config_selectorIxjN6thrust23THRUST_200600_302600_NS4plusIjEEEEZZNS1_33reduce_by_key_impl_wrapped_configILNS1_25lookback_scan_determinismE0ES3_S9_NS6_6detail15normal_iteratorINS6_10device_ptrIxEEEENSD_INSE_IjEEEESG_SI_PmS8_NS6_8equal_toIxEEEE10hipError_tPvRmT2_T3_mT4_T5_T6_T7_T8_P12ihipStream_tbENKUlT_T0_E_clISt17integral_constantIbLb1EES13_EEDaSY_SZ_EUlSY_E_NS1_11comp_targetILNS1_3genE10ELNS1_11target_archE1200ELNS1_3gpuE4ELNS1_3repE0EEENS1_30default_config_static_selectorELNS0_4arch9wavefront6targetE0EEEvT1_, .Lfunc_end784-_ZN7rocprim17ROCPRIM_400000_NS6detail17trampoline_kernelINS0_14default_configENS1_29reduce_by_key_config_selectorIxjN6thrust23THRUST_200600_302600_NS4plusIjEEEEZZNS1_33reduce_by_key_impl_wrapped_configILNS1_25lookback_scan_determinismE0ES3_S9_NS6_6detail15normal_iteratorINS6_10device_ptrIxEEEENSD_INSE_IjEEEESG_SI_PmS8_NS6_8equal_toIxEEEE10hipError_tPvRmT2_T3_mT4_T5_T6_T7_T8_P12ihipStream_tbENKUlT_T0_E_clISt17integral_constantIbLb1EES13_EEDaSY_SZ_EUlSY_E_NS1_11comp_targetILNS1_3genE10ELNS1_11target_archE1200ELNS1_3gpuE4ELNS1_3repE0EEENS1_30default_config_static_selectorELNS0_4arch9wavefront6targetE0EEEvT1_
                                        ; -- End function
	.section	.AMDGPU.csdata,"",@progbits
; Kernel info:
; codeLenInByte = 0
; NumSgprs: 0
; NumVgprs: 0
; ScratchSize: 0
; MemoryBound: 0
; FloatMode: 240
; IeeeMode: 1
; LDSByteSize: 0 bytes/workgroup (compile time only)
; SGPRBlocks: 0
; VGPRBlocks: 0
; NumSGPRsForWavesPerEU: 1
; NumVGPRsForWavesPerEU: 1
; Occupancy: 16
; WaveLimiterHint : 0
; COMPUTE_PGM_RSRC2:SCRATCH_EN: 0
; COMPUTE_PGM_RSRC2:USER_SGPR: 15
; COMPUTE_PGM_RSRC2:TRAP_HANDLER: 0
; COMPUTE_PGM_RSRC2:TGID_X_EN: 1
; COMPUTE_PGM_RSRC2:TGID_Y_EN: 0
; COMPUTE_PGM_RSRC2:TGID_Z_EN: 0
; COMPUTE_PGM_RSRC2:TIDIG_COMP_CNT: 0
	.section	.text._ZN7rocprim17ROCPRIM_400000_NS6detail17trampoline_kernelINS0_14default_configENS1_29reduce_by_key_config_selectorIxjN6thrust23THRUST_200600_302600_NS4plusIjEEEEZZNS1_33reduce_by_key_impl_wrapped_configILNS1_25lookback_scan_determinismE0ES3_S9_NS6_6detail15normal_iteratorINS6_10device_ptrIxEEEENSD_INSE_IjEEEESG_SI_PmS8_NS6_8equal_toIxEEEE10hipError_tPvRmT2_T3_mT4_T5_T6_T7_T8_P12ihipStream_tbENKUlT_T0_E_clISt17integral_constantIbLb1EES13_EEDaSY_SZ_EUlSY_E_NS1_11comp_targetILNS1_3genE9ELNS1_11target_archE1100ELNS1_3gpuE3ELNS1_3repE0EEENS1_30default_config_static_selectorELNS0_4arch9wavefront6targetE0EEEvT1_,"axG",@progbits,_ZN7rocprim17ROCPRIM_400000_NS6detail17trampoline_kernelINS0_14default_configENS1_29reduce_by_key_config_selectorIxjN6thrust23THRUST_200600_302600_NS4plusIjEEEEZZNS1_33reduce_by_key_impl_wrapped_configILNS1_25lookback_scan_determinismE0ES3_S9_NS6_6detail15normal_iteratorINS6_10device_ptrIxEEEENSD_INSE_IjEEEESG_SI_PmS8_NS6_8equal_toIxEEEE10hipError_tPvRmT2_T3_mT4_T5_T6_T7_T8_P12ihipStream_tbENKUlT_T0_E_clISt17integral_constantIbLb1EES13_EEDaSY_SZ_EUlSY_E_NS1_11comp_targetILNS1_3genE9ELNS1_11target_archE1100ELNS1_3gpuE3ELNS1_3repE0EEENS1_30default_config_static_selectorELNS0_4arch9wavefront6targetE0EEEvT1_,comdat
	.protected	_ZN7rocprim17ROCPRIM_400000_NS6detail17trampoline_kernelINS0_14default_configENS1_29reduce_by_key_config_selectorIxjN6thrust23THRUST_200600_302600_NS4plusIjEEEEZZNS1_33reduce_by_key_impl_wrapped_configILNS1_25lookback_scan_determinismE0ES3_S9_NS6_6detail15normal_iteratorINS6_10device_ptrIxEEEENSD_INSE_IjEEEESG_SI_PmS8_NS6_8equal_toIxEEEE10hipError_tPvRmT2_T3_mT4_T5_T6_T7_T8_P12ihipStream_tbENKUlT_T0_E_clISt17integral_constantIbLb1EES13_EEDaSY_SZ_EUlSY_E_NS1_11comp_targetILNS1_3genE9ELNS1_11target_archE1100ELNS1_3gpuE3ELNS1_3repE0EEENS1_30default_config_static_selectorELNS0_4arch9wavefront6targetE0EEEvT1_ ; -- Begin function _ZN7rocprim17ROCPRIM_400000_NS6detail17trampoline_kernelINS0_14default_configENS1_29reduce_by_key_config_selectorIxjN6thrust23THRUST_200600_302600_NS4plusIjEEEEZZNS1_33reduce_by_key_impl_wrapped_configILNS1_25lookback_scan_determinismE0ES3_S9_NS6_6detail15normal_iteratorINS6_10device_ptrIxEEEENSD_INSE_IjEEEESG_SI_PmS8_NS6_8equal_toIxEEEE10hipError_tPvRmT2_T3_mT4_T5_T6_T7_T8_P12ihipStream_tbENKUlT_T0_E_clISt17integral_constantIbLb1EES13_EEDaSY_SZ_EUlSY_E_NS1_11comp_targetILNS1_3genE9ELNS1_11target_archE1100ELNS1_3gpuE3ELNS1_3repE0EEENS1_30default_config_static_selectorELNS0_4arch9wavefront6targetE0EEEvT1_
	.globl	_ZN7rocprim17ROCPRIM_400000_NS6detail17trampoline_kernelINS0_14default_configENS1_29reduce_by_key_config_selectorIxjN6thrust23THRUST_200600_302600_NS4plusIjEEEEZZNS1_33reduce_by_key_impl_wrapped_configILNS1_25lookback_scan_determinismE0ES3_S9_NS6_6detail15normal_iteratorINS6_10device_ptrIxEEEENSD_INSE_IjEEEESG_SI_PmS8_NS6_8equal_toIxEEEE10hipError_tPvRmT2_T3_mT4_T5_T6_T7_T8_P12ihipStream_tbENKUlT_T0_E_clISt17integral_constantIbLb1EES13_EEDaSY_SZ_EUlSY_E_NS1_11comp_targetILNS1_3genE9ELNS1_11target_archE1100ELNS1_3gpuE3ELNS1_3repE0EEENS1_30default_config_static_selectorELNS0_4arch9wavefront6targetE0EEEvT1_
	.p2align	8
	.type	_ZN7rocprim17ROCPRIM_400000_NS6detail17trampoline_kernelINS0_14default_configENS1_29reduce_by_key_config_selectorIxjN6thrust23THRUST_200600_302600_NS4plusIjEEEEZZNS1_33reduce_by_key_impl_wrapped_configILNS1_25lookback_scan_determinismE0ES3_S9_NS6_6detail15normal_iteratorINS6_10device_ptrIxEEEENSD_INSE_IjEEEESG_SI_PmS8_NS6_8equal_toIxEEEE10hipError_tPvRmT2_T3_mT4_T5_T6_T7_T8_P12ihipStream_tbENKUlT_T0_E_clISt17integral_constantIbLb1EES13_EEDaSY_SZ_EUlSY_E_NS1_11comp_targetILNS1_3genE9ELNS1_11target_archE1100ELNS1_3gpuE3ELNS1_3repE0EEENS1_30default_config_static_selectorELNS0_4arch9wavefront6targetE0EEEvT1_,@function
_ZN7rocprim17ROCPRIM_400000_NS6detail17trampoline_kernelINS0_14default_configENS1_29reduce_by_key_config_selectorIxjN6thrust23THRUST_200600_302600_NS4plusIjEEEEZZNS1_33reduce_by_key_impl_wrapped_configILNS1_25lookback_scan_determinismE0ES3_S9_NS6_6detail15normal_iteratorINS6_10device_ptrIxEEEENSD_INSE_IjEEEESG_SI_PmS8_NS6_8equal_toIxEEEE10hipError_tPvRmT2_T3_mT4_T5_T6_T7_T8_P12ihipStream_tbENKUlT_T0_E_clISt17integral_constantIbLb1EES13_EEDaSY_SZ_EUlSY_E_NS1_11comp_targetILNS1_3genE9ELNS1_11target_archE1100ELNS1_3gpuE3ELNS1_3repE0EEENS1_30default_config_static_selectorELNS0_4arch9wavefront6targetE0EEEvT1_: ; @_ZN7rocprim17ROCPRIM_400000_NS6detail17trampoline_kernelINS0_14default_configENS1_29reduce_by_key_config_selectorIxjN6thrust23THRUST_200600_302600_NS4plusIjEEEEZZNS1_33reduce_by_key_impl_wrapped_configILNS1_25lookback_scan_determinismE0ES3_S9_NS6_6detail15normal_iteratorINS6_10device_ptrIxEEEENSD_INSE_IjEEEESG_SI_PmS8_NS6_8equal_toIxEEEE10hipError_tPvRmT2_T3_mT4_T5_T6_T7_T8_P12ihipStream_tbENKUlT_T0_E_clISt17integral_constantIbLb1EES13_EEDaSY_SZ_EUlSY_E_NS1_11comp_targetILNS1_3genE9ELNS1_11target_archE1100ELNS1_3gpuE3ELNS1_3repE0EEENS1_30default_config_static_selectorELNS0_4arch9wavefront6targetE0EEEvT1_
; %bb.0:
	s_clause 0x4
	s_load_b256 s[20:27], s[0:1], 0x0
	s_load_b128 s[28:31], s[0:1], 0x20
	s_load_b256 s[36:43], s[0:1], 0x38
	s_load_b64 s[34:35], s[0:1], 0x68
	s_load_b128 s[44:47], s[0:1], 0x58
	v_cmp_ne_u32_e64 s3, 0, v0
	v_cmp_eq_u32_e64 s2, 0, v0
	s_delay_alu instid0(VALU_DEP_1)
	s_and_saveexec_b32 s4, s2
	s_cbranch_execz .LBB785_4
; %bb.1:
	s_mov_b32 s6, exec_lo
	s_mov_b32 s5, exec_lo
	v_mbcnt_lo_u32_b32 v1, s6, 0
                                        ; implicit-def: $vgpr2
	s_delay_alu instid0(VALU_DEP_1)
	v_cmpx_eq_u32_e32 0, v1
	s_cbranch_execz .LBB785_3
; %bb.2:
	s_load_b64 s[0:1], s[0:1], 0x70
	s_bcnt1_i32_b32 s6, s6
	s_delay_alu instid0(SALU_CYCLE_1)
	v_dual_mov_b32 v2, 0 :: v_dual_mov_b32 v3, s6
	s_waitcnt lgkmcnt(0)
	global_atomic_add_u32 v2, v2, v3, s[0:1] glc
.LBB785_3:
	s_or_b32 exec_lo, exec_lo, s5
	s_waitcnt vmcnt(0)
	v_readfirstlane_b32 s0, v2
	s_delay_alu instid0(VALU_DEP_1)
	v_dual_mov_b32 v2, 0 :: v_dual_add_nc_u32 v1, s0, v1
	ds_store_b32 v2, v1
.LBB785_4:
	s_or_b32 exec_lo, exec_lo, s4
	v_mov_b32_e32 v2, 0
	s_waitcnt lgkmcnt(0)
	s_barrier
	buffer_gl0_inv
	s_lshl_b64 s[0:1], s[22:23], 3
	ds_load_b32 v1, v2
	s_add_u32 s10, s20, s0
	s_addc_u32 s1, s21, s1
	s_lshl_b64 s[4:5], s[22:23], 2
	s_mul_i32 s6, s40, s39
	s_mul_hi_u32 s7, s40, s38
	s_add_u32 s11, s24, s4
	s_mul_i32 s8, s41, s38
	s_addc_u32 s12, s25, s5
	s_add_i32 s4, s7, s6
	s_mul_i32 s9, s40, s38
	s_add_i32 s4, s4, s8
	s_mov_b32 s0, 0
	s_waitcnt lgkmcnt(0)
	s_barrier
	buffer_gl0_inv
	v_readfirstlane_b32 s48, v1
	v_mul_lo_u32 v1, 0xf00, v1
	s_delay_alu instid0(VALU_DEP_2) | instskip(SKIP_3) | instid1(VALU_DEP_1)
	s_add_u32 s18, s9, s48
	s_addc_u32 s19, s4, 0
	s_add_u32 s4, s42, -1
	s_addc_u32 s5, s43, -1
	v_lshlrev_b64 v[3:4], 3, v[1:2]
	v_lshlrev_b64 v[1:2], 2, v[1:2]
	s_cmp_eq_u64 s[18:19], s[4:5]
	s_mul_i32 s40, s4, 0xfffff100
	s_cselect_b32 s33, -1, 0
	s_cmp_lg_u64 s[18:19], s[4:5]
	v_add_co_u32 v32, vcc_lo, s10, v3
	v_add_co_ci_u32_e32 v31, vcc_lo, s1, v4, vcc_lo
	v_add_co_u32 v33, vcc_lo, s11, v1
	v_add_co_ci_u32_e32 v34, vcc_lo, s12, v2, vcc_lo
	s_cselect_b32 s17, -1, 0
	s_and_b32 vcc_lo, exec_lo, s33
	s_cbranch_vccnz .LBB785_6
; %bb.5:
	v_lshlrev_b32_e32 v37, 3, v0
	v_lshlrev_b32_e32 v35, 2, v0
	v_mad_u32_u24 v46, v0, 15, 5
	v_mad_u32_u24 v48, v0, 15, 7
	;; [unrolled: 1-line block ×3, first 2 shown]
	v_add_co_u32 v1, vcc_lo, v32, v37
	v_add_co_ci_u32_e32 v2, vcc_lo, 0, v31, vcc_lo
	v_mad_u32_u24 v50, 0x70, v0, v37
	s_delay_alu instid0(VALU_DEP_3) | instskip(NEXT) | instid1(VALU_DEP_3)
	v_add_co_u32 v3, vcc_lo, 0x1000, v1
	v_add_co_ci_u32_e32 v4, vcc_lo, 0, v2, vcc_lo
	v_add_co_u32 v5, vcc_lo, 0x2000, v1
	v_add_co_ci_u32_e32 v6, vcc_lo, 0, v2, vcc_lo
	;; [unrolled: 2-line block ×6, first 2 shown]
	s_clause 0x7
	flat_load_b64 v[9:10], v[1:2]
	flat_load_b64 v[11:12], v[1:2] offset:2048
	flat_load_b64 v[13:14], v[3:4]
	flat_load_b64 v[3:4], v[3:4] offset:2048
	;; [unrolled: 2-line block ×4, first 2 shown]
	v_add_co_u32 v1, vcc_lo, 0x7000, v1
	v_add_co_ci_u32_e32 v2, vcc_lo, 0, v2, vcc_lo
	s_clause 0x6
	flat_load_b64 v[25:26], v[19:20]
	flat_load_b64 v[19:20], v[19:20] offset:2048
	flat_load_b64 v[27:28], v[21:22]
	flat_load_b64 v[21:22], v[21:22] offset:2048
	;; [unrolled: 2-line block ×3, first 2 shown]
	flat_load_b64 v[1:2], v[1:2]
	v_add_co_u32 v35, vcc_lo, v33, v35
	v_add_co_ci_u32_e32 v36, vcc_lo, 0, v34, vcc_lo
	v_mad_u32_u24 v49, v0, 15, 9
	s_delay_alu instid0(VALU_DEP_3) | instskip(NEXT) | instid1(VALU_DEP_3)
	v_add_co_u32 v39, vcc_lo, 0x1000, v35
	v_add_co_ci_u32_e32 v40, vcc_lo, 0, v36, vcc_lo
	v_add_co_u32 v41, vcc_lo, 0x2000, v35
	v_add_co_ci_u32_e32 v42, vcc_lo, 0, v36, vcc_lo
	;; [unrolled: 2-line block ×3, first 2 shown]
	v_mad_u32_u24 v47, v0, 15, 10
	v_mad_i32_i24 v65, 0xffffff8c, v0, v50
	v_mad_u32_u24 v54, v0, 15, 11
	v_mad_u32_u24 v53, v0, 15, 12
	s_waitcnt vmcnt(13) lgkmcnt(13)
	ds_store_2addr_stride64_b64 v37, v[9:10], v[11:12] offset1:4
	s_waitcnt vmcnt(11) lgkmcnt(12)
	ds_store_2addr_stride64_b64 v37, v[13:14], v[3:4] offset0:8 offset1:12
	s_waitcnt vmcnt(9) lgkmcnt(11)
	ds_store_2addr_stride64_b64 v37, v[15:16], v[5:6] offset0:16 offset1:20
	;; [unrolled: 2-line block ×6, first 2 shown]
	s_waitcnt vmcnt(0) lgkmcnt(7)
	ds_store_b64 v37, v[1:2] offset:28672
	s_waitcnt lgkmcnt(0)
	s_barrier
	buffer_gl0_inv
	ds_load_2addr_b64 v[25:28], v50 offset1:1
	ds_load_2addr_b64 v[21:24], v50 offset0:2 offset1:3
	ds_load_2addr_b64 v[17:20], v50 offset0:4 offset1:5
	;; [unrolled: 1-line block ×6, first 2 shown]
	ds_load_b64 v[37:38], v50 offset:112
	s_waitcnt lgkmcnt(0)
	s_barrier
	buffer_gl0_inv
	s_clause 0xe
	flat_load_b32 v29, v[35:36]
	flat_load_b32 v51, v[35:36] offset:1024
	flat_load_b32 v52, v[35:36] offset:2048
	flat_load_b32 v36, v[35:36] offset:3072
	flat_load_b32 v55, v[39:40]
	flat_load_b32 v56, v[39:40] offset:1024
	flat_load_b32 v57, v[39:40] offset:2048
	flat_load_b32 v58, v[39:40] offset:3072
	;; [unrolled: 4-line block ×3, first 2 shown]
	flat_load_b32 v63, v[43:44]
	flat_load_b32 v64, v[43:44] offset:1024
	flat_load_b32 v43, v[43:44] offset:2048
	v_mul_u32_u24_e32 v30, 15, v0
	v_mad_u32_u24 v40, v0, 15, 1
	v_mad_u32_u24 v39, v0, 15, 2
	;; [unrolled: 1-line block ×7, first 2 shown]
	s_waitcnt vmcnt(13) lgkmcnt(13)
	ds_store_2addr_stride64_b32 v65, v29, v51 offset1:4
	s_waitcnt vmcnt(11) lgkmcnt(12)
	ds_store_2addr_stride64_b32 v65, v52, v36 offset0:8 offset1:12
	s_waitcnt vmcnt(9) lgkmcnt(11)
	ds_store_2addr_stride64_b32 v65, v55, v56 offset0:16 offset1:20
	;; [unrolled: 2-line block ×6, first 2 shown]
	s_waitcnt vmcnt(0) lgkmcnt(7)
	ds_store_b32 v65, v43 offset:14336
	s_waitcnt lgkmcnt(0)
	s_barrier
	s_and_not1_b32 vcc_lo, exec_lo, s0
	s_add_i32 s40, s40, s44
	s_cbranch_vccz .LBB785_7
	s_branch .LBB785_68
.LBB785_6:
                                        ; implicit-def: $vgpr35
                                        ; implicit-def: $vgpr50
                                        ; implicit-def: $vgpr53
                                        ; implicit-def: $vgpr54
                                        ; implicit-def: $vgpr47
                                        ; implicit-def: $vgpr49
                                        ; implicit-def: $vgpr45
                                        ; implicit-def: $vgpr48
                                        ; implicit-def: $vgpr44
                                        ; implicit-def: $vgpr46
                                        ; implicit-def: $vgpr41
                                        ; implicit-def: $vgpr42
                                        ; implicit-def: $vgpr39
                                        ; implicit-def: $vgpr40
                                        ; implicit-def: $vgpr30
                                        ; implicit-def: $vgpr25_vgpr26
                                        ; implicit-def: $vgpr21_vgpr22
                                        ; implicit-def: $vgpr17_vgpr18
                                        ; implicit-def: $vgpr13_vgpr14
                                        ; implicit-def: $vgpr9_vgpr10
                                        ; implicit-def: $vgpr5_vgpr6
                                        ; implicit-def: $vgpr1_vgpr2
                                        ; implicit-def: $vgpr37_vgpr38
	s_add_i32 s40, s40, s44
.LBB785_7:
	s_delay_alu instid0(SALU_CYCLE_1)
	v_cmp_gt_u32_e32 vcc_lo, s40, v0
                                        ; implicit-def: $vgpr1_vgpr2
	s_and_saveexec_b32 s1, vcc_lo
	s_cbranch_execz .LBB785_9
; %bb.8:
	v_lshlrev_b32_e32 v1, 3, v0
	s_delay_alu instid0(VALU_DEP_1) | instskip(NEXT) | instid1(VALU_DEP_1)
	v_add_co_u32 v1, s0, v32, v1
	v_add_co_ci_u32_e64 v2, s0, 0, v31, s0
	flat_load_b64 v[1:2], v[1:2]
.LBB785_9:
	s_or_b32 exec_lo, exec_lo, s1
	v_or_b32_e32 v3, 0x100, v0
	s_delay_alu instid0(VALU_DEP_1) | instskip(NEXT) | instid1(VALU_DEP_1)
	v_cmp_gt_u32_e64 s0, s40, v3
                                        ; implicit-def: $vgpr3_vgpr4
	s_and_saveexec_b32 s4, s0
	s_cbranch_execz .LBB785_11
; %bb.10:
	v_lshlrev_b32_e32 v3, 3, v0
	s_delay_alu instid0(VALU_DEP_1) | instskip(NEXT) | instid1(VALU_DEP_1)
	v_add_co_u32 v3, s1, v32, v3
	v_add_co_ci_u32_e64 v4, s1, 0, v31, s1
	flat_load_b64 v[3:4], v[3:4] offset:2048
.LBB785_11:
	s_or_b32 exec_lo, exec_lo, s4
	v_or_b32_e32 v7, 0x200, v0
                                        ; implicit-def: $vgpr5_vgpr6
	s_delay_alu instid0(VALU_DEP_1) | instskip(NEXT) | instid1(VALU_DEP_1)
	v_cmp_gt_u32_e64 s1, s40, v7
	s_and_saveexec_b32 s5, s1
	s_cbranch_execz .LBB785_13
; %bb.12:
	v_lshlrev_b32_e32 v5, 3, v7
	s_delay_alu instid0(VALU_DEP_1) | instskip(NEXT) | instid1(VALU_DEP_1)
	v_add_co_u32 v5, s4, v32, v5
	v_add_co_ci_u32_e64 v6, s4, 0, v31, s4
	flat_load_b64 v[5:6], v[5:6]
.LBB785_13:
	s_or_b32 exec_lo, exec_lo, s5
	v_or_b32_e32 v9, 0x300, v0
                                        ; implicit-def: $vgpr7_vgpr8
	s_delay_alu instid0(VALU_DEP_1) | instskip(NEXT) | instid1(VALU_DEP_1)
	v_cmp_gt_u32_e64 s4, s40, v9
	s_and_saveexec_b32 s6, s4
	s_cbranch_execz .LBB785_15
; %bb.14:
	v_lshlrev_b32_e32 v7, 3, v9
	s_delay_alu instid0(VALU_DEP_1) | instskip(NEXT) | instid1(VALU_DEP_1)
	v_add_co_u32 v7, s5, v32, v7
	v_add_co_ci_u32_e64 v8, s5, 0, v31, s5
	flat_load_b64 v[7:8], v[7:8]
.LBB785_15:
	s_or_b32 exec_lo, exec_lo, s6
	v_or_b32_e32 v39, 0x400, v0
                                        ; implicit-def: $vgpr9_vgpr10
	s_delay_alu instid0(VALU_DEP_1) | instskip(NEXT) | instid1(VALU_DEP_1)
	v_cmp_gt_u32_e64 s5, s40, v39
	s_and_saveexec_b32 s7, s5
	s_cbranch_execz .LBB785_17
; %bb.16:
	v_lshlrev_b32_e32 v9, 3, v39
	s_delay_alu instid0(VALU_DEP_1) | instskip(NEXT) | instid1(VALU_DEP_1)
	v_add_co_u32 v9, s6, v32, v9
	v_add_co_ci_u32_e64 v10, s6, 0, v31, s6
	flat_load_b64 v[9:10], v[9:10]
.LBB785_17:
	s_or_b32 exec_lo, exec_lo, s7
	v_or_b32_e32 v40, 0x500, v0
                                        ; implicit-def: $vgpr11_vgpr12
	s_delay_alu instid0(VALU_DEP_1) | instskip(NEXT) | instid1(VALU_DEP_1)
	v_cmp_gt_u32_e64 s6, s40, v40
	s_and_saveexec_b32 s8, s6
	s_cbranch_execz .LBB785_19
; %bb.18:
	v_lshlrev_b32_e32 v11, 3, v40
	s_delay_alu instid0(VALU_DEP_1) | instskip(NEXT) | instid1(VALU_DEP_1)
	v_add_co_u32 v11, s7, v32, v11
	v_add_co_ci_u32_e64 v12, s7, 0, v31, s7
	flat_load_b64 v[11:12], v[11:12]
.LBB785_19:
	s_or_b32 exec_lo, exec_lo, s8
	v_or_b32_e32 v41, 0x600, v0
                                        ; implicit-def: $vgpr13_vgpr14
	s_delay_alu instid0(VALU_DEP_1) | instskip(NEXT) | instid1(VALU_DEP_1)
	v_cmp_gt_u32_e64 s7, s40, v41
	s_and_saveexec_b32 s9, s7
	s_cbranch_execz .LBB785_21
; %bb.20:
	v_lshlrev_b32_e32 v13, 3, v41
	s_delay_alu instid0(VALU_DEP_1) | instskip(NEXT) | instid1(VALU_DEP_1)
	v_add_co_u32 v13, s8, v32, v13
	v_add_co_ci_u32_e64 v14, s8, 0, v31, s8
	flat_load_b64 v[13:14], v[13:14]
.LBB785_21:
	s_or_b32 exec_lo, exec_lo, s9
	v_or_b32_e32 v42, 0x700, v0
                                        ; implicit-def: $vgpr15_vgpr16
	s_delay_alu instid0(VALU_DEP_1) | instskip(NEXT) | instid1(VALU_DEP_1)
	v_cmp_gt_u32_e64 s8, s40, v42
	s_and_saveexec_b32 s10, s8
	s_cbranch_execz .LBB785_23
; %bb.22:
	v_lshlrev_b32_e32 v15, 3, v42
	s_delay_alu instid0(VALU_DEP_1) | instskip(NEXT) | instid1(VALU_DEP_1)
	v_add_co_u32 v15, s9, v32, v15
	v_add_co_ci_u32_e64 v16, s9, 0, v31, s9
	flat_load_b64 v[15:16], v[15:16]
.LBB785_23:
	s_or_b32 exec_lo, exec_lo, s10
	v_or_b32_e32 v44, 0x800, v0
                                        ; implicit-def: $vgpr17_vgpr18
	s_delay_alu instid0(VALU_DEP_1) | instskip(NEXT) | instid1(VALU_DEP_1)
	v_cmp_gt_u32_e64 s9, s40, v44
	s_and_saveexec_b32 s11, s9
	s_cbranch_execz .LBB785_25
; %bb.24:
	v_lshlrev_b32_e32 v17, 3, v44
	s_delay_alu instid0(VALU_DEP_1) | instskip(NEXT) | instid1(VALU_DEP_1)
	v_add_co_u32 v17, s10, v32, v17
	v_add_co_ci_u32_e64 v18, s10, 0, v31, s10
	flat_load_b64 v[17:18], v[17:18]
.LBB785_25:
	s_or_b32 exec_lo, exec_lo, s11
	v_or_b32_e32 v45, 0x900, v0
                                        ; implicit-def: $vgpr19_vgpr20
	s_delay_alu instid0(VALU_DEP_1) | instskip(NEXT) | instid1(VALU_DEP_1)
	v_cmp_gt_u32_e64 s10, s40, v45
	s_and_saveexec_b32 s12, s10
	s_cbranch_execz .LBB785_27
; %bb.26:
	v_lshlrev_b32_e32 v19, 3, v45
	s_delay_alu instid0(VALU_DEP_1) | instskip(NEXT) | instid1(VALU_DEP_1)
	v_add_co_u32 v19, s11, v32, v19
	v_add_co_ci_u32_e64 v20, s11, 0, v31, s11
	flat_load_b64 v[19:20], v[19:20]
.LBB785_27:
	s_or_b32 exec_lo, exec_lo, s12
	v_or_b32_e32 v46, 0xa00, v0
                                        ; implicit-def: $vgpr21_vgpr22
	s_delay_alu instid0(VALU_DEP_1) | instskip(NEXT) | instid1(VALU_DEP_1)
	v_cmp_gt_u32_e64 s11, s40, v46
	s_and_saveexec_b32 s13, s11
	s_cbranch_execz .LBB785_29
; %bb.28:
	v_lshlrev_b32_e32 v21, 3, v46
	s_delay_alu instid0(VALU_DEP_1) | instskip(NEXT) | instid1(VALU_DEP_1)
	v_add_co_u32 v21, s12, v32, v21
	v_add_co_ci_u32_e64 v22, s12, 0, v31, s12
	flat_load_b64 v[21:22], v[21:22]
.LBB785_29:
	s_or_b32 exec_lo, exec_lo, s13
	v_or_b32_e32 v47, 0xb00, v0
                                        ; implicit-def: $vgpr23_vgpr24
	s_delay_alu instid0(VALU_DEP_1) | instskip(NEXT) | instid1(VALU_DEP_1)
	v_cmp_gt_u32_e64 s12, s40, v47
	s_and_saveexec_b32 s14, s12
	s_cbranch_execz .LBB785_31
; %bb.30:
	v_lshlrev_b32_e32 v23, 3, v47
	s_delay_alu instid0(VALU_DEP_1) | instskip(NEXT) | instid1(VALU_DEP_1)
	v_add_co_u32 v23, s13, v32, v23
	v_add_co_ci_u32_e64 v24, s13, 0, v31, s13
	flat_load_b64 v[23:24], v[23:24]
.LBB785_31:
	s_or_b32 exec_lo, exec_lo, s14
	v_or_b32_e32 v48, 0xc00, v0
                                        ; implicit-def: $vgpr25_vgpr26
	s_delay_alu instid0(VALU_DEP_1) | instskip(NEXT) | instid1(VALU_DEP_1)
	v_cmp_gt_u32_e64 s13, s40, v48
	s_and_saveexec_b32 s15, s13
	s_cbranch_execz .LBB785_33
; %bb.32:
	v_lshlrev_b32_e32 v25, 3, v48
	s_delay_alu instid0(VALU_DEP_1) | instskip(NEXT) | instid1(VALU_DEP_1)
	v_add_co_u32 v25, s14, v32, v25
	v_add_co_ci_u32_e64 v26, s14, 0, v31, s14
	flat_load_b64 v[25:26], v[25:26]
.LBB785_33:
	s_or_b32 exec_lo, exec_lo, s15
	v_or_b32_e32 v49, 0xd00, v0
                                        ; implicit-def: $vgpr27_vgpr28
	s_delay_alu instid0(VALU_DEP_1) | instskip(NEXT) | instid1(VALU_DEP_1)
	v_cmp_gt_u32_e64 s14, s40, v49
	s_and_saveexec_b32 s16, s14
	s_cbranch_execz .LBB785_35
; %bb.34:
	v_lshlrev_b32_e32 v27, 3, v49
	s_delay_alu instid0(VALU_DEP_1) | instskip(NEXT) | instid1(VALU_DEP_1)
	v_add_co_u32 v27, s15, v32, v27
	v_add_co_ci_u32_e64 v28, s15, 0, v31, s15
	flat_load_b64 v[27:28], v[27:28]
.LBB785_35:
	s_or_b32 exec_lo, exec_lo, s16
	v_or_b32_e32 v50, 0xe00, v0
                                        ; implicit-def: $vgpr29_vgpr30
	s_delay_alu instid0(VALU_DEP_1) | instskip(NEXT) | instid1(VALU_DEP_1)
	v_cmp_gt_u32_e64 s15, s40, v50
	s_and_saveexec_b32 s20, s15
	s_cbranch_execz .LBB785_37
; %bb.36:
	v_lshlrev_b32_e32 v29, 3, v50
	s_delay_alu instid0(VALU_DEP_1) | instskip(NEXT) | instid1(VALU_DEP_1)
	v_add_co_u32 v29, s16, v32, v29
	v_add_co_ci_u32_e64 v30, s16, 0, v31, s16
	flat_load_b64 v[29:30], v[29:30]
.LBB785_37:
	s_or_b32 exec_lo, exec_lo, s20
	v_lshlrev_b32_e32 v36, 3, v0
	s_waitcnt vmcnt(0) lgkmcnt(0)
	ds_store_2addr_stride64_b64 v36, v[1:2], v[3:4] offset1:4
	ds_store_2addr_stride64_b64 v36, v[5:6], v[7:8] offset0:8 offset1:12
	ds_store_2addr_stride64_b64 v36, v[9:10], v[11:12] offset0:16 offset1:20
	;; [unrolled: 1-line block ×6, first 2 shown]
	v_mad_u32_u24 v35, 0x70, v0, v36
	ds_store_b64 v36, v[29:30] offset:28672
	s_waitcnt lgkmcnt(0)
	s_barrier
	buffer_gl0_inv
	ds_load_2addr_b64 v[25:28], v35 offset1:1
	ds_load_2addr_b64 v[21:24], v35 offset0:2 offset1:3
	ds_load_2addr_b64 v[17:20], v35 offset0:4 offset1:5
	;; [unrolled: 1-line block ×6, first 2 shown]
	ds_load_b64 v[37:38], v35 offset:112
	s_waitcnt lgkmcnt(0)
	s_barrier
	buffer_gl0_inv
                                        ; implicit-def: $vgpr29
	s_and_saveexec_b32 s16, vcc_lo
	s_cbranch_execz .LBB785_51
; %bb.38:
	v_lshlrev_b32_e32 v29, 2, v0
	s_delay_alu instid0(VALU_DEP_1)
	v_add_co_u32 v29, vcc_lo, v33, v29
	v_add_co_ci_u32_e32 v30, vcc_lo, 0, v34, vcc_lo
	flat_load_b32 v29, v[29:30]
	s_or_b32 exec_lo, exec_lo, s16
                                        ; implicit-def: $vgpr36
	s_and_saveexec_b32 s16, s0
	s_cbranch_execnz .LBB785_52
.LBB785_39:
	s_or_b32 exec_lo, exec_lo, s16
                                        ; implicit-def: $vgpr43
	s_and_saveexec_b32 s0, s1
	s_cbranch_execz .LBB785_53
.LBB785_40:
	v_lshlrev_b32_e32 v30, 2, v0
	s_delay_alu instid0(VALU_DEP_1)
	v_add_co_u32 v51, vcc_lo, v33, v30
	v_add_co_ci_u32_e32 v52, vcc_lo, 0, v34, vcc_lo
	flat_load_b32 v43, v[51:52] offset:2048
	s_or_b32 exec_lo, exec_lo, s0
                                        ; implicit-def: $vgpr51
	s_and_saveexec_b32 s0, s4
	s_cbranch_execnz .LBB785_54
.LBB785_41:
	s_or_b32 exec_lo, exec_lo, s0
                                        ; implicit-def: $vgpr52
	s_and_saveexec_b32 s0, s5
	s_cbranch_execz .LBB785_55
.LBB785_42:
	v_lshlrev_b32_e32 v30, 2, v39
	s_delay_alu instid0(VALU_DEP_1)
	v_add_co_u32 v52, vcc_lo, v33, v30
	v_add_co_ci_u32_e32 v53, vcc_lo, 0, v34, vcc_lo
	flat_load_b32 v52, v[52:53]
	s_or_b32 exec_lo, exec_lo, s0
                                        ; implicit-def: $vgpr55
	s_and_saveexec_b32 s0, s6
	s_cbranch_execnz .LBB785_56
.LBB785_43:
	s_or_b32 exec_lo, exec_lo, s0
                                        ; implicit-def: $vgpr56
	s_and_saveexec_b32 s0, s7
	s_cbranch_execz .LBB785_57
.LBB785_44:
	v_lshlrev_b32_e32 v30, 2, v41
	s_delay_alu instid0(VALU_DEP_1)
	v_add_co_u32 v39, vcc_lo, v33, v30
	v_add_co_ci_u32_e32 v40, vcc_lo, 0, v34, vcc_lo
	flat_load_b32 v56, v[39:40]
	s_or_b32 exec_lo, exec_lo, s0
                                        ; implicit-def: $vgpr57
	s_and_saveexec_b32 s0, s8
	s_cbranch_execnz .LBB785_58
.LBB785_45:
	s_or_b32 exec_lo, exec_lo, s0
                                        ; implicit-def: $vgpr58
	s_and_saveexec_b32 s0, s9
	s_cbranch_execz .LBB785_59
.LBB785_46:
	v_lshlrev_b32_e32 v30, 2, v44
	s_delay_alu instid0(VALU_DEP_1)
	v_add_co_u32 v39, vcc_lo, v33, v30
	v_add_co_ci_u32_e32 v40, vcc_lo, 0, v34, vcc_lo
	flat_load_b32 v58, v[39:40]
	s_or_b32 exec_lo, exec_lo, s0
                                        ; implicit-def: $vgpr59
	s_and_saveexec_b32 s0, s10
	s_cbranch_execnz .LBB785_60
.LBB785_47:
	s_or_b32 exec_lo, exec_lo, s0
                                        ; implicit-def: $vgpr60
	s_and_saveexec_b32 s0, s11
	s_cbranch_execz .LBB785_61
.LBB785_48:
	v_lshlrev_b32_e32 v30, 2, v46
	s_delay_alu instid0(VALU_DEP_1)
	v_add_co_u32 v39, vcc_lo, v33, v30
	v_add_co_ci_u32_e32 v40, vcc_lo, 0, v34, vcc_lo
	flat_load_b32 v60, v[39:40]
	s_or_b32 exec_lo, exec_lo, s0
                                        ; implicit-def: $vgpr61
	s_and_saveexec_b32 s0, s12
	s_cbranch_execnz .LBB785_62
.LBB785_49:
	s_or_b32 exec_lo, exec_lo, s0
                                        ; implicit-def: $vgpr62
	s_and_saveexec_b32 s0, s13
	s_cbranch_execz .LBB785_63
.LBB785_50:
	v_lshlrev_b32_e32 v30, 2, v48
	s_delay_alu instid0(VALU_DEP_1)
	v_add_co_u32 v39, vcc_lo, v33, v30
	v_add_co_ci_u32_e32 v40, vcc_lo, 0, v34, vcc_lo
	flat_load_b32 v62, v[39:40]
	s_or_b32 exec_lo, exec_lo, s0
                                        ; implicit-def: $vgpr63
	s_and_saveexec_b32 s0, s14
	s_cbranch_execz .LBB785_65
	s_branch .LBB785_64
.LBB785_51:
	s_or_b32 exec_lo, exec_lo, s16
                                        ; implicit-def: $vgpr36
	s_and_saveexec_b32 s16, s0
	s_cbranch_execz .LBB785_39
.LBB785_52:
	v_lshlrev_b32_e32 v30, 2, v0
	s_delay_alu instid0(VALU_DEP_1)
	v_add_co_u32 v51, vcc_lo, v33, v30
	v_add_co_ci_u32_e32 v52, vcc_lo, 0, v34, vcc_lo
	flat_load_b32 v36, v[51:52] offset:1024
	s_or_b32 exec_lo, exec_lo, s16
                                        ; implicit-def: $vgpr43
	s_and_saveexec_b32 s0, s1
	s_cbranch_execnz .LBB785_40
.LBB785_53:
	s_or_b32 exec_lo, exec_lo, s0
                                        ; implicit-def: $vgpr51
	s_and_saveexec_b32 s0, s4
	s_cbranch_execz .LBB785_41
.LBB785_54:
	v_lshlrev_b32_e32 v30, 2, v0
	s_delay_alu instid0(VALU_DEP_1)
	v_add_co_u32 v51, vcc_lo, v33, v30
	v_add_co_ci_u32_e32 v52, vcc_lo, 0, v34, vcc_lo
	flat_load_b32 v51, v[51:52] offset:3072
	s_or_b32 exec_lo, exec_lo, s0
                                        ; implicit-def: $vgpr52
	s_and_saveexec_b32 s0, s5
	s_cbranch_execnz .LBB785_42
.LBB785_55:
	s_or_b32 exec_lo, exec_lo, s0
                                        ; implicit-def: $vgpr55
	s_and_saveexec_b32 s0, s6
	s_cbranch_execz .LBB785_43
.LBB785_56:
	v_lshlrev_b32_e32 v30, 2, v40
	s_delay_alu instid0(VALU_DEP_1)
	v_add_co_u32 v39, vcc_lo, v33, v30
	v_add_co_ci_u32_e32 v40, vcc_lo, 0, v34, vcc_lo
	flat_load_b32 v55, v[39:40]
	s_or_b32 exec_lo, exec_lo, s0
                                        ; implicit-def: $vgpr56
	s_and_saveexec_b32 s0, s7
	s_cbranch_execnz .LBB785_44
.LBB785_57:
	s_or_b32 exec_lo, exec_lo, s0
                                        ; implicit-def: $vgpr57
	s_and_saveexec_b32 s0, s8
	s_cbranch_execz .LBB785_45
.LBB785_58:
	v_lshlrev_b32_e32 v30, 2, v42
	s_delay_alu instid0(VALU_DEP_1)
	v_add_co_u32 v39, vcc_lo, v33, v30
	v_add_co_ci_u32_e32 v40, vcc_lo, 0, v34, vcc_lo
	flat_load_b32 v57, v[39:40]
	s_or_b32 exec_lo, exec_lo, s0
                                        ; implicit-def: $vgpr58
	s_and_saveexec_b32 s0, s9
	s_cbranch_execnz .LBB785_46
.LBB785_59:
	s_or_b32 exec_lo, exec_lo, s0
                                        ; implicit-def: $vgpr59
	s_and_saveexec_b32 s0, s10
	s_cbranch_execz .LBB785_47
.LBB785_60:
	v_lshlrev_b32_e32 v30, 2, v45
	s_delay_alu instid0(VALU_DEP_1)
	v_add_co_u32 v39, vcc_lo, v33, v30
	v_add_co_ci_u32_e32 v40, vcc_lo, 0, v34, vcc_lo
	flat_load_b32 v59, v[39:40]
	s_or_b32 exec_lo, exec_lo, s0
                                        ; implicit-def: $vgpr60
	s_and_saveexec_b32 s0, s11
	s_cbranch_execnz .LBB785_48
.LBB785_61:
	s_or_b32 exec_lo, exec_lo, s0
                                        ; implicit-def: $vgpr61
	s_and_saveexec_b32 s0, s12
	s_cbranch_execz .LBB785_49
.LBB785_62:
	v_lshlrev_b32_e32 v30, 2, v47
	s_delay_alu instid0(VALU_DEP_1)
	v_add_co_u32 v39, vcc_lo, v33, v30
	v_add_co_ci_u32_e32 v40, vcc_lo, 0, v34, vcc_lo
	flat_load_b32 v61, v[39:40]
	s_or_b32 exec_lo, exec_lo, s0
                                        ; implicit-def: $vgpr62
	s_and_saveexec_b32 s0, s13
	s_cbranch_execnz .LBB785_50
.LBB785_63:
	s_or_b32 exec_lo, exec_lo, s0
                                        ; implicit-def: $vgpr63
	s_and_saveexec_b32 s0, s14
	s_cbranch_execz .LBB785_65
.LBB785_64:
	v_lshlrev_b32_e32 v30, 2, v49
	s_delay_alu instid0(VALU_DEP_1)
	v_add_co_u32 v39, vcc_lo, v33, v30
	v_add_co_ci_u32_e32 v40, vcc_lo, 0, v34, vcc_lo
	flat_load_b32 v63, v[39:40]
.LBB785_65:
	s_or_b32 exec_lo, exec_lo, s0
	v_mul_u32_u24_e32 v30, 15, v0
                                        ; implicit-def: $vgpr64
	s_and_saveexec_b32 s0, s15
	s_cbranch_execz .LBB785_67
; %bb.66:
	v_lshlrev_b32_e32 v39, 2, v50
	s_delay_alu instid0(VALU_DEP_1)
	v_add_co_u32 v33, vcc_lo, v33, v39
	v_add_co_ci_u32_e32 v34, vcc_lo, 0, v34, vcc_lo
	flat_load_b32 v64, v[33:34]
.LBB785_67:
	s_or_b32 exec_lo, exec_lo, s0
	s_delay_alu instid0(VALU_DEP_1)
	v_add_nc_u32_e32 v40, 1, v30
	v_add_nc_u32_e32 v39, 2, v30
	;; [unrolled: 1-line block ×10, first 2 shown]
	v_mad_i32_i24 v33, 0xffffff8c, v0, v35
	v_add_nc_u32_e32 v54, 11, v30
	v_add_nc_u32_e32 v53, 12, v30
	;; [unrolled: 1-line block ×4, first 2 shown]
	s_waitcnt vmcnt(0) lgkmcnt(0)
	ds_store_2addr_stride64_b32 v33, v29, v36 offset1:4
	ds_store_2addr_stride64_b32 v33, v43, v51 offset0:8 offset1:12
	ds_store_2addr_stride64_b32 v33, v52, v55 offset0:16 offset1:20
	;; [unrolled: 1-line block ×6, first 2 shown]
	ds_store_b32 v33, v64 offset:14336
	s_waitcnt lgkmcnt(0)
	s_barrier
.LBB785_68:
	v_lshlrev_b32_e32 v29, 2, v30
	v_lshlrev_b32_e32 v30, 2, v40
	;; [unrolled: 1-line block ×5, first 2 shown]
	buffer_gl0_inv
	v_lshlrev_b32_e32 v39, 2, v46
	v_lshlrev_b32_e32 v40, 2, v44
	;; [unrolled: 1-line block ×3, first 2 shown]
	ds_load_b32 v92, v29
	ds_load_b32 v91, v30
	;; [unrolled: 1-line block ×8, first 2 shown]
	v_lshlrev_b32_e32 v29, 2, v45
	v_lshlrev_b32_e32 v30, 2, v49
	;; [unrolled: 1-line block ×7, first 2 shown]
	ds_load_b32 v88, v29
	ds_load_b32 v85, v30
	;; [unrolled: 1-line block ×7, first 2 shown]
	s_cmp_eq_u64 s[18:19], 0
	s_waitcnt lgkmcnt(0)
	s_cselect_b32 s41, -1, 0
	s_cmp_lg_u64 s[18:19], 0
	s_barrier
	s_cselect_b32 s15, -1, 0
	s_and_b32 vcc_lo, exec_lo, s17
	buffer_gl0_inv
	s_cbranch_vccz .LBB785_74
; %bb.69:
	s_and_b32 vcc_lo, exec_lo, s15
	s_cbranch_vccz .LBB785_139
; %bb.70:
	v_add_co_u32 v29, vcc_lo, -8, v32
	v_add_co_ci_u32_e32 v30, vcc_lo, -1, v31, vcc_lo
	v_cmp_ne_u64_e64 s0, v[3:4], v[37:38]
	v_cmp_ne_u64_e64 s1, v[1:2], v[3:4]
	;; [unrolled: 1-line block ×3, first 2 shown]
	flat_load_b64 v[29:30], v[29:30]
	v_cmp_ne_u64_e64 s5, v[5:6], v[7:8]
	v_cmp_ne_u64_e64 s6, v[11:12], v[5:6]
	;; [unrolled: 1-line block ×10, first 2 shown]
	v_cmp_ne_u64_e32 vcc_lo, v[25:26], v[27:28]
	v_lshlrev_b32_e32 v33, 3, v0
	s_mov_b32 s42, -1
	ds_store_b64 v33, v[37:38]
	s_waitcnt vmcnt(0) lgkmcnt(0)
	s_barrier
	buffer_gl0_inv
	s_and_saveexec_b32 s16, s3
	s_cbranch_execz .LBB785_72
; %bb.71:
	v_add_nc_u32_e32 v29, -8, v33
	ds_load_b64 v[29:30], v29
.LBB785_72:
	s_or_b32 exec_lo, exec_lo, s16
	v_cndmask_b32_e64 v73, 0, 1, s0
	v_cndmask_b32_e64 v67, 0, 1, s1
	;; [unrolled: 1-line block ×13, first 2 shown]
	s_waitcnt lgkmcnt(0)
	v_cmp_ne_u64_e64 s0, v[29:30], v[25:26]
	v_cndmask_b32_e64 v80, 0, 1, vcc_lo
.LBB785_73:
                                        ; implicit-def: $sgpr1
	s_branch .LBB785_75
.LBB785_74:
	s_mov_b32 s42, 0
                                        ; implicit-def: $sgpr0
                                        ; implicit-def: $vgpr73
                                        ; implicit-def: $vgpr67
                                        ; implicit-def: $vgpr68
                                        ; implicit-def: $vgpr69
                                        ; implicit-def: $vgpr70
                                        ; implicit-def: $vgpr71
                                        ; implicit-def: $vgpr72
                                        ; implicit-def: $vgpr74
                                        ; implicit-def: $vgpr75
                                        ; implicit-def: $vgpr76
                                        ; implicit-def: $vgpr77
                                        ; implicit-def: $vgpr78
                                        ; implicit-def: $vgpr79
                                        ; implicit-def: $vgpr80
                                        ; implicit-def: $sgpr1
	s_cbranch_execnz .LBB785_143
.LBB785_75:
	v_mov_b32_e32 v93, s1
	s_and_saveexec_b32 s1, s42
.LBB785_76:
	s_delay_alu instid0(VALU_DEP_3)
	v_cndmask_b32_e64 v93, 0, 1, s0
.LBB785_77:
	s_or_b32 exec_lo, exec_lo, s1
	s_delay_alu instid0(VALU_DEP_1)
	v_add3_u32 v29, v80, v93, v79
	v_cmp_eq_u32_e64 s13, 0, v80
	v_cmp_eq_u32_e64 s12, 0, v79
	;; [unrolled: 1-line block ×4, first 2 shown]
	v_add3_u32 v99, v29, v78, v77
	v_cmp_eq_u32_e64 s9, 0, v76
	v_cmp_eq_u32_e64 s8, 0, v75
	;; [unrolled: 1-line block ×9, first 2 shown]
	v_cmp_eq_u32_e32 vcc_lo, 0, v73
	v_mbcnt_lo_u32_b32 v96, -1, 0
	v_lshrrev_b32_e32 v97, 5, v0
	v_or_b32_e32 v98, 31, v0
	s_cmp_eq_u64 s[38:39], 0
	s_cselect_b32 s16, -1, 0
	s_cmp_lg_u32 s48, 0
	s_cbranch_scc0 .LBB785_108
; %bb.78:
	v_cndmask_b32_e64 v29, 0, v92, s13
	v_add3_u32 v30, v99, v76, v75
	v_and_b32_e32 v32, 15, v96
	s_delay_alu instid0(VALU_DEP_3) | instskip(NEXT) | instid1(VALU_DEP_3)
	v_add_nc_u32_e32 v29, v29, v91
	v_add3_u32 v30, v30, v74, v72
	s_delay_alu instid0(VALU_DEP_3) | instskip(NEXT) | instid1(VALU_DEP_3)
	v_cmp_lt_u32_e64 s14, 1, v32
	v_cndmask_b32_e64 v29, 0, v29, s12
	s_delay_alu instid0(VALU_DEP_3) | instskip(NEXT) | instid1(VALU_DEP_2)
	v_add3_u32 v30, v30, v71, v70
	v_add_nc_u32_e32 v29, v29, v90
	s_delay_alu instid0(VALU_DEP_2) | instskip(NEXT) | instid1(VALU_DEP_2)
	v_add3_u32 v30, v30, v69, v68
	v_cndmask_b32_e64 v29, 0, v29, s11
	s_delay_alu instid0(VALU_DEP_2) | instskip(NEXT) | instid1(VALU_DEP_2)
	v_add3_u32 v30, v30, v67, v73
	v_add_nc_u32_e32 v29, v29, v89
	s_delay_alu instid0(VALU_DEP_2) | instskip(NEXT) | instid1(VALU_DEP_2)
	v_mov_b32_dpp v33, v30 row_shr:1 row_mask:0xf bank_mask:0xf
	v_cndmask_b32_e64 v29, 0, v29, s10
	s_delay_alu instid0(VALU_DEP_1) | instskip(NEXT) | instid1(VALU_DEP_1)
	v_add_nc_u32_e32 v29, v29, v87
	v_cndmask_b32_e64 v29, 0, v29, s9
	s_delay_alu instid0(VALU_DEP_1) | instskip(NEXT) | instid1(VALU_DEP_1)
	v_add_nc_u32_e32 v29, v29, v86
	;; [unrolled: 3-line block ×10, first 2 shown]
	v_cndmask_b32_e32 v29, 0, v29, vcc_lo
	v_cmp_eq_u32_e32 vcc_lo, 0, v30
	s_delay_alu instid0(VALU_DEP_2) | instskip(NEXT) | instid1(VALU_DEP_1)
	v_add_nc_u32_e32 v29, v29, v94
	v_mov_b32_dpp v31, v29 row_shr:1 row_mask:0xf bank_mask:0xf
	s_delay_alu instid0(VALU_DEP_1) | instskip(SKIP_2) | instid1(VALU_DEP_1)
	v_cndmask_b32_e32 v31, 0, v31, vcc_lo
	v_cmp_eq_u32_e32 vcc_lo, 0, v32
	v_cndmask_b32_e64 v33, v33, 0, vcc_lo
	v_add_nc_u32_e32 v30, v33, v30
	s_delay_alu instid0(VALU_DEP_4) | instskip(NEXT) | instid1(VALU_DEP_2)
	v_cndmask_b32_e64 v31, v31, 0, vcc_lo
	v_cmp_eq_u32_e32 vcc_lo, 0, v30
	s_delay_alu instid0(VALU_DEP_2) | instskip(SKIP_2) | instid1(VALU_DEP_2)
	v_add_nc_u32_e32 v29, v31, v29
	v_mov_b32_dpp v31, v30 row_shr:2 row_mask:0xf bank_mask:0xf
	s_and_b32 vcc_lo, s14, vcc_lo
	v_mov_b32_dpp v33, v29 row_shr:2 row_mask:0xf bank_mask:0xf
	s_delay_alu instid0(VALU_DEP_2) | instskip(SKIP_1) | instid1(VALU_DEP_2)
	v_cndmask_b32_e64 v31, 0, v31, s14
	v_cmp_lt_u32_e64 s14, 3, v32
	v_dual_cndmask_b32 v33, 0, v33 :: v_dual_add_nc_u32 v30, v30, v31
	s_delay_alu instid0(VALU_DEP_1) | instskip(NEXT) | instid1(VALU_DEP_2)
	v_add_nc_u32_e32 v29, v33, v29
	v_mov_b32_dpp v31, v30 row_shr:4 row_mask:0xf bank_mask:0xf
	v_cmp_eq_u32_e32 vcc_lo, 0, v30
	s_delay_alu instid0(VALU_DEP_3) | instskip(NEXT) | instid1(VALU_DEP_3)
	v_mov_b32_dpp v33, v29 row_shr:4 row_mask:0xf bank_mask:0xf
	v_cndmask_b32_e64 v31, 0, v31, s14
	s_and_b32 vcc_lo, s14, vcc_lo
	v_cmp_lt_u32_e64 s14, 7, v32
	s_delay_alu instid0(VALU_DEP_2) | instskip(NEXT) | instid1(VALU_DEP_1)
	v_dual_cndmask_b32 v33, 0, v33 :: v_dual_add_nc_u32 v30, v31, v30
	v_add_nc_u32_e32 v29, v29, v33
	s_delay_alu instid0(VALU_DEP_2) | instskip(SKIP_2) | instid1(VALU_DEP_4)
	v_cmp_eq_u32_e32 vcc_lo, 0, v30
	v_mov_b32_dpp v31, v30 row_shr:8 row_mask:0xf bank_mask:0xf
	v_bfe_i32 v33, v96, 4, 1
	v_mov_b32_dpp v32, v29 row_shr:8 row_mask:0xf bank_mask:0xf
	s_and_b32 vcc_lo, s14, vcc_lo
	s_delay_alu instid0(VALU_DEP_3) | instskip(SKIP_1) | instid1(VALU_DEP_2)
	v_cndmask_b32_e64 v31, 0, v31, s14
	s_mov_b32 s14, exec_lo
	v_cndmask_b32_e32 v32, 0, v32, vcc_lo
	s_delay_alu instid0(VALU_DEP_1) | instskip(NEXT) | instid1(VALU_DEP_3)
	v_add_nc_u32_e32 v32, v32, v29
	v_add_nc_u32_e32 v29, v31, v30
	ds_swizzle_b32 v30, v32 offset:swizzle(BROADCAST,32,15)
	ds_swizzle_b32 v31, v29 offset:swizzle(BROADCAST,32,15)
	v_cmp_eq_u32_e32 vcc_lo, 0, v29
	s_waitcnt lgkmcnt(0)
	v_dual_cndmask_b32 v30, 0, v30 :: v_dual_and_b32 v31, v33, v31
	s_delay_alu instid0(VALU_DEP_1) | instskip(NEXT) | instid1(VALU_DEP_2)
	v_and_b32_e32 v30, v33, v30
	v_add_nc_u32_e32 v29, v31, v29
	v_lshlrev_b32_e32 v31, 3, v97
	s_delay_alu instid0(VALU_DEP_3)
	v_add_nc_u32_e32 v30, v30, v32
	v_cmpx_eq_u32_e64 v98, v0
	s_cbranch_execz .LBB785_80
; %bb.79:
	ds_store_b64 v31, v[29:30] offset:4112
.LBB785_80:
	s_or_b32 exec_lo, exec_lo, s14
	s_delay_alu instid0(SALU_CYCLE_1)
	s_mov_b32 s15, exec_lo
	s_waitcnt lgkmcnt(0)
	s_barrier
	buffer_gl0_inv
	v_cmpx_gt_u32_e32 8, v0
	s_cbranch_execz .LBB785_82
; %bb.81:
	v_lshlrev_b32_e32 v34, 3, v0
	v_and_b32_e32 v36, 7, v96
	ds_load_b64 v[32:33], v34 offset:4112
	v_cmp_lt_u32_e64 s14, 1, v36
	s_waitcnt lgkmcnt(0)
	v_mov_b32_dpp v35, v33 row_shr:1 row_mask:0xf bank_mask:0xf
	v_cmp_eq_u32_e32 vcc_lo, 0, v32
	v_mov_b32_dpp v39, v32 row_shr:1 row_mask:0xf bank_mask:0xf
	s_delay_alu instid0(VALU_DEP_3) | instskip(SKIP_1) | instid1(VALU_DEP_3)
	v_cndmask_b32_e32 v35, 0, v35, vcc_lo
	v_cmp_eq_u32_e32 vcc_lo, 0, v36
	v_cndmask_b32_e64 v39, v39, 0, vcc_lo
	s_delay_alu instid0(VALU_DEP_3) | instskip(NEXT) | instid1(VALU_DEP_2)
	v_cndmask_b32_e64 v35, v35, 0, vcc_lo
	v_add_nc_u32_e32 v32, v39, v32
	s_delay_alu instid0(VALU_DEP_2) | instskip(NEXT) | instid1(VALU_DEP_2)
	v_add_nc_u32_e32 v33, v35, v33
	v_mov_b32_dpp v35, v32 row_shr:2 row_mask:0xf bank_mask:0xf
	v_cmp_eq_u32_e32 vcc_lo, 0, v32
	s_delay_alu instid0(VALU_DEP_3) | instskip(NEXT) | instid1(VALU_DEP_3)
	v_mov_b32_dpp v39, v33 row_shr:2 row_mask:0xf bank_mask:0xf
	v_cndmask_b32_e64 v35, 0, v35, s14
	s_and_b32 vcc_lo, s14, vcc_lo
	s_delay_alu instid0(VALU_DEP_2) | instskip(SKIP_1) | instid1(VALU_DEP_3)
	v_cndmask_b32_e32 v39, 0, v39, vcc_lo
	v_cmp_lt_u32_e64 s14, 3, v36
	v_add_nc_u32_e32 v32, v35, v32
	s_delay_alu instid0(VALU_DEP_3) | instskip(NEXT) | instid1(VALU_DEP_2)
	v_add_nc_u32_e32 v33, v39, v33
	v_cmp_eq_u32_e32 vcc_lo, 0, v32
	v_mov_b32_dpp v35, v32 row_shr:4 row_mask:0xf bank_mask:0xf
	s_delay_alu instid0(VALU_DEP_3) | instskip(SKIP_1) | instid1(VALU_DEP_2)
	v_mov_b32_dpp v36, v33 row_shr:4 row_mask:0xf bank_mask:0xf
	s_and_b32 vcc_lo, s14, vcc_lo
	v_cndmask_b32_e64 v35, 0, v35, s14
	s_delay_alu instid0(VALU_DEP_2) | instskip(NEXT) | instid1(VALU_DEP_2)
	v_cndmask_b32_e32 v36, 0, v36, vcc_lo
	v_add_nc_u32_e32 v32, v35, v32
	s_delay_alu instid0(VALU_DEP_2)
	v_add_nc_u32_e32 v33, v36, v33
	ds_store_b64 v34, v[32:33] offset:4112
.LBB785_82:
	s_or_b32 exec_lo, exec_lo, s15
	v_cmp_gt_u32_e32 vcc_lo, 32, v0
	v_dual_mov_b32 v39, 0 :: v_dual_mov_b32 v40, 0
	s_mov_b32 s15, exec_lo
	s_waitcnt lgkmcnt(0)
	s_barrier
	buffer_gl0_inv
	v_cmpx_lt_u32_e32 31, v0
	s_cbranch_execz .LBB785_84
; %bb.83:
	ds_load_b64 v[39:40], v31 offset:4104
	v_cmp_eq_u32_e64 s14, 0, v29
	s_waitcnt lgkmcnt(0)
	s_delay_alu instid0(VALU_DEP_1) | instskip(SKIP_1) | instid1(VALU_DEP_2)
	v_cndmask_b32_e64 v31, 0, v40, s14
	v_add_nc_u32_e32 v29, v39, v29
	v_add_nc_u32_e32 v30, v31, v30
.LBB785_84:
	s_or_b32 exec_lo, exec_lo, s15
	v_add_nc_u32_e32 v31, -1, v96
	s_delay_alu instid0(VALU_DEP_1) | instskip(NEXT) | instid1(VALU_DEP_1)
	v_cmp_gt_i32_e64 s14, 0, v31
	v_cndmask_b32_e64 v31, v31, v96, s14
	v_cmp_eq_u32_e64 s14, 0, v96
	s_delay_alu instid0(VALU_DEP_2)
	v_lshlrev_b32_e32 v31, 2, v31
	ds_bpermute_b32 v45, v31, v29
	ds_bpermute_b32 v46, v31, v30
	s_and_saveexec_b32 s17, vcc_lo
	s_cbranch_execz .LBB785_107
; %bb.85:
	v_mov_b32_e32 v32, 0
	ds_load_b64 v[29:30], v32 offset:4168
	s_waitcnt lgkmcnt(0)
	v_readfirstlane_b32 s18, v30
	s_and_saveexec_b32 s15, s14
	s_cbranch_execz .LBB785_87
; %bb.86:
	s_add_i32 s20, s48, 32
	s_mov_b32 s21, 0
	v_mov_b32_e32 v31, 1
	s_lshl_b64 s[22:23], s[20:21], 4
	s_mov_b32 s24, s21
	s_add_u32 s22, s36, s22
	s_addc_u32 s23, s37, s23
	s_and_b32 s25, s18, 0xff000000
	s_and_b32 s39, s18, 0xff0000
	s_mov_b32 s38, s21
	v_dual_mov_b32 v34, s23 :: v_dual_mov_b32 v33, s22
	s_or_b64 s[24:25], s[38:39], s[24:25]
	s_and_b32 s39, s18, 0xff00
	s_delay_alu instid0(SALU_CYCLE_1) | instskip(SKIP_1) | instid1(SALU_CYCLE_1)
	s_or_b64 s[24:25], s[24:25], s[38:39]
	s_and_b32 s39, s18, 0xff
	s_or_b64 s[20:21], s[24:25], s[38:39]
	s_delay_alu instid0(SALU_CYCLE_1)
	v_mov_b32_e32 v30, s21
	;;#ASMSTART
	global_store_dwordx4 v[33:34], v[29:32] off	
s_waitcnt vmcnt(0)
	;;#ASMEND
.LBB785_87:
	s_or_b32 exec_lo, exec_lo, s15
	v_xad_u32 v41, v96, -1, s48
	s_mov_b32 s19, 0
	s_mov_b32 s15, exec_lo
	s_delay_alu instid0(VALU_DEP_1) | instskip(NEXT) | instid1(VALU_DEP_1)
	v_add_nc_u32_e32 v31, 32, v41
	v_lshlrev_b64 v[30:31], 4, v[31:32]
	s_delay_alu instid0(VALU_DEP_1) | instskip(NEXT) | instid1(VALU_DEP_2)
	v_add_co_u32 v30, vcc_lo, s36, v30
	v_add_co_ci_u32_e32 v31, vcc_lo, s37, v31, vcc_lo
	;;#ASMSTART
	global_load_dwordx4 v[33:36], v[30:31] off glc	
s_waitcnt vmcnt(0)
	;;#ASMEND
	v_and_b32_e32 v32, 0xff, v34
	v_and_b32_e32 v36, 0xff00, v34
	;; [unrolled: 1-line block ×3, first 2 shown]
	v_or3_b32 v33, v33, 0, 0
	v_and_b32_e32 v34, 0xff000000, v34
	s_delay_alu instid0(VALU_DEP_4) | instskip(SKIP_1) | instid1(VALU_DEP_4)
	v_or3_b32 v32, 0, v32, v36
	v_and_b32_e32 v36, 0xff, v35
	v_or3_b32 v33, v33, 0, 0
	s_delay_alu instid0(VALU_DEP_3) | instskip(NEXT) | instid1(VALU_DEP_3)
	v_or3_b32 v34, v32, v42, v34
	v_cmpx_eq_u16_e32 0, v36
	s_cbranch_execz .LBB785_93
; %bb.88:
	s_mov_b32 s20, 1
	.p2align	6
.LBB785_89:                             ; =>This Loop Header: Depth=1
                                        ;     Child Loop BB785_90 Depth 2
	s_delay_alu instid0(SALU_CYCLE_1)
	s_max_u32 s21, s20, 1
.LBB785_90:                             ;   Parent Loop BB785_89 Depth=1
                                        ; =>  This Inner Loop Header: Depth=2
	s_delay_alu instid0(SALU_CYCLE_1)
	s_add_i32 s21, s21, -1
	s_sleep 1
	s_cmp_eq_u32 s21, 0
	s_cbranch_scc0 .LBB785_90
; %bb.91:                               ;   in Loop: Header=BB785_89 Depth=1
	;;#ASMSTART
	global_load_dwordx4 v[33:36], v[30:31] off glc	
s_waitcnt vmcnt(0)
	;;#ASMEND
	v_and_b32_e32 v32, 0xff, v35
	s_cmp_lt_u32 s20, 32
	s_cselect_b32 s21, -1, 0
	s_delay_alu instid0(VALU_DEP_1) | instskip(SKIP_3) | instid1(SALU_CYCLE_1)
	v_cmp_ne_u16_e32 vcc_lo, 0, v32
	s_cmp_lg_u32 s21, 0
	s_addc_u32 s20, s20, 0
	s_or_b32 s19, vcc_lo, s19
	s_and_not1_b32 exec_lo, exec_lo, s19
	s_cbranch_execnz .LBB785_89
; %bb.92:
	s_or_b32 exec_lo, exec_lo, s19
.LBB785_93:
	s_delay_alu instid0(SALU_CYCLE_1)
	s_or_b32 exec_lo, exec_lo, s15
	v_cmp_ne_u32_e32 vcc_lo, 31, v96
	v_and_b32_e32 v31, 0xff, v35
	v_lshlrev_b32_e64 v47, v96, -1
	v_add_nc_u32_e32 v49, 2, v96
	v_add_nc_u32_e32 v51, 4, v96
	v_add_co_ci_u32_e32 v30, vcc_lo, 0, v96, vcc_lo
	v_cmp_eq_u16_e32 vcc_lo, 2, v31
	v_add_nc_u32_e32 v53, 8, v96
	v_add_nc_u32_e32 v55, 16, v96
	v_and_or_b32 v36, vcc_lo, v47, 0x80000000
	v_cmp_gt_u32_e32 vcc_lo, 30, v96
	s_delay_alu instid0(VALU_DEP_2) | instskip(SKIP_2) | instid1(VALU_DEP_3)
	v_ctz_i32_b32_e32 v36, v36
	v_cndmask_b32_e64 v42, 0, 1, vcc_lo
	v_cmp_eq_u32_e32 vcc_lo, 0, v33
	v_cmp_lt_u32_e64 s15, v96, v36
	s_delay_alu instid0(VALU_DEP_3) | instskip(NEXT) | instid1(VALU_DEP_2)
	v_lshlrev_b32_e32 v42, 1, v42
	s_and_b32 vcc_lo, s15, vcc_lo
	v_lshlrev_b32_e32 v30, 2, v30
	s_delay_alu instid0(VALU_DEP_2)
	v_add_lshl_u32 v48, v42, v96, 2
	ds_bpermute_b32 v31, v30, v34
	s_waitcnt lgkmcnt(0)
	v_cndmask_b32_e32 v31, 0, v31, vcc_lo
	ds_bpermute_b32 v32, v30, v33
	v_cmp_gt_u32_e32 vcc_lo, 28, v96
	v_add_nc_u32_e32 v31, v31, v34
	ds_bpermute_b32 v34, v48, v31
	s_waitcnt lgkmcnt(1)
	v_cndmask_b32_e64 v32, 0, v32, s15
	s_delay_alu instid0(VALU_DEP_1) | instskip(SKIP_1) | instid1(VALU_DEP_2)
	v_add_nc_u32_e32 v32, v32, v33
	v_cndmask_b32_e64 v33, 0, 1, vcc_lo
	v_cmp_eq_u32_e32 vcc_lo, 0, v32
	ds_bpermute_b32 v42, v48, v32
	s_waitcnt lgkmcnt(1)
	v_dual_cndmask_b32 v34, 0, v34 :: v_dual_lshlrev_b32 v33, 2, v33
	v_cmp_gt_u32_e32 vcc_lo, v49, v36
	s_delay_alu instid0(VALU_DEP_2) | instskip(NEXT) | instid1(VALU_DEP_3)
	v_add_lshl_u32 v50, v33, v96, 2
	v_cndmask_b32_e64 v34, v34, 0, vcc_lo
	s_delay_alu instid0(VALU_DEP_1) | instskip(SKIP_4) | instid1(VALU_DEP_2)
	v_add_nc_u32_e32 v31, v34, v31
	ds_bpermute_b32 v33, v50, v31
	s_waitcnt lgkmcnt(1)
	v_cndmask_b32_e64 v34, v42, 0, vcc_lo
	v_cmp_gt_u32_e32 vcc_lo, 24, v96
	v_add_nc_u32_e32 v32, v32, v34
	v_cndmask_b32_e64 v42, 0, 1, vcc_lo
	ds_bpermute_b32 v34, v50, v32
	v_cmp_eq_u32_e32 vcc_lo, 0, v32
	v_lshlrev_b32_e32 v42, 3, v42
	s_delay_alu instid0(VALU_DEP_1) | instskip(SKIP_3) | instid1(VALU_DEP_2)
	v_add_lshl_u32 v52, v42, v96, 2
	s_waitcnt lgkmcnt(1)
	v_cndmask_b32_e32 v33, 0, v33, vcc_lo
	v_cmp_gt_u32_e32 vcc_lo, v51, v36
	v_cndmask_b32_e64 v33, v33, 0, vcc_lo
	s_delay_alu instid0(VALU_DEP_1)
	v_add_nc_u32_e32 v31, v31, v33
	s_waitcnt lgkmcnt(0)
	v_cndmask_b32_e64 v34, v34, 0, vcc_lo
	v_cmp_gt_u32_e32 vcc_lo, 16, v96
	ds_bpermute_b32 v33, v52, v31
	v_add_nc_u32_e32 v32, v32, v34
	v_cndmask_b32_e64 v42, 0, 1, vcc_lo
	ds_bpermute_b32 v34, v52, v32
	v_cmp_eq_u32_e32 vcc_lo, 0, v32
	v_lshlrev_b32_e32 v42, 4, v42
	s_delay_alu instid0(VALU_DEP_1) | instskip(SKIP_3) | instid1(VALU_DEP_2)
	v_add_lshl_u32 v54, v42, v96, 2
	s_waitcnt lgkmcnt(1)
	v_dual_mov_b32 v42, 0 :: v_dual_cndmask_b32 v33, 0, v33
	v_cmp_gt_u32_e32 vcc_lo, v53, v36
	v_cndmask_b32_e64 v33, v33, 0, vcc_lo
	s_delay_alu instid0(VALU_DEP_1)
	v_add_nc_u32_e32 v31, v31, v33
	s_waitcnt lgkmcnt(0)
	v_cndmask_b32_e64 v33, v34, 0, vcc_lo
	ds_bpermute_b32 v34, v54, v31
	v_add_nc_u32_e32 v32, v32, v33
	ds_bpermute_b32 v33, v54, v32
	v_cmp_eq_u32_e32 vcc_lo, 0, v32
	s_waitcnt lgkmcnt(1)
	v_cndmask_b32_e32 v34, 0, v34, vcc_lo
	v_cmp_gt_u32_e32 vcc_lo, v55, v36
	s_delay_alu instid0(VALU_DEP_2) | instskip(SKIP_2) | instid1(VALU_DEP_2)
	v_cndmask_b32_e64 v34, v34, 0, vcc_lo
	s_waitcnt lgkmcnt(0)
	v_cndmask_b32_e64 v33, v33, 0, vcc_lo
	v_add_nc_u32_e32 v34, v34, v31
	s_delay_alu instid0(VALU_DEP_2)
	v_add_nc_u32_e32 v33, v33, v32
	s_branch .LBB785_95
.LBB785_94:                             ;   in Loop: Header=BB785_95 Depth=1
	s_or_b32 exec_lo, exec_lo, s15
	v_and_b32_e32 v36, 0xff, v35
	ds_bpermute_b32 v43, v30, v33
	v_subrev_nc_u32_e32 v41, 32, v41
	v_cmp_eq_u16_e32 vcc_lo, 2, v36
	ds_bpermute_b32 v36, v30, v34
	v_and_or_b32 v44, vcc_lo, v47, 0x80000000
	v_cmp_eq_u32_e32 vcc_lo, 0, v33
	s_delay_alu instid0(VALU_DEP_2) | instskip(NEXT) | instid1(VALU_DEP_1)
	v_ctz_i32_b32_e32 v44, v44
	v_cmp_lt_u32_e64 s15, v96, v44
	s_delay_alu instid0(VALU_DEP_1) | instskip(SKIP_4) | instid1(VALU_DEP_2)
	s_and_b32 vcc_lo, s15, vcc_lo
	s_waitcnt lgkmcnt(1)
	v_cndmask_b32_e64 v43, 0, v43, s15
	s_waitcnt lgkmcnt(0)
	v_cndmask_b32_e32 v36, 0, v36, vcc_lo
	v_add_nc_u32_e32 v33, v43, v33
	s_delay_alu instid0(VALU_DEP_2)
	v_add_nc_u32_e32 v34, v36, v34
	ds_bpermute_b32 v43, v48, v33
	ds_bpermute_b32 v36, v48, v34
	v_cmp_eq_u32_e32 vcc_lo, 0, v33
	s_waitcnt lgkmcnt(0)
	v_cndmask_b32_e32 v36, 0, v36, vcc_lo
	v_cmp_gt_u32_e32 vcc_lo, v49, v44
	v_cndmask_b32_e64 v43, v43, 0, vcc_lo
	s_delay_alu instid0(VALU_DEP_1) | instskip(NEXT) | instid1(VALU_DEP_4)
	v_add_nc_u32_e32 v33, v33, v43
	v_cndmask_b32_e64 v36, v36, 0, vcc_lo
	ds_bpermute_b32 v43, v50, v33
	v_add_nc_u32_e32 v34, v36, v34
	v_cmp_eq_u32_e32 vcc_lo, 0, v33
	ds_bpermute_b32 v36, v50, v34
	s_waitcnt lgkmcnt(0)
	v_cndmask_b32_e32 v36, 0, v36, vcc_lo
	v_cmp_gt_u32_e32 vcc_lo, v51, v44
	v_cndmask_b32_e64 v43, v43, 0, vcc_lo
	s_delay_alu instid0(VALU_DEP_1) | instskip(NEXT) | instid1(VALU_DEP_4)
	v_add_nc_u32_e32 v33, v33, v43
	v_cndmask_b32_e64 v36, v36, 0, vcc_lo
	ds_bpermute_b32 v43, v52, v33
	v_add_nc_u32_e32 v34, v34, v36
	v_cmp_eq_u32_e32 vcc_lo, 0, v33
	ds_bpermute_b32 v36, v52, v34
	;; [unrolled: 11-line block ×3, first 2 shown]
	s_waitcnt lgkmcnt(0)
	v_cndmask_b32_e32 v36, 0, v36, vcc_lo
	v_cmp_gt_u32_e32 vcc_lo, v55, v44
	s_delay_alu instid0(VALU_DEP_2) | instskip(NEXT) | instid1(VALU_DEP_1)
	v_cndmask_b32_e64 v36, v36, 0, vcc_lo
	v_add_nc_u32_e32 v34, v36, v34
	v_cndmask_b32_e64 v36, v43, 0, vcc_lo
	v_cmp_eq_u32_e32 vcc_lo, 0, v31
	s_delay_alu instid0(VALU_DEP_2) | instskip(NEXT) | instid1(VALU_DEP_4)
	v_add3_u32 v33, v33, v31, v36
	v_cndmask_b32_e32 v34, 0, v34, vcc_lo
	s_delay_alu instid0(VALU_DEP_1)
	v_add_nc_u32_e32 v34, v34, v32
.LBB785_95:                             ; =>This Loop Header: Depth=1
                                        ;     Child Loop BB785_98 Depth 2
                                        ;       Child Loop BB785_99 Depth 3
	s_delay_alu instid0(VALU_DEP_1) | instskip(NEXT) | instid1(VALU_DEP_1)
	v_dual_mov_b32 v32, v34 :: v_dual_and_b32 v31, 0xff, v35
	v_cmp_ne_u16_e32 vcc_lo, 2, v31
	v_cndmask_b32_e64 v31, 0, 1, vcc_lo
	;;#ASMSTART
	;;#ASMEND
	s_delay_alu instid0(VALU_DEP_1)
	v_cmp_ne_u32_e32 vcc_lo, 0, v31
	v_mov_b32_e32 v31, v33
	s_cmp_lg_u32 vcc_lo, exec_lo
	s_cbranch_scc1 .LBB785_102
; %bb.96:                               ;   in Loop: Header=BB785_95 Depth=1
	v_lshlrev_b64 v[33:34], 4, v[41:42]
	s_mov_b32 s15, exec_lo
	s_delay_alu instid0(VALU_DEP_1) | instskip(NEXT) | instid1(VALU_DEP_2)
	v_add_co_u32 v43, vcc_lo, s36, v33
	v_add_co_ci_u32_e32 v44, vcc_lo, s37, v34, vcc_lo
	;;#ASMSTART
	global_load_dwordx4 v[33:36], v[43:44] off glc	
s_waitcnt vmcnt(0)
	;;#ASMEND
	v_and_b32_e32 v36, 0xff, v34
	v_and_b32_e32 v56, 0xff00, v34
	;; [unrolled: 1-line block ×3, first 2 shown]
	v_or3_b32 v33, v33, 0, 0
	v_and_b32_e32 v34, 0xff000000, v34
	s_delay_alu instid0(VALU_DEP_4) | instskip(SKIP_1) | instid1(VALU_DEP_4)
	v_or3_b32 v36, 0, v36, v56
	v_and_b32_e32 v56, 0xff, v35
	v_or3_b32 v33, v33, 0, 0
	s_delay_alu instid0(VALU_DEP_3) | instskip(NEXT) | instid1(VALU_DEP_3)
	v_or3_b32 v34, v36, v57, v34
	v_cmpx_eq_u16_e32 0, v56
	s_cbranch_execz .LBB785_94
; %bb.97:                               ;   in Loop: Header=BB785_95 Depth=1
	s_mov_b32 s20, 1
	s_mov_b32 s19, 0
	.p2align	6
.LBB785_98:                             ;   Parent Loop BB785_95 Depth=1
                                        ; =>  This Loop Header: Depth=2
                                        ;       Child Loop BB785_99 Depth 3
	s_max_u32 s21, s20, 1
.LBB785_99:                             ;   Parent Loop BB785_95 Depth=1
                                        ;     Parent Loop BB785_98 Depth=2
                                        ; =>    This Inner Loop Header: Depth=3
	s_delay_alu instid0(SALU_CYCLE_1)
	s_add_i32 s21, s21, -1
	s_sleep 1
	s_cmp_eq_u32 s21, 0
	s_cbranch_scc0 .LBB785_99
; %bb.100:                              ;   in Loop: Header=BB785_98 Depth=2
	;;#ASMSTART
	global_load_dwordx4 v[33:36], v[43:44] off glc	
s_waitcnt vmcnt(0)
	;;#ASMEND
	v_and_b32_e32 v36, 0xff, v35
	s_cmp_lt_u32 s20, 32
	s_cselect_b32 s21, -1, 0
	s_delay_alu instid0(SALU_CYCLE_1) | instskip(NEXT) | instid1(VALU_DEP_1)
	s_cmp_lg_u32 s21, 0
	v_cmp_ne_u16_e32 vcc_lo, 0, v36
	s_addc_u32 s20, s20, 0
	s_or_b32 s19, vcc_lo, s19
	s_delay_alu instid0(SALU_CYCLE_1)
	s_and_not1_b32 exec_lo, exec_lo, s19
	s_cbranch_execnz .LBB785_98
; %bb.101:                              ;   in Loop: Header=BB785_95 Depth=1
	s_or_b32 exec_lo, exec_lo, s19
	s_branch .LBB785_94
.LBB785_102:                            ;   in Loop: Header=BB785_95 Depth=1
                                        ; implicit-def: $vgpr34
                                        ; implicit-def: $vgpr33
                                        ; implicit-def: $vgpr35
	s_cbranch_execz .LBB785_95
; %bb.103:
	s_and_saveexec_b32 s15, s14
	s_cbranch_execz .LBB785_105
; %bb.104:
	v_cmp_eq_u32_e32 vcc_lo, 0, v29
	s_mov_b32 s21, 0
	s_add_i32 s20, s48, 32
	v_add_nc_u32_e32 v33, v31, v29
	s_lshl_b64 s[20:21], s[20:21], 4
	v_cndmask_b32_e32 v30, 0, v32, vcc_lo
	s_add_u32 s20, s36, s20
	s_addc_u32 s21, s37, s21
	v_mov_b32_e32 v36, 0
	s_delay_alu instid0(VALU_DEP_2) | instskip(NEXT) | instid1(VALU_DEP_1)
	v_add_nc_u32_e32 v30, s18, v30
	v_and_b32_e32 v34, 0xff000000, v30
	v_and_b32_e32 v35, 0xff0000, v30
	s_delay_alu instid0(VALU_DEP_1) | instskip(SKIP_3) | instid1(VALU_DEP_1)
	v_or_b32_e32 v34, v35, v34
	v_mov_b32_e32 v35, 2
	v_and_b32_e32 v41, 0xff00, v30
	v_and_b32_e32 v30, 0xff, v30
	v_or3_b32 v34, v34, v41, v30
	v_mov_b32_e32 v30, s18
	v_dual_mov_b32 v42, s21 :: v_dual_mov_b32 v41, s20
	;;#ASMSTART
	global_store_dwordx4 v[41:42], v[33:36] off	
s_waitcnt vmcnt(0)
	;;#ASMEND
	ds_store_b128 v36, v[29:32] offset:4096
.LBB785_105:
	s_or_b32 exec_lo, exec_lo, s15
	s_delay_alu instid0(SALU_CYCLE_1)
	s_and_b32 exec_lo, exec_lo, s2
	s_cbranch_execz .LBB785_107
; %bb.106:
	v_mov_b32_e32 v29, 0
	ds_store_b64 v29, v[31:32] offset:4168
.LBB785_107:
	s_or_b32 exec_lo, exec_lo, s17
	s_waitcnt lgkmcnt(1)
	v_cndmask_b32_e64 v32, v45, v39, s14
	s_waitcnt lgkmcnt(0)
	s_barrier
	buffer_gl0_inv
	v_cndmask_b32_e64 v33, v46, v40, s14
	v_cmp_eq_u32_e32 vcc_lo, 0, v32
	v_mov_b32_e32 v31, 0
	ds_load_b64 v[29:30], v31 offset:4168
	s_waitcnt lgkmcnt(0)
	s_barrier
	buffer_gl0_inv
	v_cndmask_b32_e32 v34, 0, v30, vcc_lo
	v_cmp_eq_u32_e32 vcc_lo, 0, v93
	s_delay_alu instid0(VALU_DEP_2) | instskip(NEXT) | instid1(VALU_DEP_1)
	v_add_nc_u32_e32 v33, v34, v33
	v_cndmask_b32_e64 v56, v33, v30, s2
	s_delay_alu instid0(VALU_DEP_1) | instskip(NEXT) | instid1(VALU_DEP_1)
	v_cndmask_b32_e32 v30, 0, v56, vcc_lo
	v_add_nc_u32_e32 v62, v30, v92
	s_delay_alu instid0(VALU_DEP_1) | instskip(NEXT) | instid1(VALU_DEP_1)
	v_cndmask_b32_e64 v30, 0, v62, s13
	v_add_nc_u32_e32 v58, v30, v91
	s_delay_alu instid0(VALU_DEP_1) | instskip(NEXT) | instid1(VALU_DEP_1)
	v_cndmask_b32_e64 v30, 0, v58, s12
	;; [unrolled: 3-line block ×5, first 2 shown]
	v_add_nc_u32_e32 v42, v30, v86
	v_cndmask_b32_e64 v30, v32, 0, s2
	s_delay_alu instid0(VALU_DEP_2) | instskip(NEXT) | instid1(VALU_DEP_2)
	v_cndmask_b32_e64 v32, 0, v42, s8
	v_add_nc_u32_e32 v55, v29, v30
	s_delay_alu instid0(VALU_DEP_2) | instskip(NEXT) | instid1(VALU_DEP_1)
	v_add_nc_u32_e32 v46, v32, v84
	v_cndmask_b32_e64 v29, 0, v46, s7
	s_delay_alu instid0(VALU_DEP_1) | instskip(NEXT) | instid1(VALU_DEP_1)
	v_add_nc_u32_e32 v50, v29, v82
	v_cndmask_b32_e64 v29, 0, v50, s6
	s_delay_alu instid0(VALU_DEP_1) | instskip(NEXT) | instid1(VALU_DEP_1)
	;; [unrolled: 3-line block ×3, first 2 shown]
	v_add_nc_u32_e32 v36, v29, v85
	v_cndmask_b32_e64 v29, 0, v36, s4
	s_delay_alu instid0(VALU_DEP_1) | instskip(SKIP_2) | instid1(VALU_DEP_1)
	v_add_nc_u32_e32 v40, v29, v83
	ds_load_b128 v[29:32], v31 offset:4096
	v_cndmask_b32_e64 v39, 0, v40, s3
	v_add_nc_u32_e32 v64, v39, v81
	s_delay_alu instid0(VALU_DEP_1) | instskip(NEXT) | instid1(VALU_DEP_1)
	v_cndmask_b32_e64 v51, 0, v64, s1
	v_add_nc_u32_e32 v60, v51, v66
	s_waitcnt lgkmcnt(0)
	v_cmp_eq_u32_e32 vcc_lo, 0, v29
	s_delay_alu instid0(VALU_DEP_2) | instskip(SKIP_1) | instid1(VALU_DEP_2)
	v_cndmask_b32_e64 v52, 0, v60, s0
	v_dual_cndmask_b32 v32, 0, v32 :: v_dual_add_nc_u32 v61, v55, v93
	v_add_nc_u32_e32 v52, v52, v65
	s_delay_alu instid0(VALU_DEP_2) | instskip(NEXT) | instid1(VALU_DEP_3)
	v_add_nc_u32_e32 v95, v32, v30
	v_add_nc_u32_e32 v57, v61, v80
	s_delay_alu instid0(VALU_DEP_1) | instskip(NEXT) | instid1(VALU_DEP_1)
	v_add_nc_u32_e32 v53, v57, v79
	v_add_nc_u32_e32 v47, v53, v78
	s_delay_alu instid0(VALU_DEP_1) | instskip(NEXT) | instid1(VALU_DEP_1)
	;; [unrolled: 3-line block ×6, first 2 shown]
	v_add_nc_u32_e32 v59, v63, v68
	v_add_nc_u32_e32 v51, v59, v67
	s_branch .LBB785_120
.LBB785_108:
                                        ; implicit-def: $vgpr29
                                        ; implicit-def: $vgpr95
                                        ; implicit-def: $vgpr55_vgpr56
                                        ; implicit-def: $vgpr61_vgpr62
                                        ; implicit-def: $vgpr57_vgpr58
                                        ; implicit-def: $vgpr53_vgpr54
                                        ; implicit-def: $vgpr47_vgpr48
                                        ; implicit-def: $vgpr43_vgpr44
                                        ; implicit-def: $vgpr41_vgpr42
                                        ; implicit-def: $vgpr45_vgpr46
                                        ; implicit-def: $vgpr49_vgpr50
                                        ; implicit-def: $vgpr33_vgpr34
                                        ; implicit-def: $vgpr35_vgpr36
                                        ; implicit-def: $vgpr39_vgpr40
                                        ; implicit-def: $vgpr63_vgpr64
                                        ; implicit-def: $vgpr59_vgpr60
                                        ; implicit-def: $vgpr51_vgpr52
	s_cbranch_execz .LBB785_120
; %bb.109:
	s_and_b32 s0, s16, exec_lo
	v_mov_b32_e32 v51, v92
	s_cselect_b32 s1, 0, s35
	s_cselect_b32 s0, 0, s34
	s_delay_alu instid0(SALU_CYCLE_1)
	s_cmp_eq_u64 s[0:1], 0
	s_cbranch_scc1 .LBB785_111
; %bb.110:
	v_mov_b32_e32 v29, 0
	global_load_b32 v51, v29, s[0:1]
.LBB785_111:
	v_cmp_eq_u32_e64 s7, 0, v80
	v_cmp_eq_u32_e64 s8, 0, v79
	;; [unrolled: 1-line block ×5, first 2 shown]
	v_cndmask_b32_e64 v29, 0, v92, s7
	v_cmp_eq_u32_e64 s12, 0, v75
	v_cmp_eq_u32_e64 s6, 0, v74
	;; [unrolled: 1-line block ×4, first 2 shown]
	v_add_nc_u32_e32 v29, v29, v91
	v_cmp_eq_u32_e64 s3, 0, v70
	v_cmp_eq_u32_e64 s1, 0, v69
	v_cmp_eq_u32_e32 vcc_lo, 0, v68
	v_add3_u32 v30, v99, v76, v75
	v_cndmask_b32_e64 v29, 0, v29, s8
	v_cmp_eq_u32_e64 s0, 0, v67
	v_cmp_eq_u32_e64 s13, 0, v73
	v_and_b32_e32 v32, 15, v96
	v_add3_u32 v30, v30, v74, v72
	v_add_nc_u32_e32 v29, v29, v90
	s_delay_alu instid0(VALU_DEP_3) | instskip(NEXT) | instid1(VALU_DEP_3)
	v_cmp_lt_u32_e64 s14, 1, v32
	v_add3_u32 v30, v30, v71, v70
	s_delay_alu instid0(VALU_DEP_3) | instskip(NEXT) | instid1(VALU_DEP_2)
	v_cndmask_b32_e64 v29, 0, v29, s9
	v_add3_u32 v30, v30, v69, v68
	s_delay_alu instid0(VALU_DEP_2) | instskip(NEXT) | instid1(VALU_DEP_2)
	v_add_nc_u32_e32 v29, v29, v89
	v_add3_u32 v30, v30, v67, v73
	s_delay_alu instid0(VALU_DEP_2) | instskip(NEXT) | instid1(VALU_DEP_2)
	v_cndmask_b32_e64 v29, 0, v29, s10
	v_mov_b32_dpp v33, v30 row_shr:1 row_mask:0xf bank_mask:0xf
	s_delay_alu instid0(VALU_DEP_2) | instskip(NEXT) | instid1(VALU_DEP_1)
	v_add_nc_u32_e32 v29, v29, v87
	v_cndmask_b32_e64 v29, 0, v29, s11
	s_delay_alu instid0(VALU_DEP_1) | instskip(NEXT) | instid1(VALU_DEP_1)
	v_add_nc_u32_e32 v29, v29, v86
	v_cndmask_b32_e64 v29, 0, v29, s12
	s_delay_alu instid0(VALU_DEP_1) | instskip(NEXT) | instid1(VALU_DEP_1)
	;; [unrolled: 3-line block ×7, first 2 shown]
	v_add_nc_u32_e32 v29, v29, v81
	v_cndmask_b32_e32 v29, 0, v29, vcc_lo
	s_delay_alu instid0(VALU_DEP_1) | instskip(NEXT) | instid1(VALU_DEP_1)
	v_add_nc_u32_e32 v29, v29, v66
	v_cndmask_b32_e64 v29, 0, v29, s0
	s_delay_alu instid0(VALU_DEP_1) | instskip(NEXT) | instid1(VALU_DEP_1)
	v_add_nc_u32_e32 v29, v29, v65
	v_cndmask_b32_e64 v29, 0, v29, s13
	v_cmp_eq_u32_e64 s13, 0, v30
	s_delay_alu instid0(VALU_DEP_2) | instskip(NEXT) | instid1(VALU_DEP_1)
	v_add_nc_u32_e32 v29, v29, v94
	v_mov_b32_dpp v31, v29 row_shr:1 row_mask:0xf bank_mask:0xf
	s_delay_alu instid0(VALU_DEP_1) | instskip(SKIP_1) | instid1(VALU_DEP_1)
	v_cndmask_b32_e64 v31, 0, v31, s13
	v_cmp_eq_u32_e64 s13, 0, v32
	v_cndmask_b32_e64 v33, v33, 0, s13
	s_delay_alu instid0(VALU_DEP_3) | instskip(NEXT) | instid1(VALU_DEP_2)
	v_cndmask_b32_e64 v31, v31, 0, s13
	v_add_nc_u32_e32 v30, v33, v30
	s_delay_alu instid0(VALU_DEP_2) | instskip(NEXT) | instid1(VALU_DEP_2)
	v_add_nc_u32_e32 v29, v31, v29
	v_mov_b32_dpp v31, v30 row_shr:2 row_mask:0xf bank_mask:0xf
	v_cmp_eq_u32_e64 s13, 0, v30
	s_delay_alu instid0(VALU_DEP_3) | instskip(NEXT) | instid1(VALU_DEP_3)
	v_mov_b32_dpp v33, v29 row_shr:2 row_mask:0xf bank_mask:0xf
	v_cndmask_b32_e64 v31, 0, v31, s14
	s_delay_alu instid0(VALU_DEP_3) | instskip(SKIP_1) | instid1(VALU_DEP_3)
	s_and_b32 s13, s14, s13
	v_cmp_lt_u32_e64 s14, 3, v32
	v_cndmask_b32_e64 v33, 0, v33, s13
	s_delay_alu instid0(VALU_DEP_3) | instskip(NEXT) | instid1(VALU_DEP_2)
	v_add_nc_u32_e32 v30, v30, v31
	v_add_nc_u32_e32 v29, v33, v29
	s_delay_alu instid0(VALU_DEP_2) | instskip(SKIP_1) | instid1(VALU_DEP_3)
	v_mov_b32_dpp v31, v30 row_shr:4 row_mask:0xf bank_mask:0xf
	v_cmp_eq_u32_e64 s13, 0, v30
	v_mov_b32_dpp v33, v29 row_shr:4 row_mask:0xf bank_mask:0xf
	s_delay_alu instid0(VALU_DEP_3) | instskip(NEXT) | instid1(VALU_DEP_3)
	v_cndmask_b32_e64 v31, 0, v31, s14
	s_and_b32 s13, s14, s13
	v_cmp_lt_u32_e64 s14, 7, v32
	s_delay_alu instid0(VALU_DEP_3) | instskip(NEXT) | instid1(VALU_DEP_3)
	v_cndmask_b32_e64 v33, 0, v33, s13
	v_add_nc_u32_e32 v30, v31, v30
	s_delay_alu instid0(VALU_DEP_2) | instskip(SKIP_1) | instid1(VALU_DEP_3)
	v_add_nc_u32_e32 v29, v29, v33
	v_bfe_i32 v33, v96, 4, 1
	v_cmp_eq_u32_e64 s13, 0, v30
	v_mov_b32_dpp v31, v30 row_shr:8 row_mask:0xf bank_mask:0xf
	s_delay_alu instid0(VALU_DEP_4) | instskip(NEXT) | instid1(VALU_DEP_3)
	v_mov_b32_dpp v32, v29 row_shr:8 row_mask:0xf bank_mask:0xf
	s_and_b32 s13, s14, s13
	s_delay_alu instid0(VALU_DEP_2) | instskip(SKIP_1) | instid1(VALU_DEP_2)
	v_cndmask_b32_e64 v31, 0, v31, s14
	s_mov_b32 s14, exec_lo
	v_cndmask_b32_e64 v32, 0, v32, s13
	s_delay_alu instid0(VALU_DEP_1) | instskip(NEXT) | instid1(VALU_DEP_3)
	v_add_nc_u32_e32 v32, v32, v29
	v_add_nc_u32_e32 v29, v31, v30
	ds_swizzle_b32 v30, v32 offset:swizzle(BROADCAST,32,15)
	ds_swizzle_b32 v31, v29 offset:swizzle(BROADCAST,32,15)
	v_cmp_eq_u32_e64 s13, 0, v29
	s_waitcnt lgkmcnt(1)
	s_delay_alu instid0(VALU_DEP_1) | instskip(SKIP_2) | instid1(VALU_DEP_2)
	v_cndmask_b32_e64 v30, 0, v30, s13
	s_waitcnt lgkmcnt(0)
	v_and_b32_e32 v31, v33, v31
	v_and_b32_e32 v30, v33, v30
	s_delay_alu instid0(VALU_DEP_2) | instskip(NEXT) | instid1(VALU_DEP_2)
	v_add_nc_u32_e32 v29, v31, v29
	v_add_nc_u32_e32 v30, v30, v32
	v_cmpx_eq_u32_e64 v98, v0
	s_cbranch_execz .LBB785_113
; %bb.112:
	v_lshlrev_b32_e32 v31, 3, v97
	ds_store_b64 v31, v[29:30] offset:4112
.LBB785_113:
	s_or_b32 exec_lo, exec_lo, s14
	s_delay_alu instid0(SALU_CYCLE_1)
	s_mov_b32 s15, exec_lo
	s_waitcnt vmcnt(0) lgkmcnt(0)
	s_barrier
	buffer_gl0_inv
	v_cmpx_gt_u32_e32 8, v0
	s_cbranch_execz .LBB785_115
; %bb.114:
	v_lshlrev_b32_e32 v33, 3, v0
	v_and_b32_e32 v35, 7, v96
	ds_load_b64 v[31:32], v33 offset:4112
	v_cmp_lt_u32_e64 s14, 1, v35
	s_waitcnt lgkmcnt(0)
	v_mov_b32_dpp v34, v32 row_shr:1 row_mask:0xf bank_mask:0xf
	v_cmp_eq_u32_e64 s13, 0, v31
	v_mov_b32_dpp v36, v31 row_shr:1 row_mask:0xf bank_mask:0xf
	s_delay_alu instid0(VALU_DEP_2) | instskip(SKIP_1) | instid1(VALU_DEP_1)
	v_cndmask_b32_e64 v34, 0, v34, s13
	v_cmp_eq_u32_e64 s13, 0, v35
	v_cndmask_b32_e64 v36, v36, 0, s13
	s_delay_alu instid0(VALU_DEP_3) | instskip(NEXT) | instid1(VALU_DEP_2)
	v_cndmask_b32_e64 v34, v34, 0, s13
	v_add_nc_u32_e32 v31, v36, v31
	s_delay_alu instid0(VALU_DEP_2) | instskip(NEXT) | instid1(VALU_DEP_2)
	v_add_nc_u32_e32 v32, v34, v32
	v_mov_b32_dpp v34, v31 row_shr:2 row_mask:0xf bank_mask:0xf
	v_cmp_eq_u32_e64 s13, 0, v31
	s_delay_alu instid0(VALU_DEP_3) | instskip(NEXT) | instid1(VALU_DEP_3)
	v_mov_b32_dpp v36, v32 row_shr:2 row_mask:0xf bank_mask:0xf
	v_cndmask_b32_e64 v34, 0, v34, s14
	s_delay_alu instid0(VALU_DEP_3) | instskip(SKIP_1) | instid1(VALU_DEP_3)
	s_and_b32 s13, s14, s13
	v_cmp_lt_u32_e64 s14, 3, v35
	v_cndmask_b32_e64 v36, 0, v36, s13
	s_delay_alu instid0(VALU_DEP_3) | instskip(NEXT) | instid1(VALU_DEP_2)
	v_add_nc_u32_e32 v31, v34, v31
	v_add_nc_u32_e32 v32, v36, v32
	s_delay_alu instid0(VALU_DEP_2) | instskip(SKIP_1) | instid1(VALU_DEP_3)
	v_cmp_eq_u32_e64 s13, 0, v31
	v_mov_b32_dpp v34, v31 row_shr:4 row_mask:0xf bank_mask:0xf
	v_mov_b32_dpp v35, v32 row_shr:4 row_mask:0xf bank_mask:0xf
	s_delay_alu instid0(VALU_DEP_3) | instskip(NEXT) | instid1(VALU_DEP_2)
	s_and_b32 s13, s14, s13
	v_cndmask_b32_e64 v34, 0, v34, s14
	s_delay_alu instid0(VALU_DEP_2) | instskip(NEXT) | instid1(VALU_DEP_2)
	v_cndmask_b32_e64 v35, 0, v35, s13
	v_add_nc_u32_e32 v31, v34, v31
	s_delay_alu instid0(VALU_DEP_2)
	v_add_nc_u32_e32 v32, v35, v32
	ds_store_b64 v33, v[31:32] offset:4112
.LBB785_115:
	s_or_b32 exec_lo, exec_lo, s15
	v_dual_mov_b32 v35, 0 :: v_dual_mov_b32 v32, v51
	v_mov_b32_e32 v31, 0
	s_mov_b32 s14, exec_lo
	s_waitcnt lgkmcnt(0)
	s_barrier
	buffer_gl0_inv
	v_cmpx_lt_u32_e32 31, v0
	s_cbranch_execz .LBB785_117
; %bb.116:
	v_lshlrev_b32_e32 v31, 3, v97
	ds_load_b64 v[31:32], v31 offset:4104
	s_waitcnt lgkmcnt(0)
	v_cmp_eq_u32_e64 s13, 0, v31
	s_delay_alu instid0(VALU_DEP_1) | instskip(NEXT) | instid1(VALU_DEP_1)
	v_cndmask_b32_e64 v33, 0, v51, s13
	v_add_nc_u32_e32 v32, v33, v32
.LBB785_117:
	s_or_b32 exec_lo, exec_lo, s14
	v_add_nc_u32_e32 v33, -1, v96
	s_delay_alu instid0(VALU_DEP_1) | instskip(NEXT) | instid1(VALU_DEP_1)
	v_cmp_gt_i32_e64 s13, 0, v33
	v_cndmask_b32_e64 v33, v33, v96, s13
	v_cmp_eq_u32_e64 s13, 0, v29
	v_add_nc_u32_e32 v29, v31, v29
	s_delay_alu instid0(VALU_DEP_3) | instskip(NEXT) | instid1(VALU_DEP_3)
	v_lshlrev_b32_e32 v33, 2, v33
	v_cndmask_b32_e64 v34, 0, v32, s13
	v_cmp_eq_u32_e64 s13, 0, v96
	ds_bpermute_b32 v29, v33, v29
	v_add_nc_u32_e32 v30, v34, v30
	ds_bpermute_b32 v30, v33, v30
	s_waitcnt lgkmcnt(1)
	v_cndmask_b32_e64 v29, v29, v31, s13
	s_delay_alu instid0(VALU_DEP_1) | instskip(SKIP_3) | instid1(VALU_DEP_3)
	v_cndmask_b32_e64 v55, v29, 0, s2
	s_waitcnt lgkmcnt(0)
	v_cndmask_b32_e64 v30, v30, v32, s13
	v_cmp_eq_u32_e64 s13, 0, v93
	v_add_nc_u32_e32 v61, v55, v93
	s_delay_alu instid0(VALU_DEP_3) | instskip(NEXT) | instid1(VALU_DEP_2)
	v_cndmask_b32_e64 v56, v30, v51, s2
	v_add_nc_u32_e32 v57, v61, v80
	s_delay_alu instid0(VALU_DEP_2) | instskip(NEXT) | instid1(VALU_DEP_2)
	v_cndmask_b32_e64 v30, 0, v56, s13
	v_add_nc_u32_e32 v53, v57, v79
	s_delay_alu instid0(VALU_DEP_2) | instskip(NEXT) | instid1(VALU_DEP_2)
	v_add_nc_u32_e32 v62, v30, v92
	v_add_nc_u32_e32 v47, v53, v78
	s_delay_alu instid0(VALU_DEP_2) | instskip(NEXT) | instid1(VALU_DEP_2)
	v_cndmask_b32_e64 v30, 0, v62, s7
	v_add_nc_u32_e32 v43, v47, v77
	s_delay_alu instid0(VALU_DEP_2) | instskip(NEXT) | instid1(VALU_DEP_2)
	v_add_nc_u32_e32 v58, v30, v91
	;; [unrolled: 6-line block ×3, first 2 shown]
	v_add_nc_u32_e32 v49, v45, v74
	s_delay_alu instid0(VALU_DEP_2) | instskip(NEXT) | instid1(VALU_DEP_2)
	v_cndmask_b32_e64 v30, 0, v54, s9
	v_add_nc_u32_e32 v33, v49, v72
	s_delay_alu instid0(VALU_DEP_2) | instskip(NEXT) | instid1(VALU_DEP_1)
	v_add_nc_u32_e32 v48, v30, v89
	v_cndmask_b32_e64 v30, 0, v48, s10
	s_delay_alu instid0(VALU_DEP_1) | instskip(NEXT) | instid1(VALU_DEP_1)
	v_add_nc_u32_e32 v44, v30, v87
	v_cndmask_b32_e64 v30, 0, v44, s11
	s_delay_alu instid0(VALU_DEP_1) | instskip(NEXT) | instid1(VALU_DEP_1)
	v_add_nc_u32_e32 v42, v30, v86
	v_cndmask_b32_e64 v30, 0, v42, s12
	s_delay_alu instid0(VALU_DEP_1) | instskip(NEXT) | instid1(VALU_DEP_1)
	v_add_nc_u32_e32 v46, v30, v84
	v_cndmask_b32_e64 v29, 0, v46, s6
	s_delay_alu instid0(VALU_DEP_1) | instskip(NEXT) | instid1(VALU_DEP_1)
	v_add_nc_u32_e32 v50, v29, v82
	v_cndmask_b32_e64 v29, 0, v50, s5
	s_delay_alu instid0(VALU_DEP_1) | instskip(NEXT) | instid1(VALU_DEP_1)
	v_add_nc_u32_e32 v34, v29, v88
	v_cndmask_b32_e64 v29, 0, v34, s4
	s_delay_alu instid0(VALU_DEP_1) | instskip(NEXT) | instid1(VALU_DEP_1)
	v_add_nc_u32_e32 v36, v29, v85
	v_cndmask_b32_e64 v29, 0, v36, s3
	s_delay_alu instid0(VALU_DEP_1) | instskip(SKIP_3) | instid1(VALU_DEP_2)
	v_add_nc_u32_e32 v40, v29, v83
	ds_load_b64 v[29:30], v35 offset:4168
	v_add_nc_u32_e32 v35, v33, v71
	v_cndmask_b32_e64 v31, 0, v40, s1
	v_add_nc_u32_e32 v39, v35, v70
	s_delay_alu instid0(VALU_DEP_2) | instskip(NEXT) | instid1(VALU_DEP_2)
	v_add_nc_u32_e32 v64, v31, v81
	v_add_nc_u32_e32 v63, v39, v69
	s_delay_alu instid0(VALU_DEP_2) | instskip(NEXT) | instid1(VALU_DEP_2)
	v_cndmask_b32_e32 v31, 0, v64, vcc_lo
	v_add_nc_u32_e32 v59, v63, v68
	s_delay_alu instid0(VALU_DEP_2) | instskip(SKIP_2) | instid1(VALU_DEP_2)
	v_add_nc_u32_e32 v60, v31, v66
	s_waitcnt lgkmcnt(0)
	v_cmp_eq_u32_e32 vcc_lo, 0, v29
	v_cndmask_b32_e64 v31, 0, v60, s0
	v_cndmask_b32_e32 v32, 0, v51, vcc_lo
	v_add_nc_u32_e32 v51, v59, v67
	s_delay_alu instid0(VALU_DEP_3) | instskip(NEXT) | instid1(VALU_DEP_3)
	v_add_nc_u32_e32 v52, v31, v65
	v_add_nc_u32_e32 v95, v32, v30
	s_and_saveexec_b32 s0, s2
	s_cbranch_execz .LBB785_119
; %bb.118:
	s_delay_alu instid0(VALU_DEP_1)
	v_and_b32_e32 v30, 0xff000000, v95
	v_dual_mov_b32 v32, 0 :: v_dual_and_b32 v31, 0xff0000, v95
	s_add_u32 s4, s36, 0x200
	v_and_b32_e32 v65, 0xff00, v95
	s_addc_u32 s5, s37, 0
	v_and_b32_e32 v66, 0xff, v95
	v_or_b32_e32 v30, v31, v30
	v_mov_b32_e32 v31, 2
	s_delay_alu instid0(VALU_DEP_2)
	v_or3_b32 v30, v30, v65, v66
	v_dual_mov_b32 v66, s5 :: v_dual_mov_b32 v65, s4
	;;#ASMSTART
	global_store_dwordx4 v[65:66], v[29:32] off	
s_waitcnt vmcnt(0)
	;;#ASMEND
.LBB785_119:
	s_or_b32 exec_lo, exec_lo, s0
	v_mov_b32_e32 v31, 0
.LBB785_120:
	v_mov_b32_e32 v65, 0
	s_and_b32 s0, s16, exec_lo
	v_mov_b32_e32 v66, 0
	s_cselect_b32 s1, 0, s47
	s_cselect_b32 s0, 0, s46
	s_delay_alu instid0(SALU_CYCLE_1)
	s_cmp_eq_u64 s[0:1], 0
	s_barrier
	buffer_gl0_inv
	s_cbranch_scc1 .LBB785_122
; %bb.121:
	v_mov_b32_e32 v30, 0
	global_load_b64 v[65:66], v30, s[0:1]
.LBB785_122:
	v_cmp_eq_u32_e32 vcc_lo, 0, v93
	v_cmp_ne_u32_e64 s15, 0, v93
	v_cmp_ne_u32_e64 s14, 0, v80
	;; [unrolled: 1-line block ×4, first 2 shown]
	v_cndmask_b32_e64 v30, 1, 2, vcc_lo
	v_cmp_eq_u32_e32 vcc_lo, 0, v80
	v_cmp_ne_u32_e64 s11, 0, v77
	v_cmp_ne_u32_e64 s10, 0, v76
	;; [unrolled: 1-line block ×4, first 2 shown]
	v_cndmask_b32_e64 v32, 1, 2, vcc_lo
	v_cmp_eq_u32_e32 vcc_lo, 0, v79
	v_cmp_ne_u32_e64 s9, 0, v72
	v_cmp_ne_u32_e64 s7, 0, v71
	;; [unrolled: 1-line block ×3, first 2 shown]
	v_and_b32_e32 v30, v32, v30
	v_cndmask_b32_e64 v81, 1, 2, vcc_lo
	v_cmp_eq_u32_e32 vcc_lo, 0, v78
	v_cmp_ne_u32_e64 s4, 0, v69
	v_cmp_ne_u32_e64 s3, 0, v68
	;; [unrolled: 1-line block ×3, first 2 shown]
	v_and_b32_e32 v30, v30, v81
	v_cndmask_b32_e64 v32, 1, 2, vcc_lo
	v_cmp_eq_u32_e32 vcc_lo, 0, v77
	v_cmp_ne_u32_e64 s0, 0, v73
	s_mov_b32 s17, -1
	s_delay_alu instid0(VALU_DEP_3) | instskip(SKIP_2) | instid1(VALU_DEP_2)
	v_and_b32_e32 v30, v30, v32
	v_cndmask_b32_e64 v81, 1, 2, vcc_lo
	v_cmp_eq_u32_e32 vcc_lo, 0, v76
	v_and_b32_e32 v30, v30, v81
	v_cndmask_b32_e64 v32, 1, 2, vcc_lo
	v_cmp_eq_u32_e32 vcc_lo, 0, v75
	s_waitcnt vmcnt(0)
	v_lshlrev_b64 v[81:82], 3, v[65:66]
	s_delay_alu instid0(VALU_DEP_3) | instskip(SKIP_2) | instid1(VALU_DEP_2)
	v_and_b32_e32 v30, v30, v32
	v_cndmask_b32_e64 v83, 1, 2, vcc_lo
	v_cmp_eq_u32_e32 vcc_lo, 0, v74
	v_and_b32_e32 v30, v30, v83
	v_cndmask_b32_e64 v84, 1, 2, vcc_lo
	v_cmp_eq_u32_e32 vcc_lo, 0, v72
	s_delay_alu instid0(VALU_DEP_2) | instskip(SKIP_2) | instid1(VALU_DEP_2)
	v_and_b32_e32 v30, v30, v84
	v_cndmask_b32_e64 v83, 1, 2, vcc_lo
	v_cmp_eq_u32_e32 vcc_lo, 0, v71
	v_and_b32_e32 v30, v30, v83
	v_cndmask_b32_e64 v84, 1, 2, vcc_lo
	v_cmp_eq_u32_e32 vcc_lo, 0, v70
	s_delay_alu instid0(VALU_DEP_2) | instskip(SKIP_2) | instid1(VALU_DEP_2)
	v_and_b32_e32 v30, v30, v84
	v_cndmask_b32_e64 v83, 1, 2, vcc_lo
	v_cmp_eq_u32_e32 vcc_lo, 0, v69
	v_and_b32_e32 v30, v30, v83
	v_cndmask_b32_e64 v85, 1, 2, vcc_lo
	v_cmp_eq_u32_e32 vcc_lo, 0, v68
	s_delay_alu instid0(VALU_DEP_2) | instskip(SKIP_3) | instid1(VALU_DEP_3)
	v_and_b32_e32 v30, v30, v85
	v_cndmask_b32_e64 v86, 1, 2, vcc_lo
	v_mov_b32_e32 v32, 0
	v_cmp_eq_u32_e32 vcc_lo, 0, v67
	v_and_b32_e32 v85, v30, v86
	s_delay_alu instid0(VALU_DEP_3) | instskip(SKIP_3) | instid1(VALU_DEP_2)
	v_lshlrev_b64 v[83:84], 3, v[31:32]
	v_cndmask_b32_e64 v87, 1, 2, vcc_lo
	v_add_co_u32 v81, vcc_lo, s26, v81
	v_add_co_ci_u32_e32 v82, vcc_lo, s27, v82, vcc_lo
	v_add_co_u32 v30, vcc_lo, v81, v83
	s_delay_alu instid0(VALU_DEP_2) | instskip(SKIP_4) | instid1(VALU_DEP_2)
	v_add_co_ci_u32_e32 v81, vcc_lo, v82, v84, vcc_lo
	v_cmp_eq_u32_e32 vcc_lo, 0, v73
	v_and_b32_e32 v82, v85, v87
	v_cndmask_b32_e64 v83, 1, 2, vcc_lo
	v_cmp_gt_u32_e32 vcc_lo, 0x100, v29
	v_and_b32_e32 v82, v82, v83
	s_delay_alu instid0(VALU_DEP_1)
	v_cmp_gt_i16_e64 s16, 2, v82
	s_cbranch_vccz .LBB785_171
; %bb.123:
	s_delay_alu instid0(VALU_DEP_1)
	s_and_saveexec_b32 s17, s16
	s_cbranch_execz .LBB785_170
; %bb.124:
	s_mov_b32 s18, 0
	s_mov_b32 s16, exec_lo
	v_cmpx_ne_u16_e32 1, v82
	s_xor_b32 s16, exec_lo, s16
	s_cbranch_execz .LBB785_148
; %bb.125:
	s_and_saveexec_b32 s18, s15
	s_cbranch_execz .LBB785_153
; %bb.126:
	v_sub_nc_u32_e32 v83, v55, v31
	v_mov_b32_e32 v84, 0
	s_delay_alu instid0(VALU_DEP_1) | instskip(NEXT) | instid1(VALU_DEP_1)
	v_lshlrev_b64 v[83:84], 3, v[83:84]
	v_add_co_u32 v83, vcc_lo, v30, v83
	s_delay_alu instid0(VALU_DEP_2)
	v_add_co_ci_u32_e32 v84, vcc_lo, v81, v84, vcc_lo
	global_store_b64 v[83:84], v[25:26], off
	s_or_b32 exec_lo, exec_lo, s18
	s_and_saveexec_b32 s18, s14
	s_cbranch_execnz .LBB785_154
.LBB785_127:
	s_or_b32 exec_lo, exec_lo, s18
	s_and_saveexec_b32 s18, s13
	s_cbranch_execz .LBB785_155
.LBB785_128:
	v_sub_nc_u32_e32 v83, v57, v31
	v_mov_b32_e32 v84, 0
	s_delay_alu instid0(VALU_DEP_1) | instskip(NEXT) | instid1(VALU_DEP_1)
	v_lshlrev_b64 v[83:84], 3, v[83:84]
	v_add_co_u32 v83, vcc_lo, v30, v83
	s_delay_alu instid0(VALU_DEP_2)
	v_add_co_ci_u32_e32 v84, vcc_lo, v81, v84, vcc_lo
	global_store_b64 v[83:84], v[21:22], off
	s_or_b32 exec_lo, exec_lo, s18
	s_and_saveexec_b32 s18, s12
	s_cbranch_execnz .LBB785_156
.LBB785_129:
	s_or_b32 exec_lo, exec_lo, s18
	s_and_saveexec_b32 s18, s11
	s_cbranch_execz .LBB785_157
.LBB785_130:
	v_sub_nc_u32_e32 v83, v47, v31
	v_mov_b32_e32 v84, 0
	s_delay_alu instid0(VALU_DEP_1) | instskip(NEXT) | instid1(VALU_DEP_1)
	v_lshlrev_b64 v[83:84], 3, v[83:84]
	v_add_co_u32 v83, vcc_lo, v30, v83
	s_delay_alu instid0(VALU_DEP_2)
	v_add_co_ci_u32_e32 v84, vcc_lo, v81, v84, vcc_lo
	global_store_b64 v[83:84], v[17:18], off
	s_or_b32 exec_lo, exec_lo, s18
	s_and_saveexec_b32 s18, s10
	s_cbranch_execnz .LBB785_158
.LBB785_131:
	s_or_b32 exec_lo, exec_lo, s18
	s_and_saveexec_b32 s18, s8
	s_cbranch_execz .LBB785_159
.LBB785_132:
	v_sub_nc_u32_e32 v83, v41, v31
	v_mov_b32_e32 v84, 0
	s_delay_alu instid0(VALU_DEP_1) | instskip(NEXT) | instid1(VALU_DEP_1)
	v_lshlrev_b64 v[83:84], 3, v[83:84]
	v_add_co_u32 v83, vcc_lo, v30, v83
	s_delay_alu instid0(VALU_DEP_2)
	v_add_co_ci_u32_e32 v84, vcc_lo, v81, v84, vcc_lo
	global_store_b64 v[83:84], v[13:14], off
	s_or_b32 exec_lo, exec_lo, s18
	s_and_saveexec_b32 s18, s6
	s_cbranch_execnz .LBB785_160
.LBB785_133:
	s_or_b32 exec_lo, exec_lo, s18
	s_and_saveexec_b32 s18, s9
	s_cbranch_execz .LBB785_161
.LBB785_134:
	v_sub_nc_u32_e32 v83, v49, v31
	v_mov_b32_e32 v84, 0
	s_delay_alu instid0(VALU_DEP_1) | instskip(NEXT) | instid1(VALU_DEP_1)
	v_lshlrev_b64 v[83:84], 3, v[83:84]
	v_add_co_u32 v83, vcc_lo, v30, v83
	s_delay_alu instid0(VALU_DEP_2)
	v_add_co_ci_u32_e32 v84, vcc_lo, v81, v84, vcc_lo
	global_store_b64 v[83:84], v[9:10], off
	s_or_b32 exec_lo, exec_lo, s18
	s_and_saveexec_b32 s18, s7
	s_cbranch_execnz .LBB785_162
.LBB785_135:
	s_or_b32 exec_lo, exec_lo, s18
	s_and_saveexec_b32 s18, s5
	s_cbranch_execz .LBB785_163
.LBB785_136:
	v_sub_nc_u32_e32 v83, v35, v31
	v_mov_b32_e32 v84, 0
	s_delay_alu instid0(VALU_DEP_1) | instskip(NEXT) | instid1(VALU_DEP_1)
	v_lshlrev_b64 v[83:84], 3, v[83:84]
	v_add_co_u32 v83, vcc_lo, v30, v83
	s_delay_alu instid0(VALU_DEP_2)
	v_add_co_ci_u32_e32 v84, vcc_lo, v81, v84, vcc_lo
	global_store_b64 v[83:84], v[5:6], off
	s_or_b32 exec_lo, exec_lo, s18
	s_and_saveexec_b32 s18, s4
	s_cbranch_execnz .LBB785_164
.LBB785_137:
	s_or_b32 exec_lo, exec_lo, s18
	s_and_saveexec_b32 s18, s3
	s_cbranch_execz .LBB785_165
.LBB785_138:
	v_sub_nc_u32_e32 v83, v63, v31
	v_mov_b32_e32 v84, 0
	s_delay_alu instid0(VALU_DEP_1) | instskip(NEXT) | instid1(VALU_DEP_1)
	v_lshlrev_b64 v[83:84], 3, v[83:84]
	v_add_co_u32 v83, vcc_lo, v30, v83
	s_delay_alu instid0(VALU_DEP_2)
	v_add_co_ci_u32_e32 v84, vcc_lo, v81, v84, vcc_lo
	global_store_b64 v[83:84], v[1:2], off
	s_or_b32 exec_lo, exec_lo, s18
	s_and_saveexec_b32 s18, s1
	s_cbranch_execnz .LBB785_166
	s_branch .LBB785_167
.LBB785_139:
	s_mov_b32 s42, 0
                                        ; implicit-def: $sgpr0
                                        ; implicit-def: $vgpr73
                                        ; implicit-def: $vgpr67
                                        ; implicit-def: $vgpr68
                                        ; implicit-def: $vgpr69
                                        ; implicit-def: $vgpr70
                                        ; implicit-def: $vgpr71
                                        ; implicit-def: $vgpr72
                                        ; implicit-def: $vgpr74
                                        ; implicit-def: $vgpr75
                                        ; implicit-def: $vgpr76
                                        ; implicit-def: $vgpr77
                                        ; implicit-def: $vgpr78
                                        ; implicit-def: $vgpr79
                                        ; implicit-def: $vgpr80
	s_cbranch_execz .LBB785_73
; %bb.140:
	v_cmp_ne_u64_e32 vcc_lo, v[3:4], v[37:38]
	v_lshlrev_b32_e32 v29, 3, v0
                                        ; implicit-def: $sgpr0
	ds_store_b64 v29, v[37:38]
	v_cndmask_b32_e64 v73, 0, 1, vcc_lo
	v_cmp_ne_u64_e32 vcc_lo, v[1:2], v[3:4]
	s_waitcnt lgkmcnt(0)
	s_barrier
	buffer_gl0_inv
	v_cndmask_b32_e64 v67, 0, 1, vcc_lo
	v_cmp_ne_u64_e32 vcc_lo, v[7:8], v[1:2]
	v_cndmask_b32_e64 v68, 0, 1, vcc_lo
	v_cmp_ne_u64_e32 vcc_lo, v[5:6], v[7:8]
	;; [unrolled: 2-line block ×12, first 2 shown]
	v_cndmask_b32_e64 v80, 0, 1, vcc_lo
	s_and_saveexec_b32 s1, s3
	s_delay_alu instid0(SALU_CYCLE_1)
	s_xor_b32 s1, exec_lo, s1
	s_cbranch_execz .LBB785_142
; %bb.141:
	v_add_nc_u32_e32 v29, -8, v29
	s_or_b32 s42, s42, exec_lo
	ds_load_b64 v[29:30], v29
	s_waitcnt lgkmcnt(0)
	v_cmp_ne_u64_e32 vcc_lo, v[29:30], v[25:26]
	s_and_b32 s0, vcc_lo, exec_lo
.LBB785_142:
	s_or_b32 exec_lo, exec_lo, s1
	s_mov_b32 s1, 1
	s_branch .LBB785_75
.LBB785_143:
	s_mul_hi_u32 s0, s18, 0xfffff100
	s_mul_i32 s1, s19, 0xfffff100
	s_sub_i32 s0, s0, s18
	s_mul_i32 s4, s18, 0xfffff100
	s_add_i32 s0, s0, s1
	s_add_u32 s24, s4, s44
	s_addc_u32 s25, s0, s45
	s_and_b32 vcc_lo, exec_lo, s15
	s_cbranch_vccz .LBB785_150
; %bb.144:
	v_add_co_u32 v29, vcc_lo, -8, v32
	v_add_co_ci_u32_e32 v30, vcc_lo, -1, v31, vcc_lo
	v_mad_u32_u24 v31, v0, 15, 14
	v_mov_b32_e32 v32, 0
	v_cmp_ne_u64_e64 s9, v[3:4], v[37:38]
	flat_load_b64 v[29:30], v[29:30]
	v_cmp_ne_u64_e64 s11, v[1:2], v[3:4]
	v_cmp_ne_u64_e64 s12, v[7:8], v[1:2]
	v_cmp_gt_u64_e32 vcc_lo, s[24:25], v[31:32]
	v_mad_u32_u24 v31, v0, 15, 13
	v_cmp_ne_u64_e64 s13, v[5:6], v[7:8]
	v_lshlrev_b32_e32 v34, 3, v0
	v_mul_u32_u24_e32 v33, 15, v0
	s_mov_b32 s42, -1
	v_cmp_gt_u64_e64 s0, s[24:25], v[31:32]
	v_mad_u32_u24 v31, v0, 15, 12
	s_and_b32 s15, vcc_lo, s9
	v_cmp_ne_u64_e64 s9, v[15:16], v[9:10]
	s_mov_b32 s14, 0
	ds_store_b64 v34, v[37:38]
	v_cmp_gt_u64_e64 s1, s[24:25], v[31:32]
	v_mad_u32_u24 v31, v0, 15, 11
	s_and_b32 s16, s0, s11
	v_cmp_ne_u64_e64 s0, v[11:12], v[5:6]
	v_cmp_ne_u64_e64 s11, v[13:14], v[15:16]
	s_waitcnt vmcnt(0) lgkmcnt(0)
	v_cmp_gt_u64_e64 s4, s[24:25], v[31:32]
	v_mad_u32_u24 v31, v0, 15, 10
	s_and_b32 s17, s1, s12
	v_cmp_ne_u64_e64 s12, v[25:26], v[27:28]
	s_barrier
	buffer_gl0_inv
	v_cmp_gt_u64_e64 s5, s[24:25], v[31:32]
	v_mad_u32_u24 v31, v0, 15, 9
	s_and_b32 s13, s4, s13
	v_cmp_ne_u64_e64 s4, v[9:10], v[11:12]
	s_delay_alu instid0(VALU_DEP_2) | instskip(SKIP_2) | instid1(VALU_DEP_1)
	v_cmp_gt_u64_e64 s6, s[24:25], v[31:32]
	v_mad_u32_u24 v31, v0, 15, 8
	s_and_b32 s19, s5, s0
	v_cmp_gt_u64_e64 s7, s[24:25], v[31:32]
	v_mad_u32_u24 v31, v0, 15, 7
	s_delay_alu instid0(VALU_DEP_4) | instskip(SKIP_2) | instid1(VALU_DEP_3)
	s_and_b32 s20, s6, s4
	v_cmp_ne_u64_e64 s4, v[19:20], v[13:14]
	v_cmp_ne_u64_e64 s6, v[17:18], v[19:20]
	v_cmp_gt_u64_e64 s8, s[24:25], v[31:32]
	v_mad_u32_u24 v31, v0, 15, 6
	s_and_b32 s21, s7, s9
	v_cmp_ne_u64_e64 s7, v[23:24], v[17:18]
	v_cmp_ne_u64_e64 s9, v[27:28], v[21:22]
	s_delay_alu instid0(VALU_DEP_3) | instskip(SKIP_3) | instid1(VALU_DEP_2)
	v_cmp_gt_u64_e64 s10, s[24:25], v[31:32]
	v_mad_u32_u24 v31, v0, 15, 5
	s_and_b32 s18, s8, s11
	v_cmp_ne_u64_e64 s8, v[21:22], v[23:24]
	v_cmp_gt_u64_e32 vcc_lo, s[24:25], v[31:32]
	v_mad_u32_u24 v31, v0, 15, 4
	s_and_b32 s10, s10, s4
	s_delay_alu instid0(VALU_DEP_1) | instskip(SKIP_2) | instid1(VALU_DEP_1)
	v_cmp_gt_u64_e64 s1, s[24:25], v[31:32]
	v_mad_u32_u24 v31, v0, 15, 3
	s_and_b32 s6, vcc_lo, s6
	v_cmp_gt_u64_e64 s0, s[24:25], v[31:32]
	v_mad_u32_u24 v31, v0, 15, 2
	s_delay_alu instid0(VALU_DEP_4) | instskip(NEXT) | instid1(VALU_DEP_1)
	s_and_b32 s7, s1, s7
	v_cmp_gt_u64_e64 s5, s[24:25], v[31:32]
	v_mad_u32_u24 v31, v0, 15, 1
	s_delay_alu instid0(VALU_DEP_4) | instskip(NEXT) | instid1(VALU_DEP_1)
	s_and_b32 s1, s0, s8
	v_cmp_gt_u64_e64 s11, s[24:25], v[31:32]
	s_delay_alu instid0(VALU_DEP_3) | instskip(NEXT) | instid1(VALU_DEP_1)
	s_and_b32 s4, s5, s9
	s_and_b32 s5, s11, s12
	s_and_saveexec_b32 s0, s3
	s_cbranch_execz .LBB785_146
; %bb.145:
	v_add_nc_u32_e32 v29, -8, v34
	ds_load_b64 v[29:30], v29
.LBB785_146:
	s_or_b32 exec_lo, exec_lo, s0
	v_mov_b32_e32 v34, v32
	s_waitcnt lgkmcnt(0)
	v_cmp_ne_u64_e64 s0, v[29:30], v[25:26]
	v_cndmask_b32_e64 v73, 0, 1, s15
	v_cndmask_b32_e64 v67, 0, 1, s16
	;; [unrolled: 1-line block ×3, first 2 shown]
	v_cmp_gt_u64_e32 vcc_lo, s[24:25], v[33:34]
	v_cndmask_b32_e64 v69, 0, 1, s13
	v_cndmask_b32_e64 v70, 0, 1, s19
	;; [unrolled: 1-line block ×11, first 2 shown]
	s_and_b32 s0, vcc_lo, s0
	s_and_b32 vcc_lo, exec_lo, s14
	s_cbranch_vccnz .LBB785_151
.LBB785_147:
                                        ; implicit-def: $sgpr1
	v_mov_b32_e32 v93, s1
	s_and_saveexec_b32 s1, s42
	s_cbranch_execnz .LBB785_76
	s_branch .LBB785_77
.LBB785_148:
	s_and_not1_saveexec_b32 s16, s16
	s_cbranch_execz .LBB785_168
.LBB785_149:
	v_sub_nc_u32_e32 v83, v55, v31
	v_mov_b32_e32 v84, 0
	s_or_b32 s18, s18, exec_lo
	s_delay_alu instid0(VALU_DEP_1) | instskip(SKIP_1) | instid1(VALU_DEP_1)
	v_lshlrev_b64 v[85:86], 3, v[83:84]
	v_sub_nc_u32_e32 v83, v61, v31
	v_lshlrev_b64 v[87:88], 3, v[83:84]
	v_sub_nc_u32_e32 v83, v57, v31
	s_delay_alu instid0(VALU_DEP_4) | instskip(SKIP_1) | instid1(VALU_DEP_3)
	v_add_co_u32 v85, vcc_lo, v30, v85
	v_add_co_ci_u32_e32 v86, vcc_lo, v81, v86, vcc_lo
	v_lshlrev_b64 v[89:90], 3, v[83:84]
	v_sub_nc_u32_e32 v83, v53, v31
	v_add_co_u32 v87, vcc_lo, v30, v87
	v_add_co_ci_u32_e32 v88, vcc_lo, v81, v88, vcc_lo
	global_store_b64 v[85:86], v[25:26], off
	v_lshlrev_b64 v[85:86], 3, v[83:84]
	v_sub_nc_u32_e32 v83, v47, v31
	global_store_b64 v[87:88], v[27:28], off
	v_add_co_u32 v87, vcc_lo, v30, v89
	v_add_co_ci_u32_e32 v88, vcc_lo, v81, v90, vcc_lo
	v_lshlrev_b64 v[89:90], 3, v[83:84]
	v_sub_nc_u32_e32 v83, v43, v31
	v_add_co_u32 v85, vcc_lo, v30, v85
	v_add_co_ci_u32_e32 v86, vcc_lo, v81, v86, vcc_lo
	s_delay_alu instid0(VALU_DEP_3) | instskip(SKIP_3) | instid1(VALU_DEP_3)
	v_lshlrev_b64 v[91:92], 3, v[83:84]
	v_sub_nc_u32_e32 v83, v41, v31
	v_add_co_u32 v89, vcc_lo, v30, v89
	v_add_co_ci_u32_e32 v90, vcc_lo, v81, v90, vcc_lo
	v_lshlrev_b64 v[96:97], 3, v[83:84]
	v_sub_nc_u32_e32 v83, v45, v31
	v_add_co_u32 v91, vcc_lo, v30, v91
	v_add_co_ci_u32_e32 v92, vcc_lo, v81, v92, vcc_lo
	s_clause 0x3
	global_store_b64 v[87:88], v[21:22], off
	global_store_b64 v[85:86], v[23:24], off
	;; [unrolled: 1-line block ×4, first 2 shown]
	v_lshlrev_b64 v[85:86], 3, v[83:84]
	v_sub_nc_u32_e32 v83, v49, v31
	v_add_co_u32 v87, vcc_lo, v30, v96
	v_add_co_ci_u32_e32 v88, vcc_lo, v81, v97, vcc_lo
	s_delay_alu instid0(VALU_DEP_3) | instskip(SKIP_3) | instid1(VALU_DEP_3)
	v_lshlrev_b64 v[89:90], 3, v[83:84]
	v_sub_nc_u32_e32 v83, v33, v31
	v_add_co_u32 v85, vcc_lo, v30, v85
	v_add_co_ci_u32_e32 v86, vcc_lo, v81, v86, vcc_lo
	v_lshlrev_b64 v[91:92], 3, v[83:84]
	v_sub_nc_u32_e32 v83, v35, v31
	v_add_co_u32 v89, vcc_lo, v30, v89
	v_add_co_ci_u32_e32 v90, vcc_lo, v81, v90, vcc_lo
	s_delay_alu instid0(VALU_DEP_3)
	v_lshlrev_b64 v[96:97], 3, v[83:84]
	v_sub_nc_u32_e32 v83, v39, v31
	v_add_co_u32 v91, vcc_lo, v30, v91
	v_add_co_ci_u32_e32 v92, vcc_lo, v81, v92, vcc_lo
	s_clause 0x3
	global_store_b64 v[87:88], v[13:14], off
	global_store_b64 v[85:86], v[15:16], off
	;; [unrolled: 1-line block ×4, first 2 shown]
	v_lshlrev_b64 v[85:86], 3, v[83:84]
	v_sub_nc_u32_e32 v83, v63, v31
	v_add_co_u32 v87, vcc_lo, v30, v96
	v_add_co_ci_u32_e32 v88, vcc_lo, v81, v97, vcc_lo
	s_delay_alu instid0(VALU_DEP_3) | instskip(SKIP_3) | instid1(VALU_DEP_3)
	v_lshlrev_b64 v[89:90], 3, v[83:84]
	v_sub_nc_u32_e32 v83, v59, v31
	v_add_co_u32 v85, vcc_lo, v30, v85
	v_add_co_ci_u32_e32 v86, vcc_lo, v81, v86, vcc_lo
	v_lshlrev_b64 v[83:84], 3, v[83:84]
	v_add_co_u32 v89, vcc_lo, v30, v89
	v_add_co_ci_u32_e32 v90, vcc_lo, v81, v90, vcc_lo
	s_clause 0x2
	global_store_b64 v[87:88], v[5:6], off
	global_store_b64 v[85:86], v[7:8], off
	;; [unrolled: 1-line block ×3, first 2 shown]
	v_add_co_u32 v83, vcc_lo, v30, v83
	v_add_co_ci_u32_e32 v84, vcc_lo, v81, v84, vcc_lo
	global_store_b64 v[83:84], v[3:4], off
	s_or_b32 exec_lo, exec_lo, s16
	s_delay_alu instid0(SALU_CYCLE_1)
	s_and_b32 exec_lo, exec_lo, s18
	s_cbranch_execnz .LBB785_169
	s_branch .LBB785_170
.LBB785_150:
                                        ; implicit-def: $sgpr0
                                        ; implicit-def: $vgpr73
                                        ; implicit-def: $vgpr67
                                        ; implicit-def: $vgpr68
                                        ; implicit-def: $vgpr69
                                        ; implicit-def: $vgpr70
                                        ; implicit-def: $vgpr71
                                        ; implicit-def: $vgpr72
                                        ; implicit-def: $vgpr74
                                        ; implicit-def: $vgpr75
                                        ; implicit-def: $vgpr76
                                        ; implicit-def: $vgpr77
                                        ; implicit-def: $vgpr78
                                        ; implicit-def: $vgpr79
                                        ; implicit-def: $vgpr80
	s_cbranch_execz .LBB785_147
.LBB785_151:
	v_mad_u32_u24 v29, v0, 15, 14
	v_dual_mov_b32 v30, 0 :: v_dual_lshlrev_b32 v31, 3, v0
	v_cmp_ne_u64_e64 s7, v[1:2], v[3:4]
	v_cmp_ne_u64_e64 s6, v[3:4], v[37:38]
	;; [unrolled: 1-line block ×3, first 2 shown]
	s_delay_alu instid0(VALU_DEP_4)
	v_cmp_gt_u64_e32 vcc_lo, s[24:25], v[29:30]
	v_mad_u32_u24 v29, v0, 15, 13
	v_cmp_ne_u64_e64 s10, v[5:6], v[7:8]
	v_cmp_ne_u64_e64 s11, v[11:12], v[5:6]
	;; [unrolled: 1-line block ×4, first 2 shown]
	v_cmp_gt_u64_e64 s0, s[24:25], v[29:30]
	v_mad_u32_u24 v29, v0, 15, 12
	s_and_b32 s6, vcc_lo, s6
	v_cmp_ne_u64_e64 s15, v[13:14], v[15:16]
	v_cmp_ne_u64_e64 s16, v[19:20], v[13:14]
	;; [unrolled: 1-line block ×3, first 2 shown]
	v_cmp_gt_u64_e64 s1, s[24:25], v[29:30]
	v_mad_u32_u24 v29, v0, 15, 11
	s_and_b32 s0, s0, s7
	v_cmp_ne_u64_e64 s18, v[23:24], v[17:18]
	v_cndmask_b32_e64 v67, 0, 1, s0
	v_cmp_ne_u64_e64 s20, v[21:22], v[23:24]
	v_cmp_gt_u64_e64 s4, s[24:25], v[29:30]
	v_mad_u32_u24 v29, v0, 15, 10
	s_and_b32 s0, s1, s8
	v_cmp_ne_u64_e64 s21, v[27:28], v[21:22]
	v_cndmask_b32_e64 v68, 0, 1, s0
	v_cmp_ne_u64_e64 s22, v[25:26], v[27:28]
	v_cmp_gt_u64_e64 s5, s[24:25], v[29:30]
	v_mad_u32_u24 v29, v0, 15, 9
	s_and_b32 s0, s4, s10
	v_cndmask_b32_e64 v73, 0, 1, s6
	v_cndmask_b32_e64 v69, 0, 1, s0
	ds_store_b64 v31, v[37:38]
	v_cmp_gt_u64_e64 s9, s[24:25], v[29:30]
	v_mad_u32_u24 v29, v0, 15, 8
	s_and_b32 s1, s5, s11
	s_waitcnt lgkmcnt(0)
	v_cndmask_b32_e64 v70, 0, 1, s1
	s_barrier
	v_cmp_gt_u64_e64 s14, s[24:25], v[29:30]
	v_mad_u32_u24 v29, v0, 15, 7
	s_and_b32 s1, s9, s12
	buffer_gl0_inv
	v_cndmask_b32_e64 v71, 0, 1, s1
	v_cmp_gt_u64_e64 s19, s[24:25], v[29:30]
	v_mad_u32_u24 v29, v0, 15, 6
	s_and_b32 s4, s14, s13
	s_delay_alu instid0(SALU_CYCLE_1) | instskip(NEXT) | instid1(VALU_DEP_2)
	v_cndmask_b32_e64 v72, 0, 1, s4
	v_cmp_gt_u64_e64 s23, s[24:25], v[29:30]
	v_mad_u32_u24 v29, v0, 15, 5
	s_and_b32 s4, s19, s15
	s_delay_alu instid0(SALU_CYCLE_1) | instskip(NEXT) | instid1(VALU_DEP_2)
	v_cndmask_b32_e64 v74, 0, 1, s4
	v_cmp_gt_u64_e32 vcc_lo, s[24:25], v[29:30]
	v_mad_u32_u24 v29, v0, 15, 4
	s_and_b32 s5, s23, s16
	s_delay_alu instid0(SALU_CYCLE_1) | instskip(NEXT) | instid1(VALU_DEP_2)
	v_cndmask_b32_e64 v75, 0, 1, s5
	v_cmp_gt_u64_e64 s0, s[24:25], v[29:30]
	v_mad_u32_u24 v29, v0, 15, 3
	s_and_b32 s5, vcc_lo, s17
	s_delay_alu instid0(SALU_CYCLE_1) | instskip(NEXT) | instid1(VALU_DEP_2)
	v_cndmask_b32_e64 v76, 0, 1, s5
	v_cmp_gt_u64_e64 s1, s[24:25], v[29:30]
	v_mad_u32_u24 v29, v0, 15, 2
	s_and_b32 s0, s0, s18
	s_delay_alu instid0(SALU_CYCLE_1) | instskip(NEXT) | instid1(VALU_DEP_2)
	v_cndmask_b32_e64 v77, 0, 1, s0
	v_cmp_gt_u64_e64 s4, s[24:25], v[29:30]
	v_mad_u32_u24 v29, v0, 15, 1
	s_and_b32 s0, s1, s20
	s_mov_b32 s1, 1
	v_cndmask_b32_e64 v78, 0, 1, s0
	s_delay_alu instid0(VALU_DEP_2) | instskip(SKIP_1) | instid1(SALU_CYCLE_1)
	v_cmp_gt_u64_e32 vcc_lo, s[24:25], v[29:30]
	s_and_b32 s0, s4, s21
	v_cndmask_b32_e64 v79, 0, 1, s0
	s_and_b32 s0, vcc_lo, s22
	s_delay_alu instid0(SALU_CYCLE_1)
	v_cndmask_b32_e64 v80, 0, 1, s0
                                        ; implicit-def: $sgpr0
	s_and_saveexec_b32 s4, s3
	s_cbranch_execz .LBB785_190
; %bb.152:
	v_add_nc_u32_e32 v29, -8, v31
	s_or_b32 s42, s42, exec_lo
	ds_load_b64 v[31:32], v29
	v_mul_u32_u24_e32 v29, 15, v0
	s_delay_alu instid0(VALU_DEP_1) | instskip(SKIP_2) | instid1(VALU_DEP_1)
	v_cmp_gt_u64_e32 vcc_lo, s[24:25], v[29:30]
	s_waitcnt lgkmcnt(0)
	v_cmp_ne_u64_e64 s0, v[31:32], v[25:26]
	s_and_b32 s0, vcc_lo, s0
	s_delay_alu instid0(SALU_CYCLE_1)
	s_and_b32 s0, s0, exec_lo
	s_or_b32 exec_lo, exec_lo, s4
	v_mov_b32_e32 v93, s1
	s_and_saveexec_b32 s1, s42
	s_cbranch_execz .LBB785_77
	s_branch .LBB785_76
.LBB785_153:
	s_or_b32 exec_lo, exec_lo, s18
	s_and_saveexec_b32 s18, s14
	s_cbranch_execz .LBB785_127
.LBB785_154:
	v_sub_nc_u32_e32 v83, v61, v31
	v_mov_b32_e32 v84, 0
	s_delay_alu instid0(VALU_DEP_1) | instskip(NEXT) | instid1(VALU_DEP_1)
	v_lshlrev_b64 v[83:84], 3, v[83:84]
	v_add_co_u32 v83, vcc_lo, v30, v83
	s_delay_alu instid0(VALU_DEP_2)
	v_add_co_ci_u32_e32 v84, vcc_lo, v81, v84, vcc_lo
	global_store_b64 v[83:84], v[27:28], off
	s_or_b32 exec_lo, exec_lo, s18
	s_and_saveexec_b32 s18, s13
	s_cbranch_execnz .LBB785_128
.LBB785_155:
	s_or_b32 exec_lo, exec_lo, s18
	s_and_saveexec_b32 s18, s12
	s_cbranch_execz .LBB785_129
.LBB785_156:
	v_sub_nc_u32_e32 v83, v53, v31
	v_mov_b32_e32 v84, 0
	s_delay_alu instid0(VALU_DEP_1) | instskip(NEXT) | instid1(VALU_DEP_1)
	v_lshlrev_b64 v[83:84], 3, v[83:84]
	v_add_co_u32 v83, vcc_lo, v30, v83
	s_delay_alu instid0(VALU_DEP_2)
	v_add_co_ci_u32_e32 v84, vcc_lo, v81, v84, vcc_lo
	global_store_b64 v[83:84], v[23:24], off
	s_or_b32 exec_lo, exec_lo, s18
	s_and_saveexec_b32 s18, s11
	s_cbranch_execnz .LBB785_130
.LBB785_157:
	s_or_b32 exec_lo, exec_lo, s18
	s_and_saveexec_b32 s18, s10
	s_cbranch_execz .LBB785_131
.LBB785_158:
	v_sub_nc_u32_e32 v83, v43, v31
	v_mov_b32_e32 v84, 0
	s_delay_alu instid0(VALU_DEP_1) | instskip(NEXT) | instid1(VALU_DEP_1)
	v_lshlrev_b64 v[83:84], 3, v[83:84]
	v_add_co_u32 v83, vcc_lo, v30, v83
	s_delay_alu instid0(VALU_DEP_2)
	v_add_co_ci_u32_e32 v84, vcc_lo, v81, v84, vcc_lo
	global_store_b64 v[83:84], v[19:20], off
	s_or_b32 exec_lo, exec_lo, s18
	s_and_saveexec_b32 s18, s8
	s_cbranch_execnz .LBB785_132
.LBB785_159:
	s_or_b32 exec_lo, exec_lo, s18
	s_and_saveexec_b32 s18, s6
	s_cbranch_execz .LBB785_133
.LBB785_160:
	v_sub_nc_u32_e32 v83, v45, v31
	v_mov_b32_e32 v84, 0
	s_delay_alu instid0(VALU_DEP_1) | instskip(NEXT) | instid1(VALU_DEP_1)
	v_lshlrev_b64 v[83:84], 3, v[83:84]
	v_add_co_u32 v83, vcc_lo, v30, v83
	s_delay_alu instid0(VALU_DEP_2)
	v_add_co_ci_u32_e32 v84, vcc_lo, v81, v84, vcc_lo
	global_store_b64 v[83:84], v[15:16], off
	s_or_b32 exec_lo, exec_lo, s18
	s_and_saveexec_b32 s18, s9
	s_cbranch_execnz .LBB785_134
.LBB785_161:
	s_or_b32 exec_lo, exec_lo, s18
	s_and_saveexec_b32 s18, s7
	s_cbranch_execz .LBB785_135
.LBB785_162:
	v_sub_nc_u32_e32 v83, v33, v31
	v_mov_b32_e32 v84, 0
	s_delay_alu instid0(VALU_DEP_1) | instskip(NEXT) | instid1(VALU_DEP_1)
	v_lshlrev_b64 v[83:84], 3, v[83:84]
	v_add_co_u32 v83, vcc_lo, v30, v83
	s_delay_alu instid0(VALU_DEP_2)
	v_add_co_ci_u32_e32 v84, vcc_lo, v81, v84, vcc_lo
	global_store_b64 v[83:84], v[11:12], off
	s_or_b32 exec_lo, exec_lo, s18
	s_and_saveexec_b32 s18, s5
	s_cbranch_execnz .LBB785_136
.LBB785_163:
	s_or_b32 exec_lo, exec_lo, s18
	s_and_saveexec_b32 s18, s4
	s_cbranch_execz .LBB785_137
.LBB785_164:
	v_sub_nc_u32_e32 v83, v39, v31
	v_mov_b32_e32 v84, 0
	s_delay_alu instid0(VALU_DEP_1) | instskip(NEXT) | instid1(VALU_DEP_1)
	v_lshlrev_b64 v[83:84], 3, v[83:84]
	v_add_co_u32 v83, vcc_lo, v30, v83
	s_delay_alu instid0(VALU_DEP_2)
	v_add_co_ci_u32_e32 v84, vcc_lo, v81, v84, vcc_lo
	global_store_b64 v[83:84], v[7:8], off
	s_or_b32 exec_lo, exec_lo, s18
	s_and_saveexec_b32 s18, s3
	s_cbranch_execnz .LBB785_138
.LBB785_165:
	s_or_b32 exec_lo, exec_lo, s18
	s_and_saveexec_b32 s18, s1
	s_cbranch_execz .LBB785_167
.LBB785_166:
	v_sub_nc_u32_e32 v83, v59, v31
	v_mov_b32_e32 v84, 0
	s_delay_alu instid0(VALU_DEP_1) | instskip(NEXT) | instid1(VALU_DEP_1)
	v_lshlrev_b64 v[83:84], 3, v[83:84]
	v_add_co_u32 v83, vcc_lo, v30, v83
	s_delay_alu instid0(VALU_DEP_2)
	v_add_co_ci_u32_e32 v84, vcc_lo, v81, v84, vcc_lo
	global_store_b64 v[83:84], v[3:4], off
.LBB785_167:
	s_or_b32 exec_lo, exec_lo, s18
	s_delay_alu instid0(SALU_CYCLE_1)
	s_and_b32 s18, s0, exec_lo
	s_and_not1_saveexec_b32 s16, s16
	s_cbranch_execnz .LBB785_149
.LBB785_168:
	s_or_b32 exec_lo, exec_lo, s16
	s_delay_alu instid0(SALU_CYCLE_1)
	s_and_b32 exec_lo, exec_lo, s18
	s_cbranch_execz .LBB785_170
.LBB785_169:
	v_sub_nc_u32_e32 v83, v51, v31
	v_mov_b32_e32 v84, 0
	s_delay_alu instid0(VALU_DEP_1) | instskip(NEXT) | instid1(VALU_DEP_1)
	v_lshlrev_b64 v[83:84], 3, v[83:84]
	v_add_co_u32 v83, vcc_lo, v30, v83
	s_delay_alu instid0(VALU_DEP_2)
	v_add_co_ci_u32_e32 v84, vcc_lo, v81, v84, vcc_lo
	global_store_b64 v[83:84], v[37:38], off
.LBB785_170:
	s_or_b32 exec_lo, exec_lo, s17
	s_mov_b32 s17, 0
.LBB785_171:
	s_delay_alu instid0(SALU_CYCLE_1)
	s_and_b32 vcc_lo, exec_lo, s17
	s_cbranch_vccz .LBB785_212
; %bb.172:
	s_mov_b32 s16, exec_lo
	v_cmpx_gt_i16_e32 2, v82
	s_cbranch_execz .LBB785_208
; %bb.173:
	s_mov_b32 s18, 0
	s_mov_b32 s17, exec_lo
	v_cmpx_ne_u16_e32 1, v82
	s_xor_b32 s17, exec_lo, s17
	s_cbranch_execz .LBB785_188
; %bb.174:
	s_and_saveexec_b32 s18, s15
	s_cbranch_execz .LBB785_191
; %bb.175:
	v_sub_nc_u32_e32 v82, v55, v31
	s_delay_alu instid0(VALU_DEP_1)
	v_lshlrev_b32_e32 v82, 3, v82
	ds_store_b64 v82, v[25:26]
	s_or_b32 exec_lo, exec_lo, s18
	s_and_saveexec_b32 s15, s14
	s_cbranch_execnz .LBB785_192
.LBB785_176:
	s_or_b32 exec_lo, exec_lo, s15
	s_and_saveexec_b32 s14, s13
	s_cbranch_execz .LBB785_193
.LBB785_177:
	v_sub_nc_u32_e32 v25, v57, v31
	s_delay_alu instid0(VALU_DEP_1)
	v_lshlrev_b32_e32 v25, 3, v25
	ds_store_b64 v25, v[21:22]
	s_or_b32 exec_lo, exec_lo, s14
	s_and_saveexec_b32 s13, s12
	s_cbranch_execnz .LBB785_194
.LBB785_178:
	s_or_b32 exec_lo, exec_lo, s13
	s_and_saveexec_b32 s12, s11
	s_cbranch_execz .LBB785_195
.LBB785_179:
	v_sub_nc_u32_e32 v21, v47, v31
	s_delay_alu instid0(VALU_DEP_1)
	v_lshlrev_b32_e32 v21, 3, v21
	ds_store_b64 v21, v[17:18]
	s_or_b32 exec_lo, exec_lo, s12
	s_and_saveexec_b32 s11, s10
	s_cbranch_execnz .LBB785_196
.LBB785_180:
	s_or_b32 exec_lo, exec_lo, s11
	s_and_saveexec_b32 s10, s8
	s_cbranch_execz .LBB785_197
.LBB785_181:
	v_sub_nc_u32_e32 v17, v41, v31
	s_delay_alu instid0(VALU_DEP_1)
	v_lshlrev_b32_e32 v17, 3, v17
	ds_store_b64 v17, v[13:14]
	s_or_b32 exec_lo, exec_lo, s10
	s_and_saveexec_b32 s8, s6
	s_cbranch_execnz .LBB785_198
.LBB785_182:
	s_or_b32 exec_lo, exec_lo, s8
	s_and_saveexec_b32 s6, s9
	s_cbranch_execz .LBB785_199
.LBB785_183:
	v_sub_nc_u32_e32 v13, v49, v31
	s_delay_alu instid0(VALU_DEP_1)
	v_lshlrev_b32_e32 v13, 3, v13
	ds_store_b64 v13, v[9:10]
	s_or_b32 exec_lo, exec_lo, s6
	s_and_saveexec_b32 s6, s7
	s_cbranch_execnz .LBB785_200
.LBB785_184:
	s_or_b32 exec_lo, exec_lo, s6
	s_and_saveexec_b32 s6, s5
	s_cbranch_execz .LBB785_201
.LBB785_185:
	v_sub_nc_u32_e32 v9, v35, v31
	s_delay_alu instid0(VALU_DEP_1)
	v_lshlrev_b32_e32 v9, 3, v9
	ds_store_b64 v9, v[5:6]
	s_or_b32 exec_lo, exec_lo, s6
	s_and_saveexec_b32 s5, s4
	s_cbranch_execnz .LBB785_202
.LBB785_186:
	s_or_b32 exec_lo, exec_lo, s5
	s_and_saveexec_b32 s4, s3
	s_cbranch_execz .LBB785_203
.LBB785_187:
	v_sub_nc_u32_e32 v5, v63, v31
	s_delay_alu instid0(VALU_DEP_1)
	v_lshlrev_b32_e32 v5, 3, v5
	ds_store_b64 v5, v[1:2]
	s_or_b32 exec_lo, exec_lo, s4
	s_and_saveexec_b32 s3, s1
	s_cbranch_execnz .LBB785_204
	s_branch .LBB785_205
.LBB785_188:
	s_and_not1_saveexec_b32 s0, s17
	s_cbranch_execz .LBB785_206
.LBB785_189:
	v_sub_nc_u32_e32 v82, v55, v31
	v_sub_nc_u32_e32 v83, v61, v31
	;; [unrolled: 1-line block ×4, first 2 shown]
	s_or_b32 s18, s18, exec_lo
	v_lshlrev_b32_e32 v82, 3, v82
	v_lshlrev_b32_e32 v83, 3, v83
	;; [unrolled: 1-line block ×4, first 2 shown]
	ds_store_b64 v82, v[25:26]
	ds_store_b64 v83, v[27:28]
	;; [unrolled: 1-line block ×3, first 2 shown]
	v_sub_nc_u32_e32 v21, v47, v31
	v_sub_nc_u32_e32 v22, v43, v31
	ds_store_b64 v85, v[23:24]
	v_sub_nc_u32_e32 v23, v41, v31
	v_sub_nc_u32_e32 v24, v45, v31
	v_lshlrev_b32_e32 v21, 3, v21
	v_sub_nc_u32_e32 v25, v49, v31
	v_lshlrev_b32_e32 v22, 3, v22
	v_lshlrev_b32_e32 v23, 3, v23
	;; [unrolled: 1-line block ×3, first 2 shown]
	ds_store_b64 v21, v[17:18]
	v_lshlrev_b32_e32 v17, 3, v25
	ds_store_b64 v22, v[19:20]
	ds_store_b64 v23, v[13:14]
	;; [unrolled: 1-line block ×3, first 2 shown]
	v_sub_nc_u32_e32 v13, v33, v31
	v_sub_nc_u32_e32 v15, v59, v31
	;; [unrolled: 1-line block ×3, first 2 shown]
	ds_store_b64 v17, v[9:10]
	v_sub_nc_u32_e32 v9, v35, v31
	v_lshlrev_b32_e32 v13, 3, v13
	v_sub_nc_u32_e32 v10, v39, v31
	v_lshlrev_b32_e32 v14, 3, v14
	s_delay_alu instid0(VALU_DEP_4)
	v_lshlrev_b32_e32 v9, 3, v9
	ds_store_b64 v13, v[11:12]
	v_lshlrev_b32_e32 v11, 3, v15
	v_lshlrev_b32_e32 v10, 3, v10
	ds_store_b64 v9, v[5:6]
	ds_store_b64 v10, v[7:8]
	;; [unrolled: 1-line block ×4, first 2 shown]
	s_or_b32 exec_lo, exec_lo, s0
	s_delay_alu instid0(SALU_CYCLE_1)
	s_and_b32 exec_lo, exec_lo, s18
	s_cbranch_execnz .LBB785_207
	s_branch .LBB785_208
.LBB785_190:
	s_or_b32 exec_lo, exec_lo, s4
	v_mov_b32_e32 v93, s1
	s_and_saveexec_b32 s1, s42
	s_cbranch_execnz .LBB785_76
	s_branch .LBB785_77
.LBB785_191:
	s_or_b32 exec_lo, exec_lo, s18
	s_and_saveexec_b32 s15, s14
	s_cbranch_execz .LBB785_176
.LBB785_192:
	v_sub_nc_u32_e32 v25, v61, v31
	s_delay_alu instid0(VALU_DEP_1)
	v_lshlrev_b32_e32 v25, 3, v25
	ds_store_b64 v25, v[27:28]
	s_or_b32 exec_lo, exec_lo, s15
	s_and_saveexec_b32 s14, s13
	s_cbranch_execnz .LBB785_177
.LBB785_193:
	s_or_b32 exec_lo, exec_lo, s14
	s_and_saveexec_b32 s13, s12
	s_cbranch_execz .LBB785_178
.LBB785_194:
	v_sub_nc_u32_e32 v21, v53, v31
	s_delay_alu instid0(VALU_DEP_1)
	v_lshlrev_b32_e32 v21, 3, v21
	ds_store_b64 v21, v[23:24]
	s_or_b32 exec_lo, exec_lo, s13
	s_and_saveexec_b32 s12, s11
	s_cbranch_execnz .LBB785_179
.LBB785_195:
	s_or_b32 exec_lo, exec_lo, s12
	s_and_saveexec_b32 s11, s10
	s_cbranch_execz .LBB785_180
.LBB785_196:
	v_sub_nc_u32_e32 v17, v43, v31
	s_delay_alu instid0(VALU_DEP_1)
	v_lshlrev_b32_e32 v17, 3, v17
	ds_store_b64 v17, v[19:20]
	s_or_b32 exec_lo, exec_lo, s11
	s_and_saveexec_b32 s10, s8
	s_cbranch_execnz .LBB785_181
.LBB785_197:
	s_or_b32 exec_lo, exec_lo, s10
	s_and_saveexec_b32 s8, s6
	s_cbranch_execz .LBB785_182
.LBB785_198:
	v_sub_nc_u32_e32 v13, v45, v31
	s_delay_alu instid0(VALU_DEP_1)
	v_lshlrev_b32_e32 v13, 3, v13
	ds_store_b64 v13, v[15:16]
	s_or_b32 exec_lo, exec_lo, s8
	s_and_saveexec_b32 s6, s9
	s_cbranch_execnz .LBB785_183
.LBB785_199:
	s_or_b32 exec_lo, exec_lo, s6
	s_and_saveexec_b32 s6, s7
	s_cbranch_execz .LBB785_184
.LBB785_200:
	v_sub_nc_u32_e32 v9, v33, v31
	s_delay_alu instid0(VALU_DEP_1)
	v_lshlrev_b32_e32 v9, 3, v9
	ds_store_b64 v9, v[11:12]
	s_or_b32 exec_lo, exec_lo, s6
	s_and_saveexec_b32 s6, s5
	s_cbranch_execnz .LBB785_185
.LBB785_201:
	s_or_b32 exec_lo, exec_lo, s6
	s_and_saveexec_b32 s5, s4
	s_cbranch_execz .LBB785_186
.LBB785_202:
	v_sub_nc_u32_e32 v5, v39, v31
	s_delay_alu instid0(VALU_DEP_1)
	v_lshlrev_b32_e32 v5, 3, v5
	ds_store_b64 v5, v[7:8]
	s_or_b32 exec_lo, exec_lo, s5
	s_and_saveexec_b32 s4, s3
	s_cbranch_execnz .LBB785_187
.LBB785_203:
	s_or_b32 exec_lo, exec_lo, s4
	s_and_saveexec_b32 s3, s1
	s_cbranch_execz .LBB785_205
.LBB785_204:
	v_sub_nc_u32_e32 v1, v59, v31
	s_delay_alu instid0(VALU_DEP_1)
	v_lshlrev_b32_e32 v1, 3, v1
	ds_store_b64 v1, v[3:4]
.LBB785_205:
	s_or_b32 exec_lo, exec_lo, s3
	s_delay_alu instid0(SALU_CYCLE_1)
	s_and_b32 s18, s0, exec_lo
                                        ; implicit-def: $vgpr25_vgpr26
                                        ; implicit-def: $vgpr21_vgpr22
                                        ; implicit-def: $vgpr17_vgpr18
                                        ; implicit-def: $vgpr13_vgpr14
                                        ; implicit-def: $vgpr9_vgpr10
                                        ; implicit-def: $vgpr5_vgpr6
                                        ; implicit-def: $vgpr1_vgpr2
	s_and_not1_saveexec_b32 s0, s17
	s_cbranch_execnz .LBB785_189
.LBB785_206:
	s_or_b32 exec_lo, exec_lo, s0
	s_delay_alu instid0(SALU_CYCLE_1)
	s_and_b32 exec_lo, exec_lo, s18
	s_cbranch_execz .LBB785_208
.LBB785_207:
	v_sub_nc_u32_e32 v1, v51, v31
	s_delay_alu instid0(VALU_DEP_1)
	v_lshlrev_b32_e32 v1, 3, v1
	ds_store_b64 v1, v[37:38]
.LBB785_208:
	s_or_b32 exec_lo, exec_lo, s16
	s_delay_alu instid0(SALU_CYCLE_1)
	s_mov_b32 s1, exec_lo
	s_waitcnt lgkmcnt(0)
	s_waitcnt_vscnt null, 0x0
	s_barrier
	buffer_gl0_inv
	v_cmpx_lt_u32_e64 v0, v29
	s_cbranch_execz .LBB785_211
; %bb.209:
	v_dual_mov_b32 v2, 0 :: v_dual_lshlrev_b32 v3, 3, v0
	v_mov_b32_e32 v1, v0
	s_mov_b32 s3, 0
	.p2align	6
.LBB785_210:                            ; =>This Inner Loop Header: Depth=1
	ds_load_b64 v[4:5], v3
	v_lshlrev_b64 v[6:7], 3, v[1:2]
	v_add_nc_u32_e32 v1, 0x100, v1
	v_add_nc_u32_e32 v3, 0x800, v3
	s_delay_alu instid0(VALU_DEP_2) | instskip(NEXT) | instid1(VALU_DEP_4)
	v_cmp_ge_u32_e32 vcc_lo, v1, v29
	v_add_co_u32 v6, s0, v30, v6
	s_delay_alu instid0(VALU_DEP_1)
	v_add_co_ci_u32_e64 v7, s0, v81, v7, s0
	s_or_b32 s3, vcc_lo, s3
	s_waitcnt lgkmcnt(0)
	global_store_b64 v[6:7], v[4:5], off
	s_and_not1_b32 exec_lo, exec_lo, s3
	s_cbranch_execnz .LBB785_210
.LBB785_211:
	s_or_b32 exec_lo, exec_lo, s1
.LBB785_212:
	s_cmpk_lg_i32 s40, 0xf00
	v_cndmask_b32_e64 v8, 0, 1, s41
	s_cselect_b32 s0, -1, 0
	v_mad_i32_i24 v4, v0, -15, s40
	s_and_b32 s0, s0, s33
	s_and_b32 s1, s2, s41
	v_cndmask_b32_e64 v2, 0, 1, s0
	s_mul_hi_u32 s0, s40, 0x88888889
	v_sub_nc_u32_e32 v1, v29, v8
	s_lshr_b32 s0, s0, 3
	v_cndmask_b32_e64 v5, v93, 0, s1
	v_cmp_eq_u32_e32 vcc_lo, s0, v0
	v_cmp_ne_u32_e64 s0, 0, v4
	s_mov_b32 s16, -1
	s_waitcnt_vscnt null, 0x0
	s_barrier
	s_and_b32 vcc_lo, vcc_lo, s33
	v_add_nc_u32_e32 v3, v1, v2
	v_cndmask_b32_e64 v1, 1, v5, s0
	v_cmp_ne_u32_e64 s0, 1, v4
	buffer_gl0_inv
	v_cndmask_b32_e64 v2, 1, v80, s0
	v_cmp_ne_u32_e64 s0, 2, v4
	s_delay_alu instid0(VALU_DEP_2) | instskip(NEXT) | instid1(VALU_DEP_2)
	v_dual_cndmask_b32 v12, v5, v1 :: v_dual_cndmask_b32 v13, v80, v2
	v_cndmask_b32_e64 v6, 1, v79, s0
	v_cmp_ne_u32_e64 s0, 14, v4
	s_delay_alu instid0(VALU_DEP_3) | instskip(NEXT) | instid1(VALU_DEP_4)
	v_cmp_ne_u32_e64 s14, 0, v12
	v_cmp_ne_u32_e64 s13, 0, v13
	s_delay_alu instid0(VALU_DEP_4) | instskip(NEXT) | instid1(VALU_DEP_4)
	v_cndmask_b32_e32 v14, v79, v6, vcc_lo
	v_cndmask_b32_e64 v7, 1, v73, s0
	v_cmp_ne_u32_e64 s0, 3, v4
	s_delay_alu instid0(VALU_DEP_3) | instskip(NEXT) | instid1(VALU_DEP_3)
	v_cmp_ne_u32_e64 s12, 0, v14
	v_cndmask_b32_e32 v11, v73, v7, vcc_lo
	s_delay_alu instid0(VALU_DEP_3) | instskip(SKIP_1) | instid1(VALU_DEP_1)
	v_cndmask_b32_e64 v9, 1, v78, s0
	v_cmp_ne_u32_e64 s0, 4, v4
	v_cndmask_b32_e64 v10, 1, v77, s0
	v_cmp_ne_u32_e64 s0, 5, v4
	s_delay_alu instid0(VALU_DEP_2) | instskip(NEXT) | instid1(VALU_DEP_2)
	v_dual_cndmask_b32 v9, v78, v9 :: v_dual_cndmask_b32 v10, v77, v10
	v_cndmask_b32_e64 v1, 1, v76, s0
	v_cmp_ne_u32_e64 s0, 6, v4
	s_delay_alu instid0(VALU_DEP_3) | instskip(NEXT) | instid1(VALU_DEP_4)
	v_cmp_ne_u32_e64 s11, 0, v9
	v_cmp_ne_u32_e64 s10, 0, v10
	s_delay_alu instid0(VALU_DEP_4) | instskip(NEXT) | instid1(VALU_DEP_4)
	v_cndmask_b32_e32 v18, v76, v1, vcc_lo
	v_cndmask_b32_e64 v2, 1, v75, s0
	v_cmp_eq_u32_e64 s0, 0, v12
	s_delay_alu instid0(VALU_DEP_3) | instskip(NEXT) | instid1(VALU_DEP_3)
	v_cmp_ne_u32_e64 s9, 0, v18
	v_cndmask_b32_e32 v20, v75, v2, vcc_lo
	s_delay_alu instid0(VALU_DEP_3) | instskip(SKIP_1) | instid1(VALU_DEP_3)
	v_cndmask_b32_e64 v5, 1, 2, s0
	v_cmp_eq_u32_e64 s0, 0, v13
	v_cmp_ne_u32_e64 s8, 0, v20
	s_delay_alu instid0(VALU_DEP_2) | instskip(SKIP_1) | instid1(VALU_DEP_2)
	v_cndmask_b32_e64 v7, 1, 2, s0
	v_cmp_ne_u32_e64 s0, 7, v4
	v_and_b32_e32 v5, v7, v5
	s_delay_alu instid0(VALU_DEP_2) | instskip(SKIP_1) | instid1(VALU_DEP_2)
	v_cndmask_b32_e64 v6, 1, v74, s0
	v_cmp_eq_u32_e64 s0, 0, v14
	v_cndmask_b32_e32 v21, v74, v6, vcc_lo
	s_delay_alu instid0(VALU_DEP_2) | instskip(SKIP_1) | instid1(VALU_DEP_3)
	v_cndmask_b32_e64 v7, 1, 2, s0
	v_cmp_ne_u32_e64 s0, 8, v4
	v_cmp_ne_u32_e64 s7, 0, v21
	s_delay_alu instid0(VALU_DEP_3) | instskip(NEXT) | instid1(VALU_DEP_3)
	v_and_b32_e32 v5, v5, v7
	v_cndmask_b32_e64 v15, 1, v72, s0
	v_cmp_ne_u32_e64 s0, 9, v4
	s_delay_alu instid0(VALU_DEP_2) | instskip(NEXT) | instid1(VALU_DEP_2)
	v_cndmask_b32_e32 v15, v72, v15, vcc_lo
	v_cndmask_b32_e64 v16, 1, v71, s0
	v_cmp_eq_u32_e64 s0, 0, v9
	s_delay_alu instid0(VALU_DEP_2) | instskip(NEXT) | instid1(VALU_DEP_2)
	v_cndmask_b32_e32 v16, v71, v16, vcc_lo
	v_cndmask_b32_e64 v7, 1, 2, s0
	v_cmp_ne_u32_e64 s0, 10, v4
	s_delay_alu instid0(VALU_DEP_3) | instskip(NEXT) | instid1(VALU_DEP_3)
	v_cmp_ne_u32_e64 s5, 0, v16
	v_and_b32_e32 v1, v5, v7
	s_delay_alu instid0(VALU_DEP_3) | instskip(SKIP_1) | instid1(VALU_DEP_2)
	v_cndmask_b32_e64 v17, 1, v70, s0
	v_cmp_eq_u32_e64 s0, 0, v10
	v_cndmask_b32_e32 v17, v70, v17, vcc_lo
	s_delay_alu instid0(VALU_DEP_2) | instskip(SKIP_1) | instid1(VALU_DEP_3)
	v_cndmask_b32_e64 v5, 1, 2, s0
	v_cmp_ne_u32_e64 s0, 11, v4
	v_cmp_ne_u32_e64 s4, 0, v17
	s_delay_alu instid0(VALU_DEP_3) | instskip(NEXT) | instid1(VALU_DEP_3)
	v_and_b32_e32 v1, v1, v5
	v_cndmask_b32_e64 v7, 1, v69, s0
	v_cmp_ne_u32_e64 s0, 13, v4
	s_delay_alu instid0(VALU_DEP_2) | instskip(NEXT) | instid1(VALU_DEP_2)
	v_cndmask_b32_e32 v23, v69, v7, vcc_lo
	v_cndmask_b32_e64 v19, 1, v67, s0
	v_cmp_eq_u32_e64 s0, 0, v18
	s_delay_alu instid0(VALU_DEP_1) | instskip(SKIP_1) | instid1(VALU_DEP_2)
	v_cndmask_b32_e64 v5, 1, 2, s0
	v_cmp_ne_u32_e64 s0, 12, v4
	v_and_b32_e32 v1, v1, v5
	s_delay_alu instid0(VALU_DEP_2) | instskip(SKIP_1) | instid1(VALU_DEP_2)
	v_cndmask_b32_e64 v2, 1, v68, s0
	v_cmp_eq_u32_e64 s0, 0, v20
	v_cndmask_b32_e32 v22, v68, v2, vcc_lo
	s_delay_alu instid0(VALU_DEP_2)
	v_cndmask_b32_e64 v4, 1, 2, s0
	v_cmp_eq_u32_e64 s0, 0, v21
	v_cndmask_b32_e32 v19, v67, v19, vcc_lo
	v_cmp_eq_u32_e32 vcc_lo, 0, v15
	v_cmp_ne_u32_e64 s2, 0, v22
	v_and_b32_e32 v6, v1, v4
	v_lshlrev_b64 v[1:2], 2, v[65:66]
	v_cndmask_b32_e64 v7, 1, 2, s0
	v_lshlrev_b64 v[4:5], 2, v[31:32]
	v_cmp_ne_u32_e64 s1, 0, v19
	v_cmp_ne_u32_e64 s0, 0, v11
	s_delay_alu instid0(VALU_DEP_4) | instskip(SKIP_4) | instid1(VALU_DEP_4)
	v_and_b32_e32 v6, v6, v7
	v_cndmask_b32_e64 v7, 1, 2, vcc_lo
	v_add_co_u32 v1, vcc_lo, s28, v1
	v_add_co_ci_u32_e32 v2, vcc_lo, s29, v2, vcc_lo
	v_cmp_eq_u32_e32 vcc_lo, 0, v16
	v_and_b32_e32 v6, v6, v7
	v_cndmask_b32_e64 v7, 1, 2, vcc_lo
	v_add_co_u32 v4, vcc_lo, v1, v4
	v_add_co_ci_u32_e32 v5, vcc_lo, v2, v5, vcc_lo
	v_cmp_eq_u32_e32 vcc_lo, 0, v17
	v_lshlrev_b32_e32 v1, 2, v8
	v_and_b32_e32 v2, v6, v7
	v_cndmask_b32_e64 v6, 1, 2, vcc_lo
	s_delay_alu instid0(VALU_DEP_3) | instskip(SKIP_1) | instid1(VALU_DEP_3)
	v_add_co_u32 v1, vcc_lo, v1, v4
	v_add_co_ci_u32_e32 v7, vcc_lo, 0, v5, vcc_lo
	v_and_b32_e32 v2, v2, v6
	v_cmp_eq_u32_e32 vcc_lo, 0, v23
	v_cmp_ne_u32_e64 s3, 0, v23
	v_cndmask_b32_e64 v24, 1, 2, vcc_lo
	v_add_co_u32 v6, vcc_lo, v1, -4
	v_add_co_ci_u32_e32 v7, vcc_lo, -1, v7, vcc_lo
	v_cmp_eq_u32_e32 vcc_lo, 0, v22
	v_add_nc_u32_e32 v1, v31, v8
	v_and_b32_e32 v2, v2, v24
	v_cmp_ne_u32_e64 s6, 0, v15
	v_cndmask_b32_e64 v8, 1, 2, vcc_lo
	v_cmp_eq_u32_e32 vcc_lo, 0, v19
	s_delay_alu instid0(VALU_DEP_2) | instskip(SKIP_2) | instid1(VALU_DEP_2)
	v_and_b32_e32 v2, v2, v8
	v_cndmask_b32_e64 v8, 1, 2, vcc_lo
	v_cmp_eq_u32_e32 vcc_lo, 0, v11
	v_and_b32_e32 v2, v2, v8
	v_cndmask_b32_e64 v8, 1, 2, vcc_lo
	v_cmp_gt_u32_e32 vcc_lo, 0x100, v3
	s_delay_alu instid0(VALU_DEP_2) | instskip(NEXT) | instid1(VALU_DEP_1)
	v_and_b32_e32 v2, v2, v8
	v_cmp_gt_i16_e64 s15, 2, v2
	s_cbranch_vccz .LBB785_229
; %bb.213:
	s_delay_alu instid0(VALU_DEP_1)
	s_and_saveexec_b32 s16, s15
	s_cbranch_execz .LBB785_267
; %bb.214:
	s_mov_b32 s17, 0
	s_mov_b32 s15, exec_lo
	v_cmpx_ne_u16_e32 1, v2
	s_xor_b32 s15, exec_lo, s15
	s_cbranch_execz .LBB785_246
; %bb.215:
	s_and_saveexec_b32 s17, s14
	s_cbranch_execz .LBB785_250
; %bb.216:
	v_sub_nc_u32_e32 v8, v55, v1
	v_mov_b32_e32 v9, 0
	s_delay_alu instid0(VALU_DEP_1) | instskip(NEXT) | instid1(VALU_DEP_1)
	v_lshlrev_b64 v[8:9], 2, v[8:9]
	v_add_co_u32 v8, vcc_lo, v6, v8
	s_delay_alu instid0(VALU_DEP_2)
	v_add_co_ci_u32_e32 v9, vcc_lo, v7, v9, vcc_lo
	global_store_b32 v[8:9], v56, off
	s_or_b32 exec_lo, exec_lo, s17
	s_and_saveexec_b32 s17, s13
	s_cbranch_execnz .LBB785_251
.LBB785_217:
	s_or_b32 exec_lo, exec_lo, s17
	s_and_saveexec_b32 s17, s12
	s_cbranch_execz .LBB785_252
.LBB785_218:
	v_sub_nc_u32_e32 v8, v57, v1
	v_mov_b32_e32 v9, 0
	s_delay_alu instid0(VALU_DEP_1) | instskip(NEXT) | instid1(VALU_DEP_1)
	v_lshlrev_b64 v[8:9], 2, v[8:9]
	v_add_co_u32 v8, vcc_lo, v6, v8
	s_delay_alu instid0(VALU_DEP_2)
	v_add_co_ci_u32_e32 v9, vcc_lo, v7, v9, vcc_lo
	global_store_b32 v[8:9], v58, off
	s_or_b32 exec_lo, exec_lo, s17
	s_and_saveexec_b32 s17, s11
	s_cbranch_execnz .LBB785_253
.LBB785_219:
	s_or_b32 exec_lo, exec_lo, s17
	s_and_saveexec_b32 s17, s10
	s_cbranch_execz .LBB785_254
.LBB785_220:
	v_sub_nc_u32_e32 v8, v47, v1
	v_mov_b32_e32 v9, 0
	s_delay_alu instid0(VALU_DEP_1) | instskip(NEXT) | instid1(VALU_DEP_1)
	v_lshlrev_b64 v[8:9], 2, v[8:9]
	v_add_co_u32 v8, vcc_lo, v6, v8
	s_delay_alu instid0(VALU_DEP_2)
	v_add_co_ci_u32_e32 v9, vcc_lo, v7, v9, vcc_lo
	global_store_b32 v[8:9], v48, off
	s_or_b32 exec_lo, exec_lo, s17
	s_and_saveexec_b32 s17, s9
	s_cbranch_execnz .LBB785_255
.LBB785_221:
	s_or_b32 exec_lo, exec_lo, s17
	s_and_saveexec_b32 s17, s8
	s_cbranch_execz .LBB785_256
.LBB785_222:
	v_sub_nc_u32_e32 v8, v41, v1
	v_mov_b32_e32 v9, 0
	s_delay_alu instid0(VALU_DEP_1) | instskip(NEXT) | instid1(VALU_DEP_1)
	v_lshlrev_b64 v[8:9], 2, v[8:9]
	v_add_co_u32 v8, vcc_lo, v6, v8
	s_delay_alu instid0(VALU_DEP_2)
	v_add_co_ci_u32_e32 v9, vcc_lo, v7, v9, vcc_lo
	global_store_b32 v[8:9], v42, off
	s_or_b32 exec_lo, exec_lo, s17
	s_and_saveexec_b32 s17, s7
	s_cbranch_execnz .LBB785_257
.LBB785_223:
	s_or_b32 exec_lo, exec_lo, s17
	s_and_saveexec_b32 s17, s6
	s_cbranch_execz .LBB785_258
.LBB785_224:
	v_sub_nc_u32_e32 v8, v49, v1
	v_mov_b32_e32 v9, 0
	s_delay_alu instid0(VALU_DEP_1) | instskip(NEXT) | instid1(VALU_DEP_1)
	v_lshlrev_b64 v[8:9], 2, v[8:9]
	v_add_co_u32 v8, vcc_lo, v6, v8
	s_delay_alu instid0(VALU_DEP_2)
	v_add_co_ci_u32_e32 v9, vcc_lo, v7, v9, vcc_lo
	global_store_b32 v[8:9], v50, off
	s_or_b32 exec_lo, exec_lo, s17
	s_and_saveexec_b32 s17, s5
	s_cbranch_execnz .LBB785_259
.LBB785_225:
	s_or_b32 exec_lo, exec_lo, s17
	s_and_saveexec_b32 s17, s4
	s_cbranch_execz .LBB785_260
.LBB785_226:
	v_sub_nc_u32_e32 v8, v35, v1
	v_mov_b32_e32 v9, 0
	s_delay_alu instid0(VALU_DEP_1) | instskip(NEXT) | instid1(VALU_DEP_1)
	v_lshlrev_b64 v[8:9], 2, v[8:9]
	v_add_co_u32 v8, vcc_lo, v6, v8
	s_delay_alu instid0(VALU_DEP_2)
	v_add_co_ci_u32_e32 v9, vcc_lo, v7, v9, vcc_lo
	global_store_b32 v[8:9], v36, off
	s_or_b32 exec_lo, exec_lo, s17
	s_and_saveexec_b32 s17, s3
	s_cbranch_execnz .LBB785_261
.LBB785_227:
	s_or_b32 exec_lo, exec_lo, s17
	s_and_saveexec_b32 s17, s2
	s_cbranch_execz .LBB785_262
.LBB785_228:
	v_sub_nc_u32_e32 v8, v63, v1
	v_mov_b32_e32 v9, 0
	s_delay_alu instid0(VALU_DEP_1) | instskip(NEXT) | instid1(VALU_DEP_1)
	v_lshlrev_b64 v[8:9], 2, v[8:9]
	v_add_co_u32 v8, vcc_lo, v6, v8
	s_delay_alu instid0(VALU_DEP_2)
	v_add_co_ci_u32_e32 v9, vcc_lo, v7, v9, vcc_lo
	global_store_b32 v[8:9], v64, off
	s_or_b32 exec_lo, exec_lo, s17
	s_and_saveexec_b32 s17, s1
	s_cbranch_execnz .LBB785_263
	s_branch .LBB785_264
.LBB785_229:
	s_and_b32 vcc_lo, exec_lo, s16
	s_cbranch_vccz .LBB785_268
; %bb.230:
	s_mov_b32 s15, exec_lo
	v_cmpx_gt_i16_e32 2, v2
	s_cbranch_execz .LBB785_286
; %bb.231:
	s_mov_b32 s17, 0
	s_mov_b32 s16, exec_lo
	v_cmpx_ne_u16_e32 1, v2
	s_xor_b32 s16, exec_lo, s16
	s_cbranch_execz .LBB785_248
; %bb.232:
	s_and_saveexec_b32 s17, s14
	s_cbranch_execz .LBB785_269
; %bb.233:
	v_sub_nc_u32_e32 v2, v55, v1
	s_delay_alu instid0(VALU_DEP_1)
	v_lshlrev_b32_e32 v2, 2, v2
	ds_store_b32 v2, v56
	s_or_b32 exec_lo, exec_lo, s17
	s_and_saveexec_b32 s14, s13
	s_cbranch_execnz .LBB785_270
.LBB785_234:
	s_or_b32 exec_lo, exec_lo, s14
	s_and_saveexec_b32 s13, s12
	s_cbranch_execz .LBB785_271
.LBB785_235:
	v_sub_nc_u32_e32 v2, v57, v1
	s_delay_alu instid0(VALU_DEP_1)
	v_lshlrev_b32_e32 v2, 2, v2
	ds_store_b32 v2, v58
	s_or_b32 exec_lo, exec_lo, s13
	s_and_saveexec_b32 s12, s11
	s_cbranch_execnz .LBB785_272
.LBB785_236:
	s_or_b32 exec_lo, exec_lo, s12
	s_and_saveexec_b32 s11, s10
	s_cbranch_execz .LBB785_273
.LBB785_237:
	v_sub_nc_u32_e32 v2, v47, v1
	s_delay_alu instid0(VALU_DEP_1)
	v_lshlrev_b32_e32 v2, 2, v2
	ds_store_b32 v2, v48
	s_or_b32 exec_lo, exec_lo, s11
	s_and_saveexec_b32 s10, s9
	s_cbranch_execnz .LBB785_274
.LBB785_238:
	s_or_b32 exec_lo, exec_lo, s10
	s_and_saveexec_b32 s9, s8
	s_cbranch_execz .LBB785_275
.LBB785_239:
	v_sub_nc_u32_e32 v2, v41, v1
	s_delay_alu instid0(VALU_DEP_1)
	v_lshlrev_b32_e32 v2, 2, v2
	ds_store_b32 v2, v42
	s_or_b32 exec_lo, exec_lo, s9
	s_and_saveexec_b32 s8, s7
	s_cbranch_execnz .LBB785_276
.LBB785_240:
	s_or_b32 exec_lo, exec_lo, s8
	s_and_saveexec_b32 s7, s6
	s_cbranch_execz .LBB785_277
.LBB785_241:
	v_sub_nc_u32_e32 v2, v49, v1
	s_delay_alu instid0(VALU_DEP_1)
	v_lshlrev_b32_e32 v2, 2, v2
	ds_store_b32 v2, v50
	s_or_b32 exec_lo, exec_lo, s7
	s_and_saveexec_b32 s6, s5
	s_cbranch_execnz .LBB785_278
.LBB785_242:
	s_or_b32 exec_lo, exec_lo, s6
	s_and_saveexec_b32 s5, s4
	s_cbranch_execz .LBB785_279
.LBB785_243:
	v_sub_nc_u32_e32 v2, v35, v1
	s_delay_alu instid0(VALU_DEP_1)
	v_lshlrev_b32_e32 v2, 2, v2
	ds_store_b32 v2, v36
	s_or_b32 exec_lo, exec_lo, s5
	s_and_saveexec_b32 s4, s3
	s_cbranch_execnz .LBB785_280
.LBB785_244:
	s_or_b32 exec_lo, exec_lo, s4
	s_and_saveexec_b32 s3, s2
	s_cbranch_execz .LBB785_281
.LBB785_245:
	v_sub_nc_u32_e32 v2, v63, v1
	s_delay_alu instid0(VALU_DEP_1)
	v_lshlrev_b32_e32 v2, 2, v2
	ds_store_b32 v2, v64
	s_or_b32 exec_lo, exec_lo, s3
	s_and_saveexec_b32 s2, s1
	s_cbranch_execnz .LBB785_282
	s_branch .LBB785_283
.LBB785_246:
	s_and_not1_saveexec_b32 s15, s15
	s_cbranch_execz .LBB785_265
.LBB785_247:
	v_sub_nc_u32_e32 v8, v55, v1
	v_mov_b32_e32 v9, 0
	s_or_b32 s17, s17, exec_lo
	s_delay_alu instid0(VALU_DEP_1) | instskip(SKIP_1) | instid1(VALU_DEP_1)
	v_lshlrev_b64 v[10:11], 2, v[8:9]
	v_sub_nc_u32_e32 v8, v61, v1
	v_lshlrev_b64 v[12:13], 2, v[8:9]
	v_sub_nc_u32_e32 v8, v57, v1
	s_delay_alu instid0(VALU_DEP_4) | instskip(SKIP_1) | instid1(VALU_DEP_3)
	v_add_co_u32 v10, vcc_lo, v6, v10
	v_add_co_ci_u32_e32 v11, vcc_lo, v7, v11, vcc_lo
	v_lshlrev_b64 v[14:15], 2, v[8:9]
	v_sub_nc_u32_e32 v8, v53, v1
	v_add_co_u32 v12, vcc_lo, v6, v12
	v_add_co_ci_u32_e32 v13, vcc_lo, v7, v13, vcc_lo
	global_store_b32 v[10:11], v56, off
	v_lshlrev_b64 v[10:11], 2, v[8:9]
	v_sub_nc_u32_e32 v8, v47, v1
	global_store_b32 v[12:13], v62, off
	v_add_co_u32 v12, vcc_lo, v6, v14
	v_add_co_ci_u32_e32 v13, vcc_lo, v7, v15, vcc_lo
	v_lshlrev_b64 v[14:15], 2, v[8:9]
	v_sub_nc_u32_e32 v8, v43, v1
	v_add_co_u32 v10, vcc_lo, v6, v10
	v_add_co_ci_u32_e32 v11, vcc_lo, v7, v11, vcc_lo
	s_delay_alu instid0(VALU_DEP_3) | instskip(SKIP_3) | instid1(VALU_DEP_3)
	v_lshlrev_b64 v[16:17], 2, v[8:9]
	v_sub_nc_u32_e32 v8, v41, v1
	v_add_co_u32 v14, vcc_lo, v6, v14
	v_add_co_ci_u32_e32 v15, vcc_lo, v7, v15, vcc_lo
	v_lshlrev_b64 v[18:19], 2, v[8:9]
	v_sub_nc_u32_e32 v8, v45, v1
	v_add_co_u32 v16, vcc_lo, v6, v16
	v_add_co_ci_u32_e32 v17, vcc_lo, v7, v17, vcc_lo
	s_clause 0x3
	global_store_b32 v[12:13], v58, off
	global_store_b32 v[10:11], v54, off
	;; [unrolled: 1-line block ×4, first 2 shown]
	v_lshlrev_b64 v[10:11], 2, v[8:9]
	v_sub_nc_u32_e32 v8, v49, v1
	v_add_co_u32 v12, vcc_lo, v6, v18
	v_add_co_ci_u32_e32 v13, vcc_lo, v7, v19, vcc_lo
	s_delay_alu instid0(VALU_DEP_3) | instskip(SKIP_3) | instid1(VALU_DEP_3)
	v_lshlrev_b64 v[14:15], 2, v[8:9]
	v_sub_nc_u32_e32 v8, v33, v1
	v_add_co_u32 v10, vcc_lo, v6, v10
	v_add_co_ci_u32_e32 v11, vcc_lo, v7, v11, vcc_lo
	v_lshlrev_b64 v[16:17], 2, v[8:9]
	v_sub_nc_u32_e32 v8, v35, v1
	v_add_co_u32 v14, vcc_lo, v6, v14
	v_add_co_ci_u32_e32 v15, vcc_lo, v7, v15, vcc_lo
	s_delay_alu instid0(VALU_DEP_3)
	v_lshlrev_b64 v[18:19], 2, v[8:9]
	v_sub_nc_u32_e32 v8, v39, v1
	v_add_co_u32 v16, vcc_lo, v6, v16
	v_add_co_ci_u32_e32 v17, vcc_lo, v7, v17, vcc_lo
	s_clause 0x3
	global_store_b32 v[12:13], v42, off
	global_store_b32 v[10:11], v46, off
	;; [unrolled: 1-line block ×4, first 2 shown]
	v_lshlrev_b64 v[10:11], 2, v[8:9]
	v_sub_nc_u32_e32 v8, v63, v1
	v_add_co_u32 v12, vcc_lo, v6, v18
	v_add_co_ci_u32_e32 v13, vcc_lo, v7, v19, vcc_lo
	s_delay_alu instid0(VALU_DEP_3) | instskip(SKIP_3) | instid1(VALU_DEP_3)
	v_lshlrev_b64 v[14:15], 2, v[8:9]
	v_sub_nc_u32_e32 v8, v59, v1
	v_add_co_u32 v10, vcc_lo, v6, v10
	v_add_co_ci_u32_e32 v11, vcc_lo, v7, v11, vcc_lo
	v_lshlrev_b64 v[8:9], 2, v[8:9]
	v_add_co_u32 v14, vcc_lo, v6, v14
	v_add_co_ci_u32_e32 v15, vcc_lo, v7, v15, vcc_lo
	s_clause 0x2
	global_store_b32 v[12:13], v36, off
	global_store_b32 v[10:11], v40, off
	;; [unrolled: 1-line block ×3, first 2 shown]
	v_add_co_u32 v8, vcc_lo, v6, v8
	v_add_co_ci_u32_e32 v9, vcc_lo, v7, v9, vcc_lo
	global_store_b32 v[8:9], v60, off
	s_or_b32 exec_lo, exec_lo, s15
	s_delay_alu instid0(SALU_CYCLE_1)
	s_and_b32 exec_lo, exec_lo, s17
	s_cbranch_execnz .LBB785_266
	s_branch .LBB785_267
.LBB785_248:
	s_and_not1_saveexec_b32 s0, s16
	s_cbranch_execz .LBB785_284
.LBB785_249:
	v_sub_nc_u32_e32 v2, v55, v1
	v_sub_nc_u32_e32 v8, v61, v1
	;; [unrolled: 1-line block ×5, first 2 shown]
	v_lshlrev_b32_e32 v2, 2, v2
	v_lshlrev_b32_e32 v8, 2, v8
	;; [unrolled: 1-line block ×4, first 2 shown]
	s_or_b32 s17, s17, exec_lo
	ds_store_b32 v2, v56
	ds_store_b32 v8, v62
	;; [unrolled: 1-line block ×3, first 2 shown]
	v_sub_nc_u32_e32 v2, v47, v1
	v_sub_nc_u32_e32 v8, v43, v1
	;; [unrolled: 1-line block ×3, first 2 shown]
	ds_store_b32 v10, v54
	v_sub_nc_u32_e32 v10, v45, v1
	v_lshlrev_b32_e32 v2, 2, v2
	v_lshlrev_b32_e32 v8, 2, v8
	;; [unrolled: 1-line block ×3, first 2 shown]
	s_delay_alu instid0(VALU_DEP_4)
	v_lshlrev_b32_e32 v10, 2, v10
	ds_store_b32 v2, v48
	v_lshlrev_b32_e32 v2, 2, v11
	ds_store_b32 v8, v44
	ds_store_b32 v9, v42
	;; [unrolled: 1-line block ×3, first 2 shown]
	v_sub_nc_u32_e32 v8, v33, v1
	v_sub_nc_u32_e32 v11, v59, v1
	;; [unrolled: 1-line block ×3, first 2 shown]
	ds_store_b32 v2, v50
	v_sub_nc_u32_e32 v2, v35, v1
	v_lshlrev_b32_e32 v8, 2, v8
	v_sub_nc_u32_e32 v10, v63, v1
	v_lshlrev_b32_e32 v9, 2, v9
	s_delay_alu instid0(VALU_DEP_4)
	v_lshlrev_b32_e32 v2, 2, v2
	ds_store_b32 v8, v34
	v_lshlrev_b32_e32 v8, 2, v11
	v_lshlrev_b32_e32 v10, 2, v10
	ds_store_b32 v2, v36
	ds_store_b32 v9, v40
	;; [unrolled: 1-line block ×4, first 2 shown]
	s_or_b32 exec_lo, exec_lo, s0
	s_delay_alu instid0(SALU_CYCLE_1)
	s_and_b32 exec_lo, exec_lo, s17
	s_cbranch_execnz .LBB785_285
	s_branch .LBB785_286
.LBB785_250:
	s_or_b32 exec_lo, exec_lo, s17
	s_and_saveexec_b32 s17, s13
	s_cbranch_execz .LBB785_217
.LBB785_251:
	v_sub_nc_u32_e32 v8, v61, v1
	v_mov_b32_e32 v9, 0
	s_delay_alu instid0(VALU_DEP_1) | instskip(NEXT) | instid1(VALU_DEP_1)
	v_lshlrev_b64 v[8:9], 2, v[8:9]
	v_add_co_u32 v8, vcc_lo, v6, v8
	s_delay_alu instid0(VALU_DEP_2)
	v_add_co_ci_u32_e32 v9, vcc_lo, v7, v9, vcc_lo
	global_store_b32 v[8:9], v62, off
	s_or_b32 exec_lo, exec_lo, s17
	s_and_saveexec_b32 s17, s12
	s_cbranch_execnz .LBB785_218
.LBB785_252:
	s_or_b32 exec_lo, exec_lo, s17
	s_and_saveexec_b32 s17, s11
	s_cbranch_execz .LBB785_219
.LBB785_253:
	v_sub_nc_u32_e32 v8, v53, v1
	v_mov_b32_e32 v9, 0
	s_delay_alu instid0(VALU_DEP_1) | instskip(NEXT) | instid1(VALU_DEP_1)
	v_lshlrev_b64 v[8:9], 2, v[8:9]
	v_add_co_u32 v8, vcc_lo, v6, v8
	s_delay_alu instid0(VALU_DEP_2)
	v_add_co_ci_u32_e32 v9, vcc_lo, v7, v9, vcc_lo
	global_store_b32 v[8:9], v54, off
	s_or_b32 exec_lo, exec_lo, s17
	s_and_saveexec_b32 s17, s10
	s_cbranch_execnz .LBB785_220
.LBB785_254:
	s_or_b32 exec_lo, exec_lo, s17
	s_and_saveexec_b32 s17, s9
	s_cbranch_execz .LBB785_221
.LBB785_255:
	v_sub_nc_u32_e32 v8, v43, v1
	v_mov_b32_e32 v9, 0
	s_delay_alu instid0(VALU_DEP_1) | instskip(NEXT) | instid1(VALU_DEP_1)
	v_lshlrev_b64 v[8:9], 2, v[8:9]
	v_add_co_u32 v8, vcc_lo, v6, v8
	s_delay_alu instid0(VALU_DEP_2)
	v_add_co_ci_u32_e32 v9, vcc_lo, v7, v9, vcc_lo
	global_store_b32 v[8:9], v44, off
	s_or_b32 exec_lo, exec_lo, s17
	s_and_saveexec_b32 s17, s8
	s_cbranch_execnz .LBB785_222
.LBB785_256:
	s_or_b32 exec_lo, exec_lo, s17
	s_and_saveexec_b32 s17, s7
	s_cbranch_execz .LBB785_223
.LBB785_257:
	v_sub_nc_u32_e32 v8, v45, v1
	v_mov_b32_e32 v9, 0
	s_delay_alu instid0(VALU_DEP_1) | instskip(NEXT) | instid1(VALU_DEP_1)
	v_lshlrev_b64 v[8:9], 2, v[8:9]
	v_add_co_u32 v8, vcc_lo, v6, v8
	s_delay_alu instid0(VALU_DEP_2)
	v_add_co_ci_u32_e32 v9, vcc_lo, v7, v9, vcc_lo
	global_store_b32 v[8:9], v46, off
	s_or_b32 exec_lo, exec_lo, s17
	s_and_saveexec_b32 s17, s6
	s_cbranch_execnz .LBB785_224
.LBB785_258:
	s_or_b32 exec_lo, exec_lo, s17
	s_and_saveexec_b32 s17, s5
	s_cbranch_execz .LBB785_225
.LBB785_259:
	v_sub_nc_u32_e32 v8, v33, v1
	v_mov_b32_e32 v9, 0
	s_delay_alu instid0(VALU_DEP_1) | instskip(NEXT) | instid1(VALU_DEP_1)
	v_lshlrev_b64 v[8:9], 2, v[8:9]
	v_add_co_u32 v8, vcc_lo, v6, v8
	s_delay_alu instid0(VALU_DEP_2)
	v_add_co_ci_u32_e32 v9, vcc_lo, v7, v9, vcc_lo
	global_store_b32 v[8:9], v34, off
	s_or_b32 exec_lo, exec_lo, s17
	s_and_saveexec_b32 s17, s4
	s_cbranch_execnz .LBB785_226
.LBB785_260:
	s_or_b32 exec_lo, exec_lo, s17
	s_and_saveexec_b32 s17, s3
	s_cbranch_execz .LBB785_227
.LBB785_261:
	v_sub_nc_u32_e32 v8, v39, v1
	v_mov_b32_e32 v9, 0
	s_delay_alu instid0(VALU_DEP_1) | instskip(NEXT) | instid1(VALU_DEP_1)
	v_lshlrev_b64 v[8:9], 2, v[8:9]
	v_add_co_u32 v8, vcc_lo, v6, v8
	s_delay_alu instid0(VALU_DEP_2)
	v_add_co_ci_u32_e32 v9, vcc_lo, v7, v9, vcc_lo
	global_store_b32 v[8:9], v40, off
	s_or_b32 exec_lo, exec_lo, s17
	s_and_saveexec_b32 s17, s2
	s_cbranch_execnz .LBB785_228
.LBB785_262:
	s_or_b32 exec_lo, exec_lo, s17
	s_and_saveexec_b32 s17, s1
	s_cbranch_execz .LBB785_264
.LBB785_263:
	v_sub_nc_u32_e32 v8, v59, v1
	v_mov_b32_e32 v9, 0
	s_delay_alu instid0(VALU_DEP_1) | instskip(NEXT) | instid1(VALU_DEP_1)
	v_lshlrev_b64 v[8:9], 2, v[8:9]
	v_add_co_u32 v8, vcc_lo, v6, v8
	s_delay_alu instid0(VALU_DEP_2)
	v_add_co_ci_u32_e32 v9, vcc_lo, v7, v9, vcc_lo
	global_store_b32 v[8:9], v60, off
.LBB785_264:
	s_or_b32 exec_lo, exec_lo, s17
	s_delay_alu instid0(SALU_CYCLE_1)
	s_and_b32 s17, s0, exec_lo
	s_and_not1_saveexec_b32 s15, s15
	s_cbranch_execnz .LBB785_247
.LBB785_265:
	s_or_b32 exec_lo, exec_lo, s15
	s_delay_alu instid0(SALU_CYCLE_1)
	s_and_b32 exec_lo, exec_lo, s17
	s_cbranch_execz .LBB785_267
.LBB785_266:
	v_sub_nc_u32_e32 v8, v51, v1
	v_mov_b32_e32 v9, 0
	s_delay_alu instid0(VALU_DEP_1) | instskip(NEXT) | instid1(VALU_DEP_1)
	v_lshlrev_b64 v[8:9], 2, v[8:9]
	v_add_co_u32 v8, vcc_lo, v6, v8
	s_delay_alu instid0(VALU_DEP_2)
	v_add_co_ci_u32_e32 v9, vcc_lo, v7, v9, vcc_lo
	global_store_b32 v[8:9], v52, off
.LBB785_267:
	s_or_b32 exec_lo, exec_lo, s16
.LBB785_268:
	v_cmp_eq_u32_e32 vcc_lo, 0xff, v0
	s_and_b32 s0, vcc_lo, s33
	s_delay_alu instid0(SALU_CYCLE_1)
	s_and_saveexec_b32 s1, s0
	s_cbranch_execnz .LBB785_290
	s_branch .LBB785_292
.LBB785_269:
	s_or_b32 exec_lo, exec_lo, s17
	s_and_saveexec_b32 s14, s13
	s_cbranch_execz .LBB785_234
.LBB785_270:
	v_sub_nc_u32_e32 v2, v61, v1
	s_delay_alu instid0(VALU_DEP_1)
	v_lshlrev_b32_e32 v2, 2, v2
	ds_store_b32 v2, v62
	s_or_b32 exec_lo, exec_lo, s14
	s_and_saveexec_b32 s13, s12
	s_cbranch_execnz .LBB785_235
.LBB785_271:
	s_or_b32 exec_lo, exec_lo, s13
	s_and_saveexec_b32 s12, s11
	s_cbranch_execz .LBB785_236
.LBB785_272:
	v_sub_nc_u32_e32 v2, v53, v1
	s_delay_alu instid0(VALU_DEP_1)
	v_lshlrev_b32_e32 v2, 2, v2
	ds_store_b32 v2, v54
	s_or_b32 exec_lo, exec_lo, s12
	s_and_saveexec_b32 s11, s10
	s_cbranch_execnz .LBB785_237
.LBB785_273:
	s_or_b32 exec_lo, exec_lo, s11
	s_and_saveexec_b32 s10, s9
	s_cbranch_execz .LBB785_238
.LBB785_274:
	v_sub_nc_u32_e32 v2, v43, v1
	s_delay_alu instid0(VALU_DEP_1)
	v_lshlrev_b32_e32 v2, 2, v2
	ds_store_b32 v2, v44
	s_or_b32 exec_lo, exec_lo, s10
	s_and_saveexec_b32 s9, s8
	s_cbranch_execnz .LBB785_239
.LBB785_275:
	s_or_b32 exec_lo, exec_lo, s9
	s_and_saveexec_b32 s8, s7
	s_cbranch_execz .LBB785_240
.LBB785_276:
	v_sub_nc_u32_e32 v2, v45, v1
	s_delay_alu instid0(VALU_DEP_1)
	v_lshlrev_b32_e32 v2, 2, v2
	ds_store_b32 v2, v46
	s_or_b32 exec_lo, exec_lo, s8
	s_and_saveexec_b32 s7, s6
	s_cbranch_execnz .LBB785_241
.LBB785_277:
	s_or_b32 exec_lo, exec_lo, s7
	s_and_saveexec_b32 s6, s5
	s_cbranch_execz .LBB785_242
.LBB785_278:
	v_sub_nc_u32_e32 v2, v33, v1
	s_delay_alu instid0(VALU_DEP_1)
	v_lshlrev_b32_e32 v2, 2, v2
	ds_store_b32 v2, v34
	s_or_b32 exec_lo, exec_lo, s6
	s_and_saveexec_b32 s5, s4
	s_cbranch_execnz .LBB785_243
.LBB785_279:
	s_or_b32 exec_lo, exec_lo, s5
	s_and_saveexec_b32 s4, s3
	s_cbranch_execz .LBB785_244
.LBB785_280:
	v_sub_nc_u32_e32 v2, v39, v1
	s_delay_alu instid0(VALU_DEP_1)
	v_lshlrev_b32_e32 v2, 2, v2
	ds_store_b32 v2, v40
	s_or_b32 exec_lo, exec_lo, s4
	s_and_saveexec_b32 s3, s2
	s_cbranch_execnz .LBB785_245
.LBB785_281:
	s_or_b32 exec_lo, exec_lo, s3
	s_and_saveexec_b32 s2, s1
	s_cbranch_execz .LBB785_283
.LBB785_282:
	v_sub_nc_u32_e32 v2, v59, v1
	s_delay_alu instid0(VALU_DEP_1)
	v_lshlrev_b32_e32 v2, 2, v2
	ds_store_b32 v2, v60
.LBB785_283:
	s_or_b32 exec_lo, exec_lo, s2
	s_delay_alu instid0(SALU_CYCLE_1)
	s_and_b32 s17, s0, exec_lo
                                        ; implicit-def: $vgpr55_vgpr56
                                        ; implicit-def: $vgpr61_vgpr62
                                        ; implicit-def: $vgpr57_vgpr58
                                        ; implicit-def: $vgpr53_vgpr54
                                        ; implicit-def: $vgpr47_vgpr48
                                        ; implicit-def: $vgpr43_vgpr44
                                        ; implicit-def: $vgpr41_vgpr42
                                        ; implicit-def: $vgpr45_vgpr46
                                        ; implicit-def: $vgpr49_vgpr50
                                        ; implicit-def: $vgpr33_vgpr34
                                        ; implicit-def: $vgpr35_vgpr36
                                        ; implicit-def: $vgpr39_vgpr40
                                        ; implicit-def: $vgpr63_vgpr64
                                        ; implicit-def: $vgpr59_vgpr60
	s_and_not1_saveexec_b32 s0, s16
	s_cbranch_execnz .LBB785_249
.LBB785_284:
	s_or_b32 exec_lo, exec_lo, s0
	s_delay_alu instid0(SALU_CYCLE_1)
	s_and_b32 exec_lo, exec_lo, s17
	s_cbranch_execz .LBB785_286
.LBB785_285:
	v_sub_nc_u32_e32 v1, v51, v1
	s_delay_alu instid0(VALU_DEP_1)
	v_lshlrev_b32_e32 v1, 2, v1
	ds_store_b32 v1, v52
.LBB785_286:
	s_or_b32 exec_lo, exec_lo, s15
	s_delay_alu instid0(SALU_CYCLE_1)
	s_mov_b32 s1, exec_lo
	s_waitcnt lgkmcnt(0)
	s_waitcnt_vscnt null, 0x0
	s_barrier
	buffer_gl0_inv
	v_cmpx_lt_u32_e64 v0, v3
	s_cbranch_execz .LBB785_289
; %bb.287:
	v_dual_mov_b32 v1, v0 :: v_dual_lshlrev_b32 v8, 2, v0
	v_mov_b32_e32 v2, 0
	s_mov_b32 s2, 0
	.p2align	6
.LBB785_288:                            ; =>This Inner Loop Header: Depth=1
	ds_load_b32 v11, v8
	v_lshlrev_b64 v[9:10], 2, v[1:2]
	v_add_nc_u32_e32 v1, 0x100, v1
	v_add_nc_u32_e32 v8, 0x400, v8
	s_delay_alu instid0(VALU_DEP_2) | instskip(NEXT) | instid1(VALU_DEP_4)
	v_cmp_ge_u32_e32 vcc_lo, v1, v3
	v_add_co_u32 v9, s0, v6, v9
	s_delay_alu instid0(VALU_DEP_1)
	v_add_co_ci_u32_e64 v10, s0, v7, v10, s0
	s_or_b32 s2, vcc_lo, s2
	s_waitcnt lgkmcnt(0)
	global_store_b32 v[9:10], v11, off
	s_and_not1_b32 exec_lo, exec_lo, s2
	s_cbranch_execnz .LBB785_288
.LBB785_289:
	s_or_b32 exec_lo, exec_lo, s1
	v_cmp_eq_u32_e32 vcc_lo, 0xff, v0
	s_and_b32 s0, vcc_lo, s33
	s_delay_alu instid0(SALU_CYCLE_1)
	s_and_saveexec_b32 s1, s0
	s_cbranch_execz .LBB785_292
.LBB785_290:
	v_add_co_u32 v0, s0, v29, v31
	s_delay_alu instid0(VALU_DEP_1) | instskip(SKIP_1) | instid1(VALU_DEP_3)
	v_add_co_ci_u32_e64 v1, null, 0, 0, s0
	v_mov_b32_e32 v30, 0
	v_add_co_u32 v0, vcc_lo, v0, v65
	s_delay_alu instid0(VALU_DEP_3)
	v_add_co_ci_u32_e32 v1, vcc_lo, v1, v66, vcc_lo
	s_cmpk_lg_i32 s40, 0xf00
	global_store_b64 v30, v[0:1], s[30:31]
	s_cbranch_scc1 .LBB785_292
; %bb.291:
	v_lshlrev_b64 v[0:1], 2, v[29:30]
	s_delay_alu instid0(VALU_DEP_1) | instskip(NEXT) | instid1(VALU_DEP_2)
	v_add_co_u32 v0, vcc_lo, v4, v0
	v_add_co_ci_u32_e32 v1, vcc_lo, v5, v1, vcc_lo
	global_store_b32 v[0:1], v95, off offset:-4
	s_nop 0
	s_sendmsg sendmsg(MSG_DEALLOC_VGPRS)
	s_endpgm
.LBB785_292:
	s_nop 0
	s_sendmsg sendmsg(MSG_DEALLOC_VGPRS)
	s_endpgm
	.section	.rodata,"a",@progbits
	.p2align	6, 0x0
	.amdhsa_kernel _ZN7rocprim17ROCPRIM_400000_NS6detail17trampoline_kernelINS0_14default_configENS1_29reduce_by_key_config_selectorIxjN6thrust23THRUST_200600_302600_NS4plusIjEEEEZZNS1_33reduce_by_key_impl_wrapped_configILNS1_25lookback_scan_determinismE0ES3_S9_NS6_6detail15normal_iteratorINS6_10device_ptrIxEEEENSD_INSE_IjEEEESG_SI_PmS8_NS6_8equal_toIxEEEE10hipError_tPvRmT2_T3_mT4_T5_T6_T7_T8_P12ihipStream_tbENKUlT_T0_E_clISt17integral_constantIbLb1EES13_EEDaSY_SZ_EUlSY_E_NS1_11comp_targetILNS1_3genE9ELNS1_11target_archE1100ELNS1_3gpuE3ELNS1_3repE0EEENS1_30default_config_static_selectorELNS0_4arch9wavefront6targetE0EEEvT1_
		.amdhsa_group_segment_fixed_size 30720
		.amdhsa_private_segment_fixed_size 0
		.amdhsa_kernarg_size 120
		.amdhsa_user_sgpr_count 15
		.amdhsa_user_sgpr_dispatch_ptr 0
		.amdhsa_user_sgpr_queue_ptr 0
		.amdhsa_user_sgpr_kernarg_segment_ptr 1
		.amdhsa_user_sgpr_dispatch_id 0
		.amdhsa_user_sgpr_private_segment_size 0
		.amdhsa_wavefront_size32 1
		.amdhsa_uses_dynamic_stack 0
		.amdhsa_enable_private_segment 0
		.amdhsa_system_sgpr_workgroup_id_x 1
		.amdhsa_system_sgpr_workgroup_id_y 0
		.amdhsa_system_sgpr_workgroup_id_z 0
		.amdhsa_system_sgpr_workgroup_info 0
		.amdhsa_system_vgpr_workitem_id 0
		.amdhsa_next_free_vgpr 100
		.amdhsa_next_free_sgpr 49
		.amdhsa_reserve_vcc 1
		.amdhsa_float_round_mode_32 0
		.amdhsa_float_round_mode_16_64 0
		.amdhsa_float_denorm_mode_32 3
		.amdhsa_float_denorm_mode_16_64 3
		.amdhsa_dx10_clamp 1
		.amdhsa_ieee_mode 1
		.amdhsa_fp16_overflow 0
		.amdhsa_workgroup_processor_mode 1
		.amdhsa_memory_ordered 1
		.amdhsa_forward_progress 0
		.amdhsa_shared_vgpr_count 0
		.amdhsa_exception_fp_ieee_invalid_op 0
		.amdhsa_exception_fp_denorm_src 0
		.amdhsa_exception_fp_ieee_div_zero 0
		.amdhsa_exception_fp_ieee_overflow 0
		.amdhsa_exception_fp_ieee_underflow 0
		.amdhsa_exception_fp_ieee_inexact 0
		.amdhsa_exception_int_div_zero 0
	.end_amdhsa_kernel
	.section	.text._ZN7rocprim17ROCPRIM_400000_NS6detail17trampoline_kernelINS0_14default_configENS1_29reduce_by_key_config_selectorIxjN6thrust23THRUST_200600_302600_NS4plusIjEEEEZZNS1_33reduce_by_key_impl_wrapped_configILNS1_25lookback_scan_determinismE0ES3_S9_NS6_6detail15normal_iteratorINS6_10device_ptrIxEEEENSD_INSE_IjEEEESG_SI_PmS8_NS6_8equal_toIxEEEE10hipError_tPvRmT2_T3_mT4_T5_T6_T7_T8_P12ihipStream_tbENKUlT_T0_E_clISt17integral_constantIbLb1EES13_EEDaSY_SZ_EUlSY_E_NS1_11comp_targetILNS1_3genE9ELNS1_11target_archE1100ELNS1_3gpuE3ELNS1_3repE0EEENS1_30default_config_static_selectorELNS0_4arch9wavefront6targetE0EEEvT1_,"axG",@progbits,_ZN7rocprim17ROCPRIM_400000_NS6detail17trampoline_kernelINS0_14default_configENS1_29reduce_by_key_config_selectorIxjN6thrust23THRUST_200600_302600_NS4plusIjEEEEZZNS1_33reduce_by_key_impl_wrapped_configILNS1_25lookback_scan_determinismE0ES3_S9_NS6_6detail15normal_iteratorINS6_10device_ptrIxEEEENSD_INSE_IjEEEESG_SI_PmS8_NS6_8equal_toIxEEEE10hipError_tPvRmT2_T3_mT4_T5_T6_T7_T8_P12ihipStream_tbENKUlT_T0_E_clISt17integral_constantIbLb1EES13_EEDaSY_SZ_EUlSY_E_NS1_11comp_targetILNS1_3genE9ELNS1_11target_archE1100ELNS1_3gpuE3ELNS1_3repE0EEENS1_30default_config_static_selectorELNS0_4arch9wavefront6targetE0EEEvT1_,comdat
.Lfunc_end785:
	.size	_ZN7rocprim17ROCPRIM_400000_NS6detail17trampoline_kernelINS0_14default_configENS1_29reduce_by_key_config_selectorIxjN6thrust23THRUST_200600_302600_NS4plusIjEEEEZZNS1_33reduce_by_key_impl_wrapped_configILNS1_25lookback_scan_determinismE0ES3_S9_NS6_6detail15normal_iteratorINS6_10device_ptrIxEEEENSD_INSE_IjEEEESG_SI_PmS8_NS6_8equal_toIxEEEE10hipError_tPvRmT2_T3_mT4_T5_T6_T7_T8_P12ihipStream_tbENKUlT_T0_E_clISt17integral_constantIbLb1EES13_EEDaSY_SZ_EUlSY_E_NS1_11comp_targetILNS1_3genE9ELNS1_11target_archE1100ELNS1_3gpuE3ELNS1_3repE0EEENS1_30default_config_static_selectorELNS0_4arch9wavefront6targetE0EEEvT1_, .Lfunc_end785-_ZN7rocprim17ROCPRIM_400000_NS6detail17trampoline_kernelINS0_14default_configENS1_29reduce_by_key_config_selectorIxjN6thrust23THRUST_200600_302600_NS4plusIjEEEEZZNS1_33reduce_by_key_impl_wrapped_configILNS1_25lookback_scan_determinismE0ES3_S9_NS6_6detail15normal_iteratorINS6_10device_ptrIxEEEENSD_INSE_IjEEEESG_SI_PmS8_NS6_8equal_toIxEEEE10hipError_tPvRmT2_T3_mT4_T5_T6_T7_T8_P12ihipStream_tbENKUlT_T0_E_clISt17integral_constantIbLb1EES13_EEDaSY_SZ_EUlSY_E_NS1_11comp_targetILNS1_3genE9ELNS1_11target_archE1100ELNS1_3gpuE3ELNS1_3repE0EEENS1_30default_config_static_selectorELNS0_4arch9wavefront6targetE0EEEvT1_
                                        ; -- End function
	.section	.AMDGPU.csdata,"",@progbits
; Kernel info:
; codeLenInByte = 17876
; NumSgprs: 51
; NumVgprs: 100
; ScratchSize: 0
; MemoryBound: 0
; FloatMode: 240
; IeeeMode: 1
; LDSByteSize: 30720 bytes/workgroup (compile time only)
; SGPRBlocks: 6
; VGPRBlocks: 12
; NumSGPRsForWavesPerEU: 51
; NumVGPRsForWavesPerEU: 100
; Occupancy: 8
; WaveLimiterHint : 1
; COMPUTE_PGM_RSRC2:SCRATCH_EN: 0
; COMPUTE_PGM_RSRC2:USER_SGPR: 15
; COMPUTE_PGM_RSRC2:TRAP_HANDLER: 0
; COMPUTE_PGM_RSRC2:TGID_X_EN: 1
; COMPUTE_PGM_RSRC2:TGID_Y_EN: 0
; COMPUTE_PGM_RSRC2:TGID_Z_EN: 0
; COMPUTE_PGM_RSRC2:TIDIG_COMP_CNT: 0
	.section	.text._ZN7rocprim17ROCPRIM_400000_NS6detail17trampoline_kernelINS0_14default_configENS1_29reduce_by_key_config_selectorIxjN6thrust23THRUST_200600_302600_NS4plusIjEEEEZZNS1_33reduce_by_key_impl_wrapped_configILNS1_25lookback_scan_determinismE0ES3_S9_NS6_6detail15normal_iteratorINS6_10device_ptrIxEEEENSD_INSE_IjEEEESG_SI_PmS8_NS6_8equal_toIxEEEE10hipError_tPvRmT2_T3_mT4_T5_T6_T7_T8_P12ihipStream_tbENKUlT_T0_E_clISt17integral_constantIbLb1EES13_EEDaSY_SZ_EUlSY_E_NS1_11comp_targetILNS1_3genE8ELNS1_11target_archE1030ELNS1_3gpuE2ELNS1_3repE0EEENS1_30default_config_static_selectorELNS0_4arch9wavefront6targetE0EEEvT1_,"axG",@progbits,_ZN7rocprim17ROCPRIM_400000_NS6detail17trampoline_kernelINS0_14default_configENS1_29reduce_by_key_config_selectorIxjN6thrust23THRUST_200600_302600_NS4plusIjEEEEZZNS1_33reduce_by_key_impl_wrapped_configILNS1_25lookback_scan_determinismE0ES3_S9_NS6_6detail15normal_iteratorINS6_10device_ptrIxEEEENSD_INSE_IjEEEESG_SI_PmS8_NS6_8equal_toIxEEEE10hipError_tPvRmT2_T3_mT4_T5_T6_T7_T8_P12ihipStream_tbENKUlT_T0_E_clISt17integral_constantIbLb1EES13_EEDaSY_SZ_EUlSY_E_NS1_11comp_targetILNS1_3genE8ELNS1_11target_archE1030ELNS1_3gpuE2ELNS1_3repE0EEENS1_30default_config_static_selectorELNS0_4arch9wavefront6targetE0EEEvT1_,comdat
	.protected	_ZN7rocprim17ROCPRIM_400000_NS6detail17trampoline_kernelINS0_14default_configENS1_29reduce_by_key_config_selectorIxjN6thrust23THRUST_200600_302600_NS4plusIjEEEEZZNS1_33reduce_by_key_impl_wrapped_configILNS1_25lookback_scan_determinismE0ES3_S9_NS6_6detail15normal_iteratorINS6_10device_ptrIxEEEENSD_INSE_IjEEEESG_SI_PmS8_NS6_8equal_toIxEEEE10hipError_tPvRmT2_T3_mT4_T5_T6_T7_T8_P12ihipStream_tbENKUlT_T0_E_clISt17integral_constantIbLb1EES13_EEDaSY_SZ_EUlSY_E_NS1_11comp_targetILNS1_3genE8ELNS1_11target_archE1030ELNS1_3gpuE2ELNS1_3repE0EEENS1_30default_config_static_selectorELNS0_4arch9wavefront6targetE0EEEvT1_ ; -- Begin function _ZN7rocprim17ROCPRIM_400000_NS6detail17trampoline_kernelINS0_14default_configENS1_29reduce_by_key_config_selectorIxjN6thrust23THRUST_200600_302600_NS4plusIjEEEEZZNS1_33reduce_by_key_impl_wrapped_configILNS1_25lookback_scan_determinismE0ES3_S9_NS6_6detail15normal_iteratorINS6_10device_ptrIxEEEENSD_INSE_IjEEEESG_SI_PmS8_NS6_8equal_toIxEEEE10hipError_tPvRmT2_T3_mT4_T5_T6_T7_T8_P12ihipStream_tbENKUlT_T0_E_clISt17integral_constantIbLb1EES13_EEDaSY_SZ_EUlSY_E_NS1_11comp_targetILNS1_3genE8ELNS1_11target_archE1030ELNS1_3gpuE2ELNS1_3repE0EEENS1_30default_config_static_selectorELNS0_4arch9wavefront6targetE0EEEvT1_
	.globl	_ZN7rocprim17ROCPRIM_400000_NS6detail17trampoline_kernelINS0_14default_configENS1_29reduce_by_key_config_selectorIxjN6thrust23THRUST_200600_302600_NS4plusIjEEEEZZNS1_33reduce_by_key_impl_wrapped_configILNS1_25lookback_scan_determinismE0ES3_S9_NS6_6detail15normal_iteratorINS6_10device_ptrIxEEEENSD_INSE_IjEEEESG_SI_PmS8_NS6_8equal_toIxEEEE10hipError_tPvRmT2_T3_mT4_T5_T6_T7_T8_P12ihipStream_tbENKUlT_T0_E_clISt17integral_constantIbLb1EES13_EEDaSY_SZ_EUlSY_E_NS1_11comp_targetILNS1_3genE8ELNS1_11target_archE1030ELNS1_3gpuE2ELNS1_3repE0EEENS1_30default_config_static_selectorELNS0_4arch9wavefront6targetE0EEEvT1_
	.p2align	8
	.type	_ZN7rocprim17ROCPRIM_400000_NS6detail17trampoline_kernelINS0_14default_configENS1_29reduce_by_key_config_selectorIxjN6thrust23THRUST_200600_302600_NS4plusIjEEEEZZNS1_33reduce_by_key_impl_wrapped_configILNS1_25lookback_scan_determinismE0ES3_S9_NS6_6detail15normal_iteratorINS6_10device_ptrIxEEEENSD_INSE_IjEEEESG_SI_PmS8_NS6_8equal_toIxEEEE10hipError_tPvRmT2_T3_mT4_T5_T6_T7_T8_P12ihipStream_tbENKUlT_T0_E_clISt17integral_constantIbLb1EES13_EEDaSY_SZ_EUlSY_E_NS1_11comp_targetILNS1_3genE8ELNS1_11target_archE1030ELNS1_3gpuE2ELNS1_3repE0EEENS1_30default_config_static_selectorELNS0_4arch9wavefront6targetE0EEEvT1_,@function
_ZN7rocprim17ROCPRIM_400000_NS6detail17trampoline_kernelINS0_14default_configENS1_29reduce_by_key_config_selectorIxjN6thrust23THRUST_200600_302600_NS4plusIjEEEEZZNS1_33reduce_by_key_impl_wrapped_configILNS1_25lookback_scan_determinismE0ES3_S9_NS6_6detail15normal_iteratorINS6_10device_ptrIxEEEENSD_INSE_IjEEEESG_SI_PmS8_NS6_8equal_toIxEEEE10hipError_tPvRmT2_T3_mT4_T5_T6_T7_T8_P12ihipStream_tbENKUlT_T0_E_clISt17integral_constantIbLb1EES13_EEDaSY_SZ_EUlSY_E_NS1_11comp_targetILNS1_3genE8ELNS1_11target_archE1030ELNS1_3gpuE2ELNS1_3repE0EEENS1_30default_config_static_selectorELNS0_4arch9wavefront6targetE0EEEvT1_: ; @_ZN7rocprim17ROCPRIM_400000_NS6detail17trampoline_kernelINS0_14default_configENS1_29reduce_by_key_config_selectorIxjN6thrust23THRUST_200600_302600_NS4plusIjEEEEZZNS1_33reduce_by_key_impl_wrapped_configILNS1_25lookback_scan_determinismE0ES3_S9_NS6_6detail15normal_iteratorINS6_10device_ptrIxEEEENSD_INSE_IjEEEESG_SI_PmS8_NS6_8equal_toIxEEEE10hipError_tPvRmT2_T3_mT4_T5_T6_T7_T8_P12ihipStream_tbENKUlT_T0_E_clISt17integral_constantIbLb1EES13_EEDaSY_SZ_EUlSY_E_NS1_11comp_targetILNS1_3genE8ELNS1_11target_archE1030ELNS1_3gpuE2ELNS1_3repE0EEENS1_30default_config_static_selectorELNS0_4arch9wavefront6targetE0EEEvT1_
; %bb.0:
	.section	.rodata,"a",@progbits
	.p2align	6, 0x0
	.amdhsa_kernel _ZN7rocprim17ROCPRIM_400000_NS6detail17trampoline_kernelINS0_14default_configENS1_29reduce_by_key_config_selectorIxjN6thrust23THRUST_200600_302600_NS4plusIjEEEEZZNS1_33reduce_by_key_impl_wrapped_configILNS1_25lookback_scan_determinismE0ES3_S9_NS6_6detail15normal_iteratorINS6_10device_ptrIxEEEENSD_INSE_IjEEEESG_SI_PmS8_NS6_8equal_toIxEEEE10hipError_tPvRmT2_T3_mT4_T5_T6_T7_T8_P12ihipStream_tbENKUlT_T0_E_clISt17integral_constantIbLb1EES13_EEDaSY_SZ_EUlSY_E_NS1_11comp_targetILNS1_3genE8ELNS1_11target_archE1030ELNS1_3gpuE2ELNS1_3repE0EEENS1_30default_config_static_selectorELNS0_4arch9wavefront6targetE0EEEvT1_
		.amdhsa_group_segment_fixed_size 0
		.amdhsa_private_segment_fixed_size 0
		.amdhsa_kernarg_size 120
		.amdhsa_user_sgpr_count 15
		.amdhsa_user_sgpr_dispatch_ptr 0
		.amdhsa_user_sgpr_queue_ptr 0
		.amdhsa_user_sgpr_kernarg_segment_ptr 1
		.amdhsa_user_sgpr_dispatch_id 0
		.amdhsa_user_sgpr_private_segment_size 0
		.amdhsa_wavefront_size32 1
		.amdhsa_uses_dynamic_stack 0
		.amdhsa_enable_private_segment 0
		.amdhsa_system_sgpr_workgroup_id_x 1
		.amdhsa_system_sgpr_workgroup_id_y 0
		.amdhsa_system_sgpr_workgroup_id_z 0
		.amdhsa_system_sgpr_workgroup_info 0
		.amdhsa_system_vgpr_workitem_id 0
		.amdhsa_next_free_vgpr 1
		.amdhsa_next_free_sgpr 1
		.amdhsa_reserve_vcc 0
		.amdhsa_float_round_mode_32 0
		.amdhsa_float_round_mode_16_64 0
		.amdhsa_float_denorm_mode_32 3
		.amdhsa_float_denorm_mode_16_64 3
		.amdhsa_dx10_clamp 1
		.amdhsa_ieee_mode 1
		.amdhsa_fp16_overflow 0
		.amdhsa_workgroup_processor_mode 1
		.amdhsa_memory_ordered 1
		.amdhsa_forward_progress 0
		.amdhsa_shared_vgpr_count 0
		.amdhsa_exception_fp_ieee_invalid_op 0
		.amdhsa_exception_fp_denorm_src 0
		.amdhsa_exception_fp_ieee_div_zero 0
		.amdhsa_exception_fp_ieee_overflow 0
		.amdhsa_exception_fp_ieee_underflow 0
		.amdhsa_exception_fp_ieee_inexact 0
		.amdhsa_exception_int_div_zero 0
	.end_amdhsa_kernel
	.section	.text._ZN7rocprim17ROCPRIM_400000_NS6detail17trampoline_kernelINS0_14default_configENS1_29reduce_by_key_config_selectorIxjN6thrust23THRUST_200600_302600_NS4plusIjEEEEZZNS1_33reduce_by_key_impl_wrapped_configILNS1_25lookback_scan_determinismE0ES3_S9_NS6_6detail15normal_iteratorINS6_10device_ptrIxEEEENSD_INSE_IjEEEESG_SI_PmS8_NS6_8equal_toIxEEEE10hipError_tPvRmT2_T3_mT4_T5_T6_T7_T8_P12ihipStream_tbENKUlT_T0_E_clISt17integral_constantIbLb1EES13_EEDaSY_SZ_EUlSY_E_NS1_11comp_targetILNS1_3genE8ELNS1_11target_archE1030ELNS1_3gpuE2ELNS1_3repE0EEENS1_30default_config_static_selectorELNS0_4arch9wavefront6targetE0EEEvT1_,"axG",@progbits,_ZN7rocprim17ROCPRIM_400000_NS6detail17trampoline_kernelINS0_14default_configENS1_29reduce_by_key_config_selectorIxjN6thrust23THRUST_200600_302600_NS4plusIjEEEEZZNS1_33reduce_by_key_impl_wrapped_configILNS1_25lookback_scan_determinismE0ES3_S9_NS6_6detail15normal_iteratorINS6_10device_ptrIxEEEENSD_INSE_IjEEEESG_SI_PmS8_NS6_8equal_toIxEEEE10hipError_tPvRmT2_T3_mT4_T5_T6_T7_T8_P12ihipStream_tbENKUlT_T0_E_clISt17integral_constantIbLb1EES13_EEDaSY_SZ_EUlSY_E_NS1_11comp_targetILNS1_3genE8ELNS1_11target_archE1030ELNS1_3gpuE2ELNS1_3repE0EEENS1_30default_config_static_selectorELNS0_4arch9wavefront6targetE0EEEvT1_,comdat
.Lfunc_end786:
	.size	_ZN7rocprim17ROCPRIM_400000_NS6detail17trampoline_kernelINS0_14default_configENS1_29reduce_by_key_config_selectorIxjN6thrust23THRUST_200600_302600_NS4plusIjEEEEZZNS1_33reduce_by_key_impl_wrapped_configILNS1_25lookback_scan_determinismE0ES3_S9_NS6_6detail15normal_iteratorINS6_10device_ptrIxEEEENSD_INSE_IjEEEESG_SI_PmS8_NS6_8equal_toIxEEEE10hipError_tPvRmT2_T3_mT4_T5_T6_T7_T8_P12ihipStream_tbENKUlT_T0_E_clISt17integral_constantIbLb1EES13_EEDaSY_SZ_EUlSY_E_NS1_11comp_targetILNS1_3genE8ELNS1_11target_archE1030ELNS1_3gpuE2ELNS1_3repE0EEENS1_30default_config_static_selectorELNS0_4arch9wavefront6targetE0EEEvT1_, .Lfunc_end786-_ZN7rocprim17ROCPRIM_400000_NS6detail17trampoline_kernelINS0_14default_configENS1_29reduce_by_key_config_selectorIxjN6thrust23THRUST_200600_302600_NS4plusIjEEEEZZNS1_33reduce_by_key_impl_wrapped_configILNS1_25lookback_scan_determinismE0ES3_S9_NS6_6detail15normal_iteratorINS6_10device_ptrIxEEEENSD_INSE_IjEEEESG_SI_PmS8_NS6_8equal_toIxEEEE10hipError_tPvRmT2_T3_mT4_T5_T6_T7_T8_P12ihipStream_tbENKUlT_T0_E_clISt17integral_constantIbLb1EES13_EEDaSY_SZ_EUlSY_E_NS1_11comp_targetILNS1_3genE8ELNS1_11target_archE1030ELNS1_3gpuE2ELNS1_3repE0EEENS1_30default_config_static_selectorELNS0_4arch9wavefront6targetE0EEEvT1_
                                        ; -- End function
	.section	.AMDGPU.csdata,"",@progbits
; Kernel info:
; codeLenInByte = 0
; NumSgprs: 0
; NumVgprs: 0
; ScratchSize: 0
; MemoryBound: 0
; FloatMode: 240
; IeeeMode: 1
; LDSByteSize: 0 bytes/workgroup (compile time only)
; SGPRBlocks: 0
; VGPRBlocks: 0
; NumSGPRsForWavesPerEU: 1
; NumVGPRsForWavesPerEU: 1
; Occupancy: 16
; WaveLimiterHint : 0
; COMPUTE_PGM_RSRC2:SCRATCH_EN: 0
; COMPUTE_PGM_RSRC2:USER_SGPR: 15
; COMPUTE_PGM_RSRC2:TRAP_HANDLER: 0
; COMPUTE_PGM_RSRC2:TGID_X_EN: 1
; COMPUTE_PGM_RSRC2:TGID_Y_EN: 0
; COMPUTE_PGM_RSRC2:TGID_Z_EN: 0
; COMPUTE_PGM_RSRC2:TIDIG_COMP_CNT: 0
	.section	.text._ZN7rocprim17ROCPRIM_400000_NS6detail17trampoline_kernelINS0_14default_configENS1_29reduce_by_key_config_selectorIxjN6thrust23THRUST_200600_302600_NS4plusIjEEEEZZNS1_33reduce_by_key_impl_wrapped_configILNS1_25lookback_scan_determinismE0ES3_S9_NS6_6detail15normal_iteratorINS6_10device_ptrIxEEEENSD_INSE_IjEEEESG_SI_PmS8_NS6_8equal_toIxEEEE10hipError_tPvRmT2_T3_mT4_T5_T6_T7_T8_P12ihipStream_tbENKUlT_T0_E_clISt17integral_constantIbLb1EES12_IbLb0EEEEDaSY_SZ_EUlSY_E_NS1_11comp_targetILNS1_3genE0ELNS1_11target_archE4294967295ELNS1_3gpuE0ELNS1_3repE0EEENS1_30default_config_static_selectorELNS0_4arch9wavefront6targetE0EEEvT1_,"axG",@progbits,_ZN7rocprim17ROCPRIM_400000_NS6detail17trampoline_kernelINS0_14default_configENS1_29reduce_by_key_config_selectorIxjN6thrust23THRUST_200600_302600_NS4plusIjEEEEZZNS1_33reduce_by_key_impl_wrapped_configILNS1_25lookback_scan_determinismE0ES3_S9_NS6_6detail15normal_iteratorINS6_10device_ptrIxEEEENSD_INSE_IjEEEESG_SI_PmS8_NS6_8equal_toIxEEEE10hipError_tPvRmT2_T3_mT4_T5_T6_T7_T8_P12ihipStream_tbENKUlT_T0_E_clISt17integral_constantIbLb1EES12_IbLb0EEEEDaSY_SZ_EUlSY_E_NS1_11comp_targetILNS1_3genE0ELNS1_11target_archE4294967295ELNS1_3gpuE0ELNS1_3repE0EEENS1_30default_config_static_selectorELNS0_4arch9wavefront6targetE0EEEvT1_,comdat
	.protected	_ZN7rocprim17ROCPRIM_400000_NS6detail17trampoline_kernelINS0_14default_configENS1_29reduce_by_key_config_selectorIxjN6thrust23THRUST_200600_302600_NS4plusIjEEEEZZNS1_33reduce_by_key_impl_wrapped_configILNS1_25lookback_scan_determinismE0ES3_S9_NS6_6detail15normal_iteratorINS6_10device_ptrIxEEEENSD_INSE_IjEEEESG_SI_PmS8_NS6_8equal_toIxEEEE10hipError_tPvRmT2_T3_mT4_T5_T6_T7_T8_P12ihipStream_tbENKUlT_T0_E_clISt17integral_constantIbLb1EES12_IbLb0EEEEDaSY_SZ_EUlSY_E_NS1_11comp_targetILNS1_3genE0ELNS1_11target_archE4294967295ELNS1_3gpuE0ELNS1_3repE0EEENS1_30default_config_static_selectorELNS0_4arch9wavefront6targetE0EEEvT1_ ; -- Begin function _ZN7rocprim17ROCPRIM_400000_NS6detail17trampoline_kernelINS0_14default_configENS1_29reduce_by_key_config_selectorIxjN6thrust23THRUST_200600_302600_NS4plusIjEEEEZZNS1_33reduce_by_key_impl_wrapped_configILNS1_25lookback_scan_determinismE0ES3_S9_NS6_6detail15normal_iteratorINS6_10device_ptrIxEEEENSD_INSE_IjEEEESG_SI_PmS8_NS6_8equal_toIxEEEE10hipError_tPvRmT2_T3_mT4_T5_T6_T7_T8_P12ihipStream_tbENKUlT_T0_E_clISt17integral_constantIbLb1EES12_IbLb0EEEEDaSY_SZ_EUlSY_E_NS1_11comp_targetILNS1_3genE0ELNS1_11target_archE4294967295ELNS1_3gpuE0ELNS1_3repE0EEENS1_30default_config_static_selectorELNS0_4arch9wavefront6targetE0EEEvT1_
	.globl	_ZN7rocprim17ROCPRIM_400000_NS6detail17trampoline_kernelINS0_14default_configENS1_29reduce_by_key_config_selectorIxjN6thrust23THRUST_200600_302600_NS4plusIjEEEEZZNS1_33reduce_by_key_impl_wrapped_configILNS1_25lookback_scan_determinismE0ES3_S9_NS6_6detail15normal_iteratorINS6_10device_ptrIxEEEENSD_INSE_IjEEEESG_SI_PmS8_NS6_8equal_toIxEEEE10hipError_tPvRmT2_T3_mT4_T5_T6_T7_T8_P12ihipStream_tbENKUlT_T0_E_clISt17integral_constantIbLb1EES12_IbLb0EEEEDaSY_SZ_EUlSY_E_NS1_11comp_targetILNS1_3genE0ELNS1_11target_archE4294967295ELNS1_3gpuE0ELNS1_3repE0EEENS1_30default_config_static_selectorELNS0_4arch9wavefront6targetE0EEEvT1_
	.p2align	8
	.type	_ZN7rocprim17ROCPRIM_400000_NS6detail17trampoline_kernelINS0_14default_configENS1_29reduce_by_key_config_selectorIxjN6thrust23THRUST_200600_302600_NS4plusIjEEEEZZNS1_33reduce_by_key_impl_wrapped_configILNS1_25lookback_scan_determinismE0ES3_S9_NS6_6detail15normal_iteratorINS6_10device_ptrIxEEEENSD_INSE_IjEEEESG_SI_PmS8_NS6_8equal_toIxEEEE10hipError_tPvRmT2_T3_mT4_T5_T6_T7_T8_P12ihipStream_tbENKUlT_T0_E_clISt17integral_constantIbLb1EES12_IbLb0EEEEDaSY_SZ_EUlSY_E_NS1_11comp_targetILNS1_3genE0ELNS1_11target_archE4294967295ELNS1_3gpuE0ELNS1_3repE0EEENS1_30default_config_static_selectorELNS0_4arch9wavefront6targetE0EEEvT1_,@function
_ZN7rocprim17ROCPRIM_400000_NS6detail17trampoline_kernelINS0_14default_configENS1_29reduce_by_key_config_selectorIxjN6thrust23THRUST_200600_302600_NS4plusIjEEEEZZNS1_33reduce_by_key_impl_wrapped_configILNS1_25lookback_scan_determinismE0ES3_S9_NS6_6detail15normal_iteratorINS6_10device_ptrIxEEEENSD_INSE_IjEEEESG_SI_PmS8_NS6_8equal_toIxEEEE10hipError_tPvRmT2_T3_mT4_T5_T6_T7_T8_P12ihipStream_tbENKUlT_T0_E_clISt17integral_constantIbLb1EES12_IbLb0EEEEDaSY_SZ_EUlSY_E_NS1_11comp_targetILNS1_3genE0ELNS1_11target_archE4294967295ELNS1_3gpuE0ELNS1_3repE0EEENS1_30default_config_static_selectorELNS0_4arch9wavefront6targetE0EEEvT1_: ; @_ZN7rocprim17ROCPRIM_400000_NS6detail17trampoline_kernelINS0_14default_configENS1_29reduce_by_key_config_selectorIxjN6thrust23THRUST_200600_302600_NS4plusIjEEEEZZNS1_33reduce_by_key_impl_wrapped_configILNS1_25lookback_scan_determinismE0ES3_S9_NS6_6detail15normal_iteratorINS6_10device_ptrIxEEEENSD_INSE_IjEEEESG_SI_PmS8_NS6_8equal_toIxEEEE10hipError_tPvRmT2_T3_mT4_T5_T6_T7_T8_P12ihipStream_tbENKUlT_T0_E_clISt17integral_constantIbLb1EES12_IbLb0EEEEDaSY_SZ_EUlSY_E_NS1_11comp_targetILNS1_3genE0ELNS1_11target_archE4294967295ELNS1_3gpuE0ELNS1_3repE0EEENS1_30default_config_static_selectorELNS0_4arch9wavefront6targetE0EEEvT1_
; %bb.0:
	.section	.rodata,"a",@progbits
	.p2align	6, 0x0
	.amdhsa_kernel _ZN7rocprim17ROCPRIM_400000_NS6detail17trampoline_kernelINS0_14default_configENS1_29reduce_by_key_config_selectorIxjN6thrust23THRUST_200600_302600_NS4plusIjEEEEZZNS1_33reduce_by_key_impl_wrapped_configILNS1_25lookback_scan_determinismE0ES3_S9_NS6_6detail15normal_iteratorINS6_10device_ptrIxEEEENSD_INSE_IjEEEESG_SI_PmS8_NS6_8equal_toIxEEEE10hipError_tPvRmT2_T3_mT4_T5_T6_T7_T8_P12ihipStream_tbENKUlT_T0_E_clISt17integral_constantIbLb1EES12_IbLb0EEEEDaSY_SZ_EUlSY_E_NS1_11comp_targetILNS1_3genE0ELNS1_11target_archE4294967295ELNS1_3gpuE0ELNS1_3repE0EEENS1_30default_config_static_selectorELNS0_4arch9wavefront6targetE0EEEvT1_
		.amdhsa_group_segment_fixed_size 0
		.amdhsa_private_segment_fixed_size 0
		.amdhsa_kernarg_size 120
		.amdhsa_user_sgpr_count 15
		.amdhsa_user_sgpr_dispatch_ptr 0
		.amdhsa_user_sgpr_queue_ptr 0
		.amdhsa_user_sgpr_kernarg_segment_ptr 1
		.amdhsa_user_sgpr_dispatch_id 0
		.amdhsa_user_sgpr_private_segment_size 0
		.amdhsa_wavefront_size32 1
		.amdhsa_uses_dynamic_stack 0
		.amdhsa_enable_private_segment 0
		.amdhsa_system_sgpr_workgroup_id_x 1
		.amdhsa_system_sgpr_workgroup_id_y 0
		.amdhsa_system_sgpr_workgroup_id_z 0
		.amdhsa_system_sgpr_workgroup_info 0
		.amdhsa_system_vgpr_workitem_id 0
		.amdhsa_next_free_vgpr 1
		.amdhsa_next_free_sgpr 1
		.amdhsa_reserve_vcc 0
		.amdhsa_float_round_mode_32 0
		.amdhsa_float_round_mode_16_64 0
		.amdhsa_float_denorm_mode_32 3
		.amdhsa_float_denorm_mode_16_64 3
		.amdhsa_dx10_clamp 1
		.amdhsa_ieee_mode 1
		.amdhsa_fp16_overflow 0
		.amdhsa_workgroup_processor_mode 1
		.amdhsa_memory_ordered 1
		.amdhsa_forward_progress 0
		.amdhsa_shared_vgpr_count 0
		.amdhsa_exception_fp_ieee_invalid_op 0
		.amdhsa_exception_fp_denorm_src 0
		.amdhsa_exception_fp_ieee_div_zero 0
		.amdhsa_exception_fp_ieee_overflow 0
		.amdhsa_exception_fp_ieee_underflow 0
		.amdhsa_exception_fp_ieee_inexact 0
		.amdhsa_exception_int_div_zero 0
	.end_amdhsa_kernel
	.section	.text._ZN7rocprim17ROCPRIM_400000_NS6detail17trampoline_kernelINS0_14default_configENS1_29reduce_by_key_config_selectorIxjN6thrust23THRUST_200600_302600_NS4plusIjEEEEZZNS1_33reduce_by_key_impl_wrapped_configILNS1_25lookback_scan_determinismE0ES3_S9_NS6_6detail15normal_iteratorINS6_10device_ptrIxEEEENSD_INSE_IjEEEESG_SI_PmS8_NS6_8equal_toIxEEEE10hipError_tPvRmT2_T3_mT4_T5_T6_T7_T8_P12ihipStream_tbENKUlT_T0_E_clISt17integral_constantIbLb1EES12_IbLb0EEEEDaSY_SZ_EUlSY_E_NS1_11comp_targetILNS1_3genE0ELNS1_11target_archE4294967295ELNS1_3gpuE0ELNS1_3repE0EEENS1_30default_config_static_selectorELNS0_4arch9wavefront6targetE0EEEvT1_,"axG",@progbits,_ZN7rocprim17ROCPRIM_400000_NS6detail17trampoline_kernelINS0_14default_configENS1_29reduce_by_key_config_selectorIxjN6thrust23THRUST_200600_302600_NS4plusIjEEEEZZNS1_33reduce_by_key_impl_wrapped_configILNS1_25lookback_scan_determinismE0ES3_S9_NS6_6detail15normal_iteratorINS6_10device_ptrIxEEEENSD_INSE_IjEEEESG_SI_PmS8_NS6_8equal_toIxEEEE10hipError_tPvRmT2_T3_mT4_T5_T6_T7_T8_P12ihipStream_tbENKUlT_T0_E_clISt17integral_constantIbLb1EES12_IbLb0EEEEDaSY_SZ_EUlSY_E_NS1_11comp_targetILNS1_3genE0ELNS1_11target_archE4294967295ELNS1_3gpuE0ELNS1_3repE0EEENS1_30default_config_static_selectorELNS0_4arch9wavefront6targetE0EEEvT1_,comdat
.Lfunc_end787:
	.size	_ZN7rocprim17ROCPRIM_400000_NS6detail17trampoline_kernelINS0_14default_configENS1_29reduce_by_key_config_selectorIxjN6thrust23THRUST_200600_302600_NS4plusIjEEEEZZNS1_33reduce_by_key_impl_wrapped_configILNS1_25lookback_scan_determinismE0ES3_S9_NS6_6detail15normal_iteratorINS6_10device_ptrIxEEEENSD_INSE_IjEEEESG_SI_PmS8_NS6_8equal_toIxEEEE10hipError_tPvRmT2_T3_mT4_T5_T6_T7_T8_P12ihipStream_tbENKUlT_T0_E_clISt17integral_constantIbLb1EES12_IbLb0EEEEDaSY_SZ_EUlSY_E_NS1_11comp_targetILNS1_3genE0ELNS1_11target_archE4294967295ELNS1_3gpuE0ELNS1_3repE0EEENS1_30default_config_static_selectorELNS0_4arch9wavefront6targetE0EEEvT1_, .Lfunc_end787-_ZN7rocprim17ROCPRIM_400000_NS6detail17trampoline_kernelINS0_14default_configENS1_29reduce_by_key_config_selectorIxjN6thrust23THRUST_200600_302600_NS4plusIjEEEEZZNS1_33reduce_by_key_impl_wrapped_configILNS1_25lookback_scan_determinismE0ES3_S9_NS6_6detail15normal_iteratorINS6_10device_ptrIxEEEENSD_INSE_IjEEEESG_SI_PmS8_NS6_8equal_toIxEEEE10hipError_tPvRmT2_T3_mT4_T5_T6_T7_T8_P12ihipStream_tbENKUlT_T0_E_clISt17integral_constantIbLb1EES12_IbLb0EEEEDaSY_SZ_EUlSY_E_NS1_11comp_targetILNS1_3genE0ELNS1_11target_archE4294967295ELNS1_3gpuE0ELNS1_3repE0EEENS1_30default_config_static_selectorELNS0_4arch9wavefront6targetE0EEEvT1_
                                        ; -- End function
	.section	.AMDGPU.csdata,"",@progbits
; Kernel info:
; codeLenInByte = 0
; NumSgprs: 0
; NumVgprs: 0
; ScratchSize: 0
; MemoryBound: 0
; FloatMode: 240
; IeeeMode: 1
; LDSByteSize: 0 bytes/workgroup (compile time only)
; SGPRBlocks: 0
; VGPRBlocks: 0
; NumSGPRsForWavesPerEU: 1
; NumVGPRsForWavesPerEU: 1
; Occupancy: 16
; WaveLimiterHint : 0
; COMPUTE_PGM_RSRC2:SCRATCH_EN: 0
; COMPUTE_PGM_RSRC2:USER_SGPR: 15
; COMPUTE_PGM_RSRC2:TRAP_HANDLER: 0
; COMPUTE_PGM_RSRC2:TGID_X_EN: 1
; COMPUTE_PGM_RSRC2:TGID_Y_EN: 0
; COMPUTE_PGM_RSRC2:TGID_Z_EN: 0
; COMPUTE_PGM_RSRC2:TIDIG_COMP_CNT: 0
	.section	.text._ZN7rocprim17ROCPRIM_400000_NS6detail17trampoline_kernelINS0_14default_configENS1_29reduce_by_key_config_selectorIxjN6thrust23THRUST_200600_302600_NS4plusIjEEEEZZNS1_33reduce_by_key_impl_wrapped_configILNS1_25lookback_scan_determinismE0ES3_S9_NS6_6detail15normal_iteratorINS6_10device_ptrIxEEEENSD_INSE_IjEEEESG_SI_PmS8_NS6_8equal_toIxEEEE10hipError_tPvRmT2_T3_mT4_T5_T6_T7_T8_P12ihipStream_tbENKUlT_T0_E_clISt17integral_constantIbLb1EES12_IbLb0EEEEDaSY_SZ_EUlSY_E_NS1_11comp_targetILNS1_3genE5ELNS1_11target_archE942ELNS1_3gpuE9ELNS1_3repE0EEENS1_30default_config_static_selectorELNS0_4arch9wavefront6targetE0EEEvT1_,"axG",@progbits,_ZN7rocprim17ROCPRIM_400000_NS6detail17trampoline_kernelINS0_14default_configENS1_29reduce_by_key_config_selectorIxjN6thrust23THRUST_200600_302600_NS4plusIjEEEEZZNS1_33reduce_by_key_impl_wrapped_configILNS1_25lookback_scan_determinismE0ES3_S9_NS6_6detail15normal_iteratorINS6_10device_ptrIxEEEENSD_INSE_IjEEEESG_SI_PmS8_NS6_8equal_toIxEEEE10hipError_tPvRmT2_T3_mT4_T5_T6_T7_T8_P12ihipStream_tbENKUlT_T0_E_clISt17integral_constantIbLb1EES12_IbLb0EEEEDaSY_SZ_EUlSY_E_NS1_11comp_targetILNS1_3genE5ELNS1_11target_archE942ELNS1_3gpuE9ELNS1_3repE0EEENS1_30default_config_static_selectorELNS0_4arch9wavefront6targetE0EEEvT1_,comdat
	.protected	_ZN7rocprim17ROCPRIM_400000_NS6detail17trampoline_kernelINS0_14default_configENS1_29reduce_by_key_config_selectorIxjN6thrust23THRUST_200600_302600_NS4plusIjEEEEZZNS1_33reduce_by_key_impl_wrapped_configILNS1_25lookback_scan_determinismE0ES3_S9_NS6_6detail15normal_iteratorINS6_10device_ptrIxEEEENSD_INSE_IjEEEESG_SI_PmS8_NS6_8equal_toIxEEEE10hipError_tPvRmT2_T3_mT4_T5_T6_T7_T8_P12ihipStream_tbENKUlT_T0_E_clISt17integral_constantIbLb1EES12_IbLb0EEEEDaSY_SZ_EUlSY_E_NS1_11comp_targetILNS1_3genE5ELNS1_11target_archE942ELNS1_3gpuE9ELNS1_3repE0EEENS1_30default_config_static_selectorELNS0_4arch9wavefront6targetE0EEEvT1_ ; -- Begin function _ZN7rocprim17ROCPRIM_400000_NS6detail17trampoline_kernelINS0_14default_configENS1_29reduce_by_key_config_selectorIxjN6thrust23THRUST_200600_302600_NS4plusIjEEEEZZNS1_33reduce_by_key_impl_wrapped_configILNS1_25lookback_scan_determinismE0ES3_S9_NS6_6detail15normal_iteratorINS6_10device_ptrIxEEEENSD_INSE_IjEEEESG_SI_PmS8_NS6_8equal_toIxEEEE10hipError_tPvRmT2_T3_mT4_T5_T6_T7_T8_P12ihipStream_tbENKUlT_T0_E_clISt17integral_constantIbLb1EES12_IbLb0EEEEDaSY_SZ_EUlSY_E_NS1_11comp_targetILNS1_3genE5ELNS1_11target_archE942ELNS1_3gpuE9ELNS1_3repE0EEENS1_30default_config_static_selectorELNS0_4arch9wavefront6targetE0EEEvT1_
	.globl	_ZN7rocprim17ROCPRIM_400000_NS6detail17trampoline_kernelINS0_14default_configENS1_29reduce_by_key_config_selectorIxjN6thrust23THRUST_200600_302600_NS4plusIjEEEEZZNS1_33reduce_by_key_impl_wrapped_configILNS1_25lookback_scan_determinismE0ES3_S9_NS6_6detail15normal_iteratorINS6_10device_ptrIxEEEENSD_INSE_IjEEEESG_SI_PmS8_NS6_8equal_toIxEEEE10hipError_tPvRmT2_T3_mT4_T5_T6_T7_T8_P12ihipStream_tbENKUlT_T0_E_clISt17integral_constantIbLb1EES12_IbLb0EEEEDaSY_SZ_EUlSY_E_NS1_11comp_targetILNS1_3genE5ELNS1_11target_archE942ELNS1_3gpuE9ELNS1_3repE0EEENS1_30default_config_static_selectorELNS0_4arch9wavefront6targetE0EEEvT1_
	.p2align	8
	.type	_ZN7rocprim17ROCPRIM_400000_NS6detail17trampoline_kernelINS0_14default_configENS1_29reduce_by_key_config_selectorIxjN6thrust23THRUST_200600_302600_NS4plusIjEEEEZZNS1_33reduce_by_key_impl_wrapped_configILNS1_25lookback_scan_determinismE0ES3_S9_NS6_6detail15normal_iteratorINS6_10device_ptrIxEEEENSD_INSE_IjEEEESG_SI_PmS8_NS6_8equal_toIxEEEE10hipError_tPvRmT2_T3_mT4_T5_T6_T7_T8_P12ihipStream_tbENKUlT_T0_E_clISt17integral_constantIbLb1EES12_IbLb0EEEEDaSY_SZ_EUlSY_E_NS1_11comp_targetILNS1_3genE5ELNS1_11target_archE942ELNS1_3gpuE9ELNS1_3repE0EEENS1_30default_config_static_selectorELNS0_4arch9wavefront6targetE0EEEvT1_,@function
_ZN7rocprim17ROCPRIM_400000_NS6detail17trampoline_kernelINS0_14default_configENS1_29reduce_by_key_config_selectorIxjN6thrust23THRUST_200600_302600_NS4plusIjEEEEZZNS1_33reduce_by_key_impl_wrapped_configILNS1_25lookback_scan_determinismE0ES3_S9_NS6_6detail15normal_iteratorINS6_10device_ptrIxEEEENSD_INSE_IjEEEESG_SI_PmS8_NS6_8equal_toIxEEEE10hipError_tPvRmT2_T3_mT4_T5_T6_T7_T8_P12ihipStream_tbENKUlT_T0_E_clISt17integral_constantIbLb1EES12_IbLb0EEEEDaSY_SZ_EUlSY_E_NS1_11comp_targetILNS1_3genE5ELNS1_11target_archE942ELNS1_3gpuE9ELNS1_3repE0EEENS1_30default_config_static_selectorELNS0_4arch9wavefront6targetE0EEEvT1_: ; @_ZN7rocprim17ROCPRIM_400000_NS6detail17trampoline_kernelINS0_14default_configENS1_29reduce_by_key_config_selectorIxjN6thrust23THRUST_200600_302600_NS4plusIjEEEEZZNS1_33reduce_by_key_impl_wrapped_configILNS1_25lookback_scan_determinismE0ES3_S9_NS6_6detail15normal_iteratorINS6_10device_ptrIxEEEENSD_INSE_IjEEEESG_SI_PmS8_NS6_8equal_toIxEEEE10hipError_tPvRmT2_T3_mT4_T5_T6_T7_T8_P12ihipStream_tbENKUlT_T0_E_clISt17integral_constantIbLb1EES12_IbLb0EEEEDaSY_SZ_EUlSY_E_NS1_11comp_targetILNS1_3genE5ELNS1_11target_archE942ELNS1_3gpuE9ELNS1_3repE0EEENS1_30default_config_static_selectorELNS0_4arch9wavefront6targetE0EEEvT1_
; %bb.0:
	.section	.rodata,"a",@progbits
	.p2align	6, 0x0
	.amdhsa_kernel _ZN7rocprim17ROCPRIM_400000_NS6detail17trampoline_kernelINS0_14default_configENS1_29reduce_by_key_config_selectorIxjN6thrust23THRUST_200600_302600_NS4plusIjEEEEZZNS1_33reduce_by_key_impl_wrapped_configILNS1_25lookback_scan_determinismE0ES3_S9_NS6_6detail15normal_iteratorINS6_10device_ptrIxEEEENSD_INSE_IjEEEESG_SI_PmS8_NS6_8equal_toIxEEEE10hipError_tPvRmT2_T3_mT4_T5_T6_T7_T8_P12ihipStream_tbENKUlT_T0_E_clISt17integral_constantIbLb1EES12_IbLb0EEEEDaSY_SZ_EUlSY_E_NS1_11comp_targetILNS1_3genE5ELNS1_11target_archE942ELNS1_3gpuE9ELNS1_3repE0EEENS1_30default_config_static_selectorELNS0_4arch9wavefront6targetE0EEEvT1_
		.amdhsa_group_segment_fixed_size 0
		.amdhsa_private_segment_fixed_size 0
		.amdhsa_kernarg_size 120
		.amdhsa_user_sgpr_count 15
		.amdhsa_user_sgpr_dispatch_ptr 0
		.amdhsa_user_sgpr_queue_ptr 0
		.amdhsa_user_sgpr_kernarg_segment_ptr 1
		.amdhsa_user_sgpr_dispatch_id 0
		.amdhsa_user_sgpr_private_segment_size 0
		.amdhsa_wavefront_size32 1
		.amdhsa_uses_dynamic_stack 0
		.amdhsa_enable_private_segment 0
		.amdhsa_system_sgpr_workgroup_id_x 1
		.amdhsa_system_sgpr_workgroup_id_y 0
		.amdhsa_system_sgpr_workgroup_id_z 0
		.amdhsa_system_sgpr_workgroup_info 0
		.amdhsa_system_vgpr_workitem_id 0
		.amdhsa_next_free_vgpr 1
		.amdhsa_next_free_sgpr 1
		.amdhsa_reserve_vcc 0
		.amdhsa_float_round_mode_32 0
		.amdhsa_float_round_mode_16_64 0
		.amdhsa_float_denorm_mode_32 3
		.amdhsa_float_denorm_mode_16_64 3
		.amdhsa_dx10_clamp 1
		.amdhsa_ieee_mode 1
		.amdhsa_fp16_overflow 0
		.amdhsa_workgroup_processor_mode 1
		.amdhsa_memory_ordered 1
		.amdhsa_forward_progress 0
		.amdhsa_shared_vgpr_count 0
		.amdhsa_exception_fp_ieee_invalid_op 0
		.amdhsa_exception_fp_denorm_src 0
		.amdhsa_exception_fp_ieee_div_zero 0
		.amdhsa_exception_fp_ieee_overflow 0
		.amdhsa_exception_fp_ieee_underflow 0
		.amdhsa_exception_fp_ieee_inexact 0
		.amdhsa_exception_int_div_zero 0
	.end_amdhsa_kernel
	.section	.text._ZN7rocprim17ROCPRIM_400000_NS6detail17trampoline_kernelINS0_14default_configENS1_29reduce_by_key_config_selectorIxjN6thrust23THRUST_200600_302600_NS4plusIjEEEEZZNS1_33reduce_by_key_impl_wrapped_configILNS1_25lookback_scan_determinismE0ES3_S9_NS6_6detail15normal_iteratorINS6_10device_ptrIxEEEENSD_INSE_IjEEEESG_SI_PmS8_NS6_8equal_toIxEEEE10hipError_tPvRmT2_T3_mT4_T5_T6_T7_T8_P12ihipStream_tbENKUlT_T0_E_clISt17integral_constantIbLb1EES12_IbLb0EEEEDaSY_SZ_EUlSY_E_NS1_11comp_targetILNS1_3genE5ELNS1_11target_archE942ELNS1_3gpuE9ELNS1_3repE0EEENS1_30default_config_static_selectorELNS0_4arch9wavefront6targetE0EEEvT1_,"axG",@progbits,_ZN7rocprim17ROCPRIM_400000_NS6detail17trampoline_kernelINS0_14default_configENS1_29reduce_by_key_config_selectorIxjN6thrust23THRUST_200600_302600_NS4plusIjEEEEZZNS1_33reduce_by_key_impl_wrapped_configILNS1_25lookback_scan_determinismE0ES3_S9_NS6_6detail15normal_iteratorINS6_10device_ptrIxEEEENSD_INSE_IjEEEESG_SI_PmS8_NS6_8equal_toIxEEEE10hipError_tPvRmT2_T3_mT4_T5_T6_T7_T8_P12ihipStream_tbENKUlT_T0_E_clISt17integral_constantIbLb1EES12_IbLb0EEEEDaSY_SZ_EUlSY_E_NS1_11comp_targetILNS1_3genE5ELNS1_11target_archE942ELNS1_3gpuE9ELNS1_3repE0EEENS1_30default_config_static_selectorELNS0_4arch9wavefront6targetE0EEEvT1_,comdat
.Lfunc_end788:
	.size	_ZN7rocprim17ROCPRIM_400000_NS6detail17trampoline_kernelINS0_14default_configENS1_29reduce_by_key_config_selectorIxjN6thrust23THRUST_200600_302600_NS4plusIjEEEEZZNS1_33reduce_by_key_impl_wrapped_configILNS1_25lookback_scan_determinismE0ES3_S9_NS6_6detail15normal_iteratorINS6_10device_ptrIxEEEENSD_INSE_IjEEEESG_SI_PmS8_NS6_8equal_toIxEEEE10hipError_tPvRmT2_T3_mT4_T5_T6_T7_T8_P12ihipStream_tbENKUlT_T0_E_clISt17integral_constantIbLb1EES12_IbLb0EEEEDaSY_SZ_EUlSY_E_NS1_11comp_targetILNS1_3genE5ELNS1_11target_archE942ELNS1_3gpuE9ELNS1_3repE0EEENS1_30default_config_static_selectorELNS0_4arch9wavefront6targetE0EEEvT1_, .Lfunc_end788-_ZN7rocprim17ROCPRIM_400000_NS6detail17trampoline_kernelINS0_14default_configENS1_29reduce_by_key_config_selectorIxjN6thrust23THRUST_200600_302600_NS4plusIjEEEEZZNS1_33reduce_by_key_impl_wrapped_configILNS1_25lookback_scan_determinismE0ES3_S9_NS6_6detail15normal_iteratorINS6_10device_ptrIxEEEENSD_INSE_IjEEEESG_SI_PmS8_NS6_8equal_toIxEEEE10hipError_tPvRmT2_T3_mT4_T5_T6_T7_T8_P12ihipStream_tbENKUlT_T0_E_clISt17integral_constantIbLb1EES12_IbLb0EEEEDaSY_SZ_EUlSY_E_NS1_11comp_targetILNS1_3genE5ELNS1_11target_archE942ELNS1_3gpuE9ELNS1_3repE0EEENS1_30default_config_static_selectorELNS0_4arch9wavefront6targetE0EEEvT1_
                                        ; -- End function
	.section	.AMDGPU.csdata,"",@progbits
; Kernel info:
; codeLenInByte = 0
; NumSgprs: 0
; NumVgprs: 0
; ScratchSize: 0
; MemoryBound: 0
; FloatMode: 240
; IeeeMode: 1
; LDSByteSize: 0 bytes/workgroup (compile time only)
; SGPRBlocks: 0
; VGPRBlocks: 0
; NumSGPRsForWavesPerEU: 1
; NumVGPRsForWavesPerEU: 1
; Occupancy: 16
; WaveLimiterHint : 0
; COMPUTE_PGM_RSRC2:SCRATCH_EN: 0
; COMPUTE_PGM_RSRC2:USER_SGPR: 15
; COMPUTE_PGM_RSRC2:TRAP_HANDLER: 0
; COMPUTE_PGM_RSRC2:TGID_X_EN: 1
; COMPUTE_PGM_RSRC2:TGID_Y_EN: 0
; COMPUTE_PGM_RSRC2:TGID_Z_EN: 0
; COMPUTE_PGM_RSRC2:TIDIG_COMP_CNT: 0
	.section	.text._ZN7rocprim17ROCPRIM_400000_NS6detail17trampoline_kernelINS0_14default_configENS1_29reduce_by_key_config_selectorIxjN6thrust23THRUST_200600_302600_NS4plusIjEEEEZZNS1_33reduce_by_key_impl_wrapped_configILNS1_25lookback_scan_determinismE0ES3_S9_NS6_6detail15normal_iteratorINS6_10device_ptrIxEEEENSD_INSE_IjEEEESG_SI_PmS8_NS6_8equal_toIxEEEE10hipError_tPvRmT2_T3_mT4_T5_T6_T7_T8_P12ihipStream_tbENKUlT_T0_E_clISt17integral_constantIbLb1EES12_IbLb0EEEEDaSY_SZ_EUlSY_E_NS1_11comp_targetILNS1_3genE4ELNS1_11target_archE910ELNS1_3gpuE8ELNS1_3repE0EEENS1_30default_config_static_selectorELNS0_4arch9wavefront6targetE0EEEvT1_,"axG",@progbits,_ZN7rocprim17ROCPRIM_400000_NS6detail17trampoline_kernelINS0_14default_configENS1_29reduce_by_key_config_selectorIxjN6thrust23THRUST_200600_302600_NS4plusIjEEEEZZNS1_33reduce_by_key_impl_wrapped_configILNS1_25lookback_scan_determinismE0ES3_S9_NS6_6detail15normal_iteratorINS6_10device_ptrIxEEEENSD_INSE_IjEEEESG_SI_PmS8_NS6_8equal_toIxEEEE10hipError_tPvRmT2_T3_mT4_T5_T6_T7_T8_P12ihipStream_tbENKUlT_T0_E_clISt17integral_constantIbLb1EES12_IbLb0EEEEDaSY_SZ_EUlSY_E_NS1_11comp_targetILNS1_3genE4ELNS1_11target_archE910ELNS1_3gpuE8ELNS1_3repE0EEENS1_30default_config_static_selectorELNS0_4arch9wavefront6targetE0EEEvT1_,comdat
	.protected	_ZN7rocprim17ROCPRIM_400000_NS6detail17trampoline_kernelINS0_14default_configENS1_29reduce_by_key_config_selectorIxjN6thrust23THRUST_200600_302600_NS4plusIjEEEEZZNS1_33reduce_by_key_impl_wrapped_configILNS1_25lookback_scan_determinismE0ES3_S9_NS6_6detail15normal_iteratorINS6_10device_ptrIxEEEENSD_INSE_IjEEEESG_SI_PmS8_NS6_8equal_toIxEEEE10hipError_tPvRmT2_T3_mT4_T5_T6_T7_T8_P12ihipStream_tbENKUlT_T0_E_clISt17integral_constantIbLb1EES12_IbLb0EEEEDaSY_SZ_EUlSY_E_NS1_11comp_targetILNS1_3genE4ELNS1_11target_archE910ELNS1_3gpuE8ELNS1_3repE0EEENS1_30default_config_static_selectorELNS0_4arch9wavefront6targetE0EEEvT1_ ; -- Begin function _ZN7rocprim17ROCPRIM_400000_NS6detail17trampoline_kernelINS0_14default_configENS1_29reduce_by_key_config_selectorIxjN6thrust23THRUST_200600_302600_NS4plusIjEEEEZZNS1_33reduce_by_key_impl_wrapped_configILNS1_25lookback_scan_determinismE0ES3_S9_NS6_6detail15normal_iteratorINS6_10device_ptrIxEEEENSD_INSE_IjEEEESG_SI_PmS8_NS6_8equal_toIxEEEE10hipError_tPvRmT2_T3_mT4_T5_T6_T7_T8_P12ihipStream_tbENKUlT_T0_E_clISt17integral_constantIbLb1EES12_IbLb0EEEEDaSY_SZ_EUlSY_E_NS1_11comp_targetILNS1_3genE4ELNS1_11target_archE910ELNS1_3gpuE8ELNS1_3repE0EEENS1_30default_config_static_selectorELNS0_4arch9wavefront6targetE0EEEvT1_
	.globl	_ZN7rocprim17ROCPRIM_400000_NS6detail17trampoline_kernelINS0_14default_configENS1_29reduce_by_key_config_selectorIxjN6thrust23THRUST_200600_302600_NS4plusIjEEEEZZNS1_33reduce_by_key_impl_wrapped_configILNS1_25lookback_scan_determinismE0ES3_S9_NS6_6detail15normal_iteratorINS6_10device_ptrIxEEEENSD_INSE_IjEEEESG_SI_PmS8_NS6_8equal_toIxEEEE10hipError_tPvRmT2_T3_mT4_T5_T6_T7_T8_P12ihipStream_tbENKUlT_T0_E_clISt17integral_constantIbLb1EES12_IbLb0EEEEDaSY_SZ_EUlSY_E_NS1_11comp_targetILNS1_3genE4ELNS1_11target_archE910ELNS1_3gpuE8ELNS1_3repE0EEENS1_30default_config_static_selectorELNS0_4arch9wavefront6targetE0EEEvT1_
	.p2align	8
	.type	_ZN7rocprim17ROCPRIM_400000_NS6detail17trampoline_kernelINS0_14default_configENS1_29reduce_by_key_config_selectorIxjN6thrust23THRUST_200600_302600_NS4plusIjEEEEZZNS1_33reduce_by_key_impl_wrapped_configILNS1_25lookback_scan_determinismE0ES3_S9_NS6_6detail15normal_iteratorINS6_10device_ptrIxEEEENSD_INSE_IjEEEESG_SI_PmS8_NS6_8equal_toIxEEEE10hipError_tPvRmT2_T3_mT4_T5_T6_T7_T8_P12ihipStream_tbENKUlT_T0_E_clISt17integral_constantIbLb1EES12_IbLb0EEEEDaSY_SZ_EUlSY_E_NS1_11comp_targetILNS1_3genE4ELNS1_11target_archE910ELNS1_3gpuE8ELNS1_3repE0EEENS1_30default_config_static_selectorELNS0_4arch9wavefront6targetE0EEEvT1_,@function
_ZN7rocprim17ROCPRIM_400000_NS6detail17trampoline_kernelINS0_14default_configENS1_29reduce_by_key_config_selectorIxjN6thrust23THRUST_200600_302600_NS4plusIjEEEEZZNS1_33reduce_by_key_impl_wrapped_configILNS1_25lookback_scan_determinismE0ES3_S9_NS6_6detail15normal_iteratorINS6_10device_ptrIxEEEENSD_INSE_IjEEEESG_SI_PmS8_NS6_8equal_toIxEEEE10hipError_tPvRmT2_T3_mT4_T5_T6_T7_T8_P12ihipStream_tbENKUlT_T0_E_clISt17integral_constantIbLb1EES12_IbLb0EEEEDaSY_SZ_EUlSY_E_NS1_11comp_targetILNS1_3genE4ELNS1_11target_archE910ELNS1_3gpuE8ELNS1_3repE0EEENS1_30default_config_static_selectorELNS0_4arch9wavefront6targetE0EEEvT1_: ; @_ZN7rocprim17ROCPRIM_400000_NS6detail17trampoline_kernelINS0_14default_configENS1_29reduce_by_key_config_selectorIxjN6thrust23THRUST_200600_302600_NS4plusIjEEEEZZNS1_33reduce_by_key_impl_wrapped_configILNS1_25lookback_scan_determinismE0ES3_S9_NS6_6detail15normal_iteratorINS6_10device_ptrIxEEEENSD_INSE_IjEEEESG_SI_PmS8_NS6_8equal_toIxEEEE10hipError_tPvRmT2_T3_mT4_T5_T6_T7_T8_P12ihipStream_tbENKUlT_T0_E_clISt17integral_constantIbLb1EES12_IbLb0EEEEDaSY_SZ_EUlSY_E_NS1_11comp_targetILNS1_3genE4ELNS1_11target_archE910ELNS1_3gpuE8ELNS1_3repE0EEENS1_30default_config_static_selectorELNS0_4arch9wavefront6targetE0EEEvT1_
; %bb.0:
	.section	.rodata,"a",@progbits
	.p2align	6, 0x0
	.amdhsa_kernel _ZN7rocprim17ROCPRIM_400000_NS6detail17trampoline_kernelINS0_14default_configENS1_29reduce_by_key_config_selectorIxjN6thrust23THRUST_200600_302600_NS4plusIjEEEEZZNS1_33reduce_by_key_impl_wrapped_configILNS1_25lookback_scan_determinismE0ES3_S9_NS6_6detail15normal_iteratorINS6_10device_ptrIxEEEENSD_INSE_IjEEEESG_SI_PmS8_NS6_8equal_toIxEEEE10hipError_tPvRmT2_T3_mT4_T5_T6_T7_T8_P12ihipStream_tbENKUlT_T0_E_clISt17integral_constantIbLb1EES12_IbLb0EEEEDaSY_SZ_EUlSY_E_NS1_11comp_targetILNS1_3genE4ELNS1_11target_archE910ELNS1_3gpuE8ELNS1_3repE0EEENS1_30default_config_static_selectorELNS0_4arch9wavefront6targetE0EEEvT1_
		.amdhsa_group_segment_fixed_size 0
		.amdhsa_private_segment_fixed_size 0
		.amdhsa_kernarg_size 120
		.amdhsa_user_sgpr_count 15
		.amdhsa_user_sgpr_dispatch_ptr 0
		.amdhsa_user_sgpr_queue_ptr 0
		.amdhsa_user_sgpr_kernarg_segment_ptr 1
		.amdhsa_user_sgpr_dispatch_id 0
		.amdhsa_user_sgpr_private_segment_size 0
		.amdhsa_wavefront_size32 1
		.amdhsa_uses_dynamic_stack 0
		.amdhsa_enable_private_segment 0
		.amdhsa_system_sgpr_workgroup_id_x 1
		.amdhsa_system_sgpr_workgroup_id_y 0
		.amdhsa_system_sgpr_workgroup_id_z 0
		.amdhsa_system_sgpr_workgroup_info 0
		.amdhsa_system_vgpr_workitem_id 0
		.amdhsa_next_free_vgpr 1
		.amdhsa_next_free_sgpr 1
		.amdhsa_reserve_vcc 0
		.amdhsa_float_round_mode_32 0
		.amdhsa_float_round_mode_16_64 0
		.amdhsa_float_denorm_mode_32 3
		.amdhsa_float_denorm_mode_16_64 3
		.amdhsa_dx10_clamp 1
		.amdhsa_ieee_mode 1
		.amdhsa_fp16_overflow 0
		.amdhsa_workgroup_processor_mode 1
		.amdhsa_memory_ordered 1
		.amdhsa_forward_progress 0
		.amdhsa_shared_vgpr_count 0
		.amdhsa_exception_fp_ieee_invalid_op 0
		.amdhsa_exception_fp_denorm_src 0
		.amdhsa_exception_fp_ieee_div_zero 0
		.amdhsa_exception_fp_ieee_overflow 0
		.amdhsa_exception_fp_ieee_underflow 0
		.amdhsa_exception_fp_ieee_inexact 0
		.amdhsa_exception_int_div_zero 0
	.end_amdhsa_kernel
	.section	.text._ZN7rocprim17ROCPRIM_400000_NS6detail17trampoline_kernelINS0_14default_configENS1_29reduce_by_key_config_selectorIxjN6thrust23THRUST_200600_302600_NS4plusIjEEEEZZNS1_33reduce_by_key_impl_wrapped_configILNS1_25lookback_scan_determinismE0ES3_S9_NS6_6detail15normal_iteratorINS6_10device_ptrIxEEEENSD_INSE_IjEEEESG_SI_PmS8_NS6_8equal_toIxEEEE10hipError_tPvRmT2_T3_mT4_T5_T6_T7_T8_P12ihipStream_tbENKUlT_T0_E_clISt17integral_constantIbLb1EES12_IbLb0EEEEDaSY_SZ_EUlSY_E_NS1_11comp_targetILNS1_3genE4ELNS1_11target_archE910ELNS1_3gpuE8ELNS1_3repE0EEENS1_30default_config_static_selectorELNS0_4arch9wavefront6targetE0EEEvT1_,"axG",@progbits,_ZN7rocprim17ROCPRIM_400000_NS6detail17trampoline_kernelINS0_14default_configENS1_29reduce_by_key_config_selectorIxjN6thrust23THRUST_200600_302600_NS4plusIjEEEEZZNS1_33reduce_by_key_impl_wrapped_configILNS1_25lookback_scan_determinismE0ES3_S9_NS6_6detail15normal_iteratorINS6_10device_ptrIxEEEENSD_INSE_IjEEEESG_SI_PmS8_NS6_8equal_toIxEEEE10hipError_tPvRmT2_T3_mT4_T5_T6_T7_T8_P12ihipStream_tbENKUlT_T0_E_clISt17integral_constantIbLb1EES12_IbLb0EEEEDaSY_SZ_EUlSY_E_NS1_11comp_targetILNS1_3genE4ELNS1_11target_archE910ELNS1_3gpuE8ELNS1_3repE0EEENS1_30default_config_static_selectorELNS0_4arch9wavefront6targetE0EEEvT1_,comdat
.Lfunc_end789:
	.size	_ZN7rocprim17ROCPRIM_400000_NS6detail17trampoline_kernelINS0_14default_configENS1_29reduce_by_key_config_selectorIxjN6thrust23THRUST_200600_302600_NS4plusIjEEEEZZNS1_33reduce_by_key_impl_wrapped_configILNS1_25lookback_scan_determinismE0ES3_S9_NS6_6detail15normal_iteratorINS6_10device_ptrIxEEEENSD_INSE_IjEEEESG_SI_PmS8_NS6_8equal_toIxEEEE10hipError_tPvRmT2_T3_mT4_T5_T6_T7_T8_P12ihipStream_tbENKUlT_T0_E_clISt17integral_constantIbLb1EES12_IbLb0EEEEDaSY_SZ_EUlSY_E_NS1_11comp_targetILNS1_3genE4ELNS1_11target_archE910ELNS1_3gpuE8ELNS1_3repE0EEENS1_30default_config_static_selectorELNS0_4arch9wavefront6targetE0EEEvT1_, .Lfunc_end789-_ZN7rocprim17ROCPRIM_400000_NS6detail17trampoline_kernelINS0_14default_configENS1_29reduce_by_key_config_selectorIxjN6thrust23THRUST_200600_302600_NS4plusIjEEEEZZNS1_33reduce_by_key_impl_wrapped_configILNS1_25lookback_scan_determinismE0ES3_S9_NS6_6detail15normal_iteratorINS6_10device_ptrIxEEEENSD_INSE_IjEEEESG_SI_PmS8_NS6_8equal_toIxEEEE10hipError_tPvRmT2_T3_mT4_T5_T6_T7_T8_P12ihipStream_tbENKUlT_T0_E_clISt17integral_constantIbLb1EES12_IbLb0EEEEDaSY_SZ_EUlSY_E_NS1_11comp_targetILNS1_3genE4ELNS1_11target_archE910ELNS1_3gpuE8ELNS1_3repE0EEENS1_30default_config_static_selectorELNS0_4arch9wavefront6targetE0EEEvT1_
                                        ; -- End function
	.section	.AMDGPU.csdata,"",@progbits
; Kernel info:
; codeLenInByte = 0
; NumSgprs: 0
; NumVgprs: 0
; ScratchSize: 0
; MemoryBound: 0
; FloatMode: 240
; IeeeMode: 1
; LDSByteSize: 0 bytes/workgroup (compile time only)
; SGPRBlocks: 0
; VGPRBlocks: 0
; NumSGPRsForWavesPerEU: 1
; NumVGPRsForWavesPerEU: 1
; Occupancy: 16
; WaveLimiterHint : 0
; COMPUTE_PGM_RSRC2:SCRATCH_EN: 0
; COMPUTE_PGM_RSRC2:USER_SGPR: 15
; COMPUTE_PGM_RSRC2:TRAP_HANDLER: 0
; COMPUTE_PGM_RSRC2:TGID_X_EN: 1
; COMPUTE_PGM_RSRC2:TGID_Y_EN: 0
; COMPUTE_PGM_RSRC2:TGID_Z_EN: 0
; COMPUTE_PGM_RSRC2:TIDIG_COMP_CNT: 0
	.section	.text._ZN7rocprim17ROCPRIM_400000_NS6detail17trampoline_kernelINS0_14default_configENS1_29reduce_by_key_config_selectorIxjN6thrust23THRUST_200600_302600_NS4plusIjEEEEZZNS1_33reduce_by_key_impl_wrapped_configILNS1_25lookback_scan_determinismE0ES3_S9_NS6_6detail15normal_iteratorINS6_10device_ptrIxEEEENSD_INSE_IjEEEESG_SI_PmS8_NS6_8equal_toIxEEEE10hipError_tPvRmT2_T3_mT4_T5_T6_T7_T8_P12ihipStream_tbENKUlT_T0_E_clISt17integral_constantIbLb1EES12_IbLb0EEEEDaSY_SZ_EUlSY_E_NS1_11comp_targetILNS1_3genE3ELNS1_11target_archE908ELNS1_3gpuE7ELNS1_3repE0EEENS1_30default_config_static_selectorELNS0_4arch9wavefront6targetE0EEEvT1_,"axG",@progbits,_ZN7rocprim17ROCPRIM_400000_NS6detail17trampoline_kernelINS0_14default_configENS1_29reduce_by_key_config_selectorIxjN6thrust23THRUST_200600_302600_NS4plusIjEEEEZZNS1_33reduce_by_key_impl_wrapped_configILNS1_25lookback_scan_determinismE0ES3_S9_NS6_6detail15normal_iteratorINS6_10device_ptrIxEEEENSD_INSE_IjEEEESG_SI_PmS8_NS6_8equal_toIxEEEE10hipError_tPvRmT2_T3_mT4_T5_T6_T7_T8_P12ihipStream_tbENKUlT_T0_E_clISt17integral_constantIbLb1EES12_IbLb0EEEEDaSY_SZ_EUlSY_E_NS1_11comp_targetILNS1_3genE3ELNS1_11target_archE908ELNS1_3gpuE7ELNS1_3repE0EEENS1_30default_config_static_selectorELNS0_4arch9wavefront6targetE0EEEvT1_,comdat
	.protected	_ZN7rocprim17ROCPRIM_400000_NS6detail17trampoline_kernelINS0_14default_configENS1_29reduce_by_key_config_selectorIxjN6thrust23THRUST_200600_302600_NS4plusIjEEEEZZNS1_33reduce_by_key_impl_wrapped_configILNS1_25lookback_scan_determinismE0ES3_S9_NS6_6detail15normal_iteratorINS6_10device_ptrIxEEEENSD_INSE_IjEEEESG_SI_PmS8_NS6_8equal_toIxEEEE10hipError_tPvRmT2_T3_mT4_T5_T6_T7_T8_P12ihipStream_tbENKUlT_T0_E_clISt17integral_constantIbLb1EES12_IbLb0EEEEDaSY_SZ_EUlSY_E_NS1_11comp_targetILNS1_3genE3ELNS1_11target_archE908ELNS1_3gpuE7ELNS1_3repE0EEENS1_30default_config_static_selectorELNS0_4arch9wavefront6targetE0EEEvT1_ ; -- Begin function _ZN7rocprim17ROCPRIM_400000_NS6detail17trampoline_kernelINS0_14default_configENS1_29reduce_by_key_config_selectorIxjN6thrust23THRUST_200600_302600_NS4plusIjEEEEZZNS1_33reduce_by_key_impl_wrapped_configILNS1_25lookback_scan_determinismE0ES3_S9_NS6_6detail15normal_iteratorINS6_10device_ptrIxEEEENSD_INSE_IjEEEESG_SI_PmS8_NS6_8equal_toIxEEEE10hipError_tPvRmT2_T3_mT4_T5_T6_T7_T8_P12ihipStream_tbENKUlT_T0_E_clISt17integral_constantIbLb1EES12_IbLb0EEEEDaSY_SZ_EUlSY_E_NS1_11comp_targetILNS1_3genE3ELNS1_11target_archE908ELNS1_3gpuE7ELNS1_3repE0EEENS1_30default_config_static_selectorELNS0_4arch9wavefront6targetE0EEEvT1_
	.globl	_ZN7rocprim17ROCPRIM_400000_NS6detail17trampoline_kernelINS0_14default_configENS1_29reduce_by_key_config_selectorIxjN6thrust23THRUST_200600_302600_NS4plusIjEEEEZZNS1_33reduce_by_key_impl_wrapped_configILNS1_25lookback_scan_determinismE0ES3_S9_NS6_6detail15normal_iteratorINS6_10device_ptrIxEEEENSD_INSE_IjEEEESG_SI_PmS8_NS6_8equal_toIxEEEE10hipError_tPvRmT2_T3_mT4_T5_T6_T7_T8_P12ihipStream_tbENKUlT_T0_E_clISt17integral_constantIbLb1EES12_IbLb0EEEEDaSY_SZ_EUlSY_E_NS1_11comp_targetILNS1_3genE3ELNS1_11target_archE908ELNS1_3gpuE7ELNS1_3repE0EEENS1_30default_config_static_selectorELNS0_4arch9wavefront6targetE0EEEvT1_
	.p2align	8
	.type	_ZN7rocprim17ROCPRIM_400000_NS6detail17trampoline_kernelINS0_14default_configENS1_29reduce_by_key_config_selectorIxjN6thrust23THRUST_200600_302600_NS4plusIjEEEEZZNS1_33reduce_by_key_impl_wrapped_configILNS1_25lookback_scan_determinismE0ES3_S9_NS6_6detail15normal_iteratorINS6_10device_ptrIxEEEENSD_INSE_IjEEEESG_SI_PmS8_NS6_8equal_toIxEEEE10hipError_tPvRmT2_T3_mT4_T5_T6_T7_T8_P12ihipStream_tbENKUlT_T0_E_clISt17integral_constantIbLb1EES12_IbLb0EEEEDaSY_SZ_EUlSY_E_NS1_11comp_targetILNS1_3genE3ELNS1_11target_archE908ELNS1_3gpuE7ELNS1_3repE0EEENS1_30default_config_static_selectorELNS0_4arch9wavefront6targetE0EEEvT1_,@function
_ZN7rocprim17ROCPRIM_400000_NS6detail17trampoline_kernelINS0_14default_configENS1_29reduce_by_key_config_selectorIxjN6thrust23THRUST_200600_302600_NS4plusIjEEEEZZNS1_33reduce_by_key_impl_wrapped_configILNS1_25lookback_scan_determinismE0ES3_S9_NS6_6detail15normal_iteratorINS6_10device_ptrIxEEEENSD_INSE_IjEEEESG_SI_PmS8_NS6_8equal_toIxEEEE10hipError_tPvRmT2_T3_mT4_T5_T6_T7_T8_P12ihipStream_tbENKUlT_T0_E_clISt17integral_constantIbLb1EES12_IbLb0EEEEDaSY_SZ_EUlSY_E_NS1_11comp_targetILNS1_3genE3ELNS1_11target_archE908ELNS1_3gpuE7ELNS1_3repE0EEENS1_30default_config_static_selectorELNS0_4arch9wavefront6targetE0EEEvT1_: ; @_ZN7rocprim17ROCPRIM_400000_NS6detail17trampoline_kernelINS0_14default_configENS1_29reduce_by_key_config_selectorIxjN6thrust23THRUST_200600_302600_NS4plusIjEEEEZZNS1_33reduce_by_key_impl_wrapped_configILNS1_25lookback_scan_determinismE0ES3_S9_NS6_6detail15normal_iteratorINS6_10device_ptrIxEEEENSD_INSE_IjEEEESG_SI_PmS8_NS6_8equal_toIxEEEE10hipError_tPvRmT2_T3_mT4_T5_T6_T7_T8_P12ihipStream_tbENKUlT_T0_E_clISt17integral_constantIbLb1EES12_IbLb0EEEEDaSY_SZ_EUlSY_E_NS1_11comp_targetILNS1_3genE3ELNS1_11target_archE908ELNS1_3gpuE7ELNS1_3repE0EEENS1_30default_config_static_selectorELNS0_4arch9wavefront6targetE0EEEvT1_
; %bb.0:
	.section	.rodata,"a",@progbits
	.p2align	6, 0x0
	.amdhsa_kernel _ZN7rocprim17ROCPRIM_400000_NS6detail17trampoline_kernelINS0_14default_configENS1_29reduce_by_key_config_selectorIxjN6thrust23THRUST_200600_302600_NS4plusIjEEEEZZNS1_33reduce_by_key_impl_wrapped_configILNS1_25lookback_scan_determinismE0ES3_S9_NS6_6detail15normal_iteratorINS6_10device_ptrIxEEEENSD_INSE_IjEEEESG_SI_PmS8_NS6_8equal_toIxEEEE10hipError_tPvRmT2_T3_mT4_T5_T6_T7_T8_P12ihipStream_tbENKUlT_T0_E_clISt17integral_constantIbLb1EES12_IbLb0EEEEDaSY_SZ_EUlSY_E_NS1_11comp_targetILNS1_3genE3ELNS1_11target_archE908ELNS1_3gpuE7ELNS1_3repE0EEENS1_30default_config_static_selectorELNS0_4arch9wavefront6targetE0EEEvT1_
		.amdhsa_group_segment_fixed_size 0
		.amdhsa_private_segment_fixed_size 0
		.amdhsa_kernarg_size 120
		.amdhsa_user_sgpr_count 15
		.amdhsa_user_sgpr_dispatch_ptr 0
		.amdhsa_user_sgpr_queue_ptr 0
		.amdhsa_user_sgpr_kernarg_segment_ptr 1
		.amdhsa_user_sgpr_dispatch_id 0
		.amdhsa_user_sgpr_private_segment_size 0
		.amdhsa_wavefront_size32 1
		.amdhsa_uses_dynamic_stack 0
		.amdhsa_enable_private_segment 0
		.amdhsa_system_sgpr_workgroup_id_x 1
		.amdhsa_system_sgpr_workgroup_id_y 0
		.amdhsa_system_sgpr_workgroup_id_z 0
		.amdhsa_system_sgpr_workgroup_info 0
		.amdhsa_system_vgpr_workitem_id 0
		.amdhsa_next_free_vgpr 1
		.amdhsa_next_free_sgpr 1
		.amdhsa_reserve_vcc 0
		.amdhsa_float_round_mode_32 0
		.amdhsa_float_round_mode_16_64 0
		.amdhsa_float_denorm_mode_32 3
		.amdhsa_float_denorm_mode_16_64 3
		.amdhsa_dx10_clamp 1
		.amdhsa_ieee_mode 1
		.amdhsa_fp16_overflow 0
		.amdhsa_workgroup_processor_mode 1
		.amdhsa_memory_ordered 1
		.amdhsa_forward_progress 0
		.amdhsa_shared_vgpr_count 0
		.amdhsa_exception_fp_ieee_invalid_op 0
		.amdhsa_exception_fp_denorm_src 0
		.amdhsa_exception_fp_ieee_div_zero 0
		.amdhsa_exception_fp_ieee_overflow 0
		.amdhsa_exception_fp_ieee_underflow 0
		.amdhsa_exception_fp_ieee_inexact 0
		.amdhsa_exception_int_div_zero 0
	.end_amdhsa_kernel
	.section	.text._ZN7rocprim17ROCPRIM_400000_NS6detail17trampoline_kernelINS0_14default_configENS1_29reduce_by_key_config_selectorIxjN6thrust23THRUST_200600_302600_NS4plusIjEEEEZZNS1_33reduce_by_key_impl_wrapped_configILNS1_25lookback_scan_determinismE0ES3_S9_NS6_6detail15normal_iteratorINS6_10device_ptrIxEEEENSD_INSE_IjEEEESG_SI_PmS8_NS6_8equal_toIxEEEE10hipError_tPvRmT2_T3_mT4_T5_T6_T7_T8_P12ihipStream_tbENKUlT_T0_E_clISt17integral_constantIbLb1EES12_IbLb0EEEEDaSY_SZ_EUlSY_E_NS1_11comp_targetILNS1_3genE3ELNS1_11target_archE908ELNS1_3gpuE7ELNS1_3repE0EEENS1_30default_config_static_selectorELNS0_4arch9wavefront6targetE0EEEvT1_,"axG",@progbits,_ZN7rocprim17ROCPRIM_400000_NS6detail17trampoline_kernelINS0_14default_configENS1_29reduce_by_key_config_selectorIxjN6thrust23THRUST_200600_302600_NS4plusIjEEEEZZNS1_33reduce_by_key_impl_wrapped_configILNS1_25lookback_scan_determinismE0ES3_S9_NS6_6detail15normal_iteratorINS6_10device_ptrIxEEEENSD_INSE_IjEEEESG_SI_PmS8_NS6_8equal_toIxEEEE10hipError_tPvRmT2_T3_mT4_T5_T6_T7_T8_P12ihipStream_tbENKUlT_T0_E_clISt17integral_constantIbLb1EES12_IbLb0EEEEDaSY_SZ_EUlSY_E_NS1_11comp_targetILNS1_3genE3ELNS1_11target_archE908ELNS1_3gpuE7ELNS1_3repE0EEENS1_30default_config_static_selectorELNS0_4arch9wavefront6targetE0EEEvT1_,comdat
.Lfunc_end790:
	.size	_ZN7rocprim17ROCPRIM_400000_NS6detail17trampoline_kernelINS0_14default_configENS1_29reduce_by_key_config_selectorIxjN6thrust23THRUST_200600_302600_NS4plusIjEEEEZZNS1_33reduce_by_key_impl_wrapped_configILNS1_25lookback_scan_determinismE0ES3_S9_NS6_6detail15normal_iteratorINS6_10device_ptrIxEEEENSD_INSE_IjEEEESG_SI_PmS8_NS6_8equal_toIxEEEE10hipError_tPvRmT2_T3_mT4_T5_T6_T7_T8_P12ihipStream_tbENKUlT_T0_E_clISt17integral_constantIbLb1EES12_IbLb0EEEEDaSY_SZ_EUlSY_E_NS1_11comp_targetILNS1_3genE3ELNS1_11target_archE908ELNS1_3gpuE7ELNS1_3repE0EEENS1_30default_config_static_selectorELNS0_4arch9wavefront6targetE0EEEvT1_, .Lfunc_end790-_ZN7rocprim17ROCPRIM_400000_NS6detail17trampoline_kernelINS0_14default_configENS1_29reduce_by_key_config_selectorIxjN6thrust23THRUST_200600_302600_NS4plusIjEEEEZZNS1_33reduce_by_key_impl_wrapped_configILNS1_25lookback_scan_determinismE0ES3_S9_NS6_6detail15normal_iteratorINS6_10device_ptrIxEEEENSD_INSE_IjEEEESG_SI_PmS8_NS6_8equal_toIxEEEE10hipError_tPvRmT2_T3_mT4_T5_T6_T7_T8_P12ihipStream_tbENKUlT_T0_E_clISt17integral_constantIbLb1EES12_IbLb0EEEEDaSY_SZ_EUlSY_E_NS1_11comp_targetILNS1_3genE3ELNS1_11target_archE908ELNS1_3gpuE7ELNS1_3repE0EEENS1_30default_config_static_selectorELNS0_4arch9wavefront6targetE0EEEvT1_
                                        ; -- End function
	.section	.AMDGPU.csdata,"",@progbits
; Kernel info:
; codeLenInByte = 0
; NumSgprs: 0
; NumVgprs: 0
; ScratchSize: 0
; MemoryBound: 0
; FloatMode: 240
; IeeeMode: 1
; LDSByteSize: 0 bytes/workgroup (compile time only)
; SGPRBlocks: 0
; VGPRBlocks: 0
; NumSGPRsForWavesPerEU: 1
; NumVGPRsForWavesPerEU: 1
; Occupancy: 16
; WaveLimiterHint : 0
; COMPUTE_PGM_RSRC2:SCRATCH_EN: 0
; COMPUTE_PGM_RSRC2:USER_SGPR: 15
; COMPUTE_PGM_RSRC2:TRAP_HANDLER: 0
; COMPUTE_PGM_RSRC2:TGID_X_EN: 1
; COMPUTE_PGM_RSRC2:TGID_Y_EN: 0
; COMPUTE_PGM_RSRC2:TGID_Z_EN: 0
; COMPUTE_PGM_RSRC2:TIDIG_COMP_CNT: 0
	.section	.text._ZN7rocprim17ROCPRIM_400000_NS6detail17trampoline_kernelINS0_14default_configENS1_29reduce_by_key_config_selectorIxjN6thrust23THRUST_200600_302600_NS4plusIjEEEEZZNS1_33reduce_by_key_impl_wrapped_configILNS1_25lookback_scan_determinismE0ES3_S9_NS6_6detail15normal_iteratorINS6_10device_ptrIxEEEENSD_INSE_IjEEEESG_SI_PmS8_NS6_8equal_toIxEEEE10hipError_tPvRmT2_T3_mT4_T5_T6_T7_T8_P12ihipStream_tbENKUlT_T0_E_clISt17integral_constantIbLb1EES12_IbLb0EEEEDaSY_SZ_EUlSY_E_NS1_11comp_targetILNS1_3genE2ELNS1_11target_archE906ELNS1_3gpuE6ELNS1_3repE0EEENS1_30default_config_static_selectorELNS0_4arch9wavefront6targetE0EEEvT1_,"axG",@progbits,_ZN7rocprim17ROCPRIM_400000_NS6detail17trampoline_kernelINS0_14default_configENS1_29reduce_by_key_config_selectorIxjN6thrust23THRUST_200600_302600_NS4plusIjEEEEZZNS1_33reduce_by_key_impl_wrapped_configILNS1_25lookback_scan_determinismE0ES3_S9_NS6_6detail15normal_iteratorINS6_10device_ptrIxEEEENSD_INSE_IjEEEESG_SI_PmS8_NS6_8equal_toIxEEEE10hipError_tPvRmT2_T3_mT4_T5_T6_T7_T8_P12ihipStream_tbENKUlT_T0_E_clISt17integral_constantIbLb1EES12_IbLb0EEEEDaSY_SZ_EUlSY_E_NS1_11comp_targetILNS1_3genE2ELNS1_11target_archE906ELNS1_3gpuE6ELNS1_3repE0EEENS1_30default_config_static_selectorELNS0_4arch9wavefront6targetE0EEEvT1_,comdat
	.protected	_ZN7rocprim17ROCPRIM_400000_NS6detail17trampoline_kernelINS0_14default_configENS1_29reduce_by_key_config_selectorIxjN6thrust23THRUST_200600_302600_NS4plusIjEEEEZZNS1_33reduce_by_key_impl_wrapped_configILNS1_25lookback_scan_determinismE0ES3_S9_NS6_6detail15normal_iteratorINS6_10device_ptrIxEEEENSD_INSE_IjEEEESG_SI_PmS8_NS6_8equal_toIxEEEE10hipError_tPvRmT2_T3_mT4_T5_T6_T7_T8_P12ihipStream_tbENKUlT_T0_E_clISt17integral_constantIbLb1EES12_IbLb0EEEEDaSY_SZ_EUlSY_E_NS1_11comp_targetILNS1_3genE2ELNS1_11target_archE906ELNS1_3gpuE6ELNS1_3repE0EEENS1_30default_config_static_selectorELNS0_4arch9wavefront6targetE0EEEvT1_ ; -- Begin function _ZN7rocprim17ROCPRIM_400000_NS6detail17trampoline_kernelINS0_14default_configENS1_29reduce_by_key_config_selectorIxjN6thrust23THRUST_200600_302600_NS4plusIjEEEEZZNS1_33reduce_by_key_impl_wrapped_configILNS1_25lookback_scan_determinismE0ES3_S9_NS6_6detail15normal_iteratorINS6_10device_ptrIxEEEENSD_INSE_IjEEEESG_SI_PmS8_NS6_8equal_toIxEEEE10hipError_tPvRmT2_T3_mT4_T5_T6_T7_T8_P12ihipStream_tbENKUlT_T0_E_clISt17integral_constantIbLb1EES12_IbLb0EEEEDaSY_SZ_EUlSY_E_NS1_11comp_targetILNS1_3genE2ELNS1_11target_archE906ELNS1_3gpuE6ELNS1_3repE0EEENS1_30default_config_static_selectorELNS0_4arch9wavefront6targetE0EEEvT1_
	.globl	_ZN7rocprim17ROCPRIM_400000_NS6detail17trampoline_kernelINS0_14default_configENS1_29reduce_by_key_config_selectorIxjN6thrust23THRUST_200600_302600_NS4plusIjEEEEZZNS1_33reduce_by_key_impl_wrapped_configILNS1_25lookback_scan_determinismE0ES3_S9_NS6_6detail15normal_iteratorINS6_10device_ptrIxEEEENSD_INSE_IjEEEESG_SI_PmS8_NS6_8equal_toIxEEEE10hipError_tPvRmT2_T3_mT4_T5_T6_T7_T8_P12ihipStream_tbENKUlT_T0_E_clISt17integral_constantIbLb1EES12_IbLb0EEEEDaSY_SZ_EUlSY_E_NS1_11comp_targetILNS1_3genE2ELNS1_11target_archE906ELNS1_3gpuE6ELNS1_3repE0EEENS1_30default_config_static_selectorELNS0_4arch9wavefront6targetE0EEEvT1_
	.p2align	8
	.type	_ZN7rocprim17ROCPRIM_400000_NS6detail17trampoline_kernelINS0_14default_configENS1_29reduce_by_key_config_selectorIxjN6thrust23THRUST_200600_302600_NS4plusIjEEEEZZNS1_33reduce_by_key_impl_wrapped_configILNS1_25lookback_scan_determinismE0ES3_S9_NS6_6detail15normal_iteratorINS6_10device_ptrIxEEEENSD_INSE_IjEEEESG_SI_PmS8_NS6_8equal_toIxEEEE10hipError_tPvRmT2_T3_mT4_T5_T6_T7_T8_P12ihipStream_tbENKUlT_T0_E_clISt17integral_constantIbLb1EES12_IbLb0EEEEDaSY_SZ_EUlSY_E_NS1_11comp_targetILNS1_3genE2ELNS1_11target_archE906ELNS1_3gpuE6ELNS1_3repE0EEENS1_30default_config_static_selectorELNS0_4arch9wavefront6targetE0EEEvT1_,@function
_ZN7rocprim17ROCPRIM_400000_NS6detail17trampoline_kernelINS0_14default_configENS1_29reduce_by_key_config_selectorIxjN6thrust23THRUST_200600_302600_NS4plusIjEEEEZZNS1_33reduce_by_key_impl_wrapped_configILNS1_25lookback_scan_determinismE0ES3_S9_NS6_6detail15normal_iteratorINS6_10device_ptrIxEEEENSD_INSE_IjEEEESG_SI_PmS8_NS6_8equal_toIxEEEE10hipError_tPvRmT2_T3_mT4_T5_T6_T7_T8_P12ihipStream_tbENKUlT_T0_E_clISt17integral_constantIbLb1EES12_IbLb0EEEEDaSY_SZ_EUlSY_E_NS1_11comp_targetILNS1_3genE2ELNS1_11target_archE906ELNS1_3gpuE6ELNS1_3repE0EEENS1_30default_config_static_selectorELNS0_4arch9wavefront6targetE0EEEvT1_: ; @_ZN7rocprim17ROCPRIM_400000_NS6detail17trampoline_kernelINS0_14default_configENS1_29reduce_by_key_config_selectorIxjN6thrust23THRUST_200600_302600_NS4plusIjEEEEZZNS1_33reduce_by_key_impl_wrapped_configILNS1_25lookback_scan_determinismE0ES3_S9_NS6_6detail15normal_iteratorINS6_10device_ptrIxEEEENSD_INSE_IjEEEESG_SI_PmS8_NS6_8equal_toIxEEEE10hipError_tPvRmT2_T3_mT4_T5_T6_T7_T8_P12ihipStream_tbENKUlT_T0_E_clISt17integral_constantIbLb1EES12_IbLb0EEEEDaSY_SZ_EUlSY_E_NS1_11comp_targetILNS1_3genE2ELNS1_11target_archE906ELNS1_3gpuE6ELNS1_3repE0EEENS1_30default_config_static_selectorELNS0_4arch9wavefront6targetE0EEEvT1_
; %bb.0:
	.section	.rodata,"a",@progbits
	.p2align	6, 0x0
	.amdhsa_kernel _ZN7rocprim17ROCPRIM_400000_NS6detail17trampoline_kernelINS0_14default_configENS1_29reduce_by_key_config_selectorIxjN6thrust23THRUST_200600_302600_NS4plusIjEEEEZZNS1_33reduce_by_key_impl_wrapped_configILNS1_25lookback_scan_determinismE0ES3_S9_NS6_6detail15normal_iteratorINS6_10device_ptrIxEEEENSD_INSE_IjEEEESG_SI_PmS8_NS6_8equal_toIxEEEE10hipError_tPvRmT2_T3_mT4_T5_T6_T7_T8_P12ihipStream_tbENKUlT_T0_E_clISt17integral_constantIbLb1EES12_IbLb0EEEEDaSY_SZ_EUlSY_E_NS1_11comp_targetILNS1_3genE2ELNS1_11target_archE906ELNS1_3gpuE6ELNS1_3repE0EEENS1_30default_config_static_selectorELNS0_4arch9wavefront6targetE0EEEvT1_
		.amdhsa_group_segment_fixed_size 0
		.amdhsa_private_segment_fixed_size 0
		.amdhsa_kernarg_size 120
		.amdhsa_user_sgpr_count 15
		.amdhsa_user_sgpr_dispatch_ptr 0
		.amdhsa_user_sgpr_queue_ptr 0
		.amdhsa_user_sgpr_kernarg_segment_ptr 1
		.amdhsa_user_sgpr_dispatch_id 0
		.amdhsa_user_sgpr_private_segment_size 0
		.amdhsa_wavefront_size32 1
		.amdhsa_uses_dynamic_stack 0
		.amdhsa_enable_private_segment 0
		.amdhsa_system_sgpr_workgroup_id_x 1
		.amdhsa_system_sgpr_workgroup_id_y 0
		.amdhsa_system_sgpr_workgroup_id_z 0
		.amdhsa_system_sgpr_workgroup_info 0
		.amdhsa_system_vgpr_workitem_id 0
		.amdhsa_next_free_vgpr 1
		.amdhsa_next_free_sgpr 1
		.amdhsa_reserve_vcc 0
		.amdhsa_float_round_mode_32 0
		.amdhsa_float_round_mode_16_64 0
		.amdhsa_float_denorm_mode_32 3
		.amdhsa_float_denorm_mode_16_64 3
		.amdhsa_dx10_clamp 1
		.amdhsa_ieee_mode 1
		.amdhsa_fp16_overflow 0
		.amdhsa_workgroup_processor_mode 1
		.amdhsa_memory_ordered 1
		.amdhsa_forward_progress 0
		.amdhsa_shared_vgpr_count 0
		.amdhsa_exception_fp_ieee_invalid_op 0
		.amdhsa_exception_fp_denorm_src 0
		.amdhsa_exception_fp_ieee_div_zero 0
		.amdhsa_exception_fp_ieee_overflow 0
		.amdhsa_exception_fp_ieee_underflow 0
		.amdhsa_exception_fp_ieee_inexact 0
		.amdhsa_exception_int_div_zero 0
	.end_amdhsa_kernel
	.section	.text._ZN7rocprim17ROCPRIM_400000_NS6detail17trampoline_kernelINS0_14default_configENS1_29reduce_by_key_config_selectorIxjN6thrust23THRUST_200600_302600_NS4plusIjEEEEZZNS1_33reduce_by_key_impl_wrapped_configILNS1_25lookback_scan_determinismE0ES3_S9_NS6_6detail15normal_iteratorINS6_10device_ptrIxEEEENSD_INSE_IjEEEESG_SI_PmS8_NS6_8equal_toIxEEEE10hipError_tPvRmT2_T3_mT4_T5_T6_T7_T8_P12ihipStream_tbENKUlT_T0_E_clISt17integral_constantIbLb1EES12_IbLb0EEEEDaSY_SZ_EUlSY_E_NS1_11comp_targetILNS1_3genE2ELNS1_11target_archE906ELNS1_3gpuE6ELNS1_3repE0EEENS1_30default_config_static_selectorELNS0_4arch9wavefront6targetE0EEEvT1_,"axG",@progbits,_ZN7rocprim17ROCPRIM_400000_NS6detail17trampoline_kernelINS0_14default_configENS1_29reduce_by_key_config_selectorIxjN6thrust23THRUST_200600_302600_NS4plusIjEEEEZZNS1_33reduce_by_key_impl_wrapped_configILNS1_25lookback_scan_determinismE0ES3_S9_NS6_6detail15normal_iteratorINS6_10device_ptrIxEEEENSD_INSE_IjEEEESG_SI_PmS8_NS6_8equal_toIxEEEE10hipError_tPvRmT2_T3_mT4_T5_T6_T7_T8_P12ihipStream_tbENKUlT_T0_E_clISt17integral_constantIbLb1EES12_IbLb0EEEEDaSY_SZ_EUlSY_E_NS1_11comp_targetILNS1_3genE2ELNS1_11target_archE906ELNS1_3gpuE6ELNS1_3repE0EEENS1_30default_config_static_selectorELNS0_4arch9wavefront6targetE0EEEvT1_,comdat
.Lfunc_end791:
	.size	_ZN7rocprim17ROCPRIM_400000_NS6detail17trampoline_kernelINS0_14default_configENS1_29reduce_by_key_config_selectorIxjN6thrust23THRUST_200600_302600_NS4plusIjEEEEZZNS1_33reduce_by_key_impl_wrapped_configILNS1_25lookback_scan_determinismE0ES3_S9_NS6_6detail15normal_iteratorINS6_10device_ptrIxEEEENSD_INSE_IjEEEESG_SI_PmS8_NS6_8equal_toIxEEEE10hipError_tPvRmT2_T3_mT4_T5_T6_T7_T8_P12ihipStream_tbENKUlT_T0_E_clISt17integral_constantIbLb1EES12_IbLb0EEEEDaSY_SZ_EUlSY_E_NS1_11comp_targetILNS1_3genE2ELNS1_11target_archE906ELNS1_3gpuE6ELNS1_3repE0EEENS1_30default_config_static_selectorELNS0_4arch9wavefront6targetE0EEEvT1_, .Lfunc_end791-_ZN7rocprim17ROCPRIM_400000_NS6detail17trampoline_kernelINS0_14default_configENS1_29reduce_by_key_config_selectorIxjN6thrust23THRUST_200600_302600_NS4plusIjEEEEZZNS1_33reduce_by_key_impl_wrapped_configILNS1_25lookback_scan_determinismE0ES3_S9_NS6_6detail15normal_iteratorINS6_10device_ptrIxEEEENSD_INSE_IjEEEESG_SI_PmS8_NS6_8equal_toIxEEEE10hipError_tPvRmT2_T3_mT4_T5_T6_T7_T8_P12ihipStream_tbENKUlT_T0_E_clISt17integral_constantIbLb1EES12_IbLb0EEEEDaSY_SZ_EUlSY_E_NS1_11comp_targetILNS1_3genE2ELNS1_11target_archE906ELNS1_3gpuE6ELNS1_3repE0EEENS1_30default_config_static_selectorELNS0_4arch9wavefront6targetE0EEEvT1_
                                        ; -- End function
	.section	.AMDGPU.csdata,"",@progbits
; Kernel info:
; codeLenInByte = 0
; NumSgprs: 0
; NumVgprs: 0
; ScratchSize: 0
; MemoryBound: 0
; FloatMode: 240
; IeeeMode: 1
; LDSByteSize: 0 bytes/workgroup (compile time only)
; SGPRBlocks: 0
; VGPRBlocks: 0
; NumSGPRsForWavesPerEU: 1
; NumVGPRsForWavesPerEU: 1
; Occupancy: 16
; WaveLimiterHint : 0
; COMPUTE_PGM_RSRC2:SCRATCH_EN: 0
; COMPUTE_PGM_RSRC2:USER_SGPR: 15
; COMPUTE_PGM_RSRC2:TRAP_HANDLER: 0
; COMPUTE_PGM_RSRC2:TGID_X_EN: 1
; COMPUTE_PGM_RSRC2:TGID_Y_EN: 0
; COMPUTE_PGM_RSRC2:TGID_Z_EN: 0
; COMPUTE_PGM_RSRC2:TIDIG_COMP_CNT: 0
	.section	.text._ZN7rocprim17ROCPRIM_400000_NS6detail17trampoline_kernelINS0_14default_configENS1_29reduce_by_key_config_selectorIxjN6thrust23THRUST_200600_302600_NS4plusIjEEEEZZNS1_33reduce_by_key_impl_wrapped_configILNS1_25lookback_scan_determinismE0ES3_S9_NS6_6detail15normal_iteratorINS6_10device_ptrIxEEEENSD_INSE_IjEEEESG_SI_PmS8_NS6_8equal_toIxEEEE10hipError_tPvRmT2_T3_mT4_T5_T6_T7_T8_P12ihipStream_tbENKUlT_T0_E_clISt17integral_constantIbLb1EES12_IbLb0EEEEDaSY_SZ_EUlSY_E_NS1_11comp_targetILNS1_3genE10ELNS1_11target_archE1201ELNS1_3gpuE5ELNS1_3repE0EEENS1_30default_config_static_selectorELNS0_4arch9wavefront6targetE0EEEvT1_,"axG",@progbits,_ZN7rocprim17ROCPRIM_400000_NS6detail17trampoline_kernelINS0_14default_configENS1_29reduce_by_key_config_selectorIxjN6thrust23THRUST_200600_302600_NS4plusIjEEEEZZNS1_33reduce_by_key_impl_wrapped_configILNS1_25lookback_scan_determinismE0ES3_S9_NS6_6detail15normal_iteratorINS6_10device_ptrIxEEEENSD_INSE_IjEEEESG_SI_PmS8_NS6_8equal_toIxEEEE10hipError_tPvRmT2_T3_mT4_T5_T6_T7_T8_P12ihipStream_tbENKUlT_T0_E_clISt17integral_constantIbLb1EES12_IbLb0EEEEDaSY_SZ_EUlSY_E_NS1_11comp_targetILNS1_3genE10ELNS1_11target_archE1201ELNS1_3gpuE5ELNS1_3repE0EEENS1_30default_config_static_selectorELNS0_4arch9wavefront6targetE0EEEvT1_,comdat
	.protected	_ZN7rocprim17ROCPRIM_400000_NS6detail17trampoline_kernelINS0_14default_configENS1_29reduce_by_key_config_selectorIxjN6thrust23THRUST_200600_302600_NS4plusIjEEEEZZNS1_33reduce_by_key_impl_wrapped_configILNS1_25lookback_scan_determinismE0ES3_S9_NS6_6detail15normal_iteratorINS6_10device_ptrIxEEEENSD_INSE_IjEEEESG_SI_PmS8_NS6_8equal_toIxEEEE10hipError_tPvRmT2_T3_mT4_T5_T6_T7_T8_P12ihipStream_tbENKUlT_T0_E_clISt17integral_constantIbLb1EES12_IbLb0EEEEDaSY_SZ_EUlSY_E_NS1_11comp_targetILNS1_3genE10ELNS1_11target_archE1201ELNS1_3gpuE5ELNS1_3repE0EEENS1_30default_config_static_selectorELNS0_4arch9wavefront6targetE0EEEvT1_ ; -- Begin function _ZN7rocprim17ROCPRIM_400000_NS6detail17trampoline_kernelINS0_14default_configENS1_29reduce_by_key_config_selectorIxjN6thrust23THRUST_200600_302600_NS4plusIjEEEEZZNS1_33reduce_by_key_impl_wrapped_configILNS1_25lookback_scan_determinismE0ES3_S9_NS6_6detail15normal_iteratorINS6_10device_ptrIxEEEENSD_INSE_IjEEEESG_SI_PmS8_NS6_8equal_toIxEEEE10hipError_tPvRmT2_T3_mT4_T5_T6_T7_T8_P12ihipStream_tbENKUlT_T0_E_clISt17integral_constantIbLb1EES12_IbLb0EEEEDaSY_SZ_EUlSY_E_NS1_11comp_targetILNS1_3genE10ELNS1_11target_archE1201ELNS1_3gpuE5ELNS1_3repE0EEENS1_30default_config_static_selectorELNS0_4arch9wavefront6targetE0EEEvT1_
	.globl	_ZN7rocprim17ROCPRIM_400000_NS6detail17trampoline_kernelINS0_14default_configENS1_29reduce_by_key_config_selectorIxjN6thrust23THRUST_200600_302600_NS4plusIjEEEEZZNS1_33reduce_by_key_impl_wrapped_configILNS1_25lookback_scan_determinismE0ES3_S9_NS6_6detail15normal_iteratorINS6_10device_ptrIxEEEENSD_INSE_IjEEEESG_SI_PmS8_NS6_8equal_toIxEEEE10hipError_tPvRmT2_T3_mT4_T5_T6_T7_T8_P12ihipStream_tbENKUlT_T0_E_clISt17integral_constantIbLb1EES12_IbLb0EEEEDaSY_SZ_EUlSY_E_NS1_11comp_targetILNS1_3genE10ELNS1_11target_archE1201ELNS1_3gpuE5ELNS1_3repE0EEENS1_30default_config_static_selectorELNS0_4arch9wavefront6targetE0EEEvT1_
	.p2align	8
	.type	_ZN7rocprim17ROCPRIM_400000_NS6detail17trampoline_kernelINS0_14default_configENS1_29reduce_by_key_config_selectorIxjN6thrust23THRUST_200600_302600_NS4plusIjEEEEZZNS1_33reduce_by_key_impl_wrapped_configILNS1_25lookback_scan_determinismE0ES3_S9_NS6_6detail15normal_iteratorINS6_10device_ptrIxEEEENSD_INSE_IjEEEESG_SI_PmS8_NS6_8equal_toIxEEEE10hipError_tPvRmT2_T3_mT4_T5_T6_T7_T8_P12ihipStream_tbENKUlT_T0_E_clISt17integral_constantIbLb1EES12_IbLb0EEEEDaSY_SZ_EUlSY_E_NS1_11comp_targetILNS1_3genE10ELNS1_11target_archE1201ELNS1_3gpuE5ELNS1_3repE0EEENS1_30default_config_static_selectorELNS0_4arch9wavefront6targetE0EEEvT1_,@function
_ZN7rocprim17ROCPRIM_400000_NS6detail17trampoline_kernelINS0_14default_configENS1_29reduce_by_key_config_selectorIxjN6thrust23THRUST_200600_302600_NS4plusIjEEEEZZNS1_33reduce_by_key_impl_wrapped_configILNS1_25lookback_scan_determinismE0ES3_S9_NS6_6detail15normal_iteratorINS6_10device_ptrIxEEEENSD_INSE_IjEEEESG_SI_PmS8_NS6_8equal_toIxEEEE10hipError_tPvRmT2_T3_mT4_T5_T6_T7_T8_P12ihipStream_tbENKUlT_T0_E_clISt17integral_constantIbLb1EES12_IbLb0EEEEDaSY_SZ_EUlSY_E_NS1_11comp_targetILNS1_3genE10ELNS1_11target_archE1201ELNS1_3gpuE5ELNS1_3repE0EEENS1_30default_config_static_selectorELNS0_4arch9wavefront6targetE0EEEvT1_: ; @_ZN7rocprim17ROCPRIM_400000_NS6detail17trampoline_kernelINS0_14default_configENS1_29reduce_by_key_config_selectorIxjN6thrust23THRUST_200600_302600_NS4plusIjEEEEZZNS1_33reduce_by_key_impl_wrapped_configILNS1_25lookback_scan_determinismE0ES3_S9_NS6_6detail15normal_iteratorINS6_10device_ptrIxEEEENSD_INSE_IjEEEESG_SI_PmS8_NS6_8equal_toIxEEEE10hipError_tPvRmT2_T3_mT4_T5_T6_T7_T8_P12ihipStream_tbENKUlT_T0_E_clISt17integral_constantIbLb1EES12_IbLb0EEEEDaSY_SZ_EUlSY_E_NS1_11comp_targetILNS1_3genE10ELNS1_11target_archE1201ELNS1_3gpuE5ELNS1_3repE0EEENS1_30default_config_static_selectorELNS0_4arch9wavefront6targetE0EEEvT1_
; %bb.0:
	.section	.rodata,"a",@progbits
	.p2align	6, 0x0
	.amdhsa_kernel _ZN7rocprim17ROCPRIM_400000_NS6detail17trampoline_kernelINS0_14default_configENS1_29reduce_by_key_config_selectorIxjN6thrust23THRUST_200600_302600_NS4plusIjEEEEZZNS1_33reduce_by_key_impl_wrapped_configILNS1_25lookback_scan_determinismE0ES3_S9_NS6_6detail15normal_iteratorINS6_10device_ptrIxEEEENSD_INSE_IjEEEESG_SI_PmS8_NS6_8equal_toIxEEEE10hipError_tPvRmT2_T3_mT4_T5_T6_T7_T8_P12ihipStream_tbENKUlT_T0_E_clISt17integral_constantIbLb1EES12_IbLb0EEEEDaSY_SZ_EUlSY_E_NS1_11comp_targetILNS1_3genE10ELNS1_11target_archE1201ELNS1_3gpuE5ELNS1_3repE0EEENS1_30default_config_static_selectorELNS0_4arch9wavefront6targetE0EEEvT1_
		.amdhsa_group_segment_fixed_size 0
		.amdhsa_private_segment_fixed_size 0
		.amdhsa_kernarg_size 120
		.amdhsa_user_sgpr_count 15
		.amdhsa_user_sgpr_dispatch_ptr 0
		.amdhsa_user_sgpr_queue_ptr 0
		.amdhsa_user_sgpr_kernarg_segment_ptr 1
		.amdhsa_user_sgpr_dispatch_id 0
		.amdhsa_user_sgpr_private_segment_size 0
		.amdhsa_wavefront_size32 1
		.amdhsa_uses_dynamic_stack 0
		.amdhsa_enable_private_segment 0
		.amdhsa_system_sgpr_workgroup_id_x 1
		.amdhsa_system_sgpr_workgroup_id_y 0
		.amdhsa_system_sgpr_workgroup_id_z 0
		.amdhsa_system_sgpr_workgroup_info 0
		.amdhsa_system_vgpr_workitem_id 0
		.amdhsa_next_free_vgpr 1
		.amdhsa_next_free_sgpr 1
		.amdhsa_reserve_vcc 0
		.amdhsa_float_round_mode_32 0
		.amdhsa_float_round_mode_16_64 0
		.amdhsa_float_denorm_mode_32 3
		.amdhsa_float_denorm_mode_16_64 3
		.amdhsa_dx10_clamp 1
		.amdhsa_ieee_mode 1
		.amdhsa_fp16_overflow 0
		.amdhsa_workgroup_processor_mode 1
		.amdhsa_memory_ordered 1
		.amdhsa_forward_progress 0
		.amdhsa_shared_vgpr_count 0
		.amdhsa_exception_fp_ieee_invalid_op 0
		.amdhsa_exception_fp_denorm_src 0
		.amdhsa_exception_fp_ieee_div_zero 0
		.amdhsa_exception_fp_ieee_overflow 0
		.amdhsa_exception_fp_ieee_underflow 0
		.amdhsa_exception_fp_ieee_inexact 0
		.amdhsa_exception_int_div_zero 0
	.end_amdhsa_kernel
	.section	.text._ZN7rocprim17ROCPRIM_400000_NS6detail17trampoline_kernelINS0_14default_configENS1_29reduce_by_key_config_selectorIxjN6thrust23THRUST_200600_302600_NS4plusIjEEEEZZNS1_33reduce_by_key_impl_wrapped_configILNS1_25lookback_scan_determinismE0ES3_S9_NS6_6detail15normal_iteratorINS6_10device_ptrIxEEEENSD_INSE_IjEEEESG_SI_PmS8_NS6_8equal_toIxEEEE10hipError_tPvRmT2_T3_mT4_T5_T6_T7_T8_P12ihipStream_tbENKUlT_T0_E_clISt17integral_constantIbLb1EES12_IbLb0EEEEDaSY_SZ_EUlSY_E_NS1_11comp_targetILNS1_3genE10ELNS1_11target_archE1201ELNS1_3gpuE5ELNS1_3repE0EEENS1_30default_config_static_selectorELNS0_4arch9wavefront6targetE0EEEvT1_,"axG",@progbits,_ZN7rocprim17ROCPRIM_400000_NS6detail17trampoline_kernelINS0_14default_configENS1_29reduce_by_key_config_selectorIxjN6thrust23THRUST_200600_302600_NS4plusIjEEEEZZNS1_33reduce_by_key_impl_wrapped_configILNS1_25lookback_scan_determinismE0ES3_S9_NS6_6detail15normal_iteratorINS6_10device_ptrIxEEEENSD_INSE_IjEEEESG_SI_PmS8_NS6_8equal_toIxEEEE10hipError_tPvRmT2_T3_mT4_T5_T6_T7_T8_P12ihipStream_tbENKUlT_T0_E_clISt17integral_constantIbLb1EES12_IbLb0EEEEDaSY_SZ_EUlSY_E_NS1_11comp_targetILNS1_3genE10ELNS1_11target_archE1201ELNS1_3gpuE5ELNS1_3repE0EEENS1_30default_config_static_selectorELNS0_4arch9wavefront6targetE0EEEvT1_,comdat
.Lfunc_end792:
	.size	_ZN7rocprim17ROCPRIM_400000_NS6detail17trampoline_kernelINS0_14default_configENS1_29reduce_by_key_config_selectorIxjN6thrust23THRUST_200600_302600_NS4plusIjEEEEZZNS1_33reduce_by_key_impl_wrapped_configILNS1_25lookback_scan_determinismE0ES3_S9_NS6_6detail15normal_iteratorINS6_10device_ptrIxEEEENSD_INSE_IjEEEESG_SI_PmS8_NS6_8equal_toIxEEEE10hipError_tPvRmT2_T3_mT4_T5_T6_T7_T8_P12ihipStream_tbENKUlT_T0_E_clISt17integral_constantIbLb1EES12_IbLb0EEEEDaSY_SZ_EUlSY_E_NS1_11comp_targetILNS1_3genE10ELNS1_11target_archE1201ELNS1_3gpuE5ELNS1_3repE0EEENS1_30default_config_static_selectorELNS0_4arch9wavefront6targetE0EEEvT1_, .Lfunc_end792-_ZN7rocprim17ROCPRIM_400000_NS6detail17trampoline_kernelINS0_14default_configENS1_29reduce_by_key_config_selectorIxjN6thrust23THRUST_200600_302600_NS4plusIjEEEEZZNS1_33reduce_by_key_impl_wrapped_configILNS1_25lookback_scan_determinismE0ES3_S9_NS6_6detail15normal_iteratorINS6_10device_ptrIxEEEENSD_INSE_IjEEEESG_SI_PmS8_NS6_8equal_toIxEEEE10hipError_tPvRmT2_T3_mT4_T5_T6_T7_T8_P12ihipStream_tbENKUlT_T0_E_clISt17integral_constantIbLb1EES12_IbLb0EEEEDaSY_SZ_EUlSY_E_NS1_11comp_targetILNS1_3genE10ELNS1_11target_archE1201ELNS1_3gpuE5ELNS1_3repE0EEENS1_30default_config_static_selectorELNS0_4arch9wavefront6targetE0EEEvT1_
                                        ; -- End function
	.section	.AMDGPU.csdata,"",@progbits
; Kernel info:
; codeLenInByte = 0
; NumSgprs: 0
; NumVgprs: 0
; ScratchSize: 0
; MemoryBound: 0
; FloatMode: 240
; IeeeMode: 1
; LDSByteSize: 0 bytes/workgroup (compile time only)
; SGPRBlocks: 0
; VGPRBlocks: 0
; NumSGPRsForWavesPerEU: 1
; NumVGPRsForWavesPerEU: 1
; Occupancy: 16
; WaveLimiterHint : 0
; COMPUTE_PGM_RSRC2:SCRATCH_EN: 0
; COMPUTE_PGM_RSRC2:USER_SGPR: 15
; COMPUTE_PGM_RSRC2:TRAP_HANDLER: 0
; COMPUTE_PGM_RSRC2:TGID_X_EN: 1
; COMPUTE_PGM_RSRC2:TGID_Y_EN: 0
; COMPUTE_PGM_RSRC2:TGID_Z_EN: 0
; COMPUTE_PGM_RSRC2:TIDIG_COMP_CNT: 0
	.section	.text._ZN7rocprim17ROCPRIM_400000_NS6detail17trampoline_kernelINS0_14default_configENS1_29reduce_by_key_config_selectorIxjN6thrust23THRUST_200600_302600_NS4plusIjEEEEZZNS1_33reduce_by_key_impl_wrapped_configILNS1_25lookback_scan_determinismE0ES3_S9_NS6_6detail15normal_iteratorINS6_10device_ptrIxEEEENSD_INSE_IjEEEESG_SI_PmS8_NS6_8equal_toIxEEEE10hipError_tPvRmT2_T3_mT4_T5_T6_T7_T8_P12ihipStream_tbENKUlT_T0_E_clISt17integral_constantIbLb1EES12_IbLb0EEEEDaSY_SZ_EUlSY_E_NS1_11comp_targetILNS1_3genE10ELNS1_11target_archE1200ELNS1_3gpuE4ELNS1_3repE0EEENS1_30default_config_static_selectorELNS0_4arch9wavefront6targetE0EEEvT1_,"axG",@progbits,_ZN7rocprim17ROCPRIM_400000_NS6detail17trampoline_kernelINS0_14default_configENS1_29reduce_by_key_config_selectorIxjN6thrust23THRUST_200600_302600_NS4plusIjEEEEZZNS1_33reduce_by_key_impl_wrapped_configILNS1_25lookback_scan_determinismE0ES3_S9_NS6_6detail15normal_iteratorINS6_10device_ptrIxEEEENSD_INSE_IjEEEESG_SI_PmS8_NS6_8equal_toIxEEEE10hipError_tPvRmT2_T3_mT4_T5_T6_T7_T8_P12ihipStream_tbENKUlT_T0_E_clISt17integral_constantIbLb1EES12_IbLb0EEEEDaSY_SZ_EUlSY_E_NS1_11comp_targetILNS1_3genE10ELNS1_11target_archE1200ELNS1_3gpuE4ELNS1_3repE0EEENS1_30default_config_static_selectorELNS0_4arch9wavefront6targetE0EEEvT1_,comdat
	.protected	_ZN7rocprim17ROCPRIM_400000_NS6detail17trampoline_kernelINS0_14default_configENS1_29reduce_by_key_config_selectorIxjN6thrust23THRUST_200600_302600_NS4plusIjEEEEZZNS1_33reduce_by_key_impl_wrapped_configILNS1_25lookback_scan_determinismE0ES3_S9_NS6_6detail15normal_iteratorINS6_10device_ptrIxEEEENSD_INSE_IjEEEESG_SI_PmS8_NS6_8equal_toIxEEEE10hipError_tPvRmT2_T3_mT4_T5_T6_T7_T8_P12ihipStream_tbENKUlT_T0_E_clISt17integral_constantIbLb1EES12_IbLb0EEEEDaSY_SZ_EUlSY_E_NS1_11comp_targetILNS1_3genE10ELNS1_11target_archE1200ELNS1_3gpuE4ELNS1_3repE0EEENS1_30default_config_static_selectorELNS0_4arch9wavefront6targetE0EEEvT1_ ; -- Begin function _ZN7rocprim17ROCPRIM_400000_NS6detail17trampoline_kernelINS0_14default_configENS1_29reduce_by_key_config_selectorIxjN6thrust23THRUST_200600_302600_NS4plusIjEEEEZZNS1_33reduce_by_key_impl_wrapped_configILNS1_25lookback_scan_determinismE0ES3_S9_NS6_6detail15normal_iteratorINS6_10device_ptrIxEEEENSD_INSE_IjEEEESG_SI_PmS8_NS6_8equal_toIxEEEE10hipError_tPvRmT2_T3_mT4_T5_T6_T7_T8_P12ihipStream_tbENKUlT_T0_E_clISt17integral_constantIbLb1EES12_IbLb0EEEEDaSY_SZ_EUlSY_E_NS1_11comp_targetILNS1_3genE10ELNS1_11target_archE1200ELNS1_3gpuE4ELNS1_3repE0EEENS1_30default_config_static_selectorELNS0_4arch9wavefront6targetE0EEEvT1_
	.globl	_ZN7rocprim17ROCPRIM_400000_NS6detail17trampoline_kernelINS0_14default_configENS1_29reduce_by_key_config_selectorIxjN6thrust23THRUST_200600_302600_NS4plusIjEEEEZZNS1_33reduce_by_key_impl_wrapped_configILNS1_25lookback_scan_determinismE0ES3_S9_NS6_6detail15normal_iteratorINS6_10device_ptrIxEEEENSD_INSE_IjEEEESG_SI_PmS8_NS6_8equal_toIxEEEE10hipError_tPvRmT2_T3_mT4_T5_T6_T7_T8_P12ihipStream_tbENKUlT_T0_E_clISt17integral_constantIbLb1EES12_IbLb0EEEEDaSY_SZ_EUlSY_E_NS1_11comp_targetILNS1_3genE10ELNS1_11target_archE1200ELNS1_3gpuE4ELNS1_3repE0EEENS1_30default_config_static_selectorELNS0_4arch9wavefront6targetE0EEEvT1_
	.p2align	8
	.type	_ZN7rocprim17ROCPRIM_400000_NS6detail17trampoline_kernelINS0_14default_configENS1_29reduce_by_key_config_selectorIxjN6thrust23THRUST_200600_302600_NS4plusIjEEEEZZNS1_33reduce_by_key_impl_wrapped_configILNS1_25lookback_scan_determinismE0ES3_S9_NS6_6detail15normal_iteratorINS6_10device_ptrIxEEEENSD_INSE_IjEEEESG_SI_PmS8_NS6_8equal_toIxEEEE10hipError_tPvRmT2_T3_mT4_T5_T6_T7_T8_P12ihipStream_tbENKUlT_T0_E_clISt17integral_constantIbLb1EES12_IbLb0EEEEDaSY_SZ_EUlSY_E_NS1_11comp_targetILNS1_3genE10ELNS1_11target_archE1200ELNS1_3gpuE4ELNS1_3repE0EEENS1_30default_config_static_selectorELNS0_4arch9wavefront6targetE0EEEvT1_,@function
_ZN7rocprim17ROCPRIM_400000_NS6detail17trampoline_kernelINS0_14default_configENS1_29reduce_by_key_config_selectorIxjN6thrust23THRUST_200600_302600_NS4plusIjEEEEZZNS1_33reduce_by_key_impl_wrapped_configILNS1_25lookback_scan_determinismE0ES3_S9_NS6_6detail15normal_iteratorINS6_10device_ptrIxEEEENSD_INSE_IjEEEESG_SI_PmS8_NS6_8equal_toIxEEEE10hipError_tPvRmT2_T3_mT4_T5_T6_T7_T8_P12ihipStream_tbENKUlT_T0_E_clISt17integral_constantIbLb1EES12_IbLb0EEEEDaSY_SZ_EUlSY_E_NS1_11comp_targetILNS1_3genE10ELNS1_11target_archE1200ELNS1_3gpuE4ELNS1_3repE0EEENS1_30default_config_static_selectorELNS0_4arch9wavefront6targetE0EEEvT1_: ; @_ZN7rocprim17ROCPRIM_400000_NS6detail17trampoline_kernelINS0_14default_configENS1_29reduce_by_key_config_selectorIxjN6thrust23THRUST_200600_302600_NS4plusIjEEEEZZNS1_33reduce_by_key_impl_wrapped_configILNS1_25lookback_scan_determinismE0ES3_S9_NS6_6detail15normal_iteratorINS6_10device_ptrIxEEEENSD_INSE_IjEEEESG_SI_PmS8_NS6_8equal_toIxEEEE10hipError_tPvRmT2_T3_mT4_T5_T6_T7_T8_P12ihipStream_tbENKUlT_T0_E_clISt17integral_constantIbLb1EES12_IbLb0EEEEDaSY_SZ_EUlSY_E_NS1_11comp_targetILNS1_3genE10ELNS1_11target_archE1200ELNS1_3gpuE4ELNS1_3repE0EEENS1_30default_config_static_selectorELNS0_4arch9wavefront6targetE0EEEvT1_
; %bb.0:
	.section	.rodata,"a",@progbits
	.p2align	6, 0x0
	.amdhsa_kernel _ZN7rocprim17ROCPRIM_400000_NS6detail17trampoline_kernelINS0_14default_configENS1_29reduce_by_key_config_selectorIxjN6thrust23THRUST_200600_302600_NS4plusIjEEEEZZNS1_33reduce_by_key_impl_wrapped_configILNS1_25lookback_scan_determinismE0ES3_S9_NS6_6detail15normal_iteratorINS6_10device_ptrIxEEEENSD_INSE_IjEEEESG_SI_PmS8_NS6_8equal_toIxEEEE10hipError_tPvRmT2_T3_mT4_T5_T6_T7_T8_P12ihipStream_tbENKUlT_T0_E_clISt17integral_constantIbLb1EES12_IbLb0EEEEDaSY_SZ_EUlSY_E_NS1_11comp_targetILNS1_3genE10ELNS1_11target_archE1200ELNS1_3gpuE4ELNS1_3repE0EEENS1_30default_config_static_selectorELNS0_4arch9wavefront6targetE0EEEvT1_
		.amdhsa_group_segment_fixed_size 0
		.amdhsa_private_segment_fixed_size 0
		.amdhsa_kernarg_size 120
		.amdhsa_user_sgpr_count 15
		.amdhsa_user_sgpr_dispatch_ptr 0
		.amdhsa_user_sgpr_queue_ptr 0
		.amdhsa_user_sgpr_kernarg_segment_ptr 1
		.amdhsa_user_sgpr_dispatch_id 0
		.amdhsa_user_sgpr_private_segment_size 0
		.amdhsa_wavefront_size32 1
		.amdhsa_uses_dynamic_stack 0
		.amdhsa_enable_private_segment 0
		.amdhsa_system_sgpr_workgroup_id_x 1
		.amdhsa_system_sgpr_workgroup_id_y 0
		.amdhsa_system_sgpr_workgroup_id_z 0
		.amdhsa_system_sgpr_workgroup_info 0
		.amdhsa_system_vgpr_workitem_id 0
		.amdhsa_next_free_vgpr 1
		.amdhsa_next_free_sgpr 1
		.amdhsa_reserve_vcc 0
		.amdhsa_float_round_mode_32 0
		.amdhsa_float_round_mode_16_64 0
		.amdhsa_float_denorm_mode_32 3
		.amdhsa_float_denorm_mode_16_64 3
		.amdhsa_dx10_clamp 1
		.amdhsa_ieee_mode 1
		.amdhsa_fp16_overflow 0
		.amdhsa_workgroup_processor_mode 1
		.amdhsa_memory_ordered 1
		.amdhsa_forward_progress 0
		.amdhsa_shared_vgpr_count 0
		.amdhsa_exception_fp_ieee_invalid_op 0
		.amdhsa_exception_fp_denorm_src 0
		.amdhsa_exception_fp_ieee_div_zero 0
		.amdhsa_exception_fp_ieee_overflow 0
		.amdhsa_exception_fp_ieee_underflow 0
		.amdhsa_exception_fp_ieee_inexact 0
		.amdhsa_exception_int_div_zero 0
	.end_amdhsa_kernel
	.section	.text._ZN7rocprim17ROCPRIM_400000_NS6detail17trampoline_kernelINS0_14default_configENS1_29reduce_by_key_config_selectorIxjN6thrust23THRUST_200600_302600_NS4plusIjEEEEZZNS1_33reduce_by_key_impl_wrapped_configILNS1_25lookback_scan_determinismE0ES3_S9_NS6_6detail15normal_iteratorINS6_10device_ptrIxEEEENSD_INSE_IjEEEESG_SI_PmS8_NS6_8equal_toIxEEEE10hipError_tPvRmT2_T3_mT4_T5_T6_T7_T8_P12ihipStream_tbENKUlT_T0_E_clISt17integral_constantIbLb1EES12_IbLb0EEEEDaSY_SZ_EUlSY_E_NS1_11comp_targetILNS1_3genE10ELNS1_11target_archE1200ELNS1_3gpuE4ELNS1_3repE0EEENS1_30default_config_static_selectorELNS0_4arch9wavefront6targetE0EEEvT1_,"axG",@progbits,_ZN7rocprim17ROCPRIM_400000_NS6detail17trampoline_kernelINS0_14default_configENS1_29reduce_by_key_config_selectorIxjN6thrust23THRUST_200600_302600_NS4plusIjEEEEZZNS1_33reduce_by_key_impl_wrapped_configILNS1_25lookback_scan_determinismE0ES3_S9_NS6_6detail15normal_iteratorINS6_10device_ptrIxEEEENSD_INSE_IjEEEESG_SI_PmS8_NS6_8equal_toIxEEEE10hipError_tPvRmT2_T3_mT4_T5_T6_T7_T8_P12ihipStream_tbENKUlT_T0_E_clISt17integral_constantIbLb1EES12_IbLb0EEEEDaSY_SZ_EUlSY_E_NS1_11comp_targetILNS1_3genE10ELNS1_11target_archE1200ELNS1_3gpuE4ELNS1_3repE0EEENS1_30default_config_static_selectorELNS0_4arch9wavefront6targetE0EEEvT1_,comdat
.Lfunc_end793:
	.size	_ZN7rocprim17ROCPRIM_400000_NS6detail17trampoline_kernelINS0_14default_configENS1_29reduce_by_key_config_selectorIxjN6thrust23THRUST_200600_302600_NS4plusIjEEEEZZNS1_33reduce_by_key_impl_wrapped_configILNS1_25lookback_scan_determinismE0ES3_S9_NS6_6detail15normal_iteratorINS6_10device_ptrIxEEEENSD_INSE_IjEEEESG_SI_PmS8_NS6_8equal_toIxEEEE10hipError_tPvRmT2_T3_mT4_T5_T6_T7_T8_P12ihipStream_tbENKUlT_T0_E_clISt17integral_constantIbLb1EES12_IbLb0EEEEDaSY_SZ_EUlSY_E_NS1_11comp_targetILNS1_3genE10ELNS1_11target_archE1200ELNS1_3gpuE4ELNS1_3repE0EEENS1_30default_config_static_selectorELNS0_4arch9wavefront6targetE0EEEvT1_, .Lfunc_end793-_ZN7rocprim17ROCPRIM_400000_NS6detail17trampoline_kernelINS0_14default_configENS1_29reduce_by_key_config_selectorIxjN6thrust23THRUST_200600_302600_NS4plusIjEEEEZZNS1_33reduce_by_key_impl_wrapped_configILNS1_25lookback_scan_determinismE0ES3_S9_NS6_6detail15normal_iteratorINS6_10device_ptrIxEEEENSD_INSE_IjEEEESG_SI_PmS8_NS6_8equal_toIxEEEE10hipError_tPvRmT2_T3_mT4_T5_T6_T7_T8_P12ihipStream_tbENKUlT_T0_E_clISt17integral_constantIbLb1EES12_IbLb0EEEEDaSY_SZ_EUlSY_E_NS1_11comp_targetILNS1_3genE10ELNS1_11target_archE1200ELNS1_3gpuE4ELNS1_3repE0EEENS1_30default_config_static_selectorELNS0_4arch9wavefront6targetE0EEEvT1_
                                        ; -- End function
	.section	.AMDGPU.csdata,"",@progbits
; Kernel info:
; codeLenInByte = 0
; NumSgprs: 0
; NumVgprs: 0
; ScratchSize: 0
; MemoryBound: 0
; FloatMode: 240
; IeeeMode: 1
; LDSByteSize: 0 bytes/workgroup (compile time only)
; SGPRBlocks: 0
; VGPRBlocks: 0
; NumSGPRsForWavesPerEU: 1
; NumVGPRsForWavesPerEU: 1
; Occupancy: 16
; WaveLimiterHint : 0
; COMPUTE_PGM_RSRC2:SCRATCH_EN: 0
; COMPUTE_PGM_RSRC2:USER_SGPR: 15
; COMPUTE_PGM_RSRC2:TRAP_HANDLER: 0
; COMPUTE_PGM_RSRC2:TGID_X_EN: 1
; COMPUTE_PGM_RSRC2:TGID_Y_EN: 0
; COMPUTE_PGM_RSRC2:TGID_Z_EN: 0
; COMPUTE_PGM_RSRC2:TIDIG_COMP_CNT: 0
	.section	.text._ZN7rocprim17ROCPRIM_400000_NS6detail17trampoline_kernelINS0_14default_configENS1_29reduce_by_key_config_selectorIxjN6thrust23THRUST_200600_302600_NS4plusIjEEEEZZNS1_33reduce_by_key_impl_wrapped_configILNS1_25lookback_scan_determinismE0ES3_S9_NS6_6detail15normal_iteratorINS6_10device_ptrIxEEEENSD_INSE_IjEEEESG_SI_PmS8_NS6_8equal_toIxEEEE10hipError_tPvRmT2_T3_mT4_T5_T6_T7_T8_P12ihipStream_tbENKUlT_T0_E_clISt17integral_constantIbLb1EES12_IbLb0EEEEDaSY_SZ_EUlSY_E_NS1_11comp_targetILNS1_3genE9ELNS1_11target_archE1100ELNS1_3gpuE3ELNS1_3repE0EEENS1_30default_config_static_selectorELNS0_4arch9wavefront6targetE0EEEvT1_,"axG",@progbits,_ZN7rocprim17ROCPRIM_400000_NS6detail17trampoline_kernelINS0_14default_configENS1_29reduce_by_key_config_selectorIxjN6thrust23THRUST_200600_302600_NS4plusIjEEEEZZNS1_33reduce_by_key_impl_wrapped_configILNS1_25lookback_scan_determinismE0ES3_S9_NS6_6detail15normal_iteratorINS6_10device_ptrIxEEEENSD_INSE_IjEEEESG_SI_PmS8_NS6_8equal_toIxEEEE10hipError_tPvRmT2_T3_mT4_T5_T6_T7_T8_P12ihipStream_tbENKUlT_T0_E_clISt17integral_constantIbLb1EES12_IbLb0EEEEDaSY_SZ_EUlSY_E_NS1_11comp_targetILNS1_3genE9ELNS1_11target_archE1100ELNS1_3gpuE3ELNS1_3repE0EEENS1_30default_config_static_selectorELNS0_4arch9wavefront6targetE0EEEvT1_,comdat
	.protected	_ZN7rocprim17ROCPRIM_400000_NS6detail17trampoline_kernelINS0_14default_configENS1_29reduce_by_key_config_selectorIxjN6thrust23THRUST_200600_302600_NS4plusIjEEEEZZNS1_33reduce_by_key_impl_wrapped_configILNS1_25lookback_scan_determinismE0ES3_S9_NS6_6detail15normal_iteratorINS6_10device_ptrIxEEEENSD_INSE_IjEEEESG_SI_PmS8_NS6_8equal_toIxEEEE10hipError_tPvRmT2_T3_mT4_T5_T6_T7_T8_P12ihipStream_tbENKUlT_T0_E_clISt17integral_constantIbLb1EES12_IbLb0EEEEDaSY_SZ_EUlSY_E_NS1_11comp_targetILNS1_3genE9ELNS1_11target_archE1100ELNS1_3gpuE3ELNS1_3repE0EEENS1_30default_config_static_selectorELNS0_4arch9wavefront6targetE0EEEvT1_ ; -- Begin function _ZN7rocprim17ROCPRIM_400000_NS6detail17trampoline_kernelINS0_14default_configENS1_29reduce_by_key_config_selectorIxjN6thrust23THRUST_200600_302600_NS4plusIjEEEEZZNS1_33reduce_by_key_impl_wrapped_configILNS1_25lookback_scan_determinismE0ES3_S9_NS6_6detail15normal_iteratorINS6_10device_ptrIxEEEENSD_INSE_IjEEEESG_SI_PmS8_NS6_8equal_toIxEEEE10hipError_tPvRmT2_T3_mT4_T5_T6_T7_T8_P12ihipStream_tbENKUlT_T0_E_clISt17integral_constantIbLb1EES12_IbLb0EEEEDaSY_SZ_EUlSY_E_NS1_11comp_targetILNS1_3genE9ELNS1_11target_archE1100ELNS1_3gpuE3ELNS1_3repE0EEENS1_30default_config_static_selectorELNS0_4arch9wavefront6targetE0EEEvT1_
	.globl	_ZN7rocprim17ROCPRIM_400000_NS6detail17trampoline_kernelINS0_14default_configENS1_29reduce_by_key_config_selectorIxjN6thrust23THRUST_200600_302600_NS4plusIjEEEEZZNS1_33reduce_by_key_impl_wrapped_configILNS1_25lookback_scan_determinismE0ES3_S9_NS6_6detail15normal_iteratorINS6_10device_ptrIxEEEENSD_INSE_IjEEEESG_SI_PmS8_NS6_8equal_toIxEEEE10hipError_tPvRmT2_T3_mT4_T5_T6_T7_T8_P12ihipStream_tbENKUlT_T0_E_clISt17integral_constantIbLb1EES12_IbLb0EEEEDaSY_SZ_EUlSY_E_NS1_11comp_targetILNS1_3genE9ELNS1_11target_archE1100ELNS1_3gpuE3ELNS1_3repE0EEENS1_30default_config_static_selectorELNS0_4arch9wavefront6targetE0EEEvT1_
	.p2align	8
	.type	_ZN7rocprim17ROCPRIM_400000_NS6detail17trampoline_kernelINS0_14default_configENS1_29reduce_by_key_config_selectorIxjN6thrust23THRUST_200600_302600_NS4plusIjEEEEZZNS1_33reduce_by_key_impl_wrapped_configILNS1_25lookback_scan_determinismE0ES3_S9_NS6_6detail15normal_iteratorINS6_10device_ptrIxEEEENSD_INSE_IjEEEESG_SI_PmS8_NS6_8equal_toIxEEEE10hipError_tPvRmT2_T3_mT4_T5_T6_T7_T8_P12ihipStream_tbENKUlT_T0_E_clISt17integral_constantIbLb1EES12_IbLb0EEEEDaSY_SZ_EUlSY_E_NS1_11comp_targetILNS1_3genE9ELNS1_11target_archE1100ELNS1_3gpuE3ELNS1_3repE0EEENS1_30default_config_static_selectorELNS0_4arch9wavefront6targetE0EEEvT1_,@function
_ZN7rocprim17ROCPRIM_400000_NS6detail17trampoline_kernelINS0_14default_configENS1_29reduce_by_key_config_selectorIxjN6thrust23THRUST_200600_302600_NS4plusIjEEEEZZNS1_33reduce_by_key_impl_wrapped_configILNS1_25lookback_scan_determinismE0ES3_S9_NS6_6detail15normal_iteratorINS6_10device_ptrIxEEEENSD_INSE_IjEEEESG_SI_PmS8_NS6_8equal_toIxEEEE10hipError_tPvRmT2_T3_mT4_T5_T6_T7_T8_P12ihipStream_tbENKUlT_T0_E_clISt17integral_constantIbLb1EES12_IbLb0EEEEDaSY_SZ_EUlSY_E_NS1_11comp_targetILNS1_3genE9ELNS1_11target_archE1100ELNS1_3gpuE3ELNS1_3repE0EEENS1_30default_config_static_selectorELNS0_4arch9wavefront6targetE0EEEvT1_: ; @_ZN7rocprim17ROCPRIM_400000_NS6detail17trampoline_kernelINS0_14default_configENS1_29reduce_by_key_config_selectorIxjN6thrust23THRUST_200600_302600_NS4plusIjEEEEZZNS1_33reduce_by_key_impl_wrapped_configILNS1_25lookback_scan_determinismE0ES3_S9_NS6_6detail15normal_iteratorINS6_10device_ptrIxEEEENSD_INSE_IjEEEESG_SI_PmS8_NS6_8equal_toIxEEEE10hipError_tPvRmT2_T3_mT4_T5_T6_T7_T8_P12ihipStream_tbENKUlT_T0_E_clISt17integral_constantIbLb1EES12_IbLb0EEEEDaSY_SZ_EUlSY_E_NS1_11comp_targetILNS1_3genE9ELNS1_11target_archE1100ELNS1_3gpuE3ELNS1_3repE0EEENS1_30default_config_static_selectorELNS0_4arch9wavefront6targetE0EEEvT1_
; %bb.0:
	s_clause 0x4
	s_load_b256 s[20:27], s[0:1], 0x0
	s_load_b256 s[36:43], s[0:1], 0x38
	s_load_b128 s[28:31], s[0:1], 0x20
	s_load_b64 s[34:35], s[0:1], 0x68
	s_load_b128 s[44:47], s[0:1], 0x58
	s_mov_b32 s3, 0
	s_mul_i32 s2, s15, 0xf00
	s_waitcnt lgkmcnt(0)
	s_lshl_b64 s[0:1], s[22:23], 3
	s_mul_i32 s4, s40, s39
	s_add_u32 s6, s20, s0
	s_addc_u32 s7, s21, s1
	s_lshl_b64 s[0:1], s[22:23], 2
	s_mul_hi_u32 s5, s40, s38
	s_add_u32 s9, s24, s0
	s_mul_i32 s8, s41, s38
	s_addc_u32 s10, s25, s1
	s_add_i32 s4, s5, s4
	s_lshl_b64 s[0:1], s[2:3], 3
	s_add_i32 s4, s4, s8
	s_add_u32 s18, s6, s0
	s_addc_u32 s14, s7, s1
	s_lshl_b64 s[0:1], s[2:3], 2
	s_mul_i32 s2, s40, s38
	s_add_u32 s20, s9, s0
	s_addc_u32 s21, s10, s1
	s_add_u32 s16, s2, s15
	s_addc_u32 s17, s4, 0
	s_add_u32 s0, s42, -1
	s_addc_u32 s1, s43, -1
	s_mul_i32 s33, s0, 0xfffff100
	s_cmp_eq_u64 s[16:17], s[0:1]
	s_cselect_b32 s23, -1, 0
	s_cmp_lg_u64 s[16:17], s[0:1]
	s_cselect_b32 s19, -1, 0
	s_and_b32 vcc_lo, exec_lo, s23
	s_cbranch_vccnz .LBB794_2
; %bb.1:
	v_lshlrev_b32_e32 v37, 3, v0
	v_lshlrev_b32_e32 v31, 2, v0
	v_mad_u32_u24 v42, v0, 15, 5
	v_mad_u32_u24 v44, v0, 15, 7
	;; [unrolled: 1-line block ×3, first 2 shown]
	v_add_co_u32 v1, s0, s18, v37
	s_delay_alu instid0(VALU_DEP_1) | instskip(SKIP_1) | instid1(VALU_DEP_3)
	v_add_co_ci_u32_e64 v2, null, s14, 0, s0
	v_add_co_u32 v31, s0, s20, v31
	v_add_co_u32 v3, vcc_lo, 0x1000, v1
	s_delay_alu instid0(VALU_DEP_3)
	v_add_co_ci_u32_e32 v4, vcc_lo, 0, v2, vcc_lo
	v_add_co_u32 v5, vcc_lo, 0x2000, v1
	v_add_co_ci_u32_e32 v6, vcc_lo, 0, v2, vcc_lo
	v_add_co_u32 v7, vcc_lo, 0x3000, v1
	;; [unrolled: 2-line block ×5, first 2 shown]
	v_add_co_ci_u32_e32 v24, vcc_lo, 0, v2, vcc_lo
	s_clause 0x7
	flat_load_b64 v[9:10], v[1:2]
	flat_load_b64 v[11:12], v[1:2] offset:2048
	flat_load_b64 v[13:14], v[3:4]
	flat_load_b64 v[3:4], v[3:4] offset:2048
	;; [unrolled: 2-line block ×4, first 2 shown]
	v_add_co_u32 v1, vcc_lo, 0x7000, v1
	v_add_co_ci_u32_e32 v2, vcc_lo, 0, v2, vcc_lo
	s_clause 0x6
	flat_load_b64 v[25:26], v[19:20]
	flat_load_b64 v[19:20], v[19:20] offset:2048
	flat_load_b64 v[27:28], v[21:22]
	flat_load_b64 v[21:22], v[21:22] offset:2048
	;; [unrolled: 2-line block ×3, first 2 shown]
	flat_load_b64 v[1:2], v[1:2]
	v_add_co_ci_u32_e64 v32, null, s21, 0, s0
	v_add_co_u32 v33, vcc_lo, 0x1000, v31
	v_mad_u32_u24 v46, 0x70, v0, v37
	s_delay_alu instid0(VALU_DEP_3)
	v_add_co_ci_u32_e32 v34, vcc_lo, 0, v32, vcc_lo
	v_add_co_u32 v35, vcc_lo, 0x2000, v31
	v_add_co_ci_u32_e32 v36, vcc_lo, 0, v32, vcc_lo
	v_add_co_u32 v39, vcc_lo, 0x3000, v31
	v_add_co_ci_u32_e32 v40, vcc_lo, 0, v32, vcc_lo
	v_mad_u32_u24 v45, v0, 15, 9
	v_mad_u32_u24 v43, v0, 15, 10
	v_mad_i32_i24 v61, 0xffffff8c, v0, v46
	v_mad_u32_u24 v50, v0, 15, 11
	v_mad_u32_u24 v49, v0, 15, 12
	s_waitcnt vmcnt(13) lgkmcnt(13)
	ds_store_2addr_stride64_b64 v37, v[9:10], v[11:12] offset1:4
	s_waitcnt vmcnt(11) lgkmcnt(12)
	ds_store_2addr_stride64_b64 v37, v[13:14], v[3:4] offset0:8 offset1:12
	s_waitcnt vmcnt(9) lgkmcnt(11)
	ds_store_2addr_stride64_b64 v37, v[15:16], v[5:6] offset0:16 offset1:20
	;; [unrolled: 2-line block ×6, first 2 shown]
	s_waitcnt vmcnt(0) lgkmcnt(7)
	ds_store_b64 v37, v[1:2] offset:28672
	s_waitcnt lgkmcnt(0)
	s_barrier
	buffer_gl0_inv
	ds_load_2addr_b64 v[25:28], v46 offset1:1
	ds_load_2addr_b64 v[21:24], v46 offset0:2 offset1:3
	ds_load_2addr_b64 v[17:20], v46 offset0:4 offset1:5
	;; [unrolled: 1-line block ×6, first 2 shown]
	ds_load_b64 v[37:38], v46 offset:112
	s_waitcnt lgkmcnt(0)
	s_barrier
	buffer_gl0_inv
	s_clause 0xe
	flat_load_b32 v29, v[31:32]
	flat_load_b32 v47, v[31:32] offset:1024
	flat_load_b32 v48, v[31:32] offset:2048
	flat_load_b32 v32, v[31:32] offset:3072
	flat_load_b32 v51, v[33:34]
	flat_load_b32 v52, v[33:34] offset:1024
	flat_load_b32 v53, v[33:34] offset:2048
	flat_load_b32 v54, v[33:34] offset:3072
	flat_load_b32 v55, v[35:36]
	flat_load_b32 v56, v[35:36] offset:1024
	flat_load_b32 v57, v[35:36] offset:2048
	flat_load_b32 v58, v[35:36] offset:3072
	flat_load_b32 v59, v[39:40]
	flat_load_b32 v60, v[39:40] offset:1024
	flat_load_b32 v39, v[39:40] offset:2048
	v_mul_u32_u24_e32 v30, 15, v0
	v_mad_u32_u24 v34, v0, 15, 1
	v_mad_u32_u24 v33, v0, 15, 2
	;; [unrolled: 1-line block ×7, first 2 shown]
	s_waitcnt vmcnt(13) lgkmcnt(13)
	ds_store_2addr_stride64_b32 v61, v29, v47 offset1:4
	s_waitcnt vmcnt(11) lgkmcnt(12)
	ds_store_2addr_stride64_b32 v61, v48, v32 offset0:8 offset1:12
	s_waitcnt vmcnt(9) lgkmcnt(11)
	ds_store_2addr_stride64_b32 v61, v51, v52 offset0:16 offset1:20
	;; [unrolled: 2-line block ×6, first 2 shown]
	s_waitcnt vmcnt(0) lgkmcnt(7)
	ds_store_b32 v61, v39 offset:14336
	s_waitcnt lgkmcnt(0)
	s_barrier
	s_and_not1_b32 vcc_lo, exec_lo, s3
	s_add_i32 s33, s33, s44
	s_cbranch_vccz .LBB794_3
	s_branch .LBB794_64
.LBB794_2:
                                        ; implicit-def: $vgpr31
                                        ; implicit-def: $vgpr46
                                        ; implicit-def: $vgpr49
                                        ; implicit-def: $vgpr50
                                        ; implicit-def: $vgpr43
                                        ; implicit-def: $vgpr45
                                        ; implicit-def: $vgpr41
                                        ; implicit-def: $vgpr44
                                        ; implicit-def: $vgpr40
                                        ; implicit-def: $vgpr42
                                        ; implicit-def: $vgpr35
                                        ; implicit-def: $vgpr36
                                        ; implicit-def: $vgpr33
                                        ; implicit-def: $vgpr34
                                        ; implicit-def: $vgpr30
                                        ; implicit-def: $vgpr25_vgpr26
                                        ; implicit-def: $vgpr21_vgpr22
                                        ; implicit-def: $vgpr17_vgpr18
                                        ; implicit-def: $vgpr13_vgpr14
                                        ; implicit-def: $vgpr9_vgpr10
                                        ; implicit-def: $vgpr5_vgpr6
                                        ; implicit-def: $vgpr1_vgpr2
                                        ; implicit-def: $vgpr37_vgpr38
	s_add_i32 s33, s33, s44
.LBB794_3:
	s_delay_alu instid0(SALU_CYCLE_1)
	v_cmp_gt_u32_e32 vcc_lo, s33, v0
                                        ; implicit-def: $vgpr1_vgpr2
	s_and_saveexec_b32 s0, vcc_lo
	s_cbranch_execz .LBB794_5
; %bb.4:
	v_lshlrev_b32_e32 v1, 3, v0
	s_delay_alu instid0(VALU_DEP_1) | instskip(NEXT) | instid1(VALU_DEP_1)
	v_add_co_u32 v1, s1, s18, v1
	v_add_co_ci_u32_e64 v2, null, s14, 0, s1
	flat_load_b64 v[1:2], v[1:2]
.LBB794_5:
	s_or_b32 exec_lo, exec_lo, s0
	v_or_b32_e32 v3, 0x100, v0
	s_delay_alu instid0(VALU_DEP_1) | instskip(NEXT) | instid1(VALU_DEP_1)
	v_cmp_gt_u32_e64 s0, s33, v3
                                        ; implicit-def: $vgpr3_vgpr4
	s_and_saveexec_b32 s1, s0
	s_cbranch_execz .LBB794_7
; %bb.6:
	v_lshlrev_b32_e32 v3, 3, v0
	s_delay_alu instid0(VALU_DEP_1) | instskip(NEXT) | instid1(VALU_DEP_1)
	v_add_co_u32 v3, s2, s18, v3
	v_add_co_ci_u32_e64 v4, null, s14, 0, s2
	flat_load_b64 v[3:4], v[3:4] offset:2048
.LBB794_7:
	s_or_b32 exec_lo, exec_lo, s1
	v_or_b32_e32 v7, 0x200, v0
                                        ; implicit-def: $vgpr5_vgpr6
	s_delay_alu instid0(VALU_DEP_1) | instskip(NEXT) | instid1(VALU_DEP_1)
	v_cmp_gt_u32_e64 s1, s33, v7
	s_and_saveexec_b32 s2, s1
	s_cbranch_execz .LBB794_9
; %bb.8:
	v_lshlrev_b32_e32 v5, 3, v7
	s_delay_alu instid0(VALU_DEP_1) | instskip(NEXT) | instid1(VALU_DEP_1)
	v_add_co_u32 v5, s3, s18, v5
	v_add_co_ci_u32_e64 v6, null, s14, 0, s3
	flat_load_b64 v[5:6], v[5:6]
.LBB794_9:
	s_or_b32 exec_lo, exec_lo, s2
	v_or_b32_e32 v9, 0x300, v0
                                        ; implicit-def: $vgpr7_vgpr8
	s_delay_alu instid0(VALU_DEP_1) | instskip(NEXT) | instid1(VALU_DEP_1)
	v_cmp_gt_u32_e64 s2, s33, v9
	s_and_saveexec_b32 s3, s2
	s_cbranch_execz .LBB794_11
; %bb.10:
	v_lshlrev_b32_e32 v7, 3, v9
	s_delay_alu instid0(VALU_DEP_1) | instskip(NEXT) | instid1(VALU_DEP_1)
	v_add_co_u32 v7, s4, s18, v7
	v_add_co_ci_u32_e64 v8, null, s14, 0, s4
	flat_load_b64 v[7:8], v[7:8]
.LBB794_11:
	s_or_b32 exec_lo, exec_lo, s3
	v_or_b32_e32 v33, 0x400, v0
                                        ; implicit-def: $vgpr9_vgpr10
	s_delay_alu instid0(VALU_DEP_1) | instskip(NEXT) | instid1(VALU_DEP_1)
	v_cmp_gt_u32_e64 s3, s33, v33
	s_and_saveexec_b32 s4, s3
	s_cbranch_execz .LBB794_13
; %bb.12:
	v_lshlrev_b32_e32 v9, 3, v33
	s_delay_alu instid0(VALU_DEP_1) | instskip(NEXT) | instid1(VALU_DEP_1)
	v_add_co_u32 v9, s5, s18, v9
	v_add_co_ci_u32_e64 v10, null, s14, 0, s5
	flat_load_b64 v[9:10], v[9:10]
.LBB794_13:
	s_or_b32 exec_lo, exec_lo, s4
	v_or_b32_e32 v34, 0x500, v0
                                        ; implicit-def: $vgpr11_vgpr12
	s_delay_alu instid0(VALU_DEP_1) | instskip(NEXT) | instid1(VALU_DEP_1)
	v_cmp_gt_u32_e64 s4, s33, v34
	s_and_saveexec_b32 s5, s4
	s_cbranch_execz .LBB794_15
; %bb.14:
	v_lshlrev_b32_e32 v11, 3, v34
	s_delay_alu instid0(VALU_DEP_1) | instskip(NEXT) | instid1(VALU_DEP_1)
	v_add_co_u32 v11, s6, s18, v11
	v_add_co_ci_u32_e64 v12, null, s14, 0, s6
	flat_load_b64 v[11:12], v[11:12]
.LBB794_15:
	s_or_b32 exec_lo, exec_lo, s5
	v_or_b32_e32 v35, 0x600, v0
                                        ; implicit-def: $vgpr13_vgpr14
	s_delay_alu instid0(VALU_DEP_1) | instskip(NEXT) | instid1(VALU_DEP_1)
	v_cmp_gt_u32_e64 s5, s33, v35
	s_and_saveexec_b32 s6, s5
	s_cbranch_execz .LBB794_17
; %bb.16:
	v_lshlrev_b32_e32 v13, 3, v35
	s_delay_alu instid0(VALU_DEP_1) | instskip(NEXT) | instid1(VALU_DEP_1)
	v_add_co_u32 v13, s7, s18, v13
	v_add_co_ci_u32_e64 v14, null, s14, 0, s7
	flat_load_b64 v[13:14], v[13:14]
.LBB794_17:
	s_or_b32 exec_lo, exec_lo, s6
	v_or_b32_e32 v36, 0x700, v0
                                        ; implicit-def: $vgpr15_vgpr16
	s_delay_alu instid0(VALU_DEP_1) | instskip(NEXT) | instid1(VALU_DEP_1)
	v_cmp_gt_u32_e64 s6, s33, v36
	s_and_saveexec_b32 s7, s6
	s_cbranch_execz .LBB794_19
; %bb.18:
	v_lshlrev_b32_e32 v15, 3, v36
	s_delay_alu instid0(VALU_DEP_1) | instskip(NEXT) | instid1(VALU_DEP_1)
	v_add_co_u32 v15, s8, s18, v15
	v_add_co_ci_u32_e64 v16, null, s14, 0, s8
	flat_load_b64 v[15:16], v[15:16]
.LBB794_19:
	s_or_b32 exec_lo, exec_lo, s7
	v_or_b32_e32 v40, 0x800, v0
                                        ; implicit-def: $vgpr17_vgpr18
	s_delay_alu instid0(VALU_DEP_1) | instskip(NEXT) | instid1(VALU_DEP_1)
	v_cmp_gt_u32_e64 s7, s33, v40
	s_and_saveexec_b32 s8, s7
	s_cbranch_execz .LBB794_21
; %bb.20:
	v_lshlrev_b32_e32 v17, 3, v40
	s_delay_alu instid0(VALU_DEP_1) | instskip(NEXT) | instid1(VALU_DEP_1)
	v_add_co_u32 v17, s9, s18, v17
	v_add_co_ci_u32_e64 v18, null, s14, 0, s9
	flat_load_b64 v[17:18], v[17:18]
.LBB794_21:
	s_or_b32 exec_lo, exec_lo, s8
	v_or_b32_e32 v41, 0x900, v0
                                        ; implicit-def: $vgpr19_vgpr20
	s_delay_alu instid0(VALU_DEP_1) | instskip(NEXT) | instid1(VALU_DEP_1)
	v_cmp_gt_u32_e64 s8, s33, v41
	s_and_saveexec_b32 s9, s8
	s_cbranch_execz .LBB794_23
; %bb.22:
	v_lshlrev_b32_e32 v19, 3, v41
	s_delay_alu instid0(VALU_DEP_1) | instskip(NEXT) | instid1(VALU_DEP_1)
	v_add_co_u32 v19, s10, s18, v19
	v_add_co_ci_u32_e64 v20, null, s14, 0, s10
	flat_load_b64 v[19:20], v[19:20]
.LBB794_23:
	s_or_b32 exec_lo, exec_lo, s9
	v_or_b32_e32 v42, 0xa00, v0
                                        ; implicit-def: $vgpr21_vgpr22
	s_delay_alu instid0(VALU_DEP_1) | instskip(NEXT) | instid1(VALU_DEP_1)
	v_cmp_gt_u32_e64 s9, s33, v42
	s_and_saveexec_b32 s10, s9
	s_cbranch_execz .LBB794_25
; %bb.24:
	v_lshlrev_b32_e32 v21, 3, v42
	s_delay_alu instid0(VALU_DEP_1) | instskip(NEXT) | instid1(VALU_DEP_1)
	v_add_co_u32 v21, s11, s18, v21
	v_add_co_ci_u32_e64 v22, null, s14, 0, s11
	flat_load_b64 v[21:22], v[21:22]
.LBB794_25:
	s_or_b32 exec_lo, exec_lo, s10
	v_or_b32_e32 v43, 0xb00, v0
                                        ; implicit-def: $vgpr23_vgpr24
	s_delay_alu instid0(VALU_DEP_1) | instskip(NEXT) | instid1(VALU_DEP_1)
	v_cmp_gt_u32_e64 s10, s33, v43
	s_and_saveexec_b32 s11, s10
	s_cbranch_execz .LBB794_27
; %bb.26:
	v_lshlrev_b32_e32 v23, 3, v43
	s_delay_alu instid0(VALU_DEP_1) | instskip(NEXT) | instid1(VALU_DEP_1)
	v_add_co_u32 v23, s12, s18, v23
	v_add_co_ci_u32_e64 v24, null, s14, 0, s12
	flat_load_b64 v[23:24], v[23:24]
.LBB794_27:
	s_or_b32 exec_lo, exec_lo, s11
	v_or_b32_e32 v44, 0xc00, v0
                                        ; implicit-def: $vgpr25_vgpr26
	s_delay_alu instid0(VALU_DEP_1) | instskip(NEXT) | instid1(VALU_DEP_1)
	v_cmp_gt_u32_e64 s11, s33, v44
	s_and_saveexec_b32 s12, s11
	s_cbranch_execz .LBB794_29
; %bb.28:
	v_lshlrev_b32_e32 v25, 3, v44
	s_delay_alu instid0(VALU_DEP_1) | instskip(NEXT) | instid1(VALU_DEP_1)
	v_add_co_u32 v25, s13, s18, v25
	v_add_co_ci_u32_e64 v26, null, s14, 0, s13
	flat_load_b64 v[25:26], v[25:26]
.LBB794_29:
	s_or_b32 exec_lo, exec_lo, s12
	v_or_b32_e32 v45, 0xd00, v0
                                        ; implicit-def: $vgpr27_vgpr28
	s_delay_alu instid0(VALU_DEP_1) | instskip(NEXT) | instid1(VALU_DEP_1)
	v_cmp_gt_u32_e64 s12, s33, v45
	s_and_saveexec_b32 s13, s12
	s_cbranch_execz .LBB794_31
; %bb.30:
	v_lshlrev_b32_e32 v27, 3, v45
	s_delay_alu instid0(VALU_DEP_1) | instskip(NEXT) | instid1(VALU_DEP_1)
	v_add_co_u32 v27, s22, s18, v27
	v_add_co_ci_u32_e64 v28, null, s14, 0, s22
	flat_load_b64 v[27:28], v[27:28]
.LBB794_31:
	s_or_b32 exec_lo, exec_lo, s13
	v_or_b32_e32 v46, 0xe00, v0
                                        ; implicit-def: $vgpr29_vgpr30
	s_delay_alu instid0(VALU_DEP_1) | instskip(NEXT) | instid1(VALU_DEP_1)
	v_cmp_gt_u32_e64 s13, s33, v46
	s_and_saveexec_b32 s22, s13
	s_cbranch_execz .LBB794_33
; %bb.32:
	v_lshlrev_b32_e32 v29, 3, v46
	s_delay_alu instid0(VALU_DEP_1) | instskip(NEXT) | instid1(VALU_DEP_1)
	v_add_co_u32 v29, s24, s18, v29
	v_add_co_ci_u32_e64 v30, null, s14, 0, s24
	flat_load_b64 v[29:30], v[29:30]
.LBB794_33:
	s_or_b32 exec_lo, exec_lo, s22
	v_lshlrev_b32_e32 v32, 3, v0
	s_waitcnt vmcnt(0) lgkmcnt(0)
	ds_store_2addr_stride64_b64 v32, v[1:2], v[3:4] offset1:4
	ds_store_2addr_stride64_b64 v32, v[5:6], v[7:8] offset0:8 offset1:12
	ds_store_2addr_stride64_b64 v32, v[9:10], v[11:12] offset0:16 offset1:20
	;; [unrolled: 1-line block ×6, first 2 shown]
	v_mad_u32_u24 v31, 0x70, v0, v32
	ds_store_b64 v32, v[29:30] offset:28672
	s_waitcnt lgkmcnt(0)
	s_barrier
	buffer_gl0_inv
	ds_load_2addr_b64 v[25:28], v31 offset1:1
	ds_load_2addr_b64 v[21:24], v31 offset0:2 offset1:3
	ds_load_2addr_b64 v[17:20], v31 offset0:4 offset1:5
	;; [unrolled: 1-line block ×6, first 2 shown]
	ds_load_b64 v[37:38], v31 offset:112
	s_waitcnt lgkmcnt(0)
	s_barrier
	buffer_gl0_inv
                                        ; implicit-def: $vgpr29
	s_and_saveexec_b32 s22, vcc_lo
	s_cbranch_execz .LBB794_47
; %bb.34:
	v_lshlrev_b32_e32 v29, 2, v0
	s_delay_alu instid0(VALU_DEP_1) | instskip(NEXT) | instid1(VALU_DEP_1)
	v_add_co_u32 v29, s24, s20, v29
	v_add_co_ci_u32_e64 v30, null, s21, 0, s24
	flat_load_b32 v29, v[29:30]
	s_or_b32 exec_lo, exec_lo, s22
                                        ; implicit-def: $vgpr32
	s_and_saveexec_b32 s22, s0
	s_cbranch_execnz .LBB794_48
.LBB794_35:
	s_or_b32 exec_lo, exec_lo, s22
                                        ; implicit-def: $vgpr39
	s_and_saveexec_b32 s0, s1
	s_cbranch_execz .LBB794_49
.LBB794_36:
	v_lshlrev_b32_e32 v30, 2, v0
	s_delay_alu instid0(VALU_DEP_1) | instskip(NEXT) | instid1(VALU_DEP_1)
	v_add_co_u32 v47, s1, s20, v30
	v_add_co_ci_u32_e64 v48, null, s21, 0, s1
	flat_load_b32 v39, v[47:48] offset:2048
	s_or_b32 exec_lo, exec_lo, s0
                                        ; implicit-def: $vgpr47
	s_and_saveexec_b32 s0, s2
	s_cbranch_execnz .LBB794_50
.LBB794_37:
	s_or_b32 exec_lo, exec_lo, s0
                                        ; implicit-def: $vgpr48
	s_and_saveexec_b32 s0, s3
	s_cbranch_execz .LBB794_51
.LBB794_38:
	v_lshlrev_b32_e32 v30, 2, v33
	s_delay_alu instid0(VALU_DEP_1) | instskip(NEXT) | instid1(VALU_DEP_1)
	v_add_co_u32 v48, s1, s20, v30
	v_add_co_ci_u32_e64 v49, null, s21, 0, s1
	flat_load_b32 v48, v[48:49]
	s_or_b32 exec_lo, exec_lo, s0
                                        ; implicit-def: $vgpr51
	s_and_saveexec_b32 s0, s4
	s_cbranch_execnz .LBB794_52
.LBB794_39:
	s_or_b32 exec_lo, exec_lo, s0
                                        ; implicit-def: $vgpr52
	s_and_saveexec_b32 s0, s5
	s_cbranch_execz .LBB794_53
.LBB794_40:
	v_lshlrev_b32_e32 v30, 2, v35
	s_delay_alu instid0(VALU_DEP_1) | instskip(NEXT) | instid1(VALU_DEP_1)
	v_add_co_u32 v33, s1, s20, v30
	v_add_co_ci_u32_e64 v34, null, s21, 0, s1
	flat_load_b32 v52, v[33:34]
	s_or_b32 exec_lo, exec_lo, s0
                                        ; implicit-def: $vgpr53
	s_and_saveexec_b32 s0, s6
	s_cbranch_execnz .LBB794_54
.LBB794_41:
	s_or_b32 exec_lo, exec_lo, s0
                                        ; implicit-def: $vgpr54
	s_and_saveexec_b32 s0, s7
	s_cbranch_execz .LBB794_55
.LBB794_42:
	v_lshlrev_b32_e32 v30, 2, v40
	s_delay_alu instid0(VALU_DEP_1) | instskip(NEXT) | instid1(VALU_DEP_1)
	v_add_co_u32 v33, s1, s20, v30
	v_add_co_ci_u32_e64 v34, null, s21, 0, s1
	flat_load_b32 v54, v[33:34]
	s_or_b32 exec_lo, exec_lo, s0
                                        ; implicit-def: $vgpr55
	s_and_saveexec_b32 s0, s8
	s_cbranch_execnz .LBB794_56
.LBB794_43:
	s_or_b32 exec_lo, exec_lo, s0
                                        ; implicit-def: $vgpr56
	s_and_saveexec_b32 s0, s9
	s_cbranch_execz .LBB794_57
.LBB794_44:
	v_lshlrev_b32_e32 v30, 2, v42
	s_delay_alu instid0(VALU_DEP_1) | instskip(NEXT) | instid1(VALU_DEP_1)
	v_add_co_u32 v33, s1, s20, v30
	v_add_co_ci_u32_e64 v34, null, s21, 0, s1
	flat_load_b32 v56, v[33:34]
	s_or_b32 exec_lo, exec_lo, s0
                                        ; implicit-def: $vgpr57
	s_and_saveexec_b32 s0, s10
	s_cbranch_execnz .LBB794_58
.LBB794_45:
	s_or_b32 exec_lo, exec_lo, s0
                                        ; implicit-def: $vgpr58
	s_and_saveexec_b32 s0, s11
	s_cbranch_execz .LBB794_59
.LBB794_46:
	v_lshlrev_b32_e32 v30, 2, v44
	s_delay_alu instid0(VALU_DEP_1) | instskip(NEXT) | instid1(VALU_DEP_1)
	v_add_co_u32 v33, s1, s20, v30
	v_add_co_ci_u32_e64 v34, null, s21, 0, s1
	flat_load_b32 v58, v[33:34]
	s_or_b32 exec_lo, exec_lo, s0
                                        ; implicit-def: $vgpr59
	s_and_saveexec_b32 s0, s12
	s_cbranch_execz .LBB794_61
	s_branch .LBB794_60
.LBB794_47:
	s_or_b32 exec_lo, exec_lo, s22
                                        ; implicit-def: $vgpr32
	s_and_saveexec_b32 s22, s0
	s_cbranch_execz .LBB794_35
.LBB794_48:
	v_lshlrev_b32_e32 v30, 2, v0
	s_delay_alu instid0(VALU_DEP_1) | instskip(NEXT) | instid1(VALU_DEP_1)
	v_add_co_u32 v47, s0, s20, v30
	v_add_co_ci_u32_e64 v48, null, s21, 0, s0
	flat_load_b32 v32, v[47:48] offset:1024
	s_or_b32 exec_lo, exec_lo, s22
                                        ; implicit-def: $vgpr39
	s_and_saveexec_b32 s0, s1
	s_cbranch_execnz .LBB794_36
.LBB794_49:
	s_or_b32 exec_lo, exec_lo, s0
                                        ; implicit-def: $vgpr47
	s_and_saveexec_b32 s0, s2
	s_cbranch_execz .LBB794_37
.LBB794_50:
	v_lshlrev_b32_e32 v30, 2, v0
	s_delay_alu instid0(VALU_DEP_1) | instskip(NEXT) | instid1(VALU_DEP_1)
	v_add_co_u32 v47, s1, s20, v30
	v_add_co_ci_u32_e64 v48, null, s21, 0, s1
	flat_load_b32 v47, v[47:48] offset:3072
	s_or_b32 exec_lo, exec_lo, s0
                                        ; implicit-def: $vgpr48
	s_and_saveexec_b32 s0, s3
	s_cbranch_execnz .LBB794_38
.LBB794_51:
	s_or_b32 exec_lo, exec_lo, s0
                                        ; implicit-def: $vgpr51
	s_and_saveexec_b32 s0, s4
	s_cbranch_execz .LBB794_39
.LBB794_52:
	v_lshlrev_b32_e32 v30, 2, v34
	s_delay_alu instid0(VALU_DEP_1) | instskip(NEXT) | instid1(VALU_DEP_1)
	v_add_co_u32 v33, s1, s20, v30
	v_add_co_ci_u32_e64 v34, null, s21, 0, s1
	flat_load_b32 v51, v[33:34]
	s_or_b32 exec_lo, exec_lo, s0
                                        ; implicit-def: $vgpr52
	s_and_saveexec_b32 s0, s5
	s_cbranch_execnz .LBB794_40
.LBB794_53:
	s_or_b32 exec_lo, exec_lo, s0
                                        ; implicit-def: $vgpr53
	s_and_saveexec_b32 s0, s6
	s_cbranch_execz .LBB794_41
.LBB794_54:
	v_lshlrev_b32_e32 v30, 2, v36
	s_delay_alu instid0(VALU_DEP_1) | instskip(NEXT) | instid1(VALU_DEP_1)
	v_add_co_u32 v33, s1, s20, v30
	v_add_co_ci_u32_e64 v34, null, s21, 0, s1
	flat_load_b32 v53, v[33:34]
	s_or_b32 exec_lo, exec_lo, s0
                                        ; implicit-def: $vgpr54
	s_and_saveexec_b32 s0, s7
	s_cbranch_execnz .LBB794_42
.LBB794_55:
	s_or_b32 exec_lo, exec_lo, s0
                                        ; implicit-def: $vgpr55
	s_and_saveexec_b32 s0, s8
	s_cbranch_execz .LBB794_43
.LBB794_56:
	v_lshlrev_b32_e32 v30, 2, v41
	s_delay_alu instid0(VALU_DEP_1) | instskip(NEXT) | instid1(VALU_DEP_1)
	v_add_co_u32 v33, s1, s20, v30
	v_add_co_ci_u32_e64 v34, null, s21, 0, s1
	flat_load_b32 v55, v[33:34]
	s_or_b32 exec_lo, exec_lo, s0
                                        ; implicit-def: $vgpr56
	s_and_saveexec_b32 s0, s9
	s_cbranch_execnz .LBB794_44
.LBB794_57:
	s_or_b32 exec_lo, exec_lo, s0
                                        ; implicit-def: $vgpr57
	s_and_saveexec_b32 s0, s10
	s_cbranch_execz .LBB794_45
.LBB794_58:
	v_lshlrev_b32_e32 v30, 2, v43
	s_delay_alu instid0(VALU_DEP_1) | instskip(NEXT) | instid1(VALU_DEP_1)
	v_add_co_u32 v33, s1, s20, v30
	v_add_co_ci_u32_e64 v34, null, s21, 0, s1
	flat_load_b32 v57, v[33:34]
	s_or_b32 exec_lo, exec_lo, s0
                                        ; implicit-def: $vgpr58
	s_and_saveexec_b32 s0, s11
	s_cbranch_execnz .LBB794_46
.LBB794_59:
	s_or_b32 exec_lo, exec_lo, s0
                                        ; implicit-def: $vgpr59
	s_and_saveexec_b32 s0, s12
	s_cbranch_execz .LBB794_61
.LBB794_60:
	v_lshlrev_b32_e32 v30, 2, v45
	s_delay_alu instid0(VALU_DEP_1) | instskip(NEXT) | instid1(VALU_DEP_1)
	v_add_co_u32 v33, s1, s20, v30
	v_add_co_ci_u32_e64 v34, null, s21, 0, s1
	flat_load_b32 v59, v[33:34]
.LBB794_61:
	s_or_b32 exec_lo, exec_lo, s0
	v_mul_u32_u24_e32 v30, 15, v0
                                        ; implicit-def: $vgpr60
	s_and_saveexec_b32 s0, s13
	s_cbranch_execz .LBB794_63
; %bb.62:
	v_lshlrev_b32_e32 v33, 2, v46
	s_delay_alu instid0(VALU_DEP_1) | instskip(NEXT) | instid1(VALU_DEP_1)
	v_add_co_u32 v33, s1, s20, v33
	v_add_co_ci_u32_e64 v34, null, s21, 0, s1
	flat_load_b32 v60, v[33:34]
.LBB794_63:
	s_or_b32 exec_lo, exec_lo, s0
	s_delay_alu instid0(VALU_DEP_1)
	v_add_nc_u32_e32 v34, 1, v30
	v_add_nc_u32_e32 v33, 2, v30
	;; [unrolled: 1-line block ×10, first 2 shown]
	v_mad_i32_i24 v61, 0xffffff8c, v0, v31
	v_add_nc_u32_e32 v50, 11, v30
	v_add_nc_u32_e32 v49, 12, v30
	;; [unrolled: 1-line block ×4, first 2 shown]
	s_waitcnt vmcnt(0) lgkmcnt(0)
	ds_store_2addr_stride64_b32 v61, v29, v32 offset1:4
	ds_store_2addr_stride64_b32 v61, v39, v47 offset0:8 offset1:12
	ds_store_2addr_stride64_b32 v61, v48, v51 offset0:16 offset1:20
	;; [unrolled: 1-line block ×6, first 2 shown]
	ds_store_b32 v61, v60 offset:14336
	s_waitcnt lgkmcnt(0)
	s_barrier
.LBB794_64:
	v_lshlrev_b32_e32 v29, 2, v30
	v_lshlrev_b32_e32 v30, 2, v34
	;; [unrolled: 1-line block ×5, first 2 shown]
	buffer_gl0_inv
	v_lshlrev_b32_e32 v35, 2, v42
	v_lshlrev_b32_e32 v36, 2, v40
	;; [unrolled: 1-line block ×3, first 2 shown]
	ds_load_b32 v92, v29
	ds_load_b32 v91, v30
	ds_load_b32 v90, v32
	ds_load_b32 v89, v33
	ds_load_b32 v87, v34
	ds_load_b32 v86, v35
	ds_load_b32 v84, v36
	ds_load_b32 v82, v39
	v_lshlrev_b32_e32 v29, 2, v41
	v_lshlrev_b32_e32 v30, 2, v45
	;; [unrolled: 1-line block ×7, first 2 shown]
	ds_load_b32 v88, v29
	ds_load_b32 v85, v30
	;; [unrolled: 1-line block ×7, first 2 shown]
	s_cmp_eq_u64 s[16:17], 0
	s_waitcnt lgkmcnt(0)
	s_cselect_b32 s40, -1, 0
	s_cmp_lg_u64 s[16:17], 0
	s_barrier
	s_cselect_b32 s20, -1, 0
	s_and_b32 vcc_lo, exec_lo, s19
	buffer_gl0_inv
	s_cbranch_vccz .LBB794_70
; %bb.65:
	s_and_b32 vcc_lo, exec_lo, s20
	s_cbranch_vccz .LBB794_135
; %bb.66:
	v_add_co_u32 v29, s0, -8, s18
	s_delay_alu instid0(VALU_DEP_1)
	v_add_co_ci_u32_e64 v30, null, -1, s14, s0
	v_cmp_ne_u64_e64 s0, v[3:4], v[37:38]
	v_cmp_ne_u64_e64 s1, v[1:2], v[3:4]
	;; [unrolled: 1-line block ×3, first 2 shown]
	flat_load_b64 v[29:30], v[29:30]
	v_cmp_ne_u64_e64 s3, v[5:6], v[7:8]
	v_cmp_ne_u64_e64 s4, v[11:12], v[5:6]
	v_cmp_ne_u64_e64 s5, v[9:10], v[11:12]
	v_cmp_ne_u64_e64 s6, v[15:16], v[9:10]
	v_cmp_ne_u64_e64 s7, v[13:14], v[15:16]
	v_cmp_ne_u64_e64 s8, v[19:20], v[13:14]
	v_cmp_ne_u64_e64 s9, v[17:18], v[19:20]
	v_cmp_ne_u64_e64 s10, v[23:24], v[17:18]
	v_cmp_ne_u64_e64 s11, v[21:22], v[23:24]
	v_cmp_ne_u64_e64 s12, v[27:28], v[21:22]
	v_cmp_ne_u64_e32 vcc_lo, v[25:26], v[27:28]
	v_lshlrev_b32_e32 v31, 3, v0
	s_mov_b32 s41, -1
	s_mov_b32 s19, 0
	s_mov_b32 s21, exec_lo
	ds_store_b64 v31, v[37:38]
	s_waitcnt vmcnt(0) lgkmcnt(0)
	s_barrier
	buffer_gl0_inv
	v_cmpx_ne_u32_e32 0, v0
	s_cbranch_execz .LBB794_68
; %bb.67:
	v_add_nc_u32_e32 v29, -8, v31
	ds_load_b64 v[29:30], v29
.LBB794_68:
	s_or_b32 exec_lo, exec_lo, s21
	v_cndmask_b32_e64 v73, 0, 1, s0
	v_cndmask_b32_e64 v67, 0, 1, s1
	;; [unrolled: 1-line block ×13, first 2 shown]
	s_waitcnt lgkmcnt(0)
	v_cmp_ne_u64_e64 s0, v[29:30], v[25:26]
	v_cndmask_b32_e64 v80, 0, 1, vcc_lo
	s_and_b32 vcc_lo, exec_lo, s19
	s_cbranch_vccnz .LBB794_136
.LBB794_69:
                                        ; implicit-def: $sgpr1
	s_branch .LBB794_71
.LBB794_70:
	s_mov_b32 s41, 0
                                        ; implicit-def: $sgpr0
                                        ; implicit-def: $vgpr73
                                        ; implicit-def: $vgpr67
                                        ; implicit-def: $vgpr68
                                        ; implicit-def: $vgpr69
                                        ; implicit-def: $vgpr70
                                        ; implicit-def: $vgpr71
                                        ; implicit-def: $vgpr72
                                        ; implicit-def: $vgpr74
                                        ; implicit-def: $vgpr75
                                        ; implicit-def: $vgpr76
                                        ; implicit-def: $vgpr77
                                        ; implicit-def: $vgpr78
                                        ; implicit-def: $vgpr79
                                        ; implicit-def: $vgpr80
                                        ; implicit-def: $sgpr1
	s_cbranch_execnz .LBB794_139
.LBB794_71:
	v_mov_b32_e32 v93, s1
	s_and_saveexec_b32 s1, s41
.LBB794_72:
	v_cndmask_b32_e64 v93, 0, 1, s0
.LBB794_73:
	s_or_b32 exec_lo, exec_lo, s1
	s_delay_alu instid0(VALU_DEP_1)
	v_add3_u32 v29, v80, v93, v79
	v_cmp_eq_u32_e64 s12, 0, v80
	v_cmp_eq_u32_e64 s11, 0, v79
	;; [unrolled: 1-line block ×4, first 2 shown]
	v_add3_u32 v99, v29, v78, v77
	v_cmp_eq_u32_e64 s8, 0, v76
	v_cmp_eq_u32_e64 s7, 0, v75
	;; [unrolled: 1-line block ×9, first 2 shown]
	v_cmp_eq_u32_e32 vcc_lo, 0, v73
	v_mbcnt_lo_u32_b32 v96, -1, 0
	v_lshrrev_b32_e32 v97, 5, v0
	v_or_b32_e32 v98, 31, v0
	s_cmp_eq_u64 s[38:39], 0
	s_cselect_b32 s16, -1, 0
	s_cmp_lg_u32 s15, 0
	s_cbranch_scc0 .LBB794_104
; %bb.74:
	v_cndmask_b32_e64 v29, 0, v92, s12
	v_add3_u32 v30, v99, v76, v75
	v_and_b32_e32 v32, 15, v96
	s_delay_alu instid0(VALU_DEP_3) | instskip(NEXT) | instid1(VALU_DEP_3)
	v_add_nc_u32_e32 v29, v29, v91
	v_add3_u32 v30, v30, v74, v72
	s_delay_alu instid0(VALU_DEP_3) | instskip(NEXT) | instid1(VALU_DEP_3)
	v_cmp_lt_u32_e64 s13, 1, v32
	v_cndmask_b32_e64 v29, 0, v29, s11
	s_delay_alu instid0(VALU_DEP_3) | instskip(NEXT) | instid1(VALU_DEP_2)
	v_add3_u32 v30, v30, v71, v70
	v_add_nc_u32_e32 v29, v29, v90
	s_delay_alu instid0(VALU_DEP_2) | instskip(NEXT) | instid1(VALU_DEP_2)
	v_add3_u32 v30, v30, v69, v68
	v_cndmask_b32_e64 v29, 0, v29, s10
	s_delay_alu instid0(VALU_DEP_2) | instskip(NEXT) | instid1(VALU_DEP_2)
	v_add3_u32 v30, v30, v67, v73
	v_add_nc_u32_e32 v29, v29, v89
	s_delay_alu instid0(VALU_DEP_2) | instskip(NEXT) | instid1(VALU_DEP_2)
	v_mov_b32_dpp v33, v30 row_shr:1 row_mask:0xf bank_mask:0xf
	v_cndmask_b32_e64 v29, 0, v29, s9
	s_delay_alu instid0(VALU_DEP_1) | instskip(NEXT) | instid1(VALU_DEP_1)
	v_add_nc_u32_e32 v29, v29, v87
	v_cndmask_b32_e64 v29, 0, v29, s8
	s_delay_alu instid0(VALU_DEP_1) | instskip(NEXT) | instid1(VALU_DEP_1)
	v_add_nc_u32_e32 v29, v29, v86
	;; [unrolled: 3-line block ×10, first 2 shown]
	v_cndmask_b32_e32 v29, 0, v29, vcc_lo
	v_cmp_eq_u32_e32 vcc_lo, 0, v30
	s_delay_alu instid0(VALU_DEP_2) | instskip(NEXT) | instid1(VALU_DEP_1)
	v_add_nc_u32_e32 v29, v29, v94
	v_mov_b32_dpp v31, v29 row_shr:1 row_mask:0xf bank_mask:0xf
	s_delay_alu instid0(VALU_DEP_1) | instskip(SKIP_2) | instid1(VALU_DEP_1)
	v_cndmask_b32_e32 v31, 0, v31, vcc_lo
	v_cmp_eq_u32_e32 vcc_lo, 0, v32
	v_cndmask_b32_e64 v33, v33, 0, vcc_lo
	v_add_nc_u32_e32 v30, v33, v30
	s_delay_alu instid0(VALU_DEP_4) | instskip(NEXT) | instid1(VALU_DEP_2)
	v_cndmask_b32_e64 v31, v31, 0, vcc_lo
	v_cmp_eq_u32_e32 vcc_lo, 0, v30
	s_delay_alu instid0(VALU_DEP_2) | instskip(SKIP_2) | instid1(VALU_DEP_2)
	v_add_nc_u32_e32 v29, v31, v29
	v_mov_b32_dpp v31, v30 row_shr:2 row_mask:0xf bank_mask:0xf
	s_and_b32 vcc_lo, s13, vcc_lo
	v_mov_b32_dpp v33, v29 row_shr:2 row_mask:0xf bank_mask:0xf
	s_delay_alu instid0(VALU_DEP_2) | instskip(SKIP_1) | instid1(VALU_DEP_2)
	v_cndmask_b32_e64 v31, 0, v31, s13
	v_cmp_lt_u32_e64 s13, 3, v32
	v_dual_cndmask_b32 v33, 0, v33 :: v_dual_add_nc_u32 v30, v30, v31
	s_delay_alu instid0(VALU_DEP_1) | instskip(NEXT) | instid1(VALU_DEP_2)
	v_add_nc_u32_e32 v29, v33, v29
	v_mov_b32_dpp v31, v30 row_shr:4 row_mask:0xf bank_mask:0xf
	v_cmp_eq_u32_e32 vcc_lo, 0, v30
	s_delay_alu instid0(VALU_DEP_3) | instskip(NEXT) | instid1(VALU_DEP_3)
	v_mov_b32_dpp v33, v29 row_shr:4 row_mask:0xf bank_mask:0xf
	v_cndmask_b32_e64 v31, 0, v31, s13
	s_and_b32 vcc_lo, s13, vcc_lo
	v_cmp_lt_u32_e64 s13, 7, v32
	s_delay_alu instid0(VALU_DEP_2) | instskip(NEXT) | instid1(VALU_DEP_1)
	v_dual_cndmask_b32 v33, 0, v33 :: v_dual_add_nc_u32 v30, v31, v30
	v_add_nc_u32_e32 v29, v29, v33
	s_delay_alu instid0(VALU_DEP_2) | instskip(SKIP_2) | instid1(VALU_DEP_4)
	v_cmp_eq_u32_e32 vcc_lo, 0, v30
	v_mov_b32_dpp v31, v30 row_shr:8 row_mask:0xf bank_mask:0xf
	v_bfe_i32 v33, v96, 4, 1
	v_mov_b32_dpp v32, v29 row_shr:8 row_mask:0xf bank_mask:0xf
	s_and_b32 vcc_lo, s13, vcc_lo
	s_delay_alu instid0(VALU_DEP_3) | instskip(SKIP_1) | instid1(VALU_DEP_2)
	v_cndmask_b32_e64 v31, 0, v31, s13
	s_mov_b32 s13, exec_lo
	v_cndmask_b32_e32 v32, 0, v32, vcc_lo
	s_delay_alu instid0(VALU_DEP_1) | instskip(NEXT) | instid1(VALU_DEP_3)
	v_add_nc_u32_e32 v32, v32, v29
	v_add_nc_u32_e32 v29, v31, v30
	ds_swizzle_b32 v30, v32 offset:swizzle(BROADCAST,32,15)
	ds_swizzle_b32 v31, v29 offset:swizzle(BROADCAST,32,15)
	v_cmp_eq_u32_e32 vcc_lo, 0, v29
	s_waitcnt lgkmcnt(0)
	v_dual_cndmask_b32 v30, 0, v30 :: v_dual_and_b32 v31, v33, v31
	s_delay_alu instid0(VALU_DEP_1) | instskip(NEXT) | instid1(VALU_DEP_2)
	v_and_b32_e32 v30, v33, v30
	v_add_nc_u32_e32 v29, v31, v29
	v_lshlrev_b32_e32 v31, 3, v97
	s_delay_alu instid0(VALU_DEP_3)
	v_add_nc_u32_e32 v30, v30, v32
	v_cmpx_eq_u32_e64 v98, v0
	s_cbranch_execz .LBB794_76
; %bb.75:
	ds_store_b64 v31, v[29:30] offset:4112
.LBB794_76:
	s_or_b32 exec_lo, exec_lo, s13
	s_delay_alu instid0(SALU_CYCLE_1)
	s_mov_b32 s14, exec_lo
	s_waitcnt lgkmcnt(0)
	s_barrier
	buffer_gl0_inv
	v_cmpx_gt_u32_e32 8, v0
	s_cbranch_execz .LBB794_78
; %bb.77:
	v_lshlrev_b32_e32 v34, 3, v0
	v_and_b32_e32 v36, 7, v96
	ds_load_b64 v[32:33], v34 offset:4112
	v_cmp_lt_u32_e64 s13, 1, v36
	s_waitcnt lgkmcnt(0)
	v_mov_b32_dpp v35, v33 row_shr:1 row_mask:0xf bank_mask:0xf
	v_cmp_eq_u32_e32 vcc_lo, 0, v32
	v_mov_b32_dpp v39, v32 row_shr:1 row_mask:0xf bank_mask:0xf
	s_delay_alu instid0(VALU_DEP_3) | instskip(SKIP_1) | instid1(VALU_DEP_3)
	v_cndmask_b32_e32 v35, 0, v35, vcc_lo
	v_cmp_eq_u32_e32 vcc_lo, 0, v36
	v_cndmask_b32_e64 v39, v39, 0, vcc_lo
	s_delay_alu instid0(VALU_DEP_3) | instskip(NEXT) | instid1(VALU_DEP_2)
	v_cndmask_b32_e64 v35, v35, 0, vcc_lo
	v_add_nc_u32_e32 v32, v39, v32
	s_delay_alu instid0(VALU_DEP_2) | instskip(NEXT) | instid1(VALU_DEP_2)
	v_add_nc_u32_e32 v33, v35, v33
	v_mov_b32_dpp v35, v32 row_shr:2 row_mask:0xf bank_mask:0xf
	v_cmp_eq_u32_e32 vcc_lo, 0, v32
	s_delay_alu instid0(VALU_DEP_3) | instskip(NEXT) | instid1(VALU_DEP_3)
	v_mov_b32_dpp v39, v33 row_shr:2 row_mask:0xf bank_mask:0xf
	v_cndmask_b32_e64 v35, 0, v35, s13
	s_and_b32 vcc_lo, s13, vcc_lo
	s_delay_alu instid0(VALU_DEP_2) | instskip(SKIP_1) | instid1(VALU_DEP_3)
	v_cndmask_b32_e32 v39, 0, v39, vcc_lo
	v_cmp_lt_u32_e64 s13, 3, v36
	v_add_nc_u32_e32 v32, v35, v32
	s_delay_alu instid0(VALU_DEP_3) | instskip(NEXT) | instid1(VALU_DEP_2)
	v_add_nc_u32_e32 v33, v39, v33
	v_cmp_eq_u32_e32 vcc_lo, 0, v32
	v_mov_b32_dpp v35, v32 row_shr:4 row_mask:0xf bank_mask:0xf
	s_delay_alu instid0(VALU_DEP_3) | instskip(SKIP_1) | instid1(VALU_DEP_2)
	v_mov_b32_dpp v36, v33 row_shr:4 row_mask:0xf bank_mask:0xf
	s_and_b32 vcc_lo, s13, vcc_lo
	v_cndmask_b32_e64 v35, 0, v35, s13
	s_delay_alu instid0(VALU_DEP_2) | instskip(NEXT) | instid1(VALU_DEP_2)
	v_cndmask_b32_e32 v36, 0, v36, vcc_lo
	v_add_nc_u32_e32 v32, v35, v32
	s_delay_alu instid0(VALU_DEP_2)
	v_add_nc_u32_e32 v33, v36, v33
	ds_store_b64 v34, v[32:33] offset:4112
.LBB794_78:
	s_or_b32 exec_lo, exec_lo, s14
	v_cmp_gt_u32_e32 vcc_lo, 32, v0
	v_dual_mov_b32 v39, 0 :: v_dual_mov_b32 v40, 0
	s_mov_b32 s14, exec_lo
	s_waitcnt lgkmcnt(0)
	s_barrier
	buffer_gl0_inv
	v_cmpx_lt_u32_e32 31, v0
	s_cbranch_execz .LBB794_80
; %bb.79:
	ds_load_b64 v[39:40], v31 offset:4104
	v_cmp_eq_u32_e64 s13, 0, v29
	s_waitcnt lgkmcnt(0)
	s_delay_alu instid0(VALU_DEP_1) | instskip(SKIP_1) | instid1(VALU_DEP_2)
	v_cndmask_b32_e64 v31, 0, v40, s13
	v_add_nc_u32_e32 v29, v39, v29
	v_add_nc_u32_e32 v30, v31, v30
.LBB794_80:
	s_or_b32 exec_lo, exec_lo, s14
	v_add_nc_u32_e32 v31, -1, v96
	s_delay_alu instid0(VALU_DEP_1) | instskip(NEXT) | instid1(VALU_DEP_1)
	v_cmp_gt_i32_e64 s13, 0, v31
	v_cndmask_b32_e64 v31, v31, v96, s13
	v_cmp_eq_u32_e64 s13, 0, v96
	s_delay_alu instid0(VALU_DEP_2)
	v_lshlrev_b32_e32 v31, 2, v31
	ds_bpermute_b32 v45, v31, v29
	ds_bpermute_b32 v46, v31, v30
	s_and_saveexec_b32 s17, vcc_lo
	s_cbranch_execz .LBB794_103
; %bb.81:
	v_mov_b32_e32 v32, 0
	ds_load_b64 v[29:30], v32 offset:4168
	s_waitcnt lgkmcnt(0)
	v_readfirstlane_b32 s18, v30
	s_and_saveexec_b32 s14, s13
	s_cbranch_execz .LBB794_83
; %bb.82:
	s_add_i32 s20, s15, 32
	s_mov_b32 s21, 0
	v_mov_b32_e32 v31, 1
	s_lshl_b64 s[24:25], s[20:21], 4
	s_mov_b32 s38, s21
	s_add_u32 s24, s36, s24
	s_addc_u32 s25, s37, s25
	s_and_b32 s39, s18, 0xff000000
	s_and_b32 s43, s18, 0xff0000
	s_mov_b32 s42, s21
	v_dual_mov_b32 v34, s25 :: v_dual_mov_b32 v33, s24
	s_or_b64 s[38:39], s[42:43], s[38:39]
	s_and_b32 s43, s18, 0xff00
	s_delay_alu instid0(SALU_CYCLE_1) | instskip(SKIP_1) | instid1(SALU_CYCLE_1)
	s_or_b64 s[38:39], s[38:39], s[42:43]
	s_and_b32 s43, s18, 0xff
	s_or_b64 s[20:21], s[38:39], s[42:43]
	s_delay_alu instid0(SALU_CYCLE_1)
	v_mov_b32_e32 v30, s21
	;;#ASMSTART
	global_store_dwordx4 v[33:34], v[29:32] off	
s_waitcnt vmcnt(0)
	;;#ASMEND
.LBB794_83:
	s_or_b32 exec_lo, exec_lo, s14
	v_xad_u32 v41, v96, -1, s15
	s_mov_b32 s19, 0
	s_mov_b32 s14, exec_lo
	s_delay_alu instid0(VALU_DEP_1) | instskip(NEXT) | instid1(VALU_DEP_1)
	v_add_nc_u32_e32 v31, 32, v41
	v_lshlrev_b64 v[30:31], 4, v[31:32]
	s_delay_alu instid0(VALU_DEP_1) | instskip(NEXT) | instid1(VALU_DEP_2)
	v_add_co_u32 v30, vcc_lo, s36, v30
	v_add_co_ci_u32_e32 v31, vcc_lo, s37, v31, vcc_lo
	;;#ASMSTART
	global_load_dwordx4 v[33:36], v[30:31] off glc	
s_waitcnt vmcnt(0)
	;;#ASMEND
	v_and_b32_e32 v32, 0xff, v34
	v_and_b32_e32 v36, 0xff00, v34
	;; [unrolled: 1-line block ×3, first 2 shown]
	v_or3_b32 v33, v33, 0, 0
	v_and_b32_e32 v34, 0xff000000, v34
	s_delay_alu instid0(VALU_DEP_4) | instskip(SKIP_1) | instid1(VALU_DEP_4)
	v_or3_b32 v32, 0, v32, v36
	v_and_b32_e32 v36, 0xff, v35
	v_or3_b32 v33, v33, 0, 0
	s_delay_alu instid0(VALU_DEP_3) | instskip(NEXT) | instid1(VALU_DEP_3)
	v_or3_b32 v34, v32, v42, v34
	v_cmpx_eq_u16_e32 0, v36
	s_cbranch_execz .LBB794_89
; %bb.84:
	s_mov_b32 s20, 1
	.p2align	6
.LBB794_85:                             ; =>This Loop Header: Depth=1
                                        ;     Child Loop BB794_86 Depth 2
	s_delay_alu instid0(SALU_CYCLE_1)
	s_max_u32 s21, s20, 1
.LBB794_86:                             ;   Parent Loop BB794_85 Depth=1
                                        ; =>  This Inner Loop Header: Depth=2
	s_delay_alu instid0(SALU_CYCLE_1)
	s_add_i32 s21, s21, -1
	s_sleep 1
	s_cmp_eq_u32 s21, 0
	s_cbranch_scc0 .LBB794_86
; %bb.87:                               ;   in Loop: Header=BB794_85 Depth=1
	;;#ASMSTART
	global_load_dwordx4 v[33:36], v[30:31] off glc	
s_waitcnt vmcnt(0)
	;;#ASMEND
	v_and_b32_e32 v32, 0xff, v35
	s_cmp_lt_u32 s20, 32
	s_cselect_b32 s21, -1, 0
	s_delay_alu instid0(VALU_DEP_1) | instskip(SKIP_3) | instid1(SALU_CYCLE_1)
	v_cmp_ne_u16_e32 vcc_lo, 0, v32
	s_cmp_lg_u32 s21, 0
	s_addc_u32 s20, s20, 0
	s_or_b32 s19, vcc_lo, s19
	s_and_not1_b32 exec_lo, exec_lo, s19
	s_cbranch_execnz .LBB794_85
; %bb.88:
	s_or_b32 exec_lo, exec_lo, s19
.LBB794_89:
	s_delay_alu instid0(SALU_CYCLE_1)
	s_or_b32 exec_lo, exec_lo, s14
	v_cmp_ne_u32_e32 vcc_lo, 31, v96
	v_and_b32_e32 v31, 0xff, v35
	v_lshlrev_b32_e64 v47, v96, -1
	v_add_nc_u32_e32 v49, 2, v96
	v_add_nc_u32_e32 v51, 4, v96
	v_add_co_ci_u32_e32 v30, vcc_lo, 0, v96, vcc_lo
	v_cmp_eq_u16_e32 vcc_lo, 2, v31
	v_add_nc_u32_e32 v53, 8, v96
	v_add_nc_u32_e32 v55, 16, v96
	v_and_or_b32 v36, vcc_lo, v47, 0x80000000
	v_cmp_gt_u32_e32 vcc_lo, 30, v96
	s_delay_alu instid0(VALU_DEP_2) | instskip(SKIP_2) | instid1(VALU_DEP_3)
	v_ctz_i32_b32_e32 v36, v36
	v_cndmask_b32_e64 v42, 0, 1, vcc_lo
	v_cmp_eq_u32_e32 vcc_lo, 0, v33
	v_cmp_lt_u32_e64 s14, v96, v36
	s_delay_alu instid0(VALU_DEP_3) | instskip(NEXT) | instid1(VALU_DEP_2)
	v_lshlrev_b32_e32 v42, 1, v42
	s_and_b32 vcc_lo, s14, vcc_lo
	v_lshlrev_b32_e32 v30, 2, v30
	s_delay_alu instid0(VALU_DEP_2)
	v_add_lshl_u32 v48, v42, v96, 2
	ds_bpermute_b32 v31, v30, v34
	s_waitcnt lgkmcnt(0)
	v_cndmask_b32_e32 v31, 0, v31, vcc_lo
	ds_bpermute_b32 v32, v30, v33
	v_cmp_gt_u32_e32 vcc_lo, 28, v96
	v_add_nc_u32_e32 v31, v31, v34
	ds_bpermute_b32 v34, v48, v31
	s_waitcnt lgkmcnt(1)
	v_cndmask_b32_e64 v32, 0, v32, s14
	s_delay_alu instid0(VALU_DEP_1) | instskip(SKIP_1) | instid1(VALU_DEP_2)
	v_add_nc_u32_e32 v32, v32, v33
	v_cndmask_b32_e64 v33, 0, 1, vcc_lo
	v_cmp_eq_u32_e32 vcc_lo, 0, v32
	ds_bpermute_b32 v42, v48, v32
	s_waitcnt lgkmcnt(1)
	v_dual_cndmask_b32 v34, 0, v34 :: v_dual_lshlrev_b32 v33, 2, v33
	v_cmp_gt_u32_e32 vcc_lo, v49, v36
	s_delay_alu instid0(VALU_DEP_2) | instskip(NEXT) | instid1(VALU_DEP_3)
	v_add_lshl_u32 v50, v33, v96, 2
	v_cndmask_b32_e64 v34, v34, 0, vcc_lo
	s_delay_alu instid0(VALU_DEP_1) | instskip(SKIP_4) | instid1(VALU_DEP_2)
	v_add_nc_u32_e32 v31, v34, v31
	ds_bpermute_b32 v33, v50, v31
	s_waitcnt lgkmcnt(1)
	v_cndmask_b32_e64 v34, v42, 0, vcc_lo
	v_cmp_gt_u32_e32 vcc_lo, 24, v96
	v_add_nc_u32_e32 v32, v32, v34
	v_cndmask_b32_e64 v42, 0, 1, vcc_lo
	ds_bpermute_b32 v34, v50, v32
	v_cmp_eq_u32_e32 vcc_lo, 0, v32
	v_lshlrev_b32_e32 v42, 3, v42
	s_delay_alu instid0(VALU_DEP_1) | instskip(SKIP_3) | instid1(VALU_DEP_2)
	v_add_lshl_u32 v52, v42, v96, 2
	s_waitcnt lgkmcnt(1)
	v_cndmask_b32_e32 v33, 0, v33, vcc_lo
	v_cmp_gt_u32_e32 vcc_lo, v51, v36
	v_cndmask_b32_e64 v33, v33, 0, vcc_lo
	s_delay_alu instid0(VALU_DEP_1)
	v_add_nc_u32_e32 v31, v31, v33
	s_waitcnt lgkmcnt(0)
	v_cndmask_b32_e64 v34, v34, 0, vcc_lo
	v_cmp_gt_u32_e32 vcc_lo, 16, v96
	ds_bpermute_b32 v33, v52, v31
	v_add_nc_u32_e32 v32, v32, v34
	v_cndmask_b32_e64 v42, 0, 1, vcc_lo
	ds_bpermute_b32 v34, v52, v32
	v_cmp_eq_u32_e32 vcc_lo, 0, v32
	v_lshlrev_b32_e32 v42, 4, v42
	s_delay_alu instid0(VALU_DEP_1) | instskip(SKIP_3) | instid1(VALU_DEP_2)
	v_add_lshl_u32 v54, v42, v96, 2
	s_waitcnt lgkmcnt(1)
	v_dual_mov_b32 v42, 0 :: v_dual_cndmask_b32 v33, 0, v33
	v_cmp_gt_u32_e32 vcc_lo, v53, v36
	v_cndmask_b32_e64 v33, v33, 0, vcc_lo
	s_delay_alu instid0(VALU_DEP_1)
	v_add_nc_u32_e32 v31, v31, v33
	s_waitcnt lgkmcnt(0)
	v_cndmask_b32_e64 v33, v34, 0, vcc_lo
	ds_bpermute_b32 v34, v54, v31
	v_add_nc_u32_e32 v32, v32, v33
	ds_bpermute_b32 v33, v54, v32
	v_cmp_eq_u32_e32 vcc_lo, 0, v32
	s_waitcnt lgkmcnt(1)
	v_cndmask_b32_e32 v34, 0, v34, vcc_lo
	v_cmp_gt_u32_e32 vcc_lo, v55, v36
	s_delay_alu instid0(VALU_DEP_2) | instskip(SKIP_2) | instid1(VALU_DEP_2)
	v_cndmask_b32_e64 v34, v34, 0, vcc_lo
	s_waitcnt lgkmcnt(0)
	v_cndmask_b32_e64 v33, v33, 0, vcc_lo
	v_add_nc_u32_e32 v34, v34, v31
	s_delay_alu instid0(VALU_DEP_2)
	v_add_nc_u32_e32 v33, v33, v32
	s_branch .LBB794_91
.LBB794_90:                             ;   in Loop: Header=BB794_91 Depth=1
	s_or_b32 exec_lo, exec_lo, s14
	v_and_b32_e32 v36, 0xff, v35
	ds_bpermute_b32 v43, v30, v33
	v_subrev_nc_u32_e32 v41, 32, v41
	v_cmp_eq_u16_e32 vcc_lo, 2, v36
	ds_bpermute_b32 v36, v30, v34
	v_and_or_b32 v44, vcc_lo, v47, 0x80000000
	v_cmp_eq_u32_e32 vcc_lo, 0, v33
	s_delay_alu instid0(VALU_DEP_2) | instskip(NEXT) | instid1(VALU_DEP_1)
	v_ctz_i32_b32_e32 v44, v44
	v_cmp_lt_u32_e64 s14, v96, v44
	s_delay_alu instid0(VALU_DEP_1) | instskip(SKIP_4) | instid1(VALU_DEP_2)
	s_and_b32 vcc_lo, s14, vcc_lo
	s_waitcnt lgkmcnt(1)
	v_cndmask_b32_e64 v43, 0, v43, s14
	s_waitcnt lgkmcnt(0)
	v_cndmask_b32_e32 v36, 0, v36, vcc_lo
	v_add_nc_u32_e32 v33, v43, v33
	s_delay_alu instid0(VALU_DEP_2)
	v_add_nc_u32_e32 v34, v36, v34
	ds_bpermute_b32 v43, v48, v33
	ds_bpermute_b32 v36, v48, v34
	v_cmp_eq_u32_e32 vcc_lo, 0, v33
	s_waitcnt lgkmcnt(0)
	v_cndmask_b32_e32 v36, 0, v36, vcc_lo
	v_cmp_gt_u32_e32 vcc_lo, v49, v44
	v_cndmask_b32_e64 v43, v43, 0, vcc_lo
	s_delay_alu instid0(VALU_DEP_1) | instskip(NEXT) | instid1(VALU_DEP_4)
	v_add_nc_u32_e32 v33, v33, v43
	v_cndmask_b32_e64 v36, v36, 0, vcc_lo
	ds_bpermute_b32 v43, v50, v33
	v_add_nc_u32_e32 v34, v36, v34
	v_cmp_eq_u32_e32 vcc_lo, 0, v33
	ds_bpermute_b32 v36, v50, v34
	s_waitcnt lgkmcnt(0)
	v_cndmask_b32_e32 v36, 0, v36, vcc_lo
	v_cmp_gt_u32_e32 vcc_lo, v51, v44
	v_cndmask_b32_e64 v43, v43, 0, vcc_lo
	s_delay_alu instid0(VALU_DEP_1) | instskip(NEXT) | instid1(VALU_DEP_4)
	v_add_nc_u32_e32 v33, v33, v43
	v_cndmask_b32_e64 v36, v36, 0, vcc_lo
	ds_bpermute_b32 v43, v52, v33
	v_add_nc_u32_e32 v34, v34, v36
	v_cmp_eq_u32_e32 vcc_lo, 0, v33
	ds_bpermute_b32 v36, v52, v34
	s_waitcnt lgkmcnt(0)
	v_cndmask_b32_e32 v36, 0, v36, vcc_lo
	v_cmp_gt_u32_e32 vcc_lo, v53, v44
	v_cndmask_b32_e64 v43, v43, 0, vcc_lo
	s_delay_alu instid0(VALU_DEP_1) | instskip(NEXT) | instid1(VALU_DEP_4)
	v_add_nc_u32_e32 v33, v33, v43
	v_cndmask_b32_e64 v36, v36, 0, vcc_lo
	ds_bpermute_b32 v43, v54, v33
	v_add_nc_u32_e32 v34, v34, v36
	v_cmp_eq_u32_e32 vcc_lo, 0, v33
	ds_bpermute_b32 v36, v54, v34
	s_waitcnt lgkmcnt(0)
	v_cndmask_b32_e32 v36, 0, v36, vcc_lo
	v_cmp_gt_u32_e32 vcc_lo, v55, v44
	s_delay_alu instid0(VALU_DEP_2) | instskip(NEXT) | instid1(VALU_DEP_1)
	v_cndmask_b32_e64 v36, v36, 0, vcc_lo
	v_add_nc_u32_e32 v34, v36, v34
	v_cndmask_b32_e64 v36, v43, 0, vcc_lo
	v_cmp_eq_u32_e32 vcc_lo, 0, v31
	s_delay_alu instid0(VALU_DEP_2) | instskip(NEXT) | instid1(VALU_DEP_4)
	v_add3_u32 v33, v33, v31, v36
	v_cndmask_b32_e32 v34, 0, v34, vcc_lo
	s_delay_alu instid0(VALU_DEP_1)
	v_add_nc_u32_e32 v34, v34, v32
.LBB794_91:                             ; =>This Loop Header: Depth=1
                                        ;     Child Loop BB794_94 Depth 2
                                        ;       Child Loop BB794_95 Depth 3
	s_delay_alu instid0(VALU_DEP_1) | instskip(NEXT) | instid1(VALU_DEP_1)
	v_dual_mov_b32 v32, v34 :: v_dual_and_b32 v31, 0xff, v35
	v_cmp_ne_u16_e32 vcc_lo, 2, v31
	v_cndmask_b32_e64 v31, 0, 1, vcc_lo
	;;#ASMSTART
	;;#ASMEND
	s_delay_alu instid0(VALU_DEP_1)
	v_cmp_ne_u32_e32 vcc_lo, 0, v31
	v_mov_b32_e32 v31, v33
	s_cmp_lg_u32 vcc_lo, exec_lo
	s_cbranch_scc1 .LBB794_98
; %bb.92:                               ;   in Loop: Header=BB794_91 Depth=1
	v_lshlrev_b64 v[33:34], 4, v[41:42]
	s_mov_b32 s14, exec_lo
	s_delay_alu instid0(VALU_DEP_1) | instskip(NEXT) | instid1(VALU_DEP_2)
	v_add_co_u32 v43, vcc_lo, s36, v33
	v_add_co_ci_u32_e32 v44, vcc_lo, s37, v34, vcc_lo
	;;#ASMSTART
	global_load_dwordx4 v[33:36], v[43:44] off glc	
s_waitcnt vmcnt(0)
	;;#ASMEND
	v_and_b32_e32 v36, 0xff, v34
	v_and_b32_e32 v56, 0xff00, v34
	;; [unrolled: 1-line block ×3, first 2 shown]
	v_or3_b32 v33, v33, 0, 0
	v_and_b32_e32 v34, 0xff000000, v34
	s_delay_alu instid0(VALU_DEP_4) | instskip(SKIP_1) | instid1(VALU_DEP_4)
	v_or3_b32 v36, 0, v36, v56
	v_and_b32_e32 v56, 0xff, v35
	v_or3_b32 v33, v33, 0, 0
	s_delay_alu instid0(VALU_DEP_3) | instskip(NEXT) | instid1(VALU_DEP_3)
	v_or3_b32 v34, v36, v57, v34
	v_cmpx_eq_u16_e32 0, v56
	s_cbranch_execz .LBB794_90
; %bb.93:                               ;   in Loop: Header=BB794_91 Depth=1
	s_mov_b32 s20, 1
	s_mov_b32 s19, 0
	.p2align	6
.LBB794_94:                             ;   Parent Loop BB794_91 Depth=1
                                        ; =>  This Loop Header: Depth=2
                                        ;       Child Loop BB794_95 Depth 3
	s_max_u32 s21, s20, 1
.LBB794_95:                             ;   Parent Loop BB794_91 Depth=1
                                        ;     Parent Loop BB794_94 Depth=2
                                        ; =>    This Inner Loop Header: Depth=3
	s_delay_alu instid0(SALU_CYCLE_1)
	s_add_i32 s21, s21, -1
	s_sleep 1
	s_cmp_eq_u32 s21, 0
	s_cbranch_scc0 .LBB794_95
; %bb.96:                               ;   in Loop: Header=BB794_94 Depth=2
	;;#ASMSTART
	global_load_dwordx4 v[33:36], v[43:44] off glc	
s_waitcnt vmcnt(0)
	;;#ASMEND
	v_and_b32_e32 v36, 0xff, v35
	s_cmp_lt_u32 s20, 32
	s_cselect_b32 s21, -1, 0
	s_delay_alu instid0(SALU_CYCLE_1) | instskip(NEXT) | instid1(VALU_DEP_1)
	s_cmp_lg_u32 s21, 0
	v_cmp_ne_u16_e32 vcc_lo, 0, v36
	s_addc_u32 s20, s20, 0
	s_or_b32 s19, vcc_lo, s19
	s_delay_alu instid0(SALU_CYCLE_1)
	s_and_not1_b32 exec_lo, exec_lo, s19
	s_cbranch_execnz .LBB794_94
; %bb.97:                               ;   in Loop: Header=BB794_91 Depth=1
	s_or_b32 exec_lo, exec_lo, s19
	s_branch .LBB794_90
.LBB794_98:                             ;   in Loop: Header=BB794_91 Depth=1
                                        ; implicit-def: $vgpr34
                                        ; implicit-def: $vgpr33
                                        ; implicit-def: $vgpr35
	s_cbranch_execz .LBB794_91
; %bb.99:
	s_and_saveexec_b32 s14, s13
	s_cbranch_execz .LBB794_101
; %bb.100:
	v_cmp_eq_u32_e32 vcc_lo, 0, v29
	s_mov_b32 s21, 0
	s_add_i32 s20, s15, 32
	v_add_nc_u32_e32 v33, v31, v29
	s_lshl_b64 s[20:21], s[20:21], 4
	v_cndmask_b32_e32 v30, 0, v32, vcc_lo
	s_add_u32 s20, s36, s20
	s_addc_u32 s21, s37, s21
	v_mov_b32_e32 v36, 0
	s_delay_alu instid0(VALU_DEP_2) | instskip(NEXT) | instid1(VALU_DEP_1)
	v_add_nc_u32_e32 v30, s18, v30
	v_and_b32_e32 v34, 0xff000000, v30
	v_and_b32_e32 v35, 0xff0000, v30
	s_delay_alu instid0(VALU_DEP_1) | instskip(SKIP_3) | instid1(VALU_DEP_1)
	v_or_b32_e32 v34, v35, v34
	v_mov_b32_e32 v35, 2
	v_and_b32_e32 v41, 0xff00, v30
	v_and_b32_e32 v30, 0xff, v30
	v_or3_b32 v34, v34, v41, v30
	v_mov_b32_e32 v30, s18
	v_dual_mov_b32 v42, s21 :: v_dual_mov_b32 v41, s20
	;;#ASMSTART
	global_store_dwordx4 v[41:42], v[33:36] off	
s_waitcnt vmcnt(0)
	;;#ASMEND
	ds_store_b128 v36, v[29:32] offset:4096
.LBB794_101:
	s_or_b32 exec_lo, exec_lo, s14
	v_cmp_eq_u32_e32 vcc_lo, 0, v0
	s_and_b32 exec_lo, exec_lo, vcc_lo
	s_cbranch_execz .LBB794_103
; %bb.102:
	v_mov_b32_e32 v29, 0
	ds_store_b64 v29, v[31:32] offset:4168
.LBB794_103:
	s_or_b32 exec_lo, exec_lo, s17
	s_waitcnt lgkmcnt(1)
	v_cndmask_b32_e64 v32, v45, v39, s13
	s_waitcnt lgkmcnt(0)
	s_barrier
	buffer_gl0_inv
	v_cndmask_b32_e64 v33, v46, v40, s13
	v_cmp_eq_u32_e32 vcc_lo, 0, v32
	v_mov_b32_e32 v31, 0
	v_cmp_eq_u32_e64 s13, 0, v93
	ds_load_b64 v[29:30], v31 offset:4168
	s_waitcnt lgkmcnt(0)
	s_barrier
	buffer_gl0_inv
	v_cndmask_b32_e32 v34, 0, v30, vcc_lo
	v_cmp_eq_u32_e32 vcc_lo, 0, v0
	s_delay_alu instid0(VALU_DEP_2) | instskip(NEXT) | instid1(VALU_DEP_1)
	v_add_nc_u32_e32 v33, v34, v33
	v_cndmask_b32_e32 v56, v33, v30, vcc_lo
	s_delay_alu instid0(VALU_DEP_1) | instskip(NEXT) | instid1(VALU_DEP_1)
	v_cndmask_b32_e64 v30, 0, v56, s13
	v_add_nc_u32_e32 v62, v30, v92
	s_delay_alu instid0(VALU_DEP_1) | instskip(NEXT) | instid1(VALU_DEP_1)
	v_cndmask_b32_e64 v30, 0, v62, s12
	v_add_nc_u32_e32 v58, v30, v91
	;; [unrolled: 3-line block ×6, first 2 shown]
	v_cndmask_b32_e64 v30, v32, 0, vcc_lo
	s_delay_alu instid0(VALU_DEP_2) | instskip(NEXT) | instid1(VALU_DEP_2)
	v_cndmask_b32_e64 v32, 0, v42, s7
	v_add_nc_u32_e32 v55, v29, v30
	s_delay_alu instid0(VALU_DEP_2) | instskip(NEXT) | instid1(VALU_DEP_2)
	v_add_nc_u32_e32 v46, v32, v84
	v_add_nc_u32_e32 v61, v55, v93
	s_delay_alu instid0(VALU_DEP_2) | instskip(NEXT) | instid1(VALU_DEP_2)
	v_cndmask_b32_e64 v29, 0, v46, s6
	v_add_nc_u32_e32 v57, v61, v80
	s_delay_alu instid0(VALU_DEP_2) | instskip(NEXT) | instid1(VALU_DEP_2)
	v_add_nc_u32_e32 v50, v29, v82
	v_add_nc_u32_e32 v53, v57, v79
	;; [unrolled: 6-line block ×4, first 2 shown]
	s_delay_alu instid0(VALU_DEP_2) | instskip(NEXT) | instid1(VALU_DEP_2)
	v_cndmask_b32_e64 v29, 0, v36, s3
	v_add_nc_u32_e32 v49, v45, v74
	s_delay_alu instid0(VALU_DEP_2) | instskip(SKIP_3) | instid1(VALU_DEP_2)
	v_add_nc_u32_e32 v40, v29, v83
	ds_load_b128 v[29:32], v31 offset:4096
	v_add_nc_u32_e32 v33, v49, v72
	v_cndmask_b32_e64 v39, 0, v40, s2
	v_add_nc_u32_e32 v35, v33, v71
	s_delay_alu instid0(VALU_DEP_2) | instskip(NEXT) | instid1(VALU_DEP_2)
	v_add_nc_u32_e32 v64, v39, v81
	v_add_nc_u32_e32 v39, v35, v70
	s_delay_alu instid0(VALU_DEP_2) | instskip(NEXT) | instid1(VALU_DEP_2)
	v_cndmask_b32_e64 v51, 0, v64, s1
	v_add_nc_u32_e32 v63, v39, v69
	s_delay_alu instid0(VALU_DEP_2) | instskip(SKIP_2) | instid1(VALU_DEP_3)
	v_add_nc_u32_e32 v60, v51, v66
	s_waitcnt lgkmcnt(0)
	v_cmp_eq_u32_e32 vcc_lo, 0, v29
	v_add_nc_u32_e32 v59, v63, v68
	s_delay_alu instid0(VALU_DEP_3) | instskip(NEXT) | instid1(VALU_DEP_2)
	v_cndmask_b32_e64 v52, 0, v60, s0
	v_dual_cndmask_b32 v32, 0, v32 :: v_dual_add_nc_u32 v51, v59, v67
	s_delay_alu instid0(VALU_DEP_2) | instskip(NEXT) | instid1(VALU_DEP_2)
	v_add_nc_u32_e32 v52, v52, v65
	v_add_nc_u32_e32 v95, v32, v30
	s_branch .LBB794_116
.LBB794_104:
                                        ; implicit-def: $vgpr29
                                        ; implicit-def: $vgpr95
                                        ; implicit-def: $vgpr55_vgpr56
                                        ; implicit-def: $vgpr61_vgpr62
                                        ; implicit-def: $vgpr57_vgpr58
                                        ; implicit-def: $vgpr53_vgpr54
                                        ; implicit-def: $vgpr47_vgpr48
                                        ; implicit-def: $vgpr43_vgpr44
                                        ; implicit-def: $vgpr41_vgpr42
                                        ; implicit-def: $vgpr45_vgpr46
                                        ; implicit-def: $vgpr49_vgpr50
                                        ; implicit-def: $vgpr33_vgpr34
                                        ; implicit-def: $vgpr35_vgpr36
                                        ; implicit-def: $vgpr39_vgpr40
                                        ; implicit-def: $vgpr63_vgpr64
                                        ; implicit-def: $vgpr59_vgpr60
                                        ; implicit-def: $vgpr51_vgpr52
	s_cbranch_execz .LBB794_116
; %bb.105:
	s_and_b32 s0, s16, exec_lo
	v_mov_b32_e32 v51, v92
	s_cselect_b32 s1, 0, s35
	s_cselect_b32 s0, 0, s34
	s_delay_alu instid0(SALU_CYCLE_1)
	s_cmp_eq_u64 s[0:1], 0
	s_cbranch_scc1 .LBB794_107
; %bb.106:
	v_mov_b32_e32 v29, 0
	global_load_b32 v51, v29, s[0:1]
.LBB794_107:
	v_cmp_eq_u32_e64 s6, 0, v80
	v_cmp_eq_u32_e64 s7, 0, v79
	;; [unrolled: 1-line block ×5, first 2 shown]
	v_cndmask_b32_e64 v29, 0, v92, s6
	v_cmp_eq_u32_e64 s11, 0, v75
	v_cmp_eq_u32_e64 s5, 0, v74
	v_cmp_eq_u32_e64 s4, 0, v72
	v_cmp_eq_u32_e64 s3, 0, v71
	v_add_nc_u32_e32 v29, v29, v91
	v_cmp_eq_u32_e64 s2, 0, v70
	v_cmp_eq_u32_e64 s1, 0, v69
	v_cmp_eq_u32_e32 vcc_lo, 0, v68
	v_add3_u32 v30, v99, v76, v75
	v_cndmask_b32_e64 v29, 0, v29, s7
	v_cmp_eq_u32_e64 s0, 0, v67
	v_cmp_eq_u32_e64 s12, 0, v73
	v_and_b32_e32 v32, 15, v96
	v_add3_u32 v30, v30, v74, v72
	v_add_nc_u32_e32 v29, v29, v90
	s_delay_alu instid0(VALU_DEP_3) | instskip(NEXT) | instid1(VALU_DEP_3)
	v_cmp_lt_u32_e64 s13, 1, v32
	v_add3_u32 v30, v30, v71, v70
	s_delay_alu instid0(VALU_DEP_3) | instskip(NEXT) | instid1(VALU_DEP_2)
	v_cndmask_b32_e64 v29, 0, v29, s8
	v_add3_u32 v30, v30, v69, v68
	s_delay_alu instid0(VALU_DEP_2) | instskip(NEXT) | instid1(VALU_DEP_2)
	v_add_nc_u32_e32 v29, v29, v89
	v_add3_u32 v30, v30, v67, v73
	s_delay_alu instid0(VALU_DEP_2) | instskip(NEXT) | instid1(VALU_DEP_2)
	v_cndmask_b32_e64 v29, 0, v29, s9
	v_mov_b32_dpp v33, v30 row_shr:1 row_mask:0xf bank_mask:0xf
	s_delay_alu instid0(VALU_DEP_2) | instskip(NEXT) | instid1(VALU_DEP_1)
	v_add_nc_u32_e32 v29, v29, v87
	v_cndmask_b32_e64 v29, 0, v29, s10
	s_delay_alu instid0(VALU_DEP_1) | instskip(NEXT) | instid1(VALU_DEP_1)
	v_add_nc_u32_e32 v29, v29, v86
	v_cndmask_b32_e64 v29, 0, v29, s11
	s_delay_alu instid0(VALU_DEP_1) | instskip(NEXT) | instid1(VALU_DEP_1)
	v_add_nc_u32_e32 v29, v29, v84
	v_cndmask_b32_e64 v29, 0, v29, s5
	s_delay_alu instid0(VALU_DEP_1) | instskip(NEXT) | instid1(VALU_DEP_1)
	v_add_nc_u32_e32 v29, v29, v82
	v_cndmask_b32_e64 v29, 0, v29, s4
	s_delay_alu instid0(VALU_DEP_1) | instskip(NEXT) | instid1(VALU_DEP_1)
	v_add_nc_u32_e32 v29, v29, v88
	v_cndmask_b32_e64 v29, 0, v29, s3
	s_delay_alu instid0(VALU_DEP_1) | instskip(NEXT) | instid1(VALU_DEP_1)
	v_add_nc_u32_e32 v29, v29, v85
	v_cndmask_b32_e64 v29, 0, v29, s2
	s_delay_alu instid0(VALU_DEP_1) | instskip(NEXT) | instid1(VALU_DEP_1)
	v_add_nc_u32_e32 v29, v29, v83
	v_cndmask_b32_e64 v29, 0, v29, s1
	s_delay_alu instid0(VALU_DEP_1) | instskip(NEXT) | instid1(VALU_DEP_1)
	v_add_nc_u32_e32 v29, v29, v81
	v_cndmask_b32_e32 v29, 0, v29, vcc_lo
	s_delay_alu instid0(VALU_DEP_1) | instskip(NEXT) | instid1(VALU_DEP_1)
	v_add_nc_u32_e32 v29, v29, v66
	v_cndmask_b32_e64 v29, 0, v29, s0
	s_delay_alu instid0(VALU_DEP_1) | instskip(NEXT) | instid1(VALU_DEP_1)
	v_add_nc_u32_e32 v29, v29, v65
	v_cndmask_b32_e64 v29, 0, v29, s12
	v_cmp_eq_u32_e64 s12, 0, v30
	s_delay_alu instid0(VALU_DEP_2) | instskip(NEXT) | instid1(VALU_DEP_1)
	v_add_nc_u32_e32 v29, v29, v94
	v_mov_b32_dpp v31, v29 row_shr:1 row_mask:0xf bank_mask:0xf
	s_delay_alu instid0(VALU_DEP_1) | instskip(SKIP_1) | instid1(VALU_DEP_1)
	v_cndmask_b32_e64 v31, 0, v31, s12
	v_cmp_eq_u32_e64 s12, 0, v32
	v_cndmask_b32_e64 v33, v33, 0, s12
	s_delay_alu instid0(VALU_DEP_3) | instskip(NEXT) | instid1(VALU_DEP_2)
	v_cndmask_b32_e64 v31, v31, 0, s12
	v_add_nc_u32_e32 v30, v33, v30
	s_delay_alu instid0(VALU_DEP_2) | instskip(NEXT) | instid1(VALU_DEP_2)
	v_add_nc_u32_e32 v29, v31, v29
	v_mov_b32_dpp v31, v30 row_shr:2 row_mask:0xf bank_mask:0xf
	v_cmp_eq_u32_e64 s12, 0, v30
	s_delay_alu instid0(VALU_DEP_3) | instskip(NEXT) | instid1(VALU_DEP_3)
	v_mov_b32_dpp v33, v29 row_shr:2 row_mask:0xf bank_mask:0xf
	v_cndmask_b32_e64 v31, 0, v31, s13
	s_delay_alu instid0(VALU_DEP_3) | instskip(SKIP_1) | instid1(VALU_DEP_3)
	s_and_b32 s12, s13, s12
	v_cmp_lt_u32_e64 s13, 3, v32
	v_cndmask_b32_e64 v33, 0, v33, s12
	s_delay_alu instid0(VALU_DEP_3) | instskip(NEXT) | instid1(VALU_DEP_2)
	v_add_nc_u32_e32 v30, v30, v31
	v_add_nc_u32_e32 v29, v33, v29
	s_delay_alu instid0(VALU_DEP_2) | instskip(SKIP_1) | instid1(VALU_DEP_3)
	v_mov_b32_dpp v31, v30 row_shr:4 row_mask:0xf bank_mask:0xf
	v_cmp_eq_u32_e64 s12, 0, v30
	v_mov_b32_dpp v33, v29 row_shr:4 row_mask:0xf bank_mask:0xf
	s_delay_alu instid0(VALU_DEP_3) | instskip(NEXT) | instid1(VALU_DEP_3)
	v_cndmask_b32_e64 v31, 0, v31, s13
	s_and_b32 s12, s13, s12
	v_cmp_lt_u32_e64 s13, 7, v32
	s_delay_alu instid0(VALU_DEP_3) | instskip(NEXT) | instid1(VALU_DEP_3)
	v_cndmask_b32_e64 v33, 0, v33, s12
	v_add_nc_u32_e32 v30, v31, v30
	s_delay_alu instid0(VALU_DEP_2) | instskip(SKIP_1) | instid1(VALU_DEP_3)
	v_add_nc_u32_e32 v29, v29, v33
	v_bfe_i32 v33, v96, 4, 1
	v_cmp_eq_u32_e64 s12, 0, v30
	v_mov_b32_dpp v31, v30 row_shr:8 row_mask:0xf bank_mask:0xf
	s_delay_alu instid0(VALU_DEP_4) | instskip(NEXT) | instid1(VALU_DEP_3)
	v_mov_b32_dpp v32, v29 row_shr:8 row_mask:0xf bank_mask:0xf
	s_and_b32 s12, s13, s12
	s_delay_alu instid0(VALU_DEP_2) | instskip(SKIP_1) | instid1(VALU_DEP_2)
	v_cndmask_b32_e64 v31, 0, v31, s13
	s_mov_b32 s13, exec_lo
	v_cndmask_b32_e64 v32, 0, v32, s12
	s_delay_alu instid0(VALU_DEP_1) | instskip(NEXT) | instid1(VALU_DEP_3)
	v_add_nc_u32_e32 v32, v32, v29
	v_add_nc_u32_e32 v29, v31, v30
	ds_swizzle_b32 v30, v32 offset:swizzle(BROADCAST,32,15)
	ds_swizzle_b32 v31, v29 offset:swizzle(BROADCAST,32,15)
	v_cmp_eq_u32_e64 s12, 0, v29
	s_waitcnt lgkmcnt(1)
	s_delay_alu instid0(VALU_DEP_1) | instskip(SKIP_2) | instid1(VALU_DEP_2)
	v_cndmask_b32_e64 v30, 0, v30, s12
	s_waitcnt lgkmcnt(0)
	v_and_b32_e32 v31, v33, v31
	v_and_b32_e32 v30, v33, v30
	s_delay_alu instid0(VALU_DEP_2) | instskip(NEXT) | instid1(VALU_DEP_2)
	v_add_nc_u32_e32 v29, v31, v29
	v_add_nc_u32_e32 v30, v30, v32
	v_cmpx_eq_u32_e64 v98, v0
	s_cbranch_execz .LBB794_109
; %bb.108:
	v_lshlrev_b32_e32 v31, 3, v97
	ds_store_b64 v31, v[29:30] offset:4112
.LBB794_109:
	s_or_b32 exec_lo, exec_lo, s13
	s_delay_alu instid0(SALU_CYCLE_1)
	s_mov_b32 s14, exec_lo
	s_waitcnt vmcnt(0) lgkmcnt(0)
	s_barrier
	buffer_gl0_inv
	v_cmpx_gt_u32_e32 8, v0
	s_cbranch_execz .LBB794_111
; %bb.110:
	v_lshlrev_b32_e32 v33, 3, v0
	v_and_b32_e32 v35, 7, v96
	ds_load_b64 v[31:32], v33 offset:4112
	v_cmp_lt_u32_e64 s13, 1, v35
	s_waitcnt lgkmcnt(0)
	v_mov_b32_dpp v34, v32 row_shr:1 row_mask:0xf bank_mask:0xf
	v_cmp_eq_u32_e64 s12, 0, v31
	v_mov_b32_dpp v36, v31 row_shr:1 row_mask:0xf bank_mask:0xf
	s_delay_alu instid0(VALU_DEP_2) | instskip(SKIP_1) | instid1(VALU_DEP_1)
	v_cndmask_b32_e64 v34, 0, v34, s12
	v_cmp_eq_u32_e64 s12, 0, v35
	v_cndmask_b32_e64 v36, v36, 0, s12
	s_delay_alu instid0(VALU_DEP_3) | instskip(NEXT) | instid1(VALU_DEP_2)
	v_cndmask_b32_e64 v34, v34, 0, s12
	v_add_nc_u32_e32 v31, v36, v31
	s_delay_alu instid0(VALU_DEP_2) | instskip(NEXT) | instid1(VALU_DEP_2)
	v_add_nc_u32_e32 v32, v34, v32
	v_mov_b32_dpp v34, v31 row_shr:2 row_mask:0xf bank_mask:0xf
	v_cmp_eq_u32_e64 s12, 0, v31
	s_delay_alu instid0(VALU_DEP_3) | instskip(NEXT) | instid1(VALU_DEP_3)
	v_mov_b32_dpp v36, v32 row_shr:2 row_mask:0xf bank_mask:0xf
	v_cndmask_b32_e64 v34, 0, v34, s13
	s_delay_alu instid0(VALU_DEP_3) | instskip(SKIP_1) | instid1(VALU_DEP_3)
	s_and_b32 s12, s13, s12
	v_cmp_lt_u32_e64 s13, 3, v35
	v_cndmask_b32_e64 v36, 0, v36, s12
	s_delay_alu instid0(VALU_DEP_3) | instskip(NEXT) | instid1(VALU_DEP_2)
	v_add_nc_u32_e32 v31, v34, v31
	v_add_nc_u32_e32 v32, v36, v32
	s_delay_alu instid0(VALU_DEP_2) | instskip(SKIP_1) | instid1(VALU_DEP_3)
	v_cmp_eq_u32_e64 s12, 0, v31
	v_mov_b32_dpp v34, v31 row_shr:4 row_mask:0xf bank_mask:0xf
	v_mov_b32_dpp v35, v32 row_shr:4 row_mask:0xf bank_mask:0xf
	s_delay_alu instid0(VALU_DEP_3) | instskip(NEXT) | instid1(VALU_DEP_2)
	s_and_b32 s12, s13, s12
	v_cndmask_b32_e64 v34, 0, v34, s13
	s_delay_alu instid0(VALU_DEP_2) | instskip(NEXT) | instid1(VALU_DEP_2)
	v_cndmask_b32_e64 v35, 0, v35, s12
	v_add_nc_u32_e32 v31, v34, v31
	s_delay_alu instid0(VALU_DEP_2)
	v_add_nc_u32_e32 v32, v35, v32
	ds_store_b64 v33, v[31:32] offset:4112
.LBB794_111:
	s_or_b32 exec_lo, exec_lo, s14
	v_dual_mov_b32 v35, 0 :: v_dual_mov_b32 v32, v51
	v_mov_b32_e32 v31, 0
	s_mov_b32 s13, exec_lo
	s_waitcnt lgkmcnt(0)
	s_barrier
	buffer_gl0_inv
	v_cmpx_lt_u32_e32 31, v0
	s_cbranch_execz .LBB794_113
; %bb.112:
	v_lshlrev_b32_e32 v31, 3, v97
	ds_load_b64 v[31:32], v31 offset:4104
	s_waitcnt lgkmcnt(0)
	v_cmp_eq_u32_e64 s12, 0, v31
	s_delay_alu instid0(VALU_DEP_1) | instskip(NEXT) | instid1(VALU_DEP_1)
	v_cndmask_b32_e64 v33, 0, v51, s12
	v_add_nc_u32_e32 v32, v33, v32
.LBB794_113:
	s_or_b32 exec_lo, exec_lo, s13
	v_add_nc_u32_e32 v33, -1, v96
	v_cmp_eq_u32_e64 s13, 0, v93
	s_delay_alu instid0(VALU_DEP_2) | instskip(NEXT) | instid1(VALU_DEP_1)
	v_cmp_gt_i32_e64 s12, 0, v33
	v_cndmask_b32_e64 v33, v33, v96, s12
	v_cmp_eq_u32_e64 s12, 0, v29
	v_add_nc_u32_e32 v29, v31, v29
	s_delay_alu instid0(VALU_DEP_3) | instskip(NEXT) | instid1(VALU_DEP_3)
	v_lshlrev_b32_e32 v33, 2, v33
	v_cndmask_b32_e64 v34, 0, v32, s12
	v_cmp_eq_u32_e64 s12, 0, v96
	ds_bpermute_b32 v29, v33, v29
	v_add_nc_u32_e32 v30, v34, v30
	ds_bpermute_b32 v30, v33, v30
	s_waitcnt lgkmcnt(1)
	v_cndmask_b32_e64 v29, v29, v31, s12
	s_waitcnt lgkmcnt(0)
	v_cndmask_b32_e64 v30, v30, v32, s12
	v_cmp_eq_u32_e64 s12, 0, v0
	s_delay_alu instid0(VALU_DEP_1) | instskip(SKIP_1) | instid1(VALU_DEP_2)
	v_cndmask_b32_e64 v56, v30, v51, s12
	v_cndmask_b32_e64 v55, v29, 0, s12
	;; [unrolled: 1-line block ×3, first 2 shown]
	s_delay_alu instid0(VALU_DEP_2) | instskip(NEXT) | instid1(VALU_DEP_2)
	v_add_nc_u32_e32 v61, v55, v93
	v_add_nc_u32_e32 v62, v30, v92
	s_delay_alu instid0(VALU_DEP_2) | instskip(NEXT) | instid1(VALU_DEP_2)
	v_add_nc_u32_e32 v57, v61, v80
	v_cndmask_b32_e64 v30, 0, v62, s6
	s_delay_alu instid0(VALU_DEP_2) | instskip(NEXT) | instid1(VALU_DEP_2)
	v_add_nc_u32_e32 v53, v57, v79
	v_add_nc_u32_e32 v58, v30, v91
	s_delay_alu instid0(VALU_DEP_2) | instskip(NEXT) | instid1(VALU_DEP_2)
	v_add_nc_u32_e32 v47, v53, v78
	v_cndmask_b32_e64 v30, 0, v58, s7
	;; [unrolled: 6-line block ×4, first 2 shown]
	s_delay_alu instid0(VALU_DEP_2) | instskip(NEXT) | instid1(VALU_DEP_2)
	v_add_nc_u32_e32 v33, v49, v72
	v_add_nc_u32_e32 v44, v30, v87
	s_delay_alu instid0(VALU_DEP_1) | instskip(NEXT) | instid1(VALU_DEP_1)
	v_cndmask_b32_e64 v30, 0, v44, s10
	v_add_nc_u32_e32 v42, v30, v86
	s_delay_alu instid0(VALU_DEP_1) | instskip(NEXT) | instid1(VALU_DEP_1)
	v_cndmask_b32_e64 v30, 0, v42, s11
	;; [unrolled: 3-line block ×6, first 2 shown]
	v_add_nc_u32_e32 v40, v29, v83
	ds_load_b64 v[29:30], v35 offset:4168
	v_add_nc_u32_e32 v35, v33, v71
	v_cndmask_b32_e64 v31, 0, v40, s1
	s_delay_alu instid0(VALU_DEP_2) | instskip(NEXT) | instid1(VALU_DEP_2)
	v_add_nc_u32_e32 v39, v35, v70
	v_add_nc_u32_e32 v64, v31, v81
	s_delay_alu instid0(VALU_DEP_2) | instskip(NEXT) | instid1(VALU_DEP_2)
	v_add_nc_u32_e32 v63, v39, v69
	v_cndmask_b32_e32 v31, 0, v64, vcc_lo
	s_delay_alu instid0(VALU_DEP_2) | instskip(NEXT) | instid1(VALU_DEP_2)
	v_add_nc_u32_e32 v59, v63, v68
	v_add_nc_u32_e32 v60, v31, v66
	s_waitcnt lgkmcnt(0)
	v_cmp_eq_u32_e32 vcc_lo, 0, v29
	s_delay_alu instid0(VALU_DEP_2) | instskip(SKIP_2) | instid1(VALU_DEP_3)
	v_cndmask_b32_e64 v31, 0, v60, s0
	v_cndmask_b32_e32 v32, 0, v51, vcc_lo
	v_add_nc_u32_e32 v51, v59, v67
	v_add_nc_u32_e32 v52, v31, v65
	s_delay_alu instid0(VALU_DEP_3)
	v_add_nc_u32_e32 v95, v32, v30
	s_and_saveexec_b32 s0, s12
	s_cbranch_execz .LBB794_115
; %bb.114:
	s_delay_alu instid0(VALU_DEP_1)
	v_and_b32_e32 v30, 0xff000000, v95
	v_dual_mov_b32 v32, 0 :: v_dual_and_b32 v31, 0xff0000, v95
	s_add_u32 s2, s36, 0x200
	v_and_b32_e32 v65, 0xff00, v95
	s_addc_u32 s3, s37, 0
	v_and_b32_e32 v66, 0xff, v95
	v_or_b32_e32 v30, v31, v30
	v_mov_b32_e32 v31, 2
	s_delay_alu instid0(VALU_DEP_2)
	v_or3_b32 v30, v30, v65, v66
	v_dual_mov_b32 v66, s3 :: v_dual_mov_b32 v65, s2
	;;#ASMSTART
	global_store_dwordx4 v[65:66], v[29:32] off	
s_waitcnt vmcnt(0)
	;;#ASMEND
.LBB794_115:
	s_or_b32 exec_lo, exec_lo, s0
	v_mov_b32_e32 v31, 0
.LBB794_116:
	v_mov_b32_e32 v65, 0
	s_and_b32 s0, s16, exec_lo
	v_mov_b32_e32 v66, 0
	s_cselect_b32 s1, 0, s47
	s_cselect_b32 s0, 0, s46
	s_delay_alu instid0(SALU_CYCLE_1)
	s_cmp_eq_u64 s[0:1], 0
	s_barrier
	buffer_gl0_inv
	s_cbranch_scc1 .LBB794_118
; %bb.117:
	v_mov_b32_e32 v30, 0
	global_load_b64 v[65:66], v30, s[0:1]
.LBB794_118:
	v_cmp_eq_u32_e32 vcc_lo, 0, v93
	v_cmp_ne_u32_e64 s14, 0, v93
	v_cmp_ne_u32_e64 s13, 0, v80
	;; [unrolled: 1-line block ×4, first 2 shown]
	v_cndmask_b32_e64 v30, 1, 2, vcc_lo
	v_cmp_eq_u32_e32 vcc_lo, 0, v80
	v_cmp_ne_u32_e64 s10, 0, v77
	v_cmp_ne_u32_e64 s9, 0, v76
	;; [unrolled: 1-line block ×4, first 2 shown]
	v_cndmask_b32_e64 v32, 1, 2, vcc_lo
	v_cmp_eq_u32_e32 vcc_lo, 0, v79
	v_cmp_ne_u32_e64 s8, 0, v72
	v_cmp_ne_u32_e64 s6, 0, v71
	;; [unrolled: 1-line block ×3, first 2 shown]
	v_and_b32_e32 v30, v32, v30
	v_cndmask_b32_e64 v81, 1, 2, vcc_lo
	v_cmp_eq_u32_e32 vcc_lo, 0, v78
	v_cmp_ne_u32_e64 s3, 0, v69
	v_cmp_ne_u32_e64 s2, 0, v68
	;; [unrolled: 1-line block ×3, first 2 shown]
	v_and_b32_e32 v30, v30, v81
	v_cndmask_b32_e64 v32, 1, 2, vcc_lo
	v_cmp_eq_u32_e32 vcc_lo, 0, v77
	v_cmp_ne_u32_e64 s0, 0, v73
	s_mov_b32 s16, -1
	s_delay_alu instid0(VALU_DEP_3) | instskip(SKIP_2) | instid1(VALU_DEP_2)
	v_and_b32_e32 v30, v30, v32
	v_cndmask_b32_e64 v81, 1, 2, vcc_lo
	v_cmp_eq_u32_e32 vcc_lo, 0, v76
	v_and_b32_e32 v30, v30, v81
	v_cndmask_b32_e64 v32, 1, 2, vcc_lo
	v_cmp_eq_u32_e32 vcc_lo, 0, v75
	s_waitcnt vmcnt(0)
	v_lshlrev_b64 v[81:82], 3, v[65:66]
	s_delay_alu instid0(VALU_DEP_3) | instskip(SKIP_2) | instid1(VALU_DEP_2)
	v_and_b32_e32 v30, v30, v32
	v_cndmask_b32_e64 v83, 1, 2, vcc_lo
	v_cmp_eq_u32_e32 vcc_lo, 0, v74
	v_and_b32_e32 v30, v30, v83
	v_cndmask_b32_e64 v84, 1, 2, vcc_lo
	v_cmp_eq_u32_e32 vcc_lo, 0, v72
	s_delay_alu instid0(VALU_DEP_2) | instskip(SKIP_2) | instid1(VALU_DEP_2)
	v_and_b32_e32 v30, v30, v84
	v_cndmask_b32_e64 v83, 1, 2, vcc_lo
	v_cmp_eq_u32_e32 vcc_lo, 0, v71
	v_and_b32_e32 v30, v30, v83
	v_cndmask_b32_e64 v84, 1, 2, vcc_lo
	v_cmp_eq_u32_e32 vcc_lo, 0, v70
	s_delay_alu instid0(VALU_DEP_2) | instskip(SKIP_2) | instid1(VALU_DEP_2)
	v_and_b32_e32 v30, v30, v84
	v_cndmask_b32_e64 v83, 1, 2, vcc_lo
	v_cmp_eq_u32_e32 vcc_lo, 0, v69
	v_and_b32_e32 v30, v30, v83
	v_cndmask_b32_e64 v85, 1, 2, vcc_lo
	v_cmp_eq_u32_e32 vcc_lo, 0, v68
	s_delay_alu instid0(VALU_DEP_2) | instskip(SKIP_3) | instid1(VALU_DEP_3)
	v_and_b32_e32 v30, v30, v85
	v_cndmask_b32_e64 v86, 1, 2, vcc_lo
	v_mov_b32_e32 v32, 0
	v_cmp_eq_u32_e32 vcc_lo, 0, v67
	v_and_b32_e32 v85, v30, v86
	s_delay_alu instid0(VALU_DEP_3) | instskip(SKIP_3) | instid1(VALU_DEP_2)
	v_lshlrev_b64 v[83:84], 3, v[31:32]
	v_cndmask_b32_e64 v87, 1, 2, vcc_lo
	v_add_co_u32 v81, vcc_lo, s26, v81
	v_add_co_ci_u32_e32 v82, vcc_lo, s27, v82, vcc_lo
	v_add_co_u32 v30, vcc_lo, v81, v83
	s_delay_alu instid0(VALU_DEP_2) | instskip(SKIP_4) | instid1(VALU_DEP_2)
	v_add_co_ci_u32_e32 v81, vcc_lo, v82, v84, vcc_lo
	v_cmp_eq_u32_e32 vcc_lo, 0, v73
	v_and_b32_e32 v82, v85, v87
	v_cndmask_b32_e64 v83, 1, 2, vcc_lo
	v_cmp_gt_u32_e32 vcc_lo, 0x100, v29
	v_and_b32_e32 v82, v82, v83
	s_delay_alu instid0(VALU_DEP_1)
	v_cmp_gt_i16_e64 s15, 2, v82
	s_cbranch_vccz .LBB794_167
; %bb.119:
	s_delay_alu instid0(VALU_DEP_1)
	s_and_saveexec_b32 s16, s15
	s_cbranch_execz .LBB794_166
; %bb.120:
	s_mov_b32 s17, 0
	s_mov_b32 s15, exec_lo
	v_cmpx_ne_u16_e32 1, v82
	s_xor_b32 s15, exec_lo, s15
	s_cbranch_execz .LBB794_144
; %bb.121:
	s_and_saveexec_b32 s17, s14
	s_cbranch_execz .LBB794_149
; %bb.122:
	v_sub_nc_u32_e32 v83, v55, v31
	v_mov_b32_e32 v84, 0
	s_delay_alu instid0(VALU_DEP_1) | instskip(NEXT) | instid1(VALU_DEP_1)
	v_lshlrev_b64 v[83:84], 3, v[83:84]
	v_add_co_u32 v83, vcc_lo, v30, v83
	s_delay_alu instid0(VALU_DEP_2)
	v_add_co_ci_u32_e32 v84, vcc_lo, v81, v84, vcc_lo
	global_store_b64 v[83:84], v[25:26], off
	s_or_b32 exec_lo, exec_lo, s17
	s_and_saveexec_b32 s17, s13
	s_cbranch_execnz .LBB794_150
.LBB794_123:
	s_or_b32 exec_lo, exec_lo, s17
	s_and_saveexec_b32 s17, s12
	s_cbranch_execz .LBB794_151
.LBB794_124:
	v_sub_nc_u32_e32 v83, v57, v31
	v_mov_b32_e32 v84, 0
	s_delay_alu instid0(VALU_DEP_1) | instskip(NEXT) | instid1(VALU_DEP_1)
	v_lshlrev_b64 v[83:84], 3, v[83:84]
	v_add_co_u32 v83, vcc_lo, v30, v83
	s_delay_alu instid0(VALU_DEP_2)
	v_add_co_ci_u32_e32 v84, vcc_lo, v81, v84, vcc_lo
	global_store_b64 v[83:84], v[21:22], off
	s_or_b32 exec_lo, exec_lo, s17
	s_and_saveexec_b32 s17, s11
	s_cbranch_execnz .LBB794_152
.LBB794_125:
	s_or_b32 exec_lo, exec_lo, s17
	s_and_saveexec_b32 s17, s10
	s_cbranch_execz .LBB794_153
.LBB794_126:
	v_sub_nc_u32_e32 v83, v47, v31
	v_mov_b32_e32 v84, 0
	s_delay_alu instid0(VALU_DEP_1) | instskip(NEXT) | instid1(VALU_DEP_1)
	v_lshlrev_b64 v[83:84], 3, v[83:84]
	v_add_co_u32 v83, vcc_lo, v30, v83
	s_delay_alu instid0(VALU_DEP_2)
	v_add_co_ci_u32_e32 v84, vcc_lo, v81, v84, vcc_lo
	global_store_b64 v[83:84], v[17:18], off
	s_or_b32 exec_lo, exec_lo, s17
	s_and_saveexec_b32 s17, s9
	s_cbranch_execnz .LBB794_154
.LBB794_127:
	s_or_b32 exec_lo, exec_lo, s17
	s_and_saveexec_b32 s17, s7
	s_cbranch_execz .LBB794_155
.LBB794_128:
	v_sub_nc_u32_e32 v83, v41, v31
	v_mov_b32_e32 v84, 0
	s_delay_alu instid0(VALU_DEP_1) | instskip(NEXT) | instid1(VALU_DEP_1)
	v_lshlrev_b64 v[83:84], 3, v[83:84]
	v_add_co_u32 v83, vcc_lo, v30, v83
	s_delay_alu instid0(VALU_DEP_2)
	v_add_co_ci_u32_e32 v84, vcc_lo, v81, v84, vcc_lo
	global_store_b64 v[83:84], v[13:14], off
	s_or_b32 exec_lo, exec_lo, s17
	s_and_saveexec_b32 s17, s5
	s_cbranch_execnz .LBB794_156
.LBB794_129:
	s_or_b32 exec_lo, exec_lo, s17
	s_and_saveexec_b32 s17, s8
	s_cbranch_execz .LBB794_157
.LBB794_130:
	v_sub_nc_u32_e32 v83, v49, v31
	v_mov_b32_e32 v84, 0
	s_delay_alu instid0(VALU_DEP_1) | instskip(NEXT) | instid1(VALU_DEP_1)
	v_lshlrev_b64 v[83:84], 3, v[83:84]
	v_add_co_u32 v83, vcc_lo, v30, v83
	s_delay_alu instid0(VALU_DEP_2)
	v_add_co_ci_u32_e32 v84, vcc_lo, v81, v84, vcc_lo
	global_store_b64 v[83:84], v[9:10], off
	s_or_b32 exec_lo, exec_lo, s17
	s_and_saveexec_b32 s17, s6
	s_cbranch_execnz .LBB794_158
.LBB794_131:
	s_or_b32 exec_lo, exec_lo, s17
	s_and_saveexec_b32 s17, s4
	s_cbranch_execz .LBB794_159
.LBB794_132:
	v_sub_nc_u32_e32 v83, v35, v31
	v_mov_b32_e32 v84, 0
	s_delay_alu instid0(VALU_DEP_1) | instskip(NEXT) | instid1(VALU_DEP_1)
	v_lshlrev_b64 v[83:84], 3, v[83:84]
	v_add_co_u32 v83, vcc_lo, v30, v83
	s_delay_alu instid0(VALU_DEP_2)
	v_add_co_ci_u32_e32 v84, vcc_lo, v81, v84, vcc_lo
	global_store_b64 v[83:84], v[5:6], off
	s_or_b32 exec_lo, exec_lo, s17
	s_and_saveexec_b32 s17, s3
	s_cbranch_execnz .LBB794_160
.LBB794_133:
	s_or_b32 exec_lo, exec_lo, s17
	s_and_saveexec_b32 s17, s2
	s_cbranch_execz .LBB794_161
.LBB794_134:
	v_sub_nc_u32_e32 v83, v63, v31
	v_mov_b32_e32 v84, 0
	s_delay_alu instid0(VALU_DEP_1) | instskip(NEXT) | instid1(VALU_DEP_1)
	v_lshlrev_b64 v[83:84], 3, v[83:84]
	v_add_co_u32 v83, vcc_lo, v30, v83
	s_delay_alu instid0(VALU_DEP_2)
	v_add_co_ci_u32_e32 v84, vcc_lo, v81, v84, vcc_lo
	global_store_b64 v[83:84], v[1:2], off
	s_or_b32 exec_lo, exec_lo, s17
	s_and_saveexec_b32 s17, s1
	s_cbranch_execnz .LBB794_162
	s_branch .LBB794_163
.LBB794_135:
	s_mov_b32 s41, 0
                                        ; implicit-def: $sgpr0
                                        ; implicit-def: $vgpr73
                                        ; implicit-def: $vgpr67
                                        ; implicit-def: $vgpr68
                                        ; implicit-def: $vgpr69
                                        ; implicit-def: $vgpr70
                                        ; implicit-def: $vgpr71
                                        ; implicit-def: $vgpr72
                                        ; implicit-def: $vgpr74
                                        ; implicit-def: $vgpr75
                                        ; implicit-def: $vgpr76
                                        ; implicit-def: $vgpr77
                                        ; implicit-def: $vgpr78
                                        ; implicit-def: $vgpr79
                                        ; implicit-def: $vgpr80
	s_cbranch_execz .LBB794_69
.LBB794_136:
	v_cmp_ne_u64_e32 vcc_lo, v[3:4], v[37:38]
	v_lshlrev_b32_e32 v29, 3, v0
	s_mov_b32 s1, exec_lo
                                        ; implicit-def: $sgpr0
	ds_store_b64 v29, v[37:38]
	v_cndmask_b32_e64 v73, 0, 1, vcc_lo
	v_cmp_ne_u64_e32 vcc_lo, v[1:2], v[3:4]
	s_waitcnt lgkmcnt(0)
	s_barrier
	buffer_gl0_inv
	v_cndmask_b32_e64 v67, 0, 1, vcc_lo
	v_cmp_ne_u64_e32 vcc_lo, v[7:8], v[1:2]
	v_cndmask_b32_e64 v68, 0, 1, vcc_lo
	v_cmp_ne_u64_e32 vcc_lo, v[5:6], v[7:8]
	;; [unrolled: 2-line block ×12, first 2 shown]
	v_cndmask_b32_e64 v80, 0, 1, vcc_lo
	v_cmpx_ne_u32_e32 0, v0
	s_xor_b32 s1, exec_lo, s1
	s_cbranch_execz .LBB794_138
; %bb.137:
	v_add_nc_u32_e32 v29, -8, v29
	s_or_b32 s41, s41, exec_lo
	ds_load_b64 v[29:30], v29
	s_waitcnt lgkmcnt(0)
	v_cmp_ne_u64_e32 vcc_lo, v[29:30], v[25:26]
	s_and_b32 s0, vcc_lo, exec_lo
.LBB794_138:
	s_or_b32 exec_lo, exec_lo, s1
	s_mov_b32 s1, 1
	s_branch .LBB794_71
.LBB794_139:
	s_mul_hi_u32 s0, s16, 0xfffff100
	s_mul_i32 s1, s17, 0xfffff100
	s_sub_i32 s0, s0, s16
	s_mul_i32 s2, s16, 0xfffff100
	s_add_i32 s0, s0, s1
	s_add_u32 s24, s2, s44
	s_addc_u32 s25, s0, s45
	s_and_b32 vcc_lo, exec_lo, s20
	s_cbranch_vccz .LBB794_146
; %bb.140:
	v_add_co_u32 v29, s0, -8, s18
	s_delay_alu instid0(VALU_DEP_1)
	v_add_co_ci_u32_e64 v30, null, -1, s14, s0
	v_mad_u32_u24 v31, v0, 15, 14
	v_mov_b32_e32 v32, 0
	v_cmp_ne_u64_e64 s6, v[3:4], v[37:38]
	flat_load_b64 v[29:30], v[29:30]
	v_cmp_ne_u64_e64 s8, v[7:8], v[1:2]
	v_cmp_ne_u64_e64 s9, v[5:6], v[7:8]
	v_cmp_gt_u64_e32 vcc_lo, s[24:25], v[31:32]
	v_mad_u32_u24 v31, v0, 15, 13
	v_cmp_ne_u64_e64 s10, v[11:12], v[5:6]
	v_lshlrev_b32_e32 v34, 3, v0
	v_mul_u32_u24_e32 v33, 15, v0
	s_mov_b32 s41, -1
	v_cmp_gt_u64_e64 s0, s[24:25], v[31:32]
	v_mad_u32_u24 v31, v0, 15, 12
	s_and_b32 s13, vcc_lo, s6
	v_cmp_ne_u64_e64 s6, v[1:2], v[3:4]
	s_mov_b32 s12, 0
	ds_store_b64 v34, v[37:38]
	v_cmp_gt_u64_e64 s1, s[24:25], v[31:32]
	v_mad_u32_u24 v31, v0, 15, 11
	s_waitcnt vmcnt(0) lgkmcnt(0)
	s_and_b32 s14, s0, s6
	v_cmp_ne_u64_e64 s6, v[19:20], v[13:14]
	s_barrier
	v_cmp_gt_u64_e64 s2, s[24:25], v[31:32]
	v_mad_u32_u24 v31, v0, 15, 10
	s_and_b32 s16, s1, s8
	v_cmp_ne_u64_e64 s1, v[9:10], v[11:12]
	buffer_gl0_inv
	v_cmp_gt_u64_e64 s3, s[24:25], v[31:32]
	v_mad_u32_u24 v31, v0, 15, 9
	s_and_b32 s9, s2, s9
	v_cmp_ne_u64_e64 s2, v[15:16], v[9:10]
	s_delay_alu instid0(VALU_DEP_2) | instskip(SKIP_3) | instid1(VALU_DEP_2)
	v_cmp_gt_u64_e64 s4, s[24:25], v[31:32]
	v_mad_u32_u24 v31, v0, 15, 8
	s_and_b32 s10, s3, s10
	v_cmp_ne_u64_e64 s3, v[13:14], v[15:16]
	v_cmp_gt_u64_e64 s5, s[24:25], v[31:32]
	v_mad_u32_u24 v31, v0, 15, 7
	s_and_b32 s18, s4, s1
	v_cmp_ne_u64_e64 s1, v[17:18], v[19:20]
	v_cmp_ne_u64_e64 s4, v[27:28], v[21:22]
	s_delay_alu instid0(VALU_DEP_3) | instskip(SKIP_3) | instid1(VALU_DEP_2)
	v_cmp_gt_u64_e64 s7, s[24:25], v[31:32]
	v_mad_u32_u24 v31, v0, 15, 6
	s_and_b32 s19, s5, s2
	v_cmp_ne_u64_e64 s2, v[23:24], v[17:18]
	v_cmp_gt_u64_e32 vcc_lo, s[24:25], v[31:32]
	v_mad_u32_u24 v31, v0, 15, 5
	s_and_b32 s7, s7, s3
	v_cmp_ne_u64_e64 s3, v[21:22], v[23:24]
	s_delay_alu instid0(VALU_DEP_2) | instskip(SKIP_3) | instid1(VALU_DEP_2)
	v_cmp_gt_u64_e64 s11, s[24:25], v[31:32]
	v_mad_u32_u24 v31, v0, 15, 4
	s_and_b32 s17, vcc_lo, s6
	v_cmp_ne_u64_e64 s6, v[25:26], v[27:28]
	v_cmp_gt_u64_e64 s0, s[24:25], v[31:32]
	v_mad_u32_u24 v31, v0, 15, 3
	s_and_b32 s11, s11, s1
	s_delay_alu instid0(VALU_DEP_1) | instskip(SKIP_1) | instid1(VALU_DEP_4)
	v_cmp_gt_u64_e64 s8, s[24:25], v[31:32]
	v_mad_u32_u24 v31, v0, 15, 2
	s_and_b32 s0, s0, s2
	s_delay_alu instid0(VALU_DEP_1) | instskip(SKIP_1) | instid1(VALU_DEP_4)
	v_cmp_gt_u64_e32 vcc_lo, s[24:25], v[31:32]
	v_mad_u32_u24 v31, v0, 15, 1
	s_and_b32 s1, s8, s3
	s_delay_alu instid0(VALU_DEP_1) | instskip(SKIP_2) | instid1(VALU_DEP_1)
	v_cmp_gt_u64_e64 s5, s[24:25], v[31:32]
	s_and_b32 s2, vcc_lo, s4
	s_mov_b32 s4, exec_lo
	s_and_b32 s3, s5, s6
	v_cmpx_ne_u32_e32 0, v0
	s_cbranch_execz .LBB794_142
; %bb.141:
	v_add_nc_u32_e32 v29, -8, v34
	ds_load_b64 v[29:30], v29
.LBB794_142:
	s_or_b32 exec_lo, exec_lo, s4
	v_mov_b32_e32 v34, v32
	v_cndmask_b32_e64 v77, 0, 1, s0
	s_waitcnt lgkmcnt(0)
	v_cmp_ne_u64_e64 s0, v[29:30], v[25:26]
	v_cndmask_b32_e64 v73, 0, 1, s13
	v_cndmask_b32_e64 v67, 0, 1, s14
	v_cmp_gt_u64_e32 vcc_lo, s[24:25], v[33:34]
	v_cndmask_b32_e64 v68, 0, 1, s16
	v_cndmask_b32_e64 v69, 0, 1, s9
	;; [unrolled: 1-line block ×11, first 2 shown]
	s_and_b32 s0, vcc_lo, s0
	s_and_b32 vcc_lo, exec_lo, s12
	s_cbranch_vccnz .LBB794_147
.LBB794_143:
                                        ; implicit-def: $sgpr1
	v_mov_b32_e32 v93, s1
	s_and_saveexec_b32 s1, s41
	s_cbranch_execnz .LBB794_72
	s_branch .LBB794_73
.LBB794_144:
	s_and_not1_saveexec_b32 s15, s15
	s_cbranch_execz .LBB794_164
.LBB794_145:
	v_sub_nc_u32_e32 v83, v55, v31
	v_mov_b32_e32 v84, 0
	s_or_b32 s17, s17, exec_lo
	s_delay_alu instid0(VALU_DEP_1) | instskip(SKIP_1) | instid1(VALU_DEP_1)
	v_lshlrev_b64 v[85:86], 3, v[83:84]
	v_sub_nc_u32_e32 v83, v61, v31
	v_lshlrev_b64 v[87:88], 3, v[83:84]
	v_sub_nc_u32_e32 v83, v57, v31
	s_delay_alu instid0(VALU_DEP_4) | instskip(SKIP_1) | instid1(VALU_DEP_3)
	v_add_co_u32 v85, vcc_lo, v30, v85
	v_add_co_ci_u32_e32 v86, vcc_lo, v81, v86, vcc_lo
	v_lshlrev_b64 v[89:90], 3, v[83:84]
	v_sub_nc_u32_e32 v83, v53, v31
	v_add_co_u32 v87, vcc_lo, v30, v87
	v_add_co_ci_u32_e32 v88, vcc_lo, v81, v88, vcc_lo
	global_store_b64 v[85:86], v[25:26], off
	v_lshlrev_b64 v[85:86], 3, v[83:84]
	v_sub_nc_u32_e32 v83, v47, v31
	global_store_b64 v[87:88], v[27:28], off
	v_add_co_u32 v87, vcc_lo, v30, v89
	v_add_co_ci_u32_e32 v88, vcc_lo, v81, v90, vcc_lo
	v_lshlrev_b64 v[89:90], 3, v[83:84]
	v_sub_nc_u32_e32 v83, v43, v31
	v_add_co_u32 v85, vcc_lo, v30, v85
	v_add_co_ci_u32_e32 v86, vcc_lo, v81, v86, vcc_lo
	s_delay_alu instid0(VALU_DEP_3) | instskip(SKIP_3) | instid1(VALU_DEP_3)
	v_lshlrev_b64 v[91:92], 3, v[83:84]
	v_sub_nc_u32_e32 v83, v41, v31
	v_add_co_u32 v89, vcc_lo, v30, v89
	v_add_co_ci_u32_e32 v90, vcc_lo, v81, v90, vcc_lo
	v_lshlrev_b64 v[96:97], 3, v[83:84]
	v_sub_nc_u32_e32 v83, v45, v31
	v_add_co_u32 v91, vcc_lo, v30, v91
	v_add_co_ci_u32_e32 v92, vcc_lo, v81, v92, vcc_lo
	s_clause 0x3
	global_store_b64 v[87:88], v[21:22], off
	global_store_b64 v[85:86], v[23:24], off
	;; [unrolled: 1-line block ×4, first 2 shown]
	v_lshlrev_b64 v[85:86], 3, v[83:84]
	v_sub_nc_u32_e32 v83, v49, v31
	v_add_co_u32 v87, vcc_lo, v30, v96
	v_add_co_ci_u32_e32 v88, vcc_lo, v81, v97, vcc_lo
	s_delay_alu instid0(VALU_DEP_3) | instskip(SKIP_3) | instid1(VALU_DEP_3)
	v_lshlrev_b64 v[89:90], 3, v[83:84]
	v_sub_nc_u32_e32 v83, v33, v31
	v_add_co_u32 v85, vcc_lo, v30, v85
	v_add_co_ci_u32_e32 v86, vcc_lo, v81, v86, vcc_lo
	v_lshlrev_b64 v[91:92], 3, v[83:84]
	v_sub_nc_u32_e32 v83, v35, v31
	v_add_co_u32 v89, vcc_lo, v30, v89
	v_add_co_ci_u32_e32 v90, vcc_lo, v81, v90, vcc_lo
	s_delay_alu instid0(VALU_DEP_3)
	v_lshlrev_b64 v[96:97], 3, v[83:84]
	v_sub_nc_u32_e32 v83, v39, v31
	v_add_co_u32 v91, vcc_lo, v30, v91
	v_add_co_ci_u32_e32 v92, vcc_lo, v81, v92, vcc_lo
	s_clause 0x3
	global_store_b64 v[87:88], v[13:14], off
	global_store_b64 v[85:86], v[15:16], off
	global_store_b64 v[89:90], v[9:10], off
	global_store_b64 v[91:92], v[11:12], off
	v_lshlrev_b64 v[85:86], 3, v[83:84]
	v_sub_nc_u32_e32 v83, v63, v31
	v_add_co_u32 v87, vcc_lo, v30, v96
	v_add_co_ci_u32_e32 v88, vcc_lo, v81, v97, vcc_lo
	s_delay_alu instid0(VALU_DEP_3) | instskip(SKIP_3) | instid1(VALU_DEP_3)
	v_lshlrev_b64 v[89:90], 3, v[83:84]
	v_sub_nc_u32_e32 v83, v59, v31
	v_add_co_u32 v85, vcc_lo, v30, v85
	v_add_co_ci_u32_e32 v86, vcc_lo, v81, v86, vcc_lo
	v_lshlrev_b64 v[83:84], 3, v[83:84]
	v_add_co_u32 v89, vcc_lo, v30, v89
	v_add_co_ci_u32_e32 v90, vcc_lo, v81, v90, vcc_lo
	s_clause 0x2
	global_store_b64 v[87:88], v[5:6], off
	global_store_b64 v[85:86], v[7:8], off
	;; [unrolled: 1-line block ×3, first 2 shown]
	v_add_co_u32 v83, vcc_lo, v30, v83
	v_add_co_ci_u32_e32 v84, vcc_lo, v81, v84, vcc_lo
	global_store_b64 v[83:84], v[3:4], off
	s_or_b32 exec_lo, exec_lo, s15
	s_delay_alu instid0(SALU_CYCLE_1)
	s_and_b32 exec_lo, exec_lo, s17
	s_cbranch_execnz .LBB794_165
	s_branch .LBB794_166
.LBB794_146:
                                        ; implicit-def: $sgpr0
                                        ; implicit-def: $vgpr73
                                        ; implicit-def: $vgpr67
                                        ; implicit-def: $vgpr68
                                        ; implicit-def: $vgpr69
                                        ; implicit-def: $vgpr70
                                        ; implicit-def: $vgpr71
                                        ; implicit-def: $vgpr72
                                        ; implicit-def: $vgpr74
                                        ; implicit-def: $vgpr75
                                        ; implicit-def: $vgpr76
                                        ; implicit-def: $vgpr77
                                        ; implicit-def: $vgpr78
                                        ; implicit-def: $vgpr79
                                        ; implicit-def: $vgpr80
	s_cbranch_execz .LBB794_143
.LBB794_147:
	v_mad_u32_u24 v29, v0, 15, 14
	v_dual_mov_b32 v30, 0 :: v_dual_lshlrev_b32 v31, 3, v0
	v_cmp_ne_u64_e64 s5, v[1:2], v[3:4]
	v_cmp_ne_u64_e64 s4, v[3:4], v[37:38]
	;; [unrolled: 1-line block ×3, first 2 shown]
	s_delay_alu instid0(VALU_DEP_4)
	v_cmp_gt_u64_e32 vcc_lo, s[24:25], v[29:30]
	v_mad_u32_u24 v29, v0, 15, 13
	v_cmp_ne_u64_e64 s8, v[5:6], v[7:8]
	v_cmp_ne_u64_e64 s9, v[11:12], v[5:6]
	;; [unrolled: 1-line block ×4, first 2 shown]
	v_cmp_gt_u64_e64 s0, s[24:25], v[29:30]
	v_mad_u32_u24 v29, v0, 15, 12
	s_and_b32 s4, vcc_lo, s4
	v_cmp_ne_u64_e64 s13, v[13:14], v[15:16]
	v_cmp_ne_u64_e64 s14, v[19:20], v[13:14]
	;; [unrolled: 1-line block ×3, first 2 shown]
	v_cmp_gt_u64_e64 s1, s[24:25], v[29:30]
	v_mad_u32_u24 v29, v0, 15, 11
	s_and_b32 s0, s0, s5
	v_cmp_ne_u64_e64 s17, v[23:24], v[17:18]
	v_cndmask_b32_e64 v67, 0, 1, s0
	v_cmp_ne_u64_e64 s19, v[21:22], v[23:24]
	v_cmp_gt_u64_e64 s2, s[24:25], v[29:30]
	v_mad_u32_u24 v29, v0, 15, 10
	s_and_b32 s0, s1, s6
	v_cmp_ne_u64_e64 s20, v[27:28], v[21:22]
	v_cndmask_b32_e64 v68, 0, 1, s0
	v_cmp_ne_u64_e64 s21, v[25:26], v[27:28]
	v_cmp_gt_u64_e64 s3, s[24:25], v[29:30]
	v_mad_u32_u24 v29, v0, 15, 9
	s_and_b32 s0, s2, s8
	v_cndmask_b32_e64 v73, 0, 1, s4
	v_cndmask_b32_e64 v69, 0, 1, s0
	ds_store_b64 v31, v[37:38]
	v_cmp_gt_u64_e64 s7, s[24:25], v[29:30]
	v_mad_u32_u24 v29, v0, 15, 8
	s_and_b32 s1, s3, s9
	s_waitcnt lgkmcnt(0)
	v_cndmask_b32_e64 v70, 0, 1, s1
	s_barrier
	v_cmp_gt_u64_e64 s12, s[24:25], v[29:30]
	v_mad_u32_u24 v29, v0, 15, 7
	s_and_b32 s1, s7, s10
	buffer_gl0_inv
	v_cndmask_b32_e64 v71, 0, 1, s1
	v_cmp_gt_u64_e64 s18, s[24:25], v[29:30]
	v_mad_u32_u24 v29, v0, 15, 6
	s_and_b32 s2, s12, s11
	s_delay_alu instid0(SALU_CYCLE_1) | instskip(NEXT) | instid1(VALU_DEP_2)
	v_cndmask_b32_e64 v72, 0, 1, s2
	v_cmp_gt_u64_e64 s22, s[24:25], v[29:30]
	v_mad_u32_u24 v29, v0, 15, 5
	s_and_b32 s2, s18, s13
	s_delay_alu instid0(SALU_CYCLE_1) | instskip(NEXT) | instid1(VALU_DEP_2)
	v_cndmask_b32_e64 v74, 0, 1, s2
	v_cmp_gt_u64_e32 vcc_lo, s[24:25], v[29:30]
	v_mad_u32_u24 v29, v0, 15, 4
	s_and_b32 s3, s22, s14
	s_delay_alu instid0(SALU_CYCLE_1) | instskip(NEXT) | instid1(VALU_DEP_2)
	v_cndmask_b32_e64 v75, 0, 1, s3
	v_cmp_gt_u64_e64 s0, s[24:25], v[29:30]
	v_mad_u32_u24 v29, v0, 15, 3
	s_and_b32 s3, vcc_lo, s16
	s_delay_alu instid0(SALU_CYCLE_1) | instskip(NEXT) | instid1(VALU_DEP_2)
	v_cndmask_b32_e64 v76, 0, 1, s3
	v_cmp_gt_u64_e64 s1, s[24:25], v[29:30]
	v_mad_u32_u24 v29, v0, 15, 2
	s_and_b32 s0, s0, s17
	s_delay_alu instid0(SALU_CYCLE_1) | instskip(NEXT) | instid1(VALU_DEP_2)
	v_cndmask_b32_e64 v77, 0, 1, s0
	v_cmp_gt_u64_e64 s2, s[24:25], v[29:30]
	v_mad_u32_u24 v29, v0, 15, 1
	s_and_b32 s0, s1, s19
	s_mov_b32 s1, 1
	v_cndmask_b32_e64 v78, 0, 1, s0
	s_delay_alu instid0(VALU_DEP_2) | instskip(SKIP_4) | instid1(SALU_CYCLE_1)
	v_cmp_gt_u64_e32 vcc_lo, s[24:25], v[29:30]
	s_and_b32 s0, s2, s20
	s_mov_b32 s2, exec_lo
	v_cndmask_b32_e64 v79, 0, 1, s0
	s_and_b32 s0, vcc_lo, s21
	v_cndmask_b32_e64 v80, 0, 1, s0
                                        ; implicit-def: $sgpr0
	v_cmpx_ne_u32_e32 0, v0
	s_cbranch_execz .LBB794_186
; %bb.148:
	v_add_nc_u32_e32 v29, -8, v31
	s_or_b32 s41, s41, exec_lo
	ds_load_b64 v[31:32], v29
	v_mul_u32_u24_e32 v29, 15, v0
	s_delay_alu instid0(VALU_DEP_1) | instskip(SKIP_2) | instid1(VALU_DEP_1)
	v_cmp_gt_u64_e32 vcc_lo, s[24:25], v[29:30]
	s_waitcnt lgkmcnt(0)
	v_cmp_ne_u64_e64 s0, v[31:32], v[25:26]
	s_and_b32 s0, vcc_lo, s0
	s_delay_alu instid0(SALU_CYCLE_1)
	s_and_b32 s0, s0, exec_lo
	s_or_b32 exec_lo, exec_lo, s2
	v_mov_b32_e32 v93, s1
	s_and_saveexec_b32 s1, s41
	s_cbranch_execz .LBB794_73
	s_branch .LBB794_72
.LBB794_149:
	s_or_b32 exec_lo, exec_lo, s17
	s_and_saveexec_b32 s17, s13
	s_cbranch_execz .LBB794_123
.LBB794_150:
	v_sub_nc_u32_e32 v83, v61, v31
	v_mov_b32_e32 v84, 0
	s_delay_alu instid0(VALU_DEP_1) | instskip(NEXT) | instid1(VALU_DEP_1)
	v_lshlrev_b64 v[83:84], 3, v[83:84]
	v_add_co_u32 v83, vcc_lo, v30, v83
	s_delay_alu instid0(VALU_DEP_2)
	v_add_co_ci_u32_e32 v84, vcc_lo, v81, v84, vcc_lo
	global_store_b64 v[83:84], v[27:28], off
	s_or_b32 exec_lo, exec_lo, s17
	s_and_saveexec_b32 s17, s12
	s_cbranch_execnz .LBB794_124
.LBB794_151:
	s_or_b32 exec_lo, exec_lo, s17
	s_and_saveexec_b32 s17, s11
	s_cbranch_execz .LBB794_125
.LBB794_152:
	v_sub_nc_u32_e32 v83, v53, v31
	v_mov_b32_e32 v84, 0
	s_delay_alu instid0(VALU_DEP_1) | instskip(NEXT) | instid1(VALU_DEP_1)
	v_lshlrev_b64 v[83:84], 3, v[83:84]
	v_add_co_u32 v83, vcc_lo, v30, v83
	s_delay_alu instid0(VALU_DEP_2)
	v_add_co_ci_u32_e32 v84, vcc_lo, v81, v84, vcc_lo
	global_store_b64 v[83:84], v[23:24], off
	s_or_b32 exec_lo, exec_lo, s17
	s_and_saveexec_b32 s17, s10
	s_cbranch_execnz .LBB794_126
.LBB794_153:
	s_or_b32 exec_lo, exec_lo, s17
	s_and_saveexec_b32 s17, s9
	s_cbranch_execz .LBB794_127
.LBB794_154:
	v_sub_nc_u32_e32 v83, v43, v31
	v_mov_b32_e32 v84, 0
	s_delay_alu instid0(VALU_DEP_1) | instskip(NEXT) | instid1(VALU_DEP_1)
	v_lshlrev_b64 v[83:84], 3, v[83:84]
	v_add_co_u32 v83, vcc_lo, v30, v83
	s_delay_alu instid0(VALU_DEP_2)
	v_add_co_ci_u32_e32 v84, vcc_lo, v81, v84, vcc_lo
	global_store_b64 v[83:84], v[19:20], off
	s_or_b32 exec_lo, exec_lo, s17
	s_and_saveexec_b32 s17, s7
	s_cbranch_execnz .LBB794_128
.LBB794_155:
	s_or_b32 exec_lo, exec_lo, s17
	s_and_saveexec_b32 s17, s5
	s_cbranch_execz .LBB794_129
.LBB794_156:
	v_sub_nc_u32_e32 v83, v45, v31
	v_mov_b32_e32 v84, 0
	s_delay_alu instid0(VALU_DEP_1) | instskip(NEXT) | instid1(VALU_DEP_1)
	v_lshlrev_b64 v[83:84], 3, v[83:84]
	v_add_co_u32 v83, vcc_lo, v30, v83
	s_delay_alu instid0(VALU_DEP_2)
	v_add_co_ci_u32_e32 v84, vcc_lo, v81, v84, vcc_lo
	global_store_b64 v[83:84], v[15:16], off
	s_or_b32 exec_lo, exec_lo, s17
	s_and_saveexec_b32 s17, s8
	s_cbranch_execnz .LBB794_130
.LBB794_157:
	s_or_b32 exec_lo, exec_lo, s17
	s_and_saveexec_b32 s17, s6
	s_cbranch_execz .LBB794_131
.LBB794_158:
	v_sub_nc_u32_e32 v83, v33, v31
	v_mov_b32_e32 v84, 0
	s_delay_alu instid0(VALU_DEP_1) | instskip(NEXT) | instid1(VALU_DEP_1)
	v_lshlrev_b64 v[83:84], 3, v[83:84]
	v_add_co_u32 v83, vcc_lo, v30, v83
	s_delay_alu instid0(VALU_DEP_2)
	v_add_co_ci_u32_e32 v84, vcc_lo, v81, v84, vcc_lo
	global_store_b64 v[83:84], v[11:12], off
	s_or_b32 exec_lo, exec_lo, s17
	s_and_saveexec_b32 s17, s4
	s_cbranch_execnz .LBB794_132
.LBB794_159:
	s_or_b32 exec_lo, exec_lo, s17
	s_and_saveexec_b32 s17, s3
	s_cbranch_execz .LBB794_133
.LBB794_160:
	v_sub_nc_u32_e32 v83, v39, v31
	v_mov_b32_e32 v84, 0
	s_delay_alu instid0(VALU_DEP_1) | instskip(NEXT) | instid1(VALU_DEP_1)
	v_lshlrev_b64 v[83:84], 3, v[83:84]
	v_add_co_u32 v83, vcc_lo, v30, v83
	s_delay_alu instid0(VALU_DEP_2)
	v_add_co_ci_u32_e32 v84, vcc_lo, v81, v84, vcc_lo
	global_store_b64 v[83:84], v[7:8], off
	s_or_b32 exec_lo, exec_lo, s17
	s_and_saveexec_b32 s17, s2
	s_cbranch_execnz .LBB794_134
.LBB794_161:
	s_or_b32 exec_lo, exec_lo, s17
	s_and_saveexec_b32 s17, s1
	s_cbranch_execz .LBB794_163
.LBB794_162:
	v_sub_nc_u32_e32 v83, v59, v31
	v_mov_b32_e32 v84, 0
	s_delay_alu instid0(VALU_DEP_1) | instskip(NEXT) | instid1(VALU_DEP_1)
	v_lshlrev_b64 v[83:84], 3, v[83:84]
	v_add_co_u32 v83, vcc_lo, v30, v83
	s_delay_alu instid0(VALU_DEP_2)
	v_add_co_ci_u32_e32 v84, vcc_lo, v81, v84, vcc_lo
	global_store_b64 v[83:84], v[3:4], off
.LBB794_163:
	s_or_b32 exec_lo, exec_lo, s17
	s_delay_alu instid0(SALU_CYCLE_1)
	s_and_b32 s17, s0, exec_lo
	s_and_not1_saveexec_b32 s15, s15
	s_cbranch_execnz .LBB794_145
.LBB794_164:
	s_or_b32 exec_lo, exec_lo, s15
	s_delay_alu instid0(SALU_CYCLE_1)
	s_and_b32 exec_lo, exec_lo, s17
	s_cbranch_execz .LBB794_166
.LBB794_165:
	v_sub_nc_u32_e32 v83, v51, v31
	v_mov_b32_e32 v84, 0
	s_delay_alu instid0(VALU_DEP_1) | instskip(NEXT) | instid1(VALU_DEP_1)
	v_lshlrev_b64 v[83:84], 3, v[83:84]
	v_add_co_u32 v83, vcc_lo, v30, v83
	s_delay_alu instid0(VALU_DEP_2)
	v_add_co_ci_u32_e32 v84, vcc_lo, v81, v84, vcc_lo
	global_store_b64 v[83:84], v[37:38], off
.LBB794_166:
	s_or_b32 exec_lo, exec_lo, s16
	s_mov_b32 s16, 0
.LBB794_167:
	s_delay_alu instid0(SALU_CYCLE_1)
	s_and_b32 vcc_lo, exec_lo, s16
	s_cbranch_vccz .LBB794_208
; %bb.168:
	s_mov_b32 s15, exec_lo
	v_cmpx_gt_i16_e32 2, v82
	s_cbranch_execz .LBB794_204
; %bb.169:
	s_mov_b32 s17, 0
	s_mov_b32 s16, exec_lo
	v_cmpx_ne_u16_e32 1, v82
	s_xor_b32 s16, exec_lo, s16
	s_cbranch_execz .LBB794_184
; %bb.170:
	s_and_saveexec_b32 s17, s14
	s_cbranch_execz .LBB794_187
; %bb.171:
	v_sub_nc_u32_e32 v82, v55, v31
	s_delay_alu instid0(VALU_DEP_1)
	v_lshlrev_b32_e32 v82, 3, v82
	ds_store_b64 v82, v[25:26]
	s_or_b32 exec_lo, exec_lo, s17
	s_and_saveexec_b32 s14, s13
	s_cbranch_execnz .LBB794_188
.LBB794_172:
	s_or_b32 exec_lo, exec_lo, s14
	s_and_saveexec_b32 s13, s12
	s_cbranch_execz .LBB794_189
.LBB794_173:
	v_sub_nc_u32_e32 v25, v57, v31
	s_delay_alu instid0(VALU_DEP_1)
	v_lshlrev_b32_e32 v25, 3, v25
	ds_store_b64 v25, v[21:22]
	s_or_b32 exec_lo, exec_lo, s13
	s_and_saveexec_b32 s12, s11
	s_cbranch_execnz .LBB794_190
.LBB794_174:
	s_or_b32 exec_lo, exec_lo, s12
	s_and_saveexec_b32 s11, s10
	s_cbranch_execz .LBB794_191
.LBB794_175:
	v_sub_nc_u32_e32 v21, v47, v31
	s_delay_alu instid0(VALU_DEP_1)
	v_lshlrev_b32_e32 v21, 3, v21
	ds_store_b64 v21, v[17:18]
	s_or_b32 exec_lo, exec_lo, s11
	s_and_saveexec_b32 s10, s9
	s_cbranch_execnz .LBB794_192
.LBB794_176:
	s_or_b32 exec_lo, exec_lo, s10
	s_and_saveexec_b32 s9, s7
	s_cbranch_execz .LBB794_193
.LBB794_177:
	v_sub_nc_u32_e32 v17, v41, v31
	s_delay_alu instid0(VALU_DEP_1)
	v_lshlrev_b32_e32 v17, 3, v17
	ds_store_b64 v17, v[13:14]
	s_or_b32 exec_lo, exec_lo, s9
	s_and_saveexec_b32 s7, s5
	s_cbranch_execnz .LBB794_194
.LBB794_178:
	s_or_b32 exec_lo, exec_lo, s7
	s_and_saveexec_b32 s5, s8
	s_cbranch_execz .LBB794_195
.LBB794_179:
	v_sub_nc_u32_e32 v13, v49, v31
	s_delay_alu instid0(VALU_DEP_1)
	v_lshlrev_b32_e32 v13, 3, v13
	ds_store_b64 v13, v[9:10]
	s_or_b32 exec_lo, exec_lo, s5
	s_and_saveexec_b32 s5, s6
	s_cbranch_execnz .LBB794_196
.LBB794_180:
	s_or_b32 exec_lo, exec_lo, s5
	s_and_saveexec_b32 s5, s4
	s_cbranch_execz .LBB794_197
.LBB794_181:
	v_sub_nc_u32_e32 v9, v35, v31
	s_delay_alu instid0(VALU_DEP_1)
	v_lshlrev_b32_e32 v9, 3, v9
	ds_store_b64 v9, v[5:6]
	s_or_b32 exec_lo, exec_lo, s5
	s_and_saveexec_b32 s4, s3
	s_cbranch_execnz .LBB794_198
.LBB794_182:
	s_or_b32 exec_lo, exec_lo, s4
	s_and_saveexec_b32 s3, s2
	s_cbranch_execz .LBB794_199
.LBB794_183:
	v_sub_nc_u32_e32 v5, v63, v31
	s_delay_alu instid0(VALU_DEP_1)
	v_lshlrev_b32_e32 v5, 3, v5
	ds_store_b64 v5, v[1:2]
	s_or_b32 exec_lo, exec_lo, s3
	s_and_saveexec_b32 s2, s1
	s_cbranch_execnz .LBB794_200
	s_branch .LBB794_201
.LBB794_184:
	s_and_not1_saveexec_b32 s0, s16
	s_cbranch_execz .LBB794_202
.LBB794_185:
	v_sub_nc_u32_e32 v82, v55, v31
	v_sub_nc_u32_e32 v83, v61, v31
	;; [unrolled: 1-line block ×4, first 2 shown]
	s_or_b32 s17, s17, exec_lo
	v_lshlrev_b32_e32 v82, 3, v82
	v_lshlrev_b32_e32 v83, 3, v83
	v_lshlrev_b32_e32 v85, 3, v85
	v_lshlrev_b32_e32 v84, 3, v84
	ds_store_b64 v82, v[25:26]
	ds_store_b64 v83, v[27:28]
	ds_store_b64 v84, v[21:22]
	v_sub_nc_u32_e32 v21, v47, v31
	v_sub_nc_u32_e32 v22, v43, v31
	ds_store_b64 v85, v[23:24]
	v_sub_nc_u32_e32 v23, v41, v31
	v_sub_nc_u32_e32 v24, v45, v31
	v_lshlrev_b32_e32 v21, 3, v21
	v_sub_nc_u32_e32 v25, v49, v31
	v_lshlrev_b32_e32 v22, 3, v22
	v_lshlrev_b32_e32 v23, 3, v23
	;; [unrolled: 1-line block ×3, first 2 shown]
	ds_store_b64 v21, v[17:18]
	v_lshlrev_b32_e32 v17, 3, v25
	ds_store_b64 v22, v[19:20]
	ds_store_b64 v23, v[13:14]
	;; [unrolled: 1-line block ×3, first 2 shown]
	v_sub_nc_u32_e32 v13, v33, v31
	v_sub_nc_u32_e32 v15, v59, v31
	;; [unrolled: 1-line block ×3, first 2 shown]
	ds_store_b64 v17, v[9:10]
	v_sub_nc_u32_e32 v9, v35, v31
	v_lshlrev_b32_e32 v13, 3, v13
	v_sub_nc_u32_e32 v10, v39, v31
	v_lshlrev_b32_e32 v14, 3, v14
	s_delay_alu instid0(VALU_DEP_4)
	v_lshlrev_b32_e32 v9, 3, v9
	ds_store_b64 v13, v[11:12]
	v_lshlrev_b32_e32 v11, 3, v15
	v_lshlrev_b32_e32 v10, 3, v10
	ds_store_b64 v9, v[5:6]
	ds_store_b64 v10, v[7:8]
	;; [unrolled: 1-line block ×4, first 2 shown]
	s_or_b32 exec_lo, exec_lo, s0
	s_delay_alu instid0(SALU_CYCLE_1)
	s_and_b32 exec_lo, exec_lo, s17
	s_cbranch_execnz .LBB794_203
	s_branch .LBB794_204
.LBB794_186:
	s_or_b32 exec_lo, exec_lo, s2
	v_mov_b32_e32 v93, s1
	s_and_saveexec_b32 s1, s41
	s_cbranch_execnz .LBB794_72
	s_branch .LBB794_73
.LBB794_187:
	s_or_b32 exec_lo, exec_lo, s17
	s_and_saveexec_b32 s14, s13
	s_cbranch_execz .LBB794_172
.LBB794_188:
	v_sub_nc_u32_e32 v25, v61, v31
	s_delay_alu instid0(VALU_DEP_1)
	v_lshlrev_b32_e32 v25, 3, v25
	ds_store_b64 v25, v[27:28]
	s_or_b32 exec_lo, exec_lo, s14
	s_and_saveexec_b32 s13, s12
	s_cbranch_execnz .LBB794_173
.LBB794_189:
	s_or_b32 exec_lo, exec_lo, s13
	s_and_saveexec_b32 s12, s11
	s_cbranch_execz .LBB794_174
.LBB794_190:
	v_sub_nc_u32_e32 v21, v53, v31
	s_delay_alu instid0(VALU_DEP_1)
	v_lshlrev_b32_e32 v21, 3, v21
	ds_store_b64 v21, v[23:24]
	s_or_b32 exec_lo, exec_lo, s12
	s_and_saveexec_b32 s11, s10
	s_cbranch_execnz .LBB794_175
.LBB794_191:
	s_or_b32 exec_lo, exec_lo, s11
	s_and_saveexec_b32 s10, s9
	s_cbranch_execz .LBB794_176
.LBB794_192:
	v_sub_nc_u32_e32 v17, v43, v31
	s_delay_alu instid0(VALU_DEP_1)
	v_lshlrev_b32_e32 v17, 3, v17
	ds_store_b64 v17, v[19:20]
	s_or_b32 exec_lo, exec_lo, s10
	s_and_saveexec_b32 s9, s7
	s_cbranch_execnz .LBB794_177
.LBB794_193:
	s_or_b32 exec_lo, exec_lo, s9
	s_and_saveexec_b32 s7, s5
	s_cbranch_execz .LBB794_178
.LBB794_194:
	v_sub_nc_u32_e32 v13, v45, v31
	s_delay_alu instid0(VALU_DEP_1)
	v_lshlrev_b32_e32 v13, 3, v13
	ds_store_b64 v13, v[15:16]
	s_or_b32 exec_lo, exec_lo, s7
	s_and_saveexec_b32 s5, s8
	s_cbranch_execnz .LBB794_179
.LBB794_195:
	s_or_b32 exec_lo, exec_lo, s5
	s_and_saveexec_b32 s5, s6
	s_cbranch_execz .LBB794_180
.LBB794_196:
	v_sub_nc_u32_e32 v9, v33, v31
	s_delay_alu instid0(VALU_DEP_1)
	v_lshlrev_b32_e32 v9, 3, v9
	ds_store_b64 v9, v[11:12]
	s_or_b32 exec_lo, exec_lo, s5
	s_and_saveexec_b32 s5, s4
	s_cbranch_execnz .LBB794_181
.LBB794_197:
	s_or_b32 exec_lo, exec_lo, s5
	s_and_saveexec_b32 s4, s3
	s_cbranch_execz .LBB794_182
.LBB794_198:
	v_sub_nc_u32_e32 v5, v39, v31
	s_delay_alu instid0(VALU_DEP_1)
	v_lshlrev_b32_e32 v5, 3, v5
	ds_store_b64 v5, v[7:8]
	s_or_b32 exec_lo, exec_lo, s4
	s_and_saveexec_b32 s3, s2
	s_cbranch_execnz .LBB794_183
.LBB794_199:
	s_or_b32 exec_lo, exec_lo, s3
	s_and_saveexec_b32 s2, s1
	s_cbranch_execz .LBB794_201
.LBB794_200:
	v_sub_nc_u32_e32 v1, v59, v31
	s_delay_alu instid0(VALU_DEP_1)
	v_lshlrev_b32_e32 v1, 3, v1
	ds_store_b64 v1, v[3:4]
.LBB794_201:
	s_or_b32 exec_lo, exec_lo, s2
	s_delay_alu instid0(SALU_CYCLE_1)
	s_and_b32 s17, s0, exec_lo
                                        ; implicit-def: $vgpr25_vgpr26
                                        ; implicit-def: $vgpr21_vgpr22
                                        ; implicit-def: $vgpr17_vgpr18
                                        ; implicit-def: $vgpr13_vgpr14
                                        ; implicit-def: $vgpr9_vgpr10
                                        ; implicit-def: $vgpr5_vgpr6
                                        ; implicit-def: $vgpr1_vgpr2
	s_and_not1_saveexec_b32 s0, s16
	s_cbranch_execnz .LBB794_185
.LBB794_202:
	s_or_b32 exec_lo, exec_lo, s0
	s_delay_alu instid0(SALU_CYCLE_1)
	s_and_b32 exec_lo, exec_lo, s17
	s_cbranch_execz .LBB794_204
.LBB794_203:
	v_sub_nc_u32_e32 v1, v51, v31
	s_delay_alu instid0(VALU_DEP_1)
	v_lshlrev_b32_e32 v1, 3, v1
	ds_store_b64 v1, v[37:38]
.LBB794_204:
	s_or_b32 exec_lo, exec_lo, s15
	s_delay_alu instid0(SALU_CYCLE_1)
	s_mov_b32 s1, exec_lo
	s_waitcnt lgkmcnt(0)
	s_waitcnt_vscnt null, 0x0
	s_barrier
	buffer_gl0_inv
	v_cmpx_lt_u32_e64 v0, v29
	s_cbranch_execz .LBB794_207
; %bb.205:
	v_dual_mov_b32 v2, 0 :: v_dual_lshlrev_b32 v3, 3, v0
	v_mov_b32_e32 v1, v0
	s_mov_b32 s2, 0
	.p2align	6
.LBB794_206:                            ; =>This Inner Loop Header: Depth=1
	ds_load_b64 v[4:5], v3
	v_lshlrev_b64 v[6:7], 3, v[1:2]
	v_add_nc_u32_e32 v1, 0x100, v1
	v_add_nc_u32_e32 v3, 0x800, v3
	s_delay_alu instid0(VALU_DEP_2) | instskip(NEXT) | instid1(VALU_DEP_4)
	v_cmp_ge_u32_e32 vcc_lo, v1, v29
	v_add_co_u32 v6, s0, v30, v6
	s_delay_alu instid0(VALU_DEP_1)
	v_add_co_ci_u32_e64 v7, s0, v81, v7, s0
	s_or_b32 s2, vcc_lo, s2
	s_waitcnt lgkmcnt(0)
	global_store_b64 v[6:7], v[4:5], off
	s_and_not1_b32 exec_lo, exec_lo, s2
	s_cbranch_execnz .LBB794_206
.LBB794_207:
	s_or_b32 exec_lo, exec_lo, s1
.LBB794_208:
	s_cmpk_lg_i32 s33, 0xf00
	v_cmp_eq_u32_e32 vcc_lo, 0, v0
	s_cselect_b32 s0, -1, 0
	v_cndmask_b32_e64 v8, 0, 1, s40
	s_and_b32 s0, s23, s0
	v_mad_i32_i24 v4, v0, -15, s33
	v_cndmask_b32_e64 v2, 0, 1, s0
	s_mul_hi_u32 s0, s33, 0x88888889
	s_and_b32 s1, vcc_lo, s40
	s_lshr_b32 s0, s0, 3
	v_sub_nc_u32_e32 v1, v29, v8
	v_cndmask_b32_e64 v5, v93, 0, s1
	v_cmp_eq_u32_e32 vcc_lo, s0, v0
	v_cmp_ne_u32_e64 s0, 0, v4
	s_mov_b32 s16, -1
	s_waitcnt_vscnt null, 0x0
	s_barrier
	s_and_b32 vcc_lo, s23, vcc_lo
	v_add_nc_u32_e32 v3, v1, v2
	v_cndmask_b32_e64 v1, 1, v5, s0
	v_cmp_ne_u32_e64 s0, 1, v4
	buffer_gl0_inv
	v_cndmask_b32_e64 v2, 1, v80, s0
	v_cmp_ne_u32_e64 s0, 2, v4
	s_delay_alu instid0(VALU_DEP_2) | instskip(NEXT) | instid1(VALU_DEP_2)
	v_dual_cndmask_b32 v12, v5, v1 :: v_dual_cndmask_b32 v13, v80, v2
	v_cndmask_b32_e64 v6, 1, v79, s0
	v_cmp_ne_u32_e64 s0, 14, v4
	s_delay_alu instid0(VALU_DEP_3) | instskip(NEXT) | instid1(VALU_DEP_4)
	v_cmp_ne_u32_e64 s14, 0, v12
	v_cmp_ne_u32_e64 s13, 0, v13
	s_delay_alu instid0(VALU_DEP_4) | instskip(NEXT) | instid1(VALU_DEP_4)
	v_cndmask_b32_e32 v14, v79, v6, vcc_lo
	v_cndmask_b32_e64 v7, 1, v73, s0
	v_cmp_ne_u32_e64 s0, 3, v4
	s_delay_alu instid0(VALU_DEP_3) | instskip(NEXT) | instid1(VALU_DEP_3)
	v_cmp_ne_u32_e64 s12, 0, v14
	v_cndmask_b32_e32 v11, v73, v7, vcc_lo
	s_delay_alu instid0(VALU_DEP_3) | instskip(SKIP_1) | instid1(VALU_DEP_1)
	v_cndmask_b32_e64 v9, 1, v78, s0
	v_cmp_ne_u32_e64 s0, 4, v4
	v_cndmask_b32_e64 v10, 1, v77, s0
	v_cmp_ne_u32_e64 s0, 5, v4
	s_delay_alu instid0(VALU_DEP_2) | instskip(NEXT) | instid1(VALU_DEP_2)
	v_dual_cndmask_b32 v9, v78, v9 :: v_dual_cndmask_b32 v10, v77, v10
	v_cndmask_b32_e64 v1, 1, v76, s0
	v_cmp_ne_u32_e64 s0, 6, v4
	s_delay_alu instid0(VALU_DEP_3) | instskip(NEXT) | instid1(VALU_DEP_4)
	v_cmp_ne_u32_e64 s11, 0, v9
	v_cmp_ne_u32_e64 s10, 0, v10
	s_delay_alu instid0(VALU_DEP_4) | instskip(NEXT) | instid1(VALU_DEP_4)
	v_cndmask_b32_e32 v18, v76, v1, vcc_lo
	v_cndmask_b32_e64 v2, 1, v75, s0
	v_cmp_eq_u32_e64 s0, 0, v12
	s_delay_alu instid0(VALU_DEP_3) | instskip(NEXT) | instid1(VALU_DEP_3)
	v_cmp_ne_u32_e64 s9, 0, v18
	v_cndmask_b32_e32 v20, v75, v2, vcc_lo
	s_delay_alu instid0(VALU_DEP_3) | instskip(SKIP_1) | instid1(VALU_DEP_3)
	v_cndmask_b32_e64 v5, 1, 2, s0
	v_cmp_eq_u32_e64 s0, 0, v13
	v_cmp_ne_u32_e64 s8, 0, v20
	s_delay_alu instid0(VALU_DEP_2) | instskip(SKIP_1) | instid1(VALU_DEP_2)
	v_cndmask_b32_e64 v7, 1, 2, s0
	v_cmp_ne_u32_e64 s0, 7, v4
	v_and_b32_e32 v5, v7, v5
	s_delay_alu instid0(VALU_DEP_2) | instskip(SKIP_1) | instid1(VALU_DEP_2)
	v_cndmask_b32_e64 v6, 1, v74, s0
	v_cmp_eq_u32_e64 s0, 0, v14
	v_cndmask_b32_e32 v21, v74, v6, vcc_lo
	s_delay_alu instid0(VALU_DEP_2) | instskip(SKIP_1) | instid1(VALU_DEP_3)
	v_cndmask_b32_e64 v7, 1, 2, s0
	v_cmp_ne_u32_e64 s0, 8, v4
	v_cmp_ne_u32_e64 s7, 0, v21
	s_delay_alu instid0(VALU_DEP_3) | instskip(NEXT) | instid1(VALU_DEP_3)
	v_and_b32_e32 v5, v5, v7
	v_cndmask_b32_e64 v15, 1, v72, s0
	v_cmp_ne_u32_e64 s0, 9, v4
	s_delay_alu instid0(VALU_DEP_2) | instskip(NEXT) | instid1(VALU_DEP_2)
	v_cndmask_b32_e32 v15, v72, v15, vcc_lo
	v_cndmask_b32_e64 v16, 1, v71, s0
	v_cmp_eq_u32_e64 s0, 0, v9
	s_delay_alu instid0(VALU_DEP_2) | instskip(NEXT) | instid1(VALU_DEP_2)
	v_cndmask_b32_e32 v16, v71, v16, vcc_lo
	v_cndmask_b32_e64 v7, 1, 2, s0
	v_cmp_ne_u32_e64 s0, 10, v4
	s_delay_alu instid0(VALU_DEP_3) | instskip(NEXT) | instid1(VALU_DEP_3)
	v_cmp_ne_u32_e64 s5, 0, v16
	v_and_b32_e32 v1, v5, v7
	s_delay_alu instid0(VALU_DEP_3) | instskip(SKIP_1) | instid1(VALU_DEP_2)
	v_cndmask_b32_e64 v17, 1, v70, s0
	v_cmp_eq_u32_e64 s0, 0, v10
	v_cndmask_b32_e32 v17, v70, v17, vcc_lo
	s_delay_alu instid0(VALU_DEP_2) | instskip(SKIP_1) | instid1(VALU_DEP_3)
	v_cndmask_b32_e64 v5, 1, 2, s0
	v_cmp_ne_u32_e64 s0, 11, v4
	v_cmp_ne_u32_e64 s4, 0, v17
	s_delay_alu instid0(VALU_DEP_3) | instskip(NEXT) | instid1(VALU_DEP_3)
	v_and_b32_e32 v1, v1, v5
	v_cndmask_b32_e64 v7, 1, v69, s0
	v_cmp_ne_u32_e64 s0, 13, v4
	s_delay_alu instid0(VALU_DEP_2) | instskip(NEXT) | instid1(VALU_DEP_2)
	v_cndmask_b32_e32 v23, v69, v7, vcc_lo
	v_cndmask_b32_e64 v19, 1, v67, s0
	v_cmp_eq_u32_e64 s0, 0, v18
	s_delay_alu instid0(VALU_DEP_1) | instskip(SKIP_1) | instid1(VALU_DEP_2)
	v_cndmask_b32_e64 v5, 1, 2, s0
	v_cmp_ne_u32_e64 s0, 12, v4
	v_and_b32_e32 v1, v1, v5
	s_delay_alu instid0(VALU_DEP_2) | instskip(SKIP_1) | instid1(VALU_DEP_2)
	v_cndmask_b32_e64 v2, 1, v68, s0
	v_cmp_eq_u32_e64 s0, 0, v20
	v_cndmask_b32_e32 v22, v68, v2, vcc_lo
	s_delay_alu instid0(VALU_DEP_2)
	v_cndmask_b32_e64 v4, 1, 2, s0
	v_cmp_eq_u32_e64 s0, 0, v21
	v_cndmask_b32_e32 v19, v67, v19, vcc_lo
	v_cmp_eq_u32_e32 vcc_lo, 0, v15
	v_cmp_ne_u32_e64 s2, 0, v22
	v_and_b32_e32 v6, v1, v4
	v_lshlrev_b64 v[1:2], 2, v[65:66]
	v_cndmask_b32_e64 v7, 1, 2, s0
	v_lshlrev_b64 v[4:5], 2, v[31:32]
	v_cmp_ne_u32_e64 s1, 0, v19
	v_cmp_ne_u32_e64 s0, 0, v11
	s_delay_alu instid0(VALU_DEP_4) | instskip(SKIP_4) | instid1(VALU_DEP_4)
	v_and_b32_e32 v6, v6, v7
	v_cndmask_b32_e64 v7, 1, 2, vcc_lo
	v_add_co_u32 v1, vcc_lo, s28, v1
	v_add_co_ci_u32_e32 v2, vcc_lo, s29, v2, vcc_lo
	v_cmp_eq_u32_e32 vcc_lo, 0, v16
	v_and_b32_e32 v6, v6, v7
	v_cndmask_b32_e64 v7, 1, 2, vcc_lo
	v_add_co_u32 v4, vcc_lo, v1, v4
	v_add_co_ci_u32_e32 v5, vcc_lo, v2, v5, vcc_lo
	v_cmp_eq_u32_e32 vcc_lo, 0, v17
	v_lshlrev_b32_e32 v1, 2, v8
	v_and_b32_e32 v2, v6, v7
	v_cndmask_b32_e64 v6, 1, 2, vcc_lo
	s_delay_alu instid0(VALU_DEP_3) | instskip(SKIP_1) | instid1(VALU_DEP_3)
	v_add_co_u32 v1, vcc_lo, v1, v4
	v_add_co_ci_u32_e32 v7, vcc_lo, 0, v5, vcc_lo
	v_and_b32_e32 v2, v2, v6
	v_cmp_eq_u32_e32 vcc_lo, 0, v23
	v_cmp_ne_u32_e64 s3, 0, v23
	v_cndmask_b32_e64 v24, 1, 2, vcc_lo
	v_add_co_u32 v6, vcc_lo, v1, -4
	v_add_co_ci_u32_e32 v7, vcc_lo, -1, v7, vcc_lo
	v_cmp_eq_u32_e32 vcc_lo, 0, v22
	v_add_nc_u32_e32 v1, v31, v8
	v_and_b32_e32 v2, v2, v24
	v_cmp_ne_u32_e64 s6, 0, v15
	v_cndmask_b32_e64 v8, 1, 2, vcc_lo
	v_cmp_eq_u32_e32 vcc_lo, 0, v19
	s_delay_alu instid0(VALU_DEP_2) | instskip(SKIP_2) | instid1(VALU_DEP_2)
	v_and_b32_e32 v2, v2, v8
	v_cndmask_b32_e64 v8, 1, 2, vcc_lo
	v_cmp_eq_u32_e32 vcc_lo, 0, v11
	v_and_b32_e32 v2, v2, v8
	v_cndmask_b32_e64 v8, 1, 2, vcc_lo
	v_cmp_gt_u32_e32 vcc_lo, 0x100, v3
	s_delay_alu instid0(VALU_DEP_2) | instskip(NEXT) | instid1(VALU_DEP_1)
	v_and_b32_e32 v2, v2, v8
	v_cmp_gt_i16_e64 s15, 2, v2
	s_cbranch_vccz .LBB794_225
; %bb.209:
	s_delay_alu instid0(VALU_DEP_1)
	s_and_saveexec_b32 s16, s15
	s_cbranch_execz .LBB794_263
; %bb.210:
	s_mov_b32 s17, 0
	s_mov_b32 s15, exec_lo
	v_cmpx_ne_u16_e32 1, v2
	s_xor_b32 s15, exec_lo, s15
	s_cbranch_execz .LBB794_242
; %bb.211:
	s_and_saveexec_b32 s17, s14
	s_cbranch_execz .LBB794_246
; %bb.212:
	v_sub_nc_u32_e32 v8, v55, v1
	v_mov_b32_e32 v9, 0
	s_delay_alu instid0(VALU_DEP_1) | instskip(NEXT) | instid1(VALU_DEP_1)
	v_lshlrev_b64 v[8:9], 2, v[8:9]
	v_add_co_u32 v8, vcc_lo, v6, v8
	s_delay_alu instid0(VALU_DEP_2)
	v_add_co_ci_u32_e32 v9, vcc_lo, v7, v9, vcc_lo
	global_store_b32 v[8:9], v56, off
	s_or_b32 exec_lo, exec_lo, s17
	s_and_saveexec_b32 s17, s13
	s_cbranch_execnz .LBB794_247
.LBB794_213:
	s_or_b32 exec_lo, exec_lo, s17
	s_and_saveexec_b32 s17, s12
	s_cbranch_execz .LBB794_248
.LBB794_214:
	v_sub_nc_u32_e32 v8, v57, v1
	v_mov_b32_e32 v9, 0
	s_delay_alu instid0(VALU_DEP_1) | instskip(NEXT) | instid1(VALU_DEP_1)
	v_lshlrev_b64 v[8:9], 2, v[8:9]
	v_add_co_u32 v8, vcc_lo, v6, v8
	s_delay_alu instid0(VALU_DEP_2)
	v_add_co_ci_u32_e32 v9, vcc_lo, v7, v9, vcc_lo
	global_store_b32 v[8:9], v58, off
	s_or_b32 exec_lo, exec_lo, s17
	s_and_saveexec_b32 s17, s11
	s_cbranch_execnz .LBB794_249
.LBB794_215:
	s_or_b32 exec_lo, exec_lo, s17
	s_and_saveexec_b32 s17, s10
	s_cbranch_execz .LBB794_250
.LBB794_216:
	v_sub_nc_u32_e32 v8, v47, v1
	v_mov_b32_e32 v9, 0
	s_delay_alu instid0(VALU_DEP_1) | instskip(NEXT) | instid1(VALU_DEP_1)
	v_lshlrev_b64 v[8:9], 2, v[8:9]
	v_add_co_u32 v8, vcc_lo, v6, v8
	s_delay_alu instid0(VALU_DEP_2)
	v_add_co_ci_u32_e32 v9, vcc_lo, v7, v9, vcc_lo
	global_store_b32 v[8:9], v48, off
	s_or_b32 exec_lo, exec_lo, s17
	s_and_saveexec_b32 s17, s9
	s_cbranch_execnz .LBB794_251
.LBB794_217:
	s_or_b32 exec_lo, exec_lo, s17
	s_and_saveexec_b32 s17, s8
	s_cbranch_execz .LBB794_252
.LBB794_218:
	v_sub_nc_u32_e32 v8, v41, v1
	v_mov_b32_e32 v9, 0
	s_delay_alu instid0(VALU_DEP_1) | instskip(NEXT) | instid1(VALU_DEP_1)
	v_lshlrev_b64 v[8:9], 2, v[8:9]
	v_add_co_u32 v8, vcc_lo, v6, v8
	s_delay_alu instid0(VALU_DEP_2)
	v_add_co_ci_u32_e32 v9, vcc_lo, v7, v9, vcc_lo
	global_store_b32 v[8:9], v42, off
	s_or_b32 exec_lo, exec_lo, s17
	s_and_saveexec_b32 s17, s7
	s_cbranch_execnz .LBB794_253
.LBB794_219:
	s_or_b32 exec_lo, exec_lo, s17
	s_and_saveexec_b32 s17, s6
	s_cbranch_execz .LBB794_254
.LBB794_220:
	v_sub_nc_u32_e32 v8, v49, v1
	v_mov_b32_e32 v9, 0
	s_delay_alu instid0(VALU_DEP_1) | instskip(NEXT) | instid1(VALU_DEP_1)
	v_lshlrev_b64 v[8:9], 2, v[8:9]
	v_add_co_u32 v8, vcc_lo, v6, v8
	s_delay_alu instid0(VALU_DEP_2)
	v_add_co_ci_u32_e32 v9, vcc_lo, v7, v9, vcc_lo
	global_store_b32 v[8:9], v50, off
	s_or_b32 exec_lo, exec_lo, s17
	s_and_saveexec_b32 s17, s5
	s_cbranch_execnz .LBB794_255
.LBB794_221:
	s_or_b32 exec_lo, exec_lo, s17
	s_and_saveexec_b32 s17, s4
	s_cbranch_execz .LBB794_256
.LBB794_222:
	v_sub_nc_u32_e32 v8, v35, v1
	v_mov_b32_e32 v9, 0
	s_delay_alu instid0(VALU_DEP_1) | instskip(NEXT) | instid1(VALU_DEP_1)
	v_lshlrev_b64 v[8:9], 2, v[8:9]
	v_add_co_u32 v8, vcc_lo, v6, v8
	s_delay_alu instid0(VALU_DEP_2)
	v_add_co_ci_u32_e32 v9, vcc_lo, v7, v9, vcc_lo
	global_store_b32 v[8:9], v36, off
	s_or_b32 exec_lo, exec_lo, s17
	s_and_saveexec_b32 s17, s3
	s_cbranch_execnz .LBB794_257
.LBB794_223:
	s_or_b32 exec_lo, exec_lo, s17
	s_and_saveexec_b32 s17, s2
	s_cbranch_execz .LBB794_258
.LBB794_224:
	v_sub_nc_u32_e32 v8, v63, v1
	v_mov_b32_e32 v9, 0
	s_delay_alu instid0(VALU_DEP_1) | instskip(NEXT) | instid1(VALU_DEP_1)
	v_lshlrev_b64 v[8:9], 2, v[8:9]
	v_add_co_u32 v8, vcc_lo, v6, v8
	s_delay_alu instid0(VALU_DEP_2)
	v_add_co_ci_u32_e32 v9, vcc_lo, v7, v9, vcc_lo
	global_store_b32 v[8:9], v64, off
	s_or_b32 exec_lo, exec_lo, s17
	s_and_saveexec_b32 s17, s1
	s_cbranch_execnz .LBB794_259
	s_branch .LBB794_260
.LBB794_225:
	s_and_b32 vcc_lo, exec_lo, s16
	s_cbranch_vccz .LBB794_264
; %bb.226:
	s_mov_b32 s15, exec_lo
	v_cmpx_gt_i16_e32 2, v2
	s_cbranch_execz .LBB794_282
; %bb.227:
	s_mov_b32 s17, 0
	s_mov_b32 s16, exec_lo
	v_cmpx_ne_u16_e32 1, v2
	s_xor_b32 s16, exec_lo, s16
	s_cbranch_execz .LBB794_244
; %bb.228:
	s_and_saveexec_b32 s17, s14
	s_cbranch_execz .LBB794_265
; %bb.229:
	v_sub_nc_u32_e32 v2, v55, v1
	s_delay_alu instid0(VALU_DEP_1)
	v_lshlrev_b32_e32 v2, 2, v2
	ds_store_b32 v2, v56
	s_or_b32 exec_lo, exec_lo, s17
	s_and_saveexec_b32 s14, s13
	s_cbranch_execnz .LBB794_266
.LBB794_230:
	s_or_b32 exec_lo, exec_lo, s14
	s_and_saveexec_b32 s13, s12
	s_cbranch_execz .LBB794_267
.LBB794_231:
	v_sub_nc_u32_e32 v2, v57, v1
	s_delay_alu instid0(VALU_DEP_1)
	v_lshlrev_b32_e32 v2, 2, v2
	ds_store_b32 v2, v58
	s_or_b32 exec_lo, exec_lo, s13
	s_and_saveexec_b32 s12, s11
	s_cbranch_execnz .LBB794_268
.LBB794_232:
	s_or_b32 exec_lo, exec_lo, s12
	s_and_saveexec_b32 s11, s10
	s_cbranch_execz .LBB794_269
.LBB794_233:
	v_sub_nc_u32_e32 v2, v47, v1
	s_delay_alu instid0(VALU_DEP_1)
	v_lshlrev_b32_e32 v2, 2, v2
	ds_store_b32 v2, v48
	s_or_b32 exec_lo, exec_lo, s11
	s_and_saveexec_b32 s10, s9
	s_cbranch_execnz .LBB794_270
.LBB794_234:
	s_or_b32 exec_lo, exec_lo, s10
	s_and_saveexec_b32 s9, s8
	s_cbranch_execz .LBB794_271
.LBB794_235:
	v_sub_nc_u32_e32 v2, v41, v1
	s_delay_alu instid0(VALU_DEP_1)
	v_lshlrev_b32_e32 v2, 2, v2
	ds_store_b32 v2, v42
	s_or_b32 exec_lo, exec_lo, s9
	s_and_saveexec_b32 s8, s7
	s_cbranch_execnz .LBB794_272
.LBB794_236:
	s_or_b32 exec_lo, exec_lo, s8
	s_and_saveexec_b32 s7, s6
	s_cbranch_execz .LBB794_273
.LBB794_237:
	v_sub_nc_u32_e32 v2, v49, v1
	s_delay_alu instid0(VALU_DEP_1)
	v_lshlrev_b32_e32 v2, 2, v2
	ds_store_b32 v2, v50
	s_or_b32 exec_lo, exec_lo, s7
	s_and_saveexec_b32 s6, s5
	s_cbranch_execnz .LBB794_274
.LBB794_238:
	s_or_b32 exec_lo, exec_lo, s6
	s_and_saveexec_b32 s5, s4
	s_cbranch_execz .LBB794_275
.LBB794_239:
	v_sub_nc_u32_e32 v2, v35, v1
	s_delay_alu instid0(VALU_DEP_1)
	v_lshlrev_b32_e32 v2, 2, v2
	ds_store_b32 v2, v36
	s_or_b32 exec_lo, exec_lo, s5
	s_and_saveexec_b32 s4, s3
	s_cbranch_execnz .LBB794_276
.LBB794_240:
	s_or_b32 exec_lo, exec_lo, s4
	s_and_saveexec_b32 s3, s2
	s_cbranch_execz .LBB794_277
.LBB794_241:
	v_sub_nc_u32_e32 v2, v63, v1
	s_delay_alu instid0(VALU_DEP_1)
	v_lshlrev_b32_e32 v2, 2, v2
	ds_store_b32 v2, v64
	s_or_b32 exec_lo, exec_lo, s3
	s_and_saveexec_b32 s2, s1
	s_cbranch_execnz .LBB794_278
	s_branch .LBB794_279
.LBB794_242:
	s_and_not1_saveexec_b32 s15, s15
	s_cbranch_execz .LBB794_261
.LBB794_243:
	v_sub_nc_u32_e32 v8, v55, v1
	v_mov_b32_e32 v9, 0
	s_or_b32 s17, s17, exec_lo
	s_delay_alu instid0(VALU_DEP_1) | instskip(SKIP_1) | instid1(VALU_DEP_1)
	v_lshlrev_b64 v[10:11], 2, v[8:9]
	v_sub_nc_u32_e32 v8, v61, v1
	v_lshlrev_b64 v[12:13], 2, v[8:9]
	v_sub_nc_u32_e32 v8, v57, v1
	s_delay_alu instid0(VALU_DEP_4) | instskip(SKIP_1) | instid1(VALU_DEP_3)
	v_add_co_u32 v10, vcc_lo, v6, v10
	v_add_co_ci_u32_e32 v11, vcc_lo, v7, v11, vcc_lo
	v_lshlrev_b64 v[14:15], 2, v[8:9]
	v_sub_nc_u32_e32 v8, v53, v1
	v_add_co_u32 v12, vcc_lo, v6, v12
	v_add_co_ci_u32_e32 v13, vcc_lo, v7, v13, vcc_lo
	global_store_b32 v[10:11], v56, off
	v_lshlrev_b64 v[10:11], 2, v[8:9]
	v_sub_nc_u32_e32 v8, v47, v1
	global_store_b32 v[12:13], v62, off
	v_add_co_u32 v12, vcc_lo, v6, v14
	v_add_co_ci_u32_e32 v13, vcc_lo, v7, v15, vcc_lo
	v_lshlrev_b64 v[14:15], 2, v[8:9]
	v_sub_nc_u32_e32 v8, v43, v1
	v_add_co_u32 v10, vcc_lo, v6, v10
	v_add_co_ci_u32_e32 v11, vcc_lo, v7, v11, vcc_lo
	s_delay_alu instid0(VALU_DEP_3) | instskip(SKIP_3) | instid1(VALU_DEP_3)
	v_lshlrev_b64 v[16:17], 2, v[8:9]
	v_sub_nc_u32_e32 v8, v41, v1
	v_add_co_u32 v14, vcc_lo, v6, v14
	v_add_co_ci_u32_e32 v15, vcc_lo, v7, v15, vcc_lo
	v_lshlrev_b64 v[18:19], 2, v[8:9]
	v_sub_nc_u32_e32 v8, v45, v1
	v_add_co_u32 v16, vcc_lo, v6, v16
	v_add_co_ci_u32_e32 v17, vcc_lo, v7, v17, vcc_lo
	s_clause 0x3
	global_store_b32 v[12:13], v58, off
	global_store_b32 v[10:11], v54, off
	global_store_b32 v[14:15], v48, off
	global_store_b32 v[16:17], v44, off
	v_lshlrev_b64 v[10:11], 2, v[8:9]
	v_sub_nc_u32_e32 v8, v49, v1
	v_add_co_u32 v12, vcc_lo, v6, v18
	v_add_co_ci_u32_e32 v13, vcc_lo, v7, v19, vcc_lo
	s_delay_alu instid0(VALU_DEP_3) | instskip(SKIP_3) | instid1(VALU_DEP_3)
	v_lshlrev_b64 v[14:15], 2, v[8:9]
	v_sub_nc_u32_e32 v8, v33, v1
	v_add_co_u32 v10, vcc_lo, v6, v10
	v_add_co_ci_u32_e32 v11, vcc_lo, v7, v11, vcc_lo
	v_lshlrev_b64 v[16:17], 2, v[8:9]
	v_sub_nc_u32_e32 v8, v35, v1
	v_add_co_u32 v14, vcc_lo, v6, v14
	v_add_co_ci_u32_e32 v15, vcc_lo, v7, v15, vcc_lo
	s_delay_alu instid0(VALU_DEP_3)
	v_lshlrev_b64 v[18:19], 2, v[8:9]
	v_sub_nc_u32_e32 v8, v39, v1
	v_add_co_u32 v16, vcc_lo, v6, v16
	v_add_co_ci_u32_e32 v17, vcc_lo, v7, v17, vcc_lo
	s_clause 0x3
	global_store_b32 v[12:13], v42, off
	global_store_b32 v[10:11], v46, off
	;; [unrolled: 1-line block ×4, first 2 shown]
	v_lshlrev_b64 v[10:11], 2, v[8:9]
	v_sub_nc_u32_e32 v8, v63, v1
	v_add_co_u32 v12, vcc_lo, v6, v18
	v_add_co_ci_u32_e32 v13, vcc_lo, v7, v19, vcc_lo
	s_delay_alu instid0(VALU_DEP_3) | instskip(SKIP_3) | instid1(VALU_DEP_3)
	v_lshlrev_b64 v[14:15], 2, v[8:9]
	v_sub_nc_u32_e32 v8, v59, v1
	v_add_co_u32 v10, vcc_lo, v6, v10
	v_add_co_ci_u32_e32 v11, vcc_lo, v7, v11, vcc_lo
	v_lshlrev_b64 v[8:9], 2, v[8:9]
	v_add_co_u32 v14, vcc_lo, v6, v14
	v_add_co_ci_u32_e32 v15, vcc_lo, v7, v15, vcc_lo
	s_clause 0x2
	global_store_b32 v[12:13], v36, off
	global_store_b32 v[10:11], v40, off
	;; [unrolled: 1-line block ×3, first 2 shown]
	v_add_co_u32 v8, vcc_lo, v6, v8
	v_add_co_ci_u32_e32 v9, vcc_lo, v7, v9, vcc_lo
	global_store_b32 v[8:9], v60, off
	s_or_b32 exec_lo, exec_lo, s15
	s_delay_alu instid0(SALU_CYCLE_1)
	s_and_b32 exec_lo, exec_lo, s17
	s_cbranch_execnz .LBB794_262
	s_branch .LBB794_263
.LBB794_244:
	s_and_not1_saveexec_b32 s0, s16
	s_cbranch_execz .LBB794_280
.LBB794_245:
	v_sub_nc_u32_e32 v2, v55, v1
	v_sub_nc_u32_e32 v8, v61, v1
	;; [unrolled: 1-line block ×5, first 2 shown]
	v_lshlrev_b32_e32 v2, 2, v2
	v_lshlrev_b32_e32 v8, 2, v8
	;; [unrolled: 1-line block ×4, first 2 shown]
	s_or_b32 s17, s17, exec_lo
	ds_store_b32 v2, v56
	ds_store_b32 v8, v62
	;; [unrolled: 1-line block ×3, first 2 shown]
	v_sub_nc_u32_e32 v2, v47, v1
	v_sub_nc_u32_e32 v8, v43, v1
	;; [unrolled: 1-line block ×3, first 2 shown]
	ds_store_b32 v10, v54
	v_sub_nc_u32_e32 v10, v45, v1
	v_lshlrev_b32_e32 v2, 2, v2
	v_lshlrev_b32_e32 v8, 2, v8
	;; [unrolled: 1-line block ×3, first 2 shown]
	s_delay_alu instid0(VALU_DEP_4)
	v_lshlrev_b32_e32 v10, 2, v10
	ds_store_b32 v2, v48
	v_lshlrev_b32_e32 v2, 2, v11
	ds_store_b32 v8, v44
	ds_store_b32 v9, v42
	;; [unrolled: 1-line block ×3, first 2 shown]
	v_sub_nc_u32_e32 v8, v33, v1
	v_sub_nc_u32_e32 v11, v59, v1
	;; [unrolled: 1-line block ×3, first 2 shown]
	ds_store_b32 v2, v50
	v_sub_nc_u32_e32 v2, v35, v1
	v_lshlrev_b32_e32 v8, 2, v8
	v_sub_nc_u32_e32 v10, v63, v1
	v_lshlrev_b32_e32 v9, 2, v9
	s_delay_alu instid0(VALU_DEP_4)
	v_lshlrev_b32_e32 v2, 2, v2
	ds_store_b32 v8, v34
	v_lshlrev_b32_e32 v8, 2, v11
	v_lshlrev_b32_e32 v10, 2, v10
	ds_store_b32 v2, v36
	ds_store_b32 v9, v40
	;; [unrolled: 1-line block ×4, first 2 shown]
	s_or_b32 exec_lo, exec_lo, s0
	s_delay_alu instid0(SALU_CYCLE_1)
	s_and_b32 exec_lo, exec_lo, s17
	s_cbranch_execnz .LBB794_281
	s_branch .LBB794_282
.LBB794_246:
	s_or_b32 exec_lo, exec_lo, s17
	s_and_saveexec_b32 s17, s13
	s_cbranch_execz .LBB794_213
.LBB794_247:
	v_sub_nc_u32_e32 v8, v61, v1
	v_mov_b32_e32 v9, 0
	s_delay_alu instid0(VALU_DEP_1) | instskip(NEXT) | instid1(VALU_DEP_1)
	v_lshlrev_b64 v[8:9], 2, v[8:9]
	v_add_co_u32 v8, vcc_lo, v6, v8
	s_delay_alu instid0(VALU_DEP_2)
	v_add_co_ci_u32_e32 v9, vcc_lo, v7, v9, vcc_lo
	global_store_b32 v[8:9], v62, off
	s_or_b32 exec_lo, exec_lo, s17
	s_and_saveexec_b32 s17, s12
	s_cbranch_execnz .LBB794_214
.LBB794_248:
	s_or_b32 exec_lo, exec_lo, s17
	s_and_saveexec_b32 s17, s11
	s_cbranch_execz .LBB794_215
.LBB794_249:
	v_sub_nc_u32_e32 v8, v53, v1
	v_mov_b32_e32 v9, 0
	s_delay_alu instid0(VALU_DEP_1) | instskip(NEXT) | instid1(VALU_DEP_1)
	v_lshlrev_b64 v[8:9], 2, v[8:9]
	v_add_co_u32 v8, vcc_lo, v6, v8
	s_delay_alu instid0(VALU_DEP_2)
	v_add_co_ci_u32_e32 v9, vcc_lo, v7, v9, vcc_lo
	global_store_b32 v[8:9], v54, off
	s_or_b32 exec_lo, exec_lo, s17
	s_and_saveexec_b32 s17, s10
	s_cbranch_execnz .LBB794_216
.LBB794_250:
	s_or_b32 exec_lo, exec_lo, s17
	s_and_saveexec_b32 s17, s9
	s_cbranch_execz .LBB794_217
.LBB794_251:
	v_sub_nc_u32_e32 v8, v43, v1
	v_mov_b32_e32 v9, 0
	s_delay_alu instid0(VALU_DEP_1) | instskip(NEXT) | instid1(VALU_DEP_1)
	v_lshlrev_b64 v[8:9], 2, v[8:9]
	v_add_co_u32 v8, vcc_lo, v6, v8
	s_delay_alu instid0(VALU_DEP_2)
	v_add_co_ci_u32_e32 v9, vcc_lo, v7, v9, vcc_lo
	global_store_b32 v[8:9], v44, off
	s_or_b32 exec_lo, exec_lo, s17
	s_and_saveexec_b32 s17, s8
	s_cbranch_execnz .LBB794_218
.LBB794_252:
	s_or_b32 exec_lo, exec_lo, s17
	s_and_saveexec_b32 s17, s7
	s_cbranch_execz .LBB794_219
.LBB794_253:
	v_sub_nc_u32_e32 v8, v45, v1
	v_mov_b32_e32 v9, 0
	s_delay_alu instid0(VALU_DEP_1) | instskip(NEXT) | instid1(VALU_DEP_1)
	v_lshlrev_b64 v[8:9], 2, v[8:9]
	v_add_co_u32 v8, vcc_lo, v6, v8
	s_delay_alu instid0(VALU_DEP_2)
	v_add_co_ci_u32_e32 v9, vcc_lo, v7, v9, vcc_lo
	global_store_b32 v[8:9], v46, off
	s_or_b32 exec_lo, exec_lo, s17
	s_and_saveexec_b32 s17, s6
	s_cbranch_execnz .LBB794_220
.LBB794_254:
	s_or_b32 exec_lo, exec_lo, s17
	s_and_saveexec_b32 s17, s5
	s_cbranch_execz .LBB794_221
.LBB794_255:
	v_sub_nc_u32_e32 v8, v33, v1
	v_mov_b32_e32 v9, 0
	s_delay_alu instid0(VALU_DEP_1) | instskip(NEXT) | instid1(VALU_DEP_1)
	v_lshlrev_b64 v[8:9], 2, v[8:9]
	v_add_co_u32 v8, vcc_lo, v6, v8
	s_delay_alu instid0(VALU_DEP_2)
	v_add_co_ci_u32_e32 v9, vcc_lo, v7, v9, vcc_lo
	global_store_b32 v[8:9], v34, off
	s_or_b32 exec_lo, exec_lo, s17
	s_and_saveexec_b32 s17, s4
	s_cbranch_execnz .LBB794_222
.LBB794_256:
	s_or_b32 exec_lo, exec_lo, s17
	s_and_saveexec_b32 s17, s3
	s_cbranch_execz .LBB794_223
.LBB794_257:
	v_sub_nc_u32_e32 v8, v39, v1
	v_mov_b32_e32 v9, 0
	s_delay_alu instid0(VALU_DEP_1) | instskip(NEXT) | instid1(VALU_DEP_1)
	v_lshlrev_b64 v[8:9], 2, v[8:9]
	v_add_co_u32 v8, vcc_lo, v6, v8
	s_delay_alu instid0(VALU_DEP_2)
	v_add_co_ci_u32_e32 v9, vcc_lo, v7, v9, vcc_lo
	global_store_b32 v[8:9], v40, off
	s_or_b32 exec_lo, exec_lo, s17
	s_and_saveexec_b32 s17, s2
	s_cbranch_execnz .LBB794_224
.LBB794_258:
	s_or_b32 exec_lo, exec_lo, s17
	s_and_saveexec_b32 s17, s1
	s_cbranch_execz .LBB794_260
.LBB794_259:
	v_sub_nc_u32_e32 v8, v59, v1
	v_mov_b32_e32 v9, 0
	s_delay_alu instid0(VALU_DEP_1) | instskip(NEXT) | instid1(VALU_DEP_1)
	v_lshlrev_b64 v[8:9], 2, v[8:9]
	v_add_co_u32 v8, vcc_lo, v6, v8
	s_delay_alu instid0(VALU_DEP_2)
	v_add_co_ci_u32_e32 v9, vcc_lo, v7, v9, vcc_lo
	global_store_b32 v[8:9], v60, off
.LBB794_260:
	s_or_b32 exec_lo, exec_lo, s17
	s_delay_alu instid0(SALU_CYCLE_1)
	s_and_b32 s17, s0, exec_lo
	s_and_not1_saveexec_b32 s15, s15
	s_cbranch_execnz .LBB794_243
.LBB794_261:
	s_or_b32 exec_lo, exec_lo, s15
	s_delay_alu instid0(SALU_CYCLE_1)
	s_and_b32 exec_lo, exec_lo, s17
	s_cbranch_execz .LBB794_263
.LBB794_262:
	v_sub_nc_u32_e32 v8, v51, v1
	v_mov_b32_e32 v9, 0
	s_delay_alu instid0(VALU_DEP_1) | instskip(NEXT) | instid1(VALU_DEP_1)
	v_lshlrev_b64 v[8:9], 2, v[8:9]
	v_add_co_u32 v8, vcc_lo, v6, v8
	s_delay_alu instid0(VALU_DEP_2)
	v_add_co_ci_u32_e32 v9, vcc_lo, v7, v9, vcc_lo
	global_store_b32 v[8:9], v52, off
.LBB794_263:
	s_or_b32 exec_lo, exec_lo, s16
.LBB794_264:
	v_cmp_eq_u32_e32 vcc_lo, 0xff, v0
	s_and_b32 s0, vcc_lo, s23
	s_delay_alu instid0(SALU_CYCLE_1)
	s_and_saveexec_b32 s1, s0
	s_cbranch_execnz .LBB794_286
	s_branch .LBB794_288
.LBB794_265:
	s_or_b32 exec_lo, exec_lo, s17
	s_and_saveexec_b32 s14, s13
	s_cbranch_execz .LBB794_230
.LBB794_266:
	v_sub_nc_u32_e32 v2, v61, v1
	s_delay_alu instid0(VALU_DEP_1)
	v_lshlrev_b32_e32 v2, 2, v2
	ds_store_b32 v2, v62
	s_or_b32 exec_lo, exec_lo, s14
	s_and_saveexec_b32 s13, s12
	s_cbranch_execnz .LBB794_231
.LBB794_267:
	s_or_b32 exec_lo, exec_lo, s13
	s_and_saveexec_b32 s12, s11
	s_cbranch_execz .LBB794_232
.LBB794_268:
	v_sub_nc_u32_e32 v2, v53, v1
	s_delay_alu instid0(VALU_DEP_1)
	v_lshlrev_b32_e32 v2, 2, v2
	ds_store_b32 v2, v54
	s_or_b32 exec_lo, exec_lo, s12
	s_and_saveexec_b32 s11, s10
	s_cbranch_execnz .LBB794_233
.LBB794_269:
	s_or_b32 exec_lo, exec_lo, s11
	s_and_saveexec_b32 s10, s9
	s_cbranch_execz .LBB794_234
.LBB794_270:
	v_sub_nc_u32_e32 v2, v43, v1
	s_delay_alu instid0(VALU_DEP_1)
	v_lshlrev_b32_e32 v2, 2, v2
	ds_store_b32 v2, v44
	s_or_b32 exec_lo, exec_lo, s10
	s_and_saveexec_b32 s9, s8
	s_cbranch_execnz .LBB794_235
.LBB794_271:
	s_or_b32 exec_lo, exec_lo, s9
	s_and_saveexec_b32 s8, s7
	s_cbranch_execz .LBB794_236
.LBB794_272:
	v_sub_nc_u32_e32 v2, v45, v1
	s_delay_alu instid0(VALU_DEP_1)
	v_lshlrev_b32_e32 v2, 2, v2
	ds_store_b32 v2, v46
	s_or_b32 exec_lo, exec_lo, s8
	s_and_saveexec_b32 s7, s6
	s_cbranch_execnz .LBB794_237
.LBB794_273:
	s_or_b32 exec_lo, exec_lo, s7
	s_and_saveexec_b32 s6, s5
	s_cbranch_execz .LBB794_238
.LBB794_274:
	v_sub_nc_u32_e32 v2, v33, v1
	s_delay_alu instid0(VALU_DEP_1)
	v_lshlrev_b32_e32 v2, 2, v2
	ds_store_b32 v2, v34
	s_or_b32 exec_lo, exec_lo, s6
	s_and_saveexec_b32 s5, s4
	s_cbranch_execnz .LBB794_239
.LBB794_275:
	s_or_b32 exec_lo, exec_lo, s5
	s_and_saveexec_b32 s4, s3
	s_cbranch_execz .LBB794_240
.LBB794_276:
	v_sub_nc_u32_e32 v2, v39, v1
	s_delay_alu instid0(VALU_DEP_1)
	v_lshlrev_b32_e32 v2, 2, v2
	ds_store_b32 v2, v40
	s_or_b32 exec_lo, exec_lo, s4
	s_and_saveexec_b32 s3, s2
	s_cbranch_execnz .LBB794_241
.LBB794_277:
	s_or_b32 exec_lo, exec_lo, s3
	s_and_saveexec_b32 s2, s1
	s_cbranch_execz .LBB794_279
.LBB794_278:
	v_sub_nc_u32_e32 v2, v59, v1
	s_delay_alu instid0(VALU_DEP_1)
	v_lshlrev_b32_e32 v2, 2, v2
	ds_store_b32 v2, v60
.LBB794_279:
	s_or_b32 exec_lo, exec_lo, s2
	s_delay_alu instid0(SALU_CYCLE_1)
	s_and_b32 s17, s0, exec_lo
                                        ; implicit-def: $vgpr55_vgpr56
                                        ; implicit-def: $vgpr61_vgpr62
                                        ; implicit-def: $vgpr57_vgpr58
                                        ; implicit-def: $vgpr53_vgpr54
                                        ; implicit-def: $vgpr47_vgpr48
                                        ; implicit-def: $vgpr43_vgpr44
                                        ; implicit-def: $vgpr41_vgpr42
                                        ; implicit-def: $vgpr45_vgpr46
                                        ; implicit-def: $vgpr49_vgpr50
                                        ; implicit-def: $vgpr33_vgpr34
                                        ; implicit-def: $vgpr35_vgpr36
                                        ; implicit-def: $vgpr39_vgpr40
                                        ; implicit-def: $vgpr63_vgpr64
                                        ; implicit-def: $vgpr59_vgpr60
	s_and_not1_saveexec_b32 s0, s16
	s_cbranch_execnz .LBB794_245
.LBB794_280:
	s_or_b32 exec_lo, exec_lo, s0
	s_delay_alu instid0(SALU_CYCLE_1)
	s_and_b32 exec_lo, exec_lo, s17
	s_cbranch_execz .LBB794_282
.LBB794_281:
	v_sub_nc_u32_e32 v1, v51, v1
	s_delay_alu instid0(VALU_DEP_1)
	v_lshlrev_b32_e32 v1, 2, v1
	ds_store_b32 v1, v52
.LBB794_282:
	s_or_b32 exec_lo, exec_lo, s15
	s_delay_alu instid0(SALU_CYCLE_1)
	s_mov_b32 s1, exec_lo
	s_waitcnt lgkmcnt(0)
	s_waitcnt_vscnt null, 0x0
	s_barrier
	buffer_gl0_inv
	v_cmpx_lt_u32_e64 v0, v3
	s_cbranch_execz .LBB794_285
; %bb.283:
	v_dual_mov_b32 v1, v0 :: v_dual_lshlrev_b32 v8, 2, v0
	v_mov_b32_e32 v2, 0
	s_mov_b32 s2, 0
	.p2align	6
.LBB794_284:                            ; =>This Inner Loop Header: Depth=1
	ds_load_b32 v11, v8
	v_lshlrev_b64 v[9:10], 2, v[1:2]
	v_add_nc_u32_e32 v1, 0x100, v1
	v_add_nc_u32_e32 v8, 0x400, v8
	s_delay_alu instid0(VALU_DEP_2) | instskip(NEXT) | instid1(VALU_DEP_4)
	v_cmp_ge_u32_e32 vcc_lo, v1, v3
	v_add_co_u32 v9, s0, v6, v9
	s_delay_alu instid0(VALU_DEP_1)
	v_add_co_ci_u32_e64 v10, s0, v7, v10, s0
	s_or_b32 s2, vcc_lo, s2
	s_waitcnt lgkmcnt(0)
	global_store_b32 v[9:10], v11, off
	s_and_not1_b32 exec_lo, exec_lo, s2
	s_cbranch_execnz .LBB794_284
.LBB794_285:
	s_or_b32 exec_lo, exec_lo, s1
	v_cmp_eq_u32_e32 vcc_lo, 0xff, v0
	s_and_b32 s0, vcc_lo, s23
	s_delay_alu instid0(SALU_CYCLE_1)
	s_and_saveexec_b32 s1, s0
	s_cbranch_execz .LBB794_288
.LBB794_286:
	v_add_co_u32 v0, s0, v29, v31
	s_delay_alu instid0(VALU_DEP_1) | instskip(SKIP_1) | instid1(VALU_DEP_3)
	v_add_co_ci_u32_e64 v1, null, 0, 0, s0
	v_mov_b32_e32 v30, 0
	v_add_co_u32 v0, vcc_lo, v0, v65
	s_delay_alu instid0(VALU_DEP_3)
	v_add_co_ci_u32_e32 v1, vcc_lo, v1, v66, vcc_lo
	s_cmpk_lg_i32 s33, 0xf00
	global_store_b64 v30, v[0:1], s[30:31]
	s_cbranch_scc1 .LBB794_288
; %bb.287:
	v_lshlrev_b64 v[0:1], 2, v[29:30]
	s_delay_alu instid0(VALU_DEP_1) | instskip(NEXT) | instid1(VALU_DEP_2)
	v_add_co_u32 v0, vcc_lo, v4, v0
	v_add_co_ci_u32_e32 v1, vcc_lo, v5, v1, vcc_lo
	global_store_b32 v[0:1], v95, off offset:-4
	s_nop 0
	s_sendmsg sendmsg(MSG_DEALLOC_VGPRS)
	s_endpgm
.LBB794_288:
	s_nop 0
	s_sendmsg sendmsg(MSG_DEALLOC_VGPRS)
	s_endpgm
	.section	.rodata,"a",@progbits
	.p2align	6, 0x0
	.amdhsa_kernel _ZN7rocprim17ROCPRIM_400000_NS6detail17trampoline_kernelINS0_14default_configENS1_29reduce_by_key_config_selectorIxjN6thrust23THRUST_200600_302600_NS4plusIjEEEEZZNS1_33reduce_by_key_impl_wrapped_configILNS1_25lookback_scan_determinismE0ES3_S9_NS6_6detail15normal_iteratorINS6_10device_ptrIxEEEENSD_INSE_IjEEEESG_SI_PmS8_NS6_8equal_toIxEEEE10hipError_tPvRmT2_T3_mT4_T5_T6_T7_T8_P12ihipStream_tbENKUlT_T0_E_clISt17integral_constantIbLb1EES12_IbLb0EEEEDaSY_SZ_EUlSY_E_NS1_11comp_targetILNS1_3genE9ELNS1_11target_archE1100ELNS1_3gpuE3ELNS1_3repE0EEENS1_30default_config_static_selectorELNS0_4arch9wavefront6targetE0EEEvT1_
		.amdhsa_group_segment_fixed_size 30720
		.amdhsa_private_segment_fixed_size 0
		.amdhsa_kernarg_size 120
		.amdhsa_user_sgpr_count 15
		.amdhsa_user_sgpr_dispatch_ptr 0
		.amdhsa_user_sgpr_queue_ptr 0
		.amdhsa_user_sgpr_kernarg_segment_ptr 1
		.amdhsa_user_sgpr_dispatch_id 0
		.amdhsa_user_sgpr_private_segment_size 0
		.amdhsa_wavefront_size32 1
		.amdhsa_uses_dynamic_stack 0
		.amdhsa_enable_private_segment 0
		.amdhsa_system_sgpr_workgroup_id_x 1
		.amdhsa_system_sgpr_workgroup_id_y 0
		.amdhsa_system_sgpr_workgroup_id_z 0
		.amdhsa_system_sgpr_workgroup_info 0
		.amdhsa_system_vgpr_workitem_id 0
		.amdhsa_next_free_vgpr 100
		.amdhsa_next_free_sgpr 48
		.amdhsa_reserve_vcc 1
		.amdhsa_float_round_mode_32 0
		.amdhsa_float_round_mode_16_64 0
		.amdhsa_float_denorm_mode_32 3
		.amdhsa_float_denorm_mode_16_64 3
		.amdhsa_dx10_clamp 1
		.amdhsa_ieee_mode 1
		.amdhsa_fp16_overflow 0
		.amdhsa_workgroup_processor_mode 1
		.amdhsa_memory_ordered 1
		.amdhsa_forward_progress 0
		.amdhsa_shared_vgpr_count 0
		.amdhsa_exception_fp_ieee_invalid_op 0
		.amdhsa_exception_fp_denorm_src 0
		.amdhsa_exception_fp_ieee_div_zero 0
		.amdhsa_exception_fp_ieee_overflow 0
		.amdhsa_exception_fp_ieee_underflow 0
		.amdhsa_exception_fp_ieee_inexact 0
		.amdhsa_exception_int_div_zero 0
	.end_amdhsa_kernel
	.section	.text._ZN7rocprim17ROCPRIM_400000_NS6detail17trampoline_kernelINS0_14default_configENS1_29reduce_by_key_config_selectorIxjN6thrust23THRUST_200600_302600_NS4plusIjEEEEZZNS1_33reduce_by_key_impl_wrapped_configILNS1_25lookback_scan_determinismE0ES3_S9_NS6_6detail15normal_iteratorINS6_10device_ptrIxEEEENSD_INSE_IjEEEESG_SI_PmS8_NS6_8equal_toIxEEEE10hipError_tPvRmT2_T3_mT4_T5_T6_T7_T8_P12ihipStream_tbENKUlT_T0_E_clISt17integral_constantIbLb1EES12_IbLb0EEEEDaSY_SZ_EUlSY_E_NS1_11comp_targetILNS1_3genE9ELNS1_11target_archE1100ELNS1_3gpuE3ELNS1_3repE0EEENS1_30default_config_static_selectorELNS0_4arch9wavefront6targetE0EEEvT1_,"axG",@progbits,_ZN7rocprim17ROCPRIM_400000_NS6detail17trampoline_kernelINS0_14default_configENS1_29reduce_by_key_config_selectorIxjN6thrust23THRUST_200600_302600_NS4plusIjEEEEZZNS1_33reduce_by_key_impl_wrapped_configILNS1_25lookback_scan_determinismE0ES3_S9_NS6_6detail15normal_iteratorINS6_10device_ptrIxEEEENSD_INSE_IjEEEESG_SI_PmS8_NS6_8equal_toIxEEEE10hipError_tPvRmT2_T3_mT4_T5_T6_T7_T8_P12ihipStream_tbENKUlT_T0_E_clISt17integral_constantIbLb1EES12_IbLb0EEEEDaSY_SZ_EUlSY_E_NS1_11comp_targetILNS1_3genE9ELNS1_11target_archE1100ELNS1_3gpuE3ELNS1_3repE0EEENS1_30default_config_static_selectorELNS0_4arch9wavefront6targetE0EEEvT1_,comdat
.Lfunc_end794:
	.size	_ZN7rocprim17ROCPRIM_400000_NS6detail17trampoline_kernelINS0_14default_configENS1_29reduce_by_key_config_selectorIxjN6thrust23THRUST_200600_302600_NS4plusIjEEEEZZNS1_33reduce_by_key_impl_wrapped_configILNS1_25lookback_scan_determinismE0ES3_S9_NS6_6detail15normal_iteratorINS6_10device_ptrIxEEEENSD_INSE_IjEEEESG_SI_PmS8_NS6_8equal_toIxEEEE10hipError_tPvRmT2_T3_mT4_T5_T6_T7_T8_P12ihipStream_tbENKUlT_T0_E_clISt17integral_constantIbLb1EES12_IbLb0EEEEDaSY_SZ_EUlSY_E_NS1_11comp_targetILNS1_3genE9ELNS1_11target_archE1100ELNS1_3gpuE3ELNS1_3repE0EEENS1_30default_config_static_selectorELNS0_4arch9wavefront6targetE0EEEvT1_, .Lfunc_end794-_ZN7rocprim17ROCPRIM_400000_NS6detail17trampoline_kernelINS0_14default_configENS1_29reduce_by_key_config_selectorIxjN6thrust23THRUST_200600_302600_NS4plusIjEEEEZZNS1_33reduce_by_key_impl_wrapped_configILNS1_25lookback_scan_determinismE0ES3_S9_NS6_6detail15normal_iteratorINS6_10device_ptrIxEEEENSD_INSE_IjEEEESG_SI_PmS8_NS6_8equal_toIxEEEE10hipError_tPvRmT2_T3_mT4_T5_T6_T7_T8_P12ihipStream_tbENKUlT_T0_E_clISt17integral_constantIbLb1EES12_IbLb0EEEEDaSY_SZ_EUlSY_E_NS1_11comp_targetILNS1_3genE9ELNS1_11target_archE1100ELNS1_3gpuE3ELNS1_3repE0EEENS1_30default_config_static_selectorELNS0_4arch9wavefront6targetE0EEEvT1_
                                        ; -- End function
	.section	.AMDGPU.csdata,"",@progbits
; Kernel info:
; codeLenInByte = 17796
; NumSgprs: 50
; NumVgprs: 100
; ScratchSize: 0
; MemoryBound: 0
; FloatMode: 240
; IeeeMode: 1
; LDSByteSize: 30720 bytes/workgroup (compile time only)
; SGPRBlocks: 6
; VGPRBlocks: 12
; NumSGPRsForWavesPerEU: 50
; NumVGPRsForWavesPerEU: 100
; Occupancy: 8
; WaveLimiterHint : 1
; COMPUTE_PGM_RSRC2:SCRATCH_EN: 0
; COMPUTE_PGM_RSRC2:USER_SGPR: 15
; COMPUTE_PGM_RSRC2:TRAP_HANDLER: 0
; COMPUTE_PGM_RSRC2:TGID_X_EN: 1
; COMPUTE_PGM_RSRC2:TGID_Y_EN: 0
; COMPUTE_PGM_RSRC2:TGID_Z_EN: 0
; COMPUTE_PGM_RSRC2:TIDIG_COMP_CNT: 0
	.section	.text._ZN7rocprim17ROCPRIM_400000_NS6detail17trampoline_kernelINS0_14default_configENS1_29reduce_by_key_config_selectorIxjN6thrust23THRUST_200600_302600_NS4plusIjEEEEZZNS1_33reduce_by_key_impl_wrapped_configILNS1_25lookback_scan_determinismE0ES3_S9_NS6_6detail15normal_iteratorINS6_10device_ptrIxEEEENSD_INSE_IjEEEESG_SI_PmS8_NS6_8equal_toIxEEEE10hipError_tPvRmT2_T3_mT4_T5_T6_T7_T8_P12ihipStream_tbENKUlT_T0_E_clISt17integral_constantIbLb1EES12_IbLb0EEEEDaSY_SZ_EUlSY_E_NS1_11comp_targetILNS1_3genE8ELNS1_11target_archE1030ELNS1_3gpuE2ELNS1_3repE0EEENS1_30default_config_static_selectorELNS0_4arch9wavefront6targetE0EEEvT1_,"axG",@progbits,_ZN7rocprim17ROCPRIM_400000_NS6detail17trampoline_kernelINS0_14default_configENS1_29reduce_by_key_config_selectorIxjN6thrust23THRUST_200600_302600_NS4plusIjEEEEZZNS1_33reduce_by_key_impl_wrapped_configILNS1_25lookback_scan_determinismE0ES3_S9_NS6_6detail15normal_iteratorINS6_10device_ptrIxEEEENSD_INSE_IjEEEESG_SI_PmS8_NS6_8equal_toIxEEEE10hipError_tPvRmT2_T3_mT4_T5_T6_T7_T8_P12ihipStream_tbENKUlT_T0_E_clISt17integral_constantIbLb1EES12_IbLb0EEEEDaSY_SZ_EUlSY_E_NS1_11comp_targetILNS1_3genE8ELNS1_11target_archE1030ELNS1_3gpuE2ELNS1_3repE0EEENS1_30default_config_static_selectorELNS0_4arch9wavefront6targetE0EEEvT1_,comdat
	.protected	_ZN7rocprim17ROCPRIM_400000_NS6detail17trampoline_kernelINS0_14default_configENS1_29reduce_by_key_config_selectorIxjN6thrust23THRUST_200600_302600_NS4plusIjEEEEZZNS1_33reduce_by_key_impl_wrapped_configILNS1_25lookback_scan_determinismE0ES3_S9_NS6_6detail15normal_iteratorINS6_10device_ptrIxEEEENSD_INSE_IjEEEESG_SI_PmS8_NS6_8equal_toIxEEEE10hipError_tPvRmT2_T3_mT4_T5_T6_T7_T8_P12ihipStream_tbENKUlT_T0_E_clISt17integral_constantIbLb1EES12_IbLb0EEEEDaSY_SZ_EUlSY_E_NS1_11comp_targetILNS1_3genE8ELNS1_11target_archE1030ELNS1_3gpuE2ELNS1_3repE0EEENS1_30default_config_static_selectorELNS0_4arch9wavefront6targetE0EEEvT1_ ; -- Begin function _ZN7rocprim17ROCPRIM_400000_NS6detail17trampoline_kernelINS0_14default_configENS1_29reduce_by_key_config_selectorIxjN6thrust23THRUST_200600_302600_NS4plusIjEEEEZZNS1_33reduce_by_key_impl_wrapped_configILNS1_25lookback_scan_determinismE0ES3_S9_NS6_6detail15normal_iteratorINS6_10device_ptrIxEEEENSD_INSE_IjEEEESG_SI_PmS8_NS6_8equal_toIxEEEE10hipError_tPvRmT2_T3_mT4_T5_T6_T7_T8_P12ihipStream_tbENKUlT_T0_E_clISt17integral_constantIbLb1EES12_IbLb0EEEEDaSY_SZ_EUlSY_E_NS1_11comp_targetILNS1_3genE8ELNS1_11target_archE1030ELNS1_3gpuE2ELNS1_3repE0EEENS1_30default_config_static_selectorELNS0_4arch9wavefront6targetE0EEEvT1_
	.globl	_ZN7rocprim17ROCPRIM_400000_NS6detail17trampoline_kernelINS0_14default_configENS1_29reduce_by_key_config_selectorIxjN6thrust23THRUST_200600_302600_NS4plusIjEEEEZZNS1_33reduce_by_key_impl_wrapped_configILNS1_25lookback_scan_determinismE0ES3_S9_NS6_6detail15normal_iteratorINS6_10device_ptrIxEEEENSD_INSE_IjEEEESG_SI_PmS8_NS6_8equal_toIxEEEE10hipError_tPvRmT2_T3_mT4_T5_T6_T7_T8_P12ihipStream_tbENKUlT_T0_E_clISt17integral_constantIbLb1EES12_IbLb0EEEEDaSY_SZ_EUlSY_E_NS1_11comp_targetILNS1_3genE8ELNS1_11target_archE1030ELNS1_3gpuE2ELNS1_3repE0EEENS1_30default_config_static_selectorELNS0_4arch9wavefront6targetE0EEEvT1_
	.p2align	8
	.type	_ZN7rocprim17ROCPRIM_400000_NS6detail17trampoline_kernelINS0_14default_configENS1_29reduce_by_key_config_selectorIxjN6thrust23THRUST_200600_302600_NS4plusIjEEEEZZNS1_33reduce_by_key_impl_wrapped_configILNS1_25lookback_scan_determinismE0ES3_S9_NS6_6detail15normal_iteratorINS6_10device_ptrIxEEEENSD_INSE_IjEEEESG_SI_PmS8_NS6_8equal_toIxEEEE10hipError_tPvRmT2_T3_mT4_T5_T6_T7_T8_P12ihipStream_tbENKUlT_T0_E_clISt17integral_constantIbLb1EES12_IbLb0EEEEDaSY_SZ_EUlSY_E_NS1_11comp_targetILNS1_3genE8ELNS1_11target_archE1030ELNS1_3gpuE2ELNS1_3repE0EEENS1_30default_config_static_selectorELNS0_4arch9wavefront6targetE0EEEvT1_,@function
_ZN7rocprim17ROCPRIM_400000_NS6detail17trampoline_kernelINS0_14default_configENS1_29reduce_by_key_config_selectorIxjN6thrust23THRUST_200600_302600_NS4plusIjEEEEZZNS1_33reduce_by_key_impl_wrapped_configILNS1_25lookback_scan_determinismE0ES3_S9_NS6_6detail15normal_iteratorINS6_10device_ptrIxEEEENSD_INSE_IjEEEESG_SI_PmS8_NS6_8equal_toIxEEEE10hipError_tPvRmT2_T3_mT4_T5_T6_T7_T8_P12ihipStream_tbENKUlT_T0_E_clISt17integral_constantIbLb1EES12_IbLb0EEEEDaSY_SZ_EUlSY_E_NS1_11comp_targetILNS1_3genE8ELNS1_11target_archE1030ELNS1_3gpuE2ELNS1_3repE0EEENS1_30default_config_static_selectorELNS0_4arch9wavefront6targetE0EEEvT1_: ; @_ZN7rocprim17ROCPRIM_400000_NS6detail17trampoline_kernelINS0_14default_configENS1_29reduce_by_key_config_selectorIxjN6thrust23THRUST_200600_302600_NS4plusIjEEEEZZNS1_33reduce_by_key_impl_wrapped_configILNS1_25lookback_scan_determinismE0ES3_S9_NS6_6detail15normal_iteratorINS6_10device_ptrIxEEEENSD_INSE_IjEEEESG_SI_PmS8_NS6_8equal_toIxEEEE10hipError_tPvRmT2_T3_mT4_T5_T6_T7_T8_P12ihipStream_tbENKUlT_T0_E_clISt17integral_constantIbLb1EES12_IbLb0EEEEDaSY_SZ_EUlSY_E_NS1_11comp_targetILNS1_3genE8ELNS1_11target_archE1030ELNS1_3gpuE2ELNS1_3repE0EEENS1_30default_config_static_selectorELNS0_4arch9wavefront6targetE0EEEvT1_
; %bb.0:
	.section	.rodata,"a",@progbits
	.p2align	6, 0x0
	.amdhsa_kernel _ZN7rocprim17ROCPRIM_400000_NS6detail17trampoline_kernelINS0_14default_configENS1_29reduce_by_key_config_selectorIxjN6thrust23THRUST_200600_302600_NS4plusIjEEEEZZNS1_33reduce_by_key_impl_wrapped_configILNS1_25lookback_scan_determinismE0ES3_S9_NS6_6detail15normal_iteratorINS6_10device_ptrIxEEEENSD_INSE_IjEEEESG_SI_PmS8_NS6_8equal_toIxEEEE10hipError_tPvRmT2_T3_mT4_T5_T6_T7_T8_P12ihipStream_tbENKUlT_T0_E_clISt17integral_constantIbLb1EES12_IbLb0EEEEDaSY_SZ_EUlSY_E_NS1_11comp_targetILNS1_3genE8ELNS1_11target_archE1030ELNS1_3gpuE2ELNS1_3repE0EEENS1_30default_config_static_selectorELNS0_4arch9wavefront6targetE0EEEvT1_
		.amdhsa_group_segment_fixed_size 0
		.amdhsa_private_segment_fixed_size 0
		.amdhsa_kernarg_size 120
		.amdhsa_user_sgpr_count 15
		.amdhsa_user_sgpr_dispatch_ptr 0
		.amdhsa_user_sgpr_queue_ptr 0
		.amdhsa_user_sgpr_kernarg_segment_ptr 1
		.amdhsa_user_sgpr_dispatch_id 0
		.amdhsa_user_sgpr_private_segment_size 0
		.amdhsa_wavefront_size32 1
		.amdhsa_uses_dynamic_stack 0
		.amdhsa_enable_private_segment 0
		.amdhsa_system_sgpr_workgroup_id_x 1
		.amdhsa_system_sgpr_workgroup_id_y 0
		.amdhsa_system_sgpr_workgroup_id_z 0
		.amdhsa_system_sgpr_workgroup_info 0
		.amdhsa_system_vgpr_workitem_id 0
		.amdhsa_next_free_vgpr 1
		.amdhsa_next_free_sgpr 1
		.amdhsa_reserve_vcc 0
		.amdhsa_float_round_mode_32 0
		.amdhsa_float_round_mode_16_64 0
		.amdhsa_float_denorm_mode_32 3
		.amdhsa_float_denorm_mode_16_64 3
		.amdhsa_dx10_clamp 1
		.amdhsa_ieee_mode 1
		.amdhsa_fp16_overflow 0
		.amdhsa_workgroup_processor_mode 1
		.amdhsa_memory_ordered 1
		.amdhsa_forward_progress 0
		.amdhsa_shared_vgpr_count 0
		.amdhsa_exception_fp_ieee_invalid_op 0
		.amdhsa_exception_fp_denorm_src 0
		.amdhsa_exception_fp_ieee_div_zero 0
		.amdhsa_exception_fp_ieee_overflow 0
		.amdhsa_exception_fp_ieee_underflow 0
		.amdhsa_exception_fp_ieee_inexact 0
		.amdhsa_exception_int_div_zero 0
	.end_amdhsa_kernel
	.section	.text._ZN7rocprim17ROCPRIM_400000_NS6detail17trampoline_kernelINS0_14default_configENS1_29reduce_by_key_config_selectorIxjN6thrust23THRUST_200600_302600_NS4plusIjEEEEZZNS1_33reduce_by_key_impl_wrapped_configILNS1_25lookback_scan_determinismE0ES3_S9_NS6_6detail15normal_iteratorINS6_10device_ptrIxEEEENSD_INSE_IjEEEESG_SI_PmS8_NS6_8equal_toIxEEEE10hipError_tPvRmT2_T3_mT4_T5_T6_T7_T8_P12ihipStream_tbENKUlT_T0_E_clISt17integral_constantIbLb1EES12_IbLb0EEEEDaSY_SZ_EUlSY_E_NS1_11comp_targetILNS1_3genE8ELNS1_11target_archE1030ELNS1_3gpuE2ELNS1_3repE0EEENS1_30default_config_static_selectorELNS0_4arch9wavefront6targetE0EEEvT1_,"axG",@progbits,_ZN7rocprim17ROCPRIM_400000_NS6detail17trampoline_kernelINS0_14default_configENS1_29reduce_by_key_config_selectorIxjN6thrust23THRUST_200600_302600_NS4plusIjEEEEZZNS1_33reduce_by_key_impl_wrapped_configILNS1_25lookback_scan_determinismE0ES3_S9_NS6_6detail15normal_iteratorINS6_10device_ptrIxEEEENSD_INSE_IjEEEESG_SI_PmS8_NS6_8equal_toIxEEEE10hipError_tPvRmT2_T3_mT4_T5_T6_T7_T8_P12ihipStream_tbENKUlT_T0_E_clISt17integral_constantIbLb1EES12_IbLb0EEEEDaSY_SZ_EUlSY_E_NS1_11comp_targetILNS1_3genE8ELNS1_11target_archE1030ELNS1_3gpuE2ELNS1_3repE0EEENS1_30default_config_static_selectorELNS0_4arch9wavefront6targetE0EEEvT1_,comdat
.Lfunc_end795:
	.size	_ZN7rocprim17ROCPRIM_400000_NS6detail17trampoline_kernelINS0_14default_configENS1_29reduce_by_key_config_selectorIxjN6thrust23THRUST_200600_302600_NS4plusIjEEEEZZNS1_33reduce_by_key_impl_wrapped_configILNS1_25lookback_scan_determinismE0ES3_S9_NS6_6detail15normal_iteratorINS6_10device_ptrIxEEEENSD_INSE_IjEEEESG_SI_PmS8_NS6_8equal_toIxEEEE10hipError_tPvRmT2_T3_mT4_T5_T6_T7_T8_P12ihipStream_tbENKUlT_T0_E_clISt17integral_constantIbLb1EES12_IbLb0EEEEDaSY_SZ_EUlSY_E_NS1_11comp_targetILNS1_3genE8ELNS1_11target_archE1030ELNS1_3gpuE2ELNS1_3repE0EEENS1_30default_config_static_selectorELNS0_4arch9wavefront6targetE0EEEvT1_, .Lfunc_end795-_ZN7rocprim17ROCPRIM_400000_NS6detail17trampoline_kernelINS0_14default_configENS1_29reduce_by_key_config_selectorIxjN6thrust23THRUST_200600_302600_NS4plusIjEEEEZZNS1_33reduce_by_key_impl_wrapped_configILNS1_25lookback_scan_determinismE0ES3_S9_NS6_6detail15normal_iteratorINS6_10device_ptrIxEEEENSD_INSE_IjEEEESG_SI_PmS8_NS6_8equal_toIxEEEE10hipError_tPvRmT2_T3_mT4_T5_T6_T7_T8_P12ihipStream_tbENKUlT_T0_E_clISt17integral_constantIbLb1EES12_IbLb0EEEEDaSY_SZ_EUlSY_E_NS1_11comp_targetILNS1_3genE8ELNS1_11target_archE1030ELNS1_3gpuE2ELNS1_3repE0EEENS1_30default_config_static_selectorELNS0_4arch9wavefront6targetE0EEEvT1_
                                        ; -- End function
	.section	.AMDGPU.csdata,"",@progbits
; Kernel info:
; codeLenInByte = 0
; NumSgprs: 0
; NumVgprs: 0
; ScratchSize: 0
; MemoryBound: 0
; FloatMode: 240
; IeeeMode: 1
; LDSByteSize: 0 bytes/workgroup (compile time only)
; SGPRBlocks: 0
; VGPRBlocks: 0
; NumSGPRsForWavesPerEU: 1
; NumVGPRsForWavesPerEU: 1
; Occupancy: 16
; WaveLimiterHint : 0
; COMPUTE_PGM_RSRC2:SCRATCH_EN: 0
; COMPUTE_PGM_RSRC2:USER_SGPR: 15
; COMPUTE_PGM_RSRC2:TRAP_HANDLER: 0
; COMPUTE_PGM_RSRC2:TGID_X_EN: 1
; COMPUTE_PGM_RSRC2:TGID_Y_EN: 0
; COMPUTE_PGM_RSRC2:TGID_Z_EN: 0
; COMPUTE_PGM_RSRC2:TIDIG_COMP_CNT: 0
	.section	.text._ZN7rocprim17ROCPRIM_400000_NS6detail17trampoline_kernelINS0_14default_configENS1_29reduce_by_key_config_selectorIxjN6thrust23THRUST_200600_302600_NS4plusIjEEEEZZNS1_33reduce_by_key_impl_wrapped_configILNS1_25lookback_scan_determinismE0ES3_S9_NS6_6detail15normal_iteratorINS6_10device_ptrIxEEEENSD_INSE_IjEEEESG_SI_PmS8_NS6_8equal_toIxEEEE10hipError_tPvRmT2_T3_mT4_T5_T6_T7_T8_P12ihipStream_tbENKUlT_T0_E_clISt17integral_constantIbLb0EES12_IbLb1EEEEDaSY_SZ_EUlSY_E_NS1_11comp_targetILNS1_3genE0ELNS1_11target_archE4294967295ELNS1_3gpuE0ELNS1_3repE0EEENS1_30default_config_static_selectorELNS0_4arch9wavefront6targetE0EEEvT1_,"axG",@progbits,_ZN7rocprim17ROCPRIM_400000_NS6detail17trampoline_kernelINS0_14default_configENS1_29reduce_by_key_config_selectorIxjN6thrust23THRUST_200600_302600_NS4plusIjEEEEZZNS1_33reduce_by_key_impl_wrapped_configILNS1_25lookback_scan_determinismE0ES3_S9_NS6_6detail15normal_iteratorINS6_10device_ptrIxEEEENSD_INSE_IjEEEESG_SI_PmS8_NS6_8equal_toIxEEEE10hipError_tPvRmT2_T3_mT4_T5_T6_T7_T8_P12ihipStream_tbENKUlT_T0_E_clISt17integral_constantIbLb0EES12_IbLb1EEEEDaSY_SZ_EUlSY_E_NS1_11comp_targetILNS1_3genE0ELNS1_11target_archE4294967295ELNS1_3gpuE0ELNS1_3repE0EEENS1_30default_config_static_selectorELNS0_4arch9wavefront6targetE0EEEvT1_,comdat
	.protected	_ZN7rocprim17ROCPRIM_400000_NS6detail17trampoline_kernelINS0_14default_configENS1_29reduce_by_key_config_selectorIxjN6thrust23THRUST_200600_302600_NS4plusIjEEEEZZNS1_33reduce_by_key_impl_wrapped_configILNS1_25lookback_scan_determinismE0ES3_S9_NS6_6detail15normal_iteratorINS6_10device_ptrIxEEEENSD_INSE_IjEEEESG_SI_PmS8_NS6_8equal_toIxEEEE10hipError_tPvRmT2_T3_mT4_T5_T6_T7_T8_P12ihipStream_tbENKUlT_T0_E_clISt17integral_constantIbLb0EES12_IbLb1EEEEDaSY_SZ_EUlSY_E_NS1_11comp_targetILNS1_3genE0ELNS1_11target_archE4294967295ELNS1_3gpuE0ELNS1_3repE0EEENS1_30default_config_static_selectorELNS0_4arch9wavefront6targetE0EEEvT1_ ; -- Begin function _ZN7rocprim17ROCPRIM_400000_NS6detail17trampoline_kernelINS0_14default_configENS1_29reduce_by_key_config_selectorIxjN6thrust23THRUST_200600_302600_NS4plusIjEEEEZZNS1_33reduce_by_key_impl_wrapped_configILNS1_25lookback_scan_determinismE0ES3_S9_NS6_6detail15normal_iteratorINS6_10device_ptrIxEEEENSD_INSE_IjEEEESG_SI_PmS8_NS6_8equal_toIxEEEE10hipError_tPvRmT2_T3_mT4_T5_T6_T7_T8_P12ihipStream_tbENKUlT_T0_E_clISt17integral_constantIbLb0EES12_IbLb1EEEEDaSY_SZ_EUlSY_E_NS1_11comp_targetILNS1_3genE0ELNS1_11target_archE4294967295ELNS1_3gpuE0ELNS1_3repE0EEENS1_30default_config_static_selectorELNS0_4arch9wavefront6targetE0EEEvT1_
	.globl	_ZN7rocprim17ROCPRIM_400000_NS6detail17trampoline_kernelINS0_14default_configENS1_29reduce_by_key_config_selectorIxjN6thrust23THRUST_200600_302600_NS4plusIjEEEEZZNS1_33reduce_by_key_impl_wrapped_configILNS1_25lookback_scan_determinismE0ES3_S9_NS6_6detail15normal_iteratorINS6_10device_ptrIxEEEENSD_INSE_IjEEEESG_SI_PmS8_NS6_8equal_toIxEEEE10hipError_tPvRmT2_T3_mT4_T5_T6_T7_T8_P12ihipStream_tbENKUlT_T0_E_clISt17integral_constantIbLb0EES12_IbLb1EEEEDaSY_SZ_EUlSY_E_NS1_11comp_targetILNS1_3genE0ELNS1_11target_archE4294967295ELNS1_3gpuE0ELNS1_3repE0EEENS1_30default_config_static_selectorELNS0_4arch9wavefront6targetE0EEEvT1_
	.p2align	8
	.type	_ZN7rocprim17ROCPRIM_400000_NS6detail17trampoline_kernelINS0_14default_configENS1_29reduce_by_key_config_selectorIxjN6thrust23THRUST_200600_302600_NS4plusIjEEEEZZNS1_33reduce_by_key_impl_wrapped_configILNS1_25lookback_scan_determinismE0ES3_S9_NS6_6detail15normal_iteratorINS6_10device_ptrIxEEEENSD_INSE_IjEEEESG_SI_PmS8_NS6_8equal_toIxEEEE10hipError_tPvRmT2_T3_mT4_T5_T6_T7_T8_P12ihipStream_tbENKUlT_T0_E_clISt17integral_constantIbLb0EES12_IbLb1EEEEDaSY_SZ_EUlSY_E_NS1_11comp_targetILNS1_3genE0ELNS1_11target_archE4294967295ELNS1_3gpuE0ELNS1_3repE0EEENS1_30default_config_static_selectorELNS0_4arch9wavefront6targetE0EEEvT1_,@function
_ZN7rocprim17ROCPRIM_400000_NS6detail17trampoline_kernelINS0_14default_configENS1_29reduce_by_key_config_selectorIxjN6thrust23THRUST_200600_302600_NS4plusIjEEEEZZNS1_33reduce_by_key_impl_wrapped_configILNS1_25lookback_scan_determinismE0ES3_S9_NS6_6detail15normal_iteratorINS6_10device_ptrIxEEEENSD_INSE_IjEEEESG_SI_PmS8_NS6_8equal_toIxEEEE10hipError_tPvRmT2_T3_mT4_T5_T6_T7_T8_P12ihipStream_tbENKUlT_T0_E_clISt17integral_constantIbLb0EES12_IbLb1EEEEDaSY_SZ_EUlSY_E_NS1_11comp_targetILNS1_3genE0ELNS1_11target_archE4294967295ELNS1_3gpuE0ELNS1_3repE0EEENS1_30default_config_static_selectorELNS0_4arch9wavefront6targetE0EEEvT1_: ; @_ZN7rocprim17ROCPRIM_400000_NS6detail17trampoline_kernelINS0_14default_configENS1_29reduce_by_key_config_selectorIxjN6thrust23THRUST_200600_302600_NS4plusIjEEEEZZNS1_33reduce_by_key_impl_wrapped_configILNS1_25lookback_scan_determinismE0ES3_S9_NS6_6detail15normal_iteratorINS6_10device_ptrIxEEEENSD_INSE_IjEEEESG_SI_PmS8_NS6_8equal_toIxEEEE10hipError_tPvRmT2_T3_mT4_T5_T6_T7_T8_P12ihipStream_tbENKUlT_T0_E_clISt17integral_constantIbLb0EES12_IbLb1EEEEDaSY_SZ_EUlSY_E_NS1_11comp_targetILNS1_3genE0ELNS1_11target_archE4294967295ELNS1_3gpuE0ELNS1_3repE0EEENS1_30default_config_static_selectorELNS0_4arch9wavefront6targetE0EEEvT1_
; %bb.0:
	.section	.rodata,"a",@progbits
	.p2align	6, 0x0
	.amdhsa_kernel _ZN7rocprim17ROCPRIM_400000_NS6detail17trampoline_kernelINS0_14default_configENS1_29reduce_by_key_config_selectorIxjN6thrust23THRUST_200600_302600_NS4plusIjEEEEZZNS1_33reduce_by_key_impl_wrapped_configILNS1_25lookback_scan_determinismE0ES3_S9_NS6_6detail15normal_iteratorINS6_10device_ptrIxEEEENSD_INSE_IjEEEESG_SI_PmS8_NS6_8equal_toIxEEEE10hipError_tPvRmT2_T3_mT4_T5_T6_T7_T8_P12ihipStream_tbENKUlT_T0_E_clISt17integral_constantIbLb0EES12_IbLb1EEEEDaSY_SZ_EUlSY_E_NS1_11comp_targetILNS1_3genE0ELNS1_11target_archE4294967295ELNS1_3gpuE0ELNS1_3repE0EEENS1_30default_config_static_selectorELNS0_4arch9wavefront6targetE0EEEvT1_
		.amdhsa_group_segment_fixed_size 0
		.amdhsa_private_segment_fixed_size 0
		.amdhsa_kernarg_size 120
		.amdhsa_user_sgpr_count 15
		.amdhsa_user_sgpr_dispatch_ptr 0
		.amdhsa_user_sgpr_queue_ptr 0
		.amdhsa_user_sgpr_kernarg_segment_ptr 1
		.amdhsa_user_sgpr_dispatch_id 0
		.amdhsa_user_sgpr_private_segment_size 0
		.amdhsa_wavefront_size32 1
		.amdhsa_uses_dynamic_stack 0
		.amdhsa_enable_private_segment 0
		.amdhsa_system_sgpr_workgroup_id_x 1
		.amdhsa_system_sgpr_workgroup_id_y 0
		.amdhsa_system_sgpr_workgroup_id_z 0
		.amdhsa_system_sgpr_workgroup_info 0
		.amdhsa_system_vgpr_workitem_id 0
		.amdhsa_next_free_vgpr 1
		.amdhsa_next_free_sgpr 1
		.amdhsa_reserve_vcc 0
		.amdhsa_float_round_mode_32 0
		.amdhsa_float_round_mode_16_64 0
		.amdhsa_float_denorm_mode_32 3
		.amdhsa_float_denorm_mode_16_64 3
		.amdhsa_dx10_clamp 1
		.amdhsa_ieee_mode 1
		.amdhsa_fp16_overflow 0
		.amdhsa_workgroup_processor_mode 1
		.amdhsa_memory_ordered 1
		.amdhsa_forward_progress 0
		.amdhsa_shared_vgpr_count 0
		.amdhsa_exception_fp_ieee_invalid_op 0
		.amdhsa_exception_fp_denorm_src 0
		.amdhsa_exception_fp_ieee_div_zero 0
		.amdhsa_exception_fp_ieee_overflow 0
		.amdhsa_exception_fp_ieee_underflow 0
		.amdhsa_exception_fp_ieee_inexact 0
		.amdhsa_exception_int_div_zero 0
	.end_amdhsa_kernel
	.section	.text._ZN7rocprim17ROCPRIM_400000_NS6detail17trampoline_kernelINS0_14default_configENS1_29reduce_by_key_config_selectorIxjN6thrust23THRUST_200600_302600_NS4plusIjEEEEZZNS1_33reduce_by_key_impl_wrapped_configILNS1_25lookback_scan_determinismE0ES3_S9_NS6_6detail15normal_iteratorINS6_10device_ptrIxEEEENSD_INSE_IjEEEESG_SI_PmS8_NS6_8equal_toIxEEEE10hipError_tPvRmT2_T3_mT4_T5_T6_T7_T8_P12ihipStream_tbENKUlT_T0_E_clISt17integral_constantIbLb0EES12_IbLb1EEEEDaSY_SZ_EUlSY_E_NS1_11comp_targetILNS1_3genE0ELNS1_11target_archE4294967295ELNS1_3gpuE0ELNS1_3repE0EEENS1_30default_config_static_selectorELNS0_4arch9wavefront6targetE0EEEvT1_,"axG",@progbits,_ZN7rocprim17ROCPRIM_400000_NS6detail17trampoline_kernelINS0_14default_configENS1_29reduce_by_key_config_selectorIxjN6thrust23THRUST_200600_302600_NS4plusIjEEEEZZNS1_33reduce_by_key_impl_wrapped_configILNS1_25lookback_scan_determinismE0ES3_S9_NS6_6detail15normal_iteratorINS6_10device_ptrIxEEEENSD_INSE_IjEEEESG_SI_PmS8_NS6_8equal_toIxEEEE10hipError_tPvRmT2_T3_mT4_T5_T6_T7_T8_P12ihipStream_tbENKUlT_T0_E_clISt17integral_constantIbLb0EES12_IbLb1EEEEDaSY_SZ_EUlSY_E_NS1_11comp_targetILNS1_3genE0ELNS1_11target_archE4294967295ELNS1_3gpuE0ELNS1_3repE0EEENS1_30default_config_static_selectorELNS0_4arch9wavefront6targetE0EEEvT1_,comdat
.Lfunc_end796:
	.size	_ZN7rocprim17ROCPRIM_400000_NS6detail17trampoline_kernelINS0_14default_configENS1_29reduce_by_key_config_selectorIxjN6thrust23THRUST_200600_302600_NS4plusIjEEEEZZNS1_33reduce_by_key_impl_wrapped_configILNS1_25lookback_scan_determinismE0ES3_S9_NS6_6detail15normal_iteratorINS6_10device_ptrIxEEEENSD_INSE_IjEEEESG_SI_PmS8_NS6_8equal_toIxEEEE10hipError_tPvRmT2_T3_mT4_T5_T6_T7_T8_P12ihipStream_tbENKUlT_T0_E_clISt17integral_constantIbLb0EES12_IbLb1EEEEDaSY_SZ_EUlSY_E_NS1_11comp_targetILNS1_3genE0ELNS1_11target_archE4294967295ELNS1_3gpuE0ELNS1_3repE0EEENS1_30default_config_static_selectorELNS0_4arch9wavefront6targetE0EEEvT1_, .Lfunc_end796-_ZN7rocprim17ROCPRIM_400000_NS6detail17trampoline_kernelINS0_14default_configENS1_29reduce_by_key_config_selectorIxjN6thrust23THRUST_200600_302600_NS4plusIjEEEEZZNS1_33reduce_by_key_impl_wrapped_configILNS1_25lookback_scan_determinismE0ES3_S9_NS6_6detail15normal_iteratorINS6_10device_ptrIxEEEENSD_INSE_IjEEEESG_SI_PmS8_NS6_8equal_toIxEEEE10hipError_tPvRmT2_T3_mT4_T5_T6_T7_T8_P12ihipStream_tbENKUlT_T0_E_clISt17integral_constantIbLb0EES12_IbLb1EEEEDaSY_SZ_EUlSY_E_NS1_11comp_targetILNS1_3genE0ELNS1_11target_archE4294967295ELNS1_3gpuE0ELNS1_3repE0EEENS1_30default_config_static_selectorELNS0_4arch9wavefront6targetE0EEEvT1_
                                        ; -- End function
	.section	.AMDGPU.csdata,"",@progbits
; Kernel info:
; codeLenInByte = 0
; NumSgprs: 0
; NumVgprs: 0
; ScratchSize: 0
; MemoryBound: 0
; FloatMode: 240
; IeeeMode: 1
; LDSByteSize: 0 bytes/workgroup (compile time only)
; SGPRBlocks: 0
; VGPRBlocks: 0
; NumSGPRsForWavesPerEU: 1
; NumVGPRsForWavesPerEU: 1
; Occupancy: 16
; WaveLimiterHint : 0
; COMPUTE_PGM_RSRC2:SCRATCH_EN: 0
; COMPUTE_PGM_RSRC2:USER_SGPR: 15
; COMPUTE_PGM_RSRC2:TRAP_HANDLER: 0
; COMPUTE_PGM_RSRC2:TGID_X_EN: 1
; COMPUTE_PGM_RSRC2:TGID_Y_EN: 0
; COMPUTE_PGM_RSRC2:TGID_Z_EN: 0
; COMPUTE_PGM_RSRC2:TIDIG_COMP_CNT: 0
	.section	.text._ZN7rocprim17ROCPRIM_400000_NS6detail17trampoline_kernelINS0_14default_configENS1_29reduce_by_key_config_selectorIxjN6thrust23THRUST_200600_302600_NS4plusIjEEEEZZNS1_33reduce_by_key_impl_wrapped_configILNS1_25lookback_scan_determinismE0ES3_S9_NS6_6detail15normal_iteratorINS6_10device_ptrIxEEEENSD_INSE_IjEEEESG_SI_PmS8_NS6_8equal_toIxEEEE10hipError_tPvRmT2_T3_mT4_T5_T6_T7_T8_P12ihipStream_tbENKUlT_T0_E_clISt17integral_constantIbLb0EES12_IbLb1EEEEDaSY_SZ_EUlSY_E_NS1_11comp_targetILNS1_3genE5ELNS1_11target_archE942ELNS1_3gpuE9ELNS1_3repE0EEENS1_30default_config_static_selectorELNS0_4arch9wavefront6targetE0EEEvT1_,"axG",@progbits,_ZN7rocprim17ROCPRIM_400000_NS6detail17trampoline_kernelINS0_14default_configENS1_29reduce_by_key_config_selectorIxjN6thrust23THRUST_200600_302600_NS4plusIjEEEEZZNS1_33reduce_by_key_impl_wrapped_configILNS1_25lookback_scan_determinismE0ES3_S9_NS6_6detail15normal_iteratorINS6_10device_ptrIxEEEENSD_INSE_IjEEEESG_SI_PmS8_NS6_8equal_toIxEEEE10hipError_tPvRmT2_T3_mT4_T5_T6_T7_T8_P12ihipStream_tbENKUlT_T0_E_clISt17integral_constantIbLb0EES12_IbLb1EEEEDaSY_SZ_EUlSY_E_NS1_11comp_targetILNS1_3genE5ELNS1_11target_archE942ELNS1_3gpuE9ELNS1_3repE0EEENS1_30default_config_static_selectorELNS0_4arch9wavefront6targetE0EEEvT1_,comdat
	.protected	_ZN7rocprim17ROCPRIM_400000_NS6detail17trampoline_kernelINS0_14default_configENS1_29reduce_by_key_config_selectorIxjN6thrust23THRUST_200600_302600_NS4plusIjEEEEZZNS1_33reduce_by_key_impl_wrapped_configILNS1_25lookback_scan_determinismE0ES3_S9_NS6_6detail15normal_iteratorINS6_10device_ptrIxEEEENSD_INSE_IjEEEESG_SI_PmS8_NS6_8equal_toIxEEEE10hipError_tPvRmT2_T3_mT4_T5_T6_T7_T8_P12ihipStream_tbENKUlT_T0_E_clISt17integral_constantIbLb0EES12_IbLb1EEEEDaSY_SZ_EUlSY_E_NS1_11comp_targetILNS1_3genE5ELNS1_11target_archE942ELNS1_3gpuE9ELNS1_3repE0EEENS1_30default_config_static_selectorELNS0_4arch9wavefront6targetE0EEEvT1_ ; -- Begin function _ZN7rocprim17ROCPRIM_400000_NS6detail17trampoline_kernelINS0_14default_configENS1_29reduce_by_key_config_selectorIxjN6thrust23THRUST_200600_302600_NS4plusIjEEEEZZNS1_33reduce_by_key_impl_wrapped_configILNS1_25lookback_scan_determinismE0ES3_S9_NS6_6detail15normal_iteratorINS6_10device_ptrIxEEEENSD_INSE_IjEEEESG_SI_PmS8_NS6_8equal_toIxEEEE10hipError_tPvRmT2_T3_mT4_T5_T6_T7_T8_P12ihipStream_tbENKUlT_T0_E_clISt17integral_constantIbLb0EES12_IbLb1EEEEDaSY_SZ_EUlSY_E_NS1_11comp_targetILNS1_3genE5ELNS1_11target_archE942ELNS1_3gpuE9ELNS1_3repE0EEENS1_30default_config_static_selectorELNS0_4arch9wavefront6targetE0EEEvT1_
	.globl	_ZN7rocprim17ROCPRIM_400000_NS6detail17trampoline_kernelINS0_14default_configENS1_29reduce_by_key_config_selectorIxjN6thrust23THRUST_200600_302600_NS4plusIjEEEEZZNS1_33reduce_by_key_impl_wrapped_configILNS1_25lookback_scan_determinismE0ES3_S9_NS6_6detail15normal_iteratorINS6_10device_ptrIxEEEENSD_INSE_IjEEEESG_SI_PmS8_NS6_8equal_toIxEEEE10hipError_tPvRmT2_T3_mT4_T5_T6_T7_T8_P12ihipStream_tbENKUlT_T0_E_clISt17integral_constantIbLb0EES12_IbLb1EEEEDaSY_SZ_EUlSY_E_NS1_11comp_targetILNS1_3genE5ELNS1_11target_archE942ELNS1_3gpuE9ELNS1_3repE0EEENS1_30default_config_static_selectorELNS0_4arch9wavefront6targetE0EEEvT1_
	.p2align	8
	.type	_ZN7rocprim17ROCPRIM_400000_NS6detail17trampoline_kernelINS0_14default_configENS1_29reduce_by_key_config_selectorIxjN6thrust23THRUST_200600_302600_NS4plusIjEEEEZZNS1_33reduce_by_key_impl_wrapped_configILNS1_25lookback_scan_determinismE0ES3_S9_NS6_6detail15normal_iteratorINS6_10device_ptrIxEEEENSD_INSE_IjEEEESG_SI_PmS8_NS6_8equal_toIxEEEE10hipError_tPvRmT2_T3_mT4_T5_T6_T7_T8_P12ihipStream_tbENKUlT_T0_E_clISt17integral_constantIbLb0EES12_IbLb1EEEEDaSY_SZ_EUlSY_E_NS1_11comp_targetILNS1_3genE5ELNS1_11target_archE942ELNS1_3gpuE9ELNS1_3repE0EEENS1_30default_config_static_selectorELNS0_4arch9wavefront6targetE0EEEvT1_,@function
_ZN7rocprim17ROCPRIM_400000_NS6detail17trampoline_kernelINS0_14default_configENS1_29reduce_by_key_config_selectorIxjN6thrust23THRUST_200600_302600_NS4plusIjEEEEZZNS1_33reduce_by_key_impl_wrapped_configILNS1_25lookback_scan_determinismE0ES3_S9_NS6_6detail15normal_iteratorINS6_10device_ptrIxEEEENSD_INSE_IjEEEESG_SI_PmS8_NS6_8equal_toIxEEEE10hipError_tPvRmT2_T3_mT4_T5_T6_T7_T8_P12ihipStream_tbENKUlT_T0_E_clISt17integral_constantIbLb0EES12_IbLb1EEEEDaSY_SZ_EUlSY_E_NS1_11comp_targetILNS1_3genE5ELNS1_11target_archE942ELNS1_3gpuE9ELNS1_3repE0EEENS1_30default_config_static_selectorELNS0_4arch9wavefront6targetE0EEEvT1_: ; @_ZN7rocprim17ROCPRIM_400000_NS6detail17trampoline_kernelINS0_14default_configENS1_29reduce_by_key_config_selectorIxjN6thrust23THRUST_200600_302600_NS4plusIjEEEEZZNS1_33reduce_by_key_impl_wrapped_configILNS1_25lookback_scan_determinismE0ES3_S9_NS6_6detail15normal_iteratorINS6_10device_ptrIxEEEENSD_INSE_IjEEEESG_SI_PmS8_NS6_8equal_toIxEEEE10hipError_tPvRmT2_T3_mT4_T5_T6_T7_T8_P12ihipStream_tbENKUlT_T0_E_clISt17integral_constantIbLb0EES12_IbLb1EEEEDaSY_SZ_EUlSY_E_NS1_11comp_targetILNS1_3genE5ELNS1_11target_archE942ELNS1_3gpuE9ELNS1_3repE0EEENS1_30default_config_static_selectorELNS0_4arch9wavefront6targetE0EEEvT1_
; %bb.0:
	.section	.rodata,"a",@progbits
	.p2align	6, 0x0
	.amdhsa_kernel _ZN7rocprim17ROCPRIM_400000_NS6detail17trampoline_kernelINS0_14default_configENS1_29reduce_by_key_config_selectorIxjN6thrust23THRUST_200600_302600_NS4plusIjEEEEZZNS1_33reduce_by_key_impl_wrapped_configILNS1_25lookback_scan_determinismE0ES3_S9_NS6_6detail15normal_iteratorINS6_10device_ptrIxEEEENSD_INSE_IjEEEESG_SI_PmS8_NS6_8equal_toIxEEEE10hipError_tPvRmT2_T3_mT4_T5_T6_T7_T8_P12ihipStream_tbENKUlT_T0_E_clISt17integral_constantIbLb0EES12_IbLb1EEEEDaSY_SZ_EUlSY_E_NS1_11comp_targetILNS1_3genE5ELNS1_11target_archE942ELNS1_3gpuE9ELNS1_3repE0EEENS1_30default_config_static_selectorELNS0_4arch9wavefront6targetE0EEEvT1_
		.amdhsa_group_segment_fixed_size 0
		.amdhsa_private_segment_fixed_size 0
		.amdhsa_kernarg_size 120
		.amdhsa_user_sgpr_count 15
		.amdhsa_user_sgpr_dispatch_ptr 0
		.amdhsa_user_sgpr_queue_ptr 0
		.amdhsa_user_sgpr_kernarg_segment_ptr 1
		.amdhsa_user_sgpr_dispatch_id 0
		.amdhsa_user_sgpr_private_segment_size 0
		.amdhsa_wavefront_size32 1
		.amdhsa_uses_dynamic_stack 0
		.amdhsa_enable_private_segment 0
		.amdhsa_system_sgpr_workgroup_id_x 1
		.amdhsa_system_sgpr_workgroup_id_y 0
		.amdhsa_system_sgpr_workgroup_id_z 0
		.amdhsa_system_sgpr_workgroup_info 0
		.amdhsa_system_vgpr_workitem_id 0
		.amdhsa_next_free_vgpr 1
		.amdhsa_next_free_sgpr 1
		.amdhsa_reserve_vcc 0
		.amdhsa_float_round_mode_32 0
		.amdhsa_float_round_mode_16_64 0
		.amdhsa_float_denorm_mode_32 3
		.amdhsa_float_denorm_mode_16_64 3
		.amdhsa_dx10_clamp 1
		.amdhsa_ieee_mode 1
		.amdhsa_fp16_overflow 0
		.amdhsa_workgroup_processor_mode 1
		.amdhsa_memory_ordered 1
		.amdhsa_forward_progress 0
		.amdhsa_shared_vgpr_count 0
		.amdhsa_exception_fp_ieee_invalid_op 0
		.amdhsa_exception_fp_denorm_src 0
		.amdhsa_exception_fp_ieee_div_zero 0
		.amdhsa_exception_fp_ieee_overflow 0
		.amdhsa_exception_fp_ieee_underflow 0
		.amdhsa_exception_fp_ieee_inexact 0
		.amdhsa_exception_int_div_zero 0
	.end_amdhsa_kernel
	.section	.text._ZN7rocprim17ROCPRIM_400000_NS6detail17trampoline_kernelINS0_14default_configENS1_29reduce_by_key_config_selectorIxjN6thrust23THRUST_200600_302600_NS4plusIjEEEEZZNS1_33reduce_by_key_impl_wrapped_configILNS1_25lookback_scan_determinismE0ES3_S9_NS6_6detail15normal_iteratorINS6_10device_ptrIxEEEENSD_INSE_IjEEEESG_SI_PmS8_NS6_8equal_toIxEEEE10hipError_tPvRmT2_T3_mT4_T5_T6_T7_T8_P12ihipStream_tbENKUlT_T0_E_clISt17integral_constantIbLb0EES12_IbLb1EEEEDaSY_SZ_EUlSY_E_NS1_11comp_targetILNS1_3genE5ELNS1_11target_archE942ELNS1_3gpuE9ELNS1_3repE0EEENS1_30default_config_static_selectorELNS0_4arch9wavefront6targetE0EEEvT1_,"axG",@progbits,_ZN7rocprim17ROCPRIM_400000_NS6detail17trampoline_kernelINS0_14default_configENS1_29reduce_by_key_config_selectorIxjN6thrust23THRUST_200600_302600_NS4plusIjEEEEZZNS1_33reduce_by_key_impl_wrapped_configILNS1_25lookback_scan_determinismE0ES3_S9_NS6_6detail15normal_iteratorINS6_10device_ptrIxEEEENSD_INSE_IjEEEESG_SI_PmS8_NS6_8equal_toIxEEEE10hipError_tPvRmT2_T3_mT4_T5_T6_T7_T8_P12ihipStream_tbENKUlT_T0_E_clISt17integral_constantIbLb0EES12_IbLb1EEEEDaSY_SZ_EUlSY_E_NS1_11comp_targetILNS1_3genE5ELNS1_11target_archE942ELNS1_3gpuE9ELNS1_3repE0EEENS1_30default_config_static_selectorELNS0_4arch9wavefront6targetE0EEEvT1_,comdat
.Lfunc_end797:
	.size	_ZN7rocprim17ROCPRIM_400000_NS6detail17trampoline_kernelINS0_14default_configENS1_29reduce_by_key_config_selectorIxjN6thrust23THRUST_200600_302600_NS4plusIjEEEEZZNS1_33reduce_by_key_impl_wrapped_configILNS1_25lookback_scan_determinismE0ES3_S9_NS6_6detail15normal_iteratorINS6_10device_ptrIxEEEENSD_INSE_IjEEEESG_SI_PmS8_NS6_8equal_toIxEEEE10hipError_tPvRmT2_T3_mT4_T5_T6_T7_T8_P12ihipStream_tbENKUlT_T0_E_clISt17integral_constantIbLb0EES12_IbLb1EEEEDaSY_SZ_EUlSY_E_NS1_11comp_targetILNS1_3genE5ELNS1_11target_archE942ELNS1_3gpuE9ELNS1_3repE0EEENS1_30default_config_static_selectorELNS0_4arch9wavefront6targetE0EEEvT1_, .Lfunc_end797-_ZN7rocprim17ROCPRIM_400000_NS6detail17trampoline_kernelINS0_14default_configENS1_29reduce_by_key_config_selectorIxjN6thrust23THRUST_200600_302600_NS4plusIjEEEEZZNS1_33reduce_by_key_impl_wrapped_configILNS1_25lookback_scan_determinismE0ES3_S9_NS6_6detail15normal_iteratorINS6_10device_ptrIxEEEENSD_INSE_IjEEEESG_SI_PmS8_NS6_8equal_toIxEEEE10hipError_tPvRmT2_T3_mT4_T5_T6_T7_T8_P12ihipStream_tbENKUlT_T0_E_clISt17integral_constantIbLb0EES12_IbLb1EEEEDaSY_SZ_EUlSY_E_NS1_11comp_targetILNS1_3genE5ELNS1_11target_archE942ELNS1_3gpuE9ELNS1_3repE0EEENS1_30default_config_static_selectorELNS0_4arch9wavefront6targetE0EEEvT1_
                                        ; -- End function
	.section	.AMDGPU.csdata,"",@progbits
; Kernel info:
; codeLenInByte = 0
; NumSgprs: 0
; NumVgprs: 0
; ScratchSize: 0
; MemoryBound: 0
; FloatMode: 240
; IeeeMode: 1
; LDSByteSize: 0 bytes/workgroup (compile time only)
; SGPRBlocks: 0
; VGPRBlocks: 0
; NumSGPRsForWavesPerEU: 1
; NumVGPRsForWavesPerEU: 1
; Occupancy: 16
; WaveLimiterHint : 0
; COMPUTE_PGM_RSRC2:SCRATCH_EN: 0
; COMPUTE_PGM_RSRC2:USER_SGPR: 15
; COMPUTE_PGM_RSRC2:TRAP_HANDLER: 0
; COMPUTE_PGM_RSRC2:TGID_X_EN: 1
; COMPUTE_PGM_RSRC2:TGID_Y_EN: 0
; COMPUTE_PGM_RSRC2:TGID_Z_EN: 0
; COMPUTE_PGM_RSRC2:TIDIG_COMP_CNT: 0
	.section	.text._ZN7rocprim17ROCPRIM_400000_NS6detail17trampoline_kernelINS0_14default_configENS1_29reduce_by_key_config_selectorIxjN6thrust23THRUST_200600_302600_NS4plusIjEEEEZZNS1_33reduce_by_key_impl_wrapped_configILNS1_25lookback_scan_determinismE0ES3_S9_NS6_6detail15normal_iteratorINS6_10device_ptrIxEEEENSD_INSE_IjEEEESG_SI_PmS8_NS6_8equal_toIxEEEE10hipError_tPvRmT2_T3_mT4_T5_T6_T7_T8_P12ihipStream_tbENKUlT_T0_E_clISt17integral_constantIbLb0EES12_IbLb1EEEEDaSY_SZ_EUlSY_E_NS1_11comp_targetILNS1_3genE4ELNS1_11target_archE910ELNS1_3gpuE8ELNS1_3repE0EEENS1_30default_config_static_selectorELNS0_4arch9wavefront6targetE0EEEvT1_,"axG",@progbits,_ZN7rocprim17ROCPRIM_400000_NS6detail17trampoline_kernelINS0_14default_configENS1_29reduce_by_key_config_selectorIxjN6thrust23THRUST_200600_302600_NS4plusIjEEEEZZNS1_33reduce_by_key_impl_wrapped_configILNS1_25lookback_scan_determinismE0ES3_S9_NS6_6detail15normal_iteratorINS6_10device_ptrIxEEEENSD_INSE_IjEEEESG_SI_PmS8_NS6_8equal_toIxEEEE10hipError_tPvRmT2_T3_mT4_T5_T6_T7_T8_P12ihipStream_tbENKUlT_T0_E_clISt17integral_constantIbLb0EES12_IbLb1EEEEDaSY_SZ_EUlSY_E_NS1_11comp_targetILNS1_3genE4ELNS1_11target_archE910ELNS1_3gpuE8ELNS1_3repE0EEENS1_30default_config_static_selectorELNS0_4arch9wavefront6targetE0EEEvT1_,comdat
	.protected	_ZN7rocprim17ROCPRIM_400000_NS6detail17trampoline_kernelINS0_14default_configENS1_29reduce_by_key_config_selectorIxjN6thrust23THRUST_200600_302600_NS4plusIjEEEEZZNS1_33reduce_by_key_impl_wrapped_configILNS1_25lookback_scan_determinismE0ES3_S9_NS6_6detail15normal_iteratorINS6_10device_ptrIxEEEENSD_INSE_IjEEEESG_SI_PmS8_NS6_8equal_toIxEEEE10hipError_tPvRmT2_T3_mT4_T5_T6_T7_T8_P12ihipStream_tbENKUlT_T0_E_clISt17integral_constantIbLb0EES12_IbLb1EEEEDaSY_SZ_EUlSY_E_NS1_11comp_targetILNS1_3genE4ELNS1_11target_archE910ELNS1_3gpuE8ELNS1_3repE0EEENS1_30default_config_static_selectorELNS0_4arch9wavefront6targetE0EEEvT1_ ; -- Begin function _ZN7rocprim17ROCPRIM_400000_NS6detail17trampoline_kernelINS0_14default_configENS1_29reduce_by_key_config_selectorIxjN6thrust23THRUST_200600_302600_NS4plusIjEEEEZZNS1_33reduce_by_key_impl_wrapped_configILNS1_25lookback_scan_determinismE0ES3_S9_NS6_6detail15normal_iteratorINS6_10device_ptrIxEEEENSD_INSE_IjEEEESG_SI_PmS8_NS6_8equal_toIxEEEE10hipError_tPvRmT2_T3_mT4_T5_T6_T7_T8_P12ihipStream_tbENKUlT_T0_E_clISt17integral_constantIbLb0EES12_IbLb1EEEEDaSY_SZ_EUlSY_E_NS1_11comp_targetILNS1_3genE4ELNS1_11target_archE910ELNS1_3gpuE8ELNS1_3repE0EEENS1_30default_config_static_selectorELNS0_4arch9wavefront6targetE0EEEvT1_
	.globl	_ZN7rocprim17ROCPRIM_400000_NS6detail17trampoline_kernelINS0_14default_configENS1_29reduce_by_key_config_selectorIxjN6thrust23THRUST_200600_302600_NS4plusIjEEEEZZNS1_33reduce_by_key_impl_wrapped_configILNS1_25lookback_scan_determinismE0ES3_S9_NS6_6detail15normal_iteratorINS6_10device_ptrIxEEEENSD_INSE_IjEEEESG_SI_PmS8_NS6_8equal_toIxEEEE10hipError_tPvRmT2_T3_mT4_T5_T6_T7_T8_P12ihipStream_tbENKUlT_T0_E_clISt17integral_constantIbLb0EES12_IbLb1EEEEDaSY_SZ_EUlSY_E_NS1_11comp_targetILNS1_3genE4ELNS1_11target_archE910ELNS1_3gpuE8ELNS1_3repE0EEENS1_30default_config_static_selectorELNS0_4arch9wavefront6targetE0EEEvT1_
	.p2align	8
	.type	_ZN7rocprim17ROCPRIM_400000_NS6detail17trampoline_kernelINS0_14default_configENS1_29reduce_by_key_config_selectorIxjN6thrust23THRUST_200600_302600_NS4plusIjEEEEZZNS1_33reduce_by_key_impl_wrapped_configILNS1_25lookback_scan_determinismE0ES3_S9_NS6_6detail15normal_iteratorINS6_10device_ptrIxEEEENSD_INSE_IjEEEESG_SI_PmS8_NS6_8equal_toIxEEEE10hipError_tPvRmT2_T3_mT4_T5_T6_T7_T8_P12ihipStream_tbENKUlT_T0_E_clISt17integral_constantIbLb0EES12_IbLb1EEEEDaSY_SZ_EUlSY_E_NS1_11comp_targetILNS1_3genE4ELNS1_11target_archE910ELNS1_3gpuE8ELNS1_3repE0EEENS1_30default_config_static_selectorELNS0_4arch9wavefront6targetE0EEEvT1_,@function
_ZN7rocprim17ROCPRIM_400000_NS6detail17trampoline_kernelINS0_14default_configENS1_29reduce_by_key_config_selectorIxjN6thrust23THRUST_200600_302600_NS4plusIjEEEEZZNS1_33reduce_by_key_impl_wrapped_configILNS1_25lookback_scan_determinismE0ES3_S9_NS6_6detail15normal_iteratorINS6_10device_ptrIxEEEENSD_INSE_IjEEEESG_SI_PmS8_NS6_8equal_toIxEEEE10hipError_tPvRmT2_T3_mT4_T5_T6_T7_T8_P12ihipStream_tbENKUlT_T0_E_clISt17integral_constantIbLb0EES12_IbLb1EEEEDaSY_SZ_EUlSY_E_NS1_11comp_targetILNS1_3genE4ELNS1_11target_archE910ELNS1_3gpuE8ELNS1_3repE0EEENS1_30default_config_static_selectorELNS0_4arch9wavefront6targetE0EEEvT1_: ; @_ZN7rocprim17ROCPRIM_400000_NS6detail17trampoline_kernelINS0_14default_configENS1_29reduce_by_key_config_selectorIxjN6thrust23THRUST_200600_302600_NS4plusIjEEEEZZNS1_33reduce_by_key_impl_wrapped_configILNS1_25lookback_scan_determinismE0ES3_S9_NS6_6detail15normal_iteratorINS6_10device_ptrIxEEEENSD_INSE_IjEEEESG_SI_PmS8_NS6_8equal_toIxEEEE10hipError_tPvRmT2_T3_mT4_T5_T6_T7_T8_P12ihipStream_tbENKUlT_T0_E_clISt17integral_constantIbLb0EES12_IbLb1EEEEDaSY_SZ_EUlSY_E_NS1_11comp_targetILNS1_3genE4ELNS1_11target_archE910ELNS1_3gpuE8ELNS1_3repE0EEENS1_30default_config_static_selectorELNS0_4arch9wavefront6targetE0EEEvT1_
; %bb.0:
	.section	.rodata,"a",@progbits
	.p2align	6, 0x0
	.amdhsa_kernel _ZN7rocprim17ROCPRIM_400000_NS6detail17trampoline_kernelINS0_14default_configENS1_29reduce_by_key_config_selectorIxjN6thrust23THRUST_200600_302600_NS4plusIjEEEEZZNS1_33reduce_by_key_impl_wrapped_configILNS1_25lookback_scan_determinismE0ES3_S9_NS6_6detail15normal_iteratorINS6_10device_ptrIxEEEENSD_INSE_IjEEEESG_SI_PmS8_NS6_8equal_toIxEEEE10hipError_tPvRmT2_T3_mT4_T5_T6_T7_T8_P12ihipStream_tbENKUlT_T0_E_clISt17integral_constantIbLb0EES12_IbLb1EEEEDaSY_SZ_EUlSY_E_NS1_11comp_targetILNS1_3genE4ELNS1_11target_archE910ELNS1_3gpuE8ELNS1_3repE0EEENS1_30default_config_static_selectorELNS0_4arch9wavefront6targetE0EEEvT1_
		.amdhsa_group_segment_fixed_size 0
		.amdhsa_private_segment_fixed_size 0
		.amdhsa_kernarg_size 120
		.amdhsa_user_sgpr_count 15
		.amdhsa_user_sgpr_dispatch_ptr 0
		.amdhsa_user_sgpr_queue_ptr 0
		.amdhsa_user_sgpr_kernarg_segment_ptr 1
		.amdhsa_user_sgpr_dispatch_id 0
		.amdhsa_user_sgpr_private_segment_size 0
		.amdhsa_wavefront_size32 1
		.amdhsa_uses_dynamic_stack 0
		.amdhsa_enable_private_segment 0
		.amdhsa_system_sgpr_workgroup_id_x 1
		.amdhsa_system_sgpr_workgroup_id_y 0
		.amdhsa_system_sgpr_workgroup_id_z 0
		.amdhsa_system_sgpr_workgroup_info 0
		.amdhsa_system_vgpr_workitem_id 0
		.amdhsa_next_free_vgpr 1
		.amdhsa_next_free_sgpr 1
		.amdhsa_reserve_vcc 0
		.amdhsa_float_round_mode_32 0
		.amdhsa_float_round_mode_16_64 0
		.amdhsa_float_denorm_mode_32 3
		.amdhsa_float_denorm_mode_16_64 3
		.amdhsa_dx10_clamp 1
		.amdhsa_ieee_mode 1
		.amdhsa_fp16_overflow 0
		.amdhsa_workgroup_processor_mode 1
		.amdhsa_memory_ordered 1
		.amdhsa_forward_progress 0
		.amdhsa_shared_vgpr_count 0
		.amdhsa_exception_fp_ieee_invalid_op 0
		.amdhsa_exception_fp_denorm_src 0
		.amdhsa_exception_fp_ieee_div_zero 0
		.amdhsa_exception_fp_ieee_overflow 0
		.amdhsa_exception_fp_ieee_underflow 0
		.amdhsa_exception_fp_ieee_inexact 0
		.amdhsa_exception_int_div_zero 0
	.end_amdhsa_kernel
	.section	.text._ZN7rocprim17ROCPRIM_400000_NS6detail17trampoline_kernelINS0_14default_configENS1_29reduce_by_key_config_selectorIxjN6thrust23THRUST_200600_302600_NS4plusIjEEEEZZNS1_33reduce_by_key_impl_wrapped_configILNS1_25lookback_scan_determinismE0ES3_S9_NS6_6detail15normal_iteratorINS6_10device_ptrIxEEEENSD_INSE_IjEEEESG_SI_PmS8_NS6_8equal_toIxEEEE10hipError_tPvRmT2_T3_mT4_T5_T6_T7_T8_P12ihipStream_tbENKUlT_T0_E_clISt17integral_constantIbLb0EES12_IbLb1EEEEDaSY_SZ_EUlSY_E_NS1_11comp_targetILNS1_3genE4ELNS1_11target_archE910ELNS1_3gpuE8ELNS1_3repE0EEENS1_30default_config_static_selectorELNS0_4arch9wavefront6targetE0EEEvT1_,"axG",@progbits,_ZN7rocprim17ROCPRIM_400000_NS6detail17trampoline_kernelINS0_14default_configENS1_29reduce_by_key_config_selectorIxjN6thrust23THRUST_200600_302600_NS4plusIjEEEEZZNS1_33reduce_by_key_impl_wrapped_configILNS1_25lookback_scan_determinismE0ES3_S9_NS6_6detail15normal_iteratorINS6_10device_ptrIxEEEENSD_INSE_IjEEEESG_SI_PmS8_NS6_8equal_toIxEEEE10hipError_tPvRmT2_T3_mT4_T5_T6_T7_T8_P12ihipStream_tbENKUlT_T0_E_clISt17integral_constantIbLb0EES12_IbLb1EEEEDaSY_SZ_EUlSY_E_NS1_11comp_targetILNS1_3genE4ELNS1_11target_archE910ELNS1_3gpuE8ELNS1_3repE0EEENS1_30default_config_static_selectorELNS0_4arch9wavefront6targetE0EEEvT1_,comdat
.Lfunc_end798:
	.size	_ZN7rocprim17ROCPRIM_400000_NS6detail17trampoline_kernelINS0_14default_configENS1_29reduce_by_key_config_selectorIxjN6thrust23THRUST_200600_302600_NS4plusIjEEEEZZNS1_33reduce_by_key_impl_wrapped_configILNS1_25lookback_scan_determinismE0ES3_S9_NS6_6detail15normal_iteratorINS6_10device_ptrIxEEEENSD_INSE_IjEEEESG_SI_PmS8_NS6_8equal_toIxEEEE10hipError_tPvRmT2_T3_mT4_T5_T6_T7_T8_P12ihipStream_tbENKUlT_T0_E_clISt17integral_constantIbLb0EES12_IbLb1EEEEDaSY_SZ_EUlSY_E_NS1_11comp_targetILNS1_3genE4ELNS1_11target_archE910ELNS1_3gpuE8ELNS1_3repE0EEENS1_30default_config_static_selectorELNS0_4arch9wavefront6targetE0EEEvT1_, .Lfunc_end798-_ZN7rocprim17ROCPRIM_400000_NS6detail17trampoline_kernelINS0_14default_configENS1_29reduce_by_key_config_selectorIxjN6thrust23THRUST_200600_302600_NS4plusIjEEEEZZNS1_33reduce_by_key_impl_wrapped_configILNS1_25lookback_scan_determinismE0ES3_S9_NS6_6detail15normal_iteratorINS6_10device_ptrIxEEEENSD_INSE_IjEEEESG_SI_PmS8_NS6_8equal_toIxEEEE10hipError_tPvRmT2_T3_mT4_T5_T6_T7_T8_P12ihipStream_tbENKUlT_T0_E_clISt17integral_constantIbLb0EES12_IbLb1EEEEDaSY_SZ_EUlSY_E_NS1_11comp_targetILNS1_3genE4ELNS1_11target_archE910ELNS1_3gpuE8ELNS1_3repE0EEENS1_30default_config_static_selectorELNS0_4arch9wavefront6targetE0EEEvT1_
                                        ; -- End function
	.section	.AMDGPU.csdata,"",@progbits
; Kernel info:
; codeLenInByte = 0
; NumSgprs: 0
; NumVgprs: 0
; ScratchSize: 0
; MemoryBound: 0
; FloatMode: 240
; IeeeMode: 1
; LDSByteSize: 0 bytes/workgroup (compile time only)
; SGPRBlocks: 0
; VGPRBlocks: 0
; NumSGPRsForWavesPerEU: 1
; NumVGPRsForWavesPerEU: 1
; Occupancy: 16
; WaveLimiterHint : 0
; COMPUTE_PGM_RSRC2:SCRATCH_EN: 0
; COMPUTE_PGM_RSRC2:USER_SGPR: 15
; COMPUTE_PGM_RSRC2:TRAP_HANDLER: 0
; COMPUTE_PGM_RSRC2:TGID_X_EN: 1
; COMPUTE_PGM_RSRC2:TGID_Y_EN: 0
; COMPUTE_PGM_RSRC2:TGID_Z_EN: 0
; COMPUTE_PGM_RSRC2:TIDIG_COMP_CNT: 0
	.section	.text._ZN7rocprim17ROCPRIM_400000_NS6detail17trampoline_kernelINS0_14default_configENS1_29reduce_by_key_config_selectorIxjN6thrust23THRUST_200600_302600_NS4plusIjEEEEZZNS1_33reduce_by_key_impl_wrapped_configILNS1_25lookback_scan_determinismE0ES3_S9_NS6_6detail15normal_iteratorINS6_10device_ptrIxEEEENSD_INSE_IjEEEESG_SI_PmS8_NS6_8equal_toIxEEEE10hipError_tPvRmT2_T3_mT4_T5_T6_T7_T8_P12ihipStream_tbENKUlT_T0_E_clISt17integral_constantIbLb0EES12_IbLb1EEEEDaSY_SZ_EUlSY_E_NS1_11comp_targetILNS1_3genE3ELNS1_11target_archE908ELNS1_3gpuE7ELNS1_3repE0EEENS1_30default_config_static_selectorELNS0_4arch9wavefront6targetE0EEEvT1_,"axG",@progbits,_ZN7rocprim17ROCPRIM_400000_NS6detail17trampoline_kernelINS0_14default_configENS1_29reduce_by_key_config_selectorIxjN6thrust23THRUST_200600_302600_NS4plusIjEEEEZZNS1_33reduce_by_key_impl_wrapped_configILNS1_25lookback_scan_determinismE0ES3_S9_NS6_6detail15normal_iteratorINS6_10device_ptrIxEEEENSD_INSE_IjEEEESG_SI_PmS8_NS6_8equal_toIxEEEE10hipError_tPvRmT2_T3_mT4_T5_T6_T7_T8_P12ihipStream_tbENKUlT_T0_E_clISt17integral_constantIbLb0EES12_IbLb1EEEEDaSY_SZ_EUlSY_E_NS1_11comp_targetILNS1_3genE3ELNS1_11target_archE908ELNS1_3gpuE7ELNS1_3repE0EEENS1_30default_config_static_selectorELNS0_4arch9wavefront6targetE0EEEvT1_,comdat
	.protected	_ZN7rocprim17ROCPRIM_400000_NS6detail17trampoline_kernelINS0_14default_configENS1_29reduce_by_key_config_selectorIxjN6thrust23THRUST_200600_302600_NS4plusIjEEEEZZNS1_33reduce_by_key_impl_wrapped_configILNS1_25lookback_scan_determinismE0ES3_S9_NS6_6detail15normal_iteratorINS6_10device_ptrIxEEEENSD_INSE_IjEEEESG_SI_PmS8_NS6_8equal_toIxEEEE10hipError_tPvRmT2_T3_mT4_T5_T6_T7_T8_P12ihipStream_tbENKUlT_T0_E_clISt17integral_constantIbLb0EES12_IbLb1EEEEDaSY_SZ_EUlSY_E_NS1_11comp_targetILNS1_3genE3ELNS1_11target_archE908ELNS1_3gpuE7ELNS1_3repE0EEENS1_30default_config_static_selectorELNS0_4arch9wavefront6targetE0EEEvT1_ ; -- Begin function _ZN7rocprim17ROCPRIM_400000_NS6detail17trampoline_kernelINS0_14default_configENS1_29reduce_by_key_config_selectorIxjN6thrust23THRUST_200600_302600_NS4plusIjEEEEZZNS1_33reduce_by_key_impl_wrapped_configILNS1_25lookback_scan_determinismE0ES3_S9_NS6_6detail15normal_iteratorINS6_10device_ptrIxEEEENSD_INSE_IjEEEESG_SI_PmS8_NS6_8equal_toIxEEEE10hipError_tPvRmT2_T3_mT4_T5_T6_T7_T8_P12ihipStream_tbENKUlT_T0_E_clISt17integral_constantIbLb0EES12_IbLb1EEEEDaSY_SZ_EUlSY_E_NS1_11comp_targetILNS1_3genE3ELNS1_11target_archE908ELNS1_3gpuE7ELNS1_3repE0EEENS1_30default_config_static_selectorELNS0_4arch9wavefront6targetE0EEEvT1_
	.globl	_ZN7rocprim17ROCPRIM_400000_NS6detail17trampoline_kernelINS0_14default_configENS1_29reduce_by_key_config_selectorIxjN6thrust23THRUST_200600_302600_NS4plusIjEEEEZZNS1_33reduce_by_key_impl_wrapped_configILNS1_25lookback_scan_determinismE0ES3_S9_NS6_6detail15normal_iteratorINS6_10device_ptrIxEEEENSD_INSE_IjEEEESG_SI_PmS8_NS6_8equal_toIxEEEE10hipError_tPvRmT2_T3_mT4_T5_T6_T7_T8_P12ihipStream_tbENKUlT_T0_E_clISt17integral_constantIbLb0EES12_IbLb1EEEEDaSY_SZ_EUlSY_E_NS1_11comp_targetILNS1_3genE3ELNS1_11target_archE908ELNS1_3gpuE7ELNS1_3repE0EEENS1_30default_config_static_selectorELNS0_4arch9wavefront6targetE0EEEvT1_
	.p2align	8
	.type	_ZN7rocprim17ROCPRIM_400000_NS6detail17trampoline_kernelINS0_14default_configENS1_29reduce_by_key_config_selectorIxjN6thrust23THRUST_200600_302600_NS4plusIjEEEEZZNS1_33reduce_by_key_impl_wrapped_configILNS1_25lookback_scan_determinismE0ES3_S9_NS6_6detail15normal_iteratorINS6_10device_ptrIxEEEENSD_INSE_IjEEEESG_SI_PmS8_NS6_8equal_toIxEEEE10hipError_tPvRmT2_T3_mT4_T5_T6_T7_T8_P12ihipStream_tbENKUlT_T0_E_clISt17integral_constantIbLb0EES12_IbLb1EEEEDaSY_SZ_EUlSY_E_NS1_11comp_targetILNS1_3genE3ELNS1_11target_archE908ELNS1_3gpuE7ELNS1_3repE0EEENS1_30default_config_static_selectorELNS0_4arch9wavefront6targetE0EEEvT1_,@function
_ZN7rocprim17ROCPRIM_400000_NS6detail17trampoline_kernelINS0_14default_configENS1_29reduce_by_key_config_selectorIxjN6thrust23THRUST_200600_302600_NS4plusIjEEEEZZNS1_33reduce_by_key_impl_wrapped_configILNS1_25lookback_scan_determinismE0ES3_S9_NS6_6detail15normal_iteratorINS6_10device_ptrIxEEEENSD_INSE_IjEEEESG_SI_PmS8_NS6_8equal_toIxEEEE10hipError_tPvRmT2_T3_mT4_T5_T6_T7_T8_P12ihipStream_tbENKUlT_T0_E_clISt17integral_constantIbLb0EES12_IbLb1EEEEDaSY_SZ_EUlSY_E_NS1_11comp_targetILNS1_3genE3ELNS1_11target_archE908ELNS1_3gpuE7ELNS1_3repE0EEENS1_30default_config_static_selectorELNS0_4arch9wavefront6targetE0EEEvT1_: ; @_ZN7rocprim17ROCPRIM_400000_NS6detail17trampoline_kernelINS0_14default_configENS1_29reduce_by_key_config_selectorIxjN6thrust23THRUST_200600_302600_NS4plusIjEEEEZZNS1_33reduce_by_key_impl_wrapped_configILNS1_25lookback_scan_determinismE0ES3_S9_NS6_6detail15normal_iteratorINS6_10device_ptrIxEEEENSD_INSE_IjEEEESG_SI_PmS8_NS6_8equal_toIxEEEE10hipError_tPvRmT2_T3_mT4_T5_T6_T7_T8_P12ihipStream_tbENKUlT_T0_E_clISt17integral_constantIbLb0EES12_IbLb1EEEEDaSY_SZ_EUlSY_E_NS1_11comp_targetILNS1_3genE3ELNS1_11target_archE908ELNS1_3gpuE7ELNS1_3repE0EEENS1_30default_config_static_selectorELNS0_4arch9wavefront6targetE0EEEvT1_
; %bb.0:
	.section	.rodata,"a",@progbits
	.p2align	6, 0x0
	.amdhsa_kernel _ZN7rocprim17ROCPRIM_400000_NS6detail17trampoline_kernelINS0_14default_configENS1_29reduce_by_key_config_selectorIxjN6thrust23THRUST_200600_302600_NS4plusIjEEEEZZNS1_33reduce_by_key_impl_wrapped_configILNS1_25lookback_scan_determinismE0ES3_S9_NS6_6detail15normal_iteratorINS6_10device_ptrIxEEEENSD_INSE_IjEEEESG_SI_PmS8_NS6_8equal_toIxEEEE10hipError_tPvRmT2_T3_mT4_T5_T6_T7_T8_P12ihipStream_tbENKUlT_T0_E_clISt17integral_constantIbLb0EES12_IbLb1EEEEDaSY_SZ_EUlSY_E_NS1_11comp_targetILNS1_3genE3ELNS1_11target_archE908ELNS1_3gpuE7ELNS1_3repE0EEENS1_30default_config_static_selectorELNS0_4arch9wavefront6targetE0EEEvT1_
		.amdhsa_group_segment_fixed_size 0
		.amdhsa_private_segment_fixed_size 0
		.amdhsa_kernarg_size 120
		.amdhsa_user_sgpr_count 15
		.amdhsa_user_sgpr_dispatch_ptr 0
		.amdhsa_user_sgpr_queue_ptr 0
		.amdhsa_user_sgpr_kernarg_segment_ptr 1
		.amdhsa_user_sgpr_dispatch_id 0
		.amdhsa_user_sgpr_private_segment_size 0
		.amdhsa_wavefront_size32 1
		.amdhsa_uses_dynamic_stack 0
		.amdhsa_enable_private_segment 0
		.amdhsa_system_sgpr_workgroup_id_x 1
		.amdhsa_system_sgpr_workgroup_id_y 0
		.amdhsa_system_sgpr_workgroup_id_z 0
		.amdhsa_system_sgpr_workgroup_info 0
		.amdhsa_system_vgpr_workitem_id 0
		.amdhsa_next_free_vgpr 1
		.amdhsa_next_free_sgpr 1
		.amdhsa_reserve_vcc 0
		.amdhsa_float_round_mode_32 0
		.amdhsa_float_round_mode_16_64 0
		.amdhsa_float_denorm_mode_32 3
		.amdhsa_float_denorm_mode_16_64 3
		.amdhsa_dx10_clamp 1
		.amdhsa_ieee_mode 1
		.amdhsa_fp16_overflow 0
		.amdhsa_workgroup_processor_mode 1
		.amdhsa_memory_ordered 1
		.amdhsa_forward_progress 0
		.amdhsa_shared_vgpr_count 0
		.amdhsa_exception_fp_ieee_invalid_op 0
		.amdhsa_exception_fp_denorm_src 0
		.amdhsa_exception_fp_ieee_div_zero 0
		.amdhsa_exception_fp_ieee_overflow 0
		.amdhsa_exception_fp_ieee_underflow 0
		.amdhsa_exception_fp_ieee_inexact 0
		.amdhsa_exception_int_div_zero 0
	.end_amdhsa_kernel
	.section	.text._ZN7rocprim17ROCPRIM_400000_NS6detail17trampoline_kernelINS0_14default_configENS1_29reduce_by_key_config_selectorIxjN6thrust23THRUST_200600_302600_NS4plusIjEEEEZZNS1_33reduce_by_key_impl_wrapped_configILNS1_25lookback_scan_determinismE0ES3_S9_NS6_6detail15normal_iteratorINS6_10device_ptrIxEEEENSD_INSE_IjEEEESG_SI_PmS8_NS6_8equal_toIxEEEE10hipError_tPvRmT2_T3_mT4_T5_T6_T7_T8_P12ihipStream_tbENKUlT_T0_E_clISt17integral_constantIbLb0EES12_IbLb1EEEEDaSY_SZ_EUlSY_E_NS1_11comp_targetILNS1_3genE3ELNS1_11target_archE908ELNS1_3gpuE7ELNS1_3repE0EEENS1_30default_config_static_selectorELNS0_4arch9wavefront6targetE0EEEvT1_,"axG",@progbits,_ZN7rocprim17ROCPRIM_400000_NS6detail17trampoline_kernelINS0_14default_configENS1_29reduce_by_key_config_selectorIxjN6thrust23THRUST_200600_302600_NS4plusIjEEEEZZNS1_33reduce_by_key_impl_wrapped_configILNS1_25lookback_scan_determinismE0ES3_S9_NS6_6detail15normal_iteratorINS6_10device_ptrIxEEEENSD_INSE_IjEEEESG_SI_PmS8_NS6_8equal_toIxEEEE10hipError_tPvRmT2_T3_mT4_T5_T6_T7_T8_P12ihipStream_tbENKUlT_T0_E_clISt17integral_constantIbLb0EES12_IbLb1EEEEDaSY_SZ_EUlSY_E_NS1_11comp_targetILNS1_3genE3ELNS1_11target_archE908ELNS1_3gpuE7ELNS1_3repE0EEENS1_30default_config_static_selectorELNS0_4arch9wavefront6targetE0EEEvT1_,comdat
.Lfunc_end799:
	.size	_ZN7rocprim17ROCPRIM_400000_NS6detail17trampoline_kernelINS0_14default_configENS1_29reduce_by_key_config_selectorIxjN6thrust23THRUST_200600_302600_NS4plusIjEEEEZZNS1_33reduce_by_key_impl_wrapped_configILNS1_25lookback_scan_determinismE0ES3_S9_NS6_6detail15normal_iteratorINS6_10device_ptrIxEEEENSD_INSE_IjEEEESG_SI_PmS8_NS6_8equal_toIxEEEE10hipError_tPvRmT2_T3_mT4_T5_T6_T7_T8_P12ihipStream_tbENKUlT_T0_E_clISt17integral_constantIbLb0EES12_IbLb1EEEEDaSY_SZ_EUlSY_E_NS1_11comp_targetILNS1_3genE3ELNS1_11target_archE908ELNS1_3gpuE7ELNS1_3repE0EEENS1_30default_config_static_selectorELNS0_4arch9wavefront6targetE0EEEvT1_, .Lfunc_end799-_ZN7rocprim17ROCPRIM_400000_NS6detail17trampoline_kernelINS0_14default_configENS1_29reduce_by_key_config_selectorIxjN6thrust23THRUST_200600_302600_NS4plusIjEEEEZZNS1_33reduce_by_key_impl_wrapped_configILNS1_25lookback_scan_determinismE0ES3_S9_NS6_6detail15normal_iteratorINS6_10device_ptrIxEEEENSD_INSE_IjEEEESG_SI_PmS8_NS6_8equal_toIxEEEE10hipError_tPvRmT2_T3_mT4_T5_T6_T7_T8_P12ihipStream_tbENKUlT_T0_E_clISt17integral_constantIbLb0EES12_IbLb1EEEEDaSY_SZ_EUlSY_E_NS1_11comp_targetILNS1_3genE3ELNS1_11target_archE908ELNS1_3gpuE7ELNS1_3repE0EEENS1_30default_config_static_selectorELNS0_4arch9wavefront6targetE0EEEvT1_
                                        ; -- End function
	.section	.AMDGPU.csdata,"",@progbits
; Kernel info:
; codeLenInByte = 0
; NumSgprs: 0
; NumVgprs: 0
; ScratchSize: 0
; MemoryBound: 0
; FloatMode: 240
; IeeeMode: 1
; LDSByteSize: 0 bytes/workgroup (compile time only)
; SGPRBlocks: 0
; VGPRBlocks: 0
; NumSGPRsForWavesPerEU: 1
; NumVGPRsForWavesPerEU: 1
; Occupancy: 16
; WaveLimiterHint : 0
; COMPUTE_PGM_RSRC2:SCRATCH_EN: 0
; COMPUTE_PGM_RSRC2:USER_SGPR: 15
; COMPUTE_PGM_RSRC2:TRAP_HANDLER: 0
; COMPUTE_PGM_RSRC2:TGID_X_EN: 1
; COMPUTE_PGM_RSRC2:TGID_Y_EN: 0
; COMPUTE_PGM_RSRC2:TGID_Z_EN: 0
; COMPUTE_PGM_RSRC2:TIDIG_COMP_CNT: 0
	.section	.text._ZN7rocprim17ROCPRIM_400000_NS6detail17trampoline_kernelINS0_14default_configENS1_29reduce_by_key_config_selectorIxjN6thrust23THRUST_200600_302600_NS4plusIjEEEEZZNS1_33reduce_by_key_impl_wrapped_configILNS1_25lookback_scan_determinismE0ES3_S9_NS6_6detail15normal_iteratorINS6_10device_ptrIxEEEENSD_INSE_IjEEEESG_SI_PmS8_NS6_8equal_toIxEEEE10hipError_tPvRmT2_T3_mT4_T5_T6_T7_T8_P12ihipStream_tbENKUlT_T0_E_clISt17integral_constantIbLb0EES12_IbLb1EEEEDaSY_SZ_EUlSY_E_NS1_11comp_targetILNS1_3genE2ELNS1_11target_archE906ELNS1_3gpuE6ELNS1_3repE0EEENS1_30default_config_static_selectorELNS0_4arch9wavefront6targetE0EEEvT1_,"axG",@progbits,_ZN7rocprim17ROCPRIM_400000_NS6detail17trampoline_kernelINS0_14default_configENS1_29reduce_by_key_config_selectorIxjN6thrust23THRUST_200600_302600_NS4plusIjEEEEZZNS1_33reduce_by_key_impl_wrapped_configILNS1_25lookback_scan_determinismE0ES3_S9_NS6_6detail15normal_iteratorINS6_10device_ptrIxEEEENSD_INSE_IjEEEESG_SI_PmS8_NS6_8equal_toIxEEEE10hipError_tPvRmT2_T3_mT4_T5_T6_T7_T8_P12ihipStream_tbENKUlT_T0_E_clISt17integral_constantIbLb0EES12_IbLb1EEEEDaSY_SZ_EUlSY_E_NS1_11comp_targetILNS1_3genE2ELNS1_11target_archE906ELNS1_3gpuE6ELNS1_3repE0EEENS1_30default_config_static_selectorELNS0_4arch9wavefront6targetE0EEEvT1_,comdat
	.protected	_ZN7rocprim17ROCPRIM_400000_NS6detail17trampoline_kernelINS0_14default_configENS1_29reduce_by_key_config_selectorIxjN6thrust23THRUST_200600_302600_NS4plusIjEEEEZZNS1_33reduce_by_key_impl_wrapped_configILNS1_25lookback_scan_determinismE0ES3_S9_NS6_6detail15normal_iteratorINS6_10device_ptrIxEEEENSD_INSE_IjEEEESG_SI_PmS8_NS6_8equal_toIxEEEE10hipError_tPvRmT2_T3_mT4_T5_T6_T7_T8_P12ihipStream_tbENKUlT_T0_E_clISt17integral_constantIbLb0EES12_IbLb1EEEEDaSY_SZ_EUlSY_E_NS1_11comp_targetILNS1_3genE2ELNS1_11target_archE906ELNS1_3gpuE6ELNS1_3repE0EEENS1_30default_config_static_selectorELNS0_4arch9wavefront6targetE0EEEvT1_ ; -- Begin function _ZN7rocprim17ROCPRIM_400000_NS6detail17trampoline_kernelINS0_14default_configENS1_29reduce_by_key_config_selectorIxjN6thrust23THRUST_200600_302600_NS4plusIjEEEEZZNS1_33reduce_by_key_impl_wrapped_configILNS1_25lookback_scan_determinismE0ES3_S9_NS6_6detail15normal_iteratorINS6_10device_ptrIxEEEENSD_INSE_IjEEEESG_SI_PmS8_NS6_8equal_toIxEEEE10hipError_tPvRmT2_T3_mT4_T5_T6_T7_T8_P12ihipStream_tbENKUlT_T0_E_clISt17integral_constantIbLb0EES12_IbLb1EEEEDaSY_SZ_EUlSY_E_NS1_11comp_targetILNS1_3genE2ELNS1_11target_archE906ELNS1_3gpuE6ELNS1_3repE0EEENS1_30default_config_static_selectorELNS0_4arch9wavefront6targetE0EEEvT1_
	.globl	_ZN7rocprim17ROCPRIM_400000_NS6detail17trampoline_kernelINS0_14default_configENS1_29reduce_by_key_config_selectorIxjN6thrust23THRUST_200600_302600_NS4plusIjEEEEZZNS1_33reduce_by_key_impl_wrapped_configILNS1_25lookback_scan_determinismE0ES3_S9_NS6_6detail15normal_iteratorINS6_10device_ptrIxEEEENSD_INSE_IjEEEESG_SI_PmS8_NS6_8equal_toIxEEEE10hipError_tPvRmT2_T3_mT4_T5_T6_T7_T8_P12ihipStream_tbENKUlT_T0_E_clISt17integral_constantIbLb0EES12_IbLb1EEEEDaSY_SZ_EUlSY_E_NS1_11comp_targetILNS1_3genE2ELNS1_11target_archE906ELNS1_3gpuE6ELNS1_3repE0EEENS1_30default_config_static_selectorELNS0_4arch9wavefront6targetE0EEEvT1_
	.p2align	8
	.type	_ZN7rocprim17ROCPRIM_400000_NS6detail17trampoline_kernelINS0_14default_configENS1_29reduce_by_key_config_selectorIxjN6thrust23THRUST_200600_302600_NS4plusIjEEEEZZNS1_33reduce_by_key_impl_wrapped_configILNS1_25lookback_scan_determinismE0ES3_S9_NS6_6detail15normal_iteratorINS6_10device_ptrIxEEEENSD_INSE_IjEEEESG_SI_PmS8_NS6_8equal_toIxEEEE10hipError_tPvRmT2_T3_mT4_T5_T6_T7_T8_P12ihipStream_tbENKUlT_T0_E_clISt17integral_constantIbLb0EES12_IbLb1EEEEDaSY_SZ_EUlSY_E_NS1_11comp_targetILNS1_3genE2ELNS1_11target_archE906ELNS1_3gpuE6ELNS1_3repE0EEENS1_30default_config_static_selectorELNS0_4arch9wavefront6targetE0EEEvT1_,@function
_ZN7rocprim17ROCPRIM_400000_NS6detail17trampoline_kernelINS0_14default_configENS1_29reduce_by_key_config_selectorIxjN6thrust23THRUST_200600_302600_NS4plusIjEEEEZZNS1_33reduce_by_key_impl_wrapped_configILNS1_25lookback_scan_determinismE0ES3_S9_NS6_6detail15normal_iteratorINS6_10device_ptrIxEEEENSD_INSE_IjEEEESG_SI_PmS8_NS6_8equal_toIxEEEE10hipError_tPvRmT2_T3_mT4_T5_T6_T7_T8_P12ihipStream_tbENKUlT_T0_E_clISt17integral_constantIbLb0EES12_IbLb1EEEEDaSY_SZ_EUlSY_E_NS1_11comp_targetILNS1_3genE2ELNS1_11target_archE906ELNS1_3gpuE6ELNS1_3repE0EEENS1_30default_config_static_selectorELNS0_4arch9wavefront6targetE0EEEvT1_: ; @_ZN7rocprim17ROCPRIM_400000_NS6detail17trampoline_kernelINS0_14default_configENS1_29reduce_by_key_config_selectorIxjN6thrust23THRUST_200600_302600_NS4plusIjEEEEZZNS1_33reduce_by_key_impl_wrapped_configILNS1_25lookback_scan_determinismE0ES3_S9_NS6_6detail15normal_iteratorINS6_10device_ptrIxEEEENSD_INSE_IjEEEESG_SI_PmS8_NS6_8equal_toIxEEEE10hipError_tPvRmT2_T3_mT4_T5_T6_T7_T8_P12ihipStream_tbENKUlT_T0_E_clISt17integral_constantIbLb0EES12_IbLb1EEEEDaSY_SZ_EUlSY_E_NS1_11comp_targetILNS1_3genE2ELNS1_11target_archE906ELNS1_3gpuE6ELNS1_3repE0EEENS1_30default_config_static_selectorELNS0_4arch9wavefront6targetE0EEEvT1_
; %bb.0:
	.section	.rodata,"a",@progbits
	.p2align	6, 0x0
	.amdhsa_kernel _ZN7rocprim17ROCPRIM_400000_NS6detail17trampoline_kernelINS0_14default_configENS1_29reduce_by_key_config_selectorIxjN6thrust23THRUST_200600_302600_NS4plusIjEEEEZZNS1_33reduce_by_key_impl_wrapped_configILNS1_25lookback_scan_determinismE0ES3_S9_NS6_6detail15normal_iteratorINS6_10device_ptrIxEEEENSD_INSE_IjEEEESG_SI_PmS8_NS6_8equal_toIxEEEE10hipError_tPvRmT2_T3_mT4_T5_T6_T7_T8_P12ihipStream_tbENKUlT_T0_E_clISt17integral_constantIbLb0EES12_IbLb1EEEEDaSY_SZ_EUlSY_E_NS1_11comp_targetILNS1_3genE2ELNS1_11target_archE906ELNS1_3gpuE6ELNS1_3repE0EEENS1_30default_config_static_selectorELNS0_4arch9wavefront6targetE0EEEvT1_
		.amdhsa_group_segment_fixed_size 0
		.amdhsa_private_segment_fixed_size 0
		.amdhsa_kernarg_size 120
		.amdhsa_user_sgpr_count 15
		.amdhsa_user_sgpr_dispatch_ptr 0
		.amdhsa_user_sgpr_queue_ptr 0
		.amdhsa_user_sgpr_kernarg_segment_ptr 1
		.amdhsa_user_sgpr_dispatch_id 0
		.amdhsa_user_sgpr_private_segment_size 0
		.amdhsa_wavefront_size32 1
		.amdhsa_uses_dynamic_stack 0
		.amdhsa_enable_private_segment 0
		.amdhsa_system_sgpr_workgroup_id_x 1
		.amdhsa_system_sgpr_workgroup_id_y 0
		.amdhsa_system_sgpr_workgroup_id_z 0
		.amdhsa_system_sgpr_workgroup_info 0
		.amdhsa_system_vgpr_workitem_id 0
		.amdhsa_next_free_vgpr 1
		.amdhsa_next_free_sgpr 1
		.amdhsa_reserve_vcc 0
		.amdhsa_float_round_mode_32 0
		.amdhsa_float_round_mode_16_64 0
		.amdhsa_float_denorm_mode_32 3
		.amdhsa_float_denorm_mode_16_64 3
		.amdhsa_dx10_clamp 1
		.amdhsa_ieee_mode 1
		.amdhsa_fp16_overflow 0
		.amdhsa_workgroup_processor_mode 1
		.amdhsa_memory_ordered 1
		.amdhsa_forward_progress 0
		.amdhsa_shared_vgpr_count 0
		.amdhsa_exception_fp_ieee_invalid_op 0
		.amdhsa_exception_fp_denorm_src 0
		.amdhsa_exception_fp_ieee_div_zero 0
		.amdhsa_exception_fp_ieee_overflow 0
		.amdhsa_exception_fp_ieee_underflow 0
		.amdhsa_exception_fp_ieee_inexact 0
		.amdhsa_exception_int_div_zero 0
	.end_amdhsa_kernel
	.section	.text._ZN7rocprim17ROCPRIM_400000_NS6detail17trampoline_kernelINS0_14default_configENS1_29reduce_by_key_config_selectorIxjN6thrust23THRUST_200600_302600_NS4plusIjEEEEZZNS1_33reduce_by_key_impl_wrapped_configILNS1_25lookback_scan_determinismE0ES3_S9_NS6_6detail15normal_iteratorINS6_10device_ptrIxEEEENSD_INSE_IjEEEESG_SI_PmS8_NS6_8equal_toIxEEEE10hipError_tPvRmT2_T3_mT4_T5_T6_T7_T8_P12ihipStream_tbENKUlT_T0_E_clISt17integral_constantIbLb0EES12_IbLb1EEEEDaSY_SZ_EUlSY_E_NS1_11comp_targetILNS1_3genE2ELNS1_11target_archE906ELNS1_3gpuE6ELNS1_3repE0EEENS1_30default_config_static_selectorELNS0_4arch9wavefront6targetE0EEEvT1_,"axG",@progbits,_ZN7rocprim17ROCPRIM_400000_NS6detail17trampoline_kernelINS0_14default_configENS1_29reduce_by_key_config_selectorIxjN6thrust23THRUST_200600_302600_NS4plusIjEEEEZZNS1_33reduce_by_key_impl_wrapped_configILNS1_25lookback_scan_determinismE0ES3_S9_NS6_6detail15normal_iteratorINS6_10device_ptrIxEEEENSD_INSE_IjEEEESG_SI_PmS8_NS6_8equal_toIxEEEE10hipError_tPvRmT2_T3_mT4_T5_T6_T7_T8_P12ihipStream_tbENKUlT_T0_E_clISt17integral_constantIbLb0EES12_IbLb1EEEEDaSY_SZ_EUlSY_E_NS1_11comp_targetILNS1_3genE2ELNS1_11target_archE906ELNS1_3gpuE6ELNS1_3repE0EEENS1_30default_config_static_selectorELNS0_4arch9wavefront6targetE0EEEvT1_,comdat
.Lfunc_end800:
	.size	_ZN7rocprim17ROCPRIM_400000_NS6detail17trampoline_kernelINS0_14default_configENS1_29reduce_by_key_config_selectorIxjN6thrust23THRUST_200600_302600_NS4plusIjEEEEZZNS1_33reduce_by_key_impl_wrapped_configILNS1_25lookback_scan_determinismE0ES3_S9_NS6_6detail15normal_iteratorINS6_10device_ptrIxEEEENSD_INSE_IjEEEESG_SI_PmS8_NS6_8equal_toIxEEEE10hipError_tPvRmT2_T3_mT4_T5_T6_T7_T8_P12ihipStream_tbENKUlT_T0_E_clISt17integral_constantIbLb0EES12_IbLb1EEEEDaSY_SZ_EUlSY_E_NS1_11comp_targetILNS1_3genE2ELNS1_11target_archE906ELNS1_3gpuE6ELNS1_3repE0EEENS1_30default_config_static_selectorELNS0_4arch9wavefront6targetE0EEEvT1_, .Lfunc_end800-_ZN7rocprim17ROCPRIM_400000_NS6detail17trampoline_kernelINS0_14default_configENS1_29reduce_by_key_config_selectorIxjN6thrust23THRUST_200600_302600_NS4plusIjEEEEZZNS1_33reduce_by_key_impl_wrapped_configILNS1_25lookback_scan_determinismE0ES3_S9_NS6_6detail15normal_iteratorINS6_10device_ptrIxEEEENSD_INSE_IjEEEESG_SI_PmS8_NS6_8equal_toIxEEEE10hipError_tPvRmT2_T3_mT4_T5_T6_T7_T8_P12ihipStream_tbENKUlT_T0_E_clISt17integral_constantIbLb0EES12_IbLb1EEEEDaSY_SZ_EUlSY_E_NS1_11comp_targetILNS1_3genE2ELNS1_11target_archE906ELNS1_3gpuE6ELNS1_3repE0EEENS1_30default_config_static_selectorELNS0_4arch9wavefront6targetE0EEEvT1_
                                        ; -- End function
	.section	.AMDGPU.csdata,"",@progbits
; Kernel info:
; codeLenInByte = 0
; NumSgprs: 0
; NumVgprs: 0
; ScratchSize: 0
; MemoryBound: 0
; FloatMode: 240
; IeeeMode: 1
; LDSByteSize: 0 bytes/workgroup (compile time only)
; SGPRBlocks: 0
; VGPRBlocks: 0
; NumSGPRsForWavesPerEU: 1
; NumVGPRsForWavesPerEU: 1
; Occupancy: 16
; WaveLimiterHint : 0
; COMPUTE_PGM_RSRC2:SCRATCH_EN: 0
; COMPUTE_PGM_RSRC2:USER_SGPR: 15
; COMPUTE_PGM_RSRC2:TRAP_HANDLER: 0
; COMPUTE_PGM_RSRC2:TGID_X_EN: 1
; COMPUTE_PGM_RSRC2:TGID_Y_EN: 0
; COMPUTE_PGM_RSRC2:TGID_Z_EN: 0
; COMPUTE_PGM_RSRC2:TIDIG_COMP_CNT: 0
	.section	.text._ZN7rocprim17ROCPRIM_400000_NS6detail17trampoline_kernelINS0_14default_configENS1_29reduce_by_key_config_selectorIxjN6thrust23THRUST_200600_302600_NS4plusIjEEEEZZNS1_33reduce_by_key_impl_wrapped_configILNS1_25lookback_scan_determinismE0ES3_S9_NS6_6detail15normal_iteratorINS6_10device_ptrIxEEEENSD_INSE_IjEEEESG_SI_PmS8_NS6_8equal_toIxEEEE10hipError_tPvRmT2_T3_mT4_T5_T6_T7_T8_P12ihipStream_tbENKUlT_T0_E_clISt17integral_constantIbLb0EES12_IbLb1EEEEDaSY_SZ_EUlSY_E_NS1_11comp_targetILNS1_3genE10ELNS1_11target_archE1201ELNS1_3gpuE5ELNS1_3repE0EEENS1_30default_config_static_selectorELNS0_4arch9wavefront6targetE0EEEvT1_,"axG",@progbits,_ZN7rocprim17ROCPRIM_400000_NS6detail17trampoline_kernelINS0_14default_configENS1_29reduce_by_key_config_selectorIxjN6thrust23THRUST_200600_302600_NS4plusIjEEEEZZNS1_33reduce_by_key_impl_wrapped_configILNS1_25lookback_scan_determinismE0ES3_S9_NS6_6detail15normal_iteratorINS6_10device_ptrIxEEEENSD_INSE_IjEEEESG_SI_PmS8_NS6_8equal_toIxEEEE10hipError_tPvRmT2_T3_mT4_T5_T6_T7_T8_P12ihipStream_tbENKUlT_T0_E_clISt17integral_constantIbLb0EES12_IbLb1EEEEDaSY_SZ_EUlSY_E_NS1_11comp_targetILNS1_3genE10ELNS1_11target_archE1201ELNS1_3gpuE5ELNS1_3repE0EEENS1_30default_config_static_selectorELNS0_4arch9wavefront6targetE0EEEvT1_,comdat
	.protected	_ZN7rocprim17ROCPRIM_400000_NS6detail17trampoline_kernelINS0_14default_configENS1_29reduce_by_key_config_selectorIxjN6thrust23THRUST_200600_302600_NS4plusIjEEEEZZNS1_33reduce_by_key_impl_wrapped_configILNS1_25lookback_scan_determinismE0ES3_S9_NS6_6detail15normal_iteratorINS6_10device_ptrIxEEEENSD_INSE_IjEEEESG_SI_PmS8_NS6_8equal_toIxEEEE10hipError_tPvRmT2_T3_mT4_T5_T6_T7_T8_P12ihipStream_tbENKUlT_T0_E_clISt17integral_constantIbLb0EES12_IbLb1EEEEDaSY_SZ_EUlSY_E_NS1_11comp_targetILNS1_3genE10ELNS1_11target_archE1201ELNS1_3gpuE5ELNS1_3repE0EEENS1_30default_config_static_selectorELNS0_4arch9wavefront6targetE0EEEvT1_ ; -- Begin function _ZN7rocprim17ROCPRIM_400000_NS6detail17trampoline_kernelINS0_14default_configENS1_29reduce_by_key_config_selectorIxjN6thrust23THRUST_200600_302600_NS4plusIjEEEEZZNS1_33reduce_by_key_impl_wrapped_configILNS1_25lookback_scan_determinismE0ES3_S9_NS6_6detail15normal_iteratorINS6_10device_ptrIxEEEENSD_INSE_IjEEEESG_SI_PmS8_NS6_8equal_toIxEEEE10hipError_tPvRmT2_T3_mT4_T5_T6_T7_T8_P12ihipStream_tbENKUlT_T0_E_clISt17integral_constantIbLb0EES12_IbLb1EEEEDaSY_SZ_EUlSY_E_NS1_11comp_targetILNS1_3genE10ELNS1_11target_archE1201ELNS1_3gpuE5ELNS1_3repE0EEENS1_30default_config_static_selectorELNS0_4arch9wavefront6targetE0EEEvT1_
	.globl	_ZN7rocprim17ROCPRIM_400000_NS6detail17trampoline_kernelINS0_14default_configENS1_29reduce_by_key_config_selectorIxjN6thrust23THRUST_200600_302600_NS4plusIjEEEEZZNS1_33reduce_by_key_impl_wrapped_configILNS1_25lookback_scan_determinismE0ES3_S9_NS6_6detail15normal_iteratorINS6_10device_ptrIxEEEENSD_INSE_IjEEEESG_SI_PmS8_NS6_8equal_toIxEEEE10hipError_tPvRmT2_T3_mT4_T5_T6_T7_T8_P12ihipStream_tbENKUlT_T0_E_clISt17integral_constantIbLb0EES12_IbLb1EEEEDaSY_SZ_EUlSY_E_NS1_11comp_targetILNS1_3genE10ELNS1_11target_archE1201ELNS1_3gpuE5ELNS1_3repE0EEENS1_30default_config_static_selectorELNS0_4arch9wavefront6targetE0EEEvT1_
	.p2align	8
	.type	_ZN7rocprim17ROCPRIM_400000_NS6detail17trampoline_kernelINS0_14default_configENS1_29reduce_by_key_config_selectorIxjN6thrust23THRUST_200600_302600_NS4plusIjEEEEZZNS1_33reduce_by_key_impl_wrapped_configILNS1_25lookback_scan_determinismE0ES3_S9_NS6_6detail15normal_iteratorINS6_10device_ptrIxEEEENSD_INSE_IjEEEESG_SI_PmS8_NS6_8equal_toIxEEEE10hipError_tPvRmT2_T3_mT4_T5_T6_T7_T8_P12ihipStream_tbENKUlT_T0_E_clISt17integral_constantIbLb0EES12_IbLb1EEEEDaSY_SZ_EUlSY_E_NS1_11comp_targetILNS1_3genE10ELNS1_11target_archE1201ELNS1_3gpuE5ELNS1_3repE0EEENS1_30default_config_static_selectorELNS0_4arch9wavefront6targetE0EEEvT1_,@function
_ZN7rocprim17ROCPRIM_400000_NS6detail17trampoline_kernelINS0_14default_configENS1_29reduce_by_key_config_selectorIxjN6thrust23THRUST_200600_302600_NS4plusIjEEEEZZNS1_33reduce_by_key_impl_wrapped_configILNS1_25lookback_scan_determinismE0ES3_S9_NS6_6detail15normal_iteratorINS6_10device_ptrIxEEEENSD_INSE_IjEEEESG_SI_PmS8_NS6_8equal_toIxEEEE10hipError_tPvRmT2_T3_mT4_T5_T6_T7_T8_P12ihipStream_tbENKUlT_T0_E_clISt17integral_constantIbLb0EES12_IbLb1EEEEDaSY_SZ_EUlSY_E_NS1_11comp_targetILNS1_3genE10ELNS1_11target_archE1201ELNS1_3gpuE5ELNS1_3repE0EEENS1_30default_config_static_selectorELNS0_4arch9wavefront6targetE0EEEvT1_: ; @_ZN7rocprim17ROCPRIM_400000_NS6detail17trampoline_kernelINS0_14default_configENS1_29reduce_by_key_config_selectorIxjN6thrust23THRUST_200600_302600_NS4plusIjEEEEZZNS1_33reduce_by_key_impl_wrapped_configILNS1_25lookback_scan_determinismE0ES3_S9_NS6_6detail15normal_iteratorINS6_10device_ptrIxEEEENSD_INSE_IjEEEESG_SI_PmS8_NS6_8equal_toIxEEEE10hipError_tPvRmT2_T3_mT4_T5_T6_T7_T8_P12ihipStream_tbENKUlT_T0_E_clISt17integral_constantIbLb0EES12_IbLb1EEEEDaSY_SZ_EUlSY_E_NS1_11comp_targetILNS1_3genE10ELNS1_11target_archE1201ELNS1_3gpuE5ELNS1_3repE0EEENS1_30default_config_static_selectorELNS0_4arch9wavefront6targetE0EEEvT1_
; %bb.0:
	.section	.rodata,"a",@progbits
	.p2align	6, 0x0
	.amdhsa_kernel _ZN7rocprim17ROCPRIM_400000_NS6detail17trampoline_kernelINS0_14default_configENS1_29reduce_by_key_config_selectorIxjN6thrust23THRUST_200600_302600_NS4plusIjEEEEZZNS1_33reduce_by_key_impl_wrapped_configILNS1_25lookback_scan_determinismE0ES3_S9_NS6_6detail15normal_iteratorINS6_10device_ptrIxEEEENSD_INSE_IjEEEESG_SI_PmS8_NS6_8equal_toIxEEEE10hipError_tPvRmT2_T3_mT4_T5_T6_T7_T8_P12ihipStream_tbENKUlT_T0_E_clISt17integral_constantIbLb0EES12_IbLb1EEEEDaSY_SZ_EUlSY_E_NS1_11comp_targetILNS1_3genE10ELNS1_11target_archE1201ELNS1_3gpuE5ELNS1_3repE0EEENS1_30default_config_static_selectorELNS0_4arch9wavefront6targetE0EEEvT1_
		.amdhsa_group_segment_fixed_size 0
		.amdhsa_private_segment_fixed_size 0
		.amdhsa_kernarg_size 120
		.amdhsa_user_sgpr_count 15
		.amdhsa_user_sgpr_dispatch_ptr 0
		.amdhsa_user_sgpr_queue_ptr 0
		.amdhsa_user_sgpr_kernarg_segment_ptr 1
		.amdhsa_user_sgpr_dispatch_id 0
		.amdhsa_user_sgpr_private_segment_size 0
		.amdhsa_wavefront_size32 1
		.amdhsa_uses_dynamic_stack 0
		.amdhsa_enable_private_segment 0
		.amdhsa_system_sgpr_workgroup_id_x 1
		.amdhsa_system_sgpr_workgroup_id_y 0
		.amdhsa_system_sgpr_workgroup_id_z 0
		.amdhsa_system_sgpr_workgroup_info 0
		.amdhsa_system_vgpr_workitem_id 0
		.amdhsa_next_free_vgpr 1
		.amdhsa_next_free_sgpr 1
		.amdhsa_reserve_vcc 0
		.amdhsa_float_round_mode_32 0
		.amdhsa_float_round_mode_16_64 0
		.amdhsa_float_denorm_mode_32 3
		.amdhsa_float_denorm_mode_16_64 3
		.amdhsa_dx10_clamp 1
		.amdhsa_ieee_mode 1
		.amdhsa_fp16_overflow 0
		.amdhsa_workgroup_processor_mode 1
		.amdhsa_memory_ordered 1
		.amdhsa_forward_progress 0
		.amdhsa_shared_vgpr_count 0
		.amdhsa_exception_fp_ieee_invalid_op 0
		.amdhsa_exception_fp_denorm_src 0
		.amdhsa_exception_fp_ieee_div_zero 0
		.amdhsa_exception_fp_ieee_overflow 0
		.amdhsa_exception_fp_ieee_underflow 0
		.amdhsa_exception_fp_ieee_inexact 0
		.amdhsa_exception_int_div_zero 0
	.end_amdhsa_kernel
	.section	.text._ZN7rocprim17ROCPRIM_400000_NS6detail17trampoline_kernelINS0_14default_configENS1_29reduce_by_key_config_selectorIxjN6thrust23THRUST_200600_302600_NS4plusIjEEEEZZNS1_33reduce_by_key_impl_wrapped_configILNS1_25lookback_scan_determinismE0ES3_S9_NS6_6detail15normal_iteratorINS6_10device_ptrIxEEEENSD_INSE_IjEEEESG_SI_PmS8_NS6_8equal_toIxEEEE10hipError_tPvRmT2_T3_mT4_T5_T6_T7_T8_P12ihipStream_tbENKUlT_T0_E_clISt17integral_constantIbLb0EES12_IbLb1EEEEDaSY_SZ_EUlSY_E_NS1_11comp_targetILNS1_3genE10ELNS1_11target_archE1201ELNS1_3gpuE5ELNS1_3repE0EEENS1_30default_config_static_selectorELNS0_4arch9wavefront6targetE0EEEvT1_,"axG",@progbits,_ZN7rocprim17ROCPRIM_400000_NS6detail17trampoline_kernelINS0_14default_configENS1_29reduce_by_key_config_selectorIxjN6thrust23THRUST_200600_302600_NS4plusIjEEEEZZNS1_33reduce_by_key_impl_wrapped_configILNS1_25lookback_scan_determinismE0ES3_S9_NS6_6detail15normal_iteratorINS6_10device_ptrIxEEEENSD_INSE_IjEEEESG_SI_PmS8_NS6_8equal_toIxEEEE10hipError_tPvRmT2_T3_mT4_T5_T6_T7_T8_P12ihipStream_tbENKUlT_T0_E_clISt17integral_constantIbLb0EES12_IbLb1EEEEDaSY_SZ_EUlSY_E_NS1_11comp_targetILNS1_3genE10ELNS1_11target_archE1201ELNS1_3gpuE5ELNS1_3repE0EEENS1_30default_config_static_selectorELNS0_4arch9wavefront6targetE0EEEvT1_,comdat
.Lfunc_end801:
	.size	_ZN7rocprim17ROCPRIM_400000_NS6detail17trampoline_kernelINS0_14default_configENS1_29reduce_by_key_config_selectorIxjN6thrust23THRUST_200600_302600_NS4plusIjEEEEZZNS1_33reduce_by_key_impl_wrapped_configILNS1_25lookback_scan_determinismE0ES3_S9_NS6_6detail15normal_iteratorINS6_10device_ptrIxEEEENSD_INSE_IjEEEESG_SI_PmS8_NS6_8equal_toIxEEEE10hipError_tPvRmT2_T3_mT4_T5_T6_T7_T8_P12ihipStream_tbENKUlT_T0_E_clISt17integral_constantIbLb0EES12_IbLb1EEEEDaSY_SZ_EUlSY_E_NS1_11comp_targetILNS1_3genE10ELNS1_11target_archE1201ELNS1_3gpuE5ELNS1_3repE0EEENS1_30default_config_static_selectorELNS0_4arch9wavefront6targetE0EEEvT1_, .Lfunc_end801-_ZN7rocprim17ROCPRIM_400000_NS6detail17trampoline_kernelINS0_14default_configENS1_29reduce_by_key_config_selectorIxjN6thrust23THRUST_200600_302600_NS4plusIjEEEEZZNS1_33reduce_by_key_impl_wrapped_configILNS1_25lookback_scan_determinismE0ES3_S9_NS6_6detail15normal_iteratorINS6_10device_ptrIxEEEENSD_INSE_IjEEEESG_SI_PmS8_NS6_8equal_toIxEEEE10hipError_tPvRmT2_T3_mT4_T5_T6_T7_T8_P12ihipStream_tbENKUlT_T0_E_clISt17integral_constantIbLb0EES12_IbLb1EEEEDaSY_SZ_EUlSY_E_NS1_11comp_targetILNS1_3genE10ELNS1_11target_archE1201ELNS1_3gpuE5ELNS1_3repE0EEENS1_30default_config_static_selectorELNS0_4arch9wavefront6targetE0EEEvT1_
                                        ; -- End function
	.section	.AMDGPU.csdata,"",@progbits
; Kernel info:
; codeLenInByte = 0
; NumSgprs: 0
; NumVgprs: 0
; ScratchSize: 0
; MemoryBound: 0
; FloatMode: 240
; IeeeMode: 1
; LDSByteSize: 0 bytes/workgroup (compile time only)
; SGPRBlocks: 0
; VGPRBlocks: 0
; NumSGPRsForWavesPerEU: 1
; NumVGPRsForWavesPerEU: 1
; Occupancy: 16
; WaveLimiterHint : 0
; COMPUTE_PGM_RSRC2:SCRATCH_EN: 0
; COMPUTE_PGM_RSRC2:USER_SGPR: 15
; COMPUTE_PGM_RSRC2:TRAP_HANDLER: 0
; COMPUTE_PGM_RSRC2:TGID_X_EN: 1
; COMPUTE_PGM_RSRC2:TGID_Y_EN: 0
; COMPUTE_PGM_RSRC2:TGID_Z_EN: 0
; COMPUTE_PGM_RSRC2:TIDIG_COMP_CNT: 0
	.section	.text._ZN7rocprim17ROCPRIM_400000_NS6detail17trampoline_kernelINS0_14default_configENS1_29reduce_by_key_config_selectorIxjN6thrust23THRUST_200600_302600_NS4plusIjEEEEZZNS1_33reduce_by_key_impl_wrapped_configILNS1_25lookback_scan_determinismE0ES3_S9_NS6_6detail15normal_iteratorINS6_10device_ptrIxEEEENSD_INSE_IjEEEESG_SI_PmS8_NS6_8equal_toIxEEEE10hipError_tPvRmT2_T3_mT4_T5_T6_T7_T8_P12ihipStream_tbENKUlT_T0_E_clISt17integral_constantIbLb0EES12_IbLb1EEEEDaSY_SZ_EUlSY_E_NS1_11comp_targetILNS1_3genE10ELNS1_11target_archE1200ELNS1_3gpuE4ELNS1_3repE0EEENS1_30default_config_static_selectorELNS0_4arch9wavefront6targetE0EEEvT1_,"axG",@progbits,_ZN7rocprim17ROCPRIM_400000_NS6detail17trampoline_kernelINS0_14default_configENS1_29reduce_by_key_config_selectorIxjN6thrust23THRUST_200600_302600_NS4plusIjEEEEZZNS1_33reduce_by_key_impl_wrapped_configILNS1_25lookback_scan_determinismE0ES3_S9_NS6_6detail15normal_iteratorINS6_10device_ptrIxEEEENSD_INSE_IjEEEESG_SI_PmS8_NS6_8equal_toIxEEEE10hipError_tPvRmT2_T3_mT4_T5_T6_T7_T8_P12ihipStream_tbENKUlT_T0_E_clISt17integral_constantIbLb0EES12_IbLb1EEEEDaSY_SZ_EUlSY_E_NS1_11comp_targetILNS1_3genE10ELNS1_11target_archE1200ELNS1_3gpuE4ELNS1_3repE0EEENS1_30default_config_static_selectorELNS0_4arch9wavefront6targetE0EEEvT1_,comdat
	.protected	_ZN7rocprim17ROCPRIM_400000_NS6detail17trampoline_kernelINS0_14default_configENS1_29reduce_by_key_config_selectorIxjN6thrust23THRUST_200600_302600_NS4plusIjEEEEZZNS1_33reduce_by_key_impl_wrapped_configILNS1_25lookback_scan_determinismE0ES3_S9_NS6_6detail15normal_iteratorINS6_10device_ptrIxEEEENSD_INSE_IjEEEESG_SI_PmS8_NS6_8equal_toIxEEEE10hipError_tPvRmT2_T3_mT4_T5_T6_T7_T8_P12ihipStream_tbENKUlT_T0_E_clISt17integral_constantIbLb0EES12_IbLb1EEEEDaSY_SZ_EUlSY_E_NS1_11comp_targetILNS1_3genE10ELNS1_11target_archE1200ELNS1_3gpuE4ELNS1_3repE0EEENS1_30default_config_static_selectorELNS0_4arch9wavefront6targetE0EEEvT1_ ; -- Begin function _ZN7rocprim17ROCPRIM_400000_NS6detail17trampoline_kernelINS0_14default_configENS1_29reduce_by_key_config_selectorIxjN6thrust23THRUST_200600_302600_NS4plusIjEEEEZZNS1_33reduce_by_key_impl_wrapped_configILNS1_25lookback_scan_determinismE0ES3_S9_NS6_6detail15normal_iteratorINS6_10device_ptrIxEEEENSD_INSE_IjEEEESG_SI_PmS8_NS6_8equal_toIxEEEE10hipError_tPvRmT2_T3_mT4_T5_T6_T7_T8_P12ihipStream_tbENKUlT_T0_E_clISt17integral_constantIbLb0EES12_IbLb1EEEEDaSY_SZ_EUlSY_E_NS1_11comp_targetILNS1_3genE10ELNS1_11target_archE1200ELNS1_3gpuE4ELNS1_3repE0EEENS1_30default_config_static_selectorELNS0_4arch9wavefront6targetE0EEEvT1_
	.globl	_ZN7rocprim17ROCPRIM_400000_NS6detail17trampoline_kernelINS0_14default_configENS1_29reduce_by_key_config_selectorIxjN6thrust23THRUST_200600_302600_NS4plusIjEEEEZZNS1_33reduce_by_key_impl_wrapped_configILNS1_25lookback_scan_determinismE0ES3_S9_NS6_6detail15normal_iteratorINS6_10device_ptrIxEEEENSD_INSE_IjEEEESG_SI_PmS8_NS6_8equal_toIxEEEE10hipError_tPvRmT2_T3_mT4_T5_T6_T7_T8_P12ihipStream_tbENKUlT_T0_E_clISt17integral_constantIbLb0EES12_IbLb1EEEEDaSY_SZ_EUlSY_E_NS1_11comp_targetILNS1_3genE10ELNS1_11target_archE1200ELNS1_3gpuE4ELNS1_3repE0EEENS1_30default_config_static_selectorELNS0_4arch9wavefront6targetE0EEEvT1_
	.p2align	8
	.type	_ZN7rocprim17ROCPRIM_400000_NS6detail17trampoline_kernelINS0_14default_configENS1_29reduce_by_key_config_selectorIxjN6thrust23THRUST_200600_302600_NS4plusIjEEEEZZNS1_33reduce_by_key_impl_wrapped_configILNS1_25lookback_scan_determinismE0ES3_S9_NS6_6detail15normal_iteratorINS6_10device_ptrIxEEEENSD_INSE_IjEEEESG_SI_PmS8_NS6_8equal_toIxEEEE10hipError_tPvRmT2_T3_mT4_T5_T6_T7_T8_P12ihipStream_tbENKUlT_T0_E_clISt17integral_constantIbLb0EES12_IbLb1EEEEDaSY_SZ_EUlSY_E_NS1_11comp_targetILNS1_3genE10ELNS1_11target_archE1200ELNS1_3gpuE4ELNS1_3repE0EEENS1_30default_config_static_selectorELNS0_4arch9wavefront6targetE0EEEvT1_,@function
_ZN7rocprim17ROCPRIM_400000_NS6detail17trampoline_kernelINS0_14default_configENS1_29reduce_by_key_config_selectorIxjN6thrust23THRUST_200600_302600_NS4plusIjEEEEZZNS1_33reduce_by_key_impl_wrapped_configILNS1_25lookback_scan_determinismE0ES3_S9_NS6_6detail15normal_iteratorINS6_10device_ptrIxEEEENSD_INSE_IjEEEESG_SI_PmS8_NS6_8equal_toIxEEEE10hipError_tPvRmT2_T3_mT4_T5_T6_T7_T8_P12ihipStream_tbENKUlT_T0_E_clISt17integral_constantIbLb0EES12_IbLb1EEEEDaSY_SZ_EUlSY_E_NS1_11comp_targetILNS1_3genE10ELNS1_11target_archE1200ELNS1_3gpuE4ELNS1_3repE0EEENS1_30default_config_static_selectorELNS0_4arch9wavefront6targetE0EEEvT1_: ; @_ZN7rocprim17ROCPRIM_400000_NS6detail17trampoline_kernelINS0_14default_configENS1_29reduce_by_key_config_selectorIxjN6thrust23THRUST_200600_302600_NS4plusIjEEEEZZNS1_33reduce_by_key_impl_wrapped_configILNS1_25lookback_scan_determinismE0ES3_S9_NS6_6detail15normal_iteratorINS6_10device_ptrIxEEEENSD_INSE_IjEEEESG_SI_PmS8_NS6_8equal_toIxEEEE10hipError_tPvRmT2_T3_mT4_T5_T6_T7_T8_P12ihipStream_tbENKUlT_T0_E_clISt17integral_constantIbLb0EES12_IbLb1EEEEDaSY_SZ_EUlSY_E_NS1_11comp_targetILNS1_3genE10ELNS1_11target_archE1200ELNS1_3gpuE4ELNS1_3repE0EEENS1_30default_config_static_selectorELNS0_4arch9wavefront6targetE0EEEvT1_
; %bb.0:
	.section	.rodata,"a",@progbits
	.p2align	6, 0x0
	.amdhsa_kernel _ZN7rocprim17ROCPRIM_400000_NS6detail17trampoline_kernelINS0_14default_configENS1_29reduce_by_key_config_selectorIxjN6thrust23THRUST_200600_302600_NS4plusIjEEEEZZNS1_33reduce_by_key_impl_wrapped_configILNS1_25lookback_scan_determinismE0ES3_S9_NS6_6detail15normal_iteratorINS6_10device_ptrIxEEEENSD_INSE_IjEEEESG_SI_PmS8_NS6_8equal_toIxEEEE10hipError_tPvRmT2_T3_mT4_T5_T6_T7_T8_P12ihipStream_tbENKUlT_T0_E_clISt17integral_constantIbLb0EES12_IbLb1EEEEDaSY_SZ_EUlSY_E_NS1_11comp_targetILNS1_3genE10ELNS1_11target_archE1200ELNS1_3gpuE4ELNS1_3repE0EEENS1_30default_config_static_selectorELNS0_4arch9wavefront6targetE0EEEvT1_
		.amdhsa_group_segment_fixed_size 0
		.amdhsa_private_segment_fixed_size 0
		.amdhsa_kernarg_size 120
		.amdhsa_user_sgpr_count 15
		.amdhsa_user_sgpr_dispatch_ptr 0
		.amdhsa_user_sgpr_queue_ptr 0
		.amdhsa_user_sgpr_kernarg_segment_ptr 1
		.amdhsa_user_sgpr_dispatch_id 0
		.amdhsa_user_sgpr_private_segment_size 0
		.amdhsa_wavefront_size32 1
		.amdhsa_uses_dynamic_stack 0
		.amdhsa_enable_private_segment 0
		.amdhsa_system_sgpr_workgroup_id_x 1
		.amdhsa_system_sgpr_workgroup_id_y 0
		.amdhsa_system_sgpr_workgroup_id_z 0
		.amdhsa_system_sgpr_workgroup_info 0
		.amdhsa_system_vgpr_workitem_id 0
		.amdhsa_next_free_vgpr 1
		.amdhsa_next_free_sgpr 1
		.amdhsa_reserve_vcc 0
		.amdhsa_float_round_mode_32 0
		.amdhsa_float_round_mode_16_64 0
		.amdhsa_float_denorm_mode_32 3
		.amdhsa_float_denorm_mode_16_64 3
		.amdhsa_dx10_clamp 1
		.amdhsa_ieee_mode 1
		.amdhsa_fp16_overflow 0
		.amdhsa_workgroup_processor_mode 1
		.amdhsa_memory_ordered 1
		.amdhsa_forward_progress 0
		.amdhsa_shared_vgpr_count 0
		.amdhsa_exception_fp_ieee_invalid_op 0
		.amdhsa_exception_fp_denorm_src 0
		.amdhsa_exception_fp_ieee_div_zero 0
		.amdhsa_exception_fp_ieee_overflow 0
		.amdhsa_exception_fp_ieee_underflow 0
		.amdhsa_exception_fp_ieee_inexact 0
		.amdhsa_exception_int_div_zero 0
	.end_amdhsa_kernel
	.section	.text._ZN7rocprim17ROCPRIM_400000_NS6detail17trampoline_kernelINS0_14default_configENS1_29reduce_by_key_config_selectorIxjN6thrust23THRUST_200600_302600_NS4plusIjEEEEZZNS1_33reduce_by_key_impl_wrapped_configILNS1_25lookback_scan_determinismE0ES3_S9_NS6_6detail15normal_iteratorINS6_10device_ptrIxEEEENSD_INSE_IjEEEESG_SI_PmS8_NS6_8equal_toIxEEEE10hipError_tPvRmT2_T3_mT4_T5_T6_T7_T8_P12ihipStream_tbENKUlT_T0_E_clISt17integral_constantIbLb0EES12_IbLb1EEEEDaSY_SZ_EUlSY_E_NS1_11comp_targetILNS1_3genE10ELNS1_11target_archE1200ELNS1_3gpuE4ELNS1_3repE0EEENS1_30default_config_static_selectorELNS0_4arch9wavefront6targetE0EEEvT1_,"axG",@progbits,_ZN7rocprim17ROCPRIM_400000_NS6detail17trampoline_kernelINS0_14default_configENS1_29reduce_by_key_config_selectorIxjN6thrust23THRUST_200600_302600_NS4plusIjEEEEZZNS1_33reduce_by_key_impl_wrapped_configILNS1_25lookback_scan_determinismE0ES3_S9_NS6_6detail15normal_iteratorINS6_10device_ptrIxEEEENSD_INSE_IjEEEESG_SI_PmS8_NS6_8equal_toIxEEEE10hipError_tPvRmT2_T3_mT4_T5_T6_T7_T8_P12ihipStream_tbENKUlT_T0_E_clISt17integral_constantIbLb0EES12_IbLb1EEEEDaSY_SZ_EUlSY_E_NS1_11comp_targetILNS1_3genE10ELNS1_11target_archE1200ELNS1_3gpuE4ELNS1_3repE0EEENS1_30default_config_static_selectorELNS0_4arch9wavefront6targetE0EEEvT1_,comdat
.Lfunc_end802:
	.size	_ZN7rocprim17ROCPRIM_400000_NS6detail17trampoline_kernelINS0_14default_configENS1_29reduce_by_key_config_selectorIxjN6thrust23THRUST_200600_302600_NS4plusIjEEEEZZNS1_33reduce_by_key_impl_wrapped_configILNS1_25lookback_scan_determinismE0ES3_S9_NS6_6detail15normal_iteratorINS6_10device_ptrIxEEEENSD_INSE_IjEEEESG_SI_PmS8_NS6_8equal_toIxEEEE10hipError_tPvRmT2_T3_mT4_T5_T6_T7_T8_P12ihipStream_tbENKUlT_T0_E_clISt17integral_constantIbLb0EES12_IbLb1EEEEDaSY_SZ_EUlSY_E_NS1_11comp_targetILNS1_3genE10ELNS1_11target_archE1200ELNS1_3gpuE4ELNS1_3repE0EEENS1_30default_config_static_selectorELNS0_4arch9wavefront6targetE0EEEvT1_, .Lfunc_end802-_ZN7rocprim17ROCPRIM_400000_NS6detail17trampoline_kernelINS0_14default_configENS1_29reduce_by_key_config_selectorIxjN6thrust23THRUST_200600_302600_NS4plusIjEEEEZZNS1_33reduce_by_key_impl_wrapped_configILNS1_25lookback_scan_determinismE0ES3_S9_NS6_6detail15normal_iteratorINS6_10device_ptrIxEEEENSD_INSE_IjEEEESG_SI_PmS8_NS6_8equal_toIxEEEE10hipError_tPvRmT2_T3_mT4_T5_T6_T7_T8_P12ihipStream_tbENKUlT_T0_E_clISt17integral_constantIbLb0EES12_IbLb1EEEEDaSY_SZ_EUlSY_E_NS1_11comp_targetILNS1_3genE10ELNS1_11target_archE1200ELNS1_3gpuE4ELNS1_3repE0EEENS1_30default_config_static_selectorELNS0_4arch9wavefront6targetE0EEEvT1_
                                        ; -- End function
	.section	.AMDGPU.csdata,"",@progbits
; Kernel info:
; codeLenInByte = 0
; NumSgprs: 0
; NumVgprs: 0
; ScratchSize: 0
; MemoryBound: 0
; FloatMode: 240
; IeeeMode: 1
; LDSByteSize: 0 bytes/workgroup (compile time only)
; SGPRBlocks: 0
; VGPRBlocks: 0
; NumSGPRsForWavesPerEU: 1
; NumVGPRsForWavesPerEU: 1
; Occupancy: 16
; WaveLimiterHint : 0
; COMPUTE_PGM_RSRC2:SCRATCH_EN: 0
; COMPUTE_PGM_RSRC2:USER_SGPR: 15
; COMPUTE_PGM_RSRC2:TRAP_HANDLER: 0
; COMPUTE_PGM_RSRC2:TGID_X_EN: 1
; COMPUTE_PGM_RSRC2:TGID_Y_EN: 0
; COMPUTE_PGM_RSRC2:TGID_Z_EN: 0
; COMPUTE_PGM_RSRC2:TIDIG_COMP_CNT: 0
	.section	.text._ZN7rocprim17ROCPRIM_400000_NS6detail17trampoline_kernelINS0_14default_configENS1_29reduce_by_key_config_selectorIxjN6thrust23THRUST_200600_302600_NS4plusIjEEEEZZNS1_33reduce_by_key_impl_wrapped_configILNS1_25lookback_scan_determinismE0ES3_S9_NS6_6detail15normal_iteratorINS6_10device_ptrIxEEEENSD_INSE_IjEEEESG_SI_PmS8_NS6_8equal_toIxEEEE10hipError_tPvRmT2_T3_mT4_T5_T6_T7_T8_P12ihipStream_tbENKUlT_T0_E_clISt17integral_constantIbLb0EES12_IbLb1EEEEDaSY_SZ_EUlSY_E_NS1_11comp_targetILNS1_3genE9ELNS1_11target_archE1100ELNS1_3gpuE3ELNS1_3repE0EEENS1_30default_config_static_selectorELNS0_4arch9wavefront6targetE0EEEvT1_,"axG",@progbits,_ZN7rocprim17ROCPRIM_400000_NS6detail17trampoline_kernelINS0_14default_configENS1_29reduce_by_key_config_selectorIxjN6thrust23THRUST_200600_302600_NS4plusIjEEEEZZNS1_33reduce_by_key_impl_wrapped_configILNS1_25lookback_scan_determinismE0ES3_S9_NS6_6detail15normal_iteratorINS6_10device_ptrIxEEEENSD_INSE_IjEEEESG_SI_PmS8_NS6_8equal_toIxEEEE10hipError_tPvRmT2_T3_mT4_T5_T6_T7_T8_P12ihipStream_tbENKUlT_T0_E_clISt17integral_constantIbLb0EES12_IbLb1EEEEDaSY_SZ_EUlSY_E_NS1_11comp_targetILNS1_3genE9ELNS1_11target_archE1100ELNS1_3gpuE3ELNS1_3repE0EEENS1_30default_config_static_selectorELNS0_4arch9wavefront6targetE0EEEvT1_,comdat
	.protected	_ZN7rocprim17ROCPRIM_400000_NS6detail17trampoline_kernelINS0_14default_configENS1_29reduce_by_key_config_selectorIxjN6thrust23THRUST_200600_302600_NS4plusIjEEEEZZNS1_33reduce_by_key_impl_wrapped_configILNS1_25lookback_scan_determinismE0ES3_S9_NS6_6detail15normal_iteratorINS6_10device_ptrIxEEEENSD_INSE_IjEEEESG_SI_PmS8_NS6_8equal_toIxEEEE10hipError_tPvRmT2_T3_mT4_T5_T6_T7_T8_P12ihipStream_tbENKUlT_T0_E_clISt17integral_constantIbLb0EES12_IbLb1EEEEDaSY_SZ_EUlSY_E_NS1_11comp_targetILNS1_3genE9ELNS1_11target_archE1100ELNS1_3gpuE3ELNS1_3repE0EEENS1_30default_config_static_selectorELNS0_4arch9wavefront6targetE0EEEvT1_ ; -- Begin function _ZN7rocprim17ROCPRIM_400000_NS6detail17trampoline_kernelINS0_14default_configENS1_29reduce_by_key_config_selectorIxjN6thrust23THRUST_200600_302600_NS4plusIjEEEEZZNS1_33reduce_by_key_impl_wrapped_configILNS1_25lookback_scan_determinismE0ES3_S9_NS6_6detail15normal_iteratorINS6_10device_ptrIxEEEENSD_INSE_IjEEEESG_SI_PmS8_NS6_8equal_toIxEEEE10hipError_tPvRmT2_T3_mT4_T5_T6_T7_T8_P12ihipStream_tbENKUlT_T0_E_clISt17integral_constantIbLb0EES12_IbLb1EEEEDaSY_SZ_EUlSY_E_NS1_11comp_targetILNS1_3genE9ELNS1_11target_archE1100ELNS1_3gpuE3ELNS1_3repE0EEENS1_30default_config_static_selectorELNS0_4arch9wavefront6targetE0EEEvT1_
	.globl	_ZN7rocprim17ROCPRIM_400000_NS6detail17trampoline_kernelINS0_14default_configENS1_29reduce_by_key_config_selectorIxjN6thrust23THRUST_200600_302600_NS4plusIjEEEEZZNS1_33reduce_by_key_impl_wrapped_configILNS1_25lookback_scan_determinismE0ES3_S9_NS6_6detail15normal_iteratorINS6_10device_ptrIxEEEENSD_INSE_IjEEEESG_SI_PmS8_NS6_8equal_toIxEEEE10hipError_tPvRmT2_T3_mT4_T5_T6_T7_T8_P12ihipStream_tbENKUlT_T0_E_clISt17integral_constantIbLb0EES12_IbLb1EEEEDaSY_SZ_EUlSY_E_NS1_11comp_targetILNS1_3genE9ELNS1_11target_archE1100ELNS1_3gpuE3ELNS1_3repE0EEENS1_30default_config_static_selectorELNS0_4arch9wavefront6targetE0EEEvT1_
	.p2align	8
	.type	_ZN7rocprim17ROCPRIM_400000_NS6detail17trampoline_kernelINS0_14default_configENS1_29reduce_by_key_config_selectorIxjN6thrust23THRUST_200600_302600_NS4plusIjEEEEZZNS1_33reduce_by_key_impl_wrapped_configILNS1_25lookback_scan_determinismE0ES3_S9_NS6_6detail15normal_iteratorINS6_10device_ptrIxEEEENSD_INSE_IjEEEESG_SI_PmS8_NS6_8equal_toIxEEEE10hipError_tPvRmT2_T3_mT4_T5_T6_T7_T8_P12ihipStream_tbENKUlT_T0_E_clISt17integral_constantIbLb0EES12_IbLb1EEEEDaSY_SZ_EUlSY_E_NS1_11comp_targetILNS1_3genE9ELNS1_11target_archE1100ELNS1_3gpuE3ELNS1_3repE0EEENS1_30default_config_static_selectorELNS0_4arch9wavefront6targetE0EEEvT1_,@function
_ZN7rocprim17ROCPRIM_400000_NS6detail17trampoline_kernelINS0_14default_configENS1_29reduce_by_key_config_selectorIxjN6thrust23THRUST_200600_302600_NS4plusIjEEEEZZNS1_33reduce_by_key_impl_wrapped_configILNS1_25lookback_scan_determinismE0ES3_S9_NS6_6detail15normal_iteratorINS6_10device_ptrIxEEEENSD_INSE_IjEEEESG_SI_PmS8_NS6_8equal_toIxEEEE10hipError_tPvRmT2_T3_mT4_T5_T6_T7_T8_P12ihipStream_tbENKUlT_T0_E_clISt17integral_constantIbLb0EES12_IbLb1EEEEDaSY_SZ_EUlSY_E_NS1_11comp_targetILNS1_3genE9ELNS1_11target_archE1100ELNS1_3gpuE3ELNS1_3repE0EEENS1_30default_config_static_selectorELNS0_4arch9wavefront6targetE0EEEvT1_: ; @_ZN7rocprim17ROCPRIM_400000_NS6detail17trampoline_kernelINS0_14default_configENS1_29reduce_by_key_config_selectorIxjN6thrust23THRUST_200600_302600_NS4plusIjEEEEZZNS1_33reduce_by_key_impl_wrapped_configILNS1_25lookback_scan_determinismE0ES3_S9_NS6_6detail15normal_iteratorINS6_10device_ptrIxEEEENSD_INSE_IjEEEESG_SI_PmS8_NS6_8equal_toIxEEEE10hipError_tPvRmT2_T3_mT4_T5_T6_T7_T8_P12ihipStream_tbENKUlT_T0_E_clISt17integral_constantIbLb0EES12_IbLb1EEEEDaSY_SZ_EUlSY_E_NS1_11comp_targetILNS1_3genE9ELNS1_11target_archE1100ELNS1_3gpuE3ELNS1_3repE0EEENS1_30default_config_static_selectorELNS0_4arch9wavefront6targetE0EEEvT1_
; %bb.0:
	s_clause 0x4
	s_load_b256 s[12:19], s[0:1], 0x0
	s_load_b128 s[28:31], s[0:1], 0x20
	s_load_b256 s[20:27], s[0:1], 0x38
	s_load_b64 s[34:35], s[0:1], 0x68
	s_load_b128 s[36:39], s[0:1], 0x58
	v_cmp_ne_u32_e64 s3, 0, v0
	v_cmp_eq_u32_e64 s2, 0, v0
	s_delay_alu instid0(VALU_DEP_1)
	s_and_saveexec_b32 s4, s2
	s_cbranch_execz .LBB803_4
; %bb.1:
	s_mov_b32 s6, exec_lo
	s_mov_b32 s5, exec_lo
	v_mbcnt_lo_u32_b32 v1, s6, 0
                                        ; implicit-def: $vgpr2
	s_delay_alu instid0(VALU_DEP_1)
	v_cmpx_eq_u32_e32 0, v1
	s_cbranch_execz .LBB803_3
; %bb.2:
	s_load_b64 s[0:1], s[0:1], 0x70
	s_bcnt1_i32_b32 s6, s6
	s_delay_alu instid0(SALU_CYCLE_1)
	v_dual_mov_b32 v2, 0 :: v_dual_mov_b32 v3, s6
	s_waitcnt lgkmcnt(0)
	global_atomic_add_u32 v2, v2, v3, s[0:1] glc
.LBB803_3:
	s_or_b32 exec_lo, exec_lo, s5
	s_waitcnt vmcnt(0)
	v_readfirstlane_b32 s0, v2
	s_delay_alu instid0(VALU_DEP_1)
	v_dual_mov_b32 v2, 0 :: v_dual_add_nc_u32 v1, s0, v1
	ds_store_b32 v2, v1
.LBB803_4:
	s_or_b32 exec_lo, exec_lo, s4
	v_mov_b32_e32 v2, 0
	s_waitcnt lgkmcnt(0)
	s_barrier
	buffer_gl0_inv
	s_lshl_b64 s[0:1], s[14:15], 3
	ds_load_b32 v1, v2
	s_add_u32 s10, s12, s0
	s_addc_u32 s1, s13, s1
	s_lshl_b64 s[4:5], s[14:15], 2
	s_mul_i32 s6, s24, s23
	s_mul_hi_u32 s7, s24, s22
	s_add_u32 s11, s16, s4
	s_mul_i32 s8, s25, s22
	s_addc_u32 s12, s17, s5
	s_add_i32 s4, s7, s6
	s_mul_i32 s9, s24, s22
	s_add_i32 s4, s4, s8
	v_mad_u32_u24 v31, v0, 15, 1
	v_mad_u32_u24 v33, v0, 15, 2
	;; [unrolled: 1-line block ×8, first 2 shown]
	s_waitcnt lgkmcnt(0)
	v_readfirstlane_b32 s33, v1
	v_mul_lo_u32 v1, 0xf00, v1
	v_mad_u32_u24 v49, v0, 15, 9
	v_mad_u32_u24 v51, v0, 15, 10
	;; [unrolled: 1-line block ×3, first 2 shown]
	s_add_u32 s24, s9, s33
	s_addc_u32 s25, s4, 0
	s_add_u32 s4, s26, -1
	s_addc_u32 s5, s27, -1
	v_lshlrev_b64 v[3:4], 3, v[1:2]
	v_lshlrev_b64 v[1:2], 2, v[1:2]
	s_cmp_eq_u64 s[24:25], s[4:5]
	v_mad_u32_u24 v55, v0, 15, 12
	v_mad_u32_u24 v57, v0, 15, 13
	;; [unrolled: 1-line block ×3, first 2 shown]
	v_add_co_u32 v32, vcc_lo, s10, v3
	v_add_co_ci_u32_e32 v30, vcc_lo, s1, v4, vcc_lo
	v_add_co_u32 v34, vcc_lo, s11, v1
	v_add_co_ci_u32_e32 v40, vcc_lo, s12, v2, vcc_lo
	s_cselect_b32 s17, -1, 0
	s_cmp_lg_u64 s[24:25], s[4:5]
	s_mov_b32 s0, 0
	s_cselect_b32 s40, -1, 0
	s_and_b32 vcc_lo, exec_lo, s17
	s_mul_i32 s26, s4, 0xfffff100
	s_barrier
	buffer_gl0_inv
	s_cbranch_vccnz .LBB803_6
; %bb.5:
	v_lshlrev_b32_e32 v38, 3, v0
	v_lshlrev_b32_e32 v42, 2, v0
	v_mul_u32_u24_e32 v46, 15, v0
	s_delay_alu instid0(VALU_DEP_3) | instskip(SKIP_1) | instid1(VALU_DEP_2)
	v_add_co_u32 v1, vcc_lo, v32, v38
	v_add_co_ci_u32_e32 v2, vcc_lo, 0, v30, vcc_lo
	v_add_co_u32 v3, vcc_lo, 0x1000, v1
	s_delay_alu instid0(VALU_DEP_2)
	v_add_co_ci_u32_e32 v4, vcc_lo, 0, v2, vcc_lo
	v_add_co_u32 v5, vcc_lo, 0x2000, v1
	v_add_co_ci_u32_e32 v6, vcc_lo, 0, v2, vcc_lo
	v_add_co_u32 v7, vcc_lo, 0x3000, v1
	;; [unrolled: 2-line block ×5, first 2 shown]
	v_add_co_ci_u32_e32 v24, vcc_lo, 0, v2, vcc_lo
	s_clause 0x7
	flat_load_b64 v[9:10], v[1:2]
	flat_load_b64 v[11:12], v[1:2] offset:2048
	flat_load_b64 v[13:14], v[3:4]
	flat_load_b64 v[3:4], v[3:4] offset:2048
	;; [unrolled: 2-line block ×4, first 2 shown]
	v_add_co_u32 v1, vcc_lo, 0x7000, v1
	v_add_co_ci_u32_e32 v2, vcc_lo, 0, v2, vcc_lo
	s_clause 0x6
	flat_load_b64 v[25:26], v[19:20]
	flat_load_b64 v[19:20], v[19:20] offset:2048
	flat_load_b64 v[27:28], v[21:22]
	flat_load_b64 v[21:22], v[21:22] offset:2048
	;; [unrolled: 2-line block ×3, first 2 shown]
	flat_load_b64 v[1:2], v[1:2]
	v_add_co_u32 v58, vcc_lo, v34, v42
	v_add_co_ci_u32_e32 v59, vcc_lo, 0, v40, vcc_lo
	v_mad_u32_u24 v42, 0x70, v0, v38
	s_delay_alu instid0(VALU_DEP_3) | instskip(NEXT) | instid1(VALU_DEP_3)
	v_add_co_u32 v60, vcc_lo, 0x1000, v58
	v_add_co_ci_u32_e32 v61, vcc_lo, 0, v59, vcc_lo
	v_add_co_u32 v62, vcc_lo, 0x2000, v58
	v_add_co_ci_u32_e32 v63, vcc_lo, 0, v59, vcc_lo
	;; [unrolled: 2-line block ×3, first 2 shown]
	s_waitcnt vmcnt(13) lgkmcnt(13)
	ds_store_2addr_stride64_b64 v38, v[9:10], v[11:12] offset1:4
	s_waitcnt vmcnt(11) lgkmcnt(12)
	ds_store_2addr_stride64_b64 v38, v[13:14], v[3:4] offset0:8 offset1:12
	s_waitcnt vmcnt(9) lgkmcnt(11)
	ds_store_2addr_stride64_b64 v38, v[15:16], v[5:6] offset0:16 offset1:20
	;; [unrolled: 2-line block ×6, first 2 shown]
	s_waitcnt vmcnt(0) lgkmcnt(7)
	ds_store_b64 v38, v[1:2] offset:28672
	s_waitcnt lgkmcnt(0)
	s_barrier
	buffer_gl0_inv
	ds_load_2addr_b64 v[25:28], v42 offset1:1
	ds_load_2addr_b64 v[21:24], v42 offset0:2 offset1:3
	ds_load_2addr_b64 v[17:20], v42 offset0:4 offset1:5
	ds_load_2addr_b64 v[13:16], v42 offset0:6 offset1:7
	ds_load_2addr_b64 v[9:12], v42 offset0:8 offset1:9
	ds_load_2addr_b64 v[5:8], v42 offset0:10 offset1:11
	ds_load_2addr_b64 v[1:4], v42 offset0:12 offset1:13
	ds_load_b64 v[37:38], v42 offset:112
	s_waitcnt lgkmcnt(0)
	s_barrier
	buffer_gl0_inv
	s_clause 0xe
	flat_load_b32 v36, v[58:59]
	flat_load_b32 v44, v[58:59] offset:1024
	flat_load_b32 v48, v[58:59] offset:2048
	flat_load_b32 v50, v[58:59] offset:3072
	flat_load_b32 v52, v[60:61]
	flat_load_b32 v54, v[60:61] offset:1024
	flat_load_b32 v56, v[60:61] offset:2048
	flat_load_b32 v58, v[60:61] offset:3072
	flat_load_b32 v59, v[62:63]
	flat_load_b32 v60, v[62:63] offset:1024
	flat_load_b32 v61, v[62:63] offset:2048
	flat_load_b32 v62, v[62:63] offset:3072
	flat_load_b32 v63, v[64:65]
	flat_load_b32 v66, v[64:65] offset:1024
	flat_load_b32 v64, v[64:65] offset:2048
	v_mad_i32_i24 v42, 0xffffff8c, v0, v42
	s_waitcnt vmcnt(13) lgkmcnt(13)
	ds_store_2addr_stride64_b32 v42, v36, v44 offset1:4
	s_waitcnt vmcnt(11) lgkmcnt(12)
	ds_store_2addr_stride64_b32 v42, v48, v50 offset0:8 offset1:12
	s_waitcnt vmcnt(9) lgkmcnt(11)
	ds_store_2addr_stride64_b32 v42, v52, v54 offset0:16 offset1:20
	;; [unrolled: 2-line block ×6, first 2 shown]
	s_waitcnt vmcnt(0) lgkmcnt(7)
	ds_store_b32 v42, v64 offset:14336
	s_waitcnt lgkmcnt(0)
	s_barrier
	s_branch .LBB803_7
.LBB803_6:
	s_mov_b32 s0, -1
                                        ; implicit-def: $vgpr46
                                        ; implicit-def: $vgpr25_vgpr26
                                        ; implicit-def: $vgpr21_vgpr22
                                        ; implicit-def: $vgpr17_vgpr18
                                        ; implicit-def: $vgpr13_vgpr14
                                        ; implicit-def: $vgpr9_vgpr10
                                        ; implicit-def: $vgpr5_vgpr6
                                        ; implicit-def: $vgpr1_vgpr2
                                        ; implicit-def: $vgpr37_vgpr38
.LBB803_7:
	v_dual_mov_b32 v42, v29 :: v_dual_mov_b32 v69, v51
	v_dual_mov_b32 v73, v57 :: v_dual_mov_b32 v74, v55
	;; [unrolled: 1-line block ×7, first 2 shown]
	s_and_not1_b32 vcc_lo, exec_lo, s0
	s_add_i32 s26, s26, s36
	s_cbranch_vccnz .LBB803_69
; %bb.8:
	v_cmp_gt_u32_e32 vcc_lo, s26, v0
                                        ; implicit-def: $vgpr1_vgpr2
	s_and_saveexec_b32 s1, vcc_lo
	s_cbranch_execz .LBB803_10
; %bb.9:
	v_lshlrev_b32_e32 v1, 3, v0
	s_delay_alu instid0(VALU_DEP_1) | instskip(NEXT) | instid1(VALU_DEP_1)
	v_add_co_u32 v1, s0, v32, v1
	v_add_co_ci_u32_e64 v2, s0, 0, v30, s0
	flat_load_b64 v[1:2], v[1:2]
.LBB803_10:
	s_or_b32 exec_lo, exec_lo, s1
	v_or_b32_e32 v3, 0x100, v0
	s_delay_alu instid0(VALU_DEP_1) | instskip(NEXT) | instid1(VALU_DEP_1)
	v_cmp_gt_u32_e64 s0, s26, v3
                                        ; implicit-def: $vgpr3_vgpr4
	s_and_saveexec_b32 s4, s0
	s_cbranch_execz .LBB803_12
; %bb.11:
	v_lshlrev_b32_e32 v3, 3, v0
	s_delay_alu instid0(VALU_DEP_1) | instskip(NEXT) | instid1(VALU_DEP_1)
	v_add_co_u32 v3, s1, v32, v3
	v_add_co_ci_u32_e64 v4, s1, 0, v30, s1
	flat_load_b64 v[3:4], v[3:4] offset:2048
.LBB803_12:
	s_or_b32 exec_lo, exec_lo, s4
	v_or_b32_e32 v7, 0x200, v0
                                        ; implicit-def: $vgpr5_vgpr6
	s_delay_alu instid0(VALU_DEP_1) | instskip(NEXT) | instid1(VALU_DEP_1)
	v_cmp_gt_u32_e64 s1, s26, v7
	s_and_saveexec_b32 s5, s1
	s_cbranch_execz .LBB803_14
; %bb.13:
	v_lshlrev_b32_e32 v5, 3, v7
	s_delay_alu instid0(VALU_DEP_1) | instskip(NEXT) | instid1(VALU_DEP_1)
	v_add_co_u32 v5, s4, v32, v5
	v_add_co_ci_u32_e64 v6, s4, 0, v30, s4
	flat_load_b64 v[5:6], v[5:6]
.LBB803_14:
	s_or_b32 exec_lo, exec_lo, s5
	v_or_b32_e32 v9, 0x300, v0
                                        ; implicit-def: $vgpr7_vgpr8
	s_delay_alu instid0(VALU_DEP_1) | instskip(NEXT) | instid1(VALU_DEP_1)
	v_cmp_gt_u32_e64 s4, s26, v9
	s_and_saveexec_b32 s6, s4
	s_cbranch_execz .LBB803_16
; %bb.15:
	v_lshlrev_b32_e32 v7, 3, v9
	s_delay_alu instid0(VALU_DEP_1) | instskip(NEXT) | instid1(VALU_DEP_1)
	v_add_co_u32 v7, s5, v32, v7
	v_add_co_ci_u32_e64 v8, s5, 0, v30, s5
	flat_load_b64 v[7:8], v[7:8]
.LBB803_16:
	s_or_b32 exec_lo, exec_lo, s6
	v_or_b32_e32 v46, 0x400, v0
                                        ; implicit-def: $vgpr9_vgpr10
	s_delay_alu instid0(VALU_DEP_1) | instskip(NEXT) | instid1(VALU_DEP_1)
	v_cmp_gt_u32_e64 s5, s26, v46
	s_and_saveexec_b32 s7, s5
	s_cbranch_execz .LBB803_18
; %bb.17:
	v_lshlrev_b32_e32 v9, 3, v46
	s_delay_alu instid0(VALU_DEP_1) | instskip(NEXT) | instid1(VALU_DEP_1)
	v_add_co_u32 v9, s6, v32, v9
	v_add_co_ci_u32_e64 v10, s6, 0, v30, s6
	flat_load_b64 v[9:10], v[9:10]
.LBB803_18:
	s_or_b32 exec_lo, exec_lo, s7
	v_or_b32_e32 v48, 0x500, v0
                                        ; implicit-def: $vgpr11_vgpr12
	s_delay_alu instid0(VALU_DEP_1) | instskip(NEXT) | instid1(VALU_DEP_1)
	v_cmp_gt_u32_e64 s6, s26, v48
	s_and_saveexec_b32 s8, s6
	s_cbranch_execz .LBB803_20
; %bb.19:
	v_lshlrev_b32_e32 v11, 3, v48
	s_delay_alu instid0(VALU_DEP_1) | instskip(NEXT) | instid1(VALU_DEP_1)
	v_add_co_u32 v11, s7, v32, v11
	v_add_co_ci_u32_e64 v12, s7, 0, v30, s7
	flat_load_b64 v[11:12], v[11:12]
.LBB803_20:
	s_or_b32 exec_lo, exec_lo, s8
	v_or_b32_e32 v50, 0x600, v0
                                        ; implicit-def: $vgpr13_vgpr14
	s_delay_alu instid0(VALU_DEP_1) | instskip(NEXT) | instid1(VALU_DEP_1)
	v_cmp_gt_u32_e64 s7, s26, v50
	s_and_saveexec_b32 s9, s7
	s_cbranch_execz .LBB803_22
; %bb.21:
	v_lshlrev_b32_e32 v13, 3, v50
	s_delay_alu instid0(VALU_DEP_1) | instskip(NEXT) | instid1(VALU_DEP_1)
	v_add_co_u32 v13, s8, v32, v13
	v_add_co_ci_u32_e64 v14, s8, 0, v30, s8
	flat_load_b64 v[13:14], v[13:14]
.LBB803_22:
	s_or_b32 exec_lo, exec_lo, s9
	v_or_b32_e32 v52, 0x700, v0
                                        ; implicit-def: $vgpr15_vgpr16
	s_delay_alu instid0(VALU_DEP_1) | instskip(NEXT) | instid1(VALU_DEP_1)
	v_cmp_gt_u32_e64 s8, s26, v52
	s_and_saveexec_b32 s10, s8
	s_cbranch_execz .LBB803_24
; %bb.23:
	v_lshlrev_b32_e32 v15, 3, v52
	s_delay_alu instid0(VALU_DEP_1) | instskip(NEXT) | instid1(VALU_DEP_1)
	v_add_co_u32 v15, s9, v32, v15
	v_add_co_ci_u32_e64 v16, s9, 0, v30, s9
	flat_load_b64 v[15:16], v[15:16]
.LBB803_24:
	s_or_b32 exec_lo, exec_lo, s10
	v_or_b32_e32 v56, 0x800, v0
                                        ; implicit-def: $vgpr17_vgpr18
	s_delay_alu instid0(VALU_DEP_1) | instskip(NEXT) | instid1(VALU_DEP_1)
	v_cmp_gt_u32_e64 s9, s26, v56
	s_and_saveexec_b32 s11, s9
	s_cbranch_execz .LBB803_26
; %bb.25:
	v_lshlrev_b32_e32 v17, 3, v56
	s_delay_alu instid0(VALU_DEP_1) | instskip(NEXT) | instid1(VALU_DEP_1)
	v_add_co_u32 v17, s10, v32, v17
	v_add_co_ci_u32_e64 v18, s10, 0, v30, s10
	flat_load_b64 v[17:18], v[17:18]
.LBB803_26:
	s_or_b32 exec_lo, exec_lo, s11
	v_or_b32_e32 v58, 0x900, v0
                                        ; implicit-def: $vgpr19_vgpr20
	s_delay_alu instid0(VALU_DEP_1) | instskip(NEXT) | instid1(VALU_DEP_1)
	v_cmp_gt_u32_e64 s10, s26, v58
	s_and_saveexec_b32 s12, s10
	s_cbranch_execz .LBB803_28
; %bb.27:
	v_lshlrev_b32_e32 v19, 3, v58
	s_delay_alu instid0(VALU_DEP_1) | instskip(NEXT) | instid1(VALU_DEP_1)
	v_add_co_u32 v19, s11, v32, v19
	v_add_co_ci_u32_e64 v20, s11, 0, v30, s11
	flat_load_b64 v[19:20], v[19:20]
.LBB803_28:
	s_or_b32 exec_lo, exec_lo, s12
	v_or_b32_e32 v59, 0xa00, v0
                                        ; implicit-def: $vgpr21_vgpr22
	s_delay_alu instid0(VALU_DEP_1) | instskip(NEXT) | instid1(VALU_DEP_1)
	v_cmp_gt_u32_e64 s11, s26, v59
	s_and_saveexec_b32 s13, s11
	s_cbranch_execz .LBB803_30
; %bb.29:
	v_lshlrev_b32_e32 v21, 3, v59
	s_delay_alu instid0(VALU_DEP_1) | instskip(NEXT) | instid1(VALU_DEP_1)
	v_add_co_u32 v21, s12, v32, v21
	v_add_co_ci_u32_e64 v22, s12, 0, v30, s12
	flat_load_b64 v[21:22], v[21:22]
.LBB803_30:
	s_or_b32 exec_lo, exec_lo, s13
	v_or_b32_e32 v60, 0xb00, v0
                                        ; implicit-def: $vgpr23_vgpr24
	s_delay_alu instid0(VALU_DEP_1) | instskip(NEXT) | instid1(VALU_DEP_1)
	v_cmp_gt_u32_e64 s12, s26, v60
	s_and_saveexec_b32 s14, s12
	s_cbranch_execz .LBB803_32
; %bb.31:
	v_lshlrev_b32_e32 v23, 3, v60
	s_delay_alu instid0(VALU_DEP_1) | instskip(NEXT) | instid1(VALU_DEP_1)
	v_add_co_u32 v23, s13, v32, v23
	v_add_co_ci_u32_e64 v24, s13, 0, v30, s13
	flat_load_b64 v[23:24], v[23:24]
.LBB803_32:
	s_or_b32 exec_lo, exec_lo, s14
	v_or_b32_e32 v61, 0xc00, v0
                                        ; implicit-def: $vgpr25_vgpr26
	s_delay_alu instid0(VALU_DEP_1) | instskip(NEXT) | instid1(VALU_DEP_1)
	v_cmp_gt_u32_e64 s13, s26, v61
	s_and_saveexec_b32 s15, s13
	s_cbranch_execz .LBB803_34
; %bb.33:
	v_lshlrev_b32_e32 v25, 3, v61
	s_delay_alu instid0(VALU_DEP_1) | instskip(NEXT) | instid1(VALU_DEP_1)
	v_add_co_u32 v25, s14, v32, v25
	v_add_co_ci_u32_e64 v26, s14, 0, v30, s14
	flat_load_b64 v[25:26], v[25:26]
.LBB803_34:
	s_or_b32 exec_lo, exec_lo, s15
	v_or_b32_e32 v62, 0xd00, v0
                                        ; implicit-def: $vgpr27_vgpr28
	s_delay_alu instid0(VALU_DEP_1) | instskip(NEXT) | instid1(VALU_DEP_1)
	v_cmp_gt_u32_e64 s14, s26, v62
	s_and_saveexec_b32 s16, s14
	s_cbranch_execz .LBB803_36
; %bb.35:
	v_lshlrev_b32_e32 v27, 3, v62
	s_delay_alu instid0(VALU_DEP_1) | instskip(NEXT) | instid1(VALU_DEP_1)
	v_add_co_u32 v27, s15, v32, v27
	v_add_co_ci_u32_e64 v28, s15, 0, v30, s15
	flat_load_b64 v[27:28], v[27:28]
.LBB803_36:
	s_or_b32 exec_lo, exec_lo, s16
	v_or_b32_e32 v63, 0xe00, v0
                                        ; implicit-def: $vgpr36_vgpr37
	s_delay_alu instid0(VALU_DEP_1) | instskip(NEXT) | instid1(VALU_DEP_1)
	v_cmp_gt_u32_e64 s15, s26, v63
	s_and_saveexec_b32 s27, s15
	s_cbranch_execz .LBB803_38
; %bb.37:
	v_lshlrev_b32_e32 v36, 3, v63
	s_delay_alu instid0(VALU_DEP_1) | instskip(NEXT) | instid1(VALU_DEP_1)
	v_add_co_u32 v36, s16, v32, v36
	v_add_co_ci_u32_e64 v37, s16, 0, v30, s16
	flat_load_b64 v[36:37], v[36:37]
.LBB803_38:
	s_or_b32 exec_lo, exec_lo, s27
	v_lshlrev_b32_e32 v38, 3, v0
	s_waitcnt vmcnt(0) lgkmcnt(0)
	ds_store_2addr_stride64_b64 v38, v[1:2], v[3:4] offset1:4
	ds_store_2addr_stride64_b64 v38, v[5:6], v[7:8] offset0:8 offset1:12
	ds_store_2addr_stride64_b64 v38, v[9:10], v[11:12] offset0:16 offset1:20
	;; [unrolled: 1-line block ×6, first 2 shown]
	v_mad_u32_u24 v42, 0x70, v0, v38
	ds_store_b64 v38, v[36:37] offset:28672
	s_waitcnt lgkmcnt(0)
	s_barrier
	buffer_gl0_inv
	ds_load_2addr_b64 v[25:28], v42 offset1:1
	ds_load_2addr_b64 v[21:24], v42 offset0:2 offset1:3
	ds_load_2addr_b64 v[17:20], v42 offset0:4 offset1:5
	ds_load_2addr_b64 v[13:16], v42 offset0:6 offset1:7
	ds_load_2addr_b64 v[9:12], v42 offset0:8 offset1:9
	ds_load_2addr_b64 v[5:8], v42 offset0:10 offset1:11
	ds_load_2addr_b64 v[1:4], v42 offset0:12 offset1:13
	ds_load_b64 v[37:38], v42 offset:112
	s_waitcnt lgkmcnt(0)
	s_barrier
	buffer_gl0_inv
                                        ; implicit-def: $vgpr36
	s_and_saveexec_b32 s16, vcc_lo
	s_cbranch_execz .LBB803_52
; %bb.39:
	v_lshlrev_b32_e32 v36, 2, v0
	s_delay_alu instid0(VALU_DEP_1)
	v_add_co_u32 v64, vcc_lo, v34, v36
	v_add_co_ci_u32_e32 v65, vcc_lo, 0, v40, vcc_lo
	flat_load_b32 v36, v[64:65]
	s_or_b32 exec_lo, exec_lo, s16
                                        ; implicit-def: $vgpr44
	s_and_saveexec_b32 s16, s0
	s_cbranch_execnz .LBB803_53
.LBB803_40:
	s_or_b32 exec_lo, exec_lo, s16
                                        ; implicit-def: $vgpr54
	s_and_saveexec_b32 s0, s1
	s_cbranch_execz .LBB803_54
.LBB803_41:
	v_lshlrev_b32_e32 v54, 2, v0
	s_delay_alu instid0(VALU_DEP_1)
	v_add_co_u32 v64, vcc_lo, v34, v54
	v_add_co_ci_u32_e32 v65, vcc_lo, 0, v40, vcc_lo
	flat_load_b32 v54, v[64:65] offset:2048
	s_or_b32 exec_lo, exec_lo, s0
                                        ; implicit-def: $vgpr64
	s_and_saveexec_b32 s0, s4
	s_cbranch_execnz .LBB803_55
.LBB803_42:
	s_or_b32 exec_lo, exec_lo, s0
                                        ; implicit-def: $vgpr65
	s_and_saveexec_b32 s0, s5
	s_cbranch_execz .LBB803_56
.LBB803_43:
	v_lshlrev_b32_e32 v46, 2, v46
	s_delay_alu instid0(VALU_DEP_1)
	v_add_co_u32 v65, vcc_lo, v34, v46
	v_add_co_ci_u32_e32 v66, vcc_lo, 0, v40, vcc_lo
	flat_load_b32 v65, v[65:66]
	s_or_b32 exec_lo, exec_lo, s0
                                        ; implicit-def: $vgpr66
	s_and_saveexec_b32 s0, s6
	s_cbranch_execnz .LBB803_57
.LBB803_44:
	s_or_b32 exec_lo, exec_lo, s0
                                        ; implicit-def: $vgpr48
	s_and_saveexec_b32 s0, s7
	s_cbranch_execz .LBB803_58
.LBB803_45:
	v_lshlrev_b32_e32 v46, 2, v50
	s_delay_alu instid0(VALU_DEP_1)
	v_add_co_u32 v67, vcc_lo, v34, v46
	v_add_co_ci_u32_e32 v68, vcc_lo, 0, v40, vcc_lo
	flat_load_b32 v48, v[67:68]
	s_or_b32 exec_lo, exec_lo, s0
                                        ; implicit-def: $vgpr50
	s_and_saveexec_b32 s0, s8
	s_cbranch_execnz .LBB803_59
.LBB803_46:
	s_or_b32 exec_lo, exec_lo, s0
                                        ; implicit-def: $vgpr52
	s_and_saveexec_b32 s0, s9
	s_cbranch_execz .LBB803_60
.LBB803_47:
	v_lshlrev_b32_e32 v46, 2, v56
	s_delay_alu instid0(VALU_DEP_1)
	v_add_co_u32 v67, vcc_lo, v34, v46
	v_add_co_ci_u32_e32 v68, vcc_lo, 0, v40, vcc_lo
	flat_load_b32 v52, v[67:68]
	s_or_b32 exec_lo, exec_lo, s0
                                        ; implicit-def: $vgpr56
	s_and_saveexec_b32 s0, s10
	s_cbranch_execnz .LBB803_61
.LBB803_48:
	s_or_b32 exec_lo, exec_lo, s0
                                        ; implicit-def: $vgpr67
	s_and_saveexec_b32 s0, s11
	s_cbranch_execz .LBB803_62
.LBB803_49:
	v_lshlrev_b32_e32 v46, 2, v59
	s_delay_alu instid0(VALU_DEP_1)
	v_add_co_u32 v58, vcc_lo, v34, v46
	v_add_co_ci_u32_e32 v59, vcc_lo, 0, v40, vcc_lo
	flat_load_b32 v67, v[58:59]
	s_or_b32 exec_lo, exec_lo, s0
                                        ; implicit-def: $vgpr72
	s_and_saveexec_b32 s0, s12
	s_cbranch_execnz .LBB803_63
.LBB803_50:
	s_or_b32 exec_lo, exec_lo, s0
                                        ; implicit-def: $vgpr76
	s_and_saveexec_b32 s0, s13
	s_cbranch_execz .LBB803_64
.LBB803_51:
	v_lshlrev_b32_e32 v46, 2, v61
	s_delay_alu instid0(VALU_DEP_1)
	v_add_co_u32 v58, vcc_lo, v34, v46
	v_add_co_ci_u32_e32 v59, vcc_lo, 0, v40, vcc_lo
	flat_load_b32 v76, v[58:59]
	s_or_b32 exec_lo, exec_lo, s0
                                        ; implicit-def: $vgpr77
	s_and_saveexec_b32 s0, s14
	s_cbranch_execz .LBB803_66
	s_branch .LBB803_65
.LBB803_52:
	s_or_b32 exec_lo, exec_lo, s16
                                        ; implicit-def: $vgpr44
	s_and_saveexec_b32 s16, s0
	s_cbranch_execz .LBB803_40
.LBB803_53:
	v_lshlrev_b32_e32 v44, 2, v0
	s_delay_alu instid0(VALU_DEP_1)
	v_add_co_u32 v64, vcc_lo, v34, v44
	v_add_co_ci_u32_e32 v65, vcc_lo, 0, v40, vcc_lo
	flat_load_b32 v44, v[64:65] offset:1024
	s_or_b32 exec_lo, exec_lo, s16
                                        ; implicit-def: $vgpr54
	s_and_saveexec_b32 s0, s1
	s_cbranch_execnz .LBB803_41
.LBB803_54:
	s_or_b32 exec_lo, exec_lo, s0
                                        ; implicit-def: $vgpr64
	s_and_saveexec_b32 s0, s4
	s_cbranch_execz .LBB803_42
.LBB803_55:
	v_lshlrev_b32_e32 v64, 2, v0
	s_delay_alu instid0(VALU_DEP_1)
	v_add_co_u32 v64, vcc_lo, v34, v64
	v_add_co_ci_u32_e32 v65, vcc_lo, 0, v40, vcc_lo
	flat_load_b32 v64, v[64:65] offset:3072
	s_or_b32 exec_lo, exec_lo, s0
                                        ; implicit-def: $vgpr65
	s_and_saveexec_b32 s0, s5
	s_cbranch_execnz .LBB803_43
.LBB803_56:
	s_or_b32 exec_lo, exec_lo, s0
                                        ; implicit-def: $vgpr66
	s_and_saveexec_b32 s0, s6
	s_cbranch_execz .LBB803_44
.LBB803_57:
	v_lshlrev_b32_e32 v46, 2, v48
	s_delay_alu instid0(VALU_DEP_1)
	v_add_co_u32 v66, vcc_lo, v34, v46
	v_add_co_ci_u32_e32 v67, vcc_lo, 0, v40, vcc_lo
	flat_load_b32 v66, v[66:67]
	s_or_b32 exec_lo, exec_lo, s0
                                        ; implicit-def: $vgpr48
	s_and_saveexec_b32 s0, s7
	s_cbranch_execnz .LBB803_45
.LBB803_58:
	s_or_b32 exec_lo, exec_lo, s0
                                        ; implicit-def: $vgpr50
	s_and_saveexec_b32 s0, s8
	s_cbranch_execz .LBB803_46
.LBB803_59:
	v_lshlrev_b32_e32 v46, 2, v52
	s_delay_alu instid0(VALU_DEP_1)
	v_add_co_u32 v67, vcc_lo, v34, v46
	v_add_co_ci_u32_e32 v68, vcc_lo, 0, v40, vcc_lo
	flat_load_b32 v50, v[67:68]
	s_or_b32 exec_lo, exec_lo, s0
                                        ; implicit-def: $vgpr52
	s_and_saveexec_b32 s0, s9
	s_cbranch_execnz .LBB803_47
.LBB803_60:
	s_or_b32 exec_lo, exec_lo, s0
                                        ; implicit-def: $vgpr56
	s_and_saveexec_b32 s0, s10
	s_cbranch_execz .LBB803_48
.LBB803_61:
	v_lshlrev_b32_e32 v46, 2, v58
	s_delay_alu instid0(VALU_DEP_1)
	v_add_co_u32 v67, vcc_lo, v34, v46
	v_add_co_ci_u32_e32 v68, vcc_lo, 0, v40, vcc_lo
	flat_load_b32 v56, v[67:68]
	s_or_b32 exec_lo, exec_lo, s0
                                        ; implicit-def: $vgpr67
	s_and_saveexec_b32 s0, s11
	s_cbranch_execnz .LBB803_49
.LBB803_62:
	s_or_b32 exec_lo, exec_lo, s0
                                        ; implicit-def: $vgpr72
	s_and_saveexec_b32 s0, s12
	s_cbranch_execz .LBB803_50
.LBB803_63:
	v_lshlrev_b32_e32 v46, 2, v60
	s_delay_alu instid0(VALU_DEP_1)
	v_add_co_u32 v58, vcc_lo, v34, v46
	v_add_co_ci_u32_e32 v59, vcc_lo, 0, v40, vcc_lo
	flat_load_b32 v72, v[58:59]
	s_or_b32 exec_lo, exec_lo, s0
                                        ; implicit-def: $vgpr76
	s_and_saveexec_b32 s0, s13
	s_cbranch_execnz .LBB803_51
.LBB803_64:
	s_or_b32 exec_lo, exec_lo, s0
                                        ; implicit-def: $vgpr77
	s_and_saveexec_b32 s0, s14
	s_cbranch_execz .LBB803_66
.LBB803_65:
	v_lshlrev_b32_e32 v46, 2, v62
	s_delay_alu instid0(VALU_DEP_1)
	v_add_co_u32 v58, vcc_lo, v34, v46
	v_add_co_ci_u32_e32 v59, vcc_lo, 0, v40, vcc_lo
	flat_load_b32 v77, v[58:59]
.LBB803_66:
	s_or_b32 exec_lo, exec_lo, s0
	v_mul_u32_u24_e32 v46, 15, v0
                                        ; implicit-def: $vgpr78
	s_and_saveexec_b32 s0, s15
	s_cbranch_execz .LBB803_68
; %bb.67:
	v_lshlrev_b32_e32 v58, 2, v63
	s_delay_alu instid0(VALU_DEP_1)
	v_add_co_u32 v58, vcc_lo, v34, v58
	v_add_co_ci_u32_e32 v59, vcc_lo, 0, v40, vcc_lo
	flat_load_b32 v78, v[58:59]
.LBB803_68:
	s_or_b32 exec_lo, exec_lo, s0
	s_delay_alu instid0(VALU_DEP_1)
	v_add_nc_u32_e32 v59, 1, v46
	v_add_nc_u32_e32 v58, 2, v46
	;; [unrolled: 1-line block ×10, first 2 shown]
	v_mad_i32_i24 v34, 0xffffff8c, v0, v42
	v_add_nc_u32_e32 v75, 11, v46
	v_add_nc_u32_e32 v74, 12, v46
	v_add_nc_u32_e32 v73, 13, v46
	v_add_nc_u32_e32 v42, 14, v46
	s_waitcnt vmcnt(0) lgkmcnt(0)
	ds_store_2addr_stride64_b32 v34, v36, v44 offset1:4
	ds_store_2addr_stride64_b32 v34, v54, v64 offset0:8 offset1:12
	ds_store_2addr_stride64_b32 v34, v65, v66 offset0:16 offset1:20
	;; [unrolled: 1-line block ×6, first 2 shown]
	ds_store_b32 v34, v78 offset:14336
	s_waitcnt lgkmcnt(0)
	s_barrier
.LBB803_69:
	v_lshlrev_b32_e32 v34, 2, v46
	v_lshlrev_b32_e32 v36, 2, v59
	v_lshlrev_b32_e32 v40, 2, v58
	v_lshlrev_b32_e32 v44, 2, v61
	v_lshlrev_b32_e32 v46, 2, v60
	buffer_gl0_inv
	v_lshlrev_b32_e32 v48, 2, v68
	v_lshlrev_b32_e32 v50, 2, v63
	;; [unrolled: 1-line block ×3, first 2 shown]
	ds_load_b32 v92, v34
	ds_load_b32 v91, v36
	;; [unrolled: 1-line block ×8, first 2 shown]
	v_lshlrev_b32_e32 v34, 2, v62
	v_lshlrev_b32_e32 v36, 2, v70
	;; [unrolled: 1-line block ×7, first 2 shown]
	ds_load_b32 v88, v34
	ds_load_b32 v85, v36
	;; [unrolled: 1-line block ×7, first 2 shown]
	s_cmp_eq_u64 s[24:25], 0
	s_waitcnt lgkmcnt(0)
	s_cselect_b32 s27, -1, 0
	s_cmp_lg_u64 s[24:25], 0
	s_barrier
	s_cselect_b32 s16, -1, 0
	s_and_b32 vcc_lo, exec_lo, s40
	buffer_gl0_inv
	s_cbranch_vccz .LBB803_75
; %bb.70:
	s_and_b32 vcc_lo, exec_lo, s16
	s_cbranch_vccz .LBB803_135
; %bb.71:
	v_add_co_u32 v58, vcc_lo, -8, v32
	v_add_co_ci_u32_e32 v59, vcc_lo, -1, v30, vcc_lo
	v_cmp_ne_u64_e64 s0, v[3:4], v[37:38]
	v_cmp_ne_u64_e64 s1, v[1:2], v[3:4]
	;; [unrolled: 1-line block ×3, first 2 shown]
	flat_load_b64 v[58:59], v[58:59]
	v_cmp_ne_u64_e64 s5, v[5:6], v[7:8]
	v_cmp_ne_u64_e64 s6, v[11:12], v[5:6]
	;; [unrolled: 1-line block ×10, first 2 shown]
	v_cmp_ne_u64_e32 vcc_lo, v[25:26], v[27:28]
	v_lshlrev_b32_e32 v34, 3, v0
	s_mov_b32 s40, -1
	ds_store_b64 v34, v[37:38]
	s_waitcnt vmcnt(0) lgkmcnt(0)
	s_barrier
	buffer_gl0_inv
	s_and_saveexec_b32 s15, s3
	s_cbranch_execz .LBB803_73
; %bb.72:
	v_add_nc_u32_e32 v34, -8, v34
	ds_load_b64 v[58:59], v34
.LBB803_73:
	s_or_b32 exec_lo, exec_lo, s15
	v_cndmask_b32_e64 v72, 0, 1, s0
	v_cndmask_b32_e64 v67, 0, 1, s1
	;; [unrolled: 1-line block ×13, first 2 shown]
	s_waitcnt lgkmcnt(0)
	v_cmp_ne_u64_e64 s0, v[58:59], v[25:26]
	v_cndmask_b32_e64 v80, 0, 1, vcc_lo
.LBB803_74:
                                        ; implicit-def: $sgpr1
	s_branch .LBB803_76
.LBB803_75:
	s_mov_b32 s40, 0
                                        ; implicit-def: $sgpr0
                                        ; implicit-def: $vgpr72
                                        ; implicit-def: $vgpr67
                                        ; implicit-def: $vgpr68
                                        ; implicit-def: $vgpr69
                                        ; implicit-def: $vgpr70
                                        ; implicit-def: $vgpr71
                                        ; implicit-def: $vgpr73
                                        ; implicit-def: $vgpr74
                                        ; implicit-def: $vgpr75
                                        ; implicit-def: $vgpr76
                                        ; implicit-def: $vgpr77
                                        ; implicit-def: $vgpr78
                                        ; implicit-def: $vgpr79
                                        ; implicit-def: $vgpr80
                                        ; implicit-def: $sgpr1
	s_cbranch_execnz .LBB803_139
.LBB803_76:
	v_mov_b32_e32 v93, s1
	s_and_saveexec_b32 s1, s40
.LBB803_77:
	s_delay_alu instid0(VALU_DEP_3)
	v_cndmask_b32_e64 v93, 0, 1, s0
.LBB803_78:
	s_or_b32 exec_lo, exec_lo, s1
	s_delay_alu instid0(VALU_DEP_1)
	v_add3_u32 v29, v80, v93, v79
	v_cmp_eq_u32_e64 s13, 0, v80
	v_cmp_eq_u32_e64 s12, 0, v79
	;; [unrolled: 1-line block ×4, first 2 shown]
	v_add3_u32 v99, v29, v78, v77
	v_cmp_eq_u32_e64 s9, 0, v76
	v_cmp_eq_u32_e64 s8, 0, v75
	;; [unrolled: 1-line block ×9, first 2 shown]
	v_cmp_eq_u32_e32 vcc_lo, 0, v72
	v_mbcnt_lo_u32_b32 v96, -1, 0
	v_lshrrev_b32_e32 v97, 5, v0
	v_or_b32_e32 v98, 31, v0
	s_cmp_eq_u64 s[22:23], 0
	s_cselect_b32 s16, -1, 0
	s_cmp_lg_u32 s33, 0
	s_cbranch_scc0 .LBB803_104
; %bb.79:
	v_cndmask_b32_e64 v29, 0, v92, s13
	v_add3_u32 v30, v99, v76, v75
	v_and_b32_e32 v32, 15, v96
	s_delay_alu instid0(VALU_DEP_3) | instskip(NEXT) | instid1(VALU_DEP_3)
	v_add_nc_u32_e32 v29, v29, v91
	v_add3_u32 v30, v30, v74, v73
	s_delay_alu instid0(VALU_DEP_3) | instskip(NEXT) | instid1(VALU_DEP_3)
	v_cmp_lt_u32_e64 s14, 1, v32
	v_cndmask_b32_e64 v29, 0, v29, s12
	s_delay_alu instid0(VALU_DEP_3) | instskip(NEXT) | instid1(VALU_DEP_2)
	v_add3_u32 v30, v30, v71, v70
	v_add_nc_u32_e32 v29, v29, v90
	s_delay_alu instid0(VALU_DEP_2) | instskip(NEXT) | instid1(VALU_DEP_2)
	v_add3_u32 v30, v30, v69, v68
	v_cndmask_b32_e64 v29, 0, v29, s11
	s_delay_alu instid0(VALU_DEP_2) | instskip(NEXT) | instid1(VALU_DEP_2)
	v_add3_u32 v30, v30, v67, v72
	v_add_nc_u32_e32 v29, v29, v89
	s_delay_alu instid0(VALU_DEP_2) | instskip(NEXT) | instid1(VALU_DEP_2)
	v_mov_b32_dpp v33, v30 row_shr:1 row_mask:0xf bank_mask:0xf
	v_cndmask_b32_e64 v29, 0, v29, s10
	s_delay_alu instid0(VALU_DEP_1) | instskip(NEXT) | instid1(VALU_DEP_1)
	v_add_nc_u32_e32 v29, v29, v87
	v_cndmask_b32_e64 v29, 0, v29, s9
	s_delay_alu instid0(VALU_DEP_1) | instskip(NEXT) | instid1(VALU_DEP_1)
	v_add_nc_u32_e32 v29, v29, v86
	;; [unrolled: 3-line block ×10, first 2 shown]
	v_cndmask_b32_e32 v29, 0, v29, vcc_lo
	v_cmp_eq_u32_e32 vcc_lo, 0, v30
	s_delay_alu instid0(VALU_DEP_2) | instskip(NEXT) | instid1(VALU_DEP_1)
	v_add_nc_u32_e32 v29, v29, v95
	v_mov_b32_dpp v31, v29 row_shr:1 row_mask:0xf bank_mask:0xf
	s_delay_alu instid0(VALU_DEP_1) | instskip(SKIP_2) | instid1(VALU_DEP_1)
	v_cndmask_b32_e32 v31, 0, v31, vcc_lo
	v_cmp_eq_u32_e32 vcc_lo, 0, v32
	v_cndmask_b32_e64 v33, v33, 0, vcc_lo
	v_add_nc_u32_e32 v30, v33, v30
	s_delay_alu instid0(VALU_DEP_4) | instskip(NEXT) | instid1(VALU_DEP_2)
	v_cndmask_b32_e64 v31, v31, 0, vcc_lo
	v_cmp_eq_u32_e32 vcc_lo, 0, v30
	s_delay_alu instid0(VALU_DEP_2) | instskip(SKIP_2) | instid1(VALU_DEP_2)
	v_add_nc_u32_e32 v29, v31, v29
	v_mov_b32_dpp v31, v30 row_shr:2 row_mask:0xf bank_mask:0xf
	s_and_b32 vcc_lo, s14, vcc_lo
	v_mov_b32_dpp v33, v29 row_shr:2 row_mask:0xf bank_mask:0xf
	s_delay_alu instid0(VALU_DEP_2) | instskip(SKIP_1) | instid1(VALU_DEP_2)
	v_cndmask_b32_e64 v31, 0, v31, s14
	v_cmp_lt_u32_e64 s14, 3, v32
	v_dual_cndmask_b32 v33, 0, v33 :: v_dual_add_nc_u32 v30, v30, v31
	s_delay_alu instid0(VALU_DEP_1) | instskip(NEXT) | instid1(VALU_DEP_2)
	v_add_nc_u32_e32 v29, v33, v29
	v_mov_b32_dpp v31, v30 row_shr:4 row_mask:0xf bank_mask:0xf
	v_cmp_eq_u32_e32 vcc_lo, 0, v30
	s_delay_alu instid0(VALU_DEP_3) | instskip(NEXT) | instid1(VALU_DEP_3)
	v_mov_b32_dpp v33, v29 row_shr:4 row_mask:0xf bank_mask:0xf
	v_cndmask_b32_e64 v31, 0, v31, s14
	s_and_b32 vcc_lo, s14, vcc_lo
	v_cmp_lt_u32_e64 s14, 7, v32
	s_delay_alu instid0(VALU_DEP_2) | instskip(NEXT) | instid1(VALU_DEP_1)
	v_dual_cndmask_b32 v33, 0, v33 :: v_dual_add_nc_u32 v30, v31, v30
	v_add_nc_u32_e32 v29, v29, v33
	s_delay_alu instid0(VALU_DEP_2) | instskip(SKIP_2) | instid1(VALU_DEP_4)
	v_cmp_eq_u32_e32 vcc_lo, 0, v30
	v_mov_b32_dpp v31, v30 row_shr:8 row_mask:0xf bank_mask:0xf
	v_bfe_i32 v33, v96, 4, 1
	v_mov_b32_dpp v32, v29 row_shr:8 row_mask:0xf bank_mask:0xf
	s_and_b32 vcc_lo, s14, vcc_lo
	s_delay_alu instid0(VALU_DEP_3) | instskip(SKIP_1) | instid1(VALU_DEP_2)
	v_cndmask_b32_e64 v31, 0, v31, s14
	s_mov_b32 s14, exec_lo
	v_cndmask_b32_e32 v32, 0, v32, vcc_lo
	s_delay_alu instid0(VALU_DEP_1) | instskip(NEXT) | instid1(VALU_DEP_3)
	v_add_nc_u32_e32 v32, v32, v29
	v_add_nc_u32_e32 v29, v31, v30
	ds_swizzle_b32 v30, v32 offset:swizzle(BROADCAST,32,15)
	ds_swizzle_b32 v31, v29 offset:swizzle(BROADCAST,32,15)
	v_cmp_eq_u32_e32 vcc_lo, 0, v29
	s_waitcnt lgkmcnt(0)
	v_dual_cndmask_b32 v30, 0, v30 :: v_dual_and_b32 v31, v33, v31
	s_delay_alu instid0(VALU_DEP_1) | instskip(NEXT) | instid1(VALU_DEP_2)
	v_and_b32_e32 v30, v33, v30
	v_add_nc_u32_e32 v29, v31, v29
	v_lshlrev_b32_e32 v31, 3, v97
	s_delay_alu instid0(VALU_DEP_3)
	v_add_nc_u32_e32 v30, v30, v32
	v_cmpx_eq_u32_e64 v98, v0
	s_cbranch_execz .LBB803_81
; %bb.80:
	ds_store_b64 v31, v[29:30] offset:4112
.LBB803_81:
	s_or_b32 exec_lo, exec_lo, s14
	s_delay_alu instid0(SALU_CYCLE_1)
	s_mov_b32 s15, exec_lo
	s_waitcnt lgkmcnt(0)
	s_barrier
	buffer_gl0_inv
	v_cmpx_gt_u32_e32 8, v0
	s_cbranch_execz .LBB803_83
; %bb.82:
	v_lshlrev_b32_e32 v34, 3, v0
	v_and_b32_e32 v36, 7, v96
	ds_load_b64 v[32:33], v34 offset:4112
	v_cmp_lt_u32_e64 s14, 1, v36
	s_waitcnt lgkmcnt(0)
	v_mov_b32_dpp v35, v33 row_shr:1 row_mask:0xf bank_mask:0xf
	v_cmp_eq_u32_e32 vcc_lo, 0, v32
	v_mov_b32_dpp v39, v32 row_shr:1 row_mask:0xf bank_mask:0xf
	s_delay_alu instid0(VALU_DEP_3) | instskip(SKIP_1) | instid1(VALU_DEP_3)
	v_cndmask_b32_e32 v35, 0, v35, vcc_lo
	v_cmp_eq_u32_e32 vcc_lo, 0, v36
	v_cndmask_b32_e64 v39, v39, 0, vcc_lo
	s_delay_alu instid0(VALU_DEP_3) | instskip(NEXT) | instid1(VALU_DEP_2)
	v_cndmask_b32_e64 v35, v35, 0, vcc_lo
	v_add_nc_u32_e32 v32, v39, v32
	s_delay_alu instid0(VALU_DEP_2) | instskip(NEXT) | instid1(VALU_DEP_2)
	v_add_nc_u32_e32 v33, v35, v33
	v_mov_b32_dpp v35, v32 row_shr:2 row_mask:0xf bank_mask:0xf
	v_cmp_eq_u32_e32 vcc_lo, 0, v32
	s_delay_alu instid0(VALU_DEP_3) | instskip(NEXT) | instid1(VALU_DEP_3)
	v_mov_b32_dpp v39, v33 row_shr:2 row_mask:0xf bank_mask:0xf
	v_cndmask_b32_e64 v35, 0, v35, s14
	s_and_b32 vcc_lo, s14, vcc_lo
	s_delay_alu instid0(VALU_DEP_2) | instskip(SKIP_1) | instid1(VALU_DEP_3)
	v_cndmask_b32_e32 v39, 0, v39, vcc_lo
	v_cmp_lt_u32_e64 s14, 3, v36
	v_add_nc_u32_e32 v32, v35, v32
	s_delay_alu instid0(VALU_DEP_3) | instskip(NEXT) | instid1(VALU_DEP_2)
	v_add_nc_u32_e32 v33, v39, v33
	v_cmp_eq_u32_e32 vcc_lo, 0, v32
	v_mov_b32_dpp v35, v32 row_shr:4 row_mask:0xf bank_mask:0xf
	s_delay_alu instid0(VALU_DEP_3) | instskip(SKIP_1) | instid1(VALU_DEP_2)
	v_mov_b32_dpp v36, v33 row_shr:4 row_mask:0xf bank_mask:0xf
	s_and_b32 vcc_lo, s14, vcc_lo
	v_cndmask_b32_e64 v35, 0, v35, s14
	s_delay_alu instid0(VALU_DEP_2) | instskip(NEXT) | instid1(VALU_DEP_2)
	v_cndmask_b32_e32 v36, 0, v36, vcc_lo
	v_add_nc_u32_e32 v32, v35, v32
	s_delay_alu instid0(VALU_DEP_2)
	v_add_nc_u32_e32 v33, v36, v33
	ds_store_b64 v34, v[32:33] offset:4112
.LBB803_83:
	s_or_b32 exec_lo, exec_lo, s15
	v_cmp_gt_u32_e32 vcc_lo, 32, v0
	v_dual_mov_b32 v39, 0 :: v_dual_mov_b32 v40, 0
	s_mov_b32 s15, exec_lo
	s_waitcnt lgkmcnt(0)
	s_barrier
	buffer_gl0_inv
	v_cmpx_lt_u32_e32 31, v0
	s_cbranch_execz .LBB803_85
; %bb.84:
	ds_load_b64 v[39:40], v31 offset:4104
	v_cmp_eq_u32_e64 s14, 0, v29
	s_waitcnt lgkmcnt(0)
	s_delay_alu instid0(VALU_DEP_1) | instskip(SKIP_1) | instid1(VALU_DEP_2)
	v_cndmask_b32_e64 v31, 0, v40, s14
	v_add_nc_u32_e32 v29, v39, v29
	v_add_nc_u32_e32 v30, v31, v30
.LBB803_85:
	s_or_b32 exec_lo, exec_lo, s15
	v_add_nc_u32_e32 v31, -1, v96
	s_delay_alu instid0(VALU_DEP_1) | instskip(NEXT) | instid1(VALU_DEP_1)
	v_cmp_gt_i32_e64 s14, 0, v31
	v_cndmask_b32_e64 v31, v31, v96, s14
	v_cmp_eq_u32_e64 s14, 0, v96
	s_delay_alu instid0(VALU_DEP_2)
	v_lshlrev_b32_e32 v31, 2, v31
	ds_bpermute_b32 v45, v31, v29
	ds_bpermute_b32 v46, v31, v30
	s_and_saveexec_b32 s22, vcc_lo
	s_cbranch_execz .LBB803_103
; %bb.86:
	v_mov_b32_e32 v32, 0
	ds_load_b64 v[29:30], v32 offset:4168
	s_waitcnt lgkmcnt(0)
	v_readfirstlane_b32 s23, v30
	s_and_saveexec_b32 s15, s14
	s_cbranch_execz .LBB803_88
; %bb.87:
	s_add_i32 s24, s33, 32
	s_mov_b32 s25, 0
	v_mov_b32_e32 v31, 1
	s_lshl_b64 s[36:37], s[24:25], 4
	s_mov_b32 s40, s25
	s_add_u32 s36, s20, s36
	s_addc_u32 s37, s21, s37
	s_and_b32 s41, s23, 0xff000000
	s_and_b32 s43, s23, 0xff0000
	s_mov_b32 s42, s25
	v_dual_mov_b32 v33, s36 :: v_dual_mov_b32 v34, s37
	s_or_b64 s[40:41], s[42:43], s[40:41]
	s_and_b32 s43, s23, 0xff00
	s_delay_alu instid0(SALU_CYCLE_1) | instskip(SKIP_1) | instid1(SALU_CYCLE_1)
	s_or_b64 s[40:41], s[40:41], s[42:43]
	s_and_b32 s43, s23, 0xff
	s_or_b64 s[24:25], s[40:41], s[42:43]
	s_delay_alu instid0(SALU_CYCLE_1)
	v_mov_b32_e32 v30, s25
	;;#ASMSTART
	global_store_dwordx4 v[33:34], v[29:32] off	
s_waitcnt vmcnt(0)
	;;#ASMEND
.LBB803_88:
	s_or_b32 exec_lo, exec_lo, s15
	v_xad_u32 v41, v96, -1, s33
	s_mov_b32 s24, 0
	s_mov_b32 s15, exec_lo
	s_delay_alu instid0(VALU_DEP_1) | instskip(NEXT) | instid1(VALU_DEP_1)
	v_add_nc_u32_e32 v31, 32, v41
	v_lshlrev_b64 v[30:31], 4, v[31:32]
	s_delay_alu instid0(VALU_DEP_1) | instskip(NEXT) | instid1(VALU_DEP_2)
	v_add_co_u32 v30, vcc_lo, s20, v30
	v_add_co_ci_u32_e32 v31, vcc_lo, s21, v31, vcc_lo
	;;#ASMSTART
	global_load_dwordx4 v[33:36], v[30:31] off glc	
s_waitcnt vmcnt(0)
	;;#ASMEND
	v_and_b32_e32 v32, 0xff, v34
	v_and_b32_e32 v36, 0xff00, v34
	;; [unrolled: 1-line block ×3, first 2 shown]
	v_or3_b32 v33, v33, 0, 0
	v_and_b32_e32 v34, 0xff000000, v34
	s_delay_alu instid0(VALU_DEP_4) | instskip(SKIP_1) | instid1(VALU_DEP_4)
	v_or3_b32 v32, 0, v32, v36
	v_and_b32_e32 v36, 0xff, v35
	v_or3_b32 v33, v33, 0, 0
	s_delay_alu instid0(VALU_DEP_3) | instskip(NEXT) | instid1(VALU_DEP_3)
	v_or3_b32 v34, v32, v42, v34
	v_cmpx_eq_u16_e32 0, v36
	s_cbranch_execz .LBB803_91
.LBB803_89:                             ; =>This Inner Loop Header: Depth=1
	;;#ASMSTART
	global_load_dwordx4 v[33:36], v[30:31] off glc	
s_waitcnt vmcnt(0)
	;;#ASMEND
	v_and_b32_e32 v32, 0xff, v35
	s_delay_alu instid0(VALU_DEP_1) | instskip(SKIP_1) | instid1(SALU_CYCLE_1)
	v_cmp_ne_u16_e32 vcc_lo, 0, v32
	s_or_b32 s24, vcc_lo, s24
	s_and_not1_b32 exec_lo, exec_lo, s24
	s_cbranch_execnz .LBB803_89
; %bb.90:
	s_or_b32 exec_lo, exec_lo, s24
.LBB803_91:
	s_delay_alu instid0(SALU_CYCLE_1)
	s_or_b32 exec_lo, exec_lo, s15
	v_cmp_ne_u32_e32 vcc_lo, 31, v96
	v_and_b32_e32 v31, 0xff, v35
	v_lshlrev_b32_e64 v47, v96, -1
	v_add_nc_u32_e32 v49, 2, v96
	v_add_nc_u32_e32 v51, 4, v96
	v_add_co_ci_u32_e32 v30, vcc_lo, 0, v96, vcc_lo
	v_cmp_eq_u16_e32 vcc_lo, 2, v31
	v_add_nc_u32_e32 v53, 8, v96
	v_add_nc_u32_e32 v55, 16, v96
	v_and_or_b32 v36, vcc_lo, v47, 0x80000000
	v_cmp_gt_u32_e32 vcc_lo, 30, v96
	s_delay_alu instid0(VALU_DEP_2) | instskip(SKIP_2) | instid1(VALU_DEP_3)
	v_ctz_i32_b32_e32 v36, v36
	v_cndmask_b32_e64 v42, 0, 1, vcc_lo
	v_cmp_eq_u32_e32 vcc_lo, 0, v33
	v_cmp_lt_u32_e64 s15, v96, v36
	s_delay_alu instid0(VALU_DEP_3) | instskip(NEXT) | instid1(VALU_DEP_2)
	v_lshlrev_b32_e32 v42, 1, v42
	s_and_b32 vcc_lo, s15, vcc_lo
	v_lshlrev_b32_e32 v30, 2, v30
	s_delay_alu instid0(VALU_DEP_2)
	v_add_lshl_u32 v48, v42, v96, 2
	ds_bpermute_b32 v31, v30, v34
	s_waitcnt lgkmcnt(0)
	v_cndmask_b32_e32 v31, 0, v31, vcc_lo
	ds_bpermute_b32 v32, v30, v33
	v_cmp_gt_u32_e32 vcc_lo, 28, v96
	v_add_nc_u32_e32 v31, v31, v34
	ds_bpermute_b32 v34, v48, v31
	s_waitcnt lgkmcnt(1)
	v_cndmask_b32_e64 v32, 0, v32, s15
	s_delay_alu instid0(VALU_DEP_1) | instskip(SKIP_1) | instid1(VALU_DEP_2)
	v_add_nc_u32_e32 v32, v32, v33
	v_cndmask_b32_e64 v33, 0, 1, vcc_lo
	v_cmp_eq_u32_e32 vcc_lo, 0, v32
	ds_bpermute_b32 v42, v48, v32
	s_waitcnt lgkmcnt(1)
	v_dual_cndmask_b32 v34, 0, v34 :: v_dual_lshlrev_b32 v33, 2, v33
	v_cmp_gt_u32_e32 vcc_lo, v49, v36
	s_delay_alu instid0(VALU_DEP_2) | instskip(NEXT) | instid1(VALU_DEP_3)
	v_add_lshl_u32 v50, v33, v96, 2
	v_cndmask_b32_e64 v34, v34, 0, vcc_lo
	s_delay_alu instid0(VALU_DEP_1) | instskip(SKIP_4) | instid1(VALU_DEP_2)
	v_add_nc_u32_e32 v31, v34, v31
	ds_bpermute_b32 v33, v50, v31
	s_waitcnt lgkmcnt(1)
	v_cndmask_b32_e64 v34, v42, 0, vcc_lo
	v_cmp_gt_u32_e32 vcc_lo, 24, v96
	v_add_nc_u32_e32 v32, v32, v34
	v_cndmask_b32_e64 v42, 0, 1, vcc_lo
	ds_bpermute_b32 v34, v50, v32
	v_cmp_eq_u32_e32 vcc_lo, 0, v32
	v_lshlrev_b32_e32 v42, 3, v42
	s_delay_alu instid0(VALU_DEP_1) | instskip(SKIP_3) | instid1(VALU_DEP_2)
	v_add_lshl_u32 v52, v42, v96, 2
	s_waitcnt lgkmcnt(1)
	v_cndmask_b32_e32 v33, 0, v33, vcc_lo
	v_cmp_gt_u32_e32 vcc_lo, v51, v36
	v_cndmask_b32_e64 v33, v33, 0, vcc_lo
	s_delay_alu instid0(VALU_DEP_1)
	v_add_nc_u32_e32 v31, v31, v33
	s_waitcnt lgkmcnt(0)
	v_cndmask_b32_e64 v34, v34, 0, vcc_lo
	v_cmp_gt_u32_e32 vcc_lo, 16, v96
	ds_bpermute_b32 v33, v52, v31
	v_add_nc_u32_e32 v32, v32, v34
	v_cndmask_b32_e64 v42, 0, 1, vcc_lo
	ds_bpermute_b32 v34, v52, v32
	v_cmp_eq_u32_e32 vcc_lo, 0, v32
	v_lshlrev_b32_e32 v42, 4, v42
	s_delay_alu instid0(VALU_DEP_1) | instskip(SKIP_3) | instid1(VALU_DEP_2)
	v_add_lshl_u32 v54, v42, v96, 2
	s_waitcnt lgkmcnt(1)
	v_dual_mov_b32 v42, 0 :: v_dual_cndmask_b32 v33, 0, v33
	v_cmp_gt_u32_e32 vcc_lo, v53, v36
	v_cndmask_b32_e64 v33, v33, 0, vcc_lo
	s_delay_alu instid0(VALU_DEP_1)
	v_add_nc_u32_e32 v31, v31, v33
	s_waitcnt lgkmcnt(0)
	v_cndmask_b32_e64 v33, v34, 0, vcc_lo
	ds_bpermute_b32 v34, v54, v31
	v_add_nc_u32_e32 v32, v32, v33
	ds_bpermute_b32 v33, v54, v32
	v_cmp_eq_u32_e32 vcc_lo, 0, v32
	s_waitcnt lgkmcnt(1)
	v_cndmask_b32_e32 v34, 0, v34, vcc_lo
	v_cmp_gt_u32_e32 vcc_lo, v55, v36
	s_delay_alu instid0(VALU_DEP_2) | instskip(SKIP_2) | instid1(VALU_DEP_2)
	v_cndmask_b32_e64 v34, v34, 0, vcc_lo
	s_waitcnt lgkmcnt(0)
	v_cndmask_b32_e64 v33, v33, 0, vcc_lo
	v_add_nc_u32_e32 v34, v34, v31
	s_delay_alu instid0(VALU_DEP_2)
	v_add_nc_u32_e32 v33, v33, v32
	s_branch .LBB803_93
.LBB803_92:                             ;   in Loop: Header=BB803_93 Depth=1
	s_or_b32 exec_lo, exec_lo, s15
	v_and_b32_e32 v36, 0xff, v35
	ds_bpermute_b32 v43, v30, v33
	v_subrev_nc_u32_e32 v41, 32, v41
	v_cmp_eq_u16_e32 vcc_lo, 2, v36
	ds_bpermute_b32 v36, v30, v34
	v_and_or_b32 v44, vcc_lo, v47, 0x80000000
	v_cmp_eq_u32_e32 vcc_lo, 0, v33
	s_delay_alu instid0(VALU_DEP_2) | instskip(NEXT) | instid1(VALU_DEP_1)
	v_ctz_i32_b32_e32 v44, v44
	v_cmp_lt_u32_e64 s15, v96, v44
	s_delay_alu instid0(VALU_DEP_1) | instskip(SKIP_4) | instid1(VALU_DEP_2)
	s_and_b32 vcc_lo, s15, vcc_lo
	s_waitcnt lgkmcnt(1)
	v_cndmask_b32_e64 v43, 0, v43, s15
	s_waitcnt lgkmcnt(0)
	v_cndmask_b32_e32 v36, 0, v36, vcc_lo
	v_add_nc_u32_e32 v33, v43, v33
	s_delay_alu instid0(VALU_DEP_2)
	v_add_nc_u32_e32 v34, v36, v34
	ds_bpermute_b32 v43, v48, v33
	ds_bpermute_b32 v36, v48, v34
	v_cmp_eq_u32_e32 vcc_lo, 0, v33
	s_waitcnt lgkmcnt(0)
	v_cndmask_b32_e32 v36, 0, v36, vcc_lo
	v_cmp_gt_u32_e32 vcc_lo, v49, v44
	v_cndmask_b32_e64 v43, v43, 0, vcc_lo
	s_delay_alu instid0(VALU_DEP_1) | instskip(NEXT) | instid1(VALU_DEP_4)
	v_add_nc_u32_e32 v33, v33, v43
	v_cndmask_b32_e64 v36, v36, 0, vcc_lo
	ds_bpermute_b32 v43, v50, v33
	v_add_nc_u32_e32 v34, v36, v34
	v_cmp_eq_u32_e32 vcc_lo, 0, v33
	ds_bpermute_b32 v36, v50, v34
	s_waitcnt lgkmcnt(0)
	v_cndmask_b32_e32 v36, 0, v36, vcc_lo
	v_cmp_gt_u32_e32 vcc_lo, v51, v44
	v_cndmask_b32_e64 v43, v43, 0, vcc_lo
	s_delay_alu instid0(VALU_DEP_1) | instskip(NEXT) | instid1(VALU_DEP_4)
	v_add_nc_u32_e32 v33, v33, v43
	v_cndmask_b32_e64 v36, v36, 0, vcc_lo
	ds_bpermute_b32 v43, v52, v33
	v_add_nc_u32_e32 v34, v34, v36
	v_cmp_eq_u32_e32 vcc_lo, 0, v33
	ds_bpermute_b32 v36, v52, v34
	;; [unrolled: 11-line block ×3, first 2 shown]
	s_waitcnt lgkmcnt(0)
	v_cndmask_b32_e32 v36, 0, v36, vcc_lo
	v_cmp_gt_u32_e32 vcc_lo, v55, v44
	s_delay_alu instid0(VALU_DEP_2) | instskip(NEXT) | instid1(VALU_DEP_1)
	v_cndmask_b32_e64 v36, v36, 0, vcc_lo
	v_add_nc_u32_e32 v34, v36, v34
	v_cndmask_b32_e64 v36, v43, 0, vcc_lo
	v_cmp_eq_u32_e32 vcc_lo, 0, v31
	s_delay_alu instid0(VALU_DEP_2) | instskip(NEXT) | instid1(VALU_DEP_4)
	v_add3_u32 v33, v33, v31, v36
	v_cndmask_b32_e32 v34, 0, v34, vcc_lo
	s_delay_alu instid0(VALU_DEP_1)
	v_add_nc_u32_e32 v34, v34, v32
.LBB803_93:                             ; =>This Loop Header: Depth=1
                                        ;     Child Loop BB803_96 Depth 2
	s_delay_alu instid0(VALU_DEP_1) | instskip(NEXT) | instid1(VALU_DEP_1)
	v_dual_mov_b32 v32, v34 :: v_dual_and_b32 v31, 0xff, v35
	v_cmp_ne_u16_e32 vcc_lo, 2, v31
	v_cndmask_b32_e64 v31, 0, 1, vcc_lo
	;;#ASMSTART
	;;#ASMEND
	s_delay_alu instid0(VALU_DEP_1)
	v_cmp_ne_u32_e32 vcc_lo, 0, v31
	v_mov_b32_e32 v31, v33
	s_cmp_lg_u32 vcc_lo, exec_lo
	s_cbranch_scc1 .LBB803_98
; %bb.94:                               ;   in Loop: Header=BB803_93 Depth=1
	v_lshlrev_b64 v[33:34], 4, v[41:42]
	s_mov_b32 s15, exec_lo
	s_delay_alu instid0(VALU_DEP_1) | instskip(NEXT) | instid1(VALU_DEP_2)
	v_add_co_u32 v43, vcc_lo, s20, v33
	v_add_co_ci_u32_e32 v44, vcc_lo, s21, v34, vcc_lo
	;;#ASMSTART
	global_load_dwordx4 v[33:36], v[43:44] off glc	
s_waitcnt vmcnt(0)
	;;#ASMEND
	v_and_b32_e32 v36, 0xff, v34
	v_and_b32_e32 v56, 0xff00, v34
	;; [unrolled: 1-line block ×3, first 2 shown]
	v_or3_b32 v33, v33, 0, 0
	v_and_b32_e32 v34, 0xff000000, v34
	s_delay_alu instid0(VALU_DEP_4) | instskip(SKIP_1) | instid1(VALU_DEP_4)
	v_or3_b32 v36, 0, v36, v56
	v_and_b32_e32 v56, 0xff, v35
	v_or3_b32 v33, v33, 0, 0
	s_delay_alu instid0(VALU_DEP_3) | instskip(NEXT) | instid1(VALU_DEP_3)
	v_or3_b32 v34, v36, v57, v34
	v_cmpx_eq_u16_e32 0, v56
	s_cbranch_execz .LBB803_92
; %bb.95:                               ;   in Loop: Header=BB803_93 Depth=1
	s_mov_b32 s24, 0
.LBB803_96:                             ;   Parent Loop BB803_93 Depth=1
                                        ; =>  This Inner Loop Header: Depth=2
	;;#ASMSTART
	global_load_dwordx4 v[33:36], v[43:44] off glc	
s_waitcnt vmcnt(0)
	;;#ASMEND
	v_and_b32_e32 v36, 0xff, v35
	s_delay_alu instid0(VALU_DEP_1) | instskip(SKIP_1) | instid1(SALU_CYCLE_1)
	v_cmp_ne_u16_e32 vcc_lo, 0, v36
	s_or_b32 s24, vcc_lo, s24
	s_and_not1_b32 exec_lo, exec_lo, s24
	s_cbranch_execnz .LBB803_96
; %bb.97:                               ;   in Loop: Header=BB803_93 Depth=1
	s_or_b32 exec_lo, exec_lo, s24
	s_branch .LBB803_92
.LBB803_98:                             ;   in Loop: Header=BB803_93 Depth=1
                                        ; implicit-def: $vgpr34
                                        ; implicit-def: $vgpr33
                                        ; implicit-def: $vgpr35
	s_cbranch_execz .LBB803_93
; %bb.99:
	s_and_saveexec_b32 s15, s14
	s_cbranch_execz .LBB803_101
; %bb.100:
	v_cmp_eq_u32_e32 vcc_lo, 0, v29
	s_mov_b32 s25, 0
	s_add_i32 s24, s33, 32
	v_add_nc_u32_e32 v33, v31, v29
	s_lshl_b64 s[24:25], s[24:25], 4
	v_cndmask_b32_e32 v30, 0, v32, vcc_lo
	s_add_u32 s24, s20, s24
	s_addc_u32 s25, s21, s25
	v_mov_b32_e32 v36, 0
	s_delay_alu instid0(VALU_DEP_2) | instskip(NEXT) | instid1(VALU_DEP_1)
	v_add_nc_u32_e32 v30, s23, v30
	v_and_b32_e32 v34, 0xff000000, v30
	v_and_b32_e32 v35, 0xff0000, v30
	s_delay_alu instid0(VALU_DEP_1) | instskip(SKIP_3) | instid1(VALU_DEP_1)
	v_or_b32_e32 v34, v35, v34
	v_mov_b32_e32 v35, 2
	v_and_b32_e32 v41, 0xff00, v30
	v_and_b32_e32 v30, 0xff, v30
	v_or3_b32 v34, v34, v41, v30
	v_mov_b32_e32 v30, s23
	v_dual_mov_b32 v42, s25 :: v_dual_mov_b32 v41, s24
	;;#ASMSTART
	global_store_dwordx4 v[41:42], v[33:36] off	
s_waitcnt vmcnt(0)
	;;#ASMEND
	ds_store_b128 v36, v[29:32] offset:4096
.LBB803_101:
	s_or_b32 exec_lo, exec_lo, s15
	s_delay_alu instid0(SALU_CYCLE_1)
	s_and_b32 exec_lo, exec_lo, s2
	s_cbranch_execz .LBB803_103
; %bb.102:
	v_mov_b32_e32 v29, 0
	ds_store_b64 v29, v[31:32] offset:4168
.LBB803_103:
	s_or_b32 exec_lo, exec_lo, s22
	s_waitcnt lgkmcnt(1)
	v_cndmask_b32_e64 v32, v45, v39, s14
	s_waitcnt lgkmcnt(0)
	s_barrier
	buffer_gl0_inv
	v_cndmask_b32_e64 v33, v46, v40, s14
	v_cmp_eq_u32_e32 vcc_lo, 0, v32
	v_mov_b32_e32 v31, 0
	ds_load_b64 v[29:30], v31 offset:4168
	s_waitcnt lgkmcnt(0)
	s_barrier
	buffer_gl0_inv
	v_cndmask_b32_e32 v34, 0, v30, vcc_lo
	v_cmp_eq_u32_e32 vcc_lo, 0, v93
	s_delay_alu instid0(VALU_DEP_2) | instskip(NEXT) | instid1(VALU_DEP_1)
	v_add_nc_u32_e32 v33, v34, v33
	v_cndmask_b32_e64 v56, v33, v30, s2
	s_delay_alu instid0(VALU_DEP_1) | instskip(NEXT) | instid1(VALU_DEP_1)
	v_cndmask_b32_e32 v30, 0, v56, vcc_lo
	v_add_nc_u32_e32 v62, v30, v92
	s_delay_alu instid0(VALU_DEP_1) | instskip(NEXT) | instid1(VALU_DEP_1)
	v_cndmask_b32_e64 v30, 0, v62, s13
	v_add_nc_u32_e32 v58, v30, v91
	s_delay_alu instid0(VALU_DEP_1) | instskip(NEXT) | instid1(VALU_DEP_1)
	v_cndmask_b32_e64 v30, 0, v58, s12
	v_add_nc_u32_e32 v54, v30, v90
	s_delay_alu instid0(VALU_DEP_1) | instskip(NEXT) | instid1(VALU_DEP_1)
	v_cndmask_b32_e64 v30, 0, v54, s11
	v_add_nc_u32_e32 v48, v30, v89
	s_delay_alu instid0(VALU_DEP_1) | instskip(NEXT) | instid1(VALU_DEP_1)
	v_cndmask_b32_e64 v30, 0, v48, s10
	v_add_nc_u32_e32 v44, v30, v87
	s_delay_alu instid0(VALU_DEP_1) | instskip(NEXT) | instid1(VALU_DEP_1)
	v_cndmask_b32_e64 v30, 0, v44, s9
	v_add_nc_u32_e32 v42, v30, v86
	v_cndmask_b32_e64 v30, v32, 0, s2
	s_delay_alu instid0(VALU_DEP_2) | instskip(NEXT) | instid1(VALU_DEP_2)
	v_cndmask_b32_e64 v32, 0, v42, s8
	v_add_nc_u32_e32 v55, v29, v30
	s_delay_alu instid0(VALU_DEP_2) | instskip(NEXT) | instid1(VALU_DEP_1)
	v_add_nc_u32_e32 v46, v32, v84
	v_cndmask_b32_e64 v29, 0, v46, s7
	s_delay_alu instid0(VALU_DEP_1) | instskip(NEXT) | instid1(VALU_DEP_1)
	v_add_nc_u32_e32 v50, v29, v82
	v_cndmask_b32_e64 v29, 0, v50, s6
	s_delay_alu instid0(VALU_DEP_1) | instskip(NEXT) | instid1(VALU_DEP_1)
	v_add_nc_u32_e32 v34, v29, v88
	v_cndmask_b32_e64 v29, 0, v34, s5
	s_delay_alu instid0(VALU_DEP_1) | instskip(NEXT) | instid1(VALU_DEP_1)
	v_add_nc_u32_e32 v36, v29, v85
	v_cndmask_b32_e64 v29, 0, v36, s4
	s_delay_alu instid0(VALU_DEP_1) | instskip(SKIP_2) | instid1(VALU_DEP_1)
	v_add_nc_u32_e32 v40, v29, v83
	ds_load_b128 v[29:32], v31 offset:4096
	v_cndmask_b32_e64 v39, 0, v40, s3
	v_add_nc_u32_e32 v64, v39, v81
	s_delay_alu instid0(VALU_DEP_1) | instskip(NEXT) | instid1(VALU_DEP_1)
	v_cndmask_b32_e64 v51, 0, v64, s1
	v_add_nc_u32_e32 v60, v51, v66
	s_waitcnt lgkmcnt(0)
	v_cmp_eq_u32_e32 vcc_lo, 0, v29
	s_delay_alu instid0(VALU_DEP_2) | instskip(SKIP_1) | instid1(VALU_DEP_2)
	v_cndmask_b32_e64 v52, 0, v60, s0
	v_dual_cndmask_b32 v32, 0, v32 :: v_dual_add_nc_u32 v61, v55, v93
	v_add_nc_u32_e32 v52, v52, v65
	s_delay_alu instid0(VALU_DEP_2) | instskip(NEXT) | instid1(VALU_DEP_3)
	v_add_nc_u32_e32 v94, v32, v30
	v_add_nc_u32_e32 v57, v61, v80
	s_delay_alu instid0(VALU_DEP_1) | instskip(NEXT) | instid1(VALU_DEP_1)
	v_add_nc_u32_e32 v53, v57, v79
	v_add_nc_u32_e32 v47, v53, v78
	s_delay_alu instid0(VALU_DEP_1) | instskip(NEXT) | instid1(VALU_DEP_1)
	;; [unrolled: 3-line block ×6, first 2 shown]
	v_add_nc_u32_e32 v59, v63, v68
	v_add_nc_u32_e32 v51, v59, v67
	s_branch .LBB803_116
.LBB803_104:
                                        ; implicit-def: $vgpr29
                                        ; implicit-def: $vgpr94
                                        ; implicit-def: $vgpr55_vgpr56
                                        ; implicit-def: $vgpr61_vgpr62
                                        ; implicit-def: $vgpr57_vgpr58
                                        ; implicit-def: $vgpr53_vgpr54
                                        ; implicit-def: $vgpr47_vgpr48
                                        ; implicit-def: $vgpr43_vgpr44
                                        ; implicit-def: $vgpr41_vgpr42
                                        ; implicit-def: $vgpr45_vgpr46
                                        ; implicit-def: $vgpr49_vgpr50
                                        ; implicit-def: $vgpr33_vgpr34
                                        ; implicit-def: $vgpr35_vgpr36
                                        ; implicit-def: $vgpr39_vgpr40
                                        ; implicit-def: $vgpr63_vgpr64
                                        ; implicit-def: $vgpr59_vgpr60
                                        ; implicit-def: $vgpr51_vgpr52
	s_cbranch_execz .LBB803_116
; %bb.105:
	s_and_b32 s0, s16, exec_lo
	v_mov_b32_e32 v51, v92
	s_cselect_b32 s1, 0, s35
	s_cselect_b32 s0, 0, s34
	s_delay_alu instid0(SALU_CYCLE_1)
	s_cmp_eq_u64 s[0:1], 0
	s_cbranch_scc1 .LBB803_107
; %bb.106:
	v_mov_b32_e32 v29, 0
	global_load_b32 v51, v29, s[0:1]
.LBB803_107:
	v_cmp_eq_u32_e64 s7, 0, v80
	v_cmp_eq_u32_e64 s8, 0, v79
	;; [unrolled: 1-line block ×5, first 2 shown]
	v_cndmask_b32_e64 v29, 0, v92, s7
	v_cmp_eq_u32_e64 s12, 0, v75
	v_cmp_eq_u32_e64 s6, 0, v74
	;; [unrolled: 1-line block ×4, first 2 shown]
	v_add_nc_u32_e32 v29, v29, v91
	v_cmp_eq_u32_e64 s3, 0, v70
	v_cmp_eq_u32_e64 s1, 0, v69
	v_cmp_eq_u32_e32 vcc_lo, 0, v68
	v_add3_u32 v30, v99, v76, v75
	v_cndmask_b32_e64 v29, 0, v29, s8
	v_cmp_eq_u32_e64 s0, 0, v67
	v_cmp_eq_u32_e64 s13, 0, v72
	v_and_b32_e32 v32, 15, v96
	v_add3_u32 v30, v30, v74, v73
	v_add_nc_u32_e32 v29, v29, v90
	s_delay_alu instid0(VALU_DEP_3) | instskip(NEXT) | instid1(VALU_DEP_3)
	v_cmp_lt_u32_e64 s14, 1, v32
	v_add3_u32 v30, v30, v71, v70
	s_delay_alu instid0(VALU_DEP_3) | instskip(NEXT) | instid1(VALU_DEP_2)
	v_cndmask_b32_e64 v29, 0, v29, s9
	v_add3_u32 v30, v30, v69, v68
	s_delay_alu instid0(VALU_DEP_2) | instskip(NEXT) | instid1(VALU_DEP_2)
	v_add_nc_u32_e32 v29, v29, v89
	v_add3_u32 v30, v30, v67, v72
	s_delay_alu instid0(VALU_DEP_2) | instskip(NEXT) | instid1(VALU_DEP_2)
	v_cndmask_b32_e64 v29, 0, v29, s10
	v_mov_b32_dpp v33, v30 row_shr:1 row_mask:0xf bank_mask:0xf
	s_delay_alu instid0(VALU_DEP_2) | instskip(NEXT) | instid1(VALU_DEP_1)
	v_add_nc_u32_e32 v29, v29, v87
	v_cndmask_b32_e64 v29, 0, v29, s11
	s_delay_alu instid0(VALU_DEP_1) | instskip(NEXT) | instid1(VALU_DEP_1)
	v_add_nc_u32_e32 v29, v29, v86
	v_cndmask_b32_e64 v29, 0, v29, s12
	s_delay_alu instid0(VALU_DEP_1) | instskip(NEXT) | instid1(VALU_DEP_1)
	;; [unrolled: 3-line block ×7, first 2 shown]
	v_add_nc_u32_e32 v29, v29, v81
	v_cndmask_b32_e32 v29, 0, v29, vcc_lo
	s_delay_alu instid0(VALU_DEP_1) | instskip(NEXT) | instid1(VALU_DEP_1)
	v_add_nc_u32_e32 v29, v29, v66
	v_cndmask_b32_e64 v29, 0, v29, s0
	s_delay_alu instid0(VALU_DEP_1) | instskip(NEXT) | instid1(VALU_DEP_1)
	v_add_nc_u32_e32 v29, v29, v65
	v_cndmask_b32_e64 v29, 0, v29, s13
	v_cmp_eq_u32_e64 s13, 0, v30
	s_delay_alu instid0(VALU_DEP_2) | instskip(NEXT) | instid1(VALU_DEP_1)
	v_add_nc_u32_e32 v29, v29, v95
	v_mov_b32_dpp v31, v29 row_shr:1 row_mask:0xf bank_mask:0xf
	s_delay_alu instid0(VALU_DEP_1) | instskip(SKIP_1) | instid1(VALU_DEP_1)
	v_cndmask_b32_e64 v31, 0, v31, s13
	v_cmp_eq_u32_e64 s13, 0, v32
	v_cndmask_b32_e64 v33, v33, 0, s13
	s_delay_alu instid0(VALU_DEP_3) | instskip(NEXT) | instid1(VALU_DEP_2)
	v_cndmask_b32_e64 v31, v31, 0, s13
	v_add_nc_u32_e32 v30, v33, v30
	s_delay_alu instid0(VALU_DEP_2) | instskip(NEXT) | instid1(VALU_DEP_2)
	v_add_nc_u32_e32 v29, v31, v29
	v_mov_b32_dpp v31, v30 row_shr:2 row_mask:0xf bank_mask:0xf
	v_cmp_eq_u32_e64 s13, 0, v30
	s_delay_alu instid0(VALU_DEP_3) | instskip(NEXT) | instid1(VALU_DEP_3)
	v_mov_b32_dpp v33, v29 row_shr:2 row_mask:0xf bank_mask:0xf
	v_cndmask_b32_e64 v31, 0, v31, s14
	s_delay_alu instid0(VALU_DEP_3) | instskip(SKIP_1) | instid1(VALU_DEP_3)
	s_and_b32 s13, s14, s13
	v_cmp_lt_u32_e64 s14, 3, v32
	v_cndmask_b32_e64 v33, 0, v33, s13
	s_delay_alu instid0(VALU_DEP_3) | instskip(NEXT) | instid1(VALU_DEP_2)
	v_add_nc_u32_e32 v30, v30, v31
	v_add_nc_u32_e32 v29, v33, v29
	s_delay_alu instid0(VALU_DEP_2) | instskip(SKIP_1) | instid1(VALU_DEP_3)
	v_mov_b32_dpp v31, v30 row_shr:4 row_mask:0xf bank_mask:0xf
	v_cmp_eq_u32_e64 s13, 0, v30
	v_mov_b32_dpp v33, v29 row_shr:4 row_mask:0xf bank_mask:0xf
	s_delay_alu instid0(VALU_DEP_3) | instskip(NEXT) | instid1(VALU_DEP_3)
	v_cndmask_b32_e64 v31, 0, v31, s14
	s_and_b32 s13, s14, s13
	v_cmp_lt_u32_e64 s14, 7, v32
	s_delay_alu instid0(VALU_DEP_3) | instskip(NEXT) | instid1(VALU_DEP_3)
	v_cndmask_b32_e64 v33, 0, v33, s13
	v_add_nc_u32_e32 v30, v31, v30
	s_delay_alu instid0(VALU_DEP_2) | instskip(SKIP_1) | instid1(VALU_DEP_3)
	v_add_nc_u32_e32 v29, v29, v33
	v_bfe_i32 v33, v96, 4, 1
	v_cmp_eq_u32_e64 s13, 0, v30
	v_mov_b32_dpp v31, v30 row_shr:8 row_mask:0xf bank_mask:0xf
	s_delay_alu instid0(VALU_DEP_4) | instskip(NEXT) | instid1(VALU_DEP_3)
	v_mov_b32_dpp v32, v29 row_shr:8 row_mask:0xf bank_mask:0xf
	s_and_b32 s13, s14, s13
	s_delay_alu instid0(VALU_DEP_2) | instskip(SKIP_1) | instid1(VALU_DEP_2)
	v_cndmask_b32_e64 v31, 0, v31, s14
	s_mov_b32 s14, exec_lo
	v_cndmask_b32_e64 v32, 0, v32, s13
	s_delay_alu instid0(VALU_DEP_1) | instskip(NEXT) | instid1(VALU_DEP_3)
	v_add_nc_u32_e32 v32, v32, v29
	v_add_nc_u32_e32 v29, v31, v30
	ds_swizzle_b32 v30, v32 offset:swizzle(BROADCAST,32,15)
	ds_swizzle_b32 v31, v29 offset:swizzle(BROADCAST,32,15)
	v_cmp_eq_u32_e64 s13, 0, v29
	s_waitcnt lgkmcnt(1)
	s_delay_alu instid0(VALU_DEP_1) | instskip(SKIP_2) | instid1(VALU_DEP_2)
	v_cndmask_b32_e64 v30, 0, v30, s13
	s_waitcnt lgkmcnt(0)
	v_and_b32_e32 v31, v33, v31
	v_and_b32_e32 v30, v33, v30
	s_delay_alu instid0(VALU_DEP_2) | instskip(NEXT) | instid1(VALU_DEP_2)
	v_add_nc_u32_e32 v29, v31, v29
	v_add_nc_u32_e32 v30, v30, v32
	v_lshlrev_b32_e32 v32, 3, v97
	v_cmpx_eq_u32_e64 v98, v0
	s_cbranch_execz .LBB803_109
; %bb.108:
	ds_store_b64 v32, v[29:30] offset:4112
.LBB803_109:
	s_or_b32 exec_lo, exec_lo, s14
	s_delay_alu instid0(SALU_CYCLE_1)
	s_mov_b32 s15, exec_lo
	s_waitcnt vmcnt(0) lgkmcnt(0)
	s_barrier
	buffer_gl0_inv
	v_cmpx_gt_u32_e32 8, v0
	s_cbranch_execz .LBB803_111
; %bb.110:
	v_lshlrev_b32_e32 v31, 3, v0
	v_and_b32_e32 v36, 7, v96
	ds_load_b64 v[33:34], v31 offset:4112
	v_cmp_lt_u32_e64 s14, 1, v36
	s_waitcnt lgkmcnt(0)
	v_mov_b32_dpp v35, v34 row_shr:1 row_mask:0xf bank_mask:0xf
	v_cmp_eq_u32_e64 s13, 0, v33
	v_mov_b32_dpp v39, v33 row_shr:1 row_mask:0xf bank_mask:0xf
	s_delay_alu instid0(VALU_DEP_2) | instskip(SKIP_1) | instid1(VALU_DEP_1)
	v_cndmask_b32_e64 v35, 0, v35, s13
	v_cmp_eq_u32_e64 s13, 0, v36
	v_cndmask_b32_e64 v39, v39, 0, s13
	s_delay_alu instid0(VALU_DEP_3) | instskip(NEXT) | instid1(VALU_DEP_2)
	v_cndmask_b32_e64 v35, v35, 0, s13
	v_add_nc_u32_e32 v33, v39, v33
	s_delay_alu instid0(VALU_DEP_2) | instskip(NEXT) | instid1(VALU_DEP_2)
	v_add_nc_u32_e32 v34, v35, v34
	v_mov_b32_dpp v35, v33 row_shr:2 row_mask:0xf bank_mask:0xf
	v_cmp_eq_u32_e64 s13, 0, v33
	s_delay_alu instid0(VALU_DEP_3) | instskip(NEXT) | instid1(VALU_DEP_3)
	v_mov_b32_dpp v39, v34 row_shr:2 row_mask:0xf bank_mask:0xf
	v_cndmask_b32_e64 v35, 0, v35, s14
	s_delay_alu instid0(VALU_DEP_3) | instskip(SKIP_1) | instid1(VALU_DEP_3)
	s_and_b32 s13, s14, s13
	v_cmp_lt_u32_e64 s14, 3, v36
	v_cndmask_b32_e64 v39, 0, v39, s13
	s_delay_alu instid0(VALU_DEP_3) | instskip(NEXT) | instid1(VALU_DEP_2)
	v_add_nc_u32_e32 v33, v35, v33
	v_add_nc_u32_e32 v34, v39, v34
	s_delay_alu instid0(VALU_DEP_2) | instskip(SKIP_1) | instid1(VALU_DEP_3)
	v_cmp_eq_u32_e64 s13, 0, v33
	v_mov_b32_dpp v35, v33 row_shr:4 row_mask:0xf bank_mask:0xf
	v_mov_b32_dpp v36, v34 row_shr:4 row_mask:0xf bank_mask:0xf
	s_delay_alu instid0(VALU_DEP_3) | instskip(NEXT) | instid1(VALU_DEP_2)
	s_and_b32 s13, s14, s13
	v_cndmask_b32_e64 v35, 0, v35, s14
	s_delay_alu instid0(VALU_DEP_2) | instskip(NEXT) | instid1(VALU_DEP_2)
	v_cndmask_b32_e64 v36, 0, v36, s13
	v_add_nc_u32_e32 v33, v35, v33
	s_delay_alu instid0(VALU_DEP_2)
	v_add_nc_u32_e32 v34, v36, v34
	ds_store_b64 v31, v[33:34] offset:4112
.LBB803_111:
	s_or_b32 exec_lo, exec_lo, s15
	v_mov_b32_e32 v35, 0
	v_mov_b32_e32 v31, 0
	;; [unrolled: 1-line block ×3, first 2 shown]
	s_mov_b32 s14, exec_lo
	s_waitcnt lgkmcnt(0)
	s_barrier
	buffer_gl0_inv
	v_cmpx_lt_u32_e32 31, v0
	s_cbranch_execz .LBB803_113
; %bb.112:
	ds_load_b64 v[31:32], v32 offset:4104
	s_waitcnt lgkmcnt(0)
	v_cmp_eq_u32_e64 s13, 0, v31
	s_delay_alu instid0(VALU_DEP_1) | instskip(NEXT) | instid1(VALU_DEP_1)
	v_cndmask_b32_e64 v33, 0, v51, s13
	v_add_nc_u32_e32 v33, v33, v32
.LBB803_113:
	s_or_b32 exec_lo, exec_lo, s14
	v_add_nc_u32_e32 v32, -1, v96
	s_delay_alu instid0(VALU_DEP_1) | instskip(NEXT) | instid1(VALU_DEP_1)
	v_cmp_gt_i32_e64 s13, 0, v32
	v_cndmask_b32_e64 v32, v32, v96, s13
	v_cmp_eq_u32_e64 s13, 0, v29
	v_add_nc_u32_e32 v29, v31, v29
	s_delay_alu instid0(VALU_DEP_3) | instskip(NEXT) | instid1(VALU_DEP_3)
	v_lshlrev_b32_e32 v32, 2, v32
	v_cndmask_b32_e64 v34, 0, v33, s13
	v_cmp_eq_u32_e64 s13, 0, v96
	ds_bpermute_b32 v29, v32, v29
	v_add_nc_u32_e32 v30, v34, v30
	ds_bpermute_b32 v30, v32, v30
	s_waitcnt lgkmcnt(1)
	v_cndmask_b32_e64 v29, v29, v31, s13
	s_delay_alu instid0(VALU_DEP_1) | instskip(SKIP_3) | instid1(VALU_DEP_3)
	v_cndmask_b32_e64 v55, v29, 0, s2
	s_waitcnt lgkmcnt(0)
	v_cndmask_b32_e64 v30, v30, v33, s13
	v_cmp_eq_u32_e64 s13, 0, v93
	v_add_nc_u32_e32 v61, v55, v93
	s_delay_alu instid0(VALU_DEP_3) | instskip(NEXT) | instid1(VALU_DEP_2)
	v_cndmask_b32_e64 v56, v30, v51, s2
	v_add_nc_u32_e32 v57, v61, v80
	s_delay_alu instid0(VALU_DEP_2) | instskip(NEXT) | instid1(VALU_DEP_2)
	v_cndmask_b32_e64 v30, 0, v56, s13
	v_add_nc_u32_e32 v53, v57, v79
	s_delay_alu instid0(VALU_DEP_2) | instskip(NEXT) | instid1(VALU_DEP_2)
	v_add_nc_u32_e32 v62, v30, v92
	v_add_nc_u32_e32 v47, v53, v78
	s_delay_alu instid0(VALU_DEP_2) | instskip(NEXT) | instid1(VALU_DEP_2)
	v_cndmask_b32_e64 v30, 0, v62, s7
	v_add_nc_u32_e32 v43, v47, v77
	s_delay_alu instid0(VALU_DEP_2) | instskip(NEXT) | instid1(VALU_DEP_2)
	v_add_nc_u32_e32 v58, v30, v91
	;; [unrolled: 6-line block ×3, first 2 shown]
	v_add_nc_u32_e32 v49, v45, v74
	s_delay_alu instid0(VALU_DEP_2) | instskip(NEXT) | instid1(VALU_DEP_2)
	v_cndmask_b32_e64 v30, 0, v54, s9
	v_add_nc_u32_e32 v33, v49, v73
	s_delay_alu instid0(VALU_DEP_2) | instskip(NEXT) | instid1(VALU_DEP_1)
	v_add_nc_u32_e32 v48, v30, v89
	v_cndmask_b32_e64 v30, 0, v48, s10
	s_delay_alu instid0(VALU_DEP_1) | instskip(NEXT) | instid1(VALU_DEP_1)
	v_add_nc_u32_e32 v44, v30, v87
	v_cndmask_b32_e64 v30, 0, v44, s11
	s_delay_alu instid0(VALU_DEP_1) | instskip(NEXT) | instid1(VALU_DEP_1)
	;; [unrolled: 3-line block ×6, first 2 shown]
	v_add_nc_u32_e32 v36, v29, v85
	v_cndmask_b32_e64 v29, 0, v36, s3
	s_delay_alu instid0(VALU_DEP_1) | instskip(SKIP_3) | instid1(VALU_DEP_2)
	v_add_nc_u32_e32 v40, v29, v83
	ds_load_b64 v[29:30], v35 offset:4168
	v_add_nc_u32_e32 v35, v33, v71
	v_cndmask_b32_e64 v31, 0, v40, s1
	v_add_nc_u32_e32 v39, v35, v70
	s_delay_alu instid0(VALU_DEP_2) | instskip(NEXT) | instid1(VALU_DEP_2)
	v_add_nc_u32_e32 v64, v31, v81
	v_add_nc_u32_e32 v63, v39, v69
	s_delay_alu instid0(VALU_DEP_2) | instskip(NEXT) | instid1(VALU_DEP_2)
	v_cndmask_b32_e32 v31, 0, v64, vcc_lo
	v_add_nc_u32_e32 v59, v63, v68
	s_delay_alu instid0(VALU_DEP_2) | instskip(SKIP_2) | instid1(VALU_DEP_2)
	v_add_nc_u32_e32 v60, v31, v66
	s_waitcnt lgkmcnt(0)
	v_cmp_eq_u32_e32 vcc_lo, 0, v29
	v_cndmask_b32_e64 v31, 0, v60, s0
	v_cndmask_b32_e32 v32, 0, v51, vcc_lo
	v_add_nc_u32_e32 v51, v59, v67
	s_delay_alu instid0(VALU_DEP_3) | instskip(NEXT) | instid1(VALU_DEP_3)
	v_add_nc_u32_e32 v52, v31, v65
	v_add_nc_u32_e32 v94, v32, v30
	s_and_saveexec_b32 s0, s2
	s_cbranch_execz .LBB803_115
; %bb.114:
	s_delay_alu instid0(VALU_DEP_1)
	v_and_b32_e32 v30, 0xff000000, v94
	v_dual_mov_b32 v32, 0 :: v_dual_and_b32 v31, 0xff0000, v94
	s_add_u32 s4, s20, 0x200
	v_and_b32_e32 v65, 0xff00, v94
	s_addc_u32 s5, s21, 0
	v_and_b32_e32 v66, 0xff, v94
	v_or_b32_e32 v30, v31, v30
	v_mov_b32_e32 v31, 2
	s_delay_alu instid0(VALU_DEP_2)
	v_or3_b32 v30, v30, v65, v66
	v_dual_mov_b32 v66, s5 :: v_dual_mov_b32 v65, s4
	;;#ASMSTART
	global_store_dwordx4 v[65:66], v[29:32] off	
s_waitcnt vmcnt(0)
	;;#ASMEND
.LBB803_115:
	s_or_b32 exec_lo, exec_lo, s0
	v_mov_b32_e32 v31, 0
.LBB803_116:
	v_mov_b32_e32 v65, 0
	s_and_b32 s0, s16, exec_lo
	v_mov_b32_e32 v66, 0
	s_cselect_b32 s1, 0, s39
	s_cselect_b32 s0, 0, s38
	s_delay_alu instid0(SALU_CYCLE_1)
	s_cmp_eq_u64 s[0:1], 0
	s_barrier
	buffer_gl0_inv
	s_cbranch_scc1 .LBB803_118
; %bb.117:
	v_mov_b32_e32 v30, 0
	global_load_b64 v[65:66], v30, s[0:1]
.LBB803_118:
	v_cmp_eq_u32_e32 vcc_lo, 0, v93
	v_cmp_ne_u32_e64 s15, 0, v93
	v_cmp_ne_u32_e64 s14, 0, v80
	;; [unrolled: 1-line block ×4, first 2 shown]
	v_cndmask_b32_e64 v30, 1, 2, vcc_lo
	v_cmp_eq_u32_e32 vcc_lo, 0, v80
	v_cmp_ne_u32_e64 s11, 0, v77
	v_cmp_ne_u32_e64 s10, 0, v76
	;; [unrolled: 1-line block ×4, first 2 shown]
	v_cndmask_b32_e64 v32, 1, 2, vcc_lo
	v_cmp_eq_u32_e32 vcc_lo, 0, v79
	v_cmp_ne_u32_e64 s9, 0, v73
	v_cmp_ne_u32_e64 s7, 0, v71
	;; [unrolled: 1-line block ×3, first 2 shown]
	v_and_b32_e32 v30, v32, v30
	v_cndmask_b32_e64 v81, 1, 2, vcc_lo
	v_cmp_eq_u32_e32 vcc_lo, 0, v78
	v_cmp_ne_u32_e64 s4, 0, v69
	v_cmp_ne_u32_e64 s3, 0, v68
	;; [unrolled: 1-line block ×3, first 2 shown]
	v_and_b32_e32 v30, v30, v81
	v_cndmask_b32_e64 v32, 1, 2, vcc_lo
	v_cmp_eq_u32_e32 vcc_lo, 0, v77
	v_cmp_ne_u32_e64 s0, 0, v72
	s_delay_alu instid0(VALU_DEP_3) | instskip(SKIP_2) | instid1(VALU_DEP_2)
	v_and_b32_e32 v30, v30, v32
	v_cndmask_b32_e64 v81, 1, 2, vcc_lo
	v_cmp_eq_u32_e32 vcc_lo, 0, v76
	v_and_b32_e32 v30, v30, v81
	v_cndmask_b32_e64 v32, 1, 2, vcc_lo
	v_cmp_eq_u32_e32 vcc_lo, 0, v75
	s_waitcnt vmcnt(0)
	v_lshlrev_b64 v[81:82], 3, v[65:66]
	s_delay_alu instid0(VALU_DEP_3) | instskip(SKIP_2) | instid1(VALU_DEP_2)
	v_and_b32_e32 v30, v30, v32
	v_cndmask_b32_e64 v83, 1, 2, vcc_lo
	v_cmp_eq_u32_e32 vcc_lo, 0, v74
	v_and_b32_e32 v30, v30, v83
	v_cndmask_b32_e64 v84, 1, 2, vcc_lo
	v_cmp_eq_u32_e32 vcc_lo, 0, v73
	s_delay_alu instid0(VALU_DEP_2) | instskip(SKIP_2) | instid1(VALU_DEP_2)
	v_and_b32_e32 v30, v30, v84
	v_cndmask_b32_e64 v83, 1, 2, vcc_lo
	v_cmp_eq_u32_e32 vcc_lo, 0, v71
	v_and_b32_e32 v30, v30, v83
	v_cndmask_b32_e64 v84, 1, 2, vcc_lo
	v_cmp_eq_u32_e32 vcc_lo, 0, v70
	s_delay_alu instid0(VALU_DEP_2) | instskip(SKIP_2) | instid1(VALU_DEP_2)
	v_and_b32_e32 v30, v30, v84
	v_cndmask_b32_e64 v83, 1, 2, vcc_lo
	v_cmp_eq_u32_e32 vcc_lo, 0, v69
	v_and_b32_e32 v30, v30, v83
	v_cndmask_b32_e64 v85, 1, 2, vcc_lo
	v_cmp_eq_u32_e32 vcc_lo, 0, v68
	s_delay_alu instid0(VALU_DEP_2) | instskip(SKIP_3) | instid1(VALU_DEP_3)
	v_and_b32_e32 v30, v30, v85
	v_cndmask_b32_e64 v86, 1, 2, vcc_lo
	v_mov_b32_e32 v32, 0
	v_cmp_eq_u32_e32 vcc_lo, 0, v67
	v_and_b32_e32 v85, v30, v86
	s_delay_alu instid0(VALU_DEP_3) | instskip(SKIP_4) | instid1(VALU_DEP_2)
	v_lshlrev_b64 v[83:84], 3, v[31:32]
	v_cndmask_b32_e64 v87, 1, 2, vcc_lo
	v_add_co_u32 v81, vcc_lo, s18, v81
	v_add_co_ci_u32_e32 v82, vcc_lo, s19, v82, vcc_lo
	s_mov_b32 s18, -1
	v_add_co_u32 v30, vcc_lo, v81, v83
	s_delay_alu instid0(VALU_DEP_2) | instskip(SKIP_4) | instid1(VALU_DEP_2)
	v_add_co_ci_u32_e32 v81, vcc_lo, v82, v84, vcc_lo
	v_cmp_eq_u32_e32 vcc_lo, 0, v72
	v_and_b32_e32 v82, v85, v87
	v_cndmask_b32_e64 v83, 1, 2, vcc_lo
	v_cmp_gt_u32_e32 vcc_lo, 0x100, v29
	v_and_b32_e32 v82, v82, v83
	s_delay_alu instid0(VALU_DEP_1)
	v_cmp_gt_i16_e64 s16, 2, v82
	s_cbranch_vccz .LBB803_167
; %bb.119:
	s_delay_alu instid0(VALU_DEP_1)
	s_and_saveexec_b32 s18, s16
	s_cbranch_execz .LBB803_166
; %bb.120:
	s_mov_b32 s19, 0
	s_mov_b32 s16, exec_lo
	v_cmpx_ne_u16_e32 1, v82
	s_xor_b32 s16, exec_lo, s16
	s_cbranch_execz .LBB803_144
; %bb.121:
	s_and_saveexec_b32 s19, s15
	s_cbranch_execz .LBB803_149
; %bb.122:
	v_sub_nc_u32_e32 v83, v55, v31
	v_mov_b32_e32 v84, 0
	s_delay_alu instid0(VALU_DEP_1) | instskip(NEXT) | instid1(VALU_DEP_1)
	v_lshlrev_b64 v[83:84], 3, v[83:84]
	v_add_co_u32 v83, vcc_lo, v30, v83
	s_delay_alu instid0(VALU_DEP_2)
	v_add_co_ci_u32_e32 v84, vcc_lo, v81, v84, vcc_lo
	global_store_b64 v[83:84], v[25:26], off
	s_or_b32 exec_lo, exec_lo, s19
	s_and_saveexec_b32 s19, s14
	s_cbranch_execnz .LBB803_150
.LBB803_123:
	s_or_b32 exec_lo, exec_lo, s19
	s_and_saveexec_b32 s19, s13
	s_cbranch_execz .LBB803_151
.LBB803_124:
	v_sub_nc_u32_e32 v83, v57, v31
	v_mov_b32_e32 v84, 0
	s_delay_alu instid0(VALU_DEP_1) | instskip(NEXT) | instid1(VALU_DEP_1)
	v_lshlrev_b64 v[83:84], 3, v[83:84]
	v_add_co_u32 v83, vcc_lo, v30, v83
	s_delay_alu instid0(VALU_DEP_2)
	v_add_co_ci_u32_e32 v84, vcc_lo, v81, v84, vcc_lo
	global_store_b64 v[83:84], v[21:22], off
	s_or_b32 exec_lo, exec_lo, s19
	s_and_saveexec_b32 s19, s12
	s_cbranch_execnz .LBB803_152
.LBB803_125:
	s_or_b32 exec_lo, exec_lo, s19
	s_and_saveexec_b32 s19, s11
	s_cbranch_execz .LBB803_153
.LBB803_126:
	v_sub_nc_u32_e32 v83, v47, v31
	v_mov_b32_e32 v84, 0
	s_delay_alu instid0(VALU_DEP_1) | instskip(NEXT) | instid1(VALU_DEP_1)
	v_lshlrev_b64 v[83:84], 3, v[83:84]
	v_add_co_u32 v83, vcc_lo, v30, v83
	s_delay_alu instid0(VALU_DEP_2)
	v_add_co_ci_u32_e32 v84, vcc_lo, v81, v84, vcc_lo
	global_store_b64 v[83:84], v[17:18], off
	s_or_b32 exec_lo, exec_lo, s19
	s_and_saveexec_b32 s19, s10
	s_cbranch_execnz .LBB803_154
.LBB803_127:
	s_or_b32 exec_lo, exec_lo, s19
	s_and_saveexec_b32 s19, s8
	s_cbranch_execz .LBB803_155
.LBB803_128:
	v_sub_nc_u32_e32 v83, v41, v31
	v_mov_b32_e32 v84, 0
	s_delay_alu instid0(VALU_DEP_1) | instskip(NEXT) | instid1(VALU_DEP_1)
	v_lshlrev_b64 v[83:84], 3, v[83:84]
	v_add_co_u32 v83, vcc_lo, v30, v83
	s_delay_alu instid0(VALU_DEP_2)
	v_add_co_ci_u32_e32 v84, vcc_lo, v81, v84, vcc_lo
	global_store_b64 v[83:84], v[13:14], off
	s_or_b32 exec_lo, exec_lo, s19
	s_and_saveexec_b32 s19, s6
	s_cbranch_execnz .LBB803_156
.LBB803_129:
	s_or_b32 exec_lo, exec_lo, s19
	s_and_saveexec_b32 s19, s9
	s_cbranch_execz .LBB803_157
.LBB803_130:
	v_sub_nc_u32_e32 v83, v49, v31
	v_mov_b32_e32 v84, 0
	s_delay_alu instid0(VALU_DEP_1) | instskip(NEXT) | instid1(VALU_DEP_1)
	v_lshlrev_b64 v[83:84], 3, v[83:84]
	v_add_co_u32 v83, vcc_lo, v30, v83
	s_delay_alu instid0(VALU_DEP_2)
	v_add_co_ci_u32_e32 v84, vcc_lo, v81, v84, vcc_lo
	global_store_b64 v[83:84], v[9:10], off
	s_or_b32 exec_lo, exec_lo, s19
	s_and_saveexec_b32 s19, s7
	s_cbranch_execnz .LBB803_158
.LBB803_131:
	s_or_b32 exec_lo, exec_lo, s19
	s_and_saveexec_b32 s19, s5
	s_cbranch_execz .LBB803_159
.LBB803_132:
	v_sub_nc_u32_e32 v83, v35, v31
	v_mov_b32_e32 v84, 0
	s_delay_alu instid0(VALU_DEP_1) | instskip(NEXT) | instid1(VALU_DEP_1)
	v_lshlrev_b64 v[83:84], 3, v[83:84]
	v_add_co_u32 v83, vcc_lo, v30, v83
	s_delay_alu instid0(VALU_DEP_2)
	v_add_co_ci_u32_e32 v84, vcc_lo, v81, v84, vcc_lo
	global_store_b64 v[83:84], v[5:6], off
	s_or_b32 exec_lo, exec_lo, s19
	s_and_saveexec_b32 s19, s4
	s_cbranch_execnz .LBB803_160
.LBB803_133:
	s_or_b32 exec_lo, exec_lo, s19
	s_and_saveexec_b32 s19, s3
	s_cbranch_execz .LBB803_161
.LBB803_134:
	v_sub_nc_u32_e32 v83, v63, v31
	v_mov_b32_e32 v84, 0
	s_delay_alu instid0(VALU_DEP_1) | instskip(NEXT) | instid1(VALU_DEP_1)
	v_lshlrev_b64 v[83:84], 3, v[83:84]
	v_add_co_u32 v83, vcc_lo, v30, v83
	s_delay_alu instid0(VALU_DEP_2)
	v_add_co_ci_u32_e32 v84, vcc_lo, v81, v84, vcc_lo
	global_store_b64 v[83:84], v[1:2], off
	s_or_b32 exec_lo, exec_lo, s19
	s_and_saveexec_b32 s19, s1
	s_cbranch_execnz .LBB803_162
	s_branch .LBB803_163
.LBB803_135:
	s_mov_b32 s40, 0
                                        ; implicit-def: $sgpr0
                                        ; implicit-def: $vgpr72
                                        ; implicit-def: $vgpr67
                                        ; implicit-def: $vgpr68
                                        ; implicit-def: $vgpr69
                                        ; implicit-def: $vgpr70
                                        ; implicit-def: $vgpr71
                                        ; implicit-def: $vgpr73
                                        ; implicit-def: $vgpr74
                                        ; implicit-def: $vgpr75
                                        ; implicit-def: $vgpr76
                                        ; implicit-def: $vgpr77
                                        ; implicit-def: $vgpr78
                                        ; implicit-def: $vgpr79
                                        ; implicit-def: $vgpr80
	s_cbranch_execz .LBB803_74
; %bb.136:
	v_cmp_ne_u64_e32 vcc_lo, v[3:4], v[37:38]
	v_lshlrev_b32_e32 v34, 3, v0
                                        ; implicit-def: $sgpr0
	ds_store_b64 v34, v[37:38]
	v_cndmask_b32_e64 v72, 0, 1, vcc_lo
	v_cmp_ne_u64_e32 vcc_lo, v[1:2], v[3:4]
	s_waitcnt lgkmcnt(0)
	s_barrier
	buffer_gl0_inv
	v_cndmask_b32_e64 v67, 0, 1, vcc_lo
	v_cmp_ne_u64_e32 vcc_lo, v[7:8], v[1:2]
	v_cndmask_b32_e64 v68, 0, 1, vcc_lo
	v_cmp_ne_u64_e32 vcc_lo, v[5:6], v[7:8]
	;; [unrolled: 2-line block ×12, first 2 shown]
	v_cndmask_b32_e64 v80, 0, 1, vcc_lo
	s_and_saveexec_b32 s1, s3
	s_delay_alu instid0(SALU_CYCLE_1)
	s_xor_b32 s1, exec_lo, s1
	s_cbranch_execz .LBB803_138
; %bb.137:
	v_add_nc_u32_e32 v34, -8, v34
	s_or_b32 s40, s40, exec_lo
	ds_load_b64 v[58:59], v34
	s_waitcnt lgkmcnt(0)
	v_cmp_ne_u64_e32 vcc_lo, v[58:59], v[25:26]
	s_and_b32 s0, vcc_lo, exec_lo
.LBB803_138:
	s_or_b32 exec_lo, exec_lo, s1
	s_mov_b32 s1, 1
	s_branch .LBB803_76
.LBB803_139:
	s_mul_hi_u32 s0, s24, 0xfffff100
	s_mul_i32 s1, s25, 0xfffff100
	s_sub_i32 s0, s0, s24
	s_mul_i32 s4, s24, 0xfffff100
	s_add_i32 s0, s0, s1
	s_add_u32 s24, s4, s36
	s_addc_u32 s25, s0, s37
	v_cmp_ne_u64_e64 s14, v[3:4], v[37:38]
	v_cmp_ne_u64_e64 s15, v[1:2], v[3:4]
	;; [unrolled: 1-line block ×14, first 2 shown]
	s_and_b32 vcc_lo, exec_lo, s16
	s_cbranch_vccz .LBB803_146
; %bb.140:
	v_add_co_u32 v58, vcc_lo, -8, v32
	v_add_co_ci_u32_e32 v59, vcc_lo, -1, v30, vcc_lo
	v_mov_b32_e32 v30, 0
	v_lshlrev_b32_e32 v62, 3, v0
	v_mul_u32_u24_e32 v61, 15, v0
	flat_load_b64 v[59:60], v[58:59]
	s_mov_b32 s40, -1
	v_cmp_gt_u64_e32 vcc_lo, s[24:25], v[29:30]
	v_mov_b32_e32 v58, v30
	v_mov_b32_e32 v56, v30
	;; [unrolled: 1-line block ×5, first 2 shown]
	v_cmp_gt_u64_e64 s16, s[24:25], v[57:58]
	s_and_b32 s37, vcc_lo, s14
	v_cmp_gt_u64_e32 vcc_lo, s[24:25], v[55:56]
	v_mov_b32_e32 v48, v30
	v_mov_b32_e32 v46, v30
	v_cmp_gt_u64_e64 s14, s[24:25], v[53:54]
	s_and_b32 s41, s16, s15
	v_mov_b32_e32 v44, v30
	s_and_b32 s42, vcc_lo, s13
	v_cmp_gt_u64_e32 vcc_lo, s[24:25], v[51:52]
	v_cmp_gt_u64_e64 s13, s[24:25], v[49:50]
	v_cmp_gt_u64_e64 s15, s[24:25], v[47:48]
	v_cmp_gt_u64_e64 s16, s[24:25], v[45:46]
	v_mov_b32_e32 v42, v30
	v_mov_b32_e32 v40, v30
	;; [unrolled: 1-line block ×5, first 2 shown]
	s_and_b32 s14, s14, s12
	s_and_b32 s43, vcc_lo, s8
	s_and_b32 s44, s13, s9
	s_and_b32 s15, s15, s10
	;; [unrolled: 1-line block ×3, first 2 shown]
	v_cmp_gt_u64_e32 vcc_lo, s[24:25], v[43:44]
	v_cmp_gt_u64_e64 s8, s[24:25], v[41:42]
	v_cmp_gt_u64_e64 s9, s[24:25], v[39:40]
	;; [unrolled: 1-line block ×5, first 2 shown]
	s_mov_b32 s36, 0
	s_and_b32 s0, vcc_lo, s0
	s_and_b32 s8, s8, s1
	s_and_b32 s9, s9, s4
	;; [unrolled: 1-line block ×5, first 2 shown]
	ds_store_b64 v62, v[37:38]
	s_waitcnt vmcnt(0) lgkmcnt(0)
	s_barrier
	buffer_gl0_inv
	s_and_saveexec_b32 s6, s3
	s_cbranch_execz .LBB803_142
; %bb.141:
	v_add_nc_u32_e32 v32, -8, v62
	ds_load_b64 v[59:60], v32
.LBB803_142:
	s_or_b32 exec_lo, exec_lo, s6
	v_mov_b32_e32 v62, v30
	v_cndmask_b32_e64 v75, 0, 1, s0
	s_waitcnt lgkmcnt(0)
	v_cmp_ne_u64_e64 s0, v[59:60], v[25:26]
	v_cndmask_b32_e64 v72, 0, 1, s37
	v_cndmask_b32_e64 v67, 0, 1, s41
	v_cmp_gt_u64_e32 vcc_lo, s[24:25], v[61:62]
	v_cndmask_b32_e64 v68, 0, 1, s42
	v_cndmask_b32_e64 v69, 0, 1, s14
	;; [unrolled: 1-line block ×11, first 2 shown]
	s_and_b32 s0, vcc_lo, s0
	s_and_b32 vcc_lo, exec_lo, s36
	s_cbranch_vccnz .LBB803_147
.LBB803_143:
                                        ; implicit-def: $sgpr1
	v_mov_b32_e32 v93, s1
	s_and_saveexec_b32 s1, s40
	s_cbranch_execnz .LBB803_77
	s_branch .LBB803_78
.LBB803_144:
	s_and_not1_saveexec_b32 s16, s16
	s_cbranch_execz .LBB803_164
.LBB803_145:
	v_sub_nc_u32_e32 v83, v55, v31
	v_mov_b32_e32 v84, 0
	s_or_b32 s19, s19, exec_lo
	s_delay_alu instid0(VALU_DEP_1) | instskip(SKIP_1) | instid1(VALU_DEP_1)
	v_lshlrev_b64 v[85:86], 3, v[83:84]
	v_sub_nc_u32_e32 v83, v61, v31
	v_lshlrev_b64 v[87:88], 3, v[83:84]
	v_sub_nc_u32_e32 v83, v57, v31
	s_delay_alu instid0(VALU_DEP_4) | instskip(SKIP_1) | instid1(VALU_DEP_3)
	v_add_co_u32 v85, vcc_lo, v30, v85
	v_add_co_ci_u32_e32 v86, vcc_lo, v81, v86, vcc_lo
	v_lshlrev_b64 v[89:90], 3, v[83:84]
	v_sub_nc_u32_e32 v83, v53, v31
	v_add_co_u32 v87, vcc_lo, v30, v87
	v_add_co_ci_u32_e32 v88, vcc_lo, v81, v88, vcc_lo
	global_store_b64 v[85:86], v[25:26], off
	v_lshlrev_b64 v[85:86], 3, v[83:84]
	v_sub_nc_u32_e32 v83, v47, v31
	global_store_b64 v[87:88], v[27:28], off
	v_add_co_u32 v87, vcc_lo, v30, v89
	v_add_co_ci_u32_e32 v88, vcc_lo, v81, v90, vcc_lo
	v_lshlrev_b64 v[89:90], 3, v[83:84]
	v_sub_nc_u32_e32 v83, v43, v31
	v_add_co_u32 v85, vcc_lo, v30, v85
	v_add_co_ci_u32_e32 v86, vcc_lo, v81, v86, vcc_lo
	s_delay_alu instid0(VALU_DEP_3) | instskip(SKIP_3) | instid1(VALU_DEP_3)
	v_lshlrev_b64 v[91:92], 3, v[83:84]
	v_sub_nc_u32_e32 v83, v41, v31
	v_add_co_u32 v89, vcc_lo, v30, v89
	v_add_co_ci_u32_e32 v90, vcc_lo, v81, v90, vcc_lo
	v_lshlrev_b64 v[95:96], 3, v[83:84]
	v_sub_nc_u32_e32 v83, v45, v31
	v_add_co_u32 v91, vcc_lo, v30, v91
	v_add_co_ci_u32_e32 v92, vcc_lo, v81, v92, vcc_lo
	s_clause 0x3
	global_store_b64 v[87:88], v[21:22], off
	global_store_b64 v[85:86], v[23:24], off
	;; [unrolled: 1-line block ×4, first 2 shown]
	v_lshlrev_b64 v[85:86], 3, v[83:84]
	v_sub_nc_u32_e32 v83, v49, v31
	v_add_co_u32 v87, vcc_lo, v30, v95
	v_add_co_ci_u32_e32 v88, vcc_lo, v81, v96, vcc_lo
	s_delay_alu instid0(VALU_DEP_3) | instskip(SKIP_3) | instid1(VALU_DEP_3)
	v_lshlrev_b64 v[89:90], 3, v[83:84]
	v_sub_nc_u32_e32 v83, v33, v31
	v_add_co_u32 v85, vcc_lo, v30, v85
	v_add_co_ci_u32_e32 v86, vcc_lo, v81, v86, vcc_lo
	v_lshlrev_b64 v[91:92], 3, v[83:84]
	v_sub_nc_u32_e32 v83, v35, v31
	v_add_co_u32 v89, vcc_lo, v30, v89
	v_add_co_ci_u32_e32 v90, vcc_lo, v81, v90, vcc_lo
	s_delay_alu instid0(VALU_DEP_3)
	v_lshlrev_b64 v[95:96], 3, v[83:84]
	v_sub_nc_u32_e32 v83, v39, v31
	v_add_co_u32 v91, vcc_lo, v30, v91
	v_add_co_ci_u32_e32 v92, vcc_lo, v81, v92, vcc_lo
	s_clause 0x3
	global_store_b64 v[87:88], v[13:14], off
	global_store_b64 v[85:86], v[15:16], off
	;; [unrolled: 1-line block ×4, first 2 shown]
	v_lshlrev_b64 v[85:86], 3, v[83:84]
	v_sub_nc_u32_e32 v83, v63, v31
	v_add_co_u32 v87, vcc_lo, v30, v95
	v_add_co_ci_u32_e32 v88, vcc_lo, v81, v96, vcc_lo
	s_delay_alu instid0(VALU_DEP_3) | instskip(SKIP_3) | instid1(VALU_DEP_3)
	v_lshlrev_b64 v[89:90], 3, v[83:84]
	v_sub_nc_u32_e32 v83, v59, v31
	v_add_co_u32 v85, vcc_lo, v30, v85
	v_add_co_ci_u32_e32 v86, vcc_lo, v81, v86, vcc_lo
	v_lshlrev_b64 v[83:84], 3, v[83:84]
	v_add_co_u32 v89, vcc_lo, v30, v89
	v_add_co_ci_u32_e32 v90, vcc_lo, v81, v90, vcc_lo
	s_clause 0x2
	global_store_b64 v[87:88], v[5:6], off
	global_store_b64 v[85:86], v[7:8], off
	;; [unrolled: 1-line block ×3, first 2 shown]
	v_add_co_u32 v83, vcc_lo, v30, v83
	v_add_co_ci_u32_e32 v84, vcc_lo, v81, v84, vcc_lo
	global_store_b64 v[83:84], v[3:4], off
	s_or_b32 exec_lo, exec_lo, s16
	s_delay_alu instid0(SALU_CYCLE_1)
	s_and_b32 exec_lo, exec_lo, s19
	s_cbranch_execnz .LBB803_165
	s_branch .LBB803_166
.LBB803_146:
                                        ; implicit-def: $sgpr0
                                        ; implicit-def: $vgpr72
                                        ; implicit-def: $vgpr67
                                        ; implicit-def: $vgpr68
                                        ; implicit-def: $vgpr69
                                        ; implicit-def: $vgpr70
                                        ; implicit-def: $vgpr71
                                        ; implicit-def: $vgpr73
                                        ; implicit-def: $vgpr74
                                        ; implicit-def: $vgpr75
                                        ; implicit-def: $vgpr76
                                        ; implicit-def: $vgpr77
                                        ; implicit-def: $vgpr78
                                        ; implicit-def: $vgpr79
                                        ; implicit-def: $vgpr80
	s_cbranch_execz .LBB803_143
.LBB803_147:
	v_dual_mov_b32 v30, 0 :: v_dual_lshlrev_b32 v59, 3, v0
	v_cmp_ne_u64_e64 s0, v[1:2], v[3:4]
	v_cmp_ne_u64_e32 vcc_lo, v[3:4], v[37:38]
	v_cmp_ne_u64_e64 s4, v[7:8], v[1:2]
	s_delay_alu instid0(VALU_DEP_4)
	v_mov_b32_e32 v58, v30
	v_mov_b32_e32 v56, v30
	v_cmp_gt_u64_e64 s1, s[24:25], v[29:30]
	v_mov_b32_e32 v52, v30
	v_mov_b32_e32 v54, v30
	v_cmp_gt_u64_e64 s5, s[24:25], v[57:58]
	v_cmp_gt_u64_e64 s6, s[24:25], v[55:56]
	v_mov_b32_e32 v48, v30
	s_and_b32 s1, s1, vcc_lo
	v_cmp_gt_u64_e64 s7, s[24:25], v[53:54]
	v_cndmask_b32_e64 v72, 0, 1, s1
	s_and_b32 s0, s5, s0
	v_cmp_ne_u64_e64 s1, v[11:12], v[5:6]
	v_cndmask_b32_e64 v67, 0, 1, s0
	s_and_b32 s0, s6, s4
	v_cmp_ne_u64_e32 vcc_lo, v[5:6], v[7:8]
	v_cndmask_b32_e64 v68, 0, 1, s0
	v_cmp_gt_u64_e64 s0, s[24:25], v[51:52]
	v_mov_b32_e32 v50, v30
	v_mov_b32_e32 v44, v30
	;; [unrolled: 1-line block ×3, first 2 shown]
	s_and_b32 s4, s7, vcc_lo
	v_mov_b32_e32 v46, v30
	s_and_b32 s0, s0, s1
	v_cmp_ne_u64_e64 s1, v[15:16], v[9:10]
	v_cndmask_b32_e64 v70, 0, 1, s0
	v_cmp_gt_u64_e64 s0, s[24:25], v[47:48]
	v_cndmask_b32_e64 v69, 0, 1, s4
	v_cmp_gt_u64_e32 vcc_lo, s[24:25], v[49:50]
	v_cmp_ne_u64_e64 s4, v[9:10], v[11:12]
	v_cmp_gt_u64_e64 s5, s[24:25], v[41:42]
	v_cmp_ne_u64_e64 s6, v[17:18], v[19:20]
	s_and_b32 s0, s0, s1
	v_cmp_ne_u64_e64 s1, v[19:20], v[13:14]
	v_cndmask_b32_e64 v73, 0, 1, s0
	v_cmp_gt_u64_e64 s0, s[24:25], v[43:44]
	s_and_b32 s4, vcc_lo, s4
	v_cmp_gt_u64_e32 vcc_lo, s[24:25], v[45:46]
	v_cndmask_b32_e64 v71, 0, 1, s4
	v_cmp_ne_u64_e64 s4, v[13:14], v[15:16]
	v_mov_b32_e32 v40, v30
	s_and_b32 s0, s0, s1
	v_mov_b32_e32 v36, v30
	v_cndmask_b32_e64 v75, 0, 1, s0
	s_and_b32 s0, s5, s6
	v_mov_b32_e32 v34, v30
	s_and_b32 s4, vcc_lo, s4
	v_cndmask_b32_e64 v76, 0, 1, s0
	v_cmp_gt_u64_e32 vcc_lo, s[24:25], v[39:40]
	v_cmp_ne_u64_e64 s0, v[23:24], v[17:18]
	v_mov_b32_e32 v32, v30
	v_cndmask_b32_e64 v74, 0, 1, s4
	v_cmp_gt_u64_e64 s1, s[24:25], v[35:36]
	v_cmp_ne_u64_e64 s4, v[21:22], v[23:24]
	v_cmp_gt_u64_e64 s5, s[24:25], v[33:34]
	v_cmp_ne_u64_e64 s6, v[27:28], v[21:22]
	;; [unrolled: 2-line block ×3, first 2 shown]
	s_and_b32 s0, vcc_lo, s0
	ds_store_b64 v59, v[37:38]
	v_cndmask_b32_e64 v77, 0, 1, s0
	s_and_b32 s0, s1, s4
	s_mov_b32 s1, 1
	v_cndmask_b32_e64 v78, 0, 1, s0
	s_and_b32 s0, s5, s6
	s_waitcnt lgkmcnt(0)
	v_cndmask_b32_e64 v79, 0, 1, s0
	s_and_b32 s0, s7, s8
	s_barrier
	v_cndmask_b32_e64 v80, 0, 1, s0
	buffer_gl0_inv
                                        ; implicit-def: $sgpr0
	s_and_saveexec_b32 s4, s3
	s_cbranch_execz .LBB803_186
; %bb.148:
	v_add_nc_u32_e32 v29, -8, v59
	s_or_b32 s40, s40, exec_lo
	ds_load_b64 v[31:32], v29
	v_mul_u32_u24_e32 v29, 15, v0
	s_delay_alu instid0(VALU_DEP_1) | instskip(SKIP_2) | instid1(VALU_DEP_1)
	v_cmp_gt_u64_e32 vcc_lo, s[24:25], v[29:30]
	s_waitcnt lgkmcnt(0)
	v_cmp_ne_u64_e64 s0, v[31:32], v[25:26]
	s_and_b32 s0, vcc_lo, s0
	s_delay_alu instid0(SALU_CYCLE_1)
	s_and_b32 s0, s0, exec_lo
	s_or_b32 exec_lo, exec_lo, s4
	v_mov_b32_e32 v93, s1
	s_and_saveexec_b32 s1, s40
	s_cbranch_execz .LBB803_78
	s_branch .LBB803_77
.LBB803_149:
	s_or_b32 exec_lo, exec_lo, s19
	s_and_saveexec_b32 s19, s14
	s_cbranch_execz .LBB803_123
.LBB803_150:
	v_sub_nc_u32_e32 v83, v61, v31
	v_mov_b32_e32 v84, 0
	s_delay_alu instid0(VALU_DEP_1) | instskip(NEXT) | instid1(VALU_DEP_1)
	v_lshlrev_b64 v[83:84], 3, v[83:84]
	v_add_co_u32 v83, vcc_lo, v30, v83
	s_delay_alu instid0(VALU_DEP_2)
	v_add_co_ci_u32_e32 v84, vcc_lo, v81, v84, vcc_lo
	global_store_b64 v[83:84], v[27:28], off
	s_or_b32 exec_lo, exec_lo, s19
	s_and_saveexec_b32 s19, s13
	s_cbranch_execnz .LBB803_124
.LBB803_151:
	s_or_b32 exec_lo, exec_lo, s19
	s_and_saveexec_b32 s19, s12
	s_cbranch_execz .LBB803_125
.LBB803_152:
	v_sub_nc_u32_e32 v83, v53, v31
	v_mov_b32_e32 v84, 0
	s_delay_alu instid0(VALU_DEP_1) | instskip(NEXT) | instid1(VALU_DEP_1)
	v_lshlrev_b64 v[83:84], 3, v[83:84]
	v_add_co_u32 v83, vcc_lo, v30, v83
	s_delay_alu instid0(VALU_DEP_2)
	v_add_co_ci_u32_e32 v84, vcc_lo, v81, v84, vcc_lo
	global_store_b64 v[83:84], v[23:24], off
	s_or_b32 exec_lo, exec_lo, s19
	s_and_saveexec_b32 s19, s11
	s_cbranch_execnz .LBB803_126
.LBB803_153:
	s_or_b32 exec_lo, exec_lo, s19
	s_and_saveexec_b32 s19, s10
	s_cbranch_execz .LBB803_127
.LBB803_154:
	v_sub_nc_u32_e32 v83, v43, v31
	v_mov_b32_e32 v84, 0
	s_delay_alu instid0(VALU_DEP_1) | instskip(NEXT) | instid1(VALU_DEP_1)
	v_lshlrev_b64 v[83:84], 3, v[83:84]
	v_add_co_u32 v83, vcc_lo, v30, v83
	s_delay_alu instid0(VALU_DEP_2)
	v_add_co_ci_u32_e32 v84, vcc_lo, v81, v84, vcc_lo
	global_store_b64 v[83:84], v[19:20], off
	s_or_b32 exec_lo, exec_lo, s19
	s_and_saveexec_b32 s19, s8
	s_cbranch_execnz .LBB803_128
.LBB803_155:
	s_or_b32 exec_lo, exec_lo, s19
	s_and_saveexec_b32 s19, s6
	s_cbranch_execz .LBB803_129
.LBB803_156:
	v_sub_nc_u32_e32 v83, v45, v31
	v_mov_b32_e32 v84, 0
	s_delay_alu instid0(VALU_DEP_1) | instskip(NEXT) | instid1(VALU_DEP_1)
	v_lshlrev_b64 v[83:84], 3, v[83:84]
	v_add_co_u32 v83, vcc_lo, v30, v83
	s_delay_alu instid0(VALU_DEP_2)
	v_add_co_ci_u32_e32 v84, vcc_lo, v81, v84, vcc_lo
	global_store_b64 v[83:84], v[15:16], off
	s_or_b32 exec_lo, exec_lo, s19
	s_and_saveexec_b32 s19, s9
	s_cbranch_execnz .LBB803_130
.LBB803_157:
	s_or_b32 exec_lo, exec_lo, s19
	s_and_saveexec_b32 s19, s7
	s_cbranch_execz .LBB803_131
.LBB803_158:
	v_sub_nc_u32_e32 v83, v33, v31
	v_mov_b32_e32 v84, 0
	s_delay_alu instid0(VALU_DEP_1) | instskip(NEXT) | instid1(VALU_DEP_1)
	v_lshlrev_b64 v[83:84], 3, v[83:84]
	v_add_co_u32 v83, vcc_lo, v30, v83
	s_delay_alu instid0(VALU_DEP_2)
	v_add_co_ci_u32_e32 v84, vcc_lo, v81, v84, vcc_lo
	global_store_b64 v[83:84], v[11:12], off
	s_or_b32 exec_lo, exec_lo, s19
	s_and_saveexec_b32 s19, s5
	s_cbranch_execnz .LBB803_132
.LBB803_159:
	s_or_b32 exec_lo, exec_lo, s19
	s_and_saveexec_b32 s19, s4
	s_cbranch_execz .LBB803_133
.LBB803_160:
	v_sub_nc_u32_e32 v83, v39, v31
	v_mov_b32_e32 v84, 0
	s_delay_alu instid0(VALU_DEP_1) | instskip(NEXT) | instid1(VALU_DEP_1)
	v_lshlrev_b64 v[83:84], 3, v[83:84]
	v_add_co_u32 v83, vcc_lo, v30, v83
	s_delay_alu instid0(VALU_DEP_2)
	v_add_co_ci_u32_e32 v84, vcc_lo, v81, v84, vcc_lo
	global_store_b64 v[83:84], v[7:8], off
	s_or_b32 exec_lo, exec_lo, s19
	s_and_saveexec_b32 s19, s3
	s_cbranch_execnz .LBB803_134
.LBB803_161:
	s_or_b32 exec_lo, exec_lo, s19
	s_and_saveexec_b32 s19, s1
	s_cbranch_execz .LBB803_163
.LBB803_162:
	v_sub_nc_u32_e32 v83, v59, v31
	v_mov_b32_e32 v84, 0
	s_delay_alu instid0(VALU_DEP_1) | instskip(NEXT) | instid1(VALU_DEP_1)
	v_lshlrev_b64 v[83:84], 3, v[83:84]
	v_add_co_u32 v83, vcc_lo, v30, v83
	s_delay_alu instid0(VALU_DEP_2)
	v_add_co_ci_u32_e32 v84, vcc_lo, v81, v84, vcc_lo
	global_store_b64 v[83:84], v[3:4], off
.LBB803_163:
	s_or_b32 exec_lo, exec_lo, s19
	s_delay_alu instid0(SALU_CYCLE_1)
	s_and_b32 s19, s0, exec_lo
	s_and_not1_saveexec_b32 s16, s16
	s_cbranch_execnz .LBB803_145
.LBB803_164:
	s_or_b32 exec_lo, exec_lo, s16
	s_delay_alu instid0(SALU_CYCLE_1)
	s_and_b32 exec_lo, exec_lo, s19
	s_cbranch_execz .LBB803_166
.LBB803_165:
	v_sub_nc_u32_e32 v83, v51, v31
	v_mov_b32_e32 v84, 0
	s_delay_alu instid0(VALU_DEP_1) | instskip(NEXT) | instid1(VALU_DEP_1)
	v_lshlrev_b64 v[83:84], 3, v[83:84]
	v_add_co_u32 v83, vcc_lo, v30, v83
	s_delay_alu instid0(VALU_DEP_2)
	v_add_co_ci_u32_e32 v84, vcc_lo, v81, v84, vcc_lo
	global_store_b64 v[83:84], v[37:38], off
.LBB803_166:
	s_or_b32 exec_lo, exec_lo, s18
	s_mov_b32 s18, 0
.LBB803_167:
	s_delay_alu instid0(SALU_CYCLE_1)
	s_and_b32 vcc_lo, exec_lo, s18
	s_cbranch_vccz .LBB803_208
; %bb.168:
	s_mov_b32 s16, exec_lo
	v_cmpx_gt_i16_e32 2, v82
	s_cbranch_execz .LBB803_204
; %bb.169:
	s_mov_b32 s19, 0
	s_mov_b32 s18, exec_lo
	v_cmpx_ne_u16_e32 1, v82
	s_xor_b32 s18, exec_lo, s18
	s_cbranch_execz .LBB803_184
; %bb.170:
	s_and_saveexec_b32 s19, s15
	s_cbranch_execz .LBB803_187
; %bb.171:
	v_sub_nc_u32_e32 v82, v55, v31
	s_delay_alu instid0(VALU_DEP_1)
	v_lshlrev_b32_e32 v82, 3, v82
	ds_store_b64 v82, v[25:26]
	s_or_b32 exec_lo, exec_lo, s19
	s_and_saveexec_b32 s15, s14
	s_cbranch_execnz .LBB803_188
.LBB803_172:
	s_or_b32 exec_lo, exec_lo, s15
	s_and_saveexec_b32 s14, s13
	s_cbranch_execz .LBB803_189
.LBB803_173:
	v_sub_nc_u32_e32 v25, v57, v31
	s_delay_alu instid0(VALU_DEP_1)
	v_lshlrev_b32_e32 v25, 3, v25
	ds_store_b64 v25, v[21:22]
	s_or_b32 exec_lo, exec_lo, s14
	s_and_saveexec_b32 s13, s12
	s_cbranch_execnz .LBB803_190
.LBB803_174:
	s_or_b32 exec_lo, exec_lo, s13
	s_and_saveexec_b32 s12, s11
	s_cbranch_execz .LBB803_191
.LBB803_175:
	v_sub_nc_u32_e32 v21, v47, v31
	s_delay_alu instid0(VALU_DEP_1)
	v_lshlrev_b32_e32 v21, 3, v21
	ds_store_b64 v21, v[17:18]
	s_or_b32 exec_lo, exec_lo, s12
	s_and_saveexec_b32 s11, s10
	s_cbranch_execnz .LBB803_192
.LBB803_176:
	s_or_b32 exec_lo, exec_lo, s11
	s_and_saveexec_b32 s10, s8
	s_cbranch_execz .LBB803_193
.LBB803_177:
	v_sub_nc_u32_e32 v17, v41, v31
	s_delay_alu instid0(VALU_DEP_1)
	v_lshlrev_b32_e32 v17, 3, v17
	ds_store_b64 v17, v[13:14]
	s_or_b32 exec_lo, exec_lo, s10
	s_and_saveexec_b32 s8, s6
	s_cbranch_execnz .LBB803_194
.LBB803_178:
	s_or_b32 exec_lo, exec_lo, s8
	s_and_saveexec_b32 s6, s9
	s_cbranch_execz .LBB803_195
.LBB803_179:
	v_sub_nc_u32_e32 v13, v49, v31
	s_delay_alu instid0(VALU_DEP_1)
	v_lshlrev_b32_e32 v13, 3, v13
	ds_store_b64 v13, v[9:10]
	s_or_b32 exec_lo, exec_lo, s6
	s_and_saveexec_b32 s6, s7
	s_cbranch_execnz .LBB803_196
.LBB803_180:
	s_or_b32 exec_lo, exec_lo, s6
	s_and_saveexec_b32 s6, s5
	s_cbranch_execz .LBB803_197
.LBB803_181:
	v_sub_nc_u32_e32 v9, v35, v31
	s_delay_alu instid0(VALU_DEP_1)
	v_lshlrev_b32_e32 v9, 3, v9
	ds_store_b64 v9, v[5:6]
	s_or_b32 exec_lo, exec_lo, s6
	s_and_saveexec_b32 s5, s4
	s_cbranch_execnz .LBB803_198
.LBB803_182:
	s_or_b32 exec_lo, exec_lo, s5
	s_and_saveexec_b32 s4, s3
	s_cbranch_execz .LBB803_199
.LBB803_183:
	v_sub_nc_u32_e32 v5, v63, v31
	s_delay_alu instid0(VALU_DEP_1)
	v_lshlrev_b32_e32 v5, 3, v5
	ds_store_b64 v5, v[1:2]
	s_or_b32 exec_lo, exec_lo, s4
	s_and_saveexec_b32 s3, s1
	s_cbranch_execnz .LBB803_200
	s_branch .LBB803_201
.LBB803_184:
	s_and_not1_saveexec_b32 s0, s18
	s_cbranch_execz .LBB803_202
.LBB803_185:
	v_sub_nc_u32_e32 v82, v55, v31
	v_sub_nc_u32_e32 v83, v61, v31
	;; [unrolled: 1-line block ×4, first 2 shown]
	s_or_b32 s19, s19, exec_lo
	v_lshlrev_b32_e32 v82, 3, v82
	v_lshlrev_b32_e32 v83, 3, v83
	;; [unrolled: 1-line block ×4, first 2 shown]
	ds_store_b64 v82, v[25:26]
	ds_store_b64 v83, v[27:28]
	;; [unrolled: 1-line block ×3, first 2 shown]
	v_sub_nc_u32_e32 v21, v47, v31
	v_sub_nc_u32_e32 v22, v43, v31
	ds_store_b64 v85, v[23:24]
	v_sub_nc_u32_e32 v23, v41, v31
	v_sub_nc_u32_e32 v24, v45, v31
	v_lshlrev_b32_e32 v21, 3, v21
	v_sub_nc_u32_e32 v25, v49, v31
	v_lshlrev_b32_e32 v22, 3, v22
	v_lshlrev_b32_e32 v23, 3, v23
	;; [unrolled: 1-line block ×3, first 2 shown]
	ds_store_b64 v21, v[17:18]
	v_lshlrev_b32_e32 v17, 3, v25
	ds_store_b64 v22, v[19:20]
	ds_store_b64 v23, v[13:14]
	ds_store_b64 v24, v[15:16]
	v_sub_nc_u32_e32 v13, v33, v31
	v_sub_nc_u32_e32 v15, v59, v31
	;; [unrolled: 1-line block ×3, first 2 shown]
	ds_store_b64 v17, v[9:10]
	v_sub_nc_u32_e32 v9, v35, v31
	v_lshlrev_b32_e32 v13, 3, v13
	v_sub_nc_u32_e32 v10, v39, v31
	v_lshlrev_b32_e32 v14, 3, v14
	s_delay_alu instid0(VALU_DEP_4)
	v_lshlrev_b32_e32 v9, 3, v9
	ds_store_b64 v13, v[11:12]
	v_lshlrev_b32_e32 v11, 3, v15
	v_lshlrev_b32_e32 v10, 3, v10
	ds_store_b64 v9, v[5:6]
	ds_store_b64 v10, v[7:8]
	;; [unrolled: 1-line block ×4, first 2 shown]
	s_or_b32 exec_lo, exec_lo, s0
	s_delay_alu instid0(SALU_CYCLE_1)
	s_and_b32 exec_lo, exec_lo, s19
	s_cbranch_execnz .LBB803_203
	s_branch .LBB803_204
.LBB803_186:
	s_or_b32 exec_lo, exec_lo, s4
	v_mov_b32_e32 v93, s1
	s_and_saveexec_b32 s1, s40
	s_cbranch_execnz .LBB803_77
	s_branch .LBB803_78
.LBB803_187:
	s_or_b32 exec_lo, exec_lo, s19
	s_and_saveexec_b32 s15, s14
	s_cbranch_execz .LBB803_172
.LBB803_188:
	v_sub_nc_u32_e32 v25, v61, v31
	s_delay_alu instid0(VALU_DEP_1)
	v_lshlrev_b32_e32 v25, 3, v25
	ds_store_b64 v25, v[27:28]
	s_or_b32 exec_lo, exec_lo, s15
	s_and_saveexec_b32 s14, s13
	s_cbranch_execnz .LBB803_173
.LBB803_189:
	s_or_b32 exec_lo, exec_lo, s14
	s_and_saveexec_b32 s13, s12
	s_cbranch_execz .LBB803_174
.LBB803_190:
	v_sub_nc_u32_e32 v21, v53, v31
	s_delay_alu instid0(VALU_DEP_1)
	v_lshlrev_b32_e32 v21, 3, v21
	ds_store_b64 v21, v[23:24]
	s_or_b32 exec_lo, exec_lo, s13
	s_and_saveexec_b32 s12, s11
	s_cbranch_execnz .LBB803_175
.LBB803_191:
	s_or_b32 exec_lo, exec_lo, s12
	s_and_saveexec_b32 s11, s10
	s_cbranch_execz .LBB803_176
.LBB803_192:
	v_sub_nc_u32_e32 v17, v43, v31
	s_delay_alu instid0(VALU_DEP_1)
	v_lshlrev_b32_e32 v17, 3, v17
	ds_store_b64 v17, v[19:20]
	s_or_b32 exec_lo, exec_lo, s11
	s_and_saveexec_b32 s10, s8
	s_cbranch_execnz .LBB803_177
.LBB803_193:
	s_or_b32 exec_lo, exec_lo, s10
	s_and_saveexec_b32 s8, s6
	s_cbranch_execz .LBB803_178
.LBB803_194:
	v_sub_nc_u32_e32 v13, v45, v31
	s_delay_alu instid0(VALU_DEP_1)
	v_lshlrev_b32_e32 v13, 3, v13
	ds_store_b64 v13, v[15:16]
	s_or_b32 exec_lo, exec_lo, s8
	s_and_saveexec_b32 s6, s9
	s_cbranch_execnz .LBB803_179
.LBB803_195:
	s_or_b32 exec_lo, exec_lo, s6
	s_and_saveexec_b32 s6, s7
	s_cbranch_execz .LBB803_180
.LBB803_196:
	v_sub_nc_u32_e32 v9, v33, v31
	s_delay_alu instid0(VALU_DEP_1)
	v_lshlrev_b32_e32 v9, 3, v9
	ds_store_b64 v9, v[11:12]
	s_or_b32 exec_lo, exec_lo, s6
	s_and_saveexec_b32 s6, s5
	s_cbranch_execnz .LBB803_181
.LBB803_197:
	s_or_b32 exec_lo, exec_lo, s6
	s_and_saveexec_b32 s5, s4
	s_cbranch_execz .LBB803_182
.LBB803_198:
	v_sub_nc_u32_e32 v5, v39, v31
	s_delay_alu instid0(VALU_DEP_1)
	v_lshlrev_b32_e32 v5, 3, v5
	ds_store_b64 v5, v[7:8]
	s_or_b32 exec_lo, exec_lo, s5
	s_and_saveexec_b32 s4, s3
	s_cbranch_execnz .LBB803_183
.LBB803_199:
	s_or_b32 exec_lo, exec_lo, s4
	s_and_saveexec_b32 s3, s1
	s_cbranch_execz .LBB803_201
.LBB803_200:
	v_sub_nc_u32_e32 v1, v59, v31
	s_delay_alu instid0(VALU_DEP_1)
	v_lshlrev_b32_e32 v1, 3, v1
	ds_store_b64 v1, v[3:4]
.LBB803_201:
	s_or_b32 exec_lo, exec_lo, s3
	s_delay_alu instid0(SALU_CYCLE_1)
	s_and_b32 s19, s0, exec_lo
                                        ; implicit-def: $vgpr25_vgpr26
                                        ; implicit-def: $vgpr21_vgpr22
                                        ; implicit-def: $vgpr17_vgpr18
                                        ; implicit-def: $vgpr13_vgpr14
                                        ; implicit-def: $vgpr9_vgpr10
                                        ; implicit-def: $vgpr5_vgpr6
                                        ; implicit-def: $vgpr1_vgpr2
	s_and_not1_saveexec_b32 s0, s18
	s_cbranch_execnz .LBB803_185
.LBB803_202:
	s_or_b32 exec_lo, exec_lo, s0
	s_delay_alu instid0(SALU_CYCLE_1)
	s_and_b32 exec_lo, exec_lo, s19
	s_cbranch_execz .LBB803_204
.LBB803_203:
	v_sub_nc_u32_e32 v1, v51, v31
	s_delay_alu instid0(VALU_DEP_1)
	v_lshlrev_b32_e32 v1, 3, v1
	ds_store_b64 v1, v[37:38]
.LBB803_204:
	s_or_b32 exec_lo, exec_lo, s16
	s_delay_alu instid0(SALU_CYCLE_1)
	s_mov_b32 s1, exec_lo
	s_waitcnt lgkmcnt(0)
	s_waitcnt_vscnt null, 0x0
	s_barrier
	buffer_gl0_inv
	v_cmpx_lt_u32_e64 v0, v29
	s_cbranch_execz .LBB803_207
; %bb.205:
	v_dual_mov_b32 v2, 0 :: v_dual_lshlrev_b32 v3, 3, v0
	v_mov_b32_e32 v1, v0
	s_mov_b32 s3, 0
	.p2align	6
.LBB803_206:                            ; =>This Inner Loop Header: Depth=1
	ds_load_b64 v[4:5], v3
	v_lshlrev_b64 v[6:7], 3, v[1:2]
	v_add_nc_u32_e32 v1, 0x100, v1
	v_add_nc_u32_e32 v3, 0x800, v3
	s_delay_alu instid0(VALU_DEP_2) | instskip(NEXT) | instid1(VALU_DEP_4)
	v_cmp_ge_u32_e32 vcc_lo, v1, v29
	v_add_co_u32 v6, s0, v30, v6
	s_delay_alu instid0(VALU_DEP_1)
	v_add_co_ci_u32_e64 v7, s0, v81, v7, s0
	s_or_b32 s3, vcc_lo, s3
	s_waitcnt lgkmcnt(0)
	global_store_b64 v[6:7], v[4:5], off
	s_and_not1_b32 exec_lo, exec_lo, s3
	s_cbranch_execnz .LBB803_206
.LBB803_207:
	s_or_b32 exec_lo, exec_lo, s1
.LBB803_208:
	s_cmpk_lg_i32 s26, 0xf00
	v_cndmask_b32_e64 v8, 0, 1, s27
	s_cselect_b32 s0, -1, 0
	v_mad_i32_i24 v4, v0, -15, s26
	s_and_b32 s0, s0, s17
	s_and_b32 s1, s2, s27
	v_cndmask_b32_e64 v2, 0, 1, s0
	s_mul_hi_u32 s0, s26, 0x88888889
	v_sub_nc_u32_e32 v1, v29, v8
	s_lshr_b32 s0, s0, 3
	v_cndmask_b32_e64 v5, v93, 0, s1
	v_cmp_eq_u32_e32 vcc_lo, s0, v0
	v_cmp_ne_u32_e64 s0, 0, v4
	s_mov_b32 s16, -1
	s_waitcnt_vscnt null, 0x0
	s_barrier
	s_and_b32 vcc_lo, vcc_lo, s17
	v_add_nc_u32_e32 v3, v1, v2
	v_cndmask_b32_e64 v1, 1, v5, s0
	v_cmp_ne_u32_e64 s0, 1, v4
	buffer_gl0_inv
	v_cndmask_b32_e32 v12, v5, v1, vcc_lo
	v_cndmask_b32_e64 v2, 1, v80, s0
	v_cmp_ne_u32_e64 s0, 2, v4
	s_delay_alu instid0(VALU_DEP_3) | instskip(NEXT) | instid1(VALU_DEP_3)
	v_cmp_ne_u32_e64 s14, 0, v12
	v_cndmask_b32_e32 v13, v80, v2, vcc_lo
	s_delay_alu instid0(VALU_DEP_3) | instskip(SKIP_1) | instid1(VALU_DEP_1)
	v_cndmask_b32_e64 v6, 1, v79, s0
	v_cmp_ne_u32_e64 s0, 14, v4
	v_cndmask_b32_e64 v7, 1, v72, s0
	v_cmp_ne_u32_e64 s0, 3, v4
	s_delay_alu instid0(VALU_DEP_2) | instskip(NEXT) | instid1(VALU_DEP_2)
	v_cndmask_b32_e32 v11, v72, v7, vcc_lo
	v_cndmask_b32_e64 v9, 1, v78, s0
	v_cmp_ne_u32_e64 s0, 4, v4
	s_delay_alu instid0(VALU_DEP_2) | instskip(NEXT) | instid1(VALU_DEP_2)
	v_dual_cndmask_b32 v14, v79, v6 :: v_dual_cndmask_b32 v9, v78, v9
	v_cndmask_b32_e64 v10, 1, v77, s0
	v_cmp_ne_u32_e64 s0, 5, v4
	s_delay_alu instid0(VALU_DEP_3) | instskip(NEXT) | instid1(VALU_DEP_4)
	v_cmp_ne_u32_e64 s12, 0, v14
	v_cmp_ne_u32_e64 s11, 0, v9
	s_delay_alu instid0(VALU_DEP_4) | instskip(NEXT) | instid1(VALU_DEP_4)
	v_cndmask_b32_e32 v10, v77, v10, vcc_lo
	v_cndmask_b32_e64 v1, 1, v76, s0
	v_cmp_ne_u32_e64 s0, 6, v4
	s_delay_alu instid0(VALU_DEP_3) | instskip(NEXT) | instid1(VALU_DEP_3)
	v_cmp_ne_u32_e64 s10, 0, v10
	v_cndmask_b32_e32 v18, v76, v1, vcc_lo
	s_delay_alu instid0(VALU_DEP_3) | instskip(SKIP_1) | instid1(VALU_DEP_3)
	v_cndmask_b32_e64 v2, 1, v75, s0
	v_cmp_eq_u32_e64 s0, 0, v12
	v_cmp_ne_u32_e64 s9, 0, v18
	s_delay_alu instid0(VALU_DEP_3) | instskip(NEXT) | instid1(VALU_DEP_3)
	v_cndmask_b32_e32 v20, v75, v2, vcc_lo
	v_cndmask_b32_e64 v5, 1, 2, s0
	v_cmp_eq_u32_e64 s0, 0, v13
	s_delay_alu instid0(VALU_DEP_3) | instskip(NEXT) | instid1(VALU_DEP_2)
	v_cmp_ne_u32_e64 s8, 0, v20
	v_cndmask_b32_e64 v7, 1, 2, s0
	v_cmp_ne_u32_e64 s0, 7, v4
	s_delay_alu instid0(VALU_DEP_2) | instskip(NEXT) | instid1(VALU_DEP_2)
	v_and_b32_e32 v5, v7, v5
	v_cndmask_b32_e64 v6, 1, v74, s0
	v_cmp_eq_u32_e64 s0, 0, v14
	s_delay_alu instid0(VALU_DEP_2) | instskip(NEXT) | instid1(VALU_DEP_2)
	v_cndmask_b32_e32 v21, v74, v6, vcc_lo
	v_cndmask_b32_e64 v7, 1, 2, s0
	v_cmp_ne_u32_e64 s0, 8, v4
	s_delay_alu instid0(VALU_DEP_3) | instskip(NEXT) | instid1(VALU_DEP_3)
	v_cmp_ne_u32_e64 s7, 0, v21
	v_and_b32_e32 v5, v5, v7
	s_delay_alu instid0(VALU_DEP_3) | instskip(SKIP_1) | instid1(VALU_DEP_2)
	v_cndmask_b32_e64 v15, 1, v73, s0
	v_cmp_ne_u32_e64 s0, 9, v4
	v_cndmask_b32_e32 v15, v73, v15, vcc_lo
	s_delay_alu instid0(VALU_DEP_2) | instskip(SKIP_1) | instid1(VALU_DEP_2)
	v_cndmask_b32_e64 v16, 1, v71, s0
	v_cmp_eq_u32_e64 s0, 0, v9
	v_cndmask_b32_e32 v16, v71, v16, vcc_lo
	s_delay_alu instid0(VALU_DEP_2) | instskip(SKIP_1) | instid1(VALU_DEP_3)
	v_cndmask_b32_e64 v7, 1, 2, s0
	v_cmp_ne_u32_e64 s0, 10, v4
	v_cmp_ne_u32_e64 s5, 0, v16
	s_delay_alu instid0(VALU_DEP_3) | instskip(NEXT) | instid1(VALU_DEP_3)
	v_and_b32_e32 v1, v5, v7
	v_cndmask_b32_e64 v17, 1, v70, s0
	v_cmp_eq_u32_e64 s0, 0, v10
	s_delay_alu instid0(VALU_DEP_2) | instskip(NEXT) | instid1(VALU_DEP_2)
	v_cndmask_b32_e32 v17, v70, v17, vcc_lo
	v_cndmask_b32_e64 v5, 1, 2, s0
	v_cmp_ne_u32_e64 s0, 11, v4
	s_delay_alu instid0(VALU_DEP_3) | instskip(NEXT) | instid1(VALU_DEP_3)
	v_cmp_ne_u32_e64 s4, 0, v17
	v_and_b32_e32 v1, v1, v5
	s_delay_alu instid0(VALU_DEP_3) | instskip(SKIP_1) | instid1(VALU_DEP_2)
	v_cndmask_b32_e64 v7, 1, v69, s0
	v_cmp_ne_u32_e64 s0, 13, v4
	v_cndmask_b32_e32 v23, v69, v7, vcc_lo
	s_delay_alu instid0(VALU_DEP_2) | instskip(SKIP_1) | instid1(VALU_DEP_2)
	v_cndmask_b32_e64 v19, 1, v67, s0
	v_cmp_eq_u32_e64 s0, 0, v18
	v_cndmask_b32_e32 v19, v67, v19, vcc_lo
	s_delay_alu instid0(VALU_DEP_2) | instskip(SKIP_1) | instid1(VALU_DEP_2)
	v_cndmask_b32_e64 v5, 1, 2, s0
	v_cmp_ne_u32_e64 s0, 12, v4
	v_and_b32_e32 v1, v1, v5
	s_delay_alu instid0(VALU_DEP_2) | instskip(SKIP_1) | instid1(VALU_DEP_2)
	v_cndmask_b32_e64 v2, 1, v68, s0
	v_cmp_eq_u32_e64 s0, 0, v20
	v_cndmask_b32_e32 v22, v68, v2, vcc_lo
	s_delay_alu instid0(VALU_DEP_2) | instskip(SKIP_2) | instid1(VALU_DEP_4)
	v_cndmask_b32_e64 v4, 1, 2, s0
	v_cmp_eq_u32_e64 s0, 0, v21
	v_cmp_eq_u32_e32 vcc_lo, 0, v15
	v_cmp_ne_u32_e64 s2, 0, v22
	s_delay_alu instid0(VALU_DEP_4)
	v_and_b32_e32 v6, v1, v4
	v_lshlrev_b64 v[1:2], 2, v[65:66]
	v_cndmask_b32_e64 v7, 1, 2, s0
	v_lshlrev_b64 v[4:5], 2, v[31:32]
	v_cmp_ne_u32_e64 s13, 0, v13
	v_cmp_ne_u32_e64 s0, 0, v11
	s_delay_alu instid0(VALU_DEP_4) | instskip(SKIP_4) | instid1(VALU_DEP_4)
	v_and_b32_e32 v6, v6, v7
	v_cndmask_b32_e64 v7, 1, 2, vcc_lo
	v_add_co_u32 v1, vcc_lo, s28, v1
	v_add_co_ci_u32_e32 v2, vcc_lo, s29, v2, vcc_lo
	v_cmp_eq_u32_e32 vcc_lo, 0, v16
	v_and_b32_e32 v6, v6, v7
	v_cndmask_b32_e64 v7, 1, 2, vcc_lo
	v_add_co_u32 v4, vcc_lo, v1, v4
	v_add_co_ci_u32_e32 v5, vcc_lo, v2, v5, vcc_lo
	v_lshlrev_b32_e32 v1, 2, v8
	v_cmp_eq_u32_e32 vcc_lo, 0, v17
	v_and_b32_e32 v2, v6, v7
	v_cndmask_b32_e64 v6, 1, 2, vcc_lo
	s_delay_alu instid0(VALU_DEP_4) | instskip(SKIP_1) | instid1(VALU_DEP_3)
	v_add_co_u32 v1, vcc_lo, v1, v4
	v_add_co_ci_u32_e32 v7, vcc_lo, 0, v5, vcc_lo
	v_and_b32_e32 v2, v2, v6
	v_cmp_eq_u32_e32 vcc_lo, 0, v23
	v_cmp_ne_u32_e64 s1, 0, v19
	v_cndmask_b32_e64 v24, 1, 2, vcc_lo
	v_add_co_u32 v6, vcc_lo, v1, -4
	v_add_co_ci_u32_e32 v7, vcc_lo, -1, v7, vcc_lo
	v_cmp_eq_u32_e32 vcc_lo, 0, v22
	v_add_nc_u32_e32 v1, v31, v8
	v_and_b32_e32 v2, v2, v24
	v_cmp_ne_u32_e64 s3, 0, v23
	v_cndmask_b32_e64 v8, 1, 2, vcc_lo
	v_cmp_eq_u32_e32 vcc_lo, 0, v19
	s_delay_alu instid0(VALU_DEP_2) | instskip(SKIP_3) | instid1(VALU_DEP_3)
	v_and_b32_e32 v2, v2, v8
	v_cndmask_b32_e64 v8, 1, 2, vcc_lo
	v_cmp_eq_u32_e32 vcc_lo, 0, v11
	v_cmp_ne_u32_e64 s6, 0, v15
	v_and_b32_e32 v2, v2, v8
	v_cndmask_b32_e64 v8, 1, 2, vcc_lo
	v_cmp_gt_u32_e32 vcc_lo, 0x100, v3
	s_delay_alu instid0(VALU_DEP_2) | instskip(NEXT) | instid1(VALU_DEP_1)
	v_and_b32_e32 v2, v2, v8
	v_cmp_gt_i16_e64 s15, 2, v2
	s_cbranch_vccz .LBB803_225
; %bb.209:
	s_delay_alu instid0(VALU_DEP_1)
	s_and_saveexec_b32 s16, s15
	s_cbranch_execz .LBB803_263
; %bb.210:
	s_mov_b32 s18, 0
	s_mov_b32 s15, exec_lo
	v_cmpx_ne_u16_e32 1, v2
	s_xor_b32 s15, exec_lo, s15
	s_cbranch_execz .LBB803_242
; %bb.211:
	s_and_saveexec_b32 s18, s14
	s_cbranch_execz .LBB803_246
; %bb.212:
	v_sub_nc_u32_e32 v8, v55, v1
	v_mov_b32_e32 v9, 0
	s_delay_alu instid0(VALU_DEP_1) | instskip(NEXT) | instid1(VALU_DEP_1)
	v_lshlrev_b64 v[8:9], 2, v[8:9]
	v_add_co_u32 v8, vcc_lo, v6, v8
	s_delay_alu instid0(VALU_DEP_2)
	v_add_co_ci_u32_e32 v9, vcc_lo, v7, v9, vcc_lo
	global_store_b32 v[8:9], v56, off
	s_or_b32 exec_lo, exec_lo, s18
	s_and_saveexec_b32 s18, s13
	s_cbranch_execnz .LBB803_247
.LBB803_213:
	s_or_b32 exec_lo, exec_lo, s18
	s_and_saveexec_b32 s18, s12
	s_cbranch_execz .LBB803_248
.LBB803_214:
	v_sub_nc_u32_e32 v8, v57, v1
	v_mov_b32_e32 v9, 0
	s_delay_alu instid0(VALU_DEP_1) | instskip(NEXT) | instid1(VALU_DEP_1)
	v_lshlrev_b64 v[8:9], 2, v[8:9]
	v_add_co_u32 v8, vcc_lo, v6, v8
	s_delay_alu instid0(VALU_DEP_2)
	v_add_co_ci_u32_e32 v9, vcc_lo, v7, v9, vcc_lo
	global_store_b32 v[8:9], v58, off
	s_or_b32 exec_lo, exec_lo, s18
	s_and_saveexec_b32 s18, s11
	s_cbranch_execnz .LBB803_249
.LBB803_215:
	s_or_b32 exec_lo, exec_lo, s18
	s_and_saveexec_b32 s18, s10
	s_cbranch_execz .LBB803_250
.LBB803_216:
	v_sub_nc_u32_e32 v8, v47, v1
	v_mov_b32_e32 v9, 0
	s_delay_alu instid0(VALU_DEP_1) | instskip(NEXT) | instid1(VALU_DEP_1)
	v_lshlrev_b64 v[8:9], 2, v[8:9]
	v_add_co_u32 v8, vcc_lo, v6, v8
	s_delay_alu instid0(VALU_DEP_2)
	v_add_co_ci_u32_e32 v9, vcc_lo, v7, v9, vcc_lo
	global_store_b32 v[8:9], v48, off
	s_or_b32 exec_lo, exec_lo, s18
	s_and_saveexec_b32 s18, s9
	s_cbranch_execnz .LBB803_251
.LBB803_217:
	s_or_b32 exec_lo, exec_lo, s18
	s_and_saveexec_b32 s18, s8
	s_cbranch_execz .LBB803_252
.LBB803_218:
	v_sub_nc_u32_e32 v8, v41, v1
	v_mov_b32_e32 v9, 0
	s_delay_alu instid0(VALU_DEP_1) | instskip(NEXT) | instid1(VALU_DEP_1)
	v_lshlrev_b64 v[8:9], 2, v[8:9]
	v_add_co_u32 v8, vcc_lo, v6, v8
	s_delay_alu instid0(VALU_DEP_2)
	v_add_co_ci_u32_e32 v9, vcc_lo, v7, v9, vcc_lo
	global_store_b32 v[8:9], v42, off
	s_or_b32 exec_lo, exec_lo, s18
	s_and_saveexec_b32 s18, s7
	s_cbranch_execnz .LBB803_253
.LBB803_219:
	s_or_b32 exec_lo, exec_lo, s18
	s_and_saveexec_b32 s18, s6
	s_cbranch_execz .LBB803_254
.LBB803_220:
	v_sub_nc_u32_e32 v8, v49, v1
	v_mov_b32_e32 v9, 0
	s_delay_alu instid0(VALU_DEP_1) | instskip(NEXT) | instid1(VALU_DEP_1)
	v_lshlrev_b64 v[8:9], 2, v[8:9]
	v_add_co_u32 v8, vcc_lo, v6, v8
	s_delay_alu instid0(VALU_DEP_2)
	v_add_co_ci_u32_e32 v9, vcc_lo, v7, v9, vcc_lo
	global_store_b32 v[8:9], v50, off
	s_or_b32 exec_lo, exec_lo, s18
	s_and_saveexec_b32 s18, s5
	s_cbranch_execnz .LBB803_255
.LBB803_221:
	s_or_b32 exec_lo, exec_lo, s18
	s_and_saveexec_b32 s18, s4
	s_cbranch_execz .LBB803_256
.LBB803_222:
	v_sub_nc_u32_e32 v8, v35, v1
	v_mov_b32_e32 v9, 0
	s_delay_alu instid0(VALU_DEP_1) | instskip(NEXT) | instid1(VALU_DEP_1)
	v_lshlrev_b64 v[8:9], 2, v[8:9]
	v_add_co_u32 v8, vcc_lo, v6, v8
	s_delay_alu instid0(VALU_DEP_2)
	v_add_co_ci_u32_e32 v9, vcc_lo, v7, v9, vcc_lo
	global_store_b32 v[8:9], v36, off
	s_or_b32 exec_lo, exec_lo, s18
	s_and_saveexec_b32 s18, s3
	s_cbranch_execnz .LBB803_257
.LBB803_223:
	s_or_b32 exec_lo, exec_lo, s18
	s_and_saveexec_b32 s18, s2
	s_cbranch_execz .LBB803_258
.LBB803_224:
	v_sub_nc_u32_e32 v8, v63, v1
	v_mov_b32_e32 v9, 0
	s_delay_alu instid0(VALU_DEP_1) | instskip(NEXT) | instid1(VALU_DEP_1)
	v_lshlrev_b64 v[8:9], 2, v[8:9]
	v_add_co_u32 v8, vcc_lo, v6, v8
	s_delay_alu instid0(VALU_DEP_2)
	v_add_co_ci_u32_e32 v9, vcc_lo, v7, v9, vcc_lo
	global_store_b32 v[8:9], v64, off
	s_or_b32 exec_lo, exec_lo, s18
	s_and_saveexec_b32 s18, s1
	s_cbranch_execnz .LBB803_259
	s_branch .LBB803_260
.LBB803_225:
	s_and_b32 vcc_lo, exec_lo, s16
	s_cbranch_vccz .LBB803_264
; %bb.226:
	s_mov_b32 s15, exec_lo
	v_cmpx_gt_i16_e32 2, v2
	s_cbranch_execz .LBB803_282
; %bb.227:
	s_mov_b32 s18, 0
	s_mov_b32 s16, exec_lo
	v_cmpx_ne_u16_e32 1, v2
	s_xor_b32 s16, exec_lo, s16
	s_cbranch_execz .LBB803_244
; %bb.228:
	s_and_saveexec_b32 s18, s14
	s_cbranch_execz .LBB803_265
; %bb.229:
	v_sub_nc_u32_e32 v2, v55, v1
	s_delay_alu instid0(VALU_DEP_1)
	v_lshlrev_b32_e32 v2, 2, v2
	ds_store_b32 v2, v56
	s_or_b32 exec_lo, exec_lo, s18
	s_and_saveexec_b32 s14, s13
	s_cbranch_execnz .LBB803_266
.LBB803_230:
	s_or_b32 exec_lo, exec_lo, s14
	s_and_saveexec_b32 s13, s12
	s_cbranch_execz .LBB803_267
.LBB803_231:
	v_sub_nc_u32_e32 v2, v57, v1
	s_delay_alu instid0(VALU_DEP_1)
	v_lshlrev_b32_e32 v2, 2, v2
	ds_store_b32 v2, v58
	s_or_b32 exec_lo, exec_lo, s13
	s_and_saveexec_b32 s12, s11
	s_cbranch_execnz .LBB803_268
.LBB803_232:
	s_or_b32 exec_lo, exec_lo, s12
	s_and_saveexec_b32 s11, s10
	s_cbranch_execz .LBB803_269
.LBB803_233:
	v_sub_nc_u32_e32 v2, v47, v1
	s_delay_alu instid0(VALU_DEP_1)
	v_lshlrev_b32_e32 v2, 2, v2
	ds_store_b32 v2, v48
	s_or_b32 exec_lo, exec_lo, s11
	s_and_saveexec_b32 s10, s9
	s_cbranch_execnz .LBB803_270
.LBB803_234:
	s_or_b32 exec_lo, exec_lo, s10
	s_and_saveexec_b32 s9, s8
	s_cbranch_execz .LBB803_271
.LBB803_235:
	v_sub_nc_u32_e32 v2, v41, v1
	s_delay_alu instid0(VALU_DEP_1)
	v_lshlrev_b32_e32 v2, 2, v2
	ds_store_b32 v2, v42
	s_or_b32 exec_lo, exec_lo, s9
	s_and_saveexec_b32 s8, s7
	s_cbranch_execnz .LBB803_272
.LBB803_236:
	s_or_b32 exec_lo, exec_lo, s8
	s_and_saveexec_b32 s7, s6
	s_cbranch_execz .LBB803_273
.LBB803_237:
	v_sub_nc_u32_e32 v2, v49, v1
	s_delay_alu instid0(VALU_DEP_1)
	v_lshlrev_b32_e32 v2, 2, v2
	ds_store_b32 v2, v50
	s_or_b32 exec_lo, exec_lo, s7
	s_and_saveexec_b32 s6, s5
	s_cbranch_execnz .LBB803_274
.LBB803_238:
	s_or_b32 exec_lo, exec_lo, s6
	s_and_saveexec_b32 s5, s4
	s_cbranch_execz .LBB803_275
.LBB803_239:
	v_sub_nc_u32_e32 v2, v35, v1
	s_delay_alu instid0(VALU_DEP_1)
	v_lshlrev_b32_e32 v2, 2, v2
	ds_store_b32 v2, v36
	s_or_b32 exec_lo, exec_lo, s5
	s_and_saveexec_b32 s4, s3
	s_cbranch_execnz .LBB803_276
.LBB803_240:
	s_or_b32 exec_lo, exec_lo, s4
	s_and_saveexec_b32 s3, s2
	s_cbranch_execz .LBB803_277
.LBB803_241:
	v_sub_nc_u32_e32 v2, v63, v1
	s_delay_alu instid0(VALU_DEP_1)
	v_lshlrev_b32_e32 v2, 2, v2
	ds_store_b32 v2, v64
	s_or_b32 exec_lo, exec_lo, s3
	s_and_saveexec_b32 s2, s1
	s_cbranch_execnz .LBB803_278
	s_branch .LBB803_279
.LBB803_242:
	s_and_not1_saveexec_b32 s15, s15
	s_cbranch_execz .LBB803_261
.LBB803_243:
	v_sub_nc_u32_e32 v8, v55, v1
	v_mov_b32_e32 v9, 0
	s_or_b32 s18, s18, exec_lo
	s_delay_alu instid0(VALU_DEP_1) | instskip(SKIP_1) | instid1(VALU_DEP_1)
	v_lshlrev_b64 v[10:11], 2, v[8:9]
	v_sub_nc_u32_e32 v8, v61, v1
	v_lshlrev_b64 v[12:13], 2, v[8:9]
	v_sub_nc_u32_e32 v8, v57, v1
	s_delay_alu instid0(VALU_DEP_4) | instskip(SKIP_1) | instid1(VALU_DEP_3)
	v_add_co_u32 v10, vcc_lo, v6, v10
	v_add_co_ci_u32_e32 v11, vcc_lo, v7, v11, vcc_lo
	v_lshlrev_b64 v[14:15], 2, v[8:9]
	v_sub_nc_u32_e32 v8, v53, v1
	v_add_co_u32 v12, vcc_lo, v6, v12
	v_add_co_ci_u32_e32 v13, vcc_lo, v7, v13, vcc_lo
	global_store_b32 v[10:11], v56, off
	v_lshlrev_b64 v[10:11], 2, v[8:9]
	v_sub_nc_u32_e32 v8, v47, v1
	global_store_b32 v[12:13], v62, off
	v_add_co_u32 v12, vcc_lo, v6, v14
	v_add_co_ci_u32_e32 v13, vcc_lo, v7, v15, vcc_lo
	v_lshlrev_b64 v[14:15], 2, v[8:9]
	v_sub_nc_u32_e32 v8, v43, v1
	v_add_co_u32 v10, vcc_lo, v6, v10
	v_add_co_ci_u32_e32 v11, vcc_lo, v7, v11, vcc_lo
	s_delay_alu instid0(VALU_DEP_3) | instskip(SKIP_3) | instid1(VALU_DEP_3)
	v_lshlrev_b64 v[16:17], 2, v[8:9]
	v_sub_nc_u32_e32 v8, v41, v1
	v_add_co_u32 v14, vcc_lo, v6, v14
	v_add_co_ci_u32_e32 v15, vcc_lo, v7, v15, vcc_lo
	v_lshlrev_b64 v[18:19], 2, v[8:9]
	v_sub_nc_u32_e32 v8, v45, v1
	v_add_co_u32 v16, vcc_lo, v6, v16
	v_add_co_ci_u32_e32 v17, vcc_lo, v7, v17, vcc_lo
	s_clause 0x3
	global_store_b32 v[12:13], v58, off
	global_store_b32 v[10:11], v54, off
	;; [unrolled: 1-line block ×4, first 2 shown]
	v_lshlrev_b64 v[10:11], 2, v[8:9]
	v_sub_nc_u32_e32 v8, v49, v1
	v_add_co_u32 v12, vcc_lo, v6, v18
	v_add_co_ci_u32_e32 v13, vcc_lo, v7, v19, vcc_lo
	s_delay_alu instid0(VALU_DEP_3) | instskip(SKIP_3) | instid1(VALU_DEP_3)
	v_lshlrev_b64 v[14:15], 2, v[8:9]
	v_sub_nc_u32_e32 v8, v33, v1
	v_add_co_u32 v10, vcc_lo, v6, v10
	v_add_co_ci_u32_e32 v11, vcc_lo, v7, v11, vcc_lo
	v_lshlrev_b64 v[16:17], 2, v[8:9]
	v_sub_nc_u32_e32 v8, v35, v1
	v_add_co_u32 v14, vcc_lo, v6, v14
	v_add_co_ci_u32_e32 v15, vcc_lo, v7, v15, vcc_lo
	s_delay_alu instid0(VALU_DEP_3)
	v_lshlrev_b64 v[18:19], 2, v[8:9]
	v_sub_nc_u32_e32 v8, v39, v1
	v_add_co_u32 v16, vcc_lo, v6, v16
	v_add_co_ci_u32_e32 v17, vcc_lo, v7, v17, vcc_lo
	s_clause 0x3
	global_store_b32 v[12:13], v42, off
	global_store_b32 v[10:11], v46, off
	global_store_b32 v[14:15], v50, off
	global_store_b32 v[16:17], v34, off
	v_lshlrev_b64 v[10:11], 2, v[8:9]
	v_sub_nc_u32_e32 v8, v63, v1
	v_add_co_u32 v12, vcc_lo, v6, v18
	v_add_co_ci_u32_e32 v13, vcc_lo, v7, v19, vcc_lo
	s_delay_alu instid0(VALU_DEP_3) | instskip(SKIP_3) | instid1(VALU_DEP_3)
	v_lshlrev_b64 v[14:15], 2, v[8:9]
	v_sub_nc_u32_e32 v8, v59, v1
	v_add_co_u32 v10, vcc_lo, v6, v10
	v_add_co_ci_u32_e32 v11, vcc_lo, v7, v11, vcc_lo
	v_lshlrev_b64 v[8:9], 2, v[8:9]
	v_add_co_u32 v14, vcc_lo, v6, v14
	v_add_co_ci_u32_e32 v15, vcc_lo, v7, v15, vcc_lo
	s_clause 0x2
	global_store_b32 v[12:13], v36, off
	global_store_b32 v[10:11], v40, off
	;; [unrolled: 1-line block ×3, first 2 shown]
	v_add_co_u32 v8, vcc_lo, v6, v8
	v_add_co_ci_u32_e32 v9, vcc_lo, v7, v9, vcc_lo
	global_store_b32 v[8:9], v60, off
	s_or_b32 exec_lo, exec_lo, s15
	s_delay_alu instid0(SALU_CYCLE_1)
	s_and_b32 exec_lo, exec_lo, s18
	s_cbranch_execnz .LBB803_262
	s_branch .LBB803_263
.LBB803_244:
	s_and_not1_saveexec_b32 s0, s16
	s_cbranch_execz .LBB803_280
.LBB803_245:
	v_sub_nc_u32_e32 v2, v55, v1
	v_sub_nc_u32_e32 v8, v61, v1
	;; [unrolled: 1-line block ×5, first 2 shown]
	v_lshlrev_b32_e32 v2, 2, v2
	v_lshlrev_b32_e32 v8, 2, v8
	v_lshlrev_b32_e32 v9, 2, v9
	v_lshlrev_b32_e32 v10, 2, v10
	s_or_b32 s18, s18, exec_lo
	ds_store_b32 v2, v56
	ds_store_b32 v8, v62
	;; [unrolled: 1-line block ×3, first 2 shown]
	v_sub_nc_u32_e32 v2, v47, v1
	v_sub_nc_u32_e32 v8, v43, v1
	v_sub_nc_u32_e32 v9, v41, v1
	ds_store_b32 v10, v54
	v_sub_nc_u32_e32 v10, v45, v1
	v_lshlrev_b32_e32 v2, 2, v2
	v_lshlrev_b32_e32 v8, 2, v8
	;; [unrolled: 1-line block ×3, first 2 shown]
	s_delay_alu instid0(VALU_DEP_4)
	v_lshlrev_b32_e32 v10, 2, v10
	ds_store_b32 v2, v48
	v_lshlrev_b32_e32 v2, 2, v11
	ds_store_b32 v8, v44
	ds_store_b32 v9, v42
	;; [unrolled: 1-line block ×3, first 2 shown]
	v_sub_nc_u32_e32 v8, v33, v1
	v_sub_nc_u32_e32 v11, v59, v1
	;; [unrolled: 1-line block ×3, first 2 shown]
	ds_store_b32 v2, v50
	v_sub_nc_u32_e32 v2, v35, v1
	v_lshlrev_b32_e32 v8, 2, v8
	v_sub_nc_u32_e32 v10, v63, v1
	v_lshlrev_b32_e32 v9, 2, v9
	s_delay_alu instid0(VALU_DEP_4)
	v_lshlrev_b32_e32 v2, 2, v2
	ds_store_b32 v8, v34
	v_lshlrev_b32_e32 v8, 2, v11
	v_lshlrev_b32_e32 v10, 2, v10
	ds_store_b32 v2, v36
	ds_store_b32 v9, v40
	;; [unrolled: 1-line block ×4, first 2 shown]
	s_or_b32 exec_lo, exec_lo, s0
	s_delay_alu instid0(SALU_CYCLE_1)
	s_and_b32 exec_lo, exec_lo, s18
	s_cbranch_execnz .LBB803_281
	s_branch .LBB803_282
.LBB803_246:
	s_or_b32 exec_lo, exec_lo, s18
	s_and_saveexec_b32 s18, s13
	s_cbranch_execz .LBB803_213
.LBB803_247:
	v_sub_nc_u32_e32 v8, v61, v1
	v_mov_b32_e32 v9, 0
	s_delay_alu instid0(VALU_DEP_1) | instskip(NEXT) | instid1(VALU_DEP_1)
	v_lshlrev_b64 v[8:9], 2, v[8:9]
	v_add_co_u32 v8, vcc_lo, v6, v8
	s_delay_alu instid0(VALU_DEP_2)
	v_add_co_ci_u32_e32 v9, vcc_lo, v7, v9, vcc_lo
	global_store_b32 v[8:9], v62, off
	s_or_b32 exec_lo, exec_lo, s18
	s_and_saveexec_b32 s18, s12
	s_cbranch_execnz .LBB803_214
.LBB803_248:
	s_or_b32 exec_lo, exec_lo, s18
	s_and_saveexec_b32 s18, s11
	s_cbranch_execz .LBB803_215
.LBB803_249:
	v_sub_nc_u32_e32 v8, v53, v1
	v_mov_b32_e32 v9, 0
	s_delay_alu instid0(VALU_DEP_1) | instskip(NEXT) | instid1(VALU_DEP_1)
	v_lshlrev_b64 v[8:9], 2, v[8:9]
	v_add_co_u32 v8, vcc_lo, v6, v8
	s_delay_alu instid0(VALU_DEP_2)
	v_add_co_ci_u32_e32 v9, vcc_lo, v7, v9, vcc_lo
	global_store_b32 v[8:9], v54, off
	s_or_b32 exec_lo, exec_lo, s18
	s_and_saveexec_b32 s18, s10
	s_cbranch_execnz .LBB803_216
.LBB803_250:
	s_or_b32 exec_lo, exec_lo, s18
	s_and_saveexec_b32 s18, s9
	s_cbranch_execz .LBB803_217
.LBB803_251:
	v_sub_nc_u32_e32 v8, v43, v1
	v_mov_b32_e32 v9, 0
	s_delay_alu instid0(VALU_DEP_1) | instskip(NEXT) | instid1(VALU_DEP_1)
	v_lshlrev_b64 v[8:9], 2, v[8:9]
	v_add_co_u32 v8, vcc_lo, v6, v8
	s_delay_alu instid0(VALU_DEP_2)
	v_add_co_ci_u32_e32 v9, vcc_lo, v7, v9, vcc_lo
	global_store_b32 v[8:9], v44, off
	s_or_b32 exec_lo, exec_lo, s18
	s_and_saveexec_b32 s18, s8
	s_cbranch_execnz .LBB803_218
.LBB803_252:
	s_or_b32 exec_lo, exec_lo, s18
	s_and_saveexec_b32 s18, s7
	s_cbranch_execz .LBB803_219
.LBB803_253:
	v_sub_nc_u32_e32 v8, v45, v1
	v_mov_b32_e32 v9, 0
	s_delay_alu instid0(VALU_DEP_1) | instskip(NEXT) | instid1(VALU_DEP_1)
	v_lshlrev_b64 v[8:9], 2, v[8:9]
	v_add_co_u32 v8, vcc_lo, v6, v8
	s_delay_alu instid0(VALU_DEP_2)
	v_add_co_ci_u32_e32 v9, vcc_lo, v7, v9, vcc_lo
	global_store_b32 v[8:9], v46, off
	s_or_b32 exec_lo, exec_lo, s18
	s_and_saveexec_b32 s18, s6
	s_cbranch_execnz .LBB803_220
.LBB803_254:
	s_or_b32 exec_lo, exec_lo, s18
	s_and_saveexec_b32 s18, s5
	s_cbranch_execz .LBB803_221
.LBB803_255:
	v_sub_nc_u32_e32 v8, v33, v1
	v_mov_b32_e32 v9, 0
	s_delay_alu instid0(VALU_DEP_1) | instskip(NEXT) | instid1(VALU_DEP_1)
	v_lshlrev_b64 v[8:9], 2, v[8:9]
	v_add_co_u32 v8, vcc_lo, v6, v8
	s_delay_alu instid0(VALU_DEP_2)
	v_add_co_ci_u32_e32 v9, vcc_lo, v7, v9, vcc_lo
	global_store_b32 v[8:9], v34, off
	s_or_b32 exec_lo, exec_lo, s18
	s_and_saveexec_b32 s18, s4
	s_cbranch_execnz .LBB803_222
.LBB803_256:
	s_or_b32 exec_lo, exec_lo, s18
	s_and_saveexec_b32 s18, s3
	s_cbranch_execz .LBB803_223
.LBB803_257:
	v_sub_nc_u32_e32 v8, v39, v1
	v_mov_b32_e32 v9, 0
	s_delay_alu instid0(VALU_DEP_1) | instskip(NEXT) | instid1(VALU_DEP_1)
	v_lshlrev_b64 v[8:9], 2, v[8:9]
	v_add_co_u32 v8, vcc_lo, v6, v8
	s_delay_alu instid0(VALU_DEP_2)
	v_add_co_ci_u32_e32 v9, vcc_lo, v7, v9, vcc_lo
	global_store_b32 v[8:9], v40, off
	s_or_b32 exec_lo, exec_lo, s18
	s_and_saveexec_b32 s18, s2
	s_cbranch_execnz .LBB803_224
.LBB803_258:
	s_or_b32 exec_lo, exec_lo, s18
	s_and_saveexec_b32 s18, s1
	s_cbranch_execz .LBB803_260
.LBB803_259:
	v_sub_nc_u32_e32 v8, v59, v1
	v_mov_b32_e32 v9, 0
	s_delay_alu instid0(VALU_DEP_1) | instskip(NEXT) | instid1(VALU_DEP_1)
	v_lshlrev_b64 v[8:9], 2, v[8:9]
	v_add_co_u32 v8, vcc_lo, v6, v8
	s_delay_alu instid0(VALU_DEP_2)
	v_add_co_ci_u32_e32 v9, vcc_lo, v7, v9, vcc_lo
	global_store_b32 v[8:9], v60, off
.LBB803_260:
	s_or_b32 exec_lo, exec_lo, s18
	s_delay_alu instid0(SALU_CYCLE_1)
	s_and_b32 s18, s0, exec_lo
	s_and_not1_saveexec_b32 s15, s15
	s_cbranch_execnz .LBB803_243
.LBB803_261:
	s_or_b32 exec_lo, exec_lo, s15
	s_delay_alu instid0(SALU_CYCLE_1)
	s_and_b32 exec_lo, exec_lo, s18
	s_cbranch_execz .LBB803_263
.LBB803_262:
	v_sub_nc_u32_e32 v8, v51, v1
	v_mov_b32_e32 v9, 0
	s_delay_alu instid0(VALU_DEP_1) | instskip(NEXT) | instid1(VALU_DEP_1)
	v_lshlrev_b64 v[8:9], 2, v[8:9]
	v_add_co_u32 v8, vcc_lo, v6, v8
	s_delay_alu instid0(VALU_DEP_2)
	v_add_co_ci_u32_e32 v9, vcc_lo, v7, v9, vcc_lo
	global_store_b32 v[8:9], v52, off
.LBB803_263:
	s_or_b32 exec_lo, exec_lo, s16
.LBB803_264:
	v_cmp_eq_u32_e32 vcc_lo, 0xff, v0
	s_and_b32 s0, vcc_lo, s17
	s_delay_alu instid0(SALU_CYCLE_1)
	s_and_saveexec_b32 s1, s0
	s_cbranch_execnz .LBB803_286
	s_branch .LBB803_288
.LBB803_265:
	s_or_b32 exec_lo, exec_lo, s18
	s_and_saveexec_b32 s14, s13
	s_cbranch_execz .LBB803_230
.LBB803_266:
	v_sub_nc_u32_e32 v2, v61, v1
	s_delay_alu instid0(VALU_DEP_1)
	v_lshlrev_b32_e32 v2, 2, v2
	ds_store_b32 v2, v62
	s_or_b32 exec_lo, exec_lo, s14
	s_and_saveexec_b32 s13, s12
	s_cbranch_execnz .LBB803_231
.LBB803_267:
	s_or_b32 exec_lo, exec_lo, s13
	s_and_saveexec_b32 s12, s11
	s_cbranch_execz .LBB803_232
.LBB803_268:
	v_sub_nc_u32_e32 v2, v53, v1
	s_delay_alu instid0(VALU_DEP_1)
	v_lshlrev_b32_e32 v2, 2, v2
	ds_store_b32 v2, v54
	s_or_b32 exec_lo, exec_lo, s12
	s_and_saveexec_b32 s11, s10
	s_cbranch_execnz .LBB803_233
.LBB803_269:
	s_or_b32 exec_lo, exec_lo, s11
	s_and_saveexec_b32 s10, s9
	s_cbranch_execz .LBB803_234
.LBB803_270:
	v_sub_nc_u32_e32 v2, v43, v1
	s_delay_alu instid0(VALU_DEP_1)
	v_lshlrev_b32_e32 v2, 2, v2
	ds_store_b32 v2, v44
	s_or_b32 exec_lo, exec_lo, s10
	s_and_saveexec_b32 s9, s8
	s_cbranch_execnz .LBB803_235
.LBB803_271:
	s_or_b32 exec_lo, exec_lo, s9
	s_and_saveexec_b32 s8, s7
	s_cbranch_execz .LBB803_236
.LBB803_272:
	v_sub_nc_u32_e32 v2, v45, v1
	s_delay_alu instid0(VALU_DEP_1)
	v_lshlrev_b32_e32 v2, 2, v2
	ds_store_b32 v2, v46
	s_or_b32 exec_lo, exec_lo, s8
	s_and_saveexec_b32 s7, s6
	s_cbranch_execnz .LBB803_237
.LBB803_273:
	s_or_b32 exec_lo, exec_lo, s7
	s_and_saveexec_b32 s6, s5
	s_cbranch_execz .LBB803_238
.LBB803_274:
	v_sub_nc_u32_e32 v2, v33, v1
	s_delay_alu instid0(VALU_DEP_1)
	v_lshlrev_b32_e32 v2, 2, v2
	ds_store_b32 v2, v34
	s_or_b32 exec_lo, exec_lo, s6
	s_and_saveexec_b32 s5, s4
	s_cbranch_execnz .LBB803_239
.LBB803_275:
	s_or_b32 exec_lo, exec_lo, s5
	s_and_saveexec_b32 s4, s3
	s_cbranch_execz .LBB803_240
.LBB803_276:
	v_sub_nc_u32_e32 v2, v39, v1
	s_delay_alu instid0(VALU_DEP_1)
	v_lshlrev_b32_e32 v2, 2, v2
	ds_store_b32 v2, v40
	s_or_b32 exec_lo, exec_lo, s4
	s_and_saveexec_b32 s3, s2
	s_cbranch_execnz .LBB803_241
.LBB803_277:
	s_or_b32 exec_lo, exec_lo, s3
	s_and_saveexec_b32 s2, s1
	s_cbranch_execz .LBB803_279
.LBB803_278:
	v_sub_nc_u32_e32 v2, v59, v1
	s_delay_alu instid0(VALU_DEP_1)
	v_lshlrev_b32_e32 v2, 2, v2
	ds_store_b32 v2, v60
.LBB803_279:
	s_or_b32 exec_lo, exec_lo, s2
	s_delay_alu instid0(SALU_CYCLE_1)
	s_and_b32 s18, s0, exec_lo
                                        ; implicit-def: $vgpr55_vgpr56
                                        ; implicit-def: $vgpr61_vgpr62
                                        ; implicit-def: $vgpr57_vgpr58
                                        ; implicit-def: $vgpr53_vgpr54
                                        ; implicit-def: $vgpr47_vgpr48
                                        ; implicit-def: $vgpr43_vgpr44
                                        ; implicit-def: $vgpr41_vgpr42
                                        ; implicit-def: $vgpr45_vgpr46
                                        ; implicit-def: $vgpr49_vgpr50
                                        ; implicit-def: $vgpr33_vgpr34
                                        ; implicit-def: $vgpr35_vgpr36
                                        ; implicit-def: $vgpr39_vgpr40
                                        ; implicit-def: $vgpr63_vgpr64
                                        ; implicit-def: $vgpr59_vgpr60
	s_and_not1_saveexec_b32 s0, s16
	s_cbranch_execnz .LBB803_245
.LBB803_280:
	s_or_b32 exec_lo, exec_lo, s0
	s_delay_alu instid0(SALU_CYCLE_1)
	s_and_b32 exec_lo, exec_lo, s18
	s_cbranch_execz .LBB803_282
.LBB803_281:
	v_sub_nc_u32_e32 v1, v51, v1
	s_delay_alu instid0(VALU_DEP_1)
	v_lshlrev_b32_e32 v1, 2, v1
	ds_store_b32 v1, v52
.LBB803_282:
	s_or_b32 exec_lo, exec_lo, s15
	s_delay_alu instid0(SALU_CYCLE_1)
	s_mov_b32 s1, exec_lo
	s_waitcnt lgkmcnt(0)
	s_waitcnt_vscnt null, 0x0
	s_barrier
	buffer_gl0_inv
	v_cmpx_lt_u32_e64 v0, v3
	s_cbranch_execz .LBB803_285
; %bb.283:
	v_dual_mov_b32 v1, v0 :: v_dual_lshlrev_b32 v8, 2, v0
	v_mov_b32_e32 v2, 0
	s_mov_b32 s2, 0
	.p2align	6
.LBB803_284:                            ; =>This Inner Loop Header: Depth=1
	ds_load_b32 v11, v8
	v_lshlrev_b64 v[9:10], 2, v[1:2]
	v_add_nc_u32_e32 v1, 0x100, v1
	v_add_nc_u32_e32 v8, 0x400, v8
	s_delay_alu instid0(VALU_DEP_2) | instskip(NEXT) | instid1(VALU_DEP_4)
	v_cmp_ge_u32_e32 vcc_lo, v1, v3
	v_add_co_u32 v9, s0, v6, v9
	s_delay_alu instid0(VALU_DEP_1)
	v_add_co_ci_u32_e64 v10, s0, v7, v10, s0
	s_or_b32 s2, vcc_lo, s2
	s_waitcnt lgkmcnt(0)
	global_store_b32 v[9:10], v11, off
	s_and_not1_b32 exec_lo, exec_lo, s2
	s_cbranch_execnz .LBB803_284
.LBB803_285:
	s_or_b32 exec_lo, exec_lo, s1
	v_cmp_eq_u32_e32 vcc_lo, 0xff, v0
	s_and_b32 s0, vcc_lo, s17
	s_delay_alu instid0(SALU_CYCLE_1)
	s_and_saveexec_b32 s1, s0
	s_cbranch_execz .LBB803_288
.LBB803_286:
	v_add_co_u32 v0, s0, v29, v31
	s_delay_alu instid0(VALU_DEP_1) | instskip(SKIP_1) | instid1(VALU_DEP_3)
	v_add_co_ci_u32_e64 v1, null, 0, 0, s0
	v_mov_b32_e32 v30, 0
	v_add_co_u32 v0, vcc_lo, v0, v65
	s_delay_alu instid0(VALU_DEP_3)
	v_add_co_ci_u32_e32 v1, vcc_lo, v1, v66, vcc_lo
	s_cmpk_lg_i32 s26, 0xf00
	global_store_b64 v30, v[0:1], s[30:31]
	s_cbranch_scc1 .LBB803_288
; %bb.287:
	v_lshlrev_b64 v[0:1], 2, v[29:30]
	s_delay_alu instid0(VALU_DEP_1) | instskip(NEXT) | instid1(VALU_DEP_2)
	v_add_co_u32 v0, vcc_lo, v4, v0
	v_add_co_ci_u32_e32 v1, vcc_lo, v5, v1, vcc_lo
	global_store_b32 v[0:1], v94, off offset:-4
	s_nop 0
	s_sendmsg sendmsg(MSG_DEALLOC_VGPRS)
	s_endpgm
.LBB803_288:
	s_nop 0
	s_sendmsg sendmsg(MSG_DEALLOC_VGPRS)
	s_endpgm
	.section	.rodata,"a",@progbits
	.p2align	6, 0x0
	.amdhsa_kernel _ZN7rocprim17ROCPRIM_400000_NS6detail17trampoline_kernelINS0_14default_configENS1_29reduce_by_key_config_selectorIxjN6thrust23THRUST_200600_302600_NS4plusIjEEEEZZNS1_33reduce_by_key_impl_wrapped_configILNS1_25lookback_scan_determinismE0ES3_S9_NS6_6detail15normal_iteratorINS6_10device_ptrIxEEEENSD_INSE_IjEEEESG_SI_PmS8_NS6_8equal_toIxEEEE10hipError_tPvRmT2_T3_mT4_T5_T6_T7_T8_P12ihipStream_tbENKUlT_T0_E_clISt17integral_constantIbLb0EES12_IbLb1EEEEDaSY_SZ_EUlSY_E_NS1_11comp_targetILNS1_3genE9ELNS1_11target_archE1100ELNS1_3gpuE3ELNS1_3repE0EEENS1_30default_config_static_selectorELNS0_4arch9wavefront6targetE0EEEvT1_
		.amdhsa_group_segment_fixed_size 30720
		.amdhsa_private_segment_fixed_size 0
		.amdhsa_kernarg_size 120
		.amdhsa_user_sgpr_count 15
		.amdhsa_user_sgpr_dispatch_ptr 0
		.amdhsa_user_sgpr_queue_ptr 0
		.amdhsa_user_sgpr_kernarg_segment_ptr 1
		.amdhsa_user_sgpr_dispatch_id 0
		.amdhsa_user_sgpr_private_segment_size 0
		.amdhsa_wavefront_size32 1
		.amdhsa_uses_dynamic_stack 0
		.amdhsa_enable_private_segment 0
		.amdhsa_system_sgpr_workgroup_id_x 1
		.amdhsa_system_sgpr_workgroup_id_y 0
		.amdhsa_system_sgpr_workgroup_id_z 0
		.amdhsa_system_sgpr_workgroup_info 0
		.amdhsa_system_vgpr_workitem_id 0
		.amdhsa_next_free_vgpr 100
		.amdhsa_next_free_sgpr 45
		.amdhsa_reserve_vcc 1
		.amdhsa_float_round_mode_32 0
		.amdhsa_float_round_mode_16_64 0
		.amdhsa_float_denorm_mode_32 3
		.amdhsa_float_denorm_mode_16_64 3
		.amdhsa_dx10_clamp 1
		.amdhsa_ieee_mode 1
		.amdhsa_fp16_overflow 0
		.amdhsa_workgroup_processor_mode 1
		.amdhsa_memory_ordered 1
		.amdhsa_forward_progress 0
		.amdhsa_shared_vgpr_count 0
		.amdhsa_exception_fp_ieee_invalid_op 0
		.amdhsa_exception_fp_denorm_src 0
		.amdhsa_exception_fp_ieee_div_zero 0
		.amdhsa_exception_fp_ieee_overflow 0
		.amdhsa_exception_fp_ieee_underflow 0
		.amdhsa_exception_fp_ieee_inexact 0
		.amdhsa_exception_int_div_zero 0
	.end_amdhsa_kernel
	.section	.text._ZN7rocprim17ROCPRIM_400000_NS6detail17trampoline_kernelINS0_14default_configENS1_29reduce_by_key_config_selectorIxjN6thrust23THRUST_200600_302600_NS4plusIjEEEEZZNS1_33reduce_by_key_impl_wrapped_configILNS1_25lookback_scan_determinismE0ES3_S9_NS6_6detail15normal_iteratorINS6_10device_ptrIxEEEENSD_INSE_IjEEEESG_SI_PmS8_NS6_8equal_toIxEEEE10hipError_tPvRmT2_T3_mT4_T5_T6_T7_T8_P12ihipStream_tbENKUlT_T0_E_clISt17integral_constantIbLb0EES12_IbLb1EEEEDaSY_SZ_EUlSY_E_NS1_11comp_targetILNS1_3genE9ELNS1_11target_archE1100ELNS1_3gpuE3ELNS1_3repE0EEENS1_30default_config_static_selectorELNS0_4arch9wavefront6targetE0EEEvT1_,"axG",@progbits,_ZN7rocprim17ROCPRIM_400000_NS6detail17trampoline_kernelINS0_14default_configENS1_29reduce_by_key_config_selectorIxjN6thrust23THRUST_200600_302600_NS4plusIjEEEEZZNS1_33reduce_by_key_impl_wrapped_configILNS1_25lookback_scan_determinismE0ES3_S9_NS6_6detail15normal_iteratorINS6_10device_ptrIxEEEENSD_INSE_IjEEEESG_SI_PmS8_NS6_8equal_toIxEEEE10hipError_tPvRmT2_T3_mT4_T5_T6_T7_T8_P12ihipStream_tbENKUlT_T0_E_clISt17integral_constantIbLb0EES12_IbLb1EEEEDaSY_SZ_EUlSY_E_NS1_11comp_targetILNS1_3genE9ELNS1_11target_archE1100ELNS1_3gpuE3ELNS1_3repE0EEENS1_30default_config_static_selectorELNS0_4arch9wavefront6targetE0EEEvT1_,comdat
.Lfunc_end803:
	.size	_ZN7rocprim17ROCPRIM_400000_NS6detail17trampoline_kernelINS0_14default_configENS1_29reduce_by_key_config_selectorIxjN6thrust23THRUST_200600_302600_NS4plusIjEEEEZZNS1_33reduce_by_key_impl_wrapped_configILNS1_25lookback_scan_determinismE0ES3_S9_NS6_6detail15normal_iteratorINS6_10device_ptrIxEEEENSD_INSE_IjEEEESG_SI_PmS8_NS6_8equal_toIxEEEE10hipError_tPvRmT2_T3_mT4_T5_T6_T7_T8_P12ihipStream_tbENKUlT_T0_E_clISt17integral_constantIbLb0EES12_IbLb1EEEEDaSY_SZ_EUlSY_E_NS1_11comp_targetILNS1_3genE9ELNS1_11target_archE1100ELNS1_3gpuE3ELNS1_3repE0EEENS1_30default_config_static_selectorELNS0_4arch9wavefront6targetE0EEEvT1_, .Lfunc_end803-_ZN7rocprim17ROCPRIM_400000_NS6detail17trampoline_kernelINS0_14default_configENS1_29reduce_by_key_config_selectorIxjN6thrust23THRUST_200600_302600_NS4plusIjEEEEZZNS1_33reduce_by_key_impl_wrapped_configILNS1_25lookback_scan_determinismE0ES3_S9_NS6_6detail15normal_iteratorINS6_10device_ptrIxEEEENSD_INSE_IjEEEESG_SI_PmS8_NS6_8equal_toIxEEEE10hipError_tPvRmT2_T3_mT4_T5_T6_T7_T8_P12ihipStream_tbENKUlT_T0_E_clISt17integral_constantIbLb0EES12_IbLb1EEEEDaSY_SZ_EUlSY_E_NS1_11comp_targetILNS1_3genE9ELNS1_11target_archE1100ELNS1_3gpuE3ELNS1_3repE0EEENS1_30default_config_static_selectorELNS0_4arch9wavefront6targetE0EEEvT1_
                                        ; -- End function
	.section	.AMDGPU.csdata,"",@progbits
; Kernel info:
; codeLenInByte = 17640
; NumSgprs: 47
; NumVgprs: 100
; ScratchSize: 0
; MemoryBound: 0
; FloatMode: 240
; IeeeMode: 1
; LDSByteSize: 30720 bytes/workgroup (compile time only)
; SGPRBlocks: 5
; VGPRBlocks: 12
; NumSGPRsForWavesPerEU: 47
; NumVGPRsForWavesPerEU: 100
; Occupancy: 8
; WaveLimiterHint : 1
; COMPUTE_PGM_RSRC2:SCRATCH_EN: 0
; COMPUTE_PGM_RSRC2:USER_SGPR: 15
; COMPUTE_PGM_RSRC2:TRAP_HANDLER: 0
; COMPUTE_PGM_RSRC2:TGID_X_EN: 1
; COMPUTE_PGM_RSRC2:TGID_Y_EN: 0
; COMPUTE_PGM_RSRC2:TGID_Z_EN: 0
; COMPUTE_PGM_RSRC2:TIDIG_COMP_CNT: 0
	.section	.text._ZN7rocprim17ROCPRIM_400000_NS6detail17trampoline_kernelINS0_14default_configENS1_29reduce_by_key_config_selectorIxjN6thrust23THRUST_200600_302600_NS4plusIjEEEEZZNS1_33reduce_by_key_impl_wrapped_configILNS1_25lookback_scan_determinismE0ES3_S9_NS6_6detail15normal_iteratorINS6_10device_ptrIxEEEENSD_INSE_IjEEEESG_SI_PmS8_NS6_8equal_toIxEEEE10hipError_tPvRmT2_T3_mT4_T5_T6_T7_T8_P12ihipStream_tbENKUlT_T0_E_clISt17integral_constantIbLb0EES12_IbLb1EEEEDaSY_SZ_EUlSY_E_NS1_11comp_targetILNS1_3genE8ELNS1_11target_archE1030ELNS1_3gpuE2ELNS1_3repE0EEENS1_30default_config_static_selectorELNS0_4arch9wavefront6targetE0EEEvT1_,"axG",@progbits,_ZN7rocprim17ROCPRIM_400000_NS6detail17trampoline_kernelINS0_14default_configENS1_29reduce_by_key_config_selectorIxjN6thrust23THRUST_200600_302600_NS4plusIjEEEEZZNS1_33reduce_by_key_impl_wrapped_configILNS1_25lookback_scan_determinismE0ES3_S9_NS6_6detail15normal_iteratorINS6_10device_ptrIxEEEENSD_INSE_IjEEEESG_SI_PmS8_NS6_8equal_toIxEEEE10hipError_tPvRmT2_T3_mT4_T5_T6_T7_T8_P12ihipStream_tbENKUlT_T0_E_clISt17integral_constantIbLb0EES12_IbLb1EEEEDaSY_SZ_EUlSY_E_NS1_11comp_targetILNS1_3genE8ELNS1_11target_archE1030ELNS1_3gpuE2ELNS1_3repE0EEENS1_30default_config_static_selectorELNS0_4arch9wavefront6targetE0EEEvT1_,comdat
	.protected	_ZN7rocprim17ROCPRIM_400000_NS6detail17trampoline_kernelINS0_14default_configENS1_29reduce_by_key_config_selectorIxjN6thrust23THRUST_200600_302600_NS4plusIjEEEEZZNS1_33reduce_by_key_impl_wrapped_configILNS1_25lookback_scan_determinismE0ES3_S9_NS6_6detail15normal_iteratorINS6_10device_ptrIxEEEENSD_INSE_IjEEEESG_SI_PmS8_NS6_8equal_toIxEEEE10hipError_tPvRmT2_T3_mT4_T5_T6_T7_T8_P12ihipStream_tbENKUlT_T0_E_clISt17integral_constantIbLb0EES12_IbLb1EEEEDaSY_SZ_EUlSY_E_NS1_11comp_targetILNS1_3genE8ELNS1_11target_archE1030ELNS1_3gpuE2ELNS1_3repE0EEENS1_30default_config_static_selectorELNS0_4arch9wavefront6targetE0EEEvT1_ ; -- Begin function _ZN7rocprim17ROCPRIM_400000_NS6detail17trampoline_kernelINS0_14default_configENS1_29reduce_by_key_config_selectorIxjN6thrust23THRUST_200600_302600_NS4plusIjEEEEZZNS1_33reduce_by_key_impl_wrapped_configILNS1_25lookback_scan_determinismE0ES3_S9_NS6_6detail15normal_iteratorINS6_10device_ptrIxEEEENSD_INSE_IjEEEESG_SI_PmS8_NS6_8equal_toIxEEEE10hipError_tPvRmT2_T3_mT4_T5_T6_T7_T8_P12ihipStream_tbENKUlT_T0_E_clISt17integral_constantIbLb0EES12_IbLb1EEEEDaSY_SZ_EUlSY_E_NS1_11comp_targetILNS1_3genE8ELNS1_11target_archE1030ELNS1_3gpuE2ELNS1_3repE0EEENS1_30default_config_static_selectorELNS0_4arch9wavefront6targetE0EEEvT1_
	.globl	_ZN7rocprim17ROCPRIM_400000_NS6detail17trampoline_kernelINS0_14default_configENS1_29reduce_by_key_config_selectorIxjN6thrust23THRUST_200600_302600_NS4plusIjEEEEZZNS1_33reduce_by_key_impl_wrapped_configILNS1_25lookback_scan_determinismE0ES3_S9_NS6_6detail15normal_iteratorINS6_10device_ptrIxEEEENSD_INSE_IjEEEESG_SI_PmS8_NS6_8equal_toIxEEEE10hipError_tPvRmT2_T3_mT4_T5_T6_T7_T8_P12ihipStream_tbENKUlT_T0_E_clISt17integral_constantIbLb0EES12_IbLb1EEEEDaSY_SZ_EUlSY_E_NS1_11comp_targetILNS1_3genE8ELNS1_11target_archE1030ELNS1_3gpuE2ELNS1_3repE0EEENS1_30default_config_static_selectorELNS0_4arch9wavefront6targetE0EEEvT1_
	.p2align	8
	.type	_ZN7rocprim17ROCPRIM_400000_NS6detail17trampoline_kernelINS0_14default_configENS1_29reduce_by_key_config_selectorIxjN6thrust23THRUST_200600_302600_NS4plusIjEEEEZZNS1_33reduce_by_key_impl_wrapped_configILNS1_25lookback_scan_determinismE0ES3_S9_NS6_6detail15normal_iteratorINS6_10device_ptrIxEEEENSD_INSE_IjEEEESG_SI_PmS8_NS6_8equal_toIxEEEE10hipError_tPvRmT2_T3_mT4_T5_T6_T7_T8_P12ihipStream_tbENKUlT_T0_E_clISt17integral_constantIbLb0EES12_IbLb1EEEEDaSY_SZ_EUlSY_E_NS1_11comp_targetILNS1_3genE8ELNS1_11target_archE1030ELNS1_3gpuE2ELNS1_3repE0EEENS1_30default_config_static_selectorELNS0_4arch9wavefront6targetE0EEEvT1_,@function
_ZN7rocprim17ROCPRIM_400000_NS6detail17trampoline_kernelINS0_14default_configENS1_29reduce_by_key_config_selectorIxjN6thrust23THRUST_200600_302600_NS4plusIjEEEEZZNS1_33reduce_by_key_impl_wrapped_configILNS1_25lookback_scan_determinismE0ES3_S9_NS6_6detail15normal_iteratorINS6_10device_ptrIxEEEENSD_INSE_IjEEEESG_SI_PmS8_NS6_8equal_toIxEEEE10hipError_tPvRmT2_T3_mT4_T5_T6_T7_T8_P12ihipStream_tbENKUlT_T0_E_clISt17integral_constantIbLb0EES12_IbLb1EEEEDaSY_SZ_EUlSY_E_NS1_11comp_targetILNS1_3genE8ELNS1_11target_archE1030ELNS1_3gpuE2ELNS1_3repE0EEENS1_30default_config_static_selectorELNS0_4arch9wavefront6targetE0EEEvT1_: ; @_ZN7rocprim17ROCPRIM_400000_NS6detail17trampoline_kernelINS0_14default_configENS1_29reduce_by_key_config_selectorIxjN6thrust23THRUST_200600_302600_NS4plusIjEEEEZZNS1_33reduce_by_key_impl_wrapped_configILNS1_25lookback_scan_determinismE0ES3_S9_NS6_6detail15normal_iteratorINS6_10device_ptrIxEEEENSD_INSE_IjEEEESG_SI_PmS8_NS6_8equal_toIxEEEE10hipError_tPvRmT2_T3_mT4_T5_T6_T7_T8_P12ihipStream_tbENKUlT_T0_E_clISt17integral_constantIbLb0EES12_IbLb1EEEEDaSY_SZ_EUlSY_E_NS1_11comp_targetILNS1_3genE8ELNS1_11target_archE1030ELNS1_3gpuE2ELNS1_3repE0EEENS1_30default_config_static_selectorELNS0_4arch9wavefront6targetE0EEEvT1_
; %bb.0:
	.section	.rodata,"a",@progbits
	.p2align	6, 0x0
	.amdhsa_kernel _ZN7rocprim17ROCPRIM_400000_NS6detail17trampoline_kernelINS0_14default_configENS1_29reduce_by_key_config_selectorIxjN6thrust23THRUST_200600_302600_NS4plusIjEEEEZZNS1_33reduce_by_key_impl_wrapped_configILNS1_25lookback_scan_determinismE0ES3_S9_NS6_6detail15normal_iteratorINS6_10device_ptrIxEEEENSD_INSE_IjEEEESG_SI_PmS8_NS6_8equal_toIxEEEE10hipError_tPvRmT2_T3_mT4_T5_T6_T7_T8_P12ihipStream_tbENKUlT_T0_E_clISt17integral_constantIbLb0EES12_IbLb1EEEEDaSY_SZ_EUlSY_E_NS1_11comp_targetILNS1_3genE8ELNS1_11target_archE1030ELNS1_3gpuE2ELNS1_3repE0EEENS1_30default_config_static_selectorELNS0_4arch9wavefront6targetE0EEEvT1_
		.amdhsa_group_segment_fixed_size 0
		.amdhsa_private_segment_fixed_size 0
		.amdhsa_kernarg_size 120
		.amdhsa_user_sgpr_count 15
		.amdhsa_user_sgpr_dispatch_ptr 0
		.amdhsa_user_sgpr_queue_ptr 0
		.amdhsa_user_sgpr_kernarg_segment_ptr 1
		.amdhsa_user_sgpr_dispatch_id 0
		.amdhsa_user_sgpr_private_segment_size 0
		.amdhsa_wavefront_size32 1
		.amdhsa_uses_dynamic_stack 0
		.amdhsa_enable_private_segment 0
		.amdhsa_system_sgpr_workgroup_id_x 1
		.amdhsa_system_sgpr_workgroup_id_y 0
		.amdhsa_system_sgpr_workgroup_id_z 0
		.amdhsa_system_sgpr_workgroup_info 0
		.amdhsa_system_vgpr_workitem_id 0
		.amdhsa_next_free_vgpr 1
		.amdhsa_next_free_sgpr 1
		.amdhsa_reserve_vcc 0
		.amdhsa_float_round_mode_32 0
		.amdhsa_float_round_mode_16_64 0
		.amdhsa_float_denorm_mode_32 3
		.amdhsa_float_denorm_mode_16_64 3
		.amdhsa_dx10_clamp 1
		.amdhsa_ieee_mode 1
		.amdhsa_fp16_overflow 0
		.amdhsa_workgroup_processor_mode 1
		.amdhsa_memory_ordered 1
		.amdhsa_forward_progress 0
		.amdhsa_shared_vgpr_count 0
		.amdhsa_exception_fp_ieee_invalid_op 0
		.amdhsa_exception_fp_denorm_src 0
		.amdhsa_exception_fp_ieee_div_zero 0
		.amdhsa_exception_fp_ieee_overflow 0
		.amdhsa_exception_fp_ieee_underflow 0
		.amdhsa_exception_fp_ieee_inexact 0
		.amdhsa_exception_int_div_zero 0
	.end_amdhsa_kernel
	.section	.text._ZN7rocprim17ROCPRIM_400000_NS6detail17trampoline_kernelINS0_14default_configENS1_29reduce_by_key_config_selectorIxjN6thrust23THRUST_200600_302600_NS4plusIjEEEEZZNS1_33reduce_by_key_impl_wrapped_configILNS1_25lookback_scan_determinismE0ES3_S9_NS6_6detail15normal_iteratorINS6_10device_ptrIxEEEENSD_INSE_IjEEEESG_SI_PmS8_NS6_8equal_toIxEEEE10hipError_tPvRmT2_T3_mT4_T5_T6_T7_T8_P12ihipStream_tbENKUlT_T0_E_clISt17integral_constantIbLb0EES12_IbLb1EEEEDaSY_SZ_EUlSY_E_NS1_11comp_targetILNS1_3genE8ELNS1_11target_archE1030ELNS1_3gpuE2ELNS1_3repE0EEENS1_30default_config_static_selectorELNS0_4arch9wavefront6targetE0EEEvT1_,"axG",@progbits,_ZN7rocprim17ROCPRIM_400000_NS6detail17trampoline_kernelINS0_14default_configENS1_29reduce_by_key_config_selectorIxjN6thrust23THRUST_200600_302600_NS4plusIjEEEEZZNS1_33reduce_by_key_impl_wrapped_configILNS1_25lookback_scan_determinismE0ES3_S9_NS6_6detail15normal_iteratorINS6_10device_ptrIxEEEENSD_INSE_IjEEEESG_SI_PmS8_NS6_8equal_toIxEEEE10hipError_tPvRmT2_T3_mT4_T5_T6_T7_T8_P12ihipStream_tbENKUlT_T0_E_clISt17integral_constantIbLb0EES12_IbLb1EEEEDaSY_SZ_EUlSY_E_NS1_11comp_targetILNS1_3genE8ELNS1_11target_archE1030ELNS1_3gpuE2ELNS1_3repE0EEENS1_30default_config_static_selectorELNS0_4arch9wavefront6targetE0EEEvT1_,comdat
.Lfunc_end804:
	.size	_ZN7rocprim17ROCPRIM_400000_NS6detail17trampoline_kernelINS0_14default_configENS1_29reduce_by_key_config_selectorIxjN6thrust23THRUST_200600_302600_NS4plusIjEEEEZZNS1_33reduce_by_key_impl_wrapped_configILNS1_25lookback_scan_determinismE0ES3_S9_NS6_6detail15normal_iteratorINS6_10device_ptrIxEEEENSD_INSE_IjEEEESG_SI_PmS8_NS6_8equal_toIxEEEE10hipError_tPvRmT2_T3_mT4_T5_T6_T7_T8_P12ihipStream_tbENKUlT_T0_E_clISt17integral_constantIbLb0EES12_IbLb1EEEEDaSY_SZ_EUlSY_E_NS1_11comp_targetILNS1_3genE8ELNS1_11target_archE1030ELNS1_3gpuE2ELNS1_3repE0EEENS1_30default_config_static_selectorELNS0_4arch9wavefront6targetE0EEEvT1_, .Lfunc_end804-_ZN7rocprim17ROCPRIM_400000_NS6detail17trampoline_kernelINS0_14default_configENS1_29reduce_by_key_config_selectorIxjN6thrust23THRUST_200600_302600_NS4plusIjEEEEZZNS1_33reduce_by_key_impl_wrapped_configILNS1_25lookback_scan_determinismE0ES3_S9_NS6_6detail15normal_iteratorINS6_10device_ptrIxEEEENSD_INSE_IjEEEESG_SI_PmS8_NS6_8equal_toIxEEEE10hipError_tPvRmT2_T3_mT4_T5_T6_T7_T8_P12ihipStream_tbENKUlT_T0_E_clISt17integral_constantIbLb0EES12_IbLb1EEEEDaSY_SZ_EUlSY_E_NS1_11comp_targetILNS1_3genE8ELNS1_11target_archE1030ELNS1_3gpuE2ELNS1_3repE0EEENS1_30default_config_static_selectorELNS0_4arch9wavefront6targetE0EEEvT1_
                                        ; -- End function
	.section	.AMDGPU.csdata,"",@progbits
; Kernel info:
; codeLenInByte = 0
; NumSgprs: 0
; NumVgprs: 0
; ScratchSize: 0
; MemoryBound: 0
; FloatMode: 240
; IeeeMode: 1
; LDSByteSize: 0 bytes/workgroup (compile time only)
; SGPRBlocks: 0
; VGPRBlocks: 0
; NumSGPRsForWavesPerEU: 1
; NumVGPRsForWavesPerEU: 1
; Occupancy: 16
; WaveLimiterHint : 0
; COMPUTE_PGM_RSRC2:SCRATCH_EN: 0
; COMPUTE_PGM_RSRC2:USER_SGPR: 15
; COMPUTE_PGM_RSRC2:TRAP_HANDLER: 0
; COMPUTE_PGM_RSRC2:TGID_X_EN: 1
; COMPUTE_PGM_RSRC2:TGID_Y_EN: 0
; COMPUTE_PGM_RSRC2:TGID_Z_EN: 0
; COMPUTE_PGM_RSRC2:TIDIG_COMP_CNT: 0
	.section	.text._ZN7rocprim17ROCPRIM_400000_NS6detail17trampoline_kernelINS0_14default_configENS1_29reduce_by_key_config_selectorIijN6thrust23THRUST_200600_302600_NS4plusIjEEEEZZNS1_33reduce_by_key_impl_wrapped_configILNS1_25lookback_scan_determinismE0ES3_S9_NS6_6detail15normal_iteratorINS6_10device_ptrIiEEEENSD_INSE_IjEEEESG_SI_PmS8_NS6_8equal_toIiEEEE10hipError_tPvRmT2_T3_mT4_T5_T6_T7_T8_P12ihipStream_tbENKUlT_T0_E_clISt17integral_constantIbLb0EES13_EEDaSY_SZ_EUlSY_E_NS1_11comp_targetILNS1_3genE0ELNS1_11target_archE4294967295ELNS1_3gpuE0ELNS1_3repE0EEENS1_30default_config_static_selectorELNS0_4arch9wavefront6targetE0EEEvT1_,"axG",@progbits,_ZN7rocprim17ROCPRIM_400000_NS6detail17trampoline_kernelINS0_14default_configENS1_29reduce_by_key_config_selectorIijN6thrust23THRUST_200600_302600_NS4plusIjEEEEZZNS1_33reduce_by_key_impl_wrapped_configILNS1_25lookback_scan_determinismE0ES3_S9_NS6_6detail15normal_iteratorINS6_10device_ptrIiEEEENSD_INSE_IjEEEESG_SI_PmS8_NS6_8equal_toIiEEEE10hipError_tPvRmT2_T3_mT4_T5_T6_T7_T8_P12ihipStream_tbENKUlT_T0_E_clISt17integral_constantIbLb0EES13_EEDaSY_SZ_EUlSY_E_NS1_11comp_targetILNS1_3genE0ELNS1_11target_archE4294967295ELNS1_3gpuE0ELNS1_3repE0EEENS1_30default_config_static_selectorELNS0_4arch9wavefront6targetE0EEEvT1_,comdat
	.protected	_ZN7rocprim17ROCPRIM_400000_NS6detail17trampoline_kernelINS0_14default_configENS1_29reduce_by_key_config_selectorIijN6thrust23THRUST_200600_302600_NS4plusIjEEEEZZNS1_33reduce_by_key_impl_wrapped_configILNS1_25lookback_scan_determinismE0ES3_S9_NS6_6detail15normal_iteratorINS6_10device_ptrIiEEEENSD_INSE_IjEEEESG_SI_PmS8_NS6_8equal_toIiEEEE10hipError_tPvRmT2_T3_mT4_T5_T6_T7_T8_P12ihipStream_tbENKUlT_T0_E_clISt17integral_constantIbLb0EES13_EEDaSY_SZ_EUlSY_E_NS1_11comp_targetILNS1_3genE0ELNS1_11target_archE4294967295ELNS1_3gpuE0ELNS1_3repE0EEENS1_30default_config_static_selectorELNS0_4arch9wavefront6targetE0EEEvT1_ ; -- Begin function _ZN7rocprim17ROCPRIM_400000_NS6detail17trampoline_kernelINS0_14default_configENS1_29reduce_by_key_config_selectorIijN6thrust23THRUST_200600_302600_NS4plusIjEEEEZZNS1_33reduce_by_key_impl_wrapped_configILNS1_25lookback_scan_determinismE0ES3_S9_NS6_6detail15normal_iteratorINS6_10device_ptrIiEEEENSD_INSE_IjEEEESG_SI_PmS8_NS6_8equal_toIiEEEE10hipError_tPvRmT2_T3_mT4_T5_T6_T7_T8_P12ihipStream_tbENKUlT_T0_E_clISt17integral_constantIbLb0EES13_EEDaSY_SZ_EUlSY_E_NS1_11comp_targetILNS1_3genE0ELNS1_11target_archE4294967295ELNS1_3gpuE0ELNS1_3repE0EEENS1_30default_config_static_selectorELNS0_4arch9wavefront6targetE0EEEvT1_
	.globl	_ZN7rocprim17ROCPRIM_400000_NS6detail17trampoline_kernelINS0_14default_configENS1_29reduce_by_key_config_selectorIijN6thrust23THRUST_200600_302600_NS4plusIjEEEEZZNS1_33reduce_by_key_impl_wrapped_configILNS1_25lookback_scan_determinismE0ES3_S9_NS6_6detail15normal_iteratorINS6_10device_ptrIiEEEENSD_INSE_IjEEEESG_SI_PmS8_NS6_8equal_toIiEEEE10hipError_tPvRmT2_T3_mT4_T5_T6_T7_T8_P12ihipStream_tbENKUlT_T0_E_clISt17integral_constantIbLb0EES13_EEDaSY_SZ_EUlSY_E_NS1_11comp_targetILNS1_3genE0ELNS1_11target_archE4294967295ELNS1_3gpuE0ELNS1_3repE0EEENS1_30default_config_static_selectorELNS0_4arch9wavefront6targetE0EEEvT1_
	.p2align	8
	.type	_ZN7rocprim17ROCPRIM_400000_NS6detail17trampoline_kernelINS0_14default_configENS1_29reduce_by_key_config_selectorIijN6thrust23THRUST_200600_302600_NS4plusIjEEEEZZNS1_33reduce_by_key_impl_wrapped_configILNS1_25lookback_scan_determinismE0ES3_S9_NS6_6detail15normal_iteratorINS6_10device_ptrIiEEEENSD_INSE_IjEEEESG_SI_PmS8_NS6_8equal_toIiEEEE10hipError_tPvRmT2_T3_mT4_T5_T6_T7_T8_P12ihipStream_tbENKUlT_T0_E_clISt17integral_constantIbLb0EES13_EEDaSY_SZ_EUlSY_E_NS1_11comp_targetILNS1_3genE0ELNS1_11target_archE4294967295ELNS1_3gpuE0ELNS1_3repE0EEENS1_30default_config_static_selectorELNS0_4arch9wavefront6targetE0EEEvT1_,@function
_ZN7rocprim17ROCPRIM_400000_NS6detail17trampoline_kernelINS0_14default_configENS1_29reduce_by_key_config_selectorIijN6thrust23THRUST_200600_302600_NS4plusIjEEEEZZNS1_33reduce_by_key_impl_wrapped_configILNS1_25lookback_scan_determinismE0ES3_S9_NS6_6detail15normal_iteratorINS6_10device_ptrIiEEEENSD_INSE_IjEEEESG_SI_PmS8_NS6_8equal_toIiEEEE10hipError_tPvRmT2_T3_mT4_T5_T6_T7_T8_P12ihipStream_tbENKUlT_T0_E_clISt17integral_constantIbLb0EES13_EEDaSY_SZ_EUlSY_E_NS1_11comp_targetILNS1_3genE0ELNS1_11target_archE4294967295ELNS1_3gpuE0ELNS1_3repE0EEENS1_30default_config_static_selectorELNS0_4arch9wavefront6targetE0EEEvT1_: ; @_ZN7rocprim17ROCPRIM_400000_NS6detail17trampoline_kernelINS0_14default_configENS1_29reduce_by_key_config_selectorIijN6thrust23THRUST_200600_302600_NS4plusIjEEEEZZNS1_33reduce_by_key_impl_wrapped_configILNS1_25lookback_scan_determinismE0ES3_S9_NS6_6detail15normal_iteratorINS6_10device_ptrIiEEEENSD_INSE_IjEEEESG_SI_PmS8_NS6_8equal_toIiEEEE10hipError_tPvRmT2_T3_mT4_T5_T6_T7_T8_P12ihipStream_tbENKUlT_T0_E_clISt17integral_constantIbLb0EES13_EEDaSY_SZ_EUlSY_E_NS1_11comp_targetILNS1_3genE0ELNS1_11target_archE4294967295ELNS1_3gpuE0ELNS1_3repE0EEENS1_30default_config_static_selectorELNS0_4arch9wavefront6targetE0EEEvT1_
; %bb.0:
	.section	.rodata,"a",@progbits
	.p2align	6, 0x0
	.amdhsa_kernel _ZN7rocprim17ROCPRIM_400000_NS6detail17trampoline_kernelINS0_14default_configENS1_29reduce_by_key_config_selectorIijN6thrust23THRUST_200600_302600_NS4plusIjEEEEZZNS1_33reduce_by_key_impl_wrapped_configILNS1_25lookback_scan_determinismE0ES3_S9_NS6_6detail15normal_iteratorINS6_10device_ptrIiEEEENSD_INSE_IjEEEESG_SI_PmS8_NS6_8equal_toIiEEEE10hipError_tPvRmT2_T3_mT4_T5_T6_T7_T8_P12ihipStream_tbENKUlT_T0_E_clISt17integral_constantIbLb0EES13_EEDaSY_SZ_EUlSY_E_NS1_11comp_targetILNS1_3genE0ELNS1_11target_archE4294967295ELNS1_3gpuE0ELNS1_3repE0EEENS1_30default_config_static_selectorELNS0_4arch9wavefront6targetE0EEEvT1_
		.amdhsa_group_segment_fixed_size 0
		.amdhsa_private_segment_fixed_size 0
		.amdhsa_kernarg_size 120
		.amdhsa_user_sgpr_count 15
		.amdhsa_user_sgpr_dispatch_ptr 0
		.amdhsa_user_sgpr_queue_ptr 0
		.amdhsa_user_sgpr_kernarg_segment_ptr 1
		.amdhsa_user_sgpr_dispatch_id 0
		.amdhsa_user_sgpr_private_segment_size 0
		.amdhsa_wavefront_size32 1
		.amdhsa_uses_dynamic_stack 0
		.amdhsa_enable_private_segment 0
		.amdhsa_system_sgpr_workgroup_id_x 1
		.amdhsa_system_sgpr_workgroup_id_y 0
		.amdhsa_system_sgpr_workgroup_id_z 0
		.amdhsa_system_sgpr_workgroup_info 0
		.amdhsa_system_vgpr_workitem_id 0
		.amdhsa_next_free_vgpr 1
		.amdhsa_next_free_sgpr 1
		.amdhsa_reserve_vcc 0
		.amdhsa_float_round_mode_32 0
		.amdhsa_float_round_mode_16_64 0
		.amdhsa_float_denorm_mode_32 3
		.amdhsa_float_denorm_mode_16_64 3
		.amdhsa_dx10_clamp 1
		.amdhsa_ieee_mode 1
		.amdhsa_fp16_overflow 0
		.amdhsa_workgroup_processor_mode 1
		.amdhsa_memory_ordered 1
		.amdhsa_forward_progress 0
		.amdhsa_shared_vgpr_count 0
		.amdhsa_exception_fp_ieee_invalid_op 0
		.amdhsa_exception_fp_denorm_src 0
		.amdhsa_exception_fp_ieee_div_zero 0
		.amdhsa_exception_fp_ieee_overflow 0
		.amdhsa_exception_fp_ieee_underflow 0
		.amdhsa_exception_fp_ieee_inexact 0
		.amdhsa_exception_int_div_zero 0
	.end_amdhsa_kernel
	.section	.text._ZN7rocprim17ROCPRIM_400000_NS6detail17trampoline_kernelINS0_14default_configENS1_29reduce_by_key_config_selectorIijN6thrust23THRUST_200600_302600_NS4plusIjEEEEZZNS1_33reduce_by_key_impl_wrapped_configILNS1_25lookback_scan_determinismE0ES3_S9_NS6_6detail15normal_iteratorINS6_10device_ptrIiEEEENSD_INSE_IjEEEESG_SI_PmS8_NS6_8equal_toIiEEEE10hipError_tPvRmT2_T3_mT4_T5_T6_T7_T8_P12ihipStream_tbENKUlT_T0_E_clISt17integral_constantIbLb0EES13_EEDaSY_SZ_EUlSY_E_NS1_11comp_targetILNS1_3genE0ELNS1_11target_archE4294967295ELNS1_3gpuE0ELNS1_3repE0EEENS1_30default_config_static_selectorELNS0_4arch9wavefront6targetE0EEEvT1_,"axG",@progbits,_ZN7rocprim17ROCPRIM_400000_NS6detail17trampoline_kernelINS0_14default_configENS1_29reduce_by_key_config_selectorIijN6thrust23THRUST_200600_302600_NS4plusIjEEEEZZNS1_33reduce_by_key_impl_wrapped_configILNS1_25lookback_scan_determinismE0ES3_S9_NS6_6detail15normal_iteratorINS6_10device_ptrIiEEEENSD_INSE_IjEEEESG_SI_PmS8_NS6_8equal_toIiEEEE10hipError_tPvRmT2_T3_mT4_T5_T6_T7_T8_P12ihipStream_tbENKUlT_T0_E_clISt17integral_constantIbLb0EES13_EEDaSY_SZ_EUlSY_E_NS1_11comp_targetILNS1_3genE0ELNS1_11target_archE4294967295ELNS1_3gpuE0ELNS1_3repE0EEENS1_30default_config_static_selectorELNS0_4arch9wavefront6targetE0EEEvT1_,comdat
.Lfunc_end805:
	.size	_ZN7rocprim17ROCPRIM_400000_NS6detail17trampoline_kernelINS0_14default_configENS1_29reduce_by_key_config_selectorIijN6thrust23THRUST_200600_302600_NS4plusIjEEEEZZNS1_33reduce_by_key_impl_wrapped_configILNS1_25lookback_scan_determinismE0ES3_S9_NS6_6detail15normal_iteratorINS6_10device_ptrIiEEEENSD_INSE_IjEEEESG_SI_PmS8_NS6_8equal_toIiEEEE10hipError_tPvRmT2_T3_mT4_T5_T6_T7_T8_P12ihipStream_tbENKUlT_T0_E_clISt17integral_constantIbLb0EES13_EEDaSY_SZ_EUlSY_E_NS1_11comp_targetILNS1_3genE0ELNS1_11target_archE4294967295ELNS1_3gpuE0ELNS1_3repE0EEENS1_30default_config_static_selectorELNS0_4arch9wavefront6targetE0EEEvT1_, .Lfunc_end805-_ZN7rocprim17ROCPRIM_400000_NS6detail17trampoline_kernelINS0_14default_configENS1_29reduce_by_key_config_selectorIijN6thrust23THRUST_200600_302600_NS4plusIjEEEEZZNS1_33reduce_by_key_impl_wrapped_configILNS1_25lookback_scan_determinismE0ES3_S9_NS6_6detail15normal_iteratorINS6_10device_ptrIiEEEENSD_INSE_IjEEEESG_SI_PmS8_NS6_8equal_toIiEEEE10hipError_tPvRmT2_T3_mT4_T5_T6_T7_T8_P12ihipStream_tbENKUlT_T0_E_clISt17integral_constantIbLb0EES13_EEDaSY_SZ_EUlSY_E_NS1_11comp_targetILNS1_3genE0ELNS1_11target_archE4294967295ELNS1_3gpuE0ELNS1_3repE0EEENS1_30default_config_static_selectorELNS0_4arch9wavefront6targetE0EEEvT1_
                                        ; -- End function
	.section	.AMDGPU.csdata,"",@progbits
; Kernel info:
; codeLenInByte = 0
; NumSgprs: 0
; NumVgprs: 0
; ScratchSize: 0
; MemoryBound: 0
; FloatMode: 240
; IeeeMode: 1
; LDSByteSize: 0 bytes/workgroup (compile time only)
; SGPRBlocks: 0
; VGPRBlocks: 0
; NumSGPRsForWavesPerEU: 1
; NumVGPRsForWavesPerEU: 1
; Occupancy: 16
; WaveLimiterHint : 0
; COMPUTE_PGM_RSRC2:SCRATCH_EN: 0
; COMPUTE_PGM_RSRC2:USER_SGPR: 15
; COMPUTE_PGM_RSRC2:TRAP_HANDLER: 0
; COMPUTE_PGM_RSRC2:TGID_X_EN: 1
; COMPUTE_PGM_RSRC2:TGID_Y_EN: 0
; COMPUTE_PGM_RSRC2:TGID_Z_EN: 0
; COMPUTE_PGM_RSRC2:TIDIG_COMP_CNT: 0
	.section	.text._ZN7rocprim17ROCPRIM_400000_NS6detail17trampoline_kernelINS0_14default_configENS1_29reduce_by_key_config_selectorIijN6thrust23THRUST_200600_302600_NS4plusIjEEEEZZNS1_33reduce_by_key_impl_wrapped_configILNS1_25lookback_scan_determinismE0ES3_S9_NS6_6detail15normal_iteratorINS6_10device_ptrIiEEEENSD_INSE_IjEEEESG_SI_PmS8_NS6_8equal_toIiEEEE10hipError_tPvRmT2_T3_mT4_T5_T6_T7_T8_P12ihipStream_tbENKUlT_T0_E_clISt17integral_constantIbLb0EES13_EEDaSY_SZ_EUlSY_E_NS1_11comp_targetILNS1_3genE5ELNS1_11target_archE942ELNS1_3gpuE9ELNS1_3repE0EEENS1_30default_config_static_selectorELNS0_4arch9wavefront6targetE0EEEvT1_,"axG",@progbits,_ZN7rocprim17ROCPRIM_400000_NS6detail17trampoline_kernelINS0_14default_configENS1_29reduce_by_key_config_selectorIijN6thrust23THRUST_200600_302600_NS4plusIjEEEEZZNS1_33reduce_by_key_impl_wrapped_configILNS1_25lookback_scan_determinismE0ES3_S9_NS6_6detail15normal_iteratorINS6_10device_ptrIiEEEENSD_INSE_IjEEEESG_SI_PmS8_NS6_8equal_toIiEEEE10hipError_tPvRmT2_T3_mT4_T5_T6_T7_T8_P12ihipStream_tbENKUlT_T0_E_clISt17integral_constantIbLb0EES13_EEDaSY_SZ_EUlSY_E_NS1_11comp_targetILNS1_3genE5ELNS1_11target_archE942ELNS1_3gpuE9ELNS1_3repE0EEENS1_30default_config_static_selectorELNS0_4arch9wavefront6targetE0EEEvT1_,comdat
	.protected	_ZN7rocprim17ROCPRIM_400000_NS6detail17trampoline_kernelINS0_14default_configENS1_29reduce_by_key_config_selectorIijN6thrust23THRUST_200600_302600_NS4plusIjEEEEZZNS1_33reduce_by_key_impl_wrapped_configILNS1_25lookback_scan_determinismE0ES3_S9_NS6_6detail15normal_iteratorINS6_10device_ptrIiEEEENSD_INSE_IjEEEESG_SI_PmS8_NS6_8equal_toIiEEEE10hipError_tPvRmT2_T3_mT4_T5_T6_T7_T8_P12ihipStream_tbENKUlT_T0_E_clISt17integral_constantIbLb0EES13_EEDaSY_SZ_EUlSY_E_NS1_11comp_targetILNS1_3genE5ELNS1_11target_archE942ELNS1_3gpuE9ELNS1_3repE0EEENS1_30default_config_static_selectorELNS0_4arch9wavefront6targetE0EEEvT1_ ; -- Begin function _ZN7rocprim17ROCPRIM_400000_NS6detail17trampoline_kernelINS0_14default_configENS1_29reduce_by_key_config_selectorIijN6thrust23THRUST_200600_302600_NS4plusIjEEEEZZNS1_33reduce_by_key_impl_wrapped_configILNS1_25lookback_scan_determinismE0ES3_S9_NS6_6detail15normal_iteratorINS6_10device_ptrIiEEEENSD_INSE_IjEEEESG_SI_PmS8_NS6_8equal_toIiEEEE10hipError_tPvRmT2_T3_mT4_T5_T6_T7_T8_P12ihipStream_tbENKUlT_T0_E_clISt17integral_constantIbLb0EES13_EEDaSY_SZ_EUlSY_E_NS1_11comp_targetILNS1_3genE5ELNS1_11target_archE942ELNS1_3gpuE9ELNS1_3repE0EEENS1_30default_config_static_selectorELNS0_4arch9wavefront6targetE0EEEvT1_
	.globl	_ZN7rocprim17ROCPRIM_400000_NS6detail17trampoline_kernelINS0_14default_configENS1_29reduce_by_key_config_selectorIijN6thrust23THRUST_200600_302600_NS4plusIjEEEEZZNS1_33reduce_by_key_impl_wrapped_configILNS1_25lookback_scan_determinismE0ES3_S9_NS6_6detail15normal_iteratorINS6_10device_ptrIiEEEENSD_INSE_IjEEEESG_SI_PmS8_NS6_8equal_toIiEEEE10hipError_tPvRmT2_T3_mT4_T5_T6_T7_T8_P12ihipStream_tbENKUlT_T0_E_clISt17integral_constantIbLb0EES13_EEDaSY_SZ_EUlSY_E_NS1_11comp_targetILNS1_3genE5ELNS1_11target_archE942ELNS1_3gpuE9ELNS1_3repE0EEENS1_30default_config_static_selectorELNS0_4arch9wavefront6targetE0EEEvT1_
	.p2align	8
	.type	_ZN7rocprim17ROCPRIM_400000_NS6detail17trampoline_kernelINS0_14default_configENS1_29reduce_by_key_config_selectorIijN6thrust23THRUST_200600_302600_NS4plusIjEEEEZZNS1_33reduce_by_key_impl_wrapped_configILNS1_25lookback_scan_determinismE0ES3_S9_NS6_6detail15normal_iteratorINS6_10device_ptrIiEEEENSD_INSE_IjEEEESG_SI_PmS8_NS6_8equal_toIiEEEE10hipError_tPvRmT2_T3_mT4_T5_T6_T7_T8_P12ihipStream_tbENKUlT_T0_E_clISt17integral_constantIbLb0EES13_EEDaSY_SZ_EUlSY_E_NS1_11comp_targetILNS1_3genE5ELNS1_11target_archE942ELNS1_3gpuE9ELNS1_3repE0EEENS1_30default_config_static_selectorELNS0_4arch9wavefront6targetE0EEEvT1_,@function
_ZN7rocprim17ROCPRIM_400000_NS6detail17trampoline_kernelINS0_14default_configENS1_29reduce_by_key_config_selectorIijN6thrust23THRUST_200600_302600_NS4plusIjEEEEZZNS1_33reduce_by_key_impl_wrapped_configILNS1_25lookback_scan_determinismE0ES3_S9_NS6_6detail15normal_iteratorINS6_10device_ptrIiEEEENSD_INSE_IjEEEESG_SI_PmS8_NS6_8equal_toIiEEEE10hipError_tPvRmT2_T3_mT4_T5_T6_T7_T8_P12ihipStream_tbENKUlT_T0_E_clISt17integral_constantIbLb0EES13_EEDaSY_SZ_EUlSY_E_NS1_11comp_targetILNS1_3genE5ELNS1_11target_archE942ELNS1_3gpuE9ELNS1_3repE0EEENS1_30default_config_static_selectorELNS0_4arch9wavefront6targetE0EEEvT1_: ; @_ZN7rocprim17ROCPRIM_400000_NS6detail17trampoline_kernelINS0_14default_configENS1_29reduce_by_key_config_selectorIijN6thrust23THRUST_200600_302600_NS4plusIjEEEEZZNS1_33reduce_by_key_impl_wrapped_configILNS1_25lookback_scan_determinismE0ES3_S9_NS6_6detail15normal_iteratorINS6_10device_ptrIiEEEENSD_INSE_IjEEEESG_SI_PmS8_NS6_8equal_toIiEEEE10hipError_tPvRmT2_T3_mT4_T5_T6_T7_T8_P12ihipStream_tbENKUlT_T0_E_clISt17integral_constantIbLb0EES13_EEDaSY_SZ_EUlSY_E_NS1_11comp_targetILNS1_3genE5ELNS1_11target_archE942ELNS1_3gpuE9ELNS1_3repE0EEENS1_30default_config_static_selectorELNS0_4arch9wavefront6targetE0EEEvT1_
; %bb.0:
	.section	.rodata,"a",@progbits
	.p2align	6, 0x0
	.amdhsa_kernel _ZN7rocprim17ROCPRIM_400000_NS6detail17trampoline_kernelINS0_14default_configENS1_29reduce_by_key_config_selectorIijN6thrust23THRUST_200600_302600_NS4plusIjEEEEZZNS1_33reduce_by_key_impl_wrapped_configILNS1_25lookback_scan_determinismE0ES3_S9_NS6_6detail15normal_iteratorINS6_10device_ptrIiEEEENSD_INSE_IjEEEESG_SI_PmS8_NS6_8equal_toIiEEEE10hipError_tPvRmT2_T3_mT4_T5_T6_T7_T8_P12ihipStream_tbENKUlT_T0_E_clISt17integral_constantIbLb0EES13_EEDaSY_SZ_EUlSY_E_NS1_11comp_targetILNS1_3genE5ELNS1_11target_archE942ELNS1_3gpuE9ELNS1_3repE0EEENS1_30default_config_static_selectorELNS0_4arch9wavefront6targetE0EEEvT1_
		.amdhsa_group_segment_fixed_size 0
		.amdhsa_private_segment_fixed_size 0
		.amdhsa_kernarg_size 120
		.amdhsa_user_sgpr_count 15
		.amdhsa_user_sgpr_dispatch_ptr 0
		.amdhsa_user_sgpr_queue_ptr 0
		.amdhsa_user_sgpr_kernarg_segment_ptr 1
		.amdhsa_user_sgpr_dispatch_id 0
		.amdhsa_user_sgpr_private_segment_size 0
		.amdhsa_wavefront_size32 1
		.amdhsa_uses_dynamic_stack 0
		.amdhsa_enable_private_segment 0
		.amdhsa_system_sgpr_workgroup_id_x 1
		.amdhsa_system_sgpr_workgroup_id_y 0
		.amdhsa_system_sgpr_workgroup_id_z 0
		.amdhsa_system_sgpr_workgroup_info 0
		.amdhsa_system_vgpr_workitem_id 0
		.amdhsa_next_free_vgpr 1
		.amdhsa_next_free_sgpr 1
		.amdhsa_reserve_vcc 0
		.amdhsa_float_round_mode_32 0
		.amdhsa_float_round_mode_16_64 0
		.amdhsa_float_denorm_mode_32 3
		.amdhsa_float_denorm_mode_16_64 3
		.amdhsa_dx10_clamp 1
		.amdhsa_ieee_mode 1
		.amdhsa_fp16_overflow 0
		.amdhsa_workgroup_processor_mode 1
		.amdhsa_memory_ordered 1
		.amdhsa_forward_progress 0
		.amdhsa_shared_vgpr_count 0
		.amdhsa_exception_fp_ieee_invalid_op 0
		.amdhsa_exception_fp_denorm_src 0
		.amdhsa_exception_fp_ieee_div_zero 0
		.amdhsa_exception_fp_ieee_overflow 0
		.amdhsa_exception_fp_ieee_underflow 0
		.amdhsa_exception_fp_ieee_inexact 0
		.amdhsa_exception_int_div_zero 0
	.end_amdhsa_kernel
	.section	.text._ZN7rocprim17ROCPRIM_400000_NS6detail17trampoline_kernelINS0_14default_configENS1_29reduce_by_key_config_selectorIijN6thrust23THRUST_200600_302600_NS4plusIjEEEEZZNS1_33reduce_by_key_impl_wrapped_configILNS1_25lookback_scan_determinismE0ES3_S9_NS6_6detail15normal_iteratorINS6_10device_ptrIiEEEENSD_INSE_IjEEEESG_SI_PmS8_NS6_8equal_toIiEEEE10hipError_tPvRmT2_T3_mT4_T5_T6_T7_T8_P12ihipStream_tbENKUlT_T0_E_clISt17integral_constantIbLb0EES13_EEDaSY_SZ_EUlSY_E_NS1_11comp_targetILNS1_3genE5ELNS1_11target_archE942ELNS1_3gpuE9ELNS1_3repE0EEENS1_30default_config_static_selectorELNS0_4arch9wavefront6targetE0EEEvT1_,"axG",@progbits,_ZN7rocprim17ROCPRIM_400000_NS6detail17trampoline_kernelINS0_14default_configENS1_29reduce_by_key_config_selectorIijN6thrust23THRUST_200600_302600_NS4plusIjEEEEZZNS1_33reduce_by_key_impl_wrapped_configILNS1_25lookback_scan_determinismE0ES3_S9_NS6_6detail15normal_iteratorINS6_10device_ptrIiEEEENSD_INSE_IjEEEESG_SI_PmS8_NS6_8equal_toIiEEEE10hipError_tPvRmT2_T3_mT4_T5_T6_T7_T8_P12ihipStream_tbENKUlT_T0_E_clISt17integral_constantIbLb0EES13_EEDaSY_SZ_EUlSY_E_NS1_11comp_targetILNS1_3genE5ELNS1_11target_archE942ELNS1_3gpuE9ELNS1_3repE0EEENS1_30default_config_static_selectorELNS0_4arch9wavefront6targetE0EEEvT1_,comdat
.Lfunc_end806:
	.size	_ZN7rocprim17ROCPRIM_400000_NS6detail17trampoline_kernelINS0_14default_configENS1_29reduce_by_key_config_selectorIijN6thrust23THRUST_200600_302600_NS4plusIjEEEEZZNS1_33reduce_by_key_impl_wrapped_configILNS1_25lookback_scan_determinismE0ES3_S9_NS6_6detail15normal_iteratorINS6_10device_ptrIiEEEENSD_INSE_IjEEEESG_SI_PmS8_NS6_8equal_toIiEEEE10hipError_tPvRmT2_T3_mT4_T5_T6_T7_T8_P12ihipStream_tbENKUlT_T0_E_clISt17integral_constantIbLb0EES13_EEDaSY_SZ_EUlSY_E_NS1_11comp_targetILNS1_3genE5ELNS1_11target_archE942ELNS1_3gpuE9ELNS1_3repE0EEENS1_30default_config_static_selectorELNS0_4arch9wavefront6targetE0EEEvT1_, .Lfunc_end806-_ZN7rocprim17ROCPRIM_400000_NS6detail17trampoline_kernelINS0_14default_configENS1_29reduce_by_key_config_selectorIijN6thrust23THRUST_200600_302600_NS4plusIjEEEEZZNS1_33reduce_by_key_impl_wrapped_configILNS1_25lookback_scan_determinismE0ES3_S9_NS6_6detail15normal_iteratorINS6_10device_ptrIiEEEENSD_INSE_IjEEEESG_SI_PmS8_NS6_8equal_toIiEEEE10hipError_tPvRmT2_T3_mT4_T5_T6_T7_T8_P12ihipStream_tbENKUlT_T0_E_clISt17integral_constantIbLb0EES13_EEDaSY_SZ_EUlSY_E_NS1_11comp_targetILNS1_3genE5ELNS1_11target_archE942ELNS1_3gpuE9ELNS1_3repE0EEENS1_30default_config_static_selectorELNS0_4arch9wavefront6targetE0EEEvT1_
                                        ; -- End function
	.section	.AMDGPU.csdata,"",@progbits
; Kernel info:
; codeLenInByte = 0
; NumSgprs: 0
; NumVgprs: 0
; ScratchSize: 0
; MemoryBound: 0
; FloatMode: 240
; IeeeMode: 1
; LDSByteSize: 0 bytes/workgroup (compile time only)
; SGPRBlocks: 0
; VGPRBlocks: 0
; NumSGPRsForWavesPerEU: 1
; NumVGPRsForWavesPerEU: 1
; Occupancy: 16
; WaveLimiterHint : 0
; COMPUTE_PGM_RSRC2:SCRATCH_EN: 0
; COMPUTE_PGM_RSRC2:USER_SGPR: 15
; COMPUTE_PGM_RSRC2:TRAP_HANDLER: 0
; COMPUTE_PGM_RSRC2:TGID_X_EN: 1
; COMPUTE_PGM_RSRC2:TGID_Y_EN: 0
; COMPUTE_PGM_RSRC2:TGID_Z_EN: 0
; COMPUTE_PGM_RSRC2:TIDIG_COMP_CNT: 0
	.section	.text._ZN7rocprim17ROCPRIM_400000_NS6detail17trampoline_kernelINS0_14default_configENS1_29reduce_by_key_config_selectorIijN6thrust23THRUST_200600_302600_NS4plusIjEEEEZZNS1_33reduce_by_key_impl_wrapped_configILNS1_25lookback_scan_determinismE0ES3_S9_NS6_6detail15normal_iteratorINS6_10device_ptrIiEEEENSD_INSE_IjEEEESG_SI_PmS8_NS6_8equal_toIiEEEE10hipError_tPvRmT2_T3_mT4_T5_T6_T7_T8_P12ihipStream_tbENKUlT_T0_E_clISt17integral_constantIbLb0EES13_EEDaSY_SZ_EUlSY_E_NS1_11comp_targetILNS1_3genE4ELNS1_11target_archE910ELNS1_3gpuE8ELNS1_3repE0EEENS1_30default_config_static_selectorELNS0_4arch9wavefront6targetE0EEEvT1_,"axG",@progbits,_ZN7rocprim17ROCPRIM_400000_NS6detail17trampoline_kernelINS0_14default_configENS1_29reduce_by_key_config_selectorIijN6thrust23THRUST_200600_302600_NS4plusIjEEEEZZNS1_33reduce_by_key_impl_wrapped_configILNS1_25lookback_scan_determinismE0ES3_S9_NS6_6detail15normal_iteratorINS6_10device_ptrIiEEEENSD_INSE_IjEEEESG_SI_PmS8_NS6_8equal_toIiEEEE10hipError_tPvRmT2_T3_mT4_T5_T6_T7_T8_P12ihipStream_tbENKUlT_T0_E_clISt17integral_constantIbLb0EES13_EEDaSY_SZ_EUlSY_E_NS1_11comp_targetILNS1_3genE4ELNS1_11target_archE910ELNS1_3gpuE8ELNS1_3repE0EEENS1_30default_config_static_selectorELNS0_4arch9wavefront6targetE0EEEvT1_,comdat
	.protected	_ZN7rocprim17ROCPRIM_400000_NS6detail17trampoline_kernelINS0_14default_configENS1_29reduce_by_key_config_selectorIijN6thrust23THRUST_200600_302600_NS4plusIjEEEEZZNS1_33reduce_by_key_impl_wrapped_configILNS1_25lookback_scan_determinismE0ES3_S9_NS6_6detail15normal_iteratorINS6_10device_ptrIiEEEENSD_INSE_IjEEEESG_SI_PmS8_NS6_8equal_toIiEEEE10hipError_tPvRmT2_T3_mT4_T5_T6_T7_T8_P12ihipStream_tbENKUlT_T0_E_clISt17integral_constantIbLb0EES13_EEDaSY_SZ_EUlSY_E_NS1_11comp_targetILNS1_3genE4ELNS1_11target_archE910ELNS1_3gpuE8ELNS1_3repE0EEENS1_30default_config_static_selectorELNS0_4arch9wavefront6targetE0EEEvT1_ ; -- Begin function _ZN7rocprim17ROCPRIM_400000_NS6detail17trampoline_kernelINS0_14default_configENS1_29reduce_by_key_config_selectorIijN6thrust23THRUST_200600_302600_NS4plusIjEEEEZZNS1_33reduce_by_key_impl_wrapped_configILNS1_25lookback_scan_determinismE0ES3_S9_NS6_6detail15normal_iteratorINS6_10device_ptrIiEEEENSD_INSE_IjEEEESG_SI_PmS8_NS6_8equal_toIiEEEE10hipError_tPvRmT2_T3_mT4_T5_T6_T7_T8_P12ihipStream_tbENKUlT_T0_E_clISt17integral_constantIbLb0EES13_EEDaSY_SZ_EUlSY_E_NS1_11comp_targetILNS1_3genE4ELNS1_11target_archE910ELNS1_3gpuE8ELNS1_3repE0EEENS1_30default_config_static_selectorELNS0_4arch9wavefront6targetE0EEEvT1_
	.globl	_ZN7rocprim17ROCPRIM_400000_NS6detail17trampoline_kernelINS0_14default_configENS1_29reduce_by_key_config_selectorIijN6thrust23THRUST_200600_302600_NS4plusIjEEEEZZNS1_33reduce_by_key_impl_wrapped_configILNS1_25lookback_scan_determinismE0ES3_S9_NS6_6detail15normal_iteratorINS6_10device_ptrIiEEEENSD_INSE_IjEEEESG_SI_PmS8_NS6_8equal_toIiEEEE10hipError_tPvRmT2_T3_mT4_T5_T6_T7_T8_P12ihipStream_tbENKUlT_T0_E_clISt17integral_constantIbLb0EES13_EEDaSY_SZ_EUlSY_E_NS1_11comp_targetILNS1_3genE4ELNS1_11target_archE910ELNS1_3gpuE8ELNS1_3repE0EEENS1_30default_config_static_selectorELNS0_4arch9wavefront6targetE0EEEvT1_
	.p2align	8
	.type	_ZN7rocprim17ROCPRIM_400000_NS6detail17trampoline_kernelINS0_14default_configENS1_29reduce_by_key_config_selectorIijN6thrust23THRUST_200600_302600_NS4plusIjEEEEZZNS1_33reduce_by_key_impl_wrapped_configILNS1_25lookback_scan_determinismE0ES3_S9_NS6_6detail15normal_iteratorINS6_10device_ptrIiEEEENSD_INSE_IjEEEESG_SI_PmS8_NS6_8equal_toIiEEEE10hipError_tPvRmT2_T3_mT4_T5_T6_T7_T8_P12ihipStream_tbENKUlT_T0_E_clISt17integral_constantIbLb0EES13_EEDaSY_SZ_EUlSY_E_NS1_11comp_targetILNS1_3genE4ELNS1_11target_archE910ELNS1_3gpuE8ELNS1_3repE0EEENS1_30default_config_static_selectorELNS0_4arch9wavefront6targetE0EEEvT1_,@function
_ZN7rocprim17ROCPRIM_400000_NS6detail17trampoline_kernelINS0_14default_configENS1_29reduce_by_key_config_selectorIijN6thrust23THRUST_200600_302600_NS4plusIjEEEEZZNS1_33reduce_by_key_impl_wrapped_configILNS1_25lookback_scan_determinismE0ES3_S9_NS6_6detail15normal_iteratorINS6_10device_ptrIiEEEENSD_INSE_IjEEEESG_SI_PmS8_NS6_8equal_toIiEEEE10hipError_tPvRmT2_T3_mT4_T5_T6_T7_T8_P12ihipStream_tbENKUlT_T0_E_clISt17integral_constantIbLb0EES13_EEDaSY_SZ_EUlSY_E_NS1_11comp_targetILNS1_3genE4ELNS1_11target_archE910ELNS1_3gpuE8ELNS1_3repE0EEENS1_30default_config_static_selectorELNS0_4arch9wavefront6targetE0EEEvT1_: ; @_ZN7rocprim17ROCPRIM_400000_NS6detail17trampoline_kernelINS0_14default_configENS1_29reduce_by_key_config_selectorIijN6thrust23THRUST_200600_302600_NS4plusIjEEEEZZNS1_33reduce_by_key_impl_wrapped_configILNS1_25lookback_scan_determinismE0ES3_S9_NS6_6detail15normal_iteratorINS6_10device_ptrIiEEEENSD_INSE_IjEEEESG_SI_PmS8_NS6_8equal_toIiEEEE10hipError_tPvRmT2_T3_mT4_T5_T6_T7_T8_P12ihipStream_tbENKUlT_T0_E_clISt17integral_constantIbLb0EES13_EEDaSY_SZ_EUlSY_E_NS1_11comp_targetILNS1_3genE4ELNS1_11target_archE910ELNS1_3gpuE8ELNS1_3repE0EEENS1_30default_config_static_selectorELNS0_4arch9wavefront6targetE0EEEvT1_
; %bb.0:
	.section	.rodata,"a",@progbits
	.p2align	6, 0x0
	.amdhsa_kernel _ZN7rocprim17ROCPRIM_400000_NS6detail17trampoline_kernelINS0_14default_configENS1_29reduce_by_key_config_selectorIijN6thrust23THRUST_200600_302600_NS4plusIjEEEEZZNS1_33reduce_by_key_impl_wrapped_configILNS1_25lookback_scan_determinismE0ES3_S9_NS6_6detail15normal_iteratorINS6_10device_ptrIiEEEENSD_INSE_IjEEEESG_SI_PmS8_NS6_8equal_toIiEEEE10hipError_tPvRmT2_T3_mT4_T5_T6_T7_T8_P12ihipStream_tbENKUlT_T0_E_clISt17integral_constantIbLb0EES13_EEDaSY_SZ_EUlSY_E_NS1_11comp_targetILNS1_3genE4ELNS1_11target_archE910ELNS1_3gpuE8ELNS1_3repE0EEENS1_30default_config_static_selectorELNS0_4arch9wavefront6targetE0EEEvT1_
		.amdhsa_group_segment_fixed_size 0
		.amdhsa_private_segment_fixed_size 0
		.amdhsa_kernarg_size 120
		.amdhsa_user_sgpr_count 15
		.amdhsa_user_sgpr_dispatch_ptr 0
		.amdhsa_user_sgpr_queue_ptr 0
		.amdhsa_user_sgpr_kernarg_segment_ptr 1
		.amdhsa_user_sgpr_dispatch_id 0
		.amdhsa_user_sgpr_private_segment_size 0
		.amdhsa_wavefront_size32 1
		.amdhsa_uses_dynamic_stack 0
		.amdhsa_enable_private_segment 0
		.amdhsa_system_sgpr_workgroup_id_x 1
		.amdhsa_system_sgpr_workgroup_id_y 0
		.amdhsa_system_sgpr_workgroup_id_z 0
		.amdhsa_system_sgpr_workgroup_info 0
		.amdhsa_system_vgpr_workitem_id 0
		.amdhsa_next_free_vgpr 1
		.amdhsa_next_free_sgpr 1
		.amdhsa_reserve_vcc 0
		.amdhsa_float_round_mode_32 0
		.amdhsa_float_round_mode_16_64 0
		.amdhsa_float_denorm_mode_32 3
		.amdhsa_float_denorm_mode_16_64 3
		.amdhsa_dx10_clamp 1
		.amdhsa_ieee_mode 1
		.amdhsa_fp16_overflow 0
		.amdhsa_workgroup_processor_mode 1
		.amdhsa_memory_ordered 1
		.amdhsa_forward_progress 0
		.amdhsa_shared_vgpr_count 0
		.amdhsa_exception_fp_ieee_invalid_op 0
		.amdhsa_exception_fp_denorm_src 0
		.amdhsa_exception_fp_ieee_div_zero 0
		.amdhsa_exception_fp_ieee_overflow 0
		.amdhsa_exception_fp_ieee_underflow 0
		.amdhsa_exception_fp_ieee_inexact 0
		.amdhsa_exception_int_div_zero 0
	.end_amdhsa_kernel
	.section	.text._ZN7rocprim17ROCPRIM_400000_NS6detail17trampoline_kernelINS0_14default_configENS1_29reduce_by_key_config_selectorIijN6thrust23THRUST_200600_302600_NS4plusIjEEEEZZNS1_33reduce_by_key_impl_wrapped_configILNS1_25lookback_scan_determinismE0ES3_S9_NS6_6detail15normal_iteratorINS6_10device_ptrIiEEEENSD_INSE_IjEEEESG_SI_PmS8_NS6_8equal_toIiEEEE10hipError_tPvRmT2_T3_mT4_T5_T6_T7_T8_P12ihipStream_tbENKUlT_T0_E_clISt17integral_constantIbLb0EES13_EEDaSY_SZ_EUlSY_E_NS1_11comp_targetILNS1_3genE4ELNS1_11target_archE910ELNS1_3gpuE8ELNS1_3repE0EEENS1_30default_config_static_selectorELNS0_4arch9wavefront6targetE0EEEvT1_,"axG",@progbits,_ZN7rocprim17ROCPRIM_400000_NS6detail17trampoline_kernelINS0_14default_configENS1_29reduce_by_key_config_selectorIijN6thrust23THRUST_200600_302600_NS4plusIjEEEEZZNS1_33reduce_by_key_impl_wrapped_configILNS1_25lookback_scan_determinismE0ES3_S9_NS6_6detail15normal_iteratorINS6_10device_ptrIiEEEENSD_INSE_IjEEEESG_SI_PmS8_NS6_8equal_toIiEEEE10hipError_tPvRmT2_T3_mT4_T5_T6_T7_T8_P12ihipStream_tbENKUlT_T0_E_clISt17integral_constantIbLb0EES13_EEDaSY_SZ_EUlSY_E_NS1_11comp_targetILNS1_3genE4ELNS1_11target_archE910ELNS1_3gpuE8ELNS1_3repE0EEENS1_30default_config_static_selectorELNS0_4arch9wavefront6targetE0EEEvT1_,comdat
.Lfunc_end807:
	.size	_ZN7rocprim17ROCPRIM_400000_NS6detail17trampoline_kernelINS0_14default_configENS1_29reduce_by_key_config_selectorIijN6thrust23THRUST_200600_302600_NS4plusIjEEEEZZNS1_33reduce_by_key_impl_wrapped_configILNS1_25lookback_scan_determinismE0ES3_S9_NS6_6detail15normal_iteratorINS6_10device_ptrIiEEEENSD_INSE_IjEEEESG_SI_PmS8_NS6_8equal_toIiEEEE10hipError_tPvRmT2_T3_mT4_T5_T6_T7_T8_P12ihipStream_tbENKUlT_T0_E_clISt17integral_constantIbLb0EES13_EEDaSY_SZ_EUlSY_E_NS1_11comp_targetILNS1_3genE4ELNS1_11target_archE910ELNS1_3gpuE8ELNS1_3repE0EEENS1_30default_config_static_selectorELNS0_4arch9wavefront6targetE0EEEvT1_, .Lfunc_end807-_ZN7rocprim17ROCPRIM_400000_NS6detail17trampoline_kernelINS0_14default_configENS1_29reduce_by_key_config_selectorIijN6thrust23THRUST_200600_302600_NS4plusIjEEEEZZNS1_33reduce_by_key_impl_wrapped_configILNS1_25lookback_scan_determinismE0ES3_S9_NS6_6detail15normal_iteratorINS6_10device_ptrIiEEEENSD_INSE_IjEEEESG_SI_PmS8_NS6_8equal_toIiEEEE10hipError_tPvRmT2_T3_mT4_T5_T6_T7_T8_P12ihipStream_tbENKUlT_T0_E_clISt17integral_constantIbLb0EES13_EEDaSY_SZ_EUlSY_E_NS1_11comp_targetILNS1_3genE4ELNS1_11target_archE910ELNS1_3gpuE8ELNS1_3repE0EEENS1_30default_config_static_selectorELNS0_4arch9wavefront6targetE0EEEvT1_
                                        ; -- End function
	.section	.AMDGPU.csdata,"",@progbits
; Kernel info:
; codeLenInByte = 0
; NumSgprs: 0
; NumVgprs: 0
; ScratchSize: 0
; MemoryBound: 0
; FloatMode: 240
; IeeeMode: 1
; LDSByteSize: 0 bytes/workgroup (compile time only)
; SGPRBlocks: 0
; VGPRBlocks: 0
; NumSGPRsForWavesPerEU: 1
; NumVGPRsForWavesPerEU: 1
; Occupancy: 16
; WaveLimiterHint : 0
; COMPUTE_PGM_RSRC2:SCRATCH_EN: 0
; COMPUTE_PGM_RSRC2:USER_SGPR: 15
; COMPUTE_PGM_RSRC2:TRAP_HANDLER: 0
; COMPUTE_PGM_RSRC2:TGID_X_EN: 1
; COMPUTE_PGM_RSRC2:TGID_Y_EN: 0
; COMPUTE_PGM_RSRC2:TGID_Z_EN: 0
; COMPUTE_PGM_RSRC2:TIDIG_COMP_CNT: 0
	.section	.text._ZN7rocprim17ROCPRIM_400000_NS6detail17trampoline_kernelINS0_14default_configENS1_29reduce_by_key_config_selectorIijN6thrust23THRUST_200600_302600_NS4plusIjEEEEZZNS1_33reduce_by_key_impl_wrapped_configILNS1_25lookback_scan_determinismE0ES3_S9_NS6_6detail15normal_iteratorINS6_10device_ptrIiEEEENSD_INSE_IjEEEESG_SI_PmS8_NS6_8equal_toIiEEEE10hipError_tPvRmT2_T3_mT4_T5_T6_T7_T8_P12ihipStream_tbENKUlT_T0_E_clISt17integral_constantIbLb0EES13_EEDaSY_SZ_EUlSY_E_NS1_11comp_targetILNS1_3genE3ELNS1_11target_archE908ELNS1_3gpuE7ELNS1_3repE0EEENS1_30default_config_static_selectorELNS0_4arch9wavefront6targetE0EEEvT1_,"axG",@progbits,_ZN7rocprim17ROCPRIM_400000_NS6detail17trampoline_kernelINS0_14default_configENS1_29reduce_by_key_config_selectorIijN6thrust23THRUST_200600_302600_NS4plusIjEEEEZZNS1_33reduce_by_key_impl_wrapped_configILNS1_25lookback_scan_determinismE0ES3_S9_NS6_6detail15normal_iteratorINS6_10device_ptrIiEEEENSD_INSE_IjEEEESG_SI_PmS8_NS6_8equal_toIiEEEE10hipError_tPvRmT2_T3_mT4_T5_T6_T7_T8_P12ihipStream_tbENKUlT_T0_E_clISt17integral_constantIbLb0EES13_EEDaSY_SZ_EUlSY_E_NS1_11comp_targetILNS1_3genE3ELNS1_11target_archE908ELNS1_3gpuE7ELNS1_3repE0EEENS1_30default_config_static_selectorELNS0_4arch9wavefront6targetE0EEEvT1_,comdat
	.protected	_ZN7rocprim17ROCPRIM_400000_NS6detail17trampoline_kernelINS0_14default_configENS1_29reduce_by_key_config_selectorIijN6thrust23THRUST_200600_302600_NS4plusIjEEEEZZNS1_33reduce_by_key_impl_wrapped_configILNS1_25lookback_scan_determinismE0ES3_S9_NS6_6detail15normal_iteratorINS6_10device_ptrIiEEEENSD_INSE_IjEEEESG_SI_PmS8_NS6_8equal_toIiEEEE10hipError_tPvRmT2_T3_mT4_T5_T6_T7_T8_P12ihipStream_tbENKUlT_T0_E_clISt17integral_constantIbLb0EES13_EEDaSY_SZ_EUlSY_E_NS1_11comp_targetILNS1_3genE3ELNS1_11target_archE908ELNS1_3gpuE7ELNS1_3repE0EEENS1_30default_config_static_selectorELNS0_4arch9wavefront6targetE0EEEvT1_ ; -- Begin function _ZN7rocprim17ROCPRIM_400000_NS6detail17trampoline_kernelINS0_14default_configENS1_29reduce_by_key_config_selectorIijN6thrust23THRUST_200600_302600_NS4plusIjEEEEZZNS1_33reduce_by_key_impl_wrapped_configILNS1_25lookback_scan_determinismE0ES3_S9_NS6_6detail15normal_iteratorINS6_10device_ptrIiEEEENSD_INSE_IjEEEESG_SI_PmS8_NS6_8equal_toIiEEEE10hipError_tPvRmT2_T3_mT4_T5_T6_T7_T8_P12ihipStream_tbENKUlT_T0_E_clISt17integral_constantIbLb0EES13_EEDaSY_SZ_EUlSY_E_NS1_11comp_targetILNS1_3genE3ELNS1_11target_archE908ELNS1_3gpuE7ELNS1_3repE0EEENS1_30default_config_static_selectorELNS0_4arch9wavefront6targetE0EEEvT1_
	.globl	_ZN7rocprim17ROCPRIM_400000_NS6detail17trampoline_kernelINS0_14default_configENS1_29reduce_by_key_config_selectorIijN6thrust23THRUST_200600_302600_NS4plusIjEEEEZZNS1_33reduce_by_key_impl_wrapped_configILNS1_25lookback_scan_determinismE0ES3_S9_NS6_6detail15normal_iteratorINS6_10device_ptrIiEEEENSD_INSE_IjEEEESG_SI_PmS8_NS6_8equal_toIiEEEE10hipError_tPvRmT2_T3_mT4_T5_T6_T7_T8_P12ihipStream_tbENKUlT_T0_E_clISt17integral_constantIbLb0EES13_EEDaSY_SZ_EUlSY_E_NS1_11comp_targetILNS1_3genE3ELNS1_11target_archE908ELNS1_3gpuE7ELNS1_3repE0EEENS1_30default_config_static_selectorELNS0_4arch9wavefront6targetE0EEEvT1_
	.p2align	8
	.type	_ZN7rocprim17ROCPRIM_400000_NS6detail17trampoline_kernelINS0_14default_configENS1_29reduce_by_key_config_selectorIijN6thrust23THRUST_200600_302600_NS4plusIjEEEEZZNS1_33reduce_by_key_impl_wrapped_configILNS1_25lookback_scan_determinismE0ES3_S9_NS6_6detail15normal_iteratorINS6_10device_ptrIiEEEENSD_INSE_IjEEEESG_SI_PmS8_NS6_8equal_toIiEEEE10hipError_tPvRmT2_T3_mT4_T5_T6_T7_T8_P12ihipStream_tbENKUlT_T0_E_clISt17integral_constantIbLb0EES13_EEDaSY_SZ_EUlSY_E_NS1_11comp_targetILNS1_3genE3ELNS1_11target_archE908ELNS1_3gpuE7ELNS1_3repE0EEENS1_30default_config_static_selectorELNS0_4arch9wavefront6targetE0EEEvT1_,@function
_ZN7rocprim17ROCPRIM_400000_NS6detail17trampoline_kernelINS0_14default_configENS1_29reduce_by_key_config_selectorIijN6thrust23THRUST_200600_302600_NS4plusIjEEEEZZNS1_33reduce_by_key_impl_wrapped_configILNS1_25lookback_scan_determinismE0ES3_S9_NS6_6detail15normal_iteratorINS6_10device_ptrIiEEEENSD_INSE_IjEEEESG_SI_PmS8_NS6_8equal_toIiEEEE10hipError_tPvRmT2_T3_mT4_T5_T6_T7_T8_P12ihipStream_tbENKUlT_T0_E_clISt17integral_constantIbLb0EES13_EEDaSY_SZ_EUlSY_E_NS1_11comp_targetILNS1_3genE3ELNS1_11target_archE908ELNS1_3gpuE7ELNS1_3repE0EEENS1_30default_config_static_selectorELNS0_4arch9wavefront6targetE0EEEvT1_: ; @_ZN7rocprim17ROCPRIM_400000_NS6detail17trampoline_kernelINS0_14default_configENS1_29reduce_by_key_config_selectorIijN6thrust23THRUST_200600_302600_NS4plusIjEEEEZZNS1_33reduce_by_key_impl_wrapped_configILNS1_25lookback_scan_determinismE0ES3_S9_NS6_6detail15normal_iteratorINS6_10device_ptrIiEEEENSD_INSE_IjEEEESG_SI_PmS8_NS6_8equal_toIiEEEE10hipError_tPvRmT2_T3_mT4_T5_T6_T7_T8_P12ihipStream_tbENKUlT_T0_E_clISt17integral_constantIbLb0EES13_EEDaSY_SZ_EUlSY_E_NS1_11comp_targetILNS1_3genE3ELNS1_11target_archE908ELNS1_3gpuE7ELNS1_3repE0EEENS1_30default_config_static_selectorELNS0_4arch9wavefront6targetE0EEEvT1_
; %bb.0:
	.section	.rodata,"a",@progbits
	.p2align	6, 0x0
	.amdhsa_kernel _ZN7rocprim17ROCPRIM_400000_NS6detail17trampoline_kernelINS0_14default_configENS1_29reduce_by_key_config_selectorIijN6thrust23THRUST_200600_302600_NS4plusIjEEEEZZNS1_33reduce_by_key_impl_wrapped_configILNS1_25lookback_scan_determinismE0ES3_S9_NS6_6detail15normal_iteratorINS6_10device_ptrIiEEEENSD_INSE_IjEEEESG_SI_PmS8_NS6_8equal_toIiEEEE10hipError_tPvRmT2_T3_mT4_T5_T6_T7_T8_P12ihipStream_tbENKUlT_T0_E_clISt17integral_constantIbLb0EES13_EEDaSY_SZ_EUlSY_E_NS1_11comp_targetILNS1_3genE3ELNS1_11target_archE908ELNS1_3gpuE7ELNS1_3repE0EEENS1_30default_config_static_selectorELNS0_4arch9wavefront6targetE0EEEvT1_
		.amdhsa_group_segment_fixed_size 0
		.amdhsa_private_segment_fixed_size 0
		.amdhsa_kernarg_size 120
		.amdhsa_user_sgpr_count 15
		.amdhsa_user_sgpr_dispatch_ptr 0
		.amdhsa_user_sgpr_queue_ptr 0
		.amdhsa_user_sgpr_kernarg_segment_ptr 1
		.amdhsa_user_sgpr_dispatch_id 0
		.amdhsa_user_sgpr_private_segment_size 0
		.amdhsa_wavefront_size32 1
		.amdhsa_uses_dynamic_stack 0
		.amdhsa_enable_private_segment 0
		.amdhsa_system_sgpr_workgroup_id_x 1
		.amdhsa_system_sgpr_workgroup_id_y 0
		.amdhsa_system_sgpr_workgroup_id_z 0
		.amdhsa_system_sgpr_workgroup_info 0
		.amdhsa_system_vgpr_workitem_id 0
		.amdhsa_next_free_vgpr 1
		.amdhsa_next_free_sgpr 1
		.amdhsa_reserve_vcc 0
		.amdhsa_float_round_mode_32 0
		.amdhsa_float_round_mode_16_64 0
		.amdhsa_float_denorm_mode_32 3
		.amdhsa_float_denorm_mode_16_64 3
		.amdhsa_dx10_clamp 1
		.amdhsa_ieee_mode 1
		.amdhsa_fp16_overflow 0
		.amdhsa_workgroup_processor_mode 1
		.amdhsa_memory_ordered 1
		.amdhsa_forward_progress 0
		.amdhsa_shared_vgpr_count 0
		.amdhsa_exception_fp_ieee_invalid_op 0
		.amdhsa_exception_fp_denorm_src 0
		.amdhsa_exception_fp_ieee_div_zero 0
		.amdhsa_exception_fp_ieee_overflow 0
		.amdhsa_exception_fp_ieee_underflow 0
		.amdhsa_exception_fp_ieee_inexact 0
		.amdhsa_exception_int_div_zero 0
	.end_amdhsa_kernel
	.section	.text._ZN7rocprim17ROCPRIM_400000_NS6detail17trampoline_kernelINS0_14default_configENS1_29reduce_by_key_config_selectorIijN6thrust23THRUST_200600_302600_NS4plusIjEEEEZZNS1_33reduce_by_key_impl_wrapped_configILNS1_25lookback_scan_determinismE0ES3_S9_NS6_6detail15normal_iteratorINS6_10device_ptrIiEEEENSD_INSE_IjEEEESG_SI_PmS8_NS6_8equal_toIiEEEE10hipError_tPvRmT2_T3_mT4_T5_T6_T7_T8_P12ihipStream_tbENKUlT_T0_E_clISt17integral_constantIbLb0EES13_EEDaSY_SZ_EUlSY_E_NS1_11comp_targetILNS1_3genE3ELNS1_11target_archE908ELNS1_3gpuE7ELNS1_3repE0EEENS1_30default_config_static_selectorELNS0_4arch9wavefront6targetE0EEEvT1_,"axG",@progbits,_ZN7rocprim17ROCPRIM_400000_NS6detail17trampoline_kernelINS0_14default_configENS1_29reduce_by_key_config_selectorIijN6thrust23THRUST_200600_302600_NS4plusIjEEEEZZNS1_33reduce_by_key_impl_wrapped_configILNS1_25lookback_scan_determinismE0ES3_S9_NS6_6detail15normal_iteratorINS6_10device_ptrIiEEEENSD_INSE_IjEEEESG_SI_PmS8_NS6_8equal_toIiEEEE10hipError_tPvRmT2_T3_mT4_T5_T6_T7_T8_P12ihipStream_tbENKUlT_T0_E_clISt17integral_constantIbLb0EES13_EEDaSY_SZ_EUlSY_E_NS1_11comp_targetILNS1_3genE3ELNS1_11target_archE908ELNS1_3gpuE7ELNS1_3repE0EEENS1_30default_config_static_selectorELNS0_4arch9wavefront6targetE0EEEvT1_,comdat
.Lfunc_end808:
	.size	_ZN7rocprim17ROCPRIM_400000_NS6detail17trampoline_kernelINS0_14default_configENS1_29reduce_by_key_config_selectorIijN6thrust23THRUST_200600_302600_NS4plusIjEEEEZZNS1_33reduce_by_key_impl_wrapped_configILNS1_25lookback_scan_determinismE0ES3_S9_NS6_6detail15normal_iteratorINS6_10device_ptrIiEEEENSD_INSE_IjEEEESG_SI_PmS8_NS6_8equal_toIiEEEE10hipError_tPvRmT2_T3_mT4_T5_T6_T7_T8_P12ihipStream_tbENKUlT_T0_E_clISt17integral_constantIbLb0EES13_EEDaSY_SZ_EUlSY_E_NS1_11comp_targetILNS1_3genE3ELNS1_11target_archE908ELNS1_3gpuE7ELNS1_3repE0EEENS1_30default_config_static_selectorELNS0_4arch9wavefront6targetE0EEEvT1_, .Lfunc_end808-_ZN7rocprim17ROCPRIM_400000_NS6detail17trampoline_kernelINS0_14default_configENS1_29reduce_by_key_config_selectorIijN6thrust23THRUST_200600_302600_NS4plusIjEEEEZZNS1_33reduce_by_key_impl_wrapped_configILNS1_25lookback_scan_determinismE0ES3_S9_NS6_6detail15normal_iteratorINS6_10device_ptrIiEEEENSD_INSE_IjEEEESG_SI_PmS8_NS6_8equal_toIiEEEE10hipError_tPvRmT2_T3_mT4_T5_T6_T7_T8_P12ihipStream_tbENKUlT_T0_E_clISt17integral_constantIbLb0EES13_EEDaSY_SZ_EUlSY_E_NS1_11comp_targetILNS1_3genE3ELNS1_11target_archE908ELNS1_3gpuE7ELNS1_3repE0EEENS1_30default_config_static_selectorELNS0_4arch9wavefront6targetE0EEEvT1_
                                        ; -- End function
	.section	.AMDGPU.csdata,"",@progbits
; Kernel info:
; codeLenInByte = 0
; NumSgprs: 0
; NumVgprs: 0
; ScratchSize: 0
; MemoryBound: 0
; FloatMode: 240
; IeeeMode: 1
; LDSByteSize: 0 bytes/workgroup (compile time only)
; SGPRBlocks: 0
; VGPRBlocks: 0
; NumSGPRsForWavesPerEU: 1
; NumVGPRsForWavesPerEU: 1
; Occupancy: 16
; WaveLimiterHint : 0
; COMPUTE_PGM_RSRC2:SCRATCH_EN: 0
; COMPUTE_PGM_RSRC2:USER_SGPR: 15
; COMPUTE_PGM_RSRC2:TRAP_HANDLER: 0
; COMPUTE_PGM_RSRC2:TGID_X_EN: 1
; COMPUTE_PGM_RSRC2:TGID_Y_EN: 0
; COMPUTE_PGM_RSRC2:TGID_Z_EN: 0
; COMPUTE_PGM_RSRC2:TIDIG_COMP_CNT: 0
	.section	.text._ZN7rocprim17ROCPRIM_400000_NS6detail17trampoline_kernelINS0_14default_configENS1_29reduce_by_key_config_selectorIijN6thrust23THRUST_200600_302600_NS4plusIjEEEEZZNS1_33reduce_by_key_impl_wrapped_configILNS1_25lookback_scan_determinismE0ES3_S9_NS6_6detail15normal_iteratorINS6_10device_ptrIiEEEENSD_INSE_IjEEEESG_SI_PmS8_NS6_8equal_toIiEEEE10hipError_tPvRmT2_T3_mT4_T5_T6_T7_T8_P12ihipStream_tbENKUlT_T0_E_clISt17integral_constantIbLb0EES13_EEDaSY_SZ_EUlSY_E_NS1_11comp_targetILNS1_3genE2ELNS1_11target_archE906ELNS1_3gpuE6ELNS1_3repE0EEENS1_30default_config_static_selectorELNS0_4arch9wavefront6targetE0EEEvT1_,"axG",@progbits,_ZN7rocprim17ROCPRIM_400000_NS6detail17trampoline_kernelINS0_14default_configENS1_29reduce_by_key_config_selectorIijN6thrust23THRUST_200600_302600_NS4plusIjEEEEZZNS1_33reduce_by_key_impl_wrapped_configILNS1_25lookback_scan_determinismE0ES3_S9_NS6_6detail15normal_iteratorINS6_10device_ptrIiEEEENSD_INSE_IjEEEESG_SI_PmS8_NS6_8equal_toIiEEEE10hipError_tPvRmT2_T3_mT4_T5_T6_T7_T8_P12ihipStream_tbENKUlT_T0_E_clISt17integral_constantIbLb0EES13_EEDaSY_SZ_EUlSY_E_NS1_11comp_targetILNS1_3genE2ELNS1_11target_archE906ELNS1_3gpuE6ELNS1_3repE0EEENS1_30default_config_static_selectorELNS0_4arch9wavefront6targetE0EEEvT1_,comdat
	.protected	_ZN7rocprim17ROCPRIM_400000_NS6detail17trampoline_kernelINS0_14default_configENS1_29reduce_by_key_config_selectorIijN6thrust23THRUST_200600_302600_NS4plusIjEEEEZZNS1_33reduce_by_key_impl_wrapped_configILNS1_25lookback_scan_determinismE0ES3_S9_NS6_6detail15normal_iteratorINS6_10device_ptrIiEEEENSD_INSE_IjEEEESG_SI_PmS8_NS6_8equal_toIiEEEE10hipError_tPvRmT2_T3_mT4_T5_T6_T7_T8_P12ihipStream_tbENKUlT_T0_E_clISt17integral_constantIbLb0EES13_EEDaSY_SZ_EUlSY_E_NS1_11comp_targetILNS1_3genE2ELNS1_11target_archE906ELNS1_3gpuE6ELNS1_3repE0EEENS1_30default_config_static_selectorELNS0_4arch9wavefront6targetE0EEEvT1_ ; -- Begin function _ZN7rocprim17ROCPRIM_400000_NS6detail17trampoline_kernelINS0_14default_configENS1_29reduce_by_key_config_selectorIijN6thrust23THRUST_200600_302600_NS4plusIjEEEEZZNS1_33reduce_by_key_impl_wrapped_configILNS1_25lookback_scan_determinismE0ES3_S9_NS6_6detail15normal_iteratorINS6_10device_ptrIiEEEENSD_INSE_IjEEEESG_SI_PmS8_NS6_8equal_toIiEEEE10hipError_tPvRmT2_T3_mT4_T5_T6_T7_T8_P12ihipStream_tbENKUlT_T0_E_clISt17integral_constantIbLb0EES13_EEDaSY_SZ_EUlSY_E_NS1_11comp_targetILNS1_3genE2ELNS1_11target_archE906ELNS1_3gpuE6ELNS1_3repE0EEENS1_30default_config_static_selectorELNS0_4arch9wavefront6targetE0EEEvT1_
	.globl	_ZN7rocprim17ROCPRIM_400000_NS6detail17trampoline_kernelINS0_14default_configENS1_29reduce_by_key_config_selectorIijN6thrust23THRUST_200600_302600_NS4plusIjEEEEZZNS1_33reduce_by_key_impl_wrapped_configILNS1_25lookback_scan_determinismE0ES3_S9_NS6_6detail15normal_iteratorINS6_10device_ptrIiEEEENSD_INSE_IjEEEESG_SI_PmS8_NS6_8equal_toIiEEEE10hipError_tPvRmT2_T3_mT4_T5_T6_T7_T8_P12ihipStream_tbENKUlT_T0_E_clISt17integral_constantIbLb0EES13_EEDaSY_SZ_EUlSY_E_NS1_11comp_targetILNS1_3genE2ELNS1_11target_archE906ELNS1_3gpuE6ELNS1_3repE0EEENS1_30default_config_static_selectorELNS0_4arch9wavefront6targetE0EEEvT1_
	.p2align	8
	.type	_ZN7rocprim17ROCPRIM_400000_NS6detail17trampoline_kernelINS0_14default_configENS1_29reduce_by_key_config_selectorIijN6thrust23THRUST_200600_302600_NS4plusIjEEEEZZNS1_33reduce_by_key_impl_wrapped_configILNS1_25lookback_scan_determinismE0ES3_S9_NS6_6detail15normal_iteratorINS6_10device_ptrIiEEEENSD_INSE_IjEEEESG_SI_PmS8_NS6_8equal_toIiEEEE10hipError_tPvRmT2_T3_mT4_T5_T6_T7_T8_P12ihipStream_tbENKUlT_T0_E_clISt17integral_constantIbLb0EES13_EEDaSY_SZ_EUlSY_E_NS1_11comp_targetILNS1_3genE2ELNS1_11target_archE906ELNS1_3gpuE6ELNS1_3repE0EEENS1_30default_config_static_selectorELNS0_4arch9wavefront6targetE0EEEvT1_,@function
_ZN7rocprim17ROCPRIM_400000_NS6detail17trampoline_kernelINS0_14default_configENS1_29reduce_by_key_config_selectorIijN6thrust23THRUST_200600_302600_NS4plusIjEEEEZZNS1_33reduce_by_key_impl_wrapped_configILNS1_25lookback_scan_determinismE0ES3_S9_NS6_6detail15normal_iteratorINS6_10device_ptrIiEEEENSD_INSE_IjEEEESG_SI_PmS8_NS6_8equal_toIiEEEE10hipError_tPvRmT2_T3_mT4_T5_T6_T7_T8_P12ihipStream_tbENKUlT_T0_E_clISt17integral_constantIbLb0EES13_EEDaSY_SZ_EUlSY_E_NS1_11comp_targetILNS1_3genE2ELNS1_11target_archE906ELNS1_3gpuE6ELNS1_3repE0EEENS1_30default_config_static_selectorELNS0_4arch9wavefront6targetE0EEEvT1_: ; @_ZN7rocprim17ROCPRIM_400000_NS6detail17trampoline_kernelINS0_14default_configENS1_29reduce_by_key_config_selectorIijN6thrust23THRUST_200600_302600_NS4plusIjEEEEZZNS1_33reduce_by_key_impl_wrapped_configILNS1_25lookback_scan_determinismE0ES3_S9_NS6_6detail15normal_iteratorINS6_10device_ptrIiEEEENSD_INSE_IjEEEESG_SI_PmS8_NS6_8equal_toIiEEEE10hipError_tPvRmT2_T3_mT4_T5_T6_T7_T8_P12ihipStream_tbENKUlT_T0_E_clISt17integral_constantIbLb0EES13_EEDaSY_SZ_EUlSY_E_NS1_11comp_targetILNS1_3genE2ELNS1_11target_archE906ELNS1_3gpuE6ELNS1_3repE0EEENS1_30default_config_static_selectorELNS0_4arch9wavefront6targetE0EEEvT1_
; %bb.0:
	.section	.rodata,"a",@progbits
	.p2align	6, 0x0
	.amdhsa_kernel _ZN7rocprim17ROCPRIM_400000_NS6detail17trampoline_kernelINS0_14default_configENS1_29reduce_by_key_config_selectorIijN6thrust23THRUST_200600_302600_NS4plusIjEEEEZZNS1_33reduce_by_key_impl_wrapped_configILNS1_25lookback_scan_determinismE0ES3_S9_NS6_6detail15normal_iteratorINS6_10device_ptrIiEEEENSD_INSE_IjEEEESG_SI_PmS8_NS6_8equal_toIiEEEE10hipError_tPvRmT2_T3_mT4_T5_T6_T7_T8_P12ihipStream_tbENKUlT_T0_E_clISt17integral_constantIbLb0EES13_EEDaSY_SZ_EUlSY_E_NS1_11comp_targetILNS1_3genE2ELNS1_11target_archE906ELNS1_3gpuE6ELNS1_3repE0EEENS1_30default_config_static_selectorELNS0_4arch9wavefront6targetE0EEEvT1_
		.amdhsa_group_segment_fixed_size 0
		.amdhsa_private_segment_fixed_size 0
		.amdhsa_kernarg_size 120
		.amdhsa_user_sgpr_count 15
		.amdhsa_user_sgpr_dispatch_ptr 0
		.amdhsa_user_sgpr_queue_ptr 0
		.amdhsa_user_sgpr_kernarg_segment_ptr 1
		.amdhsa_user_sgpr_dispatch_id 0
		.amdhsa_user_sgpr_private_segment_size 0
		.amdhsa_wavefront_size32 1
		.amdhsa_uses_dynamic_stack 0
		.amdhsa_enable_private_segment 0
		.amdhsa_system_sgpr_workgroup_id_x 1
		.amdhsa_system_sgpr_workgroup_id_y 0
		.amdhsa_system_sgpr_workgroup_id_z 0
		.amdhsa_system_sgpr_workgroup_info 0
		.amdhsa_system_vgpr_workitem_id 0
		.amdhsa_next_free_vgpr 1
		.amdhsa_next_free_sgpr 1
		.amdhsa_reserve_vcc 0
		.amdhsa_float_round_mode_32 0
		.amdhsa_float_round_mode_16_64 0
		.amdhsa_float_denorm_mode_32 3
		.amdhsa_float_denorm_mode_16_64 3
		.amdhsa_dx10_clamp 1
		.amdhsa_ieee_mode 1
		.amdhsa_fp16_overflow 0
		.amdhsa_workgroup_processor_mode 1
		.amdhsa_memory_ordered 1
		.amdhsa_forward_progress 0
		.amdhsa_shared_vgpr_count 0
		.amdhsa_exception_fp_ieee_invalid_op 0
		.amdhsa_exception_fp_denorm_src 0
		.amdhsa_exception_fp_ieee_div_zero 0
		.amdhsa_exception_fp_ieee_overflow 0
		.amdhsa_exception_fp_ieee_underflow 0
		.amdhsa_exception_fp_ieee_inexact 0
		.amdhsa_exception_int_div_zero 0
	.end_amdhsa_kernel
	.section	.text._ZN7rocprim17ROCPRIM_400000_NS6detail17trampoline_kernelINS0_14default_configENS1_29reduce_by_key_config_selectorIijN6thrust23THRUST_200600_302600_NS4plusIjEEEEZZNS1_33reduce_by_key_impl_wrapped_configILNS1_25lookback_scan_determinismE0ES3_S9_NS6_6detail15normal_iteratorINS6_10device_ptrIiEEEENSD_INSE_IjEEEESG_SI_PmS8_NS6_8equal_toIiEEEE10hipError_tPvRmT2_T3_mT4_T5_T6_T7_T8_P12ihipStream_tbENKUlT_T0_E_clISt17integral_constantIbLb0EES13_EEDaSY_SZ_EUlSY_E_NS1_11comp_targetILNS1_3genE2ELNS1_11target_archE906ELNS1_3gpuE6ELNS1_3repE0EEENS1_30default_config_static_selectorELNS0_4arch9wavefront6targetE0EEEvT1_,"axG",@progbits,_ZN7rocprim17ROCPRIM_400000_NS6detail17trampoline_kernelINS0_14default_configENS1_29reduce_by_key_config_selectorIijN6thrust23THRUST_200600_302600_NS4plusIjEEEEZZNS1_33reduce_by_key_impl_wrapped_configILNS1_25lookback_scan_determinismE0ES3_S9_NS6_6detail15normal_iteratorINS6_10device_ptrIiEEEENSD_INSE_IjEEEESG_SI_PmS8_NS6_8equal_toIiEEEE10hipError_tPvRmT2_T3_mT4_T5_T6_T7_T8_P12ihipStream_tbENKUlT_T0_E_clISt17integral_constantIbLb0EES13_EEDaSY_SZ_EUlSY_E_NS1_11comp_targetILNS1_3genE2ELNS1_11target_archE906ELNS1_3gpuE6ELNS1_3repE0EEENS1_30default_config_static_selectorELNS0_4arch9wavefront6targetE0EEEvT1_,comdat
.Lfunc_end809:
	.size	_ZN7rocprim17ROCPRIM_400000_NS6detail17trampoline_kernelINS0_14default_configENS1_29reduce_by_key_config_selectorIijN6thrust23THRUST_200600_302600_NS4plusIjEEEEZZNS1_33reduce_by_key_impl_wrapped_configILNS1_25lookback_scan_determinismE0ES3_S9_NS6_6detail15normal_iteratorINS6_10device_ptrIiEEEENSD_INSE_IjEEEESG_SI_PmS8_NS6_8equal_toIiEEEE10hipError_tPvRmT2_T3_mT4_T5_T6_T7_T8_P12ihipStream_tbENKUlT_T0_E_clISt17integral_constantIbLb0EES13_EEDaSY_SZ_EUlSY_E_NS1_11comp_targetILNS1_3genE2ELNS1_11target_archE906ELNS1_3gpuE6ELNS1_3repE0EEENS1_30default_config_static_selectorELNS0_4arch9wavefront6targetE0EEEvT1_, .Lfunc_end809-_ZN7rocprim17ROCPRIM_400000_NS6detail17trampoline_kernelINS0_14default_configENS1_29reduce_by_key_config_selectorIijN6thrust23THRUST_200600_302600_NS4plusIjEEEEZZNS1_33reduce_by_key_impl_wrapped_configILNS1_25lookback_scan_determinismE0ES3_S9_NS6_6detail15normal_iteratorINS6_10device_ptrIiEEEENSD_INSE_IjEEEESG_SI_PmS8_NS6_8equal_toIiEEEE10hipError_tPvRmT2_T3_mT4_T5_T6_T7_T8_P12ihipStream_tbENKUlT_T0_E_clISt17integral_constantIbLb0EES13_EEDaSY_SZ_EUlSY_E_NS1_11comp_targetILNS1_3genE2ELNS1_11target_archE906ELNS1_3gpuE6ELNS1_3repE0EEENS1_30default_config_static_selectorELNS0_4arch9wavefront6targetE0EEEvT1_
                                        ; -- End function
	.section	.AMDGPU.csdata,"",@progbits
; Kernel info:
; codeLenInByte = 0
; NumSgprs: 0
; NumVgprs: 0
; ScratchSize: 0
; MemoryBound: 0
; FloatMode: 240
; IeeeMode: 1
; LDSByteSize: 0 bytes/workgroup (compile time only)
; SGPRBlocks: 0
; VGPRBlocks: 0
; NumSGPRsForWavesPerEU: 1
; NumVGPRsForWavesPerEU: 1
; Occupancy: 16
; WaveLimiterHint : 0
; COMPUTE_PGM_RSRC2:SCRATCH_EN: 0
; COMPUTE_PGM_RSRC2:USER_SGPR: 15
; COMPUTE_PGM_RSRC2:TRAP_HANDLER: 0
; COMPUTE_PGM_RSRC2:TGID_X_EN: 1
; COMPUTE_PGM_RSRC2:TGID_Y_EN: 0
; COMPUTE_PGM_RSRC2:TGID_Z_EN: 0
; COMPUTE_PGM_RSRC2:TIDIG_COMP_CNT: 0
	.section	.text._ZN7rocprim17ROCPRIM_400000_NS6detail17trampoline_kernelINS0_14default_configENS1_29reduce_by_key_config_selectorIijN6thrust23THRUST_200600_302600_NS4plusIjEEEEZZNS1_33reduce_by_key_impl_wrapped_configILNS1_25lookback_scan_determinismE0ES3_S9_NS6_6detail15normal_iteratorINS6_10device_ptrIiEEEENSD_INSE_IjEEEESG_SI_PmS8_NS6_8equal_toIiEEEE10hipError_tPvRmT2_T3_mT4_T5_T6_T7_T8_P12ihipStream_tbENKUlT_T0_E_clISt17integral_constantIbLb0EES13_EEDaSY_SZ_EUlSY_E_NS1_11comp_targetILNS1_3genE10ELNS1_11target_archE1201ELNS1_3gpuE5ELNS1_3repE0EEENS1_30default_config_static_selectorELNS0_4arch9wavefront6targetE0EEEvT1_,"axG",@progbits,_ZN7rocprim17ROCPRIM_400000_NS6detail17trampoline_kernelINS0_14default_configENS1_29reduce_by_key_config_selectorIijN6thrust23THRUST_200600_302600_NS4plusIjEEEEZZNS1_33reduce_by_key_impl_wrapped_configILNS1_25lookback_scan_determinismE0ES3_S9_NS6_6detail15normal_iteratorINS6_10device_ptrIiEEEENSD_INSE_IjEEEESG_SI_PmS8_NS6_8equal_toIiEEEE10hipError_tPvRmT2_T3_mT4_T5_T6_T7_T8_P12ihipStream_tbENKUlT_T0_E_clISt17integral_constantIbLb0EES13_EEDaSY_SZ_EUlSY_E_NS1_11comp_targetILNS1_3genE10ELNS1_11target_archE1201ELNS1_3gpuE5ELNS1_3repE0EEENS1_30default_config_static_selectorELNS0_4arch9wavefront6targetE0EEEvT1_,comdat
	.protected	_ZN7rocprim17ROCPRIM_400000_NS6detail17trampoline_kernelINS0_14default_configENS1_29reduce_by_key_config_selectorIijN6thrust23THRUST_200600_302600_NS4plusIjEEEEZZNS1_33reduce_by_key_impl_wrapped_configILNS1_25lookback_scan_determinismE0ES3_S9_NS6_6detail15normal_iteratorINS6_10device_ptrIiEEEENSD_INSE_IjEEEESG_SI_PmS8_NS6_8equal_toIiEEEE10hipError_tPvRmT2_T3_mT4_T5_T6_T7_T8_P12ihipStream_tbENKUlT_T0_E_clISt17integral_constantIbLb0EES13_EEDaSY_SZ_EUlSY_E_NS1_11comp_targetILNS1_3genE10ELNS1_11target_archE1201ELNS1_3gpuE5ELNS1_3repE0EEENS1_30default_config_static_selectorELNS0_4arch9wavefront6targetE0EEEvT1_ ; -- Begin function _ZN7rocprim17ROCPRIM_400000_NS6detail17trampoline_kernelINS0_14default_configENS1_29reduce_by_key_config_selectorIijN6thrust23THRUST_200600_302600_NS4plusIjEEEEZZNS1_33reduce_by_key_impl_wrapped_configILNS1_25lookback_scan_determinismE0ES3_S9_NS6_6detail15normal_iteratorINS6_10device_ptrIiEEEENSD_INSE_IjEEEESG_SI_PmS8_NS6_8equal_toIiEEEE10hipError_tPvRmT2_T3_mT4_T5_T6_T7_T8_P12ihipStream_tbENKUlT_T0_E_clISt17integral_constantIbLb0EES13_EEDaSY_SZ_EUlSY_E_NS1_11comp_targetILNS1_3genE10ELNS1_11target_archE1201ELNS1_3gpuE5ELNS1_3repE0EEENS1_30default_config_static_selectorELNS0_4arch9wavefront6targetE0EEEvT1_
	.globl	_ZN7rocprim17ROCPRIM_400000_NS6detail17trampoline_kernelINS0_14default_configENS1_29reduce_by_key_config_selectorIijN6thrust23THRUST_200600_302600_NS4plusIjEEEEZZNS1_33reduce_by_key_impl_wrapped_configILNS1_25lookback_scan_determinismE0ES3_S9_NS6_6detail15normal_iteratorINS6_10device_ptrIiEEEENSD_INSE_IjEEEESG_SI_PmS8_NS6_8equal_toIiEEEE10hipError_tPvRmT2_T3_mT4_T5_T6_T7_T8_P12ihipStream_tbENKUlT_T0_E_clISt17integral_constantIbLb0EES13_EEDaSY_SZ_EUlSY_E_NS1_11comp_targetILNS1_3genE10ELNS1_11target_archE1201ELNS1_3gpuE5ELNS1_3repE0EEENS1_30default_config_static_selectorELNS0_4arch9wavefront6targetE0EEEvT1_
	.p2align	8
	.type	_ZN7rocprim17ROCPRIM_400000_NS6detail17trampoline_kernelINS0_14default_configENS1_29reduce_by_key_config_selectorIijN6thrust23THRUST_200600_302600_NS4plusIjEEEEZZNS1_33reduce_by_key_impl_wrapped_configILNS1_25lookback_scan_determinismE0ES3_S9_NS6_6detail15normal_iteratorINS6_10device_ptrIiEEEENSD_INSE_IjEEEESG_SI_PmS8_NS6_8equal_toIiEEEE10hipError_tPvRmT2_T3_mT4_T5_T6_T7_T8_P12ihipStream_tbENKUlT_T0_E_clISt17integral_constantIbLb0EES13_EEDaSY_SZ_EUlSY_E_NS1_11comp_targetILNS1_3genE10ELNS1_11target_archE1201ELNS1_3gpuE5ELNS1_3repE0EEENS1_30default_config_static_selectorELNS0_4arch9wavefront6targetE0EEEvT1_,@function
_ZN7rocprim17ROCPRIM_400000_NS6detail17trampoline_kernelINS0_14default_configENS1_29reduce_by_key_config_selectorIijN6thrust23THRUST_200600_302600_NS4plusIjEEEEZZNS1_33reduce_by_key_impl_wrapped_configILNS1_25lookback_scan_determinismE0ES3_S9_NS6_6detail15normal_iteratorINS6_10device_ptrIiEEEENSD_INSE_IjEEEESG_SI_PmS8_NS6_8equal_toIiEEEE10hipError_tPvRmT2_T3_mT4_T5_T6_T7_T8_P12ihipStream_tbENKUlT_T0_E_clISt17integral_constantIbLb0EES13_EEDaSY_SZ_EUlSY_E_NS1_11comp_targetILNS1_3genE10ELNS1_11target_archE1201ELNS1_3gpuE5ELNS1_3repE0EEENS1_30default_config_static_selectorELNS0_4arch9wavefront6targetE0EEEvT1_: ; @_ZN7rocprim17ROCPRIM_400000_NS6detail17trampoline_kernelINS0_14default_configENS1_29reduce_by_key_config_selectorIijN6thrust23THRUST_200600_302600_NS4plusIjEEEEZZNS1_33reduce_by_key_impl_wrapped_configILNS1_25lookback_scan_determinismE0ES3_S9_NS6_6detail15normal_iteratorINS6_10device_ptrIiEEEENSD_INSE_IjEEEESG_SI_PmS8_NS6_8equal_toIiEEEE10hipError_tPvRmT2_T3_mT4_T5_T6_T7_T8_P12ihipStream_tbENKUlT_T0_E_clISt17integral_constantIbLb0EES13_EEDaSY_SZ_EUlSY_E_NS1_11comp_targetILNS1_3genE10ELNS1_11target_archE1201ELNS1_3gpuE5ELNS1_3repE0EEENS1_30default_config_static_selectorELNS0_4arch9wavefront6targetE0EEEvT1_
; %bb.0:
	.section	.rodata,"a",@progbits
	.p2align	6, 0x0
	.amdhsa_kernel _ZN7rocprim17ROCPRIM_400000_NS6detail17trampoline_kernelINS0_14default_configENS1_29reduce_by_key_config_selectorIijN6thrust23THRUST_200600_302600_NS4plusIjEEEEZZNS1_33reduce_by_key_impl_wrapped_configILNS1_25lookback_scan_determinismE0ES3_S9_NS6_6detail15normal_iteratorINS6_10device_ptrIiEEEENSD_INSE_IjEEEESG_SI_PmS8_NS6_8equal_toIiEEEE10hipError_tPvRmT2_T3_mT4_T5_T6_T7_T8_P12ihipStream_tbENKUlT_T0_E_clISt17integral_constantIbLb0EES13_EEDaSY_SZ_EUlSY_E_NS1_11comp_targetILNS1_3genE10ELNS1_11target_archE1201ELNS1_3gpuE5ELNS1_3repE0EEENS1_30default_config_static_selectorELNS0_4arch9wavefront6targetE0EEEvT1_
		.amdhsa_group_segment_fixed_size 0
		.amdhsa_private_segment_fixed_size 0
		.amdhsa_kernarg_size 120
		.amdhsa_user_sgpr_count 15
		.amdhsa_user_sgpr_dispatch_ptr 0
		.amdhsa_user_sgpr_queue_ptr 0
		.amdhsa_user_sgpr_kernarg_segment_ptr 1
		.amdhsa_user_sgpr_dispatch_id 0
		.amdhsa_user_sgpr_private_segment_size 0
		.amdhsa_wavefront_size32 1
		.amdhsa_uses_dynamic_stack 0
		.amdhsa_enable_private_segment 0
		.amdhsa_system_sgpr_workgroup_id_x 1
		.amdhsa_system_sgpr_workgroup_id_y 0
		.amdhsa_system_sgpr_workgroup_id_z 0
		.amdhsa_system_sgpr_workgroup_info 0
		.amdhsa_system_vgpr_workitem_id 0
		.amdhsa_next_free_vgpr 1
		.amdhsa_next_free_sgpr 1
		.amdhsa_reserve_vcc 0
		.amdhsa_float_round_mode_32 0
		.amdhsa_float_round_mode_16_64 0
		.amdhsa_float_denorm_mode_32 3
		.amdhsa_float_denorm_mode_16_64 3
		.amdhsa_dx10_clamp 1
		.amdhsa_ieee_mode 1
		.amdhsa_fp16_overflow 0
		.amdhsa_workgroup_processor_mode 1
		.amdhsa_memory_ordered 1
		.amdhsa_forward_progress 0
		.amdhsa_shared_vgpr_count 0
		.amdhsa_exception_fp_ieee_invalid_op 0
		.amdhsa_exception_fp_denorm_src 0
		.amdhsa_exception_fp_ieee_div_zero 0
		.amdhsa_exception_fp_ieee_overflow 0
		.amdhsa_exception_fp_ieee_underflow 0
		.amdhsa_exception_fp_ieee_inexact 0
		.amdhsa_exception_int_div_zero 0
	.end_amdhsa_kernel
	.section	.text._ZN7rocprim17ROCPRIM_400000_NS6detail17trampoline_kernelINS0_14default_configENS1_29reduce_by_key_config_selectorIijN6thrust23THRUST_200600_302600_NS4plusIjEEEEZZNS1_33reduce_by_key_impl_wrapped_configILNS1_25lookback_scan_determinismE0ES3_S9_NS6_6detail15normal_iteratorINS6_10device_ptrIiEEEENSD_INSE_IjEEEESG_SI_PmS8_NS6_8equal_toIiEEEE10hipError_tPvRmT2_T3_mT4_T5_T6_T7_T8_P12ihipStream_tbENKUlT_T0_E_clISt17integral_constantIbLb0EES13_EEDaSY_SZ_EUlSY_E_NS1_11comp_targetILNS1_3genE10ELNS1_11target_archE1201ELNS1_3gpuE5ELNS1_3repE0EEENS1_30default_config_static_selectorELNS0_4arch9wavefront6targetE0EEEvT1_,"axG",@progbits,_ZN7rocprim17ROCPRIM_400000_NS6detail17trampoline_kernelINS0_14default_configENS1_29reduce_by_key_config_selectorIijN6thrust23THRUST_200600_302600_NS4plusIjEEEEZZNS1_33reduce_by_key_impl_wrapped_configILNS1_25lookback_scan_determinismE0ES3_S9_NS6_6detail15normal_iteratorINS6_10device_ptrIiEEEENSD_INSE_IjEEEESG_SI_PmS8_NS6_8equal_toIiEEEE10hipError_tPvRmT2_T3_mT4_T5_T6_T7_T8_P12ihipStream_tbENKUlT_T0_E_clISt17integral_constantIbLb0EES13_EEDaSY_SZ_EUlSY_E_NS1_11comp_targetILNS1_3genE10ELNS1_11target_archE1201ELNS1_3gpuE5ELNS1_3repE0EEENS1_30default_config_static_selectorELNS0_4arch9wavefront6targetE0EEEvT1_,comdat
.Lfunc_end810:
	.size	_ZN7rocprim17ROCPRIM_400000_NS6detail17trampoline_kernelINS0_14default_configENS1_29reduce_by_key_config_selectorIijN6thrust23THRUST_200600_302600_NS4plusIjEEEEZZNS1_33reduce_by_key_impl_wrapped_configILNS1_25lookback_scan_determinismE0ES3_S9_NS6_6detail15normal_iteratorINS6_10device_ptrIiEEEENSD_INSE_IjEEEESG_SI_PmS8_NS6_8equal_toIiEEEE10hipError_tPvRmT2_T3_mT4_T5_T6_T7_T8_P12ihipStream_tbENKUlT_T0_E_clISt17integral_constantIbLb0EES13_EEDaSY_SZ_EUlSY_E_NS1_11comp_targetILNS1_3genE10ELNS1_11target_archE1201ELNS1_3gpuE5ELNS1_3repE0EEENS1_30default_config_static_selectorELNS0_4arch9wavefront6targetE0EEEvT1_, .Lfunc_end810-_ZN7rocprim17ROCPRIM_400000_NS6detail17trampoline_kernelINS0_14default_configENS1_29reduce_by_key_config_selectorIijN6thrust23THRUST_200600_302600_NS4plusIjEEEEZZNS1_33reduce_by_key_impl_wrapped_configILNS1_25lookback_scan_determinismE0ES3_S9_NS6_6detail15normal_iteratorINS6_10device_ptrIiEEEENSD_INSE_IjEEEESG_SI_PmS8_NS6_8equal_toIiEEEE10hipError_tPvRmT2_T3_mT4_T5_T6_T7_T8_P12ihipStream_tbENKUlT_T0_E_clISt17integral_constantIbLb0EES13_EEDaSY_SZ_EUlSY_E_NS1_11comp_targetILNS1_3genE10ELNS1_11target_archE1201ELNS1_3gpuE5ELNS1_3repE0EEENS1_30default_config_static_selectorELNS0_4arch9wavefront6targetE0EEEvT1_
                                        ; -- End function
	.section	.AMDGPU.csdata,"",@progbits
; Kernel info:
; codeLenInByte = 0
; NumSgprs: 0
; NumVgprs: 0
; ScratchSize: 0
; MemoryBound: 0
; FloatMode: 240
; IeeeMode: 1
; LDSByteSize: 0 bytes/workgroup (compile time only)
; SGPRBlocks: 0
; VGPRBlocks: 0
; NumSGPRsForWavesPerEU: 1
; NumVGPRsForWavesPerEU: 1
; Occupancy: 16
; WaveLimiterHint : 0
; COMPUTE_PGM_RSRC2:SCRATCH_EN: 0
; COMPUTE_PGM_RSRC2:USER_SGPR: 15
; COMPUTE_PGM_RSRC2:TRAP_HANDLER: 0
; COMPUTE_PGM_RSRC2:TGID_X_EN: 1
; COMPUTE_PGM_RSRC2:TGID_Y_EN: 0
; COMPUTE_PGM_RSRC2:TGID_Z_EN: 0
; COMPUTE_PGM_RSRC2:TIDIG_COMP_CNT: 0
	.section	.text._ZN7rocprim17ROCPRIM_400000_NS6detail17trampoline_kernelINS0_14default_configENS1_29reduce_by_key_config_selectorIijN6thrust23THRUST_200600_302600_NS4plusIjEEEEZZNS1_33reduce_by_key_impl_wrapped_configILNS1_25lookback_scan_determinismE0ES3_S9_NS6_6detail15normal_iteratorINS6_10device_ptrIiEEEENSD_INSE_IjEEEESG_SI_PmS8_NS6_8equal_toIiEEEE10hipError_tPvRmT2_T3_mT4_T5_T6_T7_T8_P12ihipStream_tbENKUlT_T0_E_clISt17integral_constantIbLb0EES13_EEDaSY_SZ_EUlSY_E_NS1_11comp_targetILNS1_3genE10ELNS1_11target_archE1200ELNS1_3gpuE4ELNS1_3repE0EEENS1_30default_config_static_selectorELNS0_4arch9wavefront6targetE0EEEvT1_,"axG",@progbits,_ZN7rocprim17ROCPRIM_400000_NS6detail17trampoline_kernelINS0_14default_configENS1_29reduce_by_key_config_selectorIijN6thrust23THRUST_200600_302600_NS4plusIjEEEEZZNS1_33reduce_by_key_impl_wrapped_configILNS1_25lookback_scan_determinismE0ES3_S9_NS6_6detail15normal_iteratorINS6_10device_ptrIiEEEENSD_INSE_IjEEEESG_SI_PmS8_NS6_8equal_toIiEEEE10hipError_tPvRmT2_T3_mT4_T5_T6_T7_T8_P12ihipStream_tbENKUlT_T0_E_clISt17integral_constantIbLb0EES13_EEDaSY_SZ_EUlSY_E_NS1_11comp_targetILNS1_3genE10ELNS1_11target_archE1200ELNS1_3gpuE4ELNS1_3repE0EEENS1_30default_config_static_selectorELNS0_4arch9wavefront6targetE0EEEvT1_,comdat
	.protected	_ZN7rocprim17ROCPRIM_400000_NS6detail17trampoline_kernelINS0_14default_configENS1_29reduce_by_key_config_selectorIijN6thrust23THRUST_200600_302600_NS4plusIjEEEEZZNS1_33reduce_by_key_impl_wrapped_configILNS1_25lookback_scan_determinismE0ES3_S9_NS6_6detail15normal_iteratorINS6_10device_ptrIiEEEENSD_INSE_IjEEEESG_SI_PmS8_NS6_8equal_toIiEEEE10hipError_tPvRmT2_T3_mT4_T5_T6_T7_T8_P12ihipStream_tbENKUlT_T0_E_clISt17integral_constantIbLb0EES13_EEDaSY_SZ_EUlSY_E_NS1_11comp_targetILNS1_3genE10ELNS1_11target_archE1200ELNS1_3gpuE4ELNS1_3repE0EEENS1_30default_config_static_selectorELNS0_4arch9wavefront6targetE0EEEvT1_ ; -- Begin function _ZN7rocprim17ROCPRIM_400000_NS6detail17trampoline_kernelINS0_14default_configENS1_29reduce_by_key_config_selectorIijN6thrust23THRUST_200600_302600_NS4plusIjEEEEZZNS1_33reduce_by_key_impl_wrapped_configILNS1_25lookback_scan_determinismE0ES3_S9_NS6_6detail15normal_iteratorINS6_10device_ptrIiEEEENSD_INSE_IjEEEESG_SI_PmS8_NS6_8equal_toIiEEEE10hipError_tPvRmT2_T3_mT4_T5_T6_T7_T8_P12ihipStream_tbENKUlT_T0_E_clISt17integral_constantIbLb0EES13_EEDaSY_SZ_EUlSY_E_NS1_11comp_targetILNS1_3genE10ELNS1_11target_archE1200ELNS1_3gpuE4ELNS1_3repE0EEENS1_30default_config_static_selectorELNS0_4arch9wavefront6targetE0EEEvT1_
	.globl	_ZN7rocprim17ROCPRIM_400000_NS6detail17trampoline_kernelINS0_14default_configENS1_29reduce_by_key_config_selectorIijN6thrust23THRUST_200600_302600_NS4plusIjEEEEZZNS1_33reduce_by_key_impl_wrapped_configILNS1_25lookback_scan_determinismE0ES3_S9_NS6_6detail15normal_iteratorINS6_10device_ptrIiEEEENSD_INSE_IjEEEESG_SI_PmS8_NS6_8equal_toIiEEEE10hipError_tPvRmT2_T3_mT4_T5_T6_T7_T8_P12ihipStream_tbENKUlT_T0_E_clISt17integral_constantIbLb0EES13_EEDaSY_SZ_EUlSY_E_NS1_11comp_targetILNS1_3genE10ELNS1_11target_archE1200ELNS1_3gpuE4ELNS1_3repE0EEENS1_30default_config_static_selectorELNS0_4arch9wavefront6targetE0EEEvT1_
	.p2align	8
	.type	_ZN7rocprim17ROCPRIM_400000_NS6detail17trampoline_kernelINS0_14default_configENS1_29reduce_by_key_config_selectorIijN6thrust23THRUST_200600_302600_NS4plusIjEEEEZZNS1_33reduce_by_key_impl_wrapped_configILNS1_25lookback_scan_determinismE0ES3_S9_NS6_6detail15normal_iteratorINS6_10device_ptrIiEEEENSD_INSE_IjEEEESG_SI_PmS8_NS6_8equal_toIiEEEE10hipError_tPvRmT2_T3_mT4_T5_T6_T7_T8_P12ihipStream_tbENKUlT_T0_E_clISt17integral_constantIbLb0EES13_EEDaSY_SZ_EUlSY_E_NS1_11comp_targetILNS1_3genE10ELNS1_11target_archE1200ELNS1_3gpuE4ELNS1_3repE0EEENS1_30default_config_static_selectorELNS0_4arch9wavefront6targetE0EEEvT1_,@function
_ZN7rocprim17ROCPRIM_400000_NS6detail17trampoline_kernelINS0_14default_configENS1_29reduce_by_key_config_selectorIijN6thrust23THRUST_200600_302600_NS4plusIjEEEEZZNS1_33reduce_by_key_impl_wrapped_configILNS1_25lookback_scan_determinismE0ES3_S9_NS6_6detail15normal_iteratorINS6_10device_ptrIiEEEENSD_INSE_IjEEEESG_SI_PmS8_NS6_8equal_toIiEEEE10hipError_tPvRmT2_T3_mT4_T5_T6_T7_T8_P12ihipStream_tbENKUlT_T0_E_clISt17integral_constantIbLb0EES13_EEDaSY_SZ_EUlSY_E_NS1_11comp_targetILNS1_3genE10ELNS1_11target_archE1200ELNS1_3gpuE4ELNS1_3repE0EEENS1_30default_config_static_selectorELNS0_4arch9wavefront6targetE0EEEvT1_: ; @_ZN7rocprim17ROCPRIM_400000_NS6detail17trampoline_kernelINS0_14default_configENS1_29reduce_by_key_config_selectorIijN6thrust23THRUST_200600_302600_NS4plusIjEEEEZZNS1_33reduce_by_key_impl_wrapped_configILNS1_25lookback_scan_determinismE0ES3_S9_NS6_6detail15normal_iteratorINS6_10device_ptrIiEEEENSD_INSE_IjEEEESG_SI_PmS8_NS6_8equal_toIiEEEE10hipError_tPvRmT2_T3_mT4_T5_T6_T7_T8_P12ihipStream_tbENKUlT_T0_E_clISt17integral_constantIbLb0EES13_EEDaSY_SZ_EUlSY_E_NS1_11comp_targetILNS1_3genE10ELNS1_11target_archE1200ELNS1_3gpuE4ELNS1_3repE0EEENS1_30default_config_static_selectorELNS0_4arch9wavefront6targetE0EEEvT1_
; %bb.0:
	.section	.rodata,"a",@progbits
	.p2align	6, 0x0
	.amdhsa_kernel _ZN7rocprim17ROCPRIM_400000_NS6detail17trampoline_kernelINS0_14default_configENS1_29reduce_by_key_config_selectorIijN6thrust23THRUST_200600_302600_NS4plusIjEEEEZZNS1_33reduce_by_key_impl_wrapped_configILNS1_25lookback_scan_determinismE0ES3_S9_NS6_6detail15normal_iteratorINS6_10device_ptrIiEEEENSD_INSE_IjEEEESG_SI_PmS8_NS6_8equal_toIiEEEE10hipError_tPvRmT2_T3_mT4_T5_T6_T7_T8_P12ihipStream_tbENKUlT_T0_E_clISt17integral_constantIbLb0EES13_EEDaSY_SZ_EUlSY_E_NS1_11comp_targetILNS1_3genE10ELNS1_11target_archE1200ELNS1_3gpuE4ELNS1_3repE0EEENS1_30default_config_static_selectorELNS0_4arch9wavefront6targetE0EEEvT1_
		.amdhsa_group_segment_fixed_size 0
		.amdhsa_private_segment_fixed_size 0
		.amdhsa_kernarg_size 120
		.amdhsa_user_sgpr_count 15
		.amdhsa_user_sgpr_dispatch_ptr 0
		.amdhsa_user_sgpr_queue_ptr 0
		.amdhsa_user_sgpr_kernarg_segment_ptr 1
		.amdhsa_user_sgpr_dispatch_id 0
		.amdhsa_user_sgpr_private_segment_size 0
		.amdhsa_wavefront_size32 1
		.amdhsa_uses_dynamic_stack 0
		.amdhsa_enable_private_segment 0
		.amdhsa_system_sgpr_workgroup_id_x 1
		.amdhsa_system_sgpr_workgroup_id_y 0
		.amdhsa_system_sgpr_workgroup_id_z 0
		.amdhsa_system_sgpr_workgroup_info 0
		.amdhsa_system_vgpr_workitem_id 0
		.amdhsa_next_free_vgpr 1
		.amdhsa_next_free_sgpr 1
		.amdhsa_reserve_vcc 0
		.amdhsa_float_round_mode_32 0
		.amdhsa_float_round_mode_16_64 0
		.amdhsa_float_denorm_mode_32 3
		.amdhsa_float_denorm_mode_16_64 3
		.amdhsa_dx10_clamp 1
		.amdhsa_ieee_mode 1
		.amdhsa_fp16_overflow 0
		.amdhsa_workgroup_processor_mode 1
		.amdhsa_memory_ordered 1
		.amdhsa_forward_progress 0
		.amdhsa_shared_vgpr_count 0
		.amdhsa_exception_fp_ieee_invalid_op 0
		.amdhsa_exception_fp_denorm_src 0
		.amdhsa_exception_fp_ieee_div_zero 0
		.amdhsa_exception_fp_ieee_overflow 0
		.amdhsa_exception_fp_ieee_underflow 0
		.amdhsa_exception_fp_ieee_inexact 0
		.amdhsa_exception_int_div_zero 0
	.end_amdhsa_kernel
	.section	.text._ZN7rocprim17ROCPRIM_400000_NS6detail17trampoline_kernelINS0_14default_configENS1_29reduce_by_key_config_selectorIijN6thrust23THRUST_200600_302600_NS4plusIjEEEEZZNS1_33reduce_by_key_impl_wrapped_configILNS1_25lookback_scan_determinismE0ES3_S9_NS6_6detail15normal_iteratorINS6_10device_ptrIiEEEENSD_INSE_IjEEEESG_SI_PmS8_NS6_8equal_toIiEEEE10hipError_tPvRmT2_T3_mT4_T5_T6_T7_T8_P12ihipStream_tbENKUlT_T0_E_clISt17integral_constantIbLb0EES13_EEDaSY_SZ_EUlSY_E_NS1_11comp_targetILNS1_3genE10ELNS1_11target_archE1200ELNS1_3gpuE4ELNS1_3repE0EEENS1_30default_config_static_selectorELNS0_4arch9wavefront6targetE0EEEvT1_,"axG",@progbits,_ZN7rocprim17ROCPRIM_400000_NS6detail17trampoline_kernelINS0_14default_configENS1_29reduce_by_key_config_selectorIijN6thrust23THRUST_200600_302600_NS4plusIjEEEEZZNS1_33reduce_by_key_impl_wrapped_configILNS1_25lookback_scan_determinismE0ES3_S9_NS6_6detail15normal_iteratorINS6_10device_ptrIiEEEENSD_INSE_IjEEEESG_SI_PmS8_NS6_8equal_toIiEEEE10hipError_tPvRmT2_T3_mT4_T5_T6_T7_T8_P12ihipStream_tbENKUlT_T0_E_clISt17integral_constantIbLb0EES13_EEDaSY_SZ_EUlSY_E_NS1_11comp_targetILNS1_3genE10ELNS1_11target_archE1200ELNS1_3gpuE4ELNS1_3repE0EEENS1_30default_config_static_selectorELNS0_4arch9wavefront6targetE0EEEvT1_,comdat
.Lfunc_end811:
	.size	_ZN7rocprim17ROCPRIM_400000_NS6detail17trampoline_kernelINS0_14default_configENS1_29reduce_by_key_config_selectorIijN6thrust23THRUST_200600_302600_NS4plusIjEEEEZZNS1_33reduce_by_key_impl_wrapped_configILNS1_25lookback_scan_determinismE0ES3_S9_NS6_6detail15normal_iteratorINS6_10device_ptrIiEEEENSD_INSE_IjEEEESG_SI_PmS8_NS6_8equal_toIiEEEE10hipError_tPvRmT2_T3_mT4_T5_T6_T7_T8_P12ihipStream_tbENKUlT_T0_E_clISt17integral_constantIbLb0EES13_EEDaSY_SZ_EUlSY_E_NS1_11comp_targetILNS1_3genE10ELNS1_11target_archE1200ELNS1_3gpuE4ELNS1_3repE0EEENS1_30default_config_static_selectorELNS0_4arch9wavefront6targetE0EEEvT1_, .Lfunc_end811-_ZN7rocprim17ROCPRIM_400000_NS6detail17trampoline_kernelINS0_14default_configENS1_29reduce_by_key_config_selectorIijN6thrust23THRUST_200600_302600_NS4plusIjEEEEZZNS1_33reduce_by_key_impl_wrapped_configILNS1_25lookback_scan_determinismE0ES3_S9_NS6_6detail15normal_iteratorINS6_10device_ptrIiEEEENSD_INSE_IjEEEESG_SI_PmS8_NS6_8equal_toIiEEEE10hipError_tPvRmT2_T3_mT4_T5_T6_T7_T8_P12ihipStream_tbENKUlT_T0_E_clISt17integral_constantIbLb0EES13_EEDaSY_SZ_EUlSY_E_NS1_11comp_targetILNS1_3genE10ELNS1_11target_archE1200ELNS1_3gpuE4ELNS1_3repE0EEENS1_30default_config_static_selectorELNS0_4arch9wavefront6targetE0EEEvT1_
                                        ; -- End function
	.section	.AMDGPU.csdata,"",@progbits
; Kernel info:
; codeLenInByte = 0
; NumSgprs: 0
; NumVgprs: 0
; ScratchSize: 0
; MemoryBound: 0
; FloatMode: 240
; IeeeMode: 1
; LDSByteSize: 0 bytes/workgroup (compile time only)
; SGPRBlocks: 0
; VGPRBlocks: 0
; NumSGPRsForWavesPerEU: 1
; NumVGPRsForWavesPerEU: 1
; Occupancy: 16
; WaveLimiterHint : 0
; COMPUTE_PGM_RSRC2:SCRATCH_EN: 0
; COMPUTE_PGM_RSRC2:USER_SGPR: 15
; COMPUTE_PGM_RSRC2:TRAP_HANDLER: 0
; COMPUTE_PGM_RSRC2:TGID_X_EN: 1
; COMPUTE_PGM_RSRC2:TGID_Y_EN: 0
; COMPUTE_PGM_RSRC2:TGID_Z_EN: 0
; COMPUTE_PGM_RSRC2:TIDIG_COMP_CNT: 0
	.section	.text._ZN7rocprim17ROCPRIM_400000_NS6detail17trampoline_kernelINS0_14default_configENS1_29reduce_by_key_config_selectorIijN6thrust23THRUST_200600_302600_NS4plusIjEEEEZZNS1_33reduce_by_key_impl_wrapped_configILNS1_25lookback_scan_determinismE0ES3_S9_NS6_6detail15normal_iteratorINS6_10device_ptrIiEEEENSD_INSE_IjEEEESG_SI_PmS8_NS6_8equal_toIiEEEE10hipError_tPvRmT2_T3_mT4_T5_T6_T7_T8_P12ihipStream_tbENKUlT_T0_E_clISt17integral_constantIbLb0EES13_EEDaSY_SZ_EUlSY_E_NS1_11comp_targetILNS1_3genE9ELNS1_11target_archE1100ELNS1_3gpuE3ELNS1_3repE0EEENS1_30default_config_static_selectorELNS0_4arch9wavefront6targetE0EEEvT1_,"axG",@progbits,_ZN7rocprim17ROCPRIM_400000_NS6detail17trampoline_kernelINS0_14default_configENS1_29reduce_by_key_config_selectorIijN6thrust23THRUST_200600_302600_NS4plusIjEEEEZZNS1_33reduce_by_key_impl_wrapped_configILNS1_25lookback_scan_determinismE0ES3_S9_NS6_6detail15normal_iteratorINS6_10device_ptrIiEEEENSD_INSE_IjEEEESG_SI_PmS8_NS6_8equal_toIiEEEE10hipError_tPvRmT2_T3_mT4_T5_T6_T7_T8_P12ihipStream_tbENKUlT_T0_E_clISt17integral_constantIbLb0EES13_EEDaSY_SZ_EUlSY_E_NS1_11comp_targetILNS1_3genE9ELNS1_11target_archE1100ELNS1_3gpuE3ELNS1_3repE0EEENS1_30default_config_static_selectorELNS0_4arch9wavefront6targetE0EEEvT1_,comdat
	.protected	_ZN7rocprim17ROCPRIM_400000_NS6detail17trampoline_kernelINS0_14default_configENS1_29reduce_by_key_config_selectorIijN6thrust23THRUST_200600_302600_NS4plusIjEEEEZZNS1_33reduce_by_key_impl_wrapped_configILNS1_25lookback_scan_determinismE0ES3_S9_NS6_6detail15normal_iteratorINS6_10device_ptrIiEEEENSD_INSE_IjEEEESG_SI_PmS8_NS6_8equal_toIiEEEE10hipError_tPvRmT2_T3_mT4_T5_T6_T7_T8_P12ihipStream_tbENKUlT_T0_E_clISt17integral_constantIbLb0EES13_EEDaSY_SZ_EUlSY_E_NS1_11comp_targetILNS1_3genE9ELNS1_11target_archE1100ELNS1_3gpuE3ELNS1_3repE0EEENS1_30default_config_static_selectorELNS0_4arch9wavefront6targetE0EEEvT1_ ; -- Begin function _ZN7rocprim17ROCPRIM_400000_NS6detail17trampoline_kernelINS0_14default_configENS1_29reduce_by_key_config_selectorIijN6thrust23THRUST_200600_302600_NS4plusIjEEEEZZNS1_33reduce_by_key_impl_wrapped_configILNS1_25lookback_scan_determinismE0ES3_S9_NS6_6detail15normal_iteratorINS6_10device_ptrIiEEEENSD_INSE_IjEEEESG_SI_PmS8_NS6_8equal_toIiEEEE10hipError_tPvRmT2_T3_mT4_T5_T6_T7_T8_P12ihipStream_tbENKUlT_T0_E_clISt17integral_constantIbLb0EES13_EEDaSY_SZ_EUlSY_E_NS1_11comp_targetILNS1_3genE9ELNS1_11target_archE1100ELNS1_3gpuE3ELNS1_3repE0EEENS1_30default_config_static_selectorELNS0_4arch9wavefront6targetE0EEEvT1_
	.globl	_ZN7rocprim17ROCPRIM_400000_NS6detail17trampoline_kernelINS0_14default_configENS1_29reduce_by_key_config_selectorIijN6thrust23THRUST_200600_302600_NS4plusIjEEEEZZNS1_33reduce_by_key_impl_wrapped_configILNS1_25lookback_scan_determinismE0ES3_S9_NS6_6detail15normal_iteratorINS6_10device_ptrIiEEEENSD_INSE_IjEEEESG_SI_PmS8_NS6_8equal_toIiEEEE10hipError_tPvRmT2_T3_mT4_T5_T6_T7_T8_P12ihipStream_tbENKUlT_T0_E_clISt17integral_constantIbLb0EES13_EEDaSY_SZ_EUlSY_E_NS1_11comp_targetILNS1_3genE9ELNS1_11target_archE1100ELNS1_3gpuE3ELNS1_3repE0EEENS1_30default_config_static_selectorELNS0_4arch9wavefront6targetE0EEEvT1_
	.p2align	8
	.type	_ZN7rocprim17ROCPRIM_400000_NS6detail17trampoline_kernelINS0_14default_configENS1_29reduce_by_key_config_selectorIijN6thrust23THRUST_200600_302600_NS4plusIjEEEEZZNS1_33reduce_by_key_impl_wrapped_configILNS1_25lookback_scan_determinismE0ES3_S9_NS6_6detail15normal_iteratorINS6_10device_ptrIiEEEENSD_INSE_IjEEEESG_SI_PmS8_NS6_8equal_toIiEEEE10hipError_tPvRmT2_T3_mT4_T5_T6_T7_T8_P12ihipStream_tbENKUlT_T0_E_clISt17integral_constantIbLb0EES13_EEDaSY_SZ_EUlSY_E_NS1_11comp_targetILNS1_3genE9ELNS1_11target_archE1100ELNS1_3gpuE3ELNS1_3repE0EEENS1_30default_config_static_selectorELNS0_4arch9wavefront6targetE0EEEvT1_,@function
_ZN7rocprim17ROCPRIM_400000_NS6detail17trampoline_kernelINS0_14default_configENS1_29reduce_by_key_config_selectorIijN6thrust23THRUST_200600_302600_NS4plusIjEEEEZZNS1_33reduce_by_key_impl_wrapped_configILNS1_25lookback_scan_determinismE0ES3_S9_NS6_6detail15normal_iteratorINS6_10device_ptrIiEEEENSD_INSE_IjEEEESG_SI_PmS8_NS6_8equal_toIiEEEE10hipError_tPvRmT2_T3_mT4_T5_T6_T7_T8_P12ihipStream_tbENKUlT_T0_E_clISt17integral_constantIbLb0EES13_EEDaSY_SZ_EUlSY_E_NS1_11comp_targetILNS1_3genE9ELNS1_11target_archE1100ELNS1_3gpuE3ELNS1_3repE0EEENS1_30default_config_static_selectorELNS0_4arch9wavefront6targetE0EEEvT1_: ; @_ZN7rocprim17ROCPRIM_400000_NS6detail17trampoline_kernelINS0_14default_configENS1_29reduce_by_key_config_selectorIijN6thrust23THRUST_200600_302600_NS4plusIjEEEEZZNS1_33reduce_by_key_impl_wrapped_configILNS1_25lookback_scan_determinismE0ES3_S9_NS6_6detail15normal_iteratorINS6_10device_ptrIiEEEENSD_INSE_IjEEEESG_SI_PmS8_NS6_8equal_toIiEEEE10hipError_tPvRmT2_T3_mT4_T5_T6_T7_T8_P12ihipStream_tbENKUlT_T0_E_clISt17integral_constantIbLb0EES13_EEDaSY_SZ_EUlSY_E_NS1_11comp_targetILNS1_3genE9ELNS1_11target_archE1100ELNS1_3gpuE3ELNS1_3repE0EEENS1_30default_config_static_selectorELNS0_4arch9wavefront6targetE0EEEvT1_
; %bb.0:
	s_clause 0x4
	s_load_b256 s[16:23], s[0:1], 0x0
	s_load_b256 s[24:31], s[0:1], 0x38
	s_load_b128 s[36:39], s[0:1], 0x20
	s_load_b64 s[34:35], s[0:1], 0x68
	s_load_b128 s[40:43], s[0:1], 0x58
	s_mov_b32 s3, 0
	s_mul_i32 s2, s15, 0xf00
	s_waitcnt lgkmcnt(0)
	s_lshl_b64 s[0:1], s[18:19], 2
	s_mul_i32 s4, s28, s27
	s_add_u32 s8, s16, s0
	s_mul_hi_u32 s5, s28, s26
	s_addc_u32 s9, s17, s1
	s_add_u32 s10, s20, s0
	s_mul_i32 s6, s29, s26
	s_addc_u32 s11, s21, s1
	s_add_i32 s4, s5, s4
	s_lshl_b64 s[0:1], s[2:3], 2
	s_add_i32 s4, s4, s6
	s_add_u32 s33, s8, s0
	s_addc_u32 s29, s9, s1
	s_mul_i32 s7, s28, s26
	s_add_u32 s18, s10, s0
	s_addc_u32 s19, s11, s1
	s_add_u32 s16, s7, s15
	s_addc_u32 s17, s4, 0
	s_add_u32 s0, s30, -1
	s_addc_u32 s1, s31, -1
	s_mul_i32 s21, s0, 0xfffff100
	s_cmp_eq_u64 s[16:17], s[0:1]
	s_cselect_b32 s20, -1, 0
	s_cmp_lg_u64 s[16:17], s[0:1]
	s_cselect_b32 s14, -1, 0
	s_and_b32 vcc_lo, exec_lo, s20
	s_cbranch_vccnz .LBB812_2
; %bb.1:
	v_lshlrev_b32_e32 v8, 2, v0
	s_delay_alu instid0(VALU_DEP_1) | instskip(NEXT) | instid1(VALU_DEP_1)
	v_add_co_u32 v1, s0, s33, v8
	v_add_co_ci_u32_e64 v2, null, s29, 0, s0
	s_delay_alu instid0(VALU_DEP_2) | instskip(NEXT) | instid1(VALU_DEP_2)
	v_add_co_u32 v3, vcc_lo, 0x1000, v1
	v_add_co_ci_u32_e32 v4, vcc_lo, 0, v2, vcc_lo
	s_clause 0x7
	flat_load_b32 v9, v[1:2]
	flat_load_b32 v10, v[1:2] offset:1024
	flat_load_b32 v11, v[1:2] offset:2048
	;; [unrolled: 1-line block ×3, first 2 shown]
	flat_load_b32 v13, v[3:4]
	flat_load_b32 v14, v[3:4] offset:1024
	flat_load_b32 v15, v[3:4] offset:2048
	;; [unrolled: 1-line block ×3, first 2 shown]
	v_add_co_u32 v3, vcc_lo, 0x2000, v1
	v_add_co_ci_u32_e32 v4, vcc_lo, 0, v2, vcc_lo
	v_add_co_u32 v1, vcc_lo, 0x3000, v1
	v_add_co_ci_u32_e32 v2, vcc_lo, 0, v2, vcc_lo
	s_clause 0x6
	flat_load_b32 v17, v[3:4]
	flat_load_b32 v18, v[3:4] offset:1024
	flat_load_b32 v19, v[3:4] offset:2048
	;; [unrolled: 1-line block ×3, first 2 shown]
	flat_load_b32 v21, v[1:2]
	flat_load_b32 v22, v[1:2] offset:1024
	flat_load_b32 v25, v[1:2] offset:2048
	v_add_co_u32 v2, s0, s18, v8
	s_delay_alu instid0(VALU_DEP_1) | instskip(SKIP_1) | instid1(VALU_DEP_3)
	v_add_co_ci_u32_e64 v3, null, s19, 0, s0
	v_mad_u32_u24 v1, v0, 56, v8
	v_add_co_u32 v4, vcc_lo, 0x1000, v2
	s_delay_alu instid0(VALU_DEP_3)
	v_add_co_ci_u32_e32 v5, vcc_lo, 0, v3, vcc_lo
	v_add_co_u32 v6, vcc_lo, 0x2000, v2
	v_add_co_ci_u32_e32 v7, vcc_lo, 0, v3, vcc_lo
	v_add_co_u32 v23, vcc_lo, 0x3000, v2
	v_add_co_ci_u32_e32 v24, vcc_lo, 0, v3, vcc_lo
	s_waitcnt vmcnt(13) lgkmcnt(13)
	ds_store_2addr_stride64_b32 v8, v9, v10 offset1:4
	s_waitcnt vmcnt(11) lgkmcnt(12)
	ds_store_2addr_stride64_b32 v8, v11, v12 offset0:8 offset1:12
	s_waitcnt vmcnt(9) lgkmcnt(11)
	ds_store_2addr_stride64_b32 v8, v13, v14 offset0:16 offset1:20
	;; [unrolled: 2-line block ×6, first 2 shown]
	s_waitcnt vmcnt(0) lgkmcnt(7)
	ds_store_b32 v8, v25 offset:14336
	s_waitcnt lgkmcnt(0)
	s_barrier
	buffer_gl0_inv
	ds_load_2addr_b32 v[21:22], v1 offset1:1
	ds_load_2addr_b32 v[19:20], v1 offset0:2 offset1:3
	ds_load_2addr_b32 v[17:18], v1 offset0:4 offset1:5
	;; [unrolled: 1-line block ×6, first 2 shown]
	ds_load_b32 v63, v1 offset:56
	s_waitcnt lgkmcnt(0)
	s_barrier
	buffer_gl0_inv
	s_clause 0xe
	flat_load_b32 v25, v[2:3]
	flat_load_b32 v26, v[2:3] offset:1024
	flat_load_b32 v27, v[2:3] offset:2048
	flat_load_b32 v2, v[2:3] offset:3072
	flat_load_b32 v3, v[4:5]
	flat_load_b32 v28, v[4:5] offset:1024
	flat_load_b32 v29, v[4:5] offset:2048
	flat_load_b32 v4, v[4:5] offset:3072
	;; [unrolled: 4-line block ×3, first 2 shown]
	flat_load_b32 v7, v[23:24]
	flat_load_b32 v32, v[23:24] offset:1024
	flat_load_b32 v23, v[23:24] offset:2048
	s_waitcnt vmcnt(13) lgkmcnt(13)
	ds_store_2addr_stride64_b32 v8, v25, v26 offset1:4
	s_waitcnt vmcnt(11) lgkmcnt(12)
	ds_store_2addr_stride64_b32 v8, v27, v2 offset0:8 offset1:12
	s_waitcnt vmcnt(9) lgkmcnt(11)
	ds_store_2addr_stride64_b32 v8, v3, v28 offset0:16 offset1:20
	;; [unrolled: 2-line block ×6, first 2 shown]
	s_waitcnt vmcnt(0) lgkmcnt(7)
	ds_store_b32 v8, v23 offset:14336
	s_waitcnt lgkmcnt(0)
	s_barrier
	s_and_not1_b32 vcc_lo, exec_lo, s3
	s_add_i32 s21, s21, s40
	s_cbranch_vccz .LBB812_3
	s_branch .LBB812_50
.LBB812_2:
                                        ; implicit-def: $vgpr1
                                        ; implicit-def: $vgpr21
                                        ; implicit-def: $vgpr19
                                        ; implicit-def: $vgpr17
                                        ; implicit-def: $vgpr15
                                        ; implicit-def: $vgpr13
                                        ; implicit-def: $vgpr11
                                        ; implicit-def: $vgpr9
                                        ; implicit-def: $vgpr63
	s_add_i32 s21, s21, s40
.LBB812_3:
	s_delay_alu instid0(SALU_CYCLE_1)
	v_cmp_gt_u32_e32 vcc_lo, s21, v0
                                        ; implicit-def: $vgpr1
	s_and_saveexec_b32 s0, vcc_lo
	s_cbranch_execz .LBB812_5
; %bb.4:
	v_lshlrev_b32_e32 v1, 2, v0
	s_delay_alu instid0(VALU_DEP_1) | instskip(NEXT) | instid1(VALU_DEP_1)
	v_add_co_u32 v1, s1, s33, v1
	v_add_co_ci_u32_e64 v2, null, s29, 0, s1
	flat_load_b32 v1, v[1:2]
.LBB812_5:
	s_or_b32 exec_lo, exec_lo, s0
	v_or_b32_e32 v2, 0x100, v0
                                        ; implicit-def: $vgpr9
	s_delay_alu instid0(VALU_DEP_1) | instskip(NEXT) | instid1(VALU_DEP_1)
	v_cmp_gt_u32_e64 s0, s21, v2
	s_and_saveexec_b32 s1, s0
	s_cbranch_execz .LBB812_7
; %bb.6:
	v_lshlrev_b32_e32 v2, 2, v0
	s_delay_alu instid0(VALU_DEP_1) | instskip(NEXT) | instid1(VALU_DEP_1)
	v_add_co_u32 v2, s2, s33, v2
	v_add_co_ci_u32_e64 v3, null, s29, 0, s2
	flat_load_b32 v9, v[2:3] offset:1024
.LBB812_7:
	s_or_b32 exec_lo, exec_lo, s1
	v_or_b32_e32 v2, 0x200, v0
                                        ; implicit-def: $vgpr10
	s_delay_alu instid0(VALU_DEP_1) | instskip(NEXT) | instid1(VALU_DEP_1)
	v_cmp_gt_u32_e64 s1, s21, v2
	s_and_saveexec_b32 s2, s1
	s_cbranch_execz .LBB812_9
; %bb.8:
	v_lshlrev_b32_e32 v2, 2, v0
	s_delay_alu instid0(VALU_DEP_1) | instskip(NEXT) | instid1(VALU_DEP_1)
	v_add_co_u32 v2, s3, s33, v2
	v_add_co_ci_u32_e64 v3, null, s29, 0, s3
	flat_load_b32 v10, v[2:3] offset:2048
.LBB812_9:
	s_or_b32 exec_lo, exec_lo, s2
	v_or_b32_e32 v2, 0x300, v0
                                        ; implicit-def: $vgpr11
	s_delay_alu instid0(VALU_DEP_1) | instskip(NEXT) | instid1(VALU_DEP_1)
	v_cmp_gt_u32_e64 s2, s21, v2
	s_and_saveexec_b32 s3, s2
	s_cbranch_execz .LBB812_11
; %bb.10:
	v_lshlrev_b32_e32 v2, 2, v0
	s_delay_alu instid0(VALU_DEP_1) | instskip(NEXT) | instid1(VALU_DEP_1)
	v_add_co_u32 v2, s4, s33, v2
	v_add_co_ci_u32_e64 v3, null, s29, 0, s4
	flat_load_b32 v11, v[2:3] offset:3072
.LBB812_11:
	s_or_b32 exec_lo, exec_lo, s3
	v_or_b32_e32 v2, 0x400, v0
                                        ; implicit-def: $vgpr12
	s_delay_alu instid0(VALU_DEP_1) | instskip(SKIP_1) | instid1(VALU_DEP_2)
	v_cmp_gt_u32_e64 s3, s21, v2
	v_lshlrev_b32_e32 v2, 2, v2
	s_and_saveexec_b32 s4, s3
	s_cbranch_execz .LBB812_13
; %bb.12:
	s_delay_alu instid0(VALU_DEP_1) | instskip(NEXT) | instid1(VALU_DEP_1)
	v_add_co_u32 v3, s5, s33, v2
	v_add_co_ci_u32_e64 v4, null, s29, 0, s5
	flat_load_b32 v12, v[3:4]
.LBB812_13:
	s_or_b32 exec_lo, exec_lo, s4
	v_or_b32_e32 v3, 0x500, v0
                                        ; implicit-def: $vgpr13
	s_delay_alu instid0(VALU_DEP_1) | instskip(SKIP_1) | instid1(VALU_DEP_2)
	v_cmp_gt_u32_e64 s4, s21, v3
	v_lshlrev_b32_e32 v3, 2, v3
	s_and_saveexec_b32 s5, s4
	s_cbranch_execz .LBB812_15
; %bb.14:
	s_delay_alu instid0(VALU_DEP_1) | instskip(NEXT) | instid1(VALU_DEP_1)
	v_add_co_u32 v4, s6, s33, v3
	v_add_co_ci_u32_e64 v5, null, s29, 0, s6
	flat_load_b32 v13, v[4:5]
.LBB812_15:
	s_or_b32 exec_lo, exec_lo, s5
	v_or_b32_e32 v4, 0x600, v0
                                        ; implicit-def: $vgpr14
	s_delay_alu instid0(VALU_DEP_1) | instskip(SKIP_1) | instid1(VALU_DEP_2)
	v_cmp_gt_u32_e64 s5, s21, v4
	v_lshlrev_b32_e32 v4, 2, v4
	s_and_saveexec_b32 s6, s5
	s_cbranch_execz .LBB812_17
; %bb.16:
	s_delay_alu instid0(VALU_DEP_1) | instskip(NEXT) | instid1(VALU_DEP_1)
	v_add_co_u32 v5, s7, s33, v4
	v_add_co_ci_u32_e64 v6, null, s29, 0, s7
	flat_load_b32 v14, v[5:6]
.LBB812_17:
	s_or_b32 exec_lo, exec_lo, s6
	v_or_b32_e32 v5, 0x700, v0
                                        ; implicit-def: $vgpr15
	s_delay_alu instid0(VALU_DEP_1) | instskip(SKIP_1) | instid1(VALU_DEP_2)
	v_cmp_gt_u32_e64 s6, s21, v5
	v_lshlrev_b32_e32 v5, 2, v5
	s_and_saveexec_b32 s7, s6
	s_cbranch_execz .LBB812_19
; %bb.18:
	s_delay_alu instid0(VALU_DEP_1) | instskip(NEXT) | instid1(VALU_DEP_1)
	v_add_co_u32 v6, s8, s33, v5
	v_add_co_ci_u32_e64 v7, null, s29, 0, s8
	flat_load_b32 v15, v[6:7]
.LBB812_19:
	s_or_b32 exec_lo, exec_lo, s7
	v_or_b32_e32 v6, 0x800, v0
                                        ; implicit-def: $vgpr16
	s_delay_alu instid0(VALU_DEP_1) | instskip(SKIP_1) | instid1(VALU_DEP_2)
	v_cmp_gt_u32_e64 s7, s21, v6
	v_lshlrev_b32_e32 v6, 2, v6
	s_and_saveexec_b32 s8, s7
	s_cbranch_execz .LBB812_21
; %bb.20:
	s_delay_alu instid0(VALU_DEP_1) | instskip(NEXT) | instid1(VALU_DEP_1)
	v_add_co_u32 v7, s9, s33, v6
	v_add_co_ci_u32_e64 v8, null, s29, 0, s9
	flat_load_b32 v16, v[7:8]
.LBB812_21:
	s_or_b32 exec_lo, exec_lo, s8
	v_or_b32_e32 v7, 0x900, v0
                                        ; implicit-def: $vgpr17
	s_delay_alu instid0(VALU_DEP_1) | instskip(SKIP_1) | instid1(VALU_DEP_2)
	v_cmp_gt_u32_e64 s8, s21, v7
	v_lshlrev_b32_e32 v7, 2, v7
	s_and_saveexec_b32 s9, s8
	s_cbranch_execz .LBB812_23
; %bb.22:
	s_delay_alu instid0(VALU_DEP_1) | instskip(NEXT) | instid1(VALU_DEP_1)
	v_add_co_u32 v17, s10, s33, v7
	v_add_co_ci_u32_e64 v18, null, s29, 0, s10
	flat_load_b32 v17, v[17:18]
.LBB812_23:
	s_or_b32 exec_lo, exec_lo, s9
	v_or_b32_e32 v8, 0xa00, v0
                                        ; implicit-def: $vgpr18
	s_delay_alu instid0(VALU_DEP_1) | instskip(SKIP_1) | instid1(VALU_DEP_2)
	v_cmp_gt_u32_e64 s9, s21, v8
	v_lshlrev_b32_e32 v23, 2, v8
	s_and_saveexec_b32 s10, s9
	s_cbranch_execz .LBB812_25
; %bb.24:
	s_delay_alu instid0(VALU_DEP_1) | instskip(NEXT) | instid1(VALU_DEP_1)
	v_add_co_u32 v18, s11, s33, v23
	v_add_co_ci_u32_e64 v19, null, s29, 0, s11
	flat_load_b32 v18, v[18:19]
.LBB812_25:
	s_or_b32 exec_lo, exec_lo, s10
	v_or_b32_e32 v8, 0xb00, v0
                                        ; implicit-def: $vgpr19
	s_delay_alu instid0(VALU_DEP_1) | instskip(SKIP_1) | instid1(VALU_DEP_2)
	v_cmp_gt_u32_e64 s10, s21, v8
	v_lshlrev_b32_e32 v24, 2, v8
	s_and_saveexec_b32 s11, s10
	s_cbranch_execz .LBB812_27
; %bb.26:
	s_delay_alu instid0(VALU_DEP_1) | instskip(NEXT) | instid1(VALU_DEP_1)
	v_add_co_u32 v19, s12, s33, v24
	v_add_co_ci_u32_e64 v20, null, s29, 0, s12
	flat_load_b32 v19, v[19:20]
.LBB812_27:
	s_or_b32 exec_lo, exec_lo, s11
	v_or_b32_e32 v8, 0xc00, v0
                                        ; implicit-def: $vgpr20
	s_delay_alu instid0(VALU_DEP_1) | instskip(SKIP_1) | instid1(VALU_DEP_2)
	v_cmp_gt_u32_e64 s11, s21, v8
	v_lshlrev_b32_e32 v25, 2, v8
	s_and_saveexec_b32 s12, s11
	s_cbranch_execz .LBB812_29
; %bb.28:
	s_delay_alu instid0(VALU_DEP_1) | instskip(NEXT) | instid1(VALU_DEP_1)
	v_add_co_u32 v20, s13, s33, v25
	v_add_co_ci_u32_e64 v21, null, s29, 0, s13
	flat_load_b32 v20, v[20:21]
.LBB812_29:
	s_or_b32 exec_lo, exec_lo, s12
	v_or_b32_e32 v8, 0xd00, v0
                                        ; implicit-def: $vgpr21
	s_delay_alu instid0(VALU_DEP_1) | instskip(SKIP_1) | instid1(VALU_DEP_2)
	v_cmp_gt_u32_e64 s12, s21, v8
	v_lshlrev_b32_e32 v26, 2, v8
	s_and_saveexec_b32 s13, s12
	s_cbranch_execz .LBB812_31
; %bb.30:
	s_delay_alu instid0(VALU_DEP_1) | instskip(NEXT) | instid1(VALU_DEP_1)
	v_add_co_u32 v21, s28, s33, v26
	v_add_co_ci_u32_e64 v22, null, s29, 0, s28
	flat_load_b32 v21, v[21:22]
.LBB812_31:
	s_or_b32 exec_lo, exec_lo, s13
	v_or_b32_e32 v8, 0xe00, v0
                                        ; implicit-def: $vgpr22
	s_delay_alu instid0(VALU_DEP_1) | instskip(SKIP_1) | instid1(VALU_DEP_2)
	v_cmp_gt_u32_e64 s13, s21, v8
	v_lshlrev_b32_e32 v27, 2, v8
	s_and_saveexec_b32 s28, s13
	s_cbranch_execz .LBB812_33
; %bb.32:
	s_delay_alu instid0(VALU_DEP_1) | instskip(NEXT) | instid1(VALU_DEP_1)
	v_add_co_u32 v28, s30, s33, v27
	v_add_co_ci_u32_e64 v29, null, s29, 0, s30
	flat_load_b32 v22, v[28:29]
.LBB812_33:
	s_or_b32 exec_lo, exec_lo, s28
	v_lshlrev_b32_e32 v8, 2, v0
                                        ; implicit-def: $vgpr28
	s_waitcnt vmcnt(0) lgkmcnt(0)
	ds_store_2addr_stride64_b32 v8, v1, v9 offset1:4
	ds_store_2addr_stride64_b32 v8, v10, v11 offset0:8 offset1:12
	ds_store_2addr_stride64_b32 v8, v12, v13 offset0:16 offset1:20
	;; [unrolled: 1-line block ×6, first 2 shown]
	v_mad_u32_u24 v1, v0, 56, v8
	ds_store_b32 v8, v22 offset:14336
	s_waitcnt lgkmcnt(0)
	s_barrier
	buffer_gl0_inv
	ds_load_2addr_b32 v[21:22], v1 offset1:1
	ds_load_2addr_b32 v[19:20], v1 offset0:2 offset1:3
	ds_load_2addr_b32 v[17:18], v1 offset0:4 offset1:5
	;; [unrolled: 1-line block ×6, first 2 shown]
	ds_load_b32 v63, v1 offset:56
	s_waitcnt lgkmcnt(0)
	s_barrier
	buffer_gl0_inv
	s_and_saveexec_b32 s28, vcc_lo
	s_cbranch_execnz .LBB812_57
; %bb.34:
	s_or_b32 exec_lo, exec_lo, s28
                                        ; implicit-def: $vgpr29
	s_and_saveexec_b32 s28, s0
	s_cbranch_execnz .LBB812_58
.LBB812_35:
	s_or_b32 exec_lo, exec_lo, s28
                                        ; implicit-def: $vgpr30
	s_and_saveexec_b32 s0, s1
	s_cbranch_execnz .LBB812_59
.LBB812_36:
	s_or_b32 exec_lo, exec_lo, s0
                                        ; implicit-def: $vgpr31
	s_and_saveexec_b32 s0, s2
	s_cbranch_execnz .LBB812_60
.LBB812_37:
	s_or_b32 exec_lo, exec_lo, s0
                                        ; implicit-def: $vgpr32
	s_and_saveexec_b32 s0, s3
	s_cbranch_execnz .LBB812_61
.LBB812_38:
	s_or_b32 exec_lo, exec_lo, s0
                                        ; implicit-def: $vgpr2
	s_and_saveexec_b32 s0, s4
	s_cbranch_execnz .LBB812_62
.LBB812_39:
	s_or_b32 exec_lo, exec_lo, s0
                                        ; implicit-def: $vgpr3
	s_and_saveexec_b32 s0, s5
	s_cbranch_execnz .LBB812_63
.LBB812_40:
	s_or_b32 exec_lo, exec_lo, s0
                                        ; implicit-def: $vgpr4
	s_and_saveexec_b32 s0, s6
	s_cbranch_execnz .LBB812_64
.LBB812_41:
	s_or_b32 exec_lo, exec_lo, s0
                                        ; implicit-def: $vgpr5
	s_and_saveexec_b32 s0, s7
	s_cbranch_execnz .LBB812_65
.LBB812_42:
	s_or_b32 exec_lo, exec_lo, s0
                                        ; implicit-def: $vgpr6
	s_and_saveexec_b32 s0, s8
	s_cbranch_execnz .LBB812_66
.LBB812_43:
	s_or_b32 exec_lo, exec_lo, s0
                                        ; implicit-def: $vgpr7
	s_and_saveexec_b32 s0, s9
	s_cbranch_execnz .LBB812_67
.LBB812_44:
	s_or_b32 exec_lo, exec_lo, s0
                                        ; implicit-def: $vgpr23
	s_and_saveexec_b32 s0, s10
	s_cbranch_execnz .LBB812_68
.LBB812_45:
	s_or_b32 exec_lo, exec_lo, s0
                                        ; implicit-def: $vgpr24
	s_and_saveexec_b32 s0, s11
	s_cbranch_execnz .LBB812_69
.LBB812_46:
	s_or_b32 exec_lo, exec_lo, s0
                                        ; implicit-def: $vgpr25
	s_and_saveexec_b32 s0, s12
	s_cbranch_execnz .LBB812_70
.LBB812_47:
	s_or_b32 exec_lo, exec_lo, s0
                                        ; implicit-def: $vgpr26
	s_and_saveexec_b32 s0, s13
	s_cbranch_execz .LBB812_49
.LBB812_48:
	v_add_co_u32 v26, s1, s18, v27
	s_delay_alu instid0(VALU_DEP_1)
	v_add_co_ci_u32_e64 v27, null, s19, 0, s1
	flat_load_b32 v26, v[26:27]
.LBB812_49:
	s_or_b32 exec_lo, exec_lo, s0
	s_waitcnt vmcnt(0) lgkmcnt(0)
	ds_store_2addr_stride64_b32 v8, v28, v29 offset1:4
	ds_store_2addr_stride64_b32 v8, v30, v31 offset0:8 offset1:12
	ds_store_2addr_stride64_b32 v8, v32, v2 offset0:16 offset1:20
	;; [unrolled: 1-line block ×6, first 2 shown]
	ds_store_b32 v8, v26 offset:14336
	s_waitcnt lgkmcnt(0)
	s_barrier
.LBB812_50:
	buffer_gl0_inv
	ds_load_2addr_b32 v[35:36], v1 offset1:1
	ds_load_2addr_b32 v[33:34], v1 offset0:2 offset1:3
	ds_load_2addr_b32 v[31:32], v1 offset0:4 offset1:5
	;; [unrolled: 1-line block ×6, first 2 shown]
	ds_load_b32 v79, v1 offset:56
	s_cmp_eq_u64 s[16:17], 0
	s_waitcnt lgkmcnt(0)
	s_cselect_b32 s28, -1, 0
	s_cmp_lg_u64 s[16:17], 0
	s_barrier
	s_cselect_b32 s31, -1, 0
	s_and_b32 vcc_lo, exec_lo, s14
	buffer_gl0_inv
	s_cbranch_vccz .LBB812_56
; %bb.51:
	s_and_b32 vcc_lo, exec_lo, s31
	s_cbranch_vccz .LBB812_71
; %bb.52:
	v_add_co_u32 v1, s0, -4, s33
	s_delay_alu instid0(VALU_DEP_1)
	v_add_co_ci_u32_e64 v2, null, -1, s29, s0
	v_cmp_ne_u32_e32 vcc_lo, v10, v63
	v_cmp_ne_u32_e64 s0, v9, v10
	v_cmp_ne_u32_e64 s1, v12, v9
	flat_load_b32 v1, v[1:2]
	v_lshlrev_b32_e32 v2, 2, v0
	v_cmp_ne_u32_e64 s2, v11, v12
	v_cmp_ne_u32_e64 s3, v14, v11
	;; [unrolled: 1-line block ×11, first 2 shown]
	s_mov_b32 s30, -1
	s_mov_b32 s14, 0
	s_mov_b32 s18, exec_lo
	ds_store_b32 v2, v63
	s_waitcnt vmcnt(0) lgkmcnt(0)
	s_barrier
	buffer_gl0_inv
	v_cmpx_ne_u32_e32 0, v0
	s_cbranch_execz .LBB812_54
; %bb.53:
	v_add_nc_u32_e32 v1, -4, v2
	ds_load_b32 v1, v1
.LBB812_54:
	s_or_b32 exec_lo, exec_lo, s18
	v_cndmask_b32_e64 v69, 0, 1, vcc_lo
	v_cndmask_b32_e64 v64, 0, 1, s0
	v_cndmask_b32_e64 v65, 0, 1, s1
	;; [unrolled: 1-line block ×13, first 2 shown]
	s_waitcnt lgkmcnt(0)
	v_cmp_ne_u32_e64 s0, v1, v21
	s_and_b32 vcc_lo, exec_lo, s14
	s_cbranch_vccnz .LBB812_72
.LBB812_55:
                                        ; implicit-def: $sgpr1
	s_branch .LBB812_83
.LBB812_56:
	s_mov_b32 s30, 0
                                        ; implicit-def: $sgpr0
                                        ; implicit-def: $vgpr69
                                        ; implicit-def: $vgpr64
                                        ; implicit-def: $vgpr65
                                        ; implicit-def: $vgpr66
                                        ; implicit-def: $vgpr67
                                        ; implicit-def: $vgpr68
                                        ; implicit-def: $vgpr70
                                        ; implicit-def: $vgpr71
                                        ; implicit-def: $vgpr72
                                        ; implicit-def: $vgpr73
                                        ; implicit-def: $vgpr74
                                        ; implicit-def: $vgpr75
                                        ; implicit-def: $vgpr76
                                        ; implicit-def: $vgpr77
                                        ; implicit-def: $sgpr1
	s_cbranch_execnz .LBB812_75
	s_branch .LBB812_83
.LBB812_57:
	v_add_co_u32 v28, s30, s18, v8
	s_delay_alu instid0(VALU_DEP_1)
	v_add_co_ci_u32_e64 v29, null, s19, 0, s30
	flat_load_b32 v28, v[28:29]
	s_or_b32 exec_lo, exec_lo, s28
                                        ; implicit-def: $vgpr29
	s_and_saveexec_b32 s28, s0
	s_cbranch_execz .LBB812_35
.LBB812_58:
	v_add_co_u32 v29, s0, s18, v8
	s_delay_alu instid0(VALU_DEP_1)
	v_add_co_ci_u32_e64 v30, null, s19, 0, s0
	flat_load_b32 v29, v[29:30] offset:1024
	s_or_b32 exec_lo, exec_lo, s28
                                        ; implicit-def: $vgpr30
	s_and_saveexec_b32 s0, s1
	s_cbranch_execz .LBB812_36
.LBB812_59:
	v_add_co_u32 v30, s1, s18, v8
	s_delay_alu instid0(VALU_DEP_1)
	v_add_co_ci_u32_e64 v31, null, s19, 0, s1
	flat_load_b32 v30, v[30:31] offset:2048
	s_or_b32 exec_lo, exec_lo, s0
                                        ; implicit-def: $vgpr31
	s_and_saveexec_b32 s0, s2
	s_cbranch_execz .LBB812_37
.LBB812_60:
	v_add_co_u32 v31, s1, s18, v8
	s_delay_alu instid0(VALU_DEP_1)
	v_add_co_ci_u32_e64 v32, null, s19, 0, s1
	flat_load_b32 v31, v[31:32] offset:3072
	s_or_b32 exec_lo, exec_lo, s0
                                        ; implicit-def: $vgpr32
	s_and_saveexec_b32 s0, s3
	s_cbranch_execz .LBB812_38
.LBB812_61:
	v_add_co_u32 v32, s1, s18, v2
	s_delay_alu instid0(VALU_DEP_1)
	v_add_co_ci_u32_e64 v33, null, s19, 0, s1
	flat_load_b32 v32, v[32:33]
	s_or_b32 exec_lo, exec_lo, s0
                                        ; implicit-def: $vgpr2
	s_and_saveexec_b32 s0, s4
	s_cbranch_execz .LBB812_39
.LBB812_62:
	v_add_co_u32 v2, s1, s18, v3
	s_delay_alu instid0(VALU_DEP_1)
	v_add_co_ci_u32_e64 v3, null, s19, 0, s1
	flat_load_b32 v2, v[2:3]
	s_or_b32 exec_lo, exec_lo, s0
                                        ; implicit-def: $vgpr3
	s_and_saveexec_b32 s0, s5
	s_cbranch_execz .LBB812_40
.LBB812_63:
	v_add_co_u32 v3, s1, s18, v4
	s_delay_alu instid0(VALU_DEP_1)
	v_add_co_ci_u32_e64 v4, null, s19, 0, s1
	flat_load_b32 v3, v[3:4]
	s_or_b32 exec_lo, exec_lo, s0
                                        ; implicit-def: $vgpr4
	s_and_saveexec_b32 s0, s6
	s_cbranch_execz .LBB812_41
.LBB812_64:
	v_add_co_u32 v4, s1, s18, v5
	s_delay_alu instid0(VALU_DEP_1)
	v_add_co_ci_u32_e64 v5, null, s19, 0, s1
	flat_load_b32 v4, v[4:5]
	s_or_b32 exec_lo, exec_lo, s0
                                        ; implicit-def: $vgpr5
	s_and_saveexec_b32 s0, s7
	s_cbranch_execz .LBB812_42
.LBB812_65:
	v_add_co_u32 v5, s1, s18, v6
	s_delay_alu instid0(VALU_DEP_1)
	v_add_co_ci_u32_e64 v6, null, s19, 0, s1
	flat_load_b32 v5, v[5:6]
	s_or_b32 exec_lo, exec_lo, s0
                                        ; implicit-def: $vgpr6
	s_and_saveexec_b32 s0, s8
	s_cbranch_execz .LBB812_43
.LBB812_66:
	v_add_co_u32 v6, s1, s18, v7
	s_delay_alu instid0(VALU_DEP_1)
	v_add_co_ci_u32_e64 v7, null, s19, 0, s1
	flat_load_b32 v6, v[6:7]
	s_or_b32 exec_lo, exec_lo, s0
                                        ; implicit-def: $vgpr7
	s_and_saveexec_b32 s0, s9
	s_cbranch_execz .LBB812_44
.LBB812_67:
	v_add_co_u32 v33, s1, s18, v23
	s_delay_alu instid0(VALU_DEP_1)
	v_add_co_ci_u32_e64 v34, null, s19, 0, s1
	flat_load_b32 v7, v[33:34]
	s_or_b32 exec_lo, exec_lo, s0
                                        ; implicit-def: $vgpr23
	s_and_saveexec_b32 s0, s10
	s_cbranch_execz .LBB812_45
.LBB812_68:
	v_add_co_u32 v23, s1, s18, v24
	s_delay_alu instid0(VALU_DEP_1)
	v_add_co_ci_u32_e64 v24, null, s19, 0, s1
	flat_load_b32 v23, v[23:24]
	s_or_b32 exec_lo, exec_lo, s0
                                        ; implicit-def: $vgpr24
	s_and_saveexec_b32 s0, s11
	s_cbranch_execz .LBB812_46
.LBB812_69:
	v_add_co_u32 v24, s1, s18, v25
	s_delay_alu instid0(VALU_DEP_1)
	v_add_co_ci_u32_e64 v25, null, s19, 0, s1
	flat_load_b32 v24, v[24:25]
	s_or_b32 exec_lo, exec_lo, s0
                                        ; implicit-def: $vgpr25
	s_and_saveexec_b32 s0, s12
	s_cbranch_execz .LBB812_47
.LBB812_70:
	v_add_co_u32 v25, s1, s18, v26
	s_delay_alu instid0(VALU_DEP_1)
	v_add_co_ci_u32_e64 v26, null, s19, 0, s1
	flat_load_b32 v25, v[25:26]
	s_or_b32 exec_lo, exec_lo, s0
                                        ; implicit-def: $vgpr26
	s_and_saveexec_b32 s0, s13
	s_cbranch_execnz .LBB812_48
	s_branch .LBB812_49
.LBB812_71:
	s_mov_b32 s30, 0
                                        ; implicit-def: $sgpr0
                                        ; implicit-def: $vgpr69
                                        ; implicit-def: $vgpr64
                                        ; implicit-def: $vgpr65
                                        ; implicit-def: $vgpr66
                                        ; implicit-def: $vgpr67
                                        ; implicit-def: $vgpr68
                                        ; implicit-def: $vgpr70
                                        ; implicit-def: $vgpr71
                                        ; implicit-def: $vgpr72
                                        ; implicit-def: $vgpr73
                                        ; implicit-def: $vgpr74
                                        ; implicit-def: $vgpr75
                                        ; implicit-def: $vgpr76
                                        ; implicit-def: $vgpr77
	s_cbranch_execz .LBB812_55
.LBB812_72:
	v_cmp_ne_u32_e32 vcc_lo, v10, v63
	v_lshlrev_b32_e32 v1, 2, v0
	s_mov_b32 s1, exec_lo
                                        ; implicit-def: $sgpr0
	v_cndmask_b32_e64 v69, 0, 1, vcc_lo
	v_cmp_ne_u32_e32 vcc_lo, v9, v10
	ds_store_b32 v1, v63
	s_waitcnt lgkmcnt(0)
	s_barrier
	buffer_gl0_inv
	v_cndmask_b32_e64 v64, 0, 1, vcc_lo
	v_cmp_ne_u32_e32 vcc_lo, v12, v9
	v_cndmask_b32_e64 v65, 0, 1, vcc_lo
	v_cmp_ne_u32_e32 vcc_lo, v11, v12
	;; [unrolled: 2-line block ×12, first 2 shown]
	v_cndmask_b32_e64 v77, 0, 1, vcc_lo
	v_cmpx_ne_u32_e32 0, v0
	s_xor_b32 s1, exec_lo, s1
	s_cbranch_execz .LBB812_74
; %bb.73:
	v_add_nc_u32_e32 v1, -4, v1
	s_or_b32 s30, s30, exec_lo
	ds_load_b32 v1, v1
	s_waitcnt lgkmcnt(0)
	v_cmp_ne_u32_e32 vcc_lo, v1, v21
	s_and_b32 s0, vcc_lo, exec_lo
.LBB812_74:
	s_or_b32 exec_lo, exec_lo, s1
	s_mov_b32 s1, 1
	s_branch .LBB812_83
.LBB812_75:
	s_mul_hi_u32 s0, s16, 0xfffff100
	s_mul_i32 s1, s17, 0xfffff100
	s_sub_i32 s0, s0, s16
	s_mul_i32 s2, s16, 0xfffff100
	s_add_i32 s0, s0, s1
	s_add_u32 s18, s2, s40
	s_addc_u32 s19, s0, s41
	v_cmp_ne_u32_e64 s13, v10, v63
	v_cmp_ne_u32_e64 s14, v9, v10
	;; [unrolled: 1-line block ×14, first 2 shown]
	v_mad_u32_u24 v1, v0, 15, 14
	v_mad_u32_u24 v55, v0, 15, 13
	;; [unrolled: 1-line block ×14, first 2 shown]
	v_cmp_ne_u32_e64 s6, 0, v0
	s_and_b32 vcc_lo, exec_lo, s31
	s_cbranch_vccz .LBB812_80
; %bb.76:
	v_add_co_u32 v56, s16, -4, s33
	s_delay_alu instid0(VALU_DEP_1)
	v_add_co_ci_u32_e64 v57, null, -1, s29, s16
	v_mov_b32_e32 v2, 0
	s_mov_b32 s30, -1
	s_mov_b32 s17, 0
	flat_load_b32 v58, v[56:57]
	v_lshlrev_b32_e32 v57, 2, v0
	v_cmp_gt_u64_e32 vcc_lo, s[18:19], v[1:2]
	v_mov_b32_e32 v56, v2
	v_mov_b32_e32 v54, v2
	;; [unrolled: 1-line block ×5, first 2 shown]
	v_cmp_gt_u64_e64 s16, s[18:19], v[55:56]
	s_and_b32 s29, vcc_lo, s13
	v_cmp_gt_u64_e32 vcc_lo, s[18:19], v[53:54]
	v_mov_b32_e32 v46, v2
	v_mov_b32_e32 v44, v2
	v_cmp_gt_u64_e64 s13, s[18:19], v[51:52]
	s_and_b32 s31, s16, s14
	v_mov_b32_e32 v42, v2
	s_and_b32 s33, vcc_lo, s12
	v_cmp_gt_u64_e32 vcc_lo, s[18:19], v[49:50]
	v_cmp_gt_u64_e64 s12, s[18:19], v[47:48]
	v_cmp_gt_u64_e64 s14, s[18:19], v[45:46]
	;; [unrolled: 1-line block ×3, first 2 shown]
	v_mov_b32_e32 v40, v2
	v_mov_b32_e32 v38, v2
	;; [unrolled: 1-line block ×5, first 2 shown]
	s_and_b32 s13, s13, s11
	s_and_b32 s40, vcc_lo, s7
	s_and_b32 s12, s12, s8
	s_and_b32 s14, s14, s9
	;; [unrolled: 1-line block ×3, first 2 shown]
	v_cmp_gt_u64_e32 vcc_lo, s[18:19], v[41:42]
	v_cmp_gt_u64_e64 s7, s[18:19], v[39:40]
	v_cmp_gt_u64_e64 s8, s[18:19], v[37:38]
	;; [unrolled: 1-line block ×5, first 2 shown]
	v_mul_u32_u24_e32 v56, 15, v0
	s_and_b32 s0, vcc_lo, s0
	s_and_b32 s7, s7, s1
	s_and_b32 s8, s8, s2
	;; [unrolled: 1-line block ×5, first 2 shown]
	ds_store_b32 v57, v63
	s_waitcnt vmcnt(0) lgkmcnt(0)
	s_barrier
	buffer_gl0_inv
	s_and_saveexec_b32 s4, s6
	s_cbranch_execz .LBB812_78
; %bb.77:
	v_add_nc_u32_e32 v4, -4, v57
	ds_load_b32 v58, v4
.LBB812_78:
	s_or_b32 exec_lo, exec_lo, s4
	v_mov_b32_e32 v57, v2
	v_cndmask_b32_e64 v72, 0, 1, s0
	s_waitcnt lgkmcnt(0)
	v_cmp_ne_u32_e64 s0, v58, v21
	v_cndmask_b32_e64 v69, 0, 1, s29
	v_cndmask_b32_e64 v64, 0, 1, s31
	v_cmp_gt_u64_e32 vcc_lo, s[18:19], v[56:57]
	v_cndmask_b32_e64 v65, 0, 1, s33
	v_cndmask_b32_e64 v66, 0, 1, s13
	;; [unrolled: 1-line block ×11, first 2 shown]
	s_and_b32 s0, vcc_lo, s0
	s_and_b32 vcc_lo, exec_lo, s17
	s_cbranch_vccnz .LBB812_81
.LBB812_79:
                                        ; implicit-def: $sgpr1
	v_mov_b32_e32 v78, s1
	s_and_saveexec_b32 s1, s30
	s_cbranch_execnz .LBB812_84
	s_branch .LBB812_85
.LBB812_80:
                                        ; implicit-def: $sgpr0
                                        ; implicit-def: $vgpr69
                                        ; implicit-def: $vgpr64
                                        ; implicit-def: $vgpr65
                                        ; implicit-def: $vgpr66
                                        ; implicit-def: $vgpr67
                                        ; implicit-def: $vgpr68
                                        ; implicit-def: $vgpr70
                                        ; implicit-def: $vgpr71
                                        ; implicit-def: $vgpr72
                                        ; implicit-def: $vgpr73
                                        ; implicit-def: $vgpr74
                                        ; implicit-def: $vgpr75
                                        ; implicit-def: $vgpr76
                                        ; implicit-def: $vgpr77
	s_cbranch_execz .LBB812_79
.LBB812_81:
	v_dual_mov_b32 v2, 0 :: v_dual_lshlrev_b32 v57, 2, v0
	v_cmp_ne_u32_e64 s1, v12, v9
	v_cmp_ne_u32_e32 vcc_lo, v10, v63
	v_cmp_ne_u32_e64 s0, v9, v10
	s_delay_alu instid0(VALU_DEP_4)
	v_mov_b32_e32 v54, v2
	v_mov_b32_e32 v56, v2
	v_cmp_gt_u64_e64 s2, s[18:19], v[1:2]
	v_mov_b32_e32 v50, v2
	v_mov_b32_e32 v52, v2
	v_cmp_gt_u64_e64 s4, s[18:19], v[53:54]
	v_cmp_gt_u64_e64 s3, s[18:19], v[55:56]
	v_mov_b32_e32 v48, v2
	s_and_b32 s2, s2, vcc_lo
	v_cmp_gt_u64_e32 vcc_lo, s[18:19], v[51:52]
	v_cndmask_b32_e64 v69, 0, 1, s2
	s_and_b32 s1, s4, s1
	s_and_b32 s0, s3, s0
	v_cndmask_b32_e64 v65, 0, 1, s1
	v_cmp_gt_u64_e64 s1, s[18:19], v[49:50]
	v_cmp_ne_u32_e64 s2, v14, v11
	v_cndmask_b32_e64 v64, 0, 1, s0
	v_cmp_ne_u32_e64 s0, v11, v12
	v_mov_b32_e32 v46, v2
	v_mov_b32_e32 v44, v2
	s_and_b32 s1, s1, s2
	v_cmp_ne_u32_e64 s2, v16, v13
	s_and_b32 s0, vcc_lo, s0
	v_cmp_gt_u64_e32 vcc_lo, s[18:19], v[47:48]
	v_cndmask_b32_e64 v67, 0, 1, s1
	v_cmp_gt_u64_e64 s1, s[18:19], v[45:46]
	v_cndmask_b32_e64 v66, 0, 1, s0
	v_cmp_ne_u32_e64 s0, v13, v14
	v_mov_b32_e32 v42, v2
	v_mov_b32_e32 v40, v2
	;; [unrolled: 1-line block ×3, first 2 shown]
	s_and_b32 s1, s1, s2
	s_and_b32 s0, vcc_lo, s0
	v_cmp_gt_u64_e32 vcc_lo, s[18:19], v[43:44]
	v_cndmask_b32_e64 v68, 0, 1, s0
	v_cmp_ne_u32_e64 s0, v15, v16
	v_cndmask_b32_e64 v70, 0, 1, s1
	v_cmp_gt_u64_e64 s1, s[18:19], v[41:42]
	v_cmp_ne_u32_e64 s2, v18, v15
	v_mov_b32_e32 v8, v2
	s_and_b32 s0, vcc_lo, s0
	v_cmp_gt_u64_e32 vcc_lo, s[18:19], v[39:40]
	v_cndmask_b32_e64 v71, 0, 1, s0
	s_and_b32 s1, s1, s2
	v_cmp_ne_u32_e64 s0, v17, v18
	v_cndmask_b32_e64 v72, 0, 1, s1
	v_cmp_gt_u64_e64 s1, s[18:19], v[37:38]
	v_cmp_ne_u32_e64 s2, v20, v17
	v_mov_b32_e32 v6, v2
	s_and_b32 s0, vcc_lo, s0
	v_mov_b32_e32 v4, v2
	v_cndmask_b32_e64 v73, 0, 1, s0
	s_and_b32 s0, s1, s2
	v_cmp_gt_u64_e32 vcc_lo, s[18:19], v[7:8]
	v_cndmask_b32_e64 v74, 0, 1, s0
	v_cmp_ne_u32_e64 s0, v19, v20
	v_cmp_gt_u64_e64 s1, s[18:19], v[5:6]
	v_cmp_ne_u32_e64 s2, v22, v19
	v_cmp_gt_u64_e64 s3, s[18:19], v[3:4]
	v_cmp_ne_u32_e64 s4, v21, v22
	s_and_b32 s0, vcc_lo, s0
	ds_store_b32 v57, v63
	v_cndmask_b32_e64 v75, 0, 1, s0
	s_and_b32 s0, s1, s2
	s_mov_b32 s1, 1
	v_cndmask_b32_e64 v76, 0, 1, s0
	s_and_b32 s0, s3, s4
	s_mov_b32 s2, exec_lo
	v_cndmask_b32_e64 v77, 0, 1, s0
	s_waitcnt lgkmcnt(0)
	s_barrier
	buffer_gl0_inv
                                        ; implicit-def: $sgpr0
	v_cmpx_ne_u32_e32 0, v0
	s_cbranch_execz .LBB812_163
; %bb.82:
	v_add_nc_u32_e32 v1, -4, v57
	s_or_b32 s30, s30, exec_lo
	ds_load_b32 v3, v1
	v_mul_u32_u24_e32 v1, 15, v0
	s_delay_alu instid0(VALU_DEP_1) | instskip(SKIP_2) | instid1(VALU_DEP_1)
	v_cmp_gt_u64_e32 vcc_lo, s[18:19], v[1:2]
	s_waitcnt lgkmcnt(0)
	v_cmp_ne_u32_e64 s0, v3, v21
	s_and_b32 s0, vcc_lo, s0
	s_delay_alu instid0(SALU_CYCLE_1)
	s_and_b32 s0, s0, exec_lo
	s_or_b32 exec_lo, exec_lo, s2
.LBB812_83:
	v_mov_b32_e32 v78, s1
	s_and_saveexec_b32 s1, s30
.LBB812_84:
	v_cndmask_b32_e64 v78, 0, 1, s0
.LBB812_85:
	s_or_b32 exec_lo, exec_lo, s1
	s_delay_alu instid0(VALU_DEP_1)
	v_add3_u32 v1, v77, v78, v76
	v_cmp_eq_u32_e64 s12, 0, v77
	v_cmp_eq_u32_e64 s11, 0, v76
	;; [unrolled: 1-line block ×4, first 2 shown]
	v_add3_u32 v84, v1, v75, v74
	v_cmp_eq_u32_e64 s8, 0, v73
	v_cmp_eq_u32_e64 s7, 0, v72
	;; [unrolled: 1-line block ×9, first 2 shown]
	v_cmp_eq_u32_e32 vcc_lo, 0, v69
	v_mbcnt_lo_u32_b32 v81, -1, 0
	v_lshrrev_b32_e32 v82, 5, v0
	v_or_b32_e32 v83, 31, v0
	s_cmp_eq_u64 s[26:27], 0
	s_cselect_b32 s16, -1, 0
	s_cmp_lg_u32 s15, 0
	s_cbranch_scc0 .LBB812_111
; %bb.86:
	v_cndmask_b32_e64 v1, 0, v35, s12
	v_add3_u32 v2, v84, v73, v72
	s_delay_alu instid0(VALU_DEP_2) | instskip(NEXT) | instid1(VALU_DEP_2)
	v_add_nc_u32_e32 v1, v1, v36
	v_add3_u32 v2, v2, v71, v70
	s_delay_alu instid0(VALU_DEP_2) | instskip(NEXT) | instid1(VALU_DEP_2)
	v_cndmask_b32_e64 v1, 0, v1, s11
	v_add3_u32 v2, v2, v68, v67
	s_delay_alu instid0(VALU_DEP_2) | instskip(NEXT) | instid1(VALU_DEP_2)
	v_add_nc_u32_e32 v1, v1, v33
	v_add3_u32 v2, v2, v66, v65
	s_delay_alu instid0(VALU_DEP_2) | instskip(NEXT) | instid1(VALU_DEP_2)
	v_cndmask_b32_e64 v1, 0, v1, s10
	v_add3_u32 v2, v2, v64, v69
	s_delay_alu instid0(VALU_DEP_2) | instskip(NEXT) | instid1(VALU_DEP_2)
	v_add_nc_u32_e32 v1, v1, v34
	v_mov_b32_dpp v5, v2 row_shr:1 row_mask:0xf bank_mask:0xf
	s_delay_alu instid0(VALU_DEP_2) | instskip(NEXT) | instid1(VALU_DEP_1)
	v_cndmask_b32_e64 v1, 0, v1, s9
	v_add_nc_u32_e32 v1, v1, v31
	s_delay_alu instid0(VALU_DEP_1) | instskip(NEXT) | instid1(VALU_DEP_1)
	v_cndmask_b32_e64 v1, 0, v1, s8
	v_add_nc_u32_e32 v1, v1, v32
	s_delay_alu instid0(VALU_DEP_1) | instskip(NEXT) | instid1(VALU_DEP_1)
	;; [unrolled: 3-line block ×9, first 2 shown]
	v_cndmask_b32_e64 v1, 0, v1, s0
	v_add_nc_u32_e32 v1, v1, v24
	s_delay_alu instid0(VALU_DEP_1) | instskip(SKIP_1) | instid1(VALU_DEP_2)
	v_cndmask_b32_e32 v1, 0, v1, vcc_lo
	v_cmp_eq_u32_e32 vcc_lo, 0, v2
	v_add_nc_u32_e32 v1, v1, v79
	s_delay_alu instid0(VALU_DEP_1) | instskip(NEXT) | instid1(VALU_DEP_1)
	v_mov_b32_dpp v3, v1 row_shr:1 row_mask:0xf bank_mask:0xf
	v_dual_cndmask_b32 v3, 0, v3 :: v_dual_and_b32 v4, 15, v81
	s_delay_alu instid0(VALU_DEP_1) | instskip(SKIP_2) | instid1(VALU_DEP_4)
	v_cmp_eq_u32_e32 vcc_lo, 0, v4
	v_cmp_lt_u32_e64 s13, 1, v4
	v_cndmask_b32_e64 v5, v5, 0, vcc_lo
	v_cndmask_b32_e64 v3, v3, 0, vcc_lo
	s_delay_alu instid0(VALU_DEP_2) | instskip(NEXT) | instid1(VALU_DEP_2)
	v_add_nc_u32_e32 v2, v5, v2
	v_add_nc_u32_e32 v1, v3, v1
	s_delay_alu instid0(VALU_DEP_2) | instskip(SKIP_1) | instid1(VALU_DEP_3)
	v_mov_b32_dpp v3, v2 row_shr:2 row_mask:0xf bank_mask:0xf
	v_cmp_eq_u32_e32 vcc_lo, 0, v2
	v_mov_b32_dpp v5, v1 row_shr:2 row_mask:0xf bank_mask:0xf
	s_delay_alu instid0(VALU_DEP_3) | instskip(SKIP_2) | instid1(VALU_DEP_2)
	v_cndmask_b32_e64 v3, 0, v3, s13
	s_and_b32 vcc_lo, s13, vcc_lo
	v_cmp_lt_u32_e64 s13, 3, v4
	v_dual_cndmask_b32 v5, 0, v5 :: v_dual_add_nc_u32 v2, v2, v3
	s_delay_alu instid0(VALU_DEP_1) | instskip(NEXT) | instid1(VALU_DEP_2)
	v_add_nc_u32_e32 v1, v5, v1
	v_mov_b32_dpp v3, v2 row_shr:4 row_mask:0xf bank_mask:0xf
	v_cmp_eq_u32_e32 vcc_lo, 0, v2
	s_delay_alu instid0(VALU_DEP_3) | instskip(NEXT) | instid1(VALU_DEP_3)
	v_mov_b32_dpp v5, v1 row_shr:4 row_mask:0xf bank_mask:0xf
	v_cndmask_b32_e64 v3, 0, v3, s13
	s_and_b32 vcc_lo, s13, vcc_lo
	v_cmp_lt_u32_e64 s13, 7, v4
	s_delay_alu instid0(VALU_DEP_2) | instskip(NEXT) | instid1(VALU_DEP_1)
	v_dual_cndmask_b32 v5, 0, v5 :: v_dual_add_nc_u32 v2, v3, v2
	v_add_nc_u32_e32 v1, v1, v5
	v_bfe_i32 v5, v81, 4, 1
	s_delay_alu instid0(VALU_DEP_3) | instskip(SKIP_1) | instid1(VALU_DEP_4)
	v_cmp_eq_u32_e32 vcc_lo, 0, v2
	v_mov_b32_dpp v3, v2 row_shr:8 row_mask:0xf bank_mask:0xf
	v_mov_b32_dpp v4, v1 row_shr:8 row_mask:0xf bank_mask:0xf
	s_and_b32 vcc_lo, s13, vcc_lo
	s_delay_alu instid0(VALU_DEP_2) | instskip(SKIP_1) | instid1(VALU_DEP_2)
	v_cndmask_b32_e64 v3, 0, v3, s13
	s_mov_b32 s13, exec_lo
	v_cndmask_b32_e32 v4, 0, v4, vcc_lo
	s_delay_alu instid0(VALU_DEP_1) | instskip(NEXT) | instid1(VALU_DEP_3)
	v_add_nc_u32_e32 v4, v4, v1
	v_add_nc_u32_e32 v1, v3, v2
	ds_swizzle_b32 v2, v4 offset:swizzle(BROADCAST,32,15)
	ds_swizzle_b32 v3, v1 offset:swizzle(BROADCAST,32,15)
	v_cmp_eq_u32_e32 vcc_lo, 0, v1
	s_waitcnt lgkmcnt(0)
	v_dual_cndmask_b32 v2, 0, v2 :: v_dual_and_b32 v3, v5, v3
	s_delay_alu instid0(VALU_DEP_1) | instskip(NEXT) | instid1(VALU_DEP_2)
	v_and_b32_e32 v2, v5, v2
	v_add_nc_u32_e32 v1, v3, v1
	v_lshlrev_b32_e32 v3, 3, v82
	s_delay_alu instid0(VALU_DEP_3)
	v_add_nc_u32_e32 v2, v2, v4
	v_cmpx_eq_u32_e64 v83, v0
	s_cbranch_execz .LBB812_88
; %bb.87:
	ds_store_b64 v3, v[1:2] offset:2064
.LBB812_88:
	s_or_b32 exec_lo, exec_lo, s13
	s_delay_alu instid0(SALU_CYCLE_1)
	s_mov_b32 s14, exec_lo
	s_waitcnt lgkmcnt(0)
	s_barrier
	buffer_gl0_inv
	v_cmpx_gt_u32_e32 8, v0
	s_cbranch_execz .LBB812_90
; %bb.89:
	v_lshlrev_b32_e32 v6, 3, v0
	v_and_b32_e32 v8, 7, v81
	ds_load_b64 v[4:5], v6 offset:2064
	v_cmp_lt_u32_e64 s13, 1, v8
	s_waitcnt lgkmcnt(0)
	v_mov_b32_dpp v7, v5 row_shr:1 row_mask:0xf bank_mask:0xf
	v_cmp_eq_u32_e32 vcc_lo, 0, v4
	v_mov_b32_dpp v37, v4 row_shr:1 row_mask:0xf bank_mask:0xf
	s_delay_alu instid0(VALU_DEP_3) | instskip(SKIP_1) | instid1(VALU_DEP_3)
	v_cndmask_b32_e32 v7, 0, v7, vcc_lo
	v_cmp_eq_u32_e32 vcc_lo, 0, v8
	v_cndmask_b32_e64 v37, v37, 0, vcc_lo
	s_delay_alu instid0(VALU_DEP_3) | instskip(NEXT) | instid1(VALU_DEP_2)
	v_cndmask_b32_e64 v7, v7, 0, vcc_lo
	v_add_nc_u32_e32 v4, v37, v4
	s_delay_alu instid0(VALU_DEP_2) | instskip(NEXT) | instid1(VALU_DEP_2)
	v_add_nc_u32_e32 v5, v7, v5
	v_cmp_eq_u32_e32 vcc_lo, 0, v4
	s_delay_alu instid0(VALU_DEP_2) | instskip(SKIP_1) | instid1(VALU_DEP_1)
	v_mov_b32_dpp v37, v5 row_shr:2 row_mask:0xf bank_mask:0xf
	s_and_b32 vcc_lo, s13, vcc_lo
	v_cndmask_b32_e32 v37, 0, v37, vcc_lo
	v_mov_b32_dpp v7, v4 row_shr:2 row_mask:0xf bank_mask:0xf
	s_delay_alu instid0(VALU_DEP_2) | instskip(NEXT) | instid1(VALU_DEP_2)
	v_add_nc_u32_e32 v5, v37, v5
	v_cndmask_b32_e64 v7, 0, v7, s13
	v_cmp_lt_u32_e64 s13, 3, v8
	s_delay_alu instid0(VALU_DEP_3) | instskip(NEXT) | instid1(VALU_DEP_3)
	v_mov_b32_dpp v8, v5 row_shr:4 row_mask:0xf bank_mask:0xf
	v_add_nc_u32_e32 v4, v7, v4
	s_delay_alu instid0(VALU_DEP_1) | instskip(SKIP_2) | instid1(VALU_DEP_1)
	v_cmp_eq_u32_e32 vcc_lo, 0, v4
	v_mov_b32_dpp v7, v4 row_shr:4 row_mask:0xf bank_mask:0xf
	s_and_b32 vcc_lo, s13, vcc_lo
	v_cndmask_b32_e64 v7, 0, v7, s13
	v_cndmask_b32_e32 v8, 0, v8, vcc_lo
	s_delay_alu instid0(VALU_DEP_2) | instskip(NEXT) | instid1(VALU_DEP_2)
	v_add_nc_u32_e32 v4, v7, v4
	v_add_nc_u32_e32 v5, v8, v5
	ds_store_b64 v6, v[4:5] offset:2064
.LBB812_90:
	s_or_b32 exec_lo, exec_lo, s14
	v_cmp_gt_u32_e32 vcc_lo, 32, v0
	v_dual_mov_b32 v37, 0 :: v_dual_mov_b32 v38, 0
	s_mov_b32 s14, exec_lo
	s_waitcnt lgkmcnt(0)
	s_barrier
	buffer_gl0_inv
	v_cmpx_lt_u32_e32 31, v0
	s_cbranch_execz .LBB812_92
; %bb.91:
	ds_load_b64 v[37:38], v3 offset:2056
	v_cmp_eq_u32_e64 s13, 0, v1
	s_waitcnt lgkmcnt(0)
	s_delay_alu instid0(VALU_DEP_1) | instskip(SKIP_1) | instid1(VALU_DEP_2)
	v_cndmask_b32_e64 v3, 0, v38, s13
	v_add_nc_u32_e32 v1, v37, v1
	v_add_nc_u32_e32 v2, v3, v2
.LBB812_92:
	s_or_b32 exec_lo, exec_lo, s14
	v_add_nc_u32_e32 v3, -1, v81
	s_delay_alu instid0(VALU_DEP_1) | instskip(NEXT) | instid1(VALU_DEP_1)
	v_cmp_gt_i32_e64 s13, 0, v3
	v_cndmask_b32_e64 v3, v3, v81, s13
	v_cmp_eq_u32_e64 s13, 0, v81
	s_delay_alu instid0(VALU_DEP_2)
	v_lshlrev_b32_e32 v3, 2, v3
	ds_bpermute_b32 v43, v3, v1
	ds_bpermute_b32 v44, v3, v2
	s_and_saveexec_b32 s17, vcc_lo
	s_cbranch_execz .LBB812_110
; %bb.93:
	v_mov_b32_e32 v4, 0
	ds_load_b64 v[1:2], v4 offset:2120
	s_waitcnt lgkmcnt(0)
	v_readfirstlane_b32 s18, v2
	s_and_saveexec_b32 s14, s13
	s_cbranch_execz .LBB812_95
; %bb.94:
	s_add_i32 s26, s15, 32
	s_mov_b32 s27, 0
	v_mov_b32_e32 v3, 1
	s_lshl_b64 s[30:31], s[26:27], 4
	s_mov_b32 s40, s27
	s_add_u32 s30, s24, s30
	s_addc_u32 s31, s25, s31
	s_and_b32 s41, s18, 0xff000000
	s_and_b32 s45, s18, 0xff0000
	s_mov_b32 s44, s27
	v_dual_mov_b32 v5, s30 :: v_dual_mov_b32 v6, s31
	s_or_b64 s[40:41], s[44:45], s[40:41]
	s_and_b32 s45, s18, 0xff00
	s_delay_alu instid0(SALU_CYCLE_1) | instskip(SKIP_1) | instid1(SALU_CYCLE_1)
	s_or_b64 s[40:41], s[40:41], s[44:45]
	s_and_b32 s45, s18, 0xff
	s_or_b64 s[26:27], s[40:41], s[44:45]
	s_delay_alu instid0(SALU_CYCLE_1)
	v_mov_b32_e32 v2, s27
	;;#ASMSTART
	global_store_dwordx4 v[5:6], v[1:4] off	
s_waitcnt vmcnt(0)
	;;#ASMEND
.LBB812_95:
	s_or_b32 exec_lo, exec_lo, s14
	v_xad_u32 v39, v81, -1, s15
	s_mov_b32 s19, 0
	s_mov_b32 s14, exec_lo
	s_delay_alu instid0(VALU_DEP_1) | instskip(NEXT) | instid1(VALU_DEP_1)
	v_add_nc_u32_e32 v3, 32, v39
	v_lshlrev_b64 v[2:3], 4, v[3:4]
	s_delay_alu instid0(VALU_DEP_1) | instskip(NEXT) | instid1(VALU_DEP_2)
	v_add_co_u32 v2, vcc_lo, s24, v2
	v_add_co_ci_u32_e32 v3, vcc_lo, s25, v3, vcc_lo
	;;#ASMSTART
	global_load_dwordx4 v[5:8], v[2:3] off glc	
s_waitcnt vmcnt(0)
	;;#ASMEND
	v_and_b32_e32 v4, 0xff, v6
	v_and_b32_e32 v8, 0xff00, v6
	;; [unrolled: 1-line block ×3, first 2 shown]
	v_or3_b32 v5, v5, 0, 0
	v_and_b32_e32 v6, 0xff000000, v6
	s_delay_alu instid0(VALU_DEP_4) | instskip(SKIP_1) | instid1(VALU_DEP_4)
	v_or3_b32 v4, 0, v4, v8
	v_and_b32_e32 v8, 0xff, v7
	v_or3_b32 v5, v5, 0, 0
	s_delay_alu instid0(VALU_DEP_3) | instskip(NEXT) | instid1(VALU_DEP_3)
	v_or3_b32 v6, v4, v40, v6
	v_cmpx_eq_u16_e32 0, v8
	s_cbranch_execz .LBB812_98
.LBB812_96:                             ; =>This Inner Loop Header: Depth=1
	;;#ASMSTART
	global_load_dwordx4 v[5:8], v[2:3] off glc	
s_waitcnt vmcnt(0)
	;;#ASMEND
	v_and_b32_e32 v4, 0xff, v7
	s_delay_alu instid0(VALU_DEP_1) | instskip(SKIP_1) | instid1(SALU_CYCLE_1)
	v_cmp_ne_u16_e32 vcc_lo, 0, v4
	s_or_b32 s19, vcc_lo, s19
	s_and_not1_b32 exec_lo, exec_lo, s19
	s_cbranch_execnz .LBB812_96
; %bb.97:
	s_or_b32 exec_lo, exec_lo, s19
.LBB812_98:
	s_delay_alu instid0(SALU_CYCLE_1)
	s_or_b32 exec_lo, exec_lo, s14
	v_cmp_ne_u32_e32 vcc_lo, 31, v81
	v_and_b32_e32 v3, 0xff, v7
	v_lshlrev_b32_e64 v45, v81, -1
	v_add_nc_u32_e32 v47, 2, v81
	v_add_nc_u32_e32 v49, 4, v81
	v_add_co_ci_u32_e32 v2, vcc_lo, 0, v81, vcc_lo
	v_cmp_eq_u16_e32 vcc_lo, 2, v3
	v_add_nc_u32_e32 v51, 8, v81
	v_add_nc_u32_e32 v53, 16, v81
	v_and_or_b32 v8, vcc_lo, v45, 0x80000000
	v_cmp_gt_u32_e32 vcc_lo, 30, v81
	s_delay_alu instid0(VALU_DEP_2) | instskip(SKIP_2) | instid1(VALU_DEP_3)
	v_ctz_i32_b32_e32 v8, v8
	v_cndmask_b32_e64 v40, 0, 1, vcc_lo
	v_cmp_eq_u32_e32 vcc_lo, 0, v5
	v_cmp_lt_u32_e64 s14, v81, v8
	s_delay_alu instid0(VALU_DEP_3) | instskip(NEXT) | instid1(VALU_DEP_2)
	v_lshlrev_b32_e32 v40, 1, v40
	s_and_b32 vcc_lo, s14, vcc_lo
	v_lshlrev_b32_e32 v2, 2, v2
	s_delay_alu instid0(VALU_DEP_2)
	v_add_lshl_u32 v46, v40, v81, 2
	ds_bpermute_b32 v3, v2, v6
	s_waitcnt lgkmcnt(0)
	v_cndmask_b32_e32 v3, 0, v3, vcc_lo
	ds_bpermute_b32 v4, v2, v5
	v_cmp_gt_u32_e32 vcc_lo, 28, v81
	v_add_nc_u32_e32 v3, v3, v6
	ds_bpermute_b32 v6, v46, v3
	s_waitcnt lgkmcnt(1)
	v_cndmask_b32_e64 v4, 0, v4, s14
	s_delay_alu instid0(VALU_DEP_1) | instskip(SKIP_1) | instid1(VALU_DEP_2)
	v_add_nc_u32_e32 v4, v4, v5
	v_cndmask_b32_e64 v5, 0, 1, vcc_lo
	v_cmp_eq_u32_e32 vcc_lo, 0, v4
	ds_bpermute_b32 v40, v46, v4
	s_waitcnt lgkmcnt(1)
	v_dual_cndmask_b32 v6, 0, v6 :: v_dual_lshlrev_b32 v5, 2, v5
	v_cmp_gt_u32_e32 vcc_lo, v47, v8
	s_delay_alu instid0(VALU_DEP_2) | instskip(NEXT) | instid1(VALU_DEP_3)
	v_add_lshl_u32 v48, v5, v81, 2
	v_cndmask_b32_e64 v6, v6, 0, vcc_lo
	s_delay_alu instid0(VALU_DEP_1) | instskip(SKIP_4) | instid1(VALU_DEP_2)
	v_add_nc_u32_e32 v3, v6, v3
	ds_bpermute_b32 v5, v48, v3
	s_waitcnt lgkmcnt(1)
	v_cndmask_b32_e64 v6, v40, 0, vcc_lo
	v_cmp_gt_u32_e32 vcc_lo, 24, v81
	v_add_nc_u32_e32 v4, v4, v6
	v_cndmask_b32_e64 v40, 0, 1, vcc_lo
	ds_bpermute_b32 v6, v48, v4
	v_cmp_eq_u32_e32 vcc_lo, 0, v4
	v_lshlrev_b32_e32 v40, 3, v40
	s_delay_alu instid0(VALU_DEP_1) | instskip(SKIP_3) | instid1(VALU_DEP_2)
	v_add_lshl_u32 v50, v40, v81, 2
	s_waitcnt lgkmcnt(1)
	v_cndmask_b32_e32 v5, 0, v5, vcc_lo
	v_cmp_gt_u32_e32 vcc_lo, v49, v8
	v_cndmask_b32_e64 v5, v5, 0, vcc_lo
	s_delay_alu instid0(VALU_DEP_1)
	v_add_nc_u32_e32 v3, v3, v5
	s_waitcnt lgkmcnt(0)
	v_cndmask_b32_e64 v6, v6, 0, vcc_lo
	v_cmp_gt_u32_e32 vcc_lo, 16, v81
	ds_bpermute_b32 v5, v50, v3
	v_add_nc_u32_e32 v4, v4, v6
	v_cndmask_b32_e64 v40, 0, 1, vcc_lo
	ds_bpermute_b32 v6, v50, v4
	v_cmp_eq_u32_e32 vcc_lo, 0, v4
	v_lshlrev_b32_e32 v40, 4, v40
	s_delay_alu instid0(VALU_DEP_1) | instskip(SKIP_3) | instid1(VALU_DEP_2)
	v_add_lshl_u32 v52, v40, v81, 2
	s_waitcnt lgkmcnt(1)
	v_dual_mov_b32 v40, 0 :: v_dual_cndmask_b32 v5, 0, v5
	v_cmp_gt_u32_e32 vcc_lo, v51, v8
	v_cndmask_b32_e64 v5, v5, 0, vcc_lo
	s_delay_alu instid0(VALU_DEP_1)
	v_add_nc_u32_e32 v3, v3, v5
	s_waitcnt lgkmcnt(0)
	v_cndmask_b32_e64 v5, v6, 0, vcc_lo
	ds_bpermute_b32 v6, v52, v3
	v_add_nc_u32_e32 v4, v4, v5
	ds_bpermute_b32 v5, v52, v4
	v_cmp_eq_u32_e32 vcc_lo, 0, v4
	s_waitcnt lgkmcnt(1)
	v_cndmask_b32_e32 v6, 0, v6, vcc_lo
	v_cmp_gt_u32_e32 vcc_lo, v53, v8
	s_delay_alu instid0(VALU_DEP_2) | instskip(SKIP_2) | instid1(VALU_DEP_2)
	v_cndmask_b32_e64 v6, v6, 0, vcc_lo
	s_waitcnt lgkmcnt(0)
	v_cndmask_b32_e64 v5, v5, 0, vcc_lo
	v_add_nc_u32_e32 v6, v6, v3
	s_delay_alu instid0(VALU_DEP_2)
	v_add_nc_u32_e32 v5, v5, v4
	s_branch .LBB812_100
.LBB812_99:                             ;   in Loop: Header=BB812_100 Depth=1
	s_or_b32 exec_lo, exec_lo, s14
	v_and_b32_e32 v8, 0xff, v7
	ds_bpermute_b32 v41, v2, v5
	v_subrev_nc_u32_e32 v39, 32, v39
	v_cmp_eq_u16_e32 vcc_lo, 2, v8
	ds_bpermute_b32 v8, v2, v6
	v_and_or_b32 v42, vcc_lo, v45, 0x80000000
	v_cmp_eq_u32_e32 vcc_lo, 0, v5
	s_delay_alu instid0(VALU_DEP_2) | instskip(NEXT) | instid1(VALU_DEP_1)
	v_ctz_i32_b32_e32 v42, v42
	v_cmp_lt_u32_e64 s14, v81, v42
	s_delay_alu instid0(VALU_DEP_1) | instskip(SKIP_4) | instid1(VALU_DEP_2)
	s_and_b32 vcc_lo, s14, vcc_lo
	s_waitcnt lgkmcnt(1)
	v_cndmask_b32_e64 v41, 0, v41, s14
	s_waitcnt lgkmcnt(0)
	v_cndmask_b32_e32 v8, 0, v8, vcc_lo
	v_add_nc_u32_e32 v5, v41, v5
	s_delay_alu instid0(VALU_DEP_2)
	v_add_nc_u32_e32 v6, v8, v6
	ds_bpermute_b32 v41, v46, v5
	ds_bpermute_b32 v8, v46, v6
	v_cmp_eq_u32_e32 vcc_lo, 0, v5
	s_waitcnt lgkmcnt(0)
	v_cndmask_b32_e32 v8, 0, v8, vcc_lo
	v_cmp_gt_u32_e32 vcc_lo, v47, v42
	v_cndmask_b32_e64 v41, v41, 0, vcc_lo
	s_delay_alu instid0(VALU_DEP_1) | instskip(NEXT) | instid1(VALU_DEP_4)
	v_add_nc_u32_e32 v5, v5, v41
	v_cndmask_b32_e64 v8, v8, 0, vcc_lo
	ds_bpermute_b32 v41, v48, v5
	v_add_nc_u32_e32 v6, v8, v6
	v_cmp_eq_u32_e32 vcc_lo, 0, v5
	ds_bpermute_b32 v8, v48, v6
	s_waitcnt lgkmcnt(0)
	v_cndmask_b32_e32 v8, 0, v8, vcc_lo
	v_cmp_gt_u32_e32 vcc_lo, v49, v42
	v_cndmask_b32_e64 v41, v41, 0, vcc_lo
	s_delay_alu instid0(VALU_DEP_1) | instskip(NEXT) | instid1(VALU_DEP_4)
	v_add_nc_u32_e32 v5, v5, v41
	v_cndmask_b32_e64 v8, v8, 0, vcc_lo
	ds_bpermute_b32 v41, v50, v5
	v_add_nc_u32_e32 v6, v6, v8
	v_cmp_eq_u32_e32 vcc_lo, 0, v5
	ds_bpermute_b32 v8, v50, v6
	;; [unrolled: 11-line block ×3, first 2 shown]
	s_waitcnt lgkmcnt(0)
	v_cndmask_b32_e32 v8, 0, v8, vcc_lo
	v_cmp_gt_u32_e32 vcc_lo, v53, v42
	s_delay_alu instid0(VALU_DEP_2) | instskip(NEXT) | instid1(VALU_DEP_1)
	v_cndmask_b32_e64 v8, v8, 0, vcc_lo
	v_add_nc_u32_e32 v6, v8, v6
	v_cndmask_b32_e64 v8, v41, 0, vcc_lo
	v_cmp_eq_u32_e32 vcc_lo, 0, v3
	s_delay_alu instid0(VALU_DEP_2) | instskip(NEXT) | instid1(VALU_DEP_4)
	v_add3_u32 v5, v5, v3, v8
	v_cndmask_b32_e32 v6, 0, v6, vcc_lo
	s_delay_alu instid0(VALU_DEP_1)
	v_add_nc_u32_e32 v6, v6, v4
.LBB812_100:                            ; =>This Loop Header: Depth=1
                                        ;     Child Loop BB812_103 Depth 2
	s_delay_alu instid0(VALU_DEP_1) | instskip(NEXT) | instid1(VALU_DEP_1)
	v_dual_mov_b32 v4, v6 :: v_dual_and_b32 v3, 0xff, v7
	v_cmp_ne_u16_e32 vcc_lo, 2, v3
	v_cndmask_b32_e64 v3, 0, 1, vcc_lo
	;;#ASMSTART
	;;#ASMEND
	s_delay_alu instid0(VALU_DEP_1)
	v_cmp_ne_u32_e32 vcc_lo, 0, v3
	v_mov_b32_e32 v3, v5
	s_cmp_lg_u32 vcc_lo, exec_lo
	s_cbranch_scc1 .LBB812_105
; %bb.101:                              ;   in Loop: Header=BB812_100 Depth=1
	v_lshlrev_b64 v[5:6], 4, v[39:40]
	s_mov_b32 s14, exec_lo
	s_delay_alu instid0(VALU_DEP_1) | instskip(NEXT) | instid1(VALU_DEP_2)
	v_add_co_u32 v41, vcc_lo, s24, v5
	v_add_co_ci_u32_e32 v42, vcc_lo, s25, v6, vcc_lo
	;;#ASMSTART
	global_load_dwordx4 v[5:8], v[41:42] off glc	
s_waitcnt vmcnt(0)
	;;#ASMEND
	v_and_b32_e32 v8, 0xff, v6
	v_and_b32_e32 v54, 0xff00, v6
	;; [unrolled: 1-line block ×3, first 2 shown]
	v_or3_b32 v5, v5, 0, 0
	v_and_b32_e32 v6, 0xff000000, v6
	s_delay_alu instid0(VALU_DEP_4) | instskip(SKIP_1) | instid1(VALU_DEP_4)
	v_or3_b32 v8, 0, v8, v54
	v_and_b32_e32 v54, 0xff, v7
	v_or3_b32 v5, v5, 0, 0
	s_delay_alu instid0(VALU_DEP_3) | instskip(NEXT) | instid1(VALU_DEP_3)
	v_or3_b32 v6, v8, v55, v6
	v_cmpx_eq_u16_e32 0, v54
	s_cbranch_execz .LBB812_99
; %bb.102:                              ;   in Loop: Header=BB812_100 Depth=1
	s_mov_b32 s19, 0
.LBB812_103:                            ;   Parent Loop BB812_100 Depth=1
                                        ; =>  This Inner Loop Header: Depth=2
	;;#ASMSTART
	global_load_dwordx4 v[5:8], v[41:42] off glc	
s_waitcnt vmcnt(0)
	;;#ASMEND
	v_and_b32_e32 v8, 0xff, v7
	s_delay_alu instid0(VALU_DEP_1) | instskip(SKIP_1) | instid1(SALU_CYCLE_1)
	v_cmp_ne_u16_e32 vcc_lo, 0, v8
	s_or_b32 s19, vcc_lo, s19
	s_and_not1_b32 exec_lo, exec_lo, s19
	s_cbranch_execnz .LBB812_103
; %bb.104:                              ;   in Loop: Header=BB812_100 Depth=1
	s_or_b32 exec_lo, exec_lo, s19
	s_branch .LBB812_99
.LBB812_105:                            ;   in Loop: Header=BB812_100 Depth=1
                                        ; implicit-def: $vgpr6
                                        ; implicit-def: $vgpr5
                                        ; implicit-def: $vgpr7
	s_cbranch_execz .LBB812_100
; %bb.106:
	s_and_saveexec_b32 s14, s13
	s_cbranch_execz .LBB812_108
; %bb.107:
	v_cmp_eq_u32_e32 vcc_lo, 0, v1
	s_mov_b32 s27, 0
	s_add_i32 s26, s15, 32
	v_add_nc_u32_e32 v5, v3, v1
	s_lshl_b64 s[26:27], s[26:27], 4
	v_cndmask_b32_e32 v2, 0, v4, vcc_lo
	s_add_u32 s26, s24, s26
	s_addc_u32 s27, s25, s27
	v_mov_b32_e32 v8, 0
	s_delay_alu instid0(VALU_DEP_2) | instskip(NEXT) | instid1(VALU_DEP_1)
	v_add_nc_u32_e32 v2, s18, v2
	v_and_b32_e32 v6, 0xff000000, v2
	v_and_b32_e32 v7, 0xff0000, v2
	s_delay_alu instid0(VALU_DEP_1) | instskip(SKIP_3) | instid1(VALU_DEP_1)
	v_or_b32_e32 v6, v7, v6
	v_mov_b32_e32 v7, 2
	v_and_b32_e32 v39, 0xff00, v2
	v_and_b32_e32 v2, 0xff, v2
	v_or3_b32 v6, v6, v39, v2
	v_mov_b32_e32 v2, s18
	v_dual_mov_b32 v40, s27 :: v_dual_mov_b32 v39, s26
	;;#ASMSTART
	global_store_dwordx4 v[39:40], v[5:8] off	
s_waitcnt vmcnt(0)
	;;#ASMEND
	ds_store_b128 v8, v[1:4] offset:2048
.LBB812_108:
	s_or_b32 exec_lo, exec_lo, s14
	v_cmp_eq_u32_e32 vcc_lo, 0, v0
	s_and_b32 exec_lo, exec_lo, vcc_lo
	s_cbranch_execz .LBB812_110
; %bb.109:
	v_mov_b32_e32 v1, 0
	ds_store_b64 v1, v[3:4] offset:2120
.LBB812_110:
	s_or_b32 exec_lo, exec_lo, s17
	s_waitcnt lgkmcnt(1)
	v_cndmask_b32_e64 v4, v43, v37, s13
	s_waitcnt lgkmcnt(0)
	s_barrier
	buffer_gl0_inv
	v_cndmask_b32_e64 v5, v44, v38, s13
	v_cmp_eq_u32_e32 vcc_lo, 0, v4
	v_mov_b32_e32 v3, 0
	v_cmp_eq_u32_e64 s13, 0, v78
	ds_load_b64 v[1:2], v3 offset:2120
	s_waitcnt lgkmcnt(0)
	s_barrier
	buffer_gl0_inv
	v_cndmask_b32_e32 v6, 0, v2, vcc_lo
	v_cmp_eq_u32_e32 vcc_lo, 0, v0
	s_delay_alu instid0(VALU_DEP_2) | instskip(NEXT) | instid1(VALU_DEP_1)
	v_add_nc_u32_e32 v5, v6, v5
	v_cndmask_b32_e32 v54, v5, v2, vcc_lo
	s_delay_alu instid0(VALU_DEP_1) | instskip(NEXT) | instid1(VALU_DEP_1)
	v_cndmask_b32_e64 v2, 0, v54, s13
	v_add_nc_u32_e32 v60, v2, v35
	s_delay_alu instid0(VALU_DEP_1) | instskip(NEXT) | instid1(VALU_DEP_1)
	v_cndmask_b32_e64 v2, 0, v60, s12
	v_add_nc_u32_e32 v56, v2, v36
	;; [unrolled: 3-line block ×6, first 2 shown]
	v_cndmask_b32_e64 v2, v4, 0, vcc_lo
	s_delay_alu instid0(VALU_DEP_2) | instskip(NEXT) | instid1(VALU_DEP_2)
	v_cndmask_b32_e64 v4, 0, v40, s7
	v_add_nc_u32_e32 v53, v1, v2
	s_delay_alu instid0(VALU_DEP_2) | instskip(NEXT) | instid1(VALU_DEP_2)
	v_add_nc_u32_e32 v44, v4, v29
	v_add_nc_u32_e32 v59, v53, v78
	s_delay_alu instid0(VALU_DEP_2) | instskip(NEXT) | instid1(VALU_DEP_2)
	v_cndmask_b32_e64 v1, 0, v44, s6
	v_add_nc_u32_e32 v55, v59, v77
	s_delay_alu instid0(VALU_DEP_2) | instskip(NEXT) | instid1(VALU_DEP_2)
	v_add_nc_u32_e32 v48, v1, v30
	v_add_nc_u32_e32 v51, v55, v76
	;; [unrolled: 6-line block ×4, first 2 shown]
	s_delay_alu instid0(VALU_DEP_2) | instskip(NEXT) | instid1(VALU_DEP_2)
	v_cndmask_b32_e64 v1, 0, v8, s3
	v_add_nc_u32_e32 v47, v43, v71
	s_delay_alu instid0(VALU_DEP_2) | instskip(SKIP_3) | instid1(VALU_DEP_2)
	v_add_nc_u32_e32 v38, v1, v25
	ds_load_b128 v[1:4], v3 offset:2048
	v_add_nc_u32_e32 v5, v47, v70
	v_cndmask_b32_e64 v37, 0, v38, s2
	v_add_nc_u32_e32 v7, v5, v68
	s_delay_alu instid0(VALU_DEP_2) | instskip(NEXT) | instid1(VALU_DEP_2)
	v_add_nc_u32_e32 v62, v37, v26
	v_add_nc_u32_e32 v37, v7, v67
	s_delay_alu instid0(VALU_DEP_2) | instskip(NEXT) | instid1(VALU_DEP_2)
	v_cndmask_b32_e64 v49, 0, v62, s1
	v_add_nc_u32_e32 v61, v37, v66
	s_delay_alu instid0(VALU_DEP_2) | instskip(SKIP_2) | instid1(VALU_DEP_3)
	v_add_nc_u32_e32 v58, v49, v23
	s_waitcnt lgkmcnt(0)
	v_cmp_eq_u32_e32 vcc_lo, 0, v1
	v_add_nc_u32_e32 v57, v61, v65
	s_delay_alu instid0(VALU_DEP_3) | instskip(SKIP_1) | instid1(VALU_DEP_3)
	v_cndmask_b32_e64 v50, 0, v58, s0
	v_cndmask_b32_e32 v4, 0, v4, vcc_lo
	v_add_nc_u32_e32 v49, v57, v64
	s_delay_alu instid0(VALU_DEP_3) | instskip(NEXT) | instid1(VALU_DEP_3)
	v_add_nc_u32_e32 v50, v50, v24
	v_add_nc_u32_e32 v80, v4, v2
	s_branch .LBB812_123
.LBB812_111:
                                        ; implicit-def: $vgpr1
                                        ; implicit-def: $vgpr80
                                        ; implicit-def: $vgpr53_vgpr54
                                        ; implicit-def: $vgpr59_vgpr60
                                        ; implicit-def: $vgpr55_vgpr56
                                        ; implicit-def: $vgpr51_vgpr52
                                        ; implicit-def: $vgpr45_vgpr46
                                        ; implicit-def: $vgpr41_vgpr42
                                        ; implicit-def: $vgpr39_vgpr40
                                        ; implicit-def: $vgpr43_vgpr44
                                        ; implicit-def: $vgpr47_vgpr48
                                        ; implicit-def: $vgpr5_vgpr6
                                        ; implicit-def: $vgpr7_vgpr8
                                        ; implicit-def: $vgpr37_vgpr38
                                        ; implicit-def: $vgpr61_vgpr62
                                        ; implicit-def: $vgpr57_vgpr58
                                        ; implicit-def: $vgpr49_vgpr50
	s_cbranch_execz .LBB812_123
; %bb.112:
	s_and_b32 s0, s16, exec_lo
	v_mov_b32_e32 v49, v35
	s_cselect_b32 s1, 0, s35
	s_cselect_b32 s0, 0, s34
	s_delay_alu instid0(SALU_CYCLE_1)
	s_cmp_eq_u64 s[0:1], 0
	s_cbranch_scc1 .LBB812_114
; %bb.113:
	v_mov_b32_e32 v1, 0
	global_load_b32 v49, v1, s[0:1]
.LBB812_114:
	v_cmp_eq_u32_e64 s6, 0, v77
	v_cmp_eq_u32_e64 s7, 0, v76
	;; [unrolled: 1-line block ×5, first 2 shown]
	v_cndmask_b32_e64 v1, 0, v35, s6
	v_cmp_eq_u32_e64 s11, 0, v72
	v_cmp_eq_u32_e64 s5, 0, v71
	;; [unrolled: 1-line block ×4, first 2 shown]
	v_add_nc_u32_e32 v1, v1, v36
	v_cmp_eq_u32_e64 s2, 0, v67
	v_add3_u32 v2, v84, v73, v72
	v_cmp_eq_u32_e64 s1, 0, v66
	v_cmp_eq_u32_e32 vcc_lo, 0, v65
	v_cndmask_b32_e64 v1, 0, v1, s7
	v_cmp_eq_u32_e64 s0, 0, v64
	v_add3_u32 v2, v2, v71, v70
	v_cmp_eq_u32_e64 s12, 0, v69
	v_and_b32_e32 v4, 15, v81
	v_add_nc_u32_e32 v1, v1, v33
	s_delay_alu instid0(VALU_DEP_4) | instskip(NEXT) | instid1(VALU_DEP_3)
	v_add3_u32 v2, v2, v68, v67
	v_cmp_lt_u32_e64 s13, 1, v4
	s_delay_alu instid0(VALU_DEP_3) | instskip(NEXT) | instid1(VALU_DEP_3)
	v_cndmask_b32_e64 v1, 0, v1, s8
	v_add3_u32 v2, v2, v66, v65
	s_delay_alu instid0(VALU_DEP_2) | instskip(NEXT) | instid1(VALU_DEP_2)
	v_add_nc_u32_e32 v1, v1, v34
	v_add3_u32 v2, v2, v64, v69
	s_delay_alu instid0(VALU_DEP_2) | instskip(NEXT) | instid1(VALU_DEP_2)
	v_cndmask_b32_e64 v1, 0, v1, s9
	v_mov_b32_dpp v5, v2 row_shr:1 row_mask:0xf bank_mask:0xf
	s_delay_alu instid0(VALU_DEP_2) | instskip(NEXT) | instid1(VALU_DEP_1)
	v_add_nc_u32_e32 v1, v1, v31
	v_cndmask_b32_e64 v1, 0, v1, s10
	s_delay_alu instid0(VALU_DEP_1) | instskip(NEXT) | instid1(VALU_DEP_1)
	v_add_nc_u32_e32 v1, v1, v32
	v_cndmask_b32_e64 v1, 0, v1, s11
	s_delay_alu instid0(VALU_DEP_1) | instskip(NEXT) | instid1(VALU_DEP_1)
	;; [unrolled: 3-line block ×7, first 2 shown]
	v_add_nc_u32_e32 v1, v1, v26
	v_cndmask_b32_e32 v1, 0, v1, vcc_lo
	s_delay_alu instid0(VALU_DEP_1) | instskip(NEXT) | instid1(VALU_DEP_1)
	v_add_nc_u32_e32 v1, v1, v23
	v_cndmask_b32_e64 v1, 0, v1, s0
	s_delay_alu instid0(VALU_DEP_1) | instskip(NEXT) | instid1(VALU_DEP_1)
	v_add_nc_u32_e32 v1, v1, v24
	v_cndmask_b32_e64 v1, 0, v1, s12
	v_cmp_eq_u32_e64 s12, 0, v2
	s_delay_alu instid0(VALU_DEP_2) | instskip(NEXT) | instid1(VALU_DEP_1)
	v_add_nc_u32_e32 v1, v1, v79
	v_mov_b32_dpp v3, v1 row_shr:1 row_mask:0xf bank_mask:0xf
	s_delay_alu instid0(VALU_DEP_1) | instskip(SKIP_1) | instid1(VALU_DEP_1)
	v_cndmask_b32_e64 v3, 0, v3, s12
	v_cmp_eq_u32_e64 s12, 0, v4
	v_cndmask_b32_e64 v5, v5, 0, s12
	s_delay_alu instid0(VALU_DEP_3) | instskip(NEXT) | instid1(VALU_DEP_2)
	v_cndmask_b32_e64 v3, v3, 0, s12
	v_add_nc_u32_e32 v2, v5, v2
	s_delay_alu instid0(VALU_DEP_2) | instskip(NEXT) | instid1(VALU_DEP_2)
	v_add_nc_u32_e32 v1, v3, v1
	v_mov_b32_dpp v3, v2 row_shr:2 row_mask:0xf bank_mask:0xf
	v_cmp_eq_u32_e64 s12, 0, v2
	s_delay_alu instid0(VALU_DEP_3) | instskip(NEXT) | instid1(VALU_DEP_3)
	v_mov_b32_dpp v5, v1 row_shr:2 row_mask:0xf bank_mask:0xf
	v_cndmask_b32_e64 v3, 0, v3, s13
	s_delay_alu instid0(VALU_DEP_3) | instskip(SKIP_1) | instid1(VALU_DEP_3)
	s_and_b32 s12, s13, s12
	v_cmp_lt_u32_e64 s13, 3, v4
	v_cndmask_b32_e64 v5, 0, v5, s12
	s_delay_alu instid0(VALU_DEP_3) | instskip(NEXT) | instid1(VALU_DEP_2)
	v_add_nc_u32_e32 v2, v2, v3
	v_add_nc_u32_e32 v1, v5, v1
	s_delay_alu instid0(VALU_DEP_2) | instskip(SKIP_1) | instid1(VALU_DEP_3)
	v_mov_b32_dpp v3, v2 row_shr:4 row_mask:0xf bank_mask:0xf
	v_cmp_eq_u32_e64 s12, 0, v2
	v_mov_b32_dpp v5, v1 row_shr:4 row_mask:0xf bank_mask:0xf
	s_delay_alu instid0(VALU_DEP_3) | instskip(NEXT) | instid1(VALU_DEP_3)
	v_cndmask_b32_e64 v3, 0, v3, s13
	s_and_b32 s12, s13, s12
	v_cmp_lt_u32_e64 s13, 7, v4
	s_delay_alu instid0(VALU_DEP_3) | instskip(NEXT) | instid1(VALU_DEP_3)
	v_cndmask_b32_e64 v5, 0, v5, s12
	v_add_nc_u32_e32 v2, v3, v2
	s_delay_alu instid0(VALU_DEP_2) | instskip(SKIP_1) | instid1(VALU_DEP_3)
	v_add_nc_u32_e32 v1, v1, v5
	v_bfe_i32 v5, v81, 4, 1
	v_cmp_eq_u32_e64 s12, 0, v2
	v_mov_b32_dpp v3, v2 row_shr:8 row_mask:0xf bank_mask:0xf
	s_delay_alu instid0(VALU_DEP_4) | instskip(NEXT) | instid1(VALU_DEP_3)
	v_mov_b32_dpp v4, v1 row_shr:8 row_mask:0xf bank_mask:0xf
	s_and_b32 s12, s13, s12
	s_delay_alu instid0(VALU_DEP_2) | instskip(SKIP_1) | instid1(VALU_DEP_2)
	v_cndmask_b32_e64 v3, 0, v3, s13
	s_mov_b32 s13, exec_lo
	v_cndmask_b32_e64 v4, 0, v4, s12
	s_delay_alu instid0(VALU_DEP_1) | instskip(NEXT) | instid1(VALU_DEP_3)
	v_add_nc_u32_e32 v4, v4, v1
	v_add_nc_u32_e32 v1, v3, v2
	ds_swizzle_b32 v2, v4 offset:swizzle(BROADCAST,32,15)
	ds_swizzle_b32 v3, v1 offset:swizzle(BROADCAST,32,15)
	v_cmp_eq_u32_e64 s12, 0, v1
	s_waitcnt lgkmcnt(1)
	s_delay_alu instid0(VALU_DEP_1) | instskip(SKIP_2) | instid1(VALU_DEP_2)
	v_cndmask_b32_e64 v2, 0, v2, s12
	s_waitcnt lgkmcnt(0)
	v_and_b32_e32 v3, v5, v3
	v_and_b32_e32 v2, v5, v2
	s_delay_alu instid0(VALU_DEP_2) | instskip(NEXT) | instid1(VALU_DEP_2)
	v_add_nc_u32_e32 v1, v3, v1
	v_add_nc_u32_e32 v2, v2, v4
	v_lshlrev_b32_e32 v4, 3, v82
	v_cmpx_eq_u32_e64 v83, v0
	s_cbranch_execz .LBB812_116
; %bb.115:
	ds_store_b64 v4, v[1:2] offset:2064
.LBB812_116:
	s_or_b32 exec_lo, exec_lo, s13
	s_delay_alu instid0(SALU_CYCLE_1)
	s_mov_b32 s14, exec_lo
	s_waitcnt vmcnt(0) lgkmcnt(0)
	s_barrier
	buffer_gl0_inv
	v_cmpx_gt_u32_e32 8, v0
	s_cbranch_execz .LBB812_118
; %bb.117:
	v_lshlrev_b32_e32 v3, 3, v0
	v_and_b32_e32 v8, 7, v81
	ds_load_b64 v[5:6], v3 offset:2064
	v_cmp_lt_u32_e64 s13, 1, v8
	s_waitcnt lgkmcnt(0)
	v_mov_b32_dpp v7, v6 row_shr:1 row_mask:0xf bank_mask:0xf
	v_cmp_eq_u32_e64 s12, 0, v5
	v_mov_b32_dpp v37, v5 row_shr:1 row_mask:0xf bank_mask:0xf
	s_delay_alu instid0(VALU_DEP_2) | instskip(SKIP_1) | instid1(VALU_DEP_1)
	v_cndmask_b32_e64 v7, 0, v7, s12
	v_cmp_eq_u32_e64 s12, 0, v8
	v_cndmask_b32_e64 v37, v37, 0, s12
	s_delay_alu instid0(VALU_DEP_3) | instskip(NEXT) | instid1(VALU_DEP_2)
	v_cndmask_b32_e64 v7, v7, 0, s12
	v_add_nc_u32_e32 v5, v37, v5
	s_delay_alu instid0(VALU_DEP_2) | instskip(NEXT) | instid1(VALU_DEP_2)
	v_add_nc_u32_e32 v6, v7, v6
	v_mov_b32_dpp v7, v5 row_shr:2 row_mask:0xf bank_mask:0xf
	v_cmp_eq_u32_e64 s12, 0, v5
	s_delay_alu instid0(VALU_DEP_3) | instskip(NEXT) | instid1(VALU_DEP_3)
	v_mov_b32_dpp v37, v6 row_shr:2 row_mask:0xf bank_mask:0xf
	v_cndmask_b32_e64 v7, 0, v7, s13
	s_delay_alu instid0(VALU_DEP_3) | instskip(SKIP_1) | instid1(VALU_DEP_3)
	s_and_b32 s12, s13, s12
	v_cmp_lt_u32_e64 s13, 3, v8
	v_cndmask_b32_e64 v37, 0, v37, s12
	s_delay_alu instid0(VALU_DEP_3) | instskip(NEXT) | instid1(VALU_DEP_2)
	v_add_nc_u32_e32 v5, v7, v5
	v_add_nc_u32_e32 v6, v37, v6
	s_delay_alu instid0(VALU_DEP_2) | instskip(SKIP_1) | instid1(VALU_DEP_3)
	v_cmp_eq_u32_e64 s12, 0, v5
	v_mov_b32_dpp v7, v5 row_shr:4 row_mask:0xf bank_mask:0xf
	v_mov_b32_dpp v8, v6 row_shr:4 row_mask:0xf bank_mask:0xf
	s_delay_alu instid0(VALU_DEP_3) | instskip(NEXT) | instid1(VALU_DEP_2)
	s_and_b32 s12, s13, s12
	v_cndmask_b32_e64 v7, 0, v7, s13
	s_delay_alu instid0(VALU_DEP_2) | instskip(NEXT) | instid1(VALU_DEP_2)
	v_cndmask_b32_e64 v8, 0, v8, s12
	v_add_nc_u32_e32 v5, v7, v5
	s_delay_alu instid0(VALU_DEP_2)
	v_add_nc_u32_e32 v6, v8, v6
	ds_store_b64 v3, v[5:6] offset:2064
.LBB812_118:
	s_or_b32 exec_lo, exec_lo, s14
	v_mov_b32_e32 v7, 0
	v_mov_b32_e32 v3, 0
	;; [unrolled: 1-line block ×3, first 2 shown]
	s_mov_b32 s13, exec_lo
	s_waitcnt lgkmcnt(0)
	s_barrier
	buffer_gl0_inv
	v_cmpx_lt_u32_e32 31, v0
	s_cbranch_execz .LBB812_120
; %bb.119:
	ds_load_b64 v[3:4], v4 offset:2056
	s_waitcnt lgkmcnt(0)
	v_cmp_eq_u32_e64 s12, 0, v3
	s_delay_alu instid0(VALU_DEP_1) | instskip(NEXT) | instid1(VALU_DEP_1)
	v_cndmask_b32_e64 v5, 0, v49, s12
	v_add_nc_u32_e32 v5, v5, v4
.LBB812_120:
	s_or_b32 exec_lo, exec_lo, s13
	v_add_nc_u32_e32 v4, -1, v81
	v_cmp_eq_u32_e64 s13, 0, v78
	s_delay_alu instid0(VALU_DEP_2) | instskip(NEXT) | instid1(VALU_DEP_1)
	v_cmp_gt_i32_e64 s12, 0, v4
	v_cndmask_b32_e64 v4, v4, v81, s12
	v_cmp_eq_u32_e64 s12, 0, v1
	v_add_nc_u32_e32 v1, v3, v1
	s_delay_alu instid0(VALU_DEP_3) | instskip(NEXT) | instid1(VALU_DEP_3)
	v_lshlrev_b32_e32 v4, 2, v4
	v_cndmask_b32_e64 v6, 0, v5, s12
	v_cmp_eq_u32_e64 s12, 0, v81
	ds_bpermute_b32 v1, v4, v1
	v_add_nc_u32_e32 v2, v6, v2
	ds_bpermute_b32 v2, v4, v2
	s_waitcnt lgkmcnt(1)
	v_cndmask_b32_e64 v1, v1, v3, s12
	s_waitcnt lgkmcnt(0)
	v_cndmask_b32_e64 v2, v2, v5, s12
	v_cmp_eq_u32_e64 s12, 0, v0
	s_delay_alu instid0(VALU_DEP_1) | instskip(SKIP_1) | instid1(VALU_DEP_2)
	v_cndmask_b32_e64 v54, v2, v49, s12
	v_cndmask_b32_e64 v53, v1, 0, s12
	v_cndmask_b32_e64 v2, 0, v54, s13
	s_delay_alu instid0(VALU_DEP_1) | instskip(NEXT) | instid1(VALU_DEP_1)
	v_add_nc_u32_e32 v60, v2, v35
	v_cndmask_b32_e64 v2, 0, v60, s6
	s_delay_alu instid0(VALU_DEP_1) | instskip(NEXT) | instid1(VALU_DEP_1)
	v_add_nc_u32_e32 v56, v2, v36
	v_cndmask_b32_e64 v2, 0, v56, s7
	;; [unrolled: 3-line block ×10, first 2 shown]
	s_delay_alu instid0(VALU_DEP_1) | instskip(SKIP_2) | instid1(VALU_DEP_1)
	v_add_nc_u32_e32 v38, v1, v25
	ds_load_b64 v[1:2], v7 offset:2120
	v_cndmask_b32_e64 v3, 0, v38, s1
	v_add_nc_u32_e32 v62, v3, v26
	s_delay_alu instid0(VALU_DEP_1) | instskip(NEXT) | instid1(VALU_DEP_1)
	v_cndmask_b32_e32 v3, 0, v62, vcc_lo
	v_add_nc_u32_e32 v58, v3, v23
	s_waitcnt lgkmcnt(0)
	v_cmp_eq_u32_e32 vcc_lo, 0, v1
	v_add_nc_u32_e32 v59, v53, v78
	s_delay_alu instid0(VALU_DEP_3) | instskip(SKIP_1) | instid1(VALU_DEP_3)
	v_cndmask_b32_e64 v3, 0, v58, s0
	v_cndmask_b32_e32 v4, 0, v49, vcc_lo
	v_add_nc_u32_e32 v55, v59, v77
	s_delay_alu instid0(VALU_DEP_3) | instskip(NEXT) | instid1(VALU_DEP_3)
	v_add_nc_u32_e32 v50, v3, v24
	v_add_nc_u32_e32 v80, v4, v2
	s_delay_alu instid0(VALU_DEP_3) | instskip(NEXT) | instid1(VALU_DEP_1)
	v_add_nc_u32_e32 v51, v55, v76
	v_add_nc_u32_e32 v45, v51, v75
	s_delay_alu instid0(VALU_DEP_1) | instskip(NEXT) | instid1(VALU_DEP_1)
	v_add_nc_u32_e32 v41, v45, v74
	v_add_nc_u32_e32 v39, v41, v73
	s_delay_alu instid0(VALU_DEP_1) | instskip(NEXT) | instid1(VALU_DEP_1)
	;; [unrolled: 3-line block ×5, first 2 shown]
	v_add_nc_u32_e32 v57, v61, v65
	v_add_nc_u32_e32 v49, v57, v64
	s_and_saveexec_b32 s0, s12
	s_cbranch_execz .LBB812_122
; %bb.121:
	v_and_b32_e32 v2, 0xff000000, v80
	v_dual_mov_b32 v4, 0 :: v_dual_and_b32 v3, 0xff0000, v80
	s_add_u32 s2, s24, 0x200
	v_and_b32_e32 v23, 0xff00, v80
	s_addc_u32 s3, s25, 0
	v_and_b32_e32 v24, 0xff, v80
	v_or_b32_e32 v2, v3, v2
	v_mov_b32_e32 v3, 2
	s_delay_alu instid0(VALU_DEP_2)
	v_or3_b32 v2, v2, v23, v24
	v_dual_mov_b32 v24, s3 :: v_dual_mov_b32 v23, s2
	;;#ASMSTART
	global_store_dwordx4 v[23:24], v[1:4] off	
s_waitcnt vmcnt(0)
	;;#ASMEND
.LBB812_122:
	s_or_b32 exec_lo, exec_lo, s0
	v_mov_b32_e32 v3, 0
.LBB812_123:
	v_mov_b32_e32 v23, 0
	s_and_b32 s0, s16, exec_lo
	v_mov_b32_e32 v24, 0
	s_cselect_b32 s1, 0, s43
	s_cselect_b32 s0, 0, s42
	s_delay_alu instid0(SALU_CYCLE_1)
	s_cmp_eq_u64 s[0:1], 0
	s_barrier
	buffer_gl0_inv
	s_cbranch_scc1 .LBB812_125
; %bb.124:
	v_mov_b32_e32 v2, 0
	global_load_b64 v[23:24], v2, s[0:1]
.LBB812_125:
	v_cmp_eq_u32_e32 vcc_lo, 0, v78
	v_cmp_ne_u32_e64 s14, 0, v78
	v_cmp_ne_u32_e64 s13, 0, v77
	;; [unrolled: 1-line block ×4, first 2 shown]
	v_cndmask_b32_e64 v2, 1, 2, vcc_lo
	v_cmp_eq_u32_e32 vcc_lo, 0, v77
	v_cmp_ne_u32_e64 s10, 0, v74
	v_cmp_ne_u32_e64 s9, 0, v73
	;; [unrolled: 1-line block ×4, first 2 shown]
	v_cndmask_b32_e64 v4, 1, 2, vcc_lo
	v_cmp_eq_u32_e32 vcc_lo, 0, v76
	v_cmp_ne_u32_e64 s8, 0, v70
	v_cmp_ne_u32_e64 s6, 0, v68
	;; [unrolled: 1-line block ×3, first 2 shown]
	v_and_b32_e32 v2, v4, v2
	v_cndmask_b32_e64 v25, 1, 2, vcc_lo
	v_cmp_eq_u32_e32 vcc_lo, 0, v75
	v_cmp_ne_u32_e64 s3, 0, v66
	v_cmp_ne_u32_e64 s2, 0, v65
	;; [unrolled: 1-line block ×3, first 2 shown]
	v_and_b32_e32 v2, v2, v25
	v_cndmask_b32_e64 v4, 1, 2, vcc_lo
	v_cmp_eq_u32_e32 vcc_lo, 0, v74
	v_cmp_ne_u32_e64 s0, 0, v69
	s_mov_b32 s16, -1
	s_delay_alu instid0(VALU_DEP_3) | instskip(SKIP_2) | instid1(VALU_DEP_2)
	v_and_b32_e32 v2, v2, v4
	v_cndmask_b32_e64 v25, 1, 2, vcc_lo
	v_cmp_eq_u32_e32 vcc_lo, 0, v73
	v_and_b32_e32 v2, v2, v25
	v_cndmask_b32_e64 v4, 1, 2, vcc_lo
	v_cmp_eq_u32_e32 vcc_lo, 0, v72
	s_waitcnt vmcnt(0)
	v_lshlrev_b64 v[25:26], 2, v[23:24]
	s_delay_alu instid0(VALU_DEP_3) | instskip(SKIP_2) | instid1(VALU_DEP_2)
	v_and_b32_e32 v2, v2, v4
	v_cndmask_b32_e64 v27, 1, 2, vcc_lo
	v_cmp_eq_u32_e32 vcc_lo, 0, v71
	v_and_b32_e32 v2, v2, v27
	v_cndmask_b32_e64 v28, 1, 2, vcc_lo
	v_cmp_eq_u32_e32 vcc_lo, 0, v70
	s_delay_alu instid0(VALU_DEP_2) | instskip(SKIP_2) | instid1(VALU_DEP_2)
	v_and_b32_e32 v2, v2, v28
	v_cndmask_b32_e64 v27, 1, 2, vcc_lo
	v_cmp_eq_u32_e32 vcc_lo, 0, v68
	v_and_b32_e32 v2, v2, v27
	v_cndmask_b32_e64 v28, 1, 2, vcc_lo
	v_cmp_eq_u32_e32 vcc_lo, 0, v67
	s_delay_alu instid0(VALU_DEP_2) | instskip(SKIP_2) | instid1(VALU_DEP_2)
	;; [unrolled: 7-line block ×3, first 2 shown]
	v_and_b32_e32 v2, v2, v29
	v_cndmask_b32_e64 v30, 1, 2, vcc_lo
	v_cmp_eq_u32_e32 vcc_lo, 0, v64
	v_and_b32_e32 v30, v2, v30
	v_cndmask_b32_e64 v31, 1, 2, vcc_lo
	v_mov_b32_e32 v4, 0
	s_delay_alu instid0(VALU_DEP_1) | instskip(SKIP_2) | instid1(VALU_DEP_2)
	v_lshlrev_b64 v[27:28], 2, v[3:4]
	v_add_co_u32 v4, vcc_lo, s22, v25
	v_add_co_ci_u32_e32 v29, vcc_lo, s23, v26, vcc_lo
	v_add_co_u32 v2, vcc_lo, v4, v27
	s_delay_alu instid0(VALU_DEP_2) | instskip(SKIP_4) | instid1(VALU_DEP_2)
	v_add_co_ci_u32_e32 v4, vcc_lo, v29, v28, vcc_lo
	v_and_b32_e32 v29, v30, v31
	v_cmp_eq_u32_e32 vcc_lo, 0, v69
	v_cndmask_b32_e64 v30, 1, 2, vcc_lo
	v_cmp_gt_u32_e32 vcc_lo, 0x100, v1
	v_and_b32_e32 v29, v29, v30
	s_delay_alu instid0(VALU_DEP_1)
	v_cmp_gt_i16_e64 s15, 2, v29
	s_cbranch_vccz .LBB812_132
; %bb.126:
	s_delay_alu instid0(VALU_DEP_1)
	s_and_saveexec_b32 s16, s15
	s_cbranch_execz .LBB812_131
; %bb.127:
	s_mov_b32 s17, 0
	s_mov_b32 s15, exec_lo
	v_cmpx_ne_u16_e32 1, v29
	s_xor_b32 s15, exec_lo, s15
	s_cbranch_execnz .LBB812_164
; %bb.128:
	s_and_not1_saveexec_b32 s15, s15
	s_cbranch_execnz .LBB812_180
.LBB812_129:
	s_or_b32 exec_lo, exec_lo, s15
	s_delay_alu instid0(SALU_CYCLE_1)
	s_and_b32 exec_lo, exec_lo, s17
	s_cbranch_execz .LBB812_131
.LBB812_130:
	v_sub_nc_u32_e32 v30, v49, v3
	v_mov_b32_e32 v31, 0
	s_delay_alu instid0(VALU_DEP_1) | instskip(NEXT) | instid1(VALU_DEP_1)
	v_lshlrev_b64 v[30:31], 2, v[30:31]
	v_add_co_u32 v30, vcc_lo, v2, v30
	s_delay_alu instid0(VALU_DEP_2)
	v_add_co_ci_u32_e32 v31, vcc_lo, v4, v31, vcc_lo
	global_store_b32 v[30:31], v63, off
.LBB812_131:
	s_or_b32 exec_lo, exec_lo, s16
	s_mov_b32 s16, 0
.LBB812_132:
	s_delay_alu instid0(SALU_CYCLE_1)
	s_and_b32 vcc_lo, exec_lo, s16
	s_cbranch_vccz .LBB812_142
; %bb.133:
	s_mov_b32 s15, exec_lo
	v_cmpx_gt_i16_e32 2, v29
	s_cbranch_execz .LBB812_138
; %bb.134:
	s_mov_b32 s17, 0
	s_mov_b32 s16, exec_lo
	v_cmpx_ne_u16_e32 1, v29
	s_xor_b32 s16, exec_lo, s16
	s_cbranch_execnz .LBB812_181
; %bb.135:
	s_and_not1_saveexec_b32 s0, s16
	s_cbranch_execnz .LBB812_197
.LBB812_136:
	s_or_b32 exec_lo, exec_lo, s0
	s_delay_alu instid0(SALU_CYCLE_1)
	s_and_b32 exec_lo, exec_lo, s17
	s_cbranch_execz .LBB812_138
.LBB812_137:
	v_sub_nc_u32_e32 v9, v49, v3
	s_delay_alu instid0(VALU_DEP_1)
	v_lshlrev_b32_e32 v9, 2, v9
	ds_store_b32 v9, v63
.LBB812_138:
	s_or_b32 exec_lo, exec_lo, s15
	s_delay_alu instid0(SALU_CYCLE_1)
	s_mov_b32 s1, exec_lo
	s_waitcnt lgkmcnt(0)
	s_waitcnt_vscnt null, 0x0
	s_barrier
	buffer_gl0_inv
	v_cmpx_lt_u32_e64 v0, v1
	s_cbranch_execz .LBB812_141
; %bb.139:
	v_dual_mov_b32 v10, 0 :: v_dual_lshlrev_b32 v11, 2, v0
	v_mov_b32_e32 v9, v0
	s_mov_b32 s2, 0
	.p2align	6
.LBB812_140:                            ; =>This Inner Loop Header: Depth=1
	ds_load_b32 v14, v11
	v_lshlrev_b64 v[12:13], 2, v[9:10]
	v_add_nc_u32_e32 v9, 0x100, v9
	v_add_nc_u32_e32 v11, 0x400, v11
	s_delay_alu instid0(VALU_DEP_2) | instskip(NEXT) | instid1(VALU_DEP_4)
	v_cmp_ge_u32_e32 vcc_lo, v9, v1
	v_add_co_u32 v12, s0, v2, v12
	s_delay_alu instid0(VALU_DEP_1)
	v_add_co_ci_u32_e64 v13, s0, v4, v13, s0
	s_or_b32 s2, vcc_lo, s2
	s_waitcnt lgkmcnt(0)
	global_store_b32 v[12:13], v14, off
	s_and_not1_b32 exec_lo, exec_lo, s2
	s_cbranch_execnz .LBB812_140
.LBB812_141:
	s_or_b32 exec_lo, exec_lo, s1
.LBB812_142:
	s_cmpk_lg_i32 s21, 0xf00
	v_cmp_eq_u32_e32 vcc_lo, 0, v0
	s_cselect_b32 s0, -1, 0
	v_cndmask_b32_e64 v4, 0, 1, s28
	s_and_b32 s0, s20, s0
	v_mad_i32_i24 v10, v0, -15, s21
	v_cndmask_b32_e64 v9, 0, 1, s0
	s_mul_hi_u32 s0, s21, 0x88888889
	s_and_b32 s1, vcc_lo, s28
	s_lshr_b32 s0, s0, 3
	v_sub_nc_u32_e32 v2, v1, v4
	v_cndmask_b32_e64 v11, v78, 0, s1
	v_cmp_eq_u32_e32 vcc_lo, s0, v0
	v_cmp_ne_u32_e64 s0, 0, v10
	s_mov_b32 s16, -1
	s_waitcnt_vscnt null, 0x0
	s_barrier
	s_and_b32 vcc_lo, s20, vcc_lo
	v_add_nc_u32_e32 v2, v2, v9
	v_cndmask_b32_e64 v9, 1, v11, s0
	v_cmp_ne_u32_e64 s0, 1, v10
	buffer_gl0_inv
	v_cndmask_b32_e64 v12, 1, v77, s0
	v_cmp_ne_u32_e64 s0, 14, v10
	s_delay_alu instid0(VALU_DEP_2) | instskip(NEXT) | instid1(VALU_DEP_2)
	v_cndmask_b32_e32 v17, v77, v12, vcc_lo
	v_cndmask_b32_e64 v13, 1, v69, s0
	v_cmp_ne_u32_e64 s0, 2, v10
	s_delay_alu instid0(VALU_DEP_3) | instskip(NEXT) | instid1(VALU_DEP_2)
	v_cmp_ne_u32_e64 s13, 0, v17
	v_cndmask_b32_e64 v14, 1, v76, s0
	v_cmp_ne_u32_e64 s0, 3, v10
	s_delay_alu instid0(VALU_DEP_2) | instskip(NEXT) | instid1(VALU_DEP_2)
	v_cndmask_b32_e32 v14, v76, v14, vcc_lo
	v_cndmask_b32_e64 v15, 1, v75, s0
	v_cmp_ne_u32_e64 s0, 4, v10
	v_cndmask_b32_e32 v16, v69, v13, vcc_lo
	v_cndmask_b32_e32 v13, v11, v9, vcc_lo
	v_cmp_ne_u32_e64 s12, 0, v14
	v_cndmask_b32_e32 v15, v75, v15, vcc_lo
	v_cndmask_b32_e64 v9, 1, v74, s0
	v_cmp_ne_u32_e64 s0, 5, v10
	v_cmp_ne_u32_e64 s14, 0, v13
	s_delay_alu instid0(VALU_DEP_4) | instskip(NEXT) | instid1(VALU_DEP_3)
	v_cmp_ne_u32_e64 s11, 0, v15
	v_cndmask_b32_e64 v11, 1, v73, s0
	v_cmp_eq_u32_e64 s0, 0, v13
	s_delay_alu instid0(VALU_DEP_2) | instskip(NEXT) | instid1(VALU_DEP_2)
	v_cndmask_b32_e32 v29, v73, v11, vcc_lo
	v_cndmask_b32_e64 v12, 1, 2, s0
	v_cmp_eq_u32_e64 s0, 0, v17
	s_delay_alu instid0(VALU_DEP_3) | instskip(NEXT) | instid1(VALU_DEP_2)
	v_cmp_ne_u32_e64 s9, 0, v29
	v_cndmask_b32_e64 v18, 1, 2, s0
	v_cmp_ne_u32_e64 s0, 6, v10
	s_delay_alu instid0(VALU_DEP_2) | instskip(NEXT) | instid1(VALU_DEP_2)
	v_and_b32_e32 v12, v18, v12
	v_cndmask_b32_e64 v19, 1, v72, s0
	v_cmp_eq_u32_e64 s0, 0, v14
	s_delay_alu instid0(VALU_DEP_1) | instskip(SKIP_1) | instid1(VALU_DEP_1)
	v_cndmask_b32_e64 v18, 1, 2, s0
	v_cmp_ne_u32_e64 s0, 7, v10
	v_cndmask_b32_e64 v20, 1, v71, s0
	v_cmp_ne_u32_e64 s0, 8, v10
	s_delay_alu instid0(VALU_DEP_2) | instskip(NEXT) | instid1(VALU_DEP_2)
	v_dual_cndmask_b32 v19, v72, v19 :: v_dual_cndmask_b32 v20, v71, v20
	v_cndmask_b32_e64 v21, 1, v70, s0
	v_cmp_eq_u32_e64 s0, 0, v15
	v_and_b32_e32 v12, v12, v18
	s_delay_alu instid0(VALU_DEP_4)
	v_cmp_ne_u32_e64 s8, 0, v19
	v_cmp_ne_u32_e64 s7, 0, v20
	v_cndmask_b32_e32 v21, v70, v21, vcc_lo
	v_cndmask_b32_e64 v18, 1, 2, s0
	v_cndmask_b32_e32 v22, v74, v9, vcc_lo
	v_cmp_ne_u32_e64 s0, 9, v10
	s_delay_alu instid0(VALU_DEP_4) | instskip(NEXT) | instid1(VALU_DEP_4)
	v_cmp_ne_u32_e64 s6, 0, v21
	v_and_b32_e32 v11, v12, v18
	s_delay_alu instid0(VALU_DEP_4) | instskip(NEXT) | instid1(VALU_DEP_4)
	v_cmp_ne_u32_e64 s10, 0, v22
	v_cndmask_b32_e64 v9, 1, v68, s0
	v_cmp_eq_u32_e64 s0, 0, v22
	s_delay_alu instid0(VALU_DEP_2) | instskip(NEXT) | instid1(VALU_DEP_2)
	v_cndmask_b32_e32 v33, v68, v9, vcc_lo
	v_cndmask_b32_e64 v12, 1, 2, s0
	v_cmp_ne_u32_e64 s0, 10, v10
	s_delay_alu instid0(VALU_DEP_1) | instskip(SKIP_1) | instid1(VALU_DEP_2)
	v_cndmask_b32_e64 v18, 1, v67, s0
	v_cmp_ne_u32_e64 s0, 12, v10
	v_cndmask_b32_e32 v18, v67, v18, vcc_lo
	s_delay_alu instid0(VALU_DEP_2) | instskip(SKIP_2) | instid1(VALU_DEP_4)
	v_cndmask_b32_e64 v30, 1, v65, s0
	v_cmp_eq_u32_e64 s0, 0, v29
	v_and_b32_e32 v11, v11, v12
	v_cmp_ne_u32_e64 s4, 0, v18
	s_delay_alu instid0(VALU_DEP_4) | instskip(NEXT) | instid1(VALU_DEP_4)
	v_cndmask_b32_e32 v30, v65, v30, vcc_lo
	v_cndmask_b32_e64 v12, 1, 2, s0
	v_cmp_ne_u32_e64 s0, 13, v10
	s_delay_alu instid0(VALU_DEP_3) | instskip(NEXT) | instid1(VALU_DEP_3)
	v_cmp_ne_u32_e64 s2, 0, v30
	v_and_b32_e32 v11, v11, v12
	s_delay_alu instid0(VALU_DEP_3) | instskip(SKIP_1) | instid1(VALU_DEP_2)
	v_cndmask_b32_e64 v31, 1, v64, s0
	v_cmp_eq_u32_e64 s0, 0, v19
	v_cndmask_b32_e32 v31, v64, v31, vcc_lo
	s_delay_alu instid0(VALU_DEP_2) | instskip(SKIP_1) | instid1(VALU_DEP_3)
	v_cndmask_b32_e64 v12, 1, 2, s0
	v_cmp_ne_u32_e64 s0, 11, v10
	v_cmp_ne_u32_e64 s1, 0, v31
	s_delay_alu instid0(VALU_DEP_2) | instskip(SKIP_1) | instid1(VALU_DEP_2)
	v_cndmask_b32_e64 v10, 1, v66, s0
	v_cmp_eq_u32_e64 s0, 0, v20
	v_dual_cndmask_b32 v32, v66, v10 :: v_dual_and_b32 v11, v11, v12
	s_delay_alu instid0(VALU_DEP_2) | instskip(SKIP_2) | instid1(VALU_DEP_4)
	v_cndmask_b32_e64 v12, 1, 2, s0
	v_cmp_eq_u32_e32 vcc_lo, 0, v21
	v_cmp_ne_u32_e64 s0, 0, v16
	v_cmp_ne_u32_e64 s3, 0, v32
	s_delay_alu instid0(VALU_DEP_4) | instskip(SKIP_4) | instid1(VALU_DEP_4)
	v_and_b32_e32 v9, v11, v12
	v_cndmask_b32_e64 v10, 1, 2, vcc_lo
	v_add_co_u32 v11, vcc_lo, s36, v25
	v_add_co_ci_u32_e32 v12, vcc_lo, s37, v26, vcc_lo
	v_cmp_eq_u32_e32 vcc_lo, 0, v33
	v_and_b32_e32 v25, v9, v10
	v_cndmask_b32_e64 v26, 1, 2, vcc_lo
	v_add_co_u32 v9, vcc_lo, v11, v27
	v_add_co_ci_u32_e32 v10, vcc_lo, v12, v28, vcc_lo
	v_lshlrev_b32_e32 v11, 2, v4
	v_cmp_eq_u32_e32 vcc_lo, 0, v18
	v_and_b32_e32 v12, v25, v26
	v_add_nc_u32_e32 v4, v3, v4
	v_cmp_ne_u32_e64 s5, 0, v33
	v_cndmask_b32_e64 v25, 1, 2, vcc_lo
	v_add_co_u32 v11, vcc_lo, v11, v9
	v_add_co_ci_u32_e32 v26, vcc_lo, 0, v10, vcc_lo
	v_cmp_eq_u32_e32 vcc_lo, 0, v32
	s_delay_alu instid0(VALU_DEP_4) | instskip(SKIP_4) | instid1(VALU_DEP_4)
	v_and_b32_e32 v25, v12, v25
	v_cndmask_b32_e64 v27, 1, 2, vcc_lo
	v_add_co_u32 v11, vcc_lo, v11, -4
	v_add_co_ci_u32_e32 v12, vcc_lo, -1, v26, vcc_lo
	v_cmp_eq_u32_e32 vcc_lo, 0, v30
	v_and_b32_e32 v25, v25, v27
	v_cndmask_b32_e64 v26, 1, 2, vcc_lo
	v_cmp_eq_u32_e32 vcc_lo, 0, v31
	s_delay_alu instid0(VALU_DEP_2) | instskip(SKIP_2) | instid1(VALU_DEP_2)
	v_and_b32_e32 v13, v25, v26
	v_cndmask_b32_e64 v14, 1, 2, vcc_lo
	v_cmp_eq_u32_e32 vcc_lo, 0, v16
	v_and_b32_e32 v13, v13, v14
	v_cndmask_b32_e64 v14, 1, 2, vcc_lo
	v_cmp_gt_u32_e32 vcc_lo, 0x100, v2
	s_delay_alu instid0(VALU_DEP_2) | instskip(NEXT) | instid1(VALU_DEP_1)
	v_and_b32_e32 v13, v13, v14
	v_cmp_gt_i16_e64 s15, 2, v13
	s_cbranch_vccnz .LBB812_146
; %bb.143:
	s_and_b32 vcc_lo, exec_lo, s16
	s_cbranch_vccnz .LBB812_152
.LBB812_144:
	v_cmp_eq_u32_e32 vcc_lo, 0xff, v0
	s_and_b32 s0, vcc_lo, s20
	s_delay_alu instid0(SALU_CYCLE_1)
	s_and_saveexec_b32 s1, s0
	s_cbranch_execnz .LBB812_161
.LBB812_145:
	s_nop 0
	s_sendmsg sendmsg(MSG_DEALLOC_VGPRS)
	s_endpgm
.LBB812_146:
	s_delay_alu instid0(VALU_DEP_1)
	s_and_saveexec_b32 s16, s15
	s_cbranch_execz .LBB812_151
; %bb.147:
	s_mov_b32 s17, 0
	s_mov_b32 s15, exec_lo
	v_cmpx_ne_u16_e32 1, v13
	s_xor_b32 s15, exec_lo, s15
	s_cbranch_execnz .LBB812_198
; %bb.148:
	s_and_not1_saveexec_b32 s15, s15
	s_cbranch_execnz .LBB812_214
.LBB812_149:
	s_or_b32 exec_lo, exec_lo, s15
	s_delay_alu instid0(SALU_CYCLE_1)
	s_and_b32 exec_lo, exec_lo, s17
	s_cbranch_execz .LBB812_151
.LBB812_150:
	v_sub_nc_u32_e32 v14, v49, v4
	v_mov_b32_e32 v15, 0
	s_delay_alu instid0(VALU_DEP_1) | instskip(NEXT) | instid1(VALU_DEP_1)
	v_lshlrev_b64 v[14:15], 2, v[14:15]
	v_add_co_u32 v14, vcc_lo, v11, v14
	s_delay_alu instid0(VALU_DEP_2)
	v_add_co_ci_u32_e32 v15, vcc_lo, v12, v15, vcc_lo
	global_store_b32 v[14:15], v50, off
.LBB812_151:
	s_or_b32 exec_lo, exec_lo, s16
	s_branch .LBB812_144
.LBB812_152:
	s_mov_b32 s15, exec_lo
	v_cmpx_gt_i16_e32 2, v13
	s_cbranch_execz .LBB812_157
; %bb.153:
	s_mov_b32 s17, 0
	s_mov_b32 s16, exec_lo
	v_cmpx_ne_u16_e32 1, v13
	s_xor_b32 s16, exec_lo, s16
	s_cbranch_execnz .LBB812_215
; %bb.154:
	s_and_not1_saveexec_b32 s0, s16
	s_cbranch_execnz .LBB812_231
.LBB812_155:
	s_or_b32 exec_lo, exec_lo, s0
	s_delay_alu instid0(SALU_CYCLE_1)
	s_and_b32 exec_lo, exec_lo, s17
	s_cbranch_execz .LBB812_157
.LBB812_156:
	v_sub_nc_u32_e32 v4, v49, v4
	s_delay_alu instid0(VALU_DEP_1)
	v_lshlrev_b32_e32 v4, 2, v4
	ds_store_b32 v4, v50
.LBB812_157:
	s_or_b32 exec_lo, exec_lo, s15
	s_delay_alu instid0(SALU_CYCLE_1)
	s_mov_b32 s1, exec_lo
	s_waitcnt lgkmcnt(0)
	s_waitcnt_vscnt null, 0x0
	s_barrier
	buffer_gl0_inv
	v_cmpx_lt_u32_e64 v0, v2
	s_cbranch_execz .LBB812_160
; %bb.158:
	v_dual_mov_b32 v5, 0 :: v_dual_lshlrev_b32 v6, 2, v0
	v_mov_b32_e32 v4, v0
	s_mov_b32 s2, 0
	.p2align	6
.LBB812_159:                            ; =>This Inner Loop Header: Depth=1
	ds_load_b32 v13, v6
	v_lshlrev_b64 v[7:8], 2, v[4:5]
	v_add_nc_u32_e32 v4, 0x100, v4
	v_add_nc_u32_e32 v6, 0x400, v6
	s_delay_alu instid0(VALU_DEP_2) | instskip(NEXT) | instid1(VALU_DEP_4)
	v_cmp_ge_u32_e32 vcc_lo, v4, v2
	v_add_co_u32 v7, s0, v11, v7
	s_delay_alu instid0(VALU_DEP_1)
	v_add_co_ci_u32_e64 v8, s0, v12, v8, s0
	s_or_b32 s2, vcc_lo, s2
	s_waitcnt lgkmcnt(0)
	global_store_b32 v[7:8], v13, off
	s_and_not1_b32 exec_lo, exec_lo, s2
	s_cbranch_execnz .LBB812_159
.LBB812_160:
	s_or_b32 exec_lo, exec_lo, s1
	v_cmp_eq_u32_e32 vcc_lo, 0xff, v0
	s_and_b32 s0, vcc_lo, s20
	s_delay_alu instid0(SALU_CYCLE_1)
	s_and_saveexec_b32 s1, s0
	s_cbranch_execz .LBB812_145
.LBB812_161:
	v_add_co_u32 v0, s0, v1, v3
	s_delay_alu instid0(VALU_DEP_1) | instskip(SKIP_1) | instid1(VALU_DEP_3)
	v_add_co_ci_u32_e64 v4, null, 0, 0, s0
	v_mov_b32_e32 v2, 0
	v_add_co_u32 v3, vcc_lo, v0, v23
	s_delay_alu instid0(VALU_DEP_3)
	v_add_co_ci_u32_e32 v4, vcc_lo, v4, v24, vcc_lo
	s_cmpk_lg_i32 s21, 0xf00
	global_store_b64 v2, v[3:4], s[38:39]
	s_cbranch_scc1 .LBB812_145
; %bb.162:
	v_lshlrev_b64 v[0:1], 2, v[1:2]
	s_delay_alu instid0(VALU_DEP_1) | instskip(NEXT) | instid1(VALU_DEP_2)
	v_add_co_u32 v0, vcc_lo, v9, v0
	v_add_co_ci_u32_e32 v1, vcc_lo, v10, v1, vcc_lo
	global_store_b32 v[0:1], v80, off offset:-4
	s_nop 0
	s_sendmsg sendmsg(MSG_DEALLOC_VGPRS)
	s_endpgm
.LBB812_163:
	s_or_b32 exec_lo, exec_lo, s2
	v_mov_b32_e32 v78, s1
	s_and_saveexec_b32 s1, s30
	s_cbranch_execnz .LBB812_84
	s_branch .LBB812_85
.LBB812_164:
	s_and_saveexec_b32 s17, s14
	s_cbranch_execnz .LBB812_232
; %bb.165:
	s_or_b32 exec_lo, exec_lo, s17
	s_and_saveexec_b32 s17, s13
	s_cbranch_execnz .LBB812_233
.LBB812_166:
	s_or_b32 exec_lo, exec_lo, s17
	s_and_saveexec_b32 s17, s12
	s_cbranch_execnz .LBB812_234
.LBB812_167:
	s_or_b32 exec_lo, exec_lo, s17
	s_and_saveexec_b32 s17, s11
	s_cbranch_execnz .LBB812_235
.LBB812_168:
	s_or_b32 exec_lo, exec_lo, s17
	s_and_saveexec_b32 s17, s10
	s_cbranch_execnz .LBB812_236
.LBB812_169:
	s_or_b32 exec_lo, exec_lo, s17
	s_and_saveexec_b32 s17, s9
	s_cbranch_execnz .LBB812_237
.LBB812_170:
	s_or_b32 exec_lo, exec_lo, s17
	s_and_saveexec_b32 s17, s7
	s_cbranch_execnz .LBB812_238
.LBB812_171:
	s_or_b32 exec_lo, exec_lo, s17
	s_and_saveexec_b32 s17, s5
	s_cbranch_execnz .LBB812_239
.LBB812_172:
	s_or_b32 exec_lo, exec_lo, s17
	s_and_saveexec_b32 s17, s8
	s_cbranch_execnz .LBB812_240
.LBB812_173:
	s_or_b32 exec_lo, exec_lo, s17
	s_and_saveexec_b32 s17, s6
	s_cbranch_execnz .LBB812_241
.LBB812_174:
	s_or_b32 exec_lo, exec_lo, s17
	s_and_saveexec_b32 s17, s4
	s_cbranch_execnz .LBB812_242
.LBB812_175:
	s_or_b32 exec_lo, exec_lo, s17
	s_and_saveexec_b32 s17, s3
	s_cbranch_execnz .LBB812_243
.LBB812_176:
	s_or_b32 exec_lo, exec_lo, s17
	s_and_saveexec_b32 s17, s2
	s_cbranch_execnz .LBB812_244
.LBB812_177:
	s_or_b32 exec_lo, exec_lo, s17
	s_and_saveexec_b32 s17, s1
	s_cbranch_execz .LBB812_179
.LBB812_178:
	v_sub_nc_u32_e32 v30, v57, v3
	v_mov_b32_e32 v31, 0
	s_delay_alu instid0(VALU_DEP_1) | instskip(NEXT) | instid1(VALU_DEP_1)
	v_lshlrev_b64 v[30:31], 2, v[30:31]
	v_add_co_u32 v30, vcc_lo, v2, v30
	s_delay_alu instid0(VALU_DEP_2)
	v_add_co_ci_u32_e32 v31, vcc_lo, v4, v31, vcc_lo
	global_store_b32 v[30:31], v10, off
.LBB812_179:
	s_or_b32 exec_lo, exec_lo, s17
	s_delay_alu instid0(SALU_CYCLE_1)
	s_and_b32 s17, s0, exec_lo
	s_and_not1_saveexec_b32 s15, s15
	s_cbranch_execz .LBB812_129
.LBB812_180:
	v_sub_nc_u32_e32 v30, v53, v3
	v_mov_b32_e32 v31, 0
	s_or_b32 s17, s17, exec_lo
	s_delay_alu instid0(VALU_DEP_1) | instskip(SKIP_1) | instid1(VALU_DEP_1)
	v_lshlrev_b64 v[32:33], 2, v[30:31]
	v_sub_nc_u32_e32 v30, v59, v3
	v_lshlrev_b64 v[34:35], 2, v[30:31]
	v_sub_nc_u32_e32 v30, v55, v3
	s_delay_alu instid0(VALU_DEP_4) | instskip(SKIP_1) | instid1(VALU_DEP_3)
	v_add_co_u32 v32, vcc_lo, v2, v32
	v_add_co_ci_u32_e32 v33, vcc_lo, v4, v33, vcc_lo
	v_lshlrev_b64 v[81:82], 2, v[30:31]
	v_sub_nc_u32_e32 v30, v51, v3
	v_add_co_u32 v34, vcc_lo, v2, v34
	v_add_co_ci_u32_e32 v35, vcc_lo, v4, v35, vcc_lo
	global_store_b32 v[32:33], v21, off
	v_lshlrev_b64 v[32:33], 2, v[30:31]
	v_sub_nc_u32_e32 v30, v45, v3
	global_store_b32 v[34:35], v22, off
	v_add_co_u32 v34, vcc_lo, v2, v81
	v_add_co_ci_u32_e32 v35, vcc_lo, v4, v82, vcc_lo
	v_lshlrev_b64 v[81:82], 2, v[30:31]
	v_sub_nc_u32_e32 v30, v41, v3
	v_add_co_u32 v32, vcc_lo, v2, v32
	v_add_co_ci_u32_e32 v33, vcc_lo, v4, v33, vcc_lo
	s_delay_alu instid0(VALU_DEP_3) | instskip(SKIP_3) | instid1(VALU_DEP_3)
	v_lshlrev_b64 v[83:84], 2, v[30:31]
	v_sub_nc_u32_e32 v30, v39, v3
	v_add_co_u32 v81, vcc_lo, v2, v81
	v_add_co_ci_u32_e32 v82, vcc_lo, v4, v82, vcc_lo
	v_lshlrev_b64 v[85:86], 2, v[30:31]
	v_sub_nc_u32_e32 v30, v43, v3
	v_add_co_u32 v83, vcc_lo, v2, v83
	v_add_co_ci_u32_e32 v84, vcc_lo, v4, v84, vcc_lo
	s_clause 0x3
	global_store_b32 v[34:35], v19, off
	global_store_b32 v[32:33], v20, off
	;; [unrolled: 1-line block ×4, first 2 shown]
	v_lshlrev_b64 v[32:33], 2, v[30:31]
	v_sub_nc_u32_e32 v30, v47, v3
	v_add_co_u32 v34, vcc_lo, v2, v85
	v_add_co_ci_u32_e32 v35, vcc_lo, v4, v86, vcc_lo
	s_delay_alu instid0(VALU_DEP_3) | instskip(SKIP_3) | instid1(VALU_DEP_3)
	v_lshlrev_b64 v[81:82], 2, v[30:31]
	v_sub_nc_u32_e32 v30, v5, v3
	v_add_co_u32 v32, vcc_lo, v2, v32
	v_add_co_ci_u32_e32 v33, vcc_lo, v4, v33, vcc_lo
	v_lshlrev_b64 v[83:84], 2, v[30:31]
	v_sub_nc_u32_e32 v30, v7, v3
	v_add_co_u32 v81, vcc_lo, v2, v81
	v_add_co_ci_u32_e32 v82, vcc_lo, v4, v82, vcc_lo
	s_delay_alu instid0(VALU_DEP_3)
	v_lshlrev_b64 v[85:86], 2, v[30:31]
	v_sub_nc_u32_e32 v30, v37, v3
	v_add_co_u32 v83, vcc_lo, v2, v83
	v_add_co_ci_u32_e32 v84, vcc_lo, v4, v84, vcc_lo
	s_clause 0x3
	global_store_b32 v[34:35], v15, off
	global_store_b32 v[32:33], v16, off
	;; [unrolled: 1-line block ×4, first 2 shown]
	v_lshlrev_b64 v[32:33], 2, v[30:31]
	v_sub_nc_u32_e32 v30, v61, v3
	v_add_co_u32 v34, vcc_lo, v2, v85
	v_add_co_ci_u32_e32 v35, vcc_lo, v4, v86, vcc_lo
	s_delay_alu instid0(VALU_DEP_3) | instskip(SKIP_3) | instid1(VALU_DEP_3)
	v_lshlrev_b64 v[81:82], 2, v[30:31]
	v_sub_nc_u32_e32 v30, v57, v3
	v_add_co_u32 v32, vcc_lo, v2, v32
	v_add_co_ci_u32_e32 v33, vcc_lo, v4, v33, vcc_lo
	v_lshlrev_b64 v[30:31], 2, v[30:31]
	v_add_co_u32 v81, vcc_lo, v2, v81
	v_add_co_ci_u32_e32 v82, vcc_lo, v4, v82, vcc_lo
	s_clause 0x2
	global_store_b32 v[34:35], v11, off
	global_store_b32 v[32:33], v12, off
	;; [unrolled: 1-line block ×3, first 2 shown]
	v_add_co_u32 v30, vcc_lo, v2, v30
	v_add_co_ci_u32_e32 v31, vcc_lo, v4, v31, vcc_lo
	global_store_b32 v[30:31], v10, off
	s_or_b32 exec_lo, exec_lo, s15
	s_delay_alu instid0(SALU_CYCLE_1)
	s_and_b32 exec_lo, exec_lo, s17
	s_cbranch_execnz .LBB812_130
	s_branch .LBB812_131
.LBB812_181:
	s_and_saveexec_b32 s17, s14
	s_cbranch_execnz .LBB812_245
; %bb.182:
	s_or_b32 exec_lo, exec_lo, s17
	s_and_saveexec_b32 s14, s13
	s_cbranch_execnz .LBB812_246
.LBB812_183:
	s_or_b32 exec_lo, exec_lo, s14
	s_and_saveexec_b32 s13, s12
	s_cbranch_execnz .LBB812_247
.LBB812_184:
	s_or_b32 exec_lo, exec_lo, s13
	s_and_saveexec_b32 s12, s11
	s_cbranch_execnz .LBB812_248
.LBB812_185:
	s_or_b32 exec_lo, exec_lo, s12
	s_and_saveexec_b32 s11, s10
	s_cbranch_execnz .LBB812_249
.LBB812_186:
	s_or_b32 exec_lo, exec_lo, s11
	s_and_saveexec_b32 s10, s9
	s_cbranch_execnz .LBB812_250
.LBB812_187:
	s_or_b32 exec_lo, exec_lo, s10
	s_and_saveexec_b32 s9, s7
	s_cbranch_execnz .LBB812_251
.LBB812_188:
	s_or_b32 exec_lo, exec_lo, s9
	s_and_saveexec_b32 s7, s5
	s_cbranch_execnz .LBB812_252
.LBB812_189:
	s_or_b32 exec_lo, exec_lo, s7
	s_and_saveexec_b32 s5, s8
	s_cbranch_execnz .LBB812_253
.LBB812_190:
	s_or_b32 exec_lo, exec_lo, s5
	s_and_saveexec_b32 s5, s6
	s_cbranch_execnz .LBB812_254
.LBB812_191:
	s_or_b32 exec_lo, exec_lo, s5
	s_and_saveexec_b32 s5, s4
	s_cbranch_execnz .LBB812_255
.LBB812_192:
	s_or_b32 exec_lo, exec_lo, s5
	s_and_saveexec_b32 s4, s3
	s_cbranch_execnz .LBB812_256
.LBB812_193:
	s_or_b32 exec_lo, exec_lo, s4
	s_and_saveexec_b32 s3, s2
	s_cbranch_execnz .LBB812_257
.LBB812_194:
	s_or_b32 exec_lo, exec_lo, s3
	s_and_saveexec_b32 s2, s1
	s_cbranch_execz .LBB812_196
.LBB812_195:
	v_sub_nc_u32_e32 v9, v57, v3
	s_delay_alu instid0(VALU_DEP_1)
	v_lshlrev_b32_e32 v9, 2, v9
	ds_store_b32 v9, v10
.LBB812_196:
	s_or_b32 exec_lo, exec_lo, s2
	s_delay_alu instid0(SALU_CYCLE_1)
	s_and_b32 s17, s0, exec_lo
                                        ; implicit-def: $vgpr21
                                        ; implicit-def: $vgpr19
                                        ; implicit-def: $vgpr17
                                        ; implicit-def: $vgpr15
                                        ; implicit-def: $vgpr13
                                        ; implicit-def: $vgpr11
                                        ; implicit-def: $vgpr9
	s_and_not1_saveexec_b32 s0, s16
	s_cbranch_execz .LBB812_136
.LBB812_197:
	v_sub_nc_u32_e32 v29, v53, v3
	v_sub_nc_u32_e32 v32, v51, v3
	;; [unrolled: 1-line block ×4, first 2 shown]
	s_or_b32 s17, s17, exec_lo
	v_lshlrev_b32_e32 v29, 2, v29
	v_lshlrev_b32_e32 v32, 2, v32
	;; [unrolled: 1-line block ×4, first 2 shown]
	ds_store_b32 v29, v21
	ds_store_b32 v30, v22
	;; [unrolled: 1-line block ×3, first 2 shown]
	v_sub_nc_u32_e32 v19, v45, v3
	ds_store_b32 v32, v20
	v_sub_nc_u32_e32 v20, v41, v3
	v_sub_nc_u32_e32 v21, v39, v3
	;; [unrolled: 1-line block ×3, first 2 shown]
	v_lshlrev_b32_e32 v19, 2, v19
	v_sub_nc_u32_e32 v29, v47, v3
	v_lshlrev_b32_e32 v20, 2, v20
	v_lshlrev_b32_e32 v21, 2, v21
	;; [unrolled: 1-line block ×3, first 2 shown]
	ds_store_b32 v19, v17
	v_lshlrev_b32_e32 v17, 2, v29
	ds_store_b32 v20, v18
	ds_store_b32 v21, v15
	;; [unrolled: 1-line block ×3, first 2 shown]
	v_sub_nc_u32_e32 v15, v5, v3
	v_sub_nc_u32_e32 v18, v57, v3
	;; [unrolled: 1-line block ×3, first 2 shown]
	ds_store_b32 v17, v13
	v_sub_nc_u32_e32 v13, v7, v3
	v_lshlrev_b32_e32 v15, 2, v15
	v_sub_nc_u32_e32 v17, v61, v3
	v_lshlrev_b32_e32 v16, 2, v16
	s_delay_alu instid0(VALU_DEP_4)
	v_lshlrev_b32_e32 v13, 2, v13
	ds_store_b32 v15, v14
	v_lshlrev_b32_e32 v14, 2, v18
	v_lshlrev_b32_e32 v17, 2, v17
	ds_store_b32 v13, v11
	ds_store_b32 v16, v12
	;; [unrolled: 1-line block ×4, first 2 shown]
	s_or_b32 exec_lo, exec_lo, s0
	s_delay_alu instid0(SALU_CYCLE_1)
	s_and_b32 exec_lo, exec_lo, s17
	s_cbranch_execnz .LBB812_137
	s_branch .LBB812_138
.LBB812_198:
	s_and_saveexec_b32 s17, s14
	s_cbranch_execnz .LBB812_258
; %bb.199:
	s_or_b32 exec_lo, exec_lo, s17
	s_and_saveexec_b32 s17, s13
	s_cbranch_execnz .LBB812_259
.LBB812_200:
	s_or_b32 exec_lo, exec_lo, s17
	s_and_saveexec_b32 s17, s12
	s_cbranch_execnz .LBB812_260
.LBB812_201:
	s_or_b32 exec_lo, exec_lo, s17
	s_and_saveexec_b32 s17, s11
	s_cbranch_execnz .LBB812_261
.LBB812_202:
	s_or_b32 exec_lo, exec_lo, s17
	s_and_saveexec_b32 s17, s10
	s_cbranch_execnz .LBB812_262
.LBB812_203:
	s_or_b32 exec_lo, exec_lo, s17
	s_and_saveexec_b32 s17, s9
	s_cbranch_execnz .LBB812_263
.LBB812_204:
	s_or_b32 exec_lo, exec_lo, s17
	s_and_saveexec_b32 s17, s8
	s_cbranch_execnz .LBB812_264
.LBB812_205:
	s_or_b32 exec_lo, exec_lo, s17
	s_and_saveexec_b32 s17, s7
	s_cbranch_execnz .LBB812_265
.LBB812_206:
	s_or_b32 exec_lo, exec_lo, s17
	s_and_saveexec_b32 s17, s6
	s_cbranch_execnz .LBB812_266
.LBB812_207:
	s_or_b32 exec_lo, exec_lo, s17
	s_and_saveexec_b32 s17, s5
	s_cbranch_execnz .LBB812_267
.LBB812_208:
	s_or_b32 exec_lo, exec_lo, s17
	s_and_saveexec_b32 s17, s4
	s_cbranch_execnz .LBB812_268
.LBB812_209:
	s_or_b32 exec_lo, exec_lo, s17
	s_and_saveexec_b32 s17, s3
	s_cbranch_execnz .LBB812_269
.LBB812_210:
	s_or_b32 exec_lo, exec_lo, s17
	s_and_saveexec_b32 s17, s2
	s_cbranch_execnz .LBB812_270
.LBB812_211:
	s_or_b32 exec_lo, exec_lo, s17
	s_and_saveexec_b32 s17, s1
	s_cbranch_execz .LBB812_213
.LBB812_212:
	v_sub_nc_u32_e32 v14, v57, v4
	v_mov_b32_e32 v15, 0
	s_delay_alu instid0(VALU_DEP_1) | instskip(NEXT) | instid1(VALU_DEP_1)
	v_lshlrev_b64 v[14:15], 2, v[14:15]
	v_add_co_u32 v14, vcc_lo, v11, v14
	s_delay_alu instid0(VALU_DEP_2)
	v_add_co_ci_u32_e32 v15, vcc_lo, v12, v15, vcc_lo
	global_store_b32 v[14:15], v58, off
.LBB812_213:
	s_or_b32 exec_lo, exec_lo, s17
	s_delay_alu instid0(SALU_CYCLE_1)
	s_and_b32 s17, s0, exec_lo
	s_and_not1_saveexec_b32 s15, s15
	s_cbranch_execz .LBB812_149
.LBB812_214:
	v_sub_nc_u32_e32 v14, v53, v4
	v_mov_b32_e32 v15, 0
	s_or_b32 s17, s17, exec_lo
	s_delay_alu instid0(VALU_DEP_1) | instskip(SKIP_1) | instid1(VALU_DEP_1)
	v_lshlrev_b64 v[16:17], 2, v[14:15]
	v_sub_nc_u32_e32 v14, v59, v4
	v_lshlrev_b64 v[18:19], 2, v[14:15]
	v_sub_nc_u32_e32 v14, v55, v4
	s_delay_alu instid0(VALU_DEP_4) | instskip(SKIP_1) | instid1(VALU_DEP_3)
	v_add_co_u32 v16, vcc_lo, v11, v16
	v_add_co_ci_u32_e32 v17, vcc_lo, v12, v17, vcc_lo
	v_lshlrev_b64 v[20:21], 2, v[14:15]
	v_sub_nc_u32_e32 v14, v51, v4
	v_add_co_u32 v18, vcc_lo, v11, v18
	v_add_co_ci_u32_e32 v19, vcc_lo, v12, v19, vcc_lo
	global_store_b32 v[16:17], v54, off
	v_lshlrev_b64 v[16:17], 2, v[14:15]
	v_sub_nc_u32_e32 v14, v45, v4
	global_store_b32 v[18:19], v60, off
	v_add_co_u32 v18, vcc_lo, v11, v20
	v_add_co_ci_u32_e32 v19, vcc_lo, v12, v21, vcc_lo
	v_lshlrev_b64 v[20:21], 2, v[14:15]
	v_sub_nc_u32_e32 v14, v41, v4
	v_add_co_u32 v16, vcc_lo, v11, v16
	v_add_co_ci_u32_e32 v17, vcc_lo, v12, v17, vcc_lo
	s_delay_alu instid0(VALU_DEP_3) | instskip(SKIP_3) | instid1(VALU_DEP_3)
	v_lshlrev_b64 v[25:26], 2, v[14:15]
	v_sub_nc_u32_e32 v14, v39, v4
	v_add_co_u32 v20, vcc_lo, v11, v20
	v_add_co_ci_u32_e32 v21, vcc_lo, v12, v21, vcc_lo
	v_lshlrev_b64 v[27:28], 2, v[14:15]
	v_sub_nc_u32_e32 v14, v43, v4
	v_add_co_u32 v25, vcc_lo, v11, v25
	v_add_co_ci_u32_e32 v26, vcc_lo, v12, v26, vcc_lo
	s_clause 0x3
	global_store_b32 v[18:19], v56, off
	global_store_b32 v[16:17], v52, off
	;; [unrolled: 1-line block ×4, first 2 shown]
	v_lshlrev_b64 v[16:17], 2, v[14:15]
	v_sub_nc_u32_e32 v14, v47, v4
	v_add_co_u32 v18, vcc_lo, v11, v27
	v_add_co_ci_u32_e32 v19, vcc_lo, v12, v28, vcc_lo
	s_delay_alu instid0(VALU_DEP_3) | instskip(SKIP_3) | instid1(VALU_DEP_3)
	v_lshlrev_b64 v[20:21], 2, v[14:15]
	v_sub_nc_u32_e32 v14, v5, v4
	v_add_co_u32 v16, vcc_lo, v11, v16
	v_add_co_ci_u32_e32 v17, vcc_lo, v12, v17, vcc_lo
	v_lshlrev_b64 v[25:26], 2, v[14:15]
	v_sub_nc_u32_e32 v14, v7, v4
	v_add_co_u32 v20, vcc_lo, v11, v20
	v_add_co_ci_u32_e32 v21, vcc_lo, v12, v21, vcc_lo
	s_delay_alu instid0(VALU_DEP_3)
	v_lshlrev_b64 v[27:28], 2, v[14:15]
	v_sub_nc_u32_e32 v14, v37, v4
	v_add_co_u32 v25, vcc_lo, v11, v25
	v_add_co_ci_u32_e32 v26, vcc_lo, v12, v26, vcc_lo
	s_clause 0x3
	global_store_b32 v[18:19], v40, off
	global_store_b32 v[16:17], v44, off
	;; [unrolled: 1-line block ×4, first 2 shown]
	v_lshlrev_b64 v[16:17], 2, v[14:15]
	v_sub_nc_u32_e32 v14, v61, v4
	v_add_co_u32 v18, vcc_lo, v11, v27
	v_add_co_ci_u32_e32 v19, vcc_lo, v12, v28, vcc_lo
	s_delay_alu instid0(VALU_DEP_3) | instskip(SKIP_3) | instid1(VALU_DEP_3)
	v_lshlrev_b64 v[20:21], 2, v[14:15]
	v_sub_nc_u32_e32 v14, v57, v4
	v_add_co_u32 v16, vcc_lo, v11, v16
	v_add_co_ci_u32_e32 v17, vcc_lo, v12, v17, vcc_lo
	v_lshlrev_b64 v[14:15], 2, v[14:15]
	v_add_co_u32 v20, vcc_lo, v11, v20
	v_add_co_ci_u32_e32 v21, vcc_lo, v12, v21, vcc_lo
	s_clause 0x2
	global_store_b32 v[18:19], v8, off
	global_store_b32 v[16:17], v38, off
	;; [unrolled: 1-line block ×3, first 2 shown]
	v_add_co_u32 v14, vcc_lo, v11, v14
	v_add_co_ci_u32_e32 v15, vcc_lo, v12, v15, vcc_lo
	global_store_b32 v[14:15], v58, off
	s_or_b32 exec_lo, exec_lo, s15
	s_delay_alu instid0(SALU_CYCLE_1)
	s_and_b32 exec_lo, exec_lo, s17
	s_cbranch_execnz .LBB812_150
	s_branch .LBB812_151
.LBB812_215:
	s_and_saveexec_b32 s17, s14
	s_cbranch_execnz .LBB812_271
; %bb.216:
	s_or_b32 exec_lo, exec_lo, s17
	s_and_saveexec_b32 s14, s13
	s_cbranch_execnz .LBB812_272
.LBB812_217:
	s_or_b32 exec_lo, exec_lo, s14
	s_and_saveexec_b32 s13, s12
	s_cbranch_execnz .LBB812_273
.LBB812_218:
	s_or_b32 exec_lo, exec_lo, s13
	s_and_saveexec_b32 s12, s11
	s_cbranch_execnz .LBB812_274
.LBB812_219:
	s_or_b32 exec_lo, exec_lo, s12
	s_and_saveexec_b32 s11, s10
	s_cbranch_execnz .LBB812_275
.LBB812_220:
	s_or_b32 exec_lo, exec_lo, s11
	s_and_saveexec_b32 s10, s9
	s_cbranch_execnz .LBB812_276
.LBB812_221:
	s_or_b32 exec_lo, exec_lo, s10
	s_and_saveexec_b32 s9, s8
	s_cbranch_execnz .LBB812_277
.LBB812_222:
	s_or_b32 exec_lo, exec_lo, s9
	s_and_saveexec_b32 s8, s7
	s_cbranch_execnz .LBB812_278
.LBB812_223:
	s_or_b32 exec_lo, exec_lo, s8
	s_and_saveexec_b32 s7, s6
	s_cbranch_execnz .LBB812_279
.LBB812_224:
	s_or_b32 exec_lo, exec_lo, s7
	s_and_saveexec_b32 s6, s5
	s_cbranch_execnz .LBB812_280
.LBB812_225:
	s_or_b32 exec_lo, exec_lo, s6
	s_and_saveexec_b32 s5, s4
	s_cbranch_execnz .LBB812_281
.LBB812_226:
	s_or_b32 exec_lo, exec_lo, s5
	s_and_saveexec_b32 s4, s3
	s_cbranch_execnz .LBB812_282
.LBB812_227:
	s_or_b32 exec_lo, exec_lo, s4
	s_and_saveexec_b32 s3, s2
	s_cbranch_execnz .LBB812_283
.LBB812_228:
	s_or_b32 exec_lo, exec_lo, s3
	s_and_saveexec_b32 s2, s1
	s_cbranch_execz .LBB812_230
.LBB812_229:
	v_sub_nc_u32_e32 v5, v57, v4
	s_delay_alu instid0(VALU_DEP_1)
	v_lshlrev_b32_e32 v5, 2, v5
	ds_store_b32 v5, v58
.LBB812_230:
	s_or_b32 exec_lo, exec_lo, s2
	s_delay_alu instid0(SALU_CYCLE_1)
	s_and_b32 s17, s0, exec_lo
                                        ; implicit-def: $vgpr53_vgpr54
                                        ; implicit-def: $vgpr59_vgpr60
                                        ; implicit-def: $vgpr55_vgpr56
                                        ; implicit-def: $vgpr51_vgpr52
                                        ; implicit-def: $vgpr45_vgpr46
                                        ; implicit-def: $vgpr41_vgpr42
                                        ; implicit-def: $vgpr39_vgpr40
                                        ; implicit-def: $vgpr43_vgpr44
                                        ; implicit-def: $vgpr47_vgpr48
                                        ; implicit-def: $vgpr5_vgpr6
                                        ; implicit-def: $vgpr7_vgpr8
                                        ; implicit-def: $vgpr37_vgpr38
                                        ; implicit-def: $vgpr61_vgpr62
                                        ; implicit-def: $vgpr57_vgpr58
	s_and_not1_saveexec_b32 s0, s16
	s_cbranch_execz .LBB812_155
.LBB812_231:
	v_sub_nc_u32_e32 v13, v53, v4
	v_sub_nc_u32_e32 v14, v59, v4
	;; [unrolled: 1-line block ×5, first 2 shown]
	v_lshlrev_b32_e32 v13, 2, v13
	v_lshlrev_b32_e32 v14, 2, v14
	;; [unrolled: 1-line block ×4, first 2 shown]
	v_sub_nc_u32_e32 v5, v5, v4
	ds_store_b32 v13, v54
	ds_store_b32 v14, v60
	;; [unrolled: 1-line block ×3, first 2 shown]
	v_sub_nc_u32_e32 v13, v45, v4
	v_sub_nc_u32_e32 v14, v41, v4
	;; [unrolled: 1-line block ×3, first 2 shown]
	ds_store_b32 v16, v52
	v_sub_nc_u32_e32 v16, v43, v4
	v_lshlrev_b32_e32 v13, 2, v13
	v_lshlrev_b32_e32 v14, 2, v14
	;; [unrolled: 1-line block ×3, first 2 shown]
	v_sub_nc_u32_e32 v7, v7, v4
	v_lshlrev_b32_e32 v16, 2, v16
	ds_store_b32 v13, v46
	v_lshlrev_b32_e32 v13, 2, v17
	ds_store_b32 v14, v42
	ds_store_b32 v15, v40
	;; [unrolled: 1-line block ×3, first 2 shown]
	v_lshlrev_b32_e32 v5, 2, v5
	v_sub_nc_u32_e32 v15, v57, v4
	v_sub_nc_u32_e32 v14, v61, v4
	ds_store_b32 v13, v48
	v_sub_nc_u32_e32 v13, v37, v4
	v_lshlrev_b32_e32 v7, 2, v7
	ds_store_b32 v5, v6
	v_lshlrev_b32_e32 v5, 2, v15
	v_lshlrev_b32_e32 v14, 2, v14
	;; [unrolled: 1-line block ×3, first 2 shown]
	s_or_b32 s17, s17, exec_lo
	ds_store_b32 v7, v8
	ds_store_b32 v13, v38
	;; [unrolled: 1-line block ×4, first 2 shown]
	s_or_b32 exec_lo, exec_lo, s0
	s_delay_alu instid0(SALU_CYCLE_1)
	s_and_b32 exec_lo, exec_lo, s17
	s_cbranch_execnz .LBB812_156
	s_branch .LBB812_157
.LBB812_232:
	v_sub_nc_u32_e32 v30, v53, v3
	v_mov_b32_e32 v31, 0
	s_delay_alu instid0(VALU_DEP_1) | instskip(NEXT) | instid1(VALU_DEP_1)
	v_lshlrev_b64 v[30:31], 2, v[30:31]
	v_add_co_u32 v30, vcc_lo, v2, v30
	s_delay_alu instid0(VALU_DEP_2)
	v_add_co_ci_u32_e32 v31, vcc_lo, v4, v31, vcc_lo
	global_store_b32 v[30:31], v21, off
	s_or_b32 exec_lo, exec_lo, s17
	s_and_saveexec_b32 s17, s13
	s_cbranch_execz .LBB812_166
.LBB812_233:
	v_sub_nc_u32_e32 v30, v59, v3
	v_mov_b32_e32 v31, 0
	s_delay_alu instid0(VALU_DEP_1) | instskip(NEXT) | instid1(VALU_DEP_1)
	v_lshlrev_b64 v[30:31], 2, v[30:31]
	v_add_co_u32 v30, vcc_lo, v2, v30
	s_delay_alu instid0(VALU_DEP_2)
	v_add_co_ci_u32_e32 v31, vcc_lo, v4, v31, vcc_lo
	global_store_b32 v[30:31], v22, off
	s_or_b32 exec_lo, exec_lo, s17
	s_and_saveexec_b32 s17, s12
	s_cbranch_execz .LBB812_167
.LBB812_234:
	v_sub_nc_u32_e32 v30, v55, v3
	v_mov_b32_e32 v31, 0
	s_delay_alu instid0(VALU_DEP_1) | instskip(NEXT) | instid1(VALU_DEP_1)
	v_lshlrev_b64 v[30:31], 2, v[30:31]
	v_add_co_u32 v30, vcc_lo, v2, v30
	s_delay_alu instid0(VALU_DEP_2)
	v_add_co_ci_u32_e32 v31, vcc_lo, v4, v31, vcc_lo
	global_store_b32 v[30:31], v19, off
	s_or_b32 exec_lo, exec_lo, s17
	s_and_saveexec_b32 s17, s11
	s_cbranch_execz .LBB812_168
.LBB812_235:
	v_sub_nc_u32_e32 v30, v51, v3
	v_mov_b32_e32 v31, 0
	s_delay_alu instid0(VALU_DEP_1) | instskip(NEXT) | instid1(VALU_DEP_1)
	v_lshlrev_b64 v[30:31], 2, v[30:31]
	v_add_co_u32 v30, vcc_lo, v2, v30
	s_delay_alu instid0(VALU_DEP_2)
	v_add_co_ci_u32_e32 v31, vcc_lo, v4, v31, vcc_lo
	global_store_b32 v[30:31], v20, off
	s_or_b32 exec_lo, exec_lo, s17
	s_and_saveexec_b32 s17, s10
	s_cbranch_execz .LBB812_169
.LBB812_236:
	v_sub_nc_u32_e32 v30, v45, v3
	v_mov_b32_e32 v31, 0
	s_delay_alu instid0(VALU_DEP_1) | instskip(NEXT) | instid1(VALU_DEP_1)
	v_lshlrev_b64 v[30:31], 2, v[30:31]
	v_add_co_u32 v30, vcc_lo, v2, v30
	s_delay_alu instid0(VALU_DEP_2)
	v_add_co_ci_u32_e32 v31, vcc_lo, v4, v31, vcc_lo
	global_store_b32 v[30:31], v17, off
	s_or_b32 exec_lo, exec_lo, s17
	s_and_saveexec_b32 s17, s9
	s_cbranch_execz .LBB812_170
.LBB812_237:
	v_sub_nc_u32_e32 v30, v41, v3
	v_mov_b32_e32 v31, 0
	s_delay_alu instid0(VALU_DEP_1) | instskip(NEXT) | instid1(VALU_DEP_1)
	v_lshlrev_b64 v[30:31], 2, v[30:31]
	v_add_co_u32 v30, vcc_lo, v2, v30
	s_delay_alu instid0(VALU_DEP_2)
	v_add_co_ci_u32_e32 v31, vcc_lo, v4, v31, vcc_lo
	global_store_b32 v[30:31], v18, off
	s_or_b32 exec_lo, exec_lo, s17
	s_and_saveexec_b32 s17, s7
	s_cbranch_execz .LBB812_171
.LBB812_238:
	v_sub_nc_u32_e32 v30, v39, v3
	v_mov_b32_e32 v31, 0
	s_delay_alu instid0(VALU_DEP_1) | instskip(NEXT) | instid1(VALU_DEP_1)
	v_lshlrev_b64 v[30:31], 2, v[30:31]
	v_add_co_u32 v30, vcc_lo, v2, v30
	s_delay_alu instid0(VALU_DEP_2)
	v_add_co_ci_u32_e32 v31, vcc_lo, v4, v31, vcc_lo
	global_store_b32 v[30:31], v15, off
	s_or_b32 exec_lo, exec_lo, s17
	s_and_saveexec_b32 s17, s5
	s_cbranch_execz .LBB812_172
.LBB812_239:
	v_sub_nc_u32_e32 v30, v43, v3
	v_mov_b32_e32 v31, 0
	s_delay_alu instid0(VALU_DEP_1) | instskip(NEXT) | instid1(VALU_DEP_1)
	v_lshlrev_b64 v[30:31], 2, v[30:31]
	v_add_co_u32 v30, vcc_lo, v2, v30
	s_delay_alu instid0(VALU_DEP_2)
	v_add_co_ci_u32_e32 v31, vcc_lo, v4, v31, vcc_lo
	global_store_b32 v[30:31], v16, off
	s_or_b32 exec_lo, exec_lo, s17
	s_and_saveexec_b32 s17, s8
	s_cbranch_execz .LBB812_173
.LBB812_240:
	v_sub_nc_u32_e32 v30, v47, v3
	v_mov_b32_e32 v31, 0
	s_delay_alu instid0(VALU_DEP_1) | instskip(NEXT) | instid1(VALU_DEP_1)
	v_lshlrev_b64 v[30:31], 2, v[30:31]
	v_add_co_u32 v30, vcc_lo, v2, v30
	s_delay_alu instid0(VALU_DEP_2)
	v_add_co_ci_u32_e32 v31, vcc_lo, v4, v31, vcc_lo
	global_store_b32 v[30:31], v13, off
	s_or_b32 exec_lo, exec_lo, s17
	s_and_saveexec_b32 s17, s6
	s_cbranch_execz .LBB812_174
.LBB812_241:
	v_sub_nc_u32_e32 v30, v5, v3
	v_mov_b32_e32 v31, 0
	s_delay_alu instid0(VALU_DEP_1) | instskip(NEXT) | instid1(VALU_DEP_1)
	v_lshlrev_b64 v[30:31], 2, v[30:31]
	v_add_co_u32 v30, vcc_lo, v2, v30
	s_delay_alu instid0(VALU_DEP_2)
	v_add_co_ci_u32_e32 v31, vcc_lo, v4, v31, vcc_lo
	global_store_b32 v[30:31], v14, off
	s_or_b32 exec_lo, exec_lo, s17
	s_and_saveexec_b32 s17, s4
	s_cbranch_execz .LBB812_175
.LBB812_242:
	v_sub_nc_u32_e32 v30, v7, v3
	v_mov_b32_e32 v31, 0
	s_delay_alu instid0(VALU_DEP_1) | instskip(NEXT) | instid1(VALU_DEP_1)
	v_lshlrev_b64 v[30:31], 2, v[30:31]
	v_add_co_u32 v30, vcc_lo, v2, v30
	s_delay_alu instid0(VALU_DEP_2)
	v_add_co_ci_u32_e32 v31, vcc_lo, v4, v31, vcc_lo
	global_store_b32 v[30:31], v11, off
	s_or_b32 exec_lo, exec_lo, s17
	s_and_saveexec_b32 s17, s3
	s_cbranch_execz .LBB812_176
.LBB812_243:
	v_sub_nc_u32_e32 v30, v37, v3
	v_mov_b32_e32 v31, 0
	s_delay_alu instid0(VALU_DEP_1) | instskip(NEXT) | instid1(VALU_DEP_1)
	v_lshlrev_b64 v[30:31], 2, v[30:31]
	v_add_co_u32 v30, vcc_lo, v2, v30
	s_delay_alu instid0(VALU_DEP_2)
	v_add_co_ci_u32_e32 v31, vcc_lo, v4, v31, vcc_lo
	global_store_b32 v[30:31], v12, off
	s_or_b32 exec_lo, exec_lo, s17
	s_and_saveexec_b32 s17, s2
	s_cbranch_execz .LBB812_177
.LBB812_244:
	v_sub_nc_u32_e32 v30, v61, v3
	v_mov_b32_e32 v31, 0
	s_delay_alu instid0(VALU_DEP_1) | instskip(NEXT) | instid1(VALU_DEP_1)
	v_lshlrev_b64 v[30:31], 2, v[30:31]
	v_add_co_u32 v30, vcc_lo, v2, v30
	s_delay_alu instid0(VALU_DEP_2)
	v_add_co_ci_u32_e32 v31, vcc_lo, v4, v31, vcc_lo
	global_store_b32 v[30:31], v9, off
	s_or_b32 exec_lo, exec_lo, s17
	s_and_saveexec_b32 s17, s1
	s_cbranch_execnz .LBB812_178
	s_branch .LBB812_179
.LBB812_245:
	v_sub_nc_u32_e32 v29, v53, v3
	s_delay_alu instid0(VALU_DEP_1)
	v_lshlrev_b32_e32 v29, 2, v29
	ds_store_b32 v29, v21
	s_or_b32 exec_lo, exec_lo, s17
	s_and_saveexec_b32 s14, s13
	s_cbranch_execz .LBB812_183
.LBB812_246:
	v_sub_nc_u32_e32 v21, v59, v3
	s_delay_alu instid0(VALU_DEP_1)
	v_lshlrev_b32_e32 v21, 2, v21
	ds_store_b32 v21, v22
	s_or_b32 exec_lo, exec_lo, s14
	s_and_saveexec_b32 s13, s12
	s_cbranch_execz .LBB812_184
.LBB812_247:
	v_sub_nc_u32_e32 v21, v55, v3
	s_delay_alu instid0(VALU_DEP_1)
	v_lshlrev_b32_e32 v21, 2, v21
	ds_store_b32 v21, v19
	s_or_b32 exec_lo, exec_lo, s13
	s_and_saveexec_b32 s12, s11
	s_cbranch_execz .LBB812_185
.LBB812_248:
	v_sub_nc_u32_e32 v19, v51, v3
	s_delay_alu instid0(VALU_DEP_1)
	v_lshlrev_b32_e32 v19, 2, v19
	ds_store_b32 v19, v20
	s_or_b32 exec_lo, exec_lo, s12
	s_and_saveexec_b32 s11, s10
	s_cbranch_execz .LBB812_186
.LBB812_249:
	v_sub_nc_u32_e32 v19, v45, v3
	s_delay_alu instid0(VALU_DEP_1)
	v_lshlrev_b32_e32 v19, 2, v19
	ds_store_b32 v19, v17
	s_or_b32 exec_lo, exec_lo, s11
	s_and_saveexec_b32 s10, s9
	s_cbranch_execz .LBB812_187
.LBB812_250:
	v_sub_nc_u32_e32 v17, v41, v3
	s_delay_alu instid0(VALU_DEP_1)
	v_lshlrev_b32_e32 v17, 2, v17
	ds_store_b32 v17, v18
	s_or_b32 exec_lo, exec_lo, s10
	s_and_saveexec_b32 s9, s7
	s_cbranch_execz .LBB812_188
.LBB812_251:
	v_sub_nc_u32_e32 v17, v39, v3
	s_delay_alu instid0(VALU_DEP_1)
	v_lshlrev_b32_e32 v17, 2, v17
	ds_store_b32 v17, v15
	s_or_b32 exec_lo, exec_lo, s9
	s_and_saveexec_b32 s7, s5
	s_cbranch_execz .LBB812_189
.LBB812_252:
	v_sub_nc_u32_e32 v15, v43, v3
	s_delay_alu instid0(VALU_DEP_1)
	v_lshlrev_b32_e32 v15, 2, v15
	ds_store_b32 v15, v16
	s_or_b32 exec_lo, exec_lo, s7
	s_and_saveexec_b32 s5, s8
	s_cbranch_execz .LBB812_190
.LBB812_253:
	v_sub_nc_u32_e32 v15, v47, v3
	s_delay_alu instid0(VALU_DEP_1)
	v_lshlrev_b32_e32 v15, 2, v15
	ds_store_b32 v15, v13
	s_or_b32 exec_lo, exec_lo, s5
	s_and_saveexec_b32 s5, s6
	s_cbranch_execz .LBB812_191
.LBB812_254:
	v_sub_nc_u32_e32 v13, v5, v3
	s_delay_alu instid0(VALU_DEP_1)
	v_lshlrev_b32_e32 v13, 2, v13
	ds_store_b32 v13, v14
	s_or_b32 exec_lo, exec_lo, s5
	s_and_saveexec_b32 s5, s4
	s_cbranch_execz .LBB812_192
.LBB812_255:
	v_sub_nc_u32_e32 v13, v7, v3
	s_delay_alu instid0(VALU_DEP_1)
	v_lshlrev_b32_e32 v13, 2, v13
	ds_store_b32 v13, v11
	s_or_b32 exec_lo, exec_lo, s5
	s_and_saveexec_b32 s4, s3
	s_cbranch_execz .LBB812_193
.LBB812_256:
	v_sub_nc_u32_e32 v11, v37, v3
	s_delay_alu instid0(VALU_DEP_1)
	v_lshlrev_b32_e32 v11, 2, v11
	ds_store_b32 v11, v12
	s_or_b32 exec_lo, exec_lo, s4
	s_and_saveexec_b32 s3, s2
	s_cbranch_execz .LBB812_194
.LBB812_257:
	v_sub_nc_u32_e32 v11, v61, v3
	s_delay_alu instid0(VALU_DEP_1)
	v_lshlrev_b32_e32 v11, 2, v11
	ds_store_b32 v11, v9
	s_or_b32 exec_lo, exec_lo, s3
	s_and_saveexec_b32 s2, s1
	s_cbranch_execnz .LBB812_195
	s_branch .LBB812_196
.LBB812_258:
	v_sub_nc_u32_e32 v14, v53, v4
	v_mov_b32_e32 v15, 0
	s_delay_alu instid0(VALU_DEP_1) | instskip(NEXT) | instid1(VALU_DEP_1)
	v_lshlrev_b64 v[14:15], 2, v[14:15]
	v_add_co_u32 v14, vcc_lo, v11, v14
	s_delay_alu instid0(VALU_DEP_2)
	v_add_co_ci_u32_e32 v15, vcc_lo, v12, v15, vcc_lo
	global_store_b32 v[14:15], v54, off
	s_or_b32 exec_lo, exec_lo, s17
	s_and_saveexec_b32 s17, s13
	s_cbranch_execz .LBB812_200
.LBB812_259:
	v_sub_nc_u32_e32 v14, v59, v4
	v_mov_b32_e32 v15, 0
	s_delay_alu instid0(VALU_DEP_1) | instskip(NEXT) | instid1(VALU_DEP_1)
	v_lshlrev_b64 v[14:15], 2, v[14:15]
	v_add_co_u32 v14, vcc_lo, v11, v14
	s_delay_alu instid0(VALU_DEP_2)
	v_add_co_ci_u32_e32 v15, vcc_lo, v12, v15, vcc_lo
	global_store_b32 v[14:15], v60, off
	s_or_b32 exec_lo, exec_lo, s17
	s_and_saveexec_b32 s17, s12
	s_cbranch_execz .LBB812_201
.LBB812_260:
	v_sub_nc_u32_e32 v14, v55, v4
	v_mov_b32_e32 v15, 0
	s_delay_alu instid0(VALU_DEP_1) | instskip(NEXT) | instid1(VALU_DEP_1)
	v_lshlrev_b64 v[14:15], 2, v[14:15]
	v_add_co_u32 v14, vcc_lo, v11, v14
	s_delay_alu instid0(VALU_DEP_2)
	v_add_co_ci_u32_e32 v15, vcc_lo, v12, v15, vcc_lo
	global_store_b32 v[14:15], v56, off
	s_or_b32 exec_lo, exec_lo, s17
	s_and_saveexec_b32 s17, s11
	s_cbranch_execz .LBB812_202
.LBB812_261:
	v_sub_nc_u32_e32 v14, v51, v4
	v_mov_b32_e32 v15, 0
	s_delay_alu instid0(VALU_DEP_1) | instskip(NEXT) | instid1(VALU_DEP_1)
	v_lshlrev_b64 v[14:15], 2, v[14:15]
	v_add_co_u32 v14, vcc_lo, v11, v14
	s_delay_alu instid0(VALU_DEP_2)
	v_add_co_ci_u32_e32 v15, vcc_lo, v12, v15, vcc_lo
	global_store_b32 v[14:15], v52, off
	s_or_b32 exec_lo, exec_lo, s17
	s_and_saveexec_b32 s17, s10
	s_cbranch_execz .LBB812_203
.LBB812_262:
	v_sub_nc_u32_e32 v14, v45, v4
	v_mov_b32_e32 v15, 0
	s_delay_alu instid0(VALU_DEP_1) | instskip(NEXT) | instid1(VALU_DEP_1)
	v_lshlrev_b64 v[14:15], 2, v[14:15]
	v_add_co_u32 v14, vcc_lo, v11, v14
	s_delay_alu instid0(VALU_DEP_2)
	v_add_co_ci_u32_e32 v15, vcc_lo, v12, v15, vcc_lo
	global_store_b32 v[14:15], v46, off
	s_or_b32 exec_lo, exec_lo, s17
	s_and_saveexec_b32 s17, s9
	s_cbranch_execz .LBB812_204
.LBB812_263:
	v_sub_nc_u32_e32 v14, v41, v4
	v_mov_b32_e32 v15, 0
	s_delay_alu instid0(VALU_DEP_1) | instskip(NEXT) | instid1(VALU_DEP_1)
	v_lshlrev_b64 v[14:15], 2, v[14:15]
	v_add_co_u32 v14, vcc_lo, v11, v14
	s_delay_alu instid0(VALU_DEP_2)
	v_add_co_ci_u32_e32 v15, vcc_lo, v12, v15, vcc_lo
	global_store_b32 v[14:15], v42, off
	s_or_b32 exec_lo, exec_lo, s17
	s_and_saveexec_b32 s17, s8
	s_cbranch_execz .LBB812_205
.LBB812_264:
	v_sub_nc_u32_e32 v14, v39, v4
	v_mov_b32_e32 v15, 0
	s_delay_alu instid0(VALU_DEP_1) | instskip(NEXT) | instid1(VALU_DEP_1)
	v_lshlrev_b64 v[14:15], 2, v[14:15]
	v_add_co_u32 v14, vcc_lo, v11, v14
	s_delay_alu instid0(VALU_DEP_2)
	v_add_co_ci_u32_e32 v15, vcc_lo, v12, v15, vcc_lo
	global_store_b32 v[14:15], v40, off
	s_or_b32 exec_lo, exec_lo, s17
	s_and_saveexec_b32 s17, s7
	s_cbranch_execz .LBB812_206
.LBB812_265:
	v_sub_nc_u32_e32 v14, v43, v4
	v_mov_b32_e32 v15, 0
	s_delay_alu instid0(VALU_DEP_1) | instskip(NEXT) | instid1(VALU_DEP_1)
	v_lshlrev_b64 v[14:15], 2, v[14:15]
	v_add_co_u32 v14, vcc_lo, v11, v14
	s_delay_alu instid0(VALU_DEP_2)
	v_add_co_ci_u32_e32 v15, vcc_lo, v12, v15, vcc_lo
	global_store_b32 v[14:15], v44, off
	s_or_b32 exec_lo, exec_lo, s17
	s_and_saveexec_b32 s17, s6
	s_cbranch_execz .LBB812_207
.LBB812_266:
	v_sub_nc_u32_e32 v14, v47, v4
	v_mov_b32_e32 v15, 0
	s_delay_alu instid0(VALU_DEP_1) | instskip(NEXT) | instid1(VALU_DEP_1)
	v_lshlrev_b64 v[14:15], 2, v[14:15]
	v_add_co_u32 v14, vcc_lo, v11, v14
	s_delay_alu instid0(VALU_DEP_2)
	v_add_co_ci_u32_e32 v15, vcc_lo, v12, v15, vcc_lo
	global_store_b32 v[14:15], v48, off
	s_or_b32 exec_lo, exec_lo, s17
	s_and_saveexec_b32 s17, s5
	s_cbranch_execz .LBB812_208
.LBB812_267:
	v_sub_nc_u32_e32 v14, v5, v4
	v_mov_b32_e32 v15, 0
	s_delay_alu instid0(VALU_DEP_1) | instskip(NEXT) | instid1(VALU_DEP_1)
	v_lshlrev_b64 v[14:15], 2, v[14:15]
	v_add_co_u32 v14, vcc_lo, v11, v14
	s_delay_alu instid0(VALU_DEP_2)
	v_add_co_ci_u32_e32 v15, vcc_lo, v12, v15, vcc_lo
	global_store_b32 v[14:15], v6, off
	s_or_b32 exec_lo, exec_lo, s17
	s_and_saveexec_b32 s17, s4
	s_cbranch_execz .LBB812_209
.LBB812_268:
	v_sub_nc_u32_e32 v14, v7, v4
	v_mov_b32_e32 v15, 0
	s_delay_alu instid0(VALU_DEP_1) | instskip(NEXT) | instid1(VALU_DEP_1)
	v_lshlrev_b64 v[14:15], 2, v[14:15]
	v_add_co_u32 v14, vcc_lo, v11, v14
	s_delay_alu instid0(VALU_DEP_2)
	v_add_co_ci_u32_e32 v15, vcc_lo, v12, v15, vcc_lo
	global_store_b32 v[14:15], v8, off
	s_or_b32 exec_lo, exec_lo, s17
	s_and_saveexec_b32 s17, s3
	s_cbranch_execz .LBB812_210
.LBB812_269:
	v_sub_nc_u32_e32 v14, v37, v4
	v_mov_b32_e32 v15, 0
	s_delay_alu instid0(VALU_DEP_1) | instskip(NEXT) | instid1(VALU_DEP_1)
	v_lshlrev_b64 v[14:15], 2, v[14:15]
	v_add_co_u32 v14, vcc_lo, v11, v14
	s_delay_alu instid0(VALU_DEP_2)
	v_add_co_ci_u32_e32 v15, vcc_lo, v12, v15, vcc_lo
	global_store_b32 v[14:15], v38, off
	s_or_b32 exec_lo, exec_lo, s17
	s_and_saveexec_b32 s17, s2
	s_cbranch_execz .LBB812_211
.LBB812_270:
	v_sub_nc_u32_e32 v14, v61, v4
	v_mov_b32_e32 v15, 0
	s_delay_alu instid0(VALU_DEP_1) | instskip(NEXT) | instid1(VALU_DEP_1)
	v_lshlrev_b64 v[14:15], 2, v[14:15]
	v_add_co_u32 v14, vcc_lo, v11, v14
	s_delay_alu instid0(VALU_DEP_2)
	v_add_co_ci_u32_e32 v15, vcc_lo, v12, v15, vcc_lo
	global_store_b32 v[14:15], v62, off
	s_or_b32 exec_lo, exec_lo, s17
	s_and_saveexec_b32 s17, s1
	s_cbranch_execnz .LBB812_212
	s_branch .LBB812_213
.LBB812_271:
	v_sub_nc_u32_e32 v13, v53, v4
	s_delay_alu instid0(VALU_DEP_1)
	v_lshlrev_b32_e32 v13, 2, v13
	ds_store_b32 v13, v54
	s_or_b32 exec_lo, exec_lo, s17
	s_and_saveexec_b32 s14, s13
	s_cbranch_execz .LBB812_217
.LBB812_272:
	v_sub_nc_u32_e32 v13, v59, v4
	s_delay_alu instid0(VALU_DEP_1)
	v_lshlrev_b32_e32 v13, 2, v13
	ds_store_b32 v13, v60
	s_or_b32 exec_lo, exec_lo, s14
	s_and_saveexec_b32 s13, s12
	s_cbranch_execz .LBB812_218
.LBB812_273:
	v_sub_nc_u32_e32 v13, v55, v4
	s_delay_alu instid0(VALU_DEP_1)
	v_lshlrev_b32_e32 v13, 2, v13
	ds_store_b32 v13, v56
	s_or_b32 exec_lo, exec_lo, s13
	s_and_saveexec_b32 s12, s11
	s_cbranch_execz .LBB812_219
.LBB812_274:
	v_sub_nc_u32_e32 v13, v51, v4
	s_delay_alu instid0(VALU_DEP_1)
	v_lshlrev_b32_e32 v13, 2, v13
	ds_store_b32 v13, v52
	s_or_b32 exec_lo, exec_lo, s12
	s_and_saveexec_b32 s11, s10
	s_cbranch_execz .LBB812_220
.LBB812_275:
	v_sub_nc_u32_e32 v13, v45, v4
	s_delay_alu instid0(VALU_DEP_1)
	v_lshlrev_b32_e32 v13, 2, v13
	ds_store_b32 v13, v46
	s_or_b32 exec_lo, exec_lo, s11
	s_and_saveexec_b32 s10, s9
	s_cbranch_execz .LBB812_221
.LBB812_276:
	v_sub_nc_u32_e32 v13, v41, v4
	s_delay_alu instid0(VALU_DEP_1)
	v_lshlrev_b32_e32 v13, 2, v13
	ds_store_b32 v13, v42
	s_or_b32 exec_lo, exec_lo, s10
	s_and_saveexec_b32 s9, s8
	s_cbranch_execz .LBB812_222
.LBB812_277:
	v_sub_nc_u32_e32 v13, v39, v4
	s_delay_alu instid0(VALU_DEP_1)
	v_lshlrev_b32_e32 v13, 2, v13
	ds_store_b32 v13, v40
	s_or_b32 exec_lo, exec_lo, s9
	s_and_saveexec_b32 s8, s7
	s_cbranch_execz .LBB812_223
.LBB812_278:
	v_sub_nc_u32_e32 v13, v43, v4
	s_delay_alu instid0(VALU_DEP_1)
	v_lshlrev_b32_e32 v13, 2, v13
	ds_store_b32 v13, v44
	s_or_b32 exec_lo, exec_lo, s8
	s_and_saveexec_b32 s7, s6
	s_cbranch_execz .LBB812_224
.LBB812_279:
	v_sub_nc_u32_e32 v13, v47, v4
	s_delay_alu instid0(VALU_DEP_1)
	v_lshlrev_b32_e32 v13, 2, v13
	ds_store_b32 v13, v48
	s_or_b32 exec_lo, exec_lo, s7
	s_and_saveexec_b32 s6, s5
	s_cbranch_execz .LBB812_225
.LBB812_280:
	v_sub_nc_u32_e32 v5, v5, v4
	s_delay_alu instid0(VALU_DEP_1)
	v_lshlrev_b32_e32 v5, 2, v5
	ds_store_b32 v5, v6
	s_or_b32 exec_lo, exec_lo, s6
	s_and_saveexec_b32 s5, s4
	s_cbranch_execz .LBB812_226
.LBB812_281:
	v_sub_nc_u32_e32 v5, v7, v4
	s_delay_alu instid0(VALU_DEP_1)
	v_lshlrev_b32_e32 v5, 2, v5
	ds_store_b32 v5, v8
	s_or_b32 exec_lo, exec_lo, s5
	s_and_saveexec_b32 s4, s3
	s_cbranch_execz .LBB812_227
.LBB812_282:
	v_sub_nc_u32_e32 v5, v37, v4
	s_delay_alu instid0(VALU_DEP_1)
	v_lshlrev_b32_e32 v5, 2, v5
	ds_store_b32 v5, v38
	s_or_b32 exec_lo, exec_lo, s4
	s_and_saveexec_b32 s3, s2
	s_cbranch_execz .LBB812_228
.LBB812_283:
	v_sub_nc_u32_e32 v5, v61, v4
	s_delay_alu instid0(VALU_DEP_1)
	v_lshlrev_b32_e32 v5, 2, v5
	ds_store_b32 v5, v62
	s_or_b32 exec_lo, exec_lo, s3
	s_and_saveexec_b32 s2, s1
	s_cbranch_execnz .LBB812_229
	s_branch .LBB812_230
	.section	.rodata,"a",@progbits
	.p2align	6, 0x0
	.amdhsa_kernel _ZN7rocprim17ROCPRIM_400000_NS6detail17trampoline_kernelINS0_14default_configENS1_29reduce_by_key_config_selectorIijN6thrust23THRUST_200600_302600_NS4plusIjEEEEZZNS1_33reduce_by_key_impl_wrapped_configILNS1_25lookback_scan_determinismE0ES3_S9_NS6_6detail15normal_iteratorINS6_10device_ptrIiEEEENSD_INSE_IjEEEESG_SI_PmS8_NS6_8equal_toIiEEEE10hipError_tPvRmT2_T3_mT4_T5_T6_T7_T8_P12ihipStream_tbENKUlT_T0_E_clISt17integral_constantIbLb0EES13_EEDaSY_SZ_EUlSY_E_NS1_11comp_targetILNS1_3genE9ELNS1_11target_archE1100ELNS1_3gpuE3ELNS1_3repE0EEENS1_30default_config_static_selectorELNS0_4arch9wavefront6targetE0EEEvT1_
		.amdhsa_group_segment_fixed_size 15360
		.amdhsa_private_segment_fixed_size 0
		.amdhsa_kernarg_size 120
		.amdhsa_user_sgpr_count 15
		.amdhsa_user_sgpr_dispatch_ptr 0
		.amdhsa_user_sgpr_queue_ptr 0
		.amdhsa_user_sgpr_kernarg_segment_ptr 1
		.amdhsa_user_sgpr_dispatch_id 0
		.amdhsa_user_sgpr_private_segment_size 0
		.amdhsa_wavefront_size32 1
		.amdhsa_uses_dynamic_stack 0
		.amdhsa_enable_private_segment 0
		.amdhsa_system_sgpr_workgroup_id_x 1
		.amdhsa_system_sgpr_workgroup_id_y 0
		.amdhsa_system_sgpr_workgroup_id_z 0
		.amdhsa_system_sgpr_workgroup_info 0
		.amdhsa_system_vgpr_workitem_id 0
		.amdhsa_next_free_vgpr 87
		.amdhsa_next_free_sgpr 46
		.amdhsa_reserve_vcc 1
		.amdhsa_float_round_mode_32 0
		.amdhsa_float_round_mode_16_64 0
		.amdhsa_float_denorm_mode_32 3
		.amdhsa_float_denorm_mode_16_64 3
		.amdhsa_dx10_clamp 1
		.amdhsa_ieee_mode 1
		.amdhsa_fp16_overflow 0
		.amdhsa_workgroup_processor_mode 1
		.amdhsa_memory_ordered 1
		.amdhsa_forward_progress 0
		.amdhsa_shared_vgpr_count 0
		.amdhsa_exception_fp_ieee_invalid_op 0
		.amdhsa_exception_fp_denorm_src 0
		.amdhsa_exception_fp_ieee_div_zero 0
		.amdhsa_exception_fp_ieee_overflow 0
		.amdhsa_exception_fp_ieee_underflow 0
		.amdhsa_exception_fp_ieee_inexact 0
		.amdhsa_exception_int_div_zero 0
	.end_amdhsa_kernel
	.section	.text._ZN7rocprim17ROCPRIM_400000_NS6detail17trampoline_kernelINS0_14default_configENS1_29reduce_by_key_config_selectorIijN6thrust23THRUST_200600_302600_NS4plusIjEEEEZZNS1_33reduce_by_key_impl_wrapped_configILNS1_25lookback_scan_determinismE0ES3_S9_NS6_6detail15normal_iteratorINS6_10device_ptrIiEEEENSD_INSE_IjEEEESG_SI_PmS8_NS6_8equal_toIiEEEE10hipError_tPvRmT2_T3_mT4_T5_T6_T7_T8_P12ihipStream_tbENKUlT_T0_E_clISt17integral_constantIbLb0EES13_EEDaSY_SZ_EUlSY_E_NS1_11comp_targetILNS1_3genE9ELNS1_11target_archE1100ELNS1_3gpuE3ELNS1_3repE0EEENS1_30default_config_static_selectorELNS0_4arch9wavefront6targetE0EEEvT1_,"axG",@progbits,_ZN7rocprim17ROCPRIM_400000_NS6detail17trampoline_kernelINS0_14default_configENS1_29reduce_by_key_config_selectorIijN6thrust23THRUST_200600_302600_NS4plusIjEEEEZZNS1_33reduce_by_key_impl_wrapped_configILNS1_25lookback_scan_determinismE0ES3_S9_NS6_6detail15normal_iteratorINS6_10device_ptrIiEEEENSD_INSE_IjEEEESG_SI_PmS8_NS6_8equal_toIiEEEE10hipError_tPvRmT2_T3_mT4_T5_T6_T7_T8_P12ihipStream_tbENKUlT_T0_E_clISt17integral_constantIbLb0EES13_EEDaSY_SZ_EUlSY_E_NS1_11comp_targetILNS1_3genE9ELNS1_11target_archE1100ELNS1_3gpuE3ELNS1_3repE0EEENS1_30default_config_static_selectorELNS0_4arch9wavefront6targetE0EEEvT1_,comdat
.Lfunc_end812:
	.size	_ZN7rocprim17ROCPRIM_400000_NS6detail17trampoline_kernelINS0_14default_configENS1_29reduce_by_key_config_selectorIijN6thrust23THRUST_200600_302600_NS4plusIjEEEEZZNS1_33reduce_by_key_impl_wrapped_configILNS1_25lookback_scan_determinismE0ES3_S9_NS6_6detail15normal_iteratorINS6_10device_ptrIiEEEENSD_INSE_IjEEEESG_SI_PmS8_NS6_8equal_toIiEEEE10hipError_tPvRmT2_T3_mT4_T5_T6_T7_T8_P12ihipStream_tbENKUlT_T0_E_clISt17integral_constantIbLb0EES13_EEDaSY_SZ_EUlSY_E_NS1_11comp_targetILNS1_3genE9ELNS1_11target_archE1100ELNS1_3gpuE3ELNS1_3repE0EEENS1_30default_config_static_selectorELNS0_4arch9wavefront6targetE0EEEvT1_, .Lfunc_end812-_ZN7rocprim17ROCPRIM_400000_NS6detail17trampoline_kernelINS0_14default_configENS1_29reduce_by_key_config_selectorIijN6thrust23THRUST_200600_302600_NS4plusIjEEEEZZNS1_33reduce_by_key_impl_wrapped_configILNS1_25lookback_scan_determinismE0ES3_S9_NS6_6detail15normal_iteratorINS6_10device_ptrIiEEEENSD_INSE_IjEEEESG_SI_PmS8_NS6_8equal_toIiEEEE10hipError_tPvRmT2_T3_mT4_T5_T6_T7_T8_P12ihipStream_tbENKUlT_T0_E_clISt17integral_constantIbLb0EES13_EEDaSY_SZ_EUlSY_E_NS1_11comp_targetILNS1_3genE9ELNS1_11target_archE1100ELNS1_3gpuE3ELNS1_3repE0EEENS1_30default_config_static_selectorELNS0_4arch9wavefront6targetE0EEEvT1_
                                        ; -- End function
	.section	.AMDGPU.csdata,"",@progbits
; Kernel info:
; codeLenInByte = 17124
; NumSgprs: 48
; NumVgprs: 87
; ScratchSize: 0
; MemoryBound: 0
; FloatMode: 240
; IeeeMode: 1
; LDSByteSize: 15360 bytes/workgroup (compile time only)
; SGPRBlocks: 5
; VGPRBlocks: 10
; NumSGPRsForWavesPerEU: 48
; NumVGPRsForWavesPerEU: 87
; Occupancy: 16
; WaveLimiterHint : 1
; COMPUTE_PGM_RSRC2:SCRATCH_EN: 0
; COMPUTE_PGM_RSRC2:USER_SGPR: 15
; COMPUTE_PGM_RSRC2:TRAP_HANDLER: 0
; COMPUTE_PGM_RSRC2:TGID_X_EN: 1
; COMPUTE_PGM_RSRC2:TGID_Y_EN: 0
; COMPUTE_PGM_RSRC2:TGID_Z_EN: 0
; COMPUTE_PGM_RSRC2:TIDIG_COMP_CNT: 0
	.section	.text._ZN7rocprim17ROCPRIM_400000_NS6detail17trampoline_kernelINS0_14default_configENS1_29reduce_by_key_config_selectorIijN6thrust23THRUST_200600_302600_NS4plusIjEEEEZZNS1_33reduce_by_key_impl_wrapped_configILNS1_25lookback_scan_determinismE0ES3_S9_NS6_6detail15normal_iteratorINS6_10device_ptrIiEEEENSD_INSE_IjEEEESG_SI_PmS8_NS6_8equal_toIiEEEE10hipError_tPvRmT2_T3_mT4_T5_T6_T7_T8_P12ihipStream_tbENKUlT_T0_E_clISt17integral_constantIbLb0EES13_EEDaSY_SZ_EUlSY_E_NS1_11comp_targetILNS1_3genE8ELNS1_11target_archE1030ELNS1_3gpuE2ELNS1_3repE0EEENS1_30default_config_static_selectorELNS0_4arch9wavefront6targetE0EEEvT1_,"axG",@progbits,_ZN7rocprim17ROCPRIM_400000_NS6detail17trampoline_kernelINS0_14default_configENS1_29reduce_by_key_config_selectorIijN6thrust23THRUST_200600_302600_NS4plusIjEEEEZZNS1_33reduce_by_key_impl_wrapped_configILNS1_25lookback_scan_determinismE0ES3_S9_NS6_6detail15normal_iteratorINS6_10device_ptrIiEEEENSD_INSE_IjEEEESG_SI_PmS8_NS6_8equal_toIiEEEE10hipError_tPvRmT2_T3_mT4_T5_T6_T7_T8_P12ihipStream_tbENKUlT_T0_E_clISt17integral_constantIbLb0EES13_EEDaSY_SZ_EUlSY_E_NS1_11comp_targetILNS1_3genE8ELNS1_11target_archE1030ELNS1_3gpuE2ELNS1_3repE0EEENS1_30default_config_static_selectorELNS0_4arch9wavefront6targetE0EEEvT1_,comdat
	.protected	_ZN7rocprim17ROCPRIM_400000_NS6detail17trampoline_kernelINS0_14default_configENS1_29reduce_by_key_config_selectorIijN6thrust23THRUST_200600_302600_NS4plusIjEEEEZZNS1_33reduce_by_key_impl_wrapped_configILNS1_25lookback_scan_determinismE0ES3_S9_NS6_6detail15normal_iteratorINS6_10device_ptrIiEEEENSD_INSE_IjEEEESG_SI_PmS8_NS6_8equal_toIiEEEE10hipError_tPvRmT2_T3_mT4_T5_T6_T7_T8_P12ihipStream_tbENKUlT_T0_E_clISt17integral_constantIbLb0EES13_EEDaSY_SZ_EUlSY_E_NS1_11comp_targetILNS1_3genE8ELNS1_11target_archE1030ELNS1_3gpuE2ELNS1_3repE0EEENS1_30default_config_static_selectorELNS0_4arch9wavefront6targetE0EEEvT1_ ; -- Begin function _ZN7rocprim17ROCPRIM_400000_NS6detail17trampoline_kernelINS0_14default_configENS1_29reduce_by_key_config_selectorIijN6thrust23THRUST_200600_302600_NS4plusIjEEEEZZNS1_33reduce_by_key_impl_wrapped_configILNS1_25lookback_scan_determinismE0ES3_S9_NS6_6detail15normal_iteratorINS6_10device_ptrIiEEEENSD_INSE_IjEEEESG_SI_PmS8_NS6_8equal_toIiEEEE10hipError_tPvRmT2_T3_mT4_T5_T6_T7_T8_P12ihipStream_tbENKUlT_T0_E_clISt17integral_constantIbLb0EES13_EEDaSY_SZ_EUlSY_E_NS1_11comp_targetILNS1_3genE8ELNS1_11target_archE1030ELNS1_3gpuE2ELNS1_3repE0EEENS1_30default_config_static_selectorELNS0_4arch9wavefront6targetE0EEEvT1_
	.globl	_ZN7rocprim17ROCPRIM_400000_NS6detail17trampoline_kernelINS0_14default_configENS1_29reduce_by_key_config_selectorIijN6thrust23THRUST_200600_302600_NS4plusIjEEEEZZNS1_33reduce_by_key_impl_wrapped_configILNS1_25lookback_scan_determinismE0ES3_S9_NS6_6detail15normal_iteratorINS6_10device_ptrIiEEEENSD_INSE_IjEEEESG_SI_PmS8_NS6_8equal_toIiEEEE10hipError_tPvRmT2_T3_mT4_T5_T6_T7_T8_P12ihipStream_tbENKUlT_T0_E_clISt17integral_constantIbLb0EES13_EEDaSY_SZ_EUlSY_E_NS1_11comp_targetILNS1_3genE8ELNS1_11target_archE1030ELNS1_3gpuE2ELNS1_3repE0EEENS1_30default_config_static_selectorELNS0_4arch9wavefront6targetE0EEEvT1_
	.p2align	8
	.type	_ZN7rocprim17ROCPRIM_400000_NS6detail17trampoline_kernelINS0_14default_configENS1_29reduce_by_key_config_selectorIijN6thrust23THRUST_200600_302600_NS4plusIjEEEEZZNS1_33reduce_by_key_impl_wrapped_configILNS1_25lookback_scan_determinismE0ES3_S9_NS6_6detail15normal_iteratorINS6_10device_ptrIiEEEENSD_INSE_IjEEEESG_SI_PmS8_NS6_8equal_toIiEEEE10hipError_tPvRmT2_T3_mT4_T5_T6_T7_T8_P12ihipStream_tbENKUlT_T0_E_clISt17integral_constantIbLb0EES13_EEDaSY_SZ_EUlSY_E_NS1_11comp_targetILNS1_3genE8ELNS1_11target_archE1030ELNS1_3gpuE2ELNS1_3repE0EEENS1_30default_config_static_selectorELNS0_4arch9wavefront6targetE0EEEvT1_,@function
_ZN7rocprim17ROCPRIM_400000_NS6detail17trampoline_kernelINS0_14default_configENS1_29reduce_by_key_config_selectorIijN6thrust23THRUST_200600_302600_NS4plusIjEEEEZZNS1_33reduce_by_key_impl_wrapped_configILNS1_25lookback_scan_determinismE0ES3_S9_NS6_6detail15normal_iteratorINS6_10device_ptrIiEEEENSD_INSE_IjEEEESG_SI_PmS8_NS6_8equal_toIiEEEE10hipError_tPvRmT2_T3_mT4_T5_T6_T7_T8_P12ihipStream_tbENKUlT_T0_E_clISt17integral_constantIbLb0EES13_EEDaSY_SZ_EUlSY_E_NS1_11comp_targetILNS1_3genE8ELNS1_11target_archE1030ELNS1_3gpuE2ELNS1_3repE0EEENS1_30default_config_static_selectorELNS0_4arch9wavefront6targetE0EEEvT1_: ; @_ZN7rocprim17ROCPRIM_400000_NS6detail17trampoline_kernelINS0_14default_configENS1_29reduce_by_key_config_selectorIijN6thrust23THRUST_200600_302600_NS4plusIjEEEEZZNS1_33reduce_by_key_impl_wrapped_configILNS1_25lookback_scan_determinismE0ES3_S9_NS6_6detail15normal_iteratorINS6_10device_ptrIiEEEENSD_INSE_IjEEEESG_SI_PmS8_NS6_8equal_toIiEEEE10hipError_tPvRmT2_T3_mT4_T5_T6_T7_T8_P12ihipStream_tbENKUlT_T0_E_clISt17integral_constantIbLb0EES13_EEDaSY_SZ_EUlSY_E_NS1_11comp_targetILNS1_3genE8ELNS1_11target_archE1030ELNS1_3gpuE2ELNS1_3repE0EEENS1_30default_config_static_selectorELNS0_4arch9wavefront6targetE0EEEvT1_
; %bb.0:
	.section	.rodata,"a",@progbits
	.p2align	6, 0x0
	.amdhsa_kernel _ZN7rocprim17ROCPRIM_400000_NS6detail17trampoline_kernelINS0_14default_configENS1_29reduce_by_key_config_selectorIijN6thrust23THRUST_200600_302600_NS4plusIjEEEEZZNS1_33reduce_by_key_impl_wrapped_configILNS1_25lookback_scan_determinismE0ES3_S9_NS6_6detail15normal_iteratorINS6_10device_ptrIiEEEENSD_INSE_IjEEEESG_SI_PmS8_NS6_8equal_toIiEEEE10hipError_tPvRmT2_T3_mT4_T5_T6_T7_T8_P12ihipStream_tbENKUlT_T0_E_clISt17integral_constantIbLb0EES13_EEDaSY_SZ_EUlSY_E_NS1_11comp_targetILNS1_3genE8ELNS1_11target_archE1030ELNS1_3gpuE2ELNS1_3repE0EEENS1_30default_config_static_selectorELNS0_4arch9wavefront6targetE0EEEvT1_
		.amdhsa_group_segment_fixed_size 0
		.amdhsa_private_segment_fixed_size 0
		.amdhsa_kernarg_size 120
		.amdhsa_user_sgpr_count 15
		.amdhsa_user_sgpr_dispatch_ptr 0
		.amdhsa_user_sgpr_queue_ptr 0
		.amdhsa_user_sgpr_kernarg_segment_ptr 1
		.amdhsa_user_sgpr_dispatch_id 0
		.amdhsa_user_sgpr_private_segment_size 0
		.amdhsa_wavefront_size32 1
		.amdhsa_uses_dynamic_stack 0
		.amdhsa_enable_private_segment 0
		.amdhsa_system_sgpr_workgroup_id_x 1
		.amdhsa_system_sgpr_workgroup_id_y 0
		.amdhsa_system_sgpr_workgroup_id_z 0
		.amdhsa_system_sgpr_workgroup_info 0
		.amdhsa_system_vgpr_workitem_id 0
		.amdhsa_next_free_vgpr 1
		.amdhsa_next_free_sgpr 1
		.amdhsa_reserve_vcc 0
		.amdhsa_float_round_mode_32 0
		.amdhsa_float_round_mode_16_64 0
		.amdhsa_float_denorm_mode_32 3
		.amdhsa_float_denorm_mode_16_64 3
		.amdhsa_dx10_clamp 1
		.amdhsa_ieee_mode 1
		.amdhsa_fp16_overflow 0
		.amdhsa_workgroup_processor_mode 1
		.amdhsa_memory_ordered 1
		.amdhsa_forward_progress 0
		.amdhsa_shared_vgpr_count 0
		.amdhsa_exception_fp_ieee_invalid_op 0
		.amdhsa_exception_fp_denorm_src 0
		.amdhsa_exception_fp_ieee_div_zero 0
		.amdhsa_exception_fp_ieee_overflow 0
		.amdhsa_exception_fp_ieee_underflow 0
		.amdhsa_exception_fp_ieee_inexact 0
		.amdhsa_exception_int_div_zero 0
	.end_amdhsa_kernel
	.section	.text._ZN7rocprim17ROCPRIM_400000_NS6detail17trampoline_kernelINS0_14default_configENS1_29reduce_by_key_config_selectorIijN6thrust23THRUST_200600_302600_NS4plusIjEEEEZZNS1_33reduce_by_key_impl_wrapped_configILNS1_25lookback_scan_determinismE0ES3_S9_NS6_6detail15normal_iteratorINS6_10device_ptrIiEEEENSD_INSE_IjEEEESG_SI_PmS8_NS6_8equal_toIiEEEE10hipError_tPvRmT2_T3_mT4_T5_T6_T7_T8_P12ihipStream_tbENKUlT_T0_E_clISt17integral_constantIbLb0EES13_EEDaSY_SZ_EUlSY_E_NS1_11comp_targetILNS1_3genE8ELNS1_11target_archE1030ELNS1_3gpuE2ELNS1_3repE0EEENS1_30default_config_static_selectorELNS0_4arch9wavefront6targetE0EEEvT1_,"axG",@progbits,_ZN7rocprim17ROCPRIM_400000_NS6detail17trampoline_kernelINS0_14default_configENS1_29reduce_by_key_config_selectorIijN6thrust23THRUST_200600_302600_NS4plusIjEEEEZZNS1_33reduce_by_key_impl_wrapped_configILNS1_25lookback_scan_determinismE0ES3_S9_NS6_6detail15normal_iteratorINS6_10device_ptrIiEEEENSD_INSE_IjEEEESG_SI_PmS8_NS6_8equal_toIiEEEE10hipError_tPvRmT2_T3_mT4_T5_T6_T7_T8_P12ihipStream_tbENKUlT_T0_E_clISt17integral_constantIbLb0EES13_EEDaSY_SZ_EUlSY_E_NS1_11comp_targetILNS1_3genE8ELNS1_11target_archE1030ELNS1_3gpuE2ELNS1_3repE0EEENS1_30default_config_static_selectorELNS0_4arch9wavefront6targetE0EEEvT1_,comdat
.Lfunc_end813:
	.size	_ZN7rocprim17ROCPRIM_400000_NS6detail17trampoline_kernelINS0_14default_configENS1_29reduce_by_key_config_selectorIijN6thrust23THRUST_200600_302600_NS4plusIjEEEEZZNS1_33reduce_by_key_impl_wrapped_configILNS1_25lookback_scan_determinismE0ES3_S9_NS6_6detail15normal_iteratorINS6_10device_ptrIiEEEENSD_INSE_IjEEEESG_SI_PmS8_NS6_8equal_toIiEEEE10hipError_tPvRmT2_T3_mT4_T5_T6_T7_T8_P12ihipStream_tbENKUlT_T0_E_clISt17integral_constantIbLb0EES13_EEDaSY_SZ_EUlSY_E_NS1_11comp_targetILNS1_3genE8ELNS1_11target_archE1030ELNS1_3gpuE2ELNS1_3repE0EEENS1_30default_config_static_selectorELNS0_4arch9wavefront6targetE0EEEvT1_, .Lfunc_end813-_ZN7rocprim17ROCPRIM_400000_NS6detail17trampoline_kernelINS0_14default_configENS1_29reduce_by_key_config_selectorIijN6thrust23THRUST_200600_302600_NS4plusIjEEEEZZNS1_33reduce_by_key_impl_wrapped_configILNS1_25lookback_scan_determinismE0ES3_S9_NS6_6detail15normal_iteratorINS6_10device_ptrIiEEEENSD_INSE_IjEEEESG_SI_PmS8_NS6_8equal_toIiEEEE10hipError_tPvRmT2_T3_mT4_T5_T6_T7_T8_P12ihipStream_tbENKUlT_T0_E_clISt17integral_constantIbLb0EES13_EEDaSY_SZ_EUlSY_E_NS1_11comp_targetILNS1_3genE8ELNS1_11target_archE1030ELNS1_3gpuE2ELNS1_3repE0EEENS1_30default_config_static_selectorELNS0_4arch9wavefront6targetE0EEEvT1_
                                        ; -- End function
	.section	.AMDGPU.csdata,"",@progbits
; Kernel info:
; codeLenInByte = 0
; NumSgprs: 0
; NumVgprs: 0
; ScratchSize: 0
; MemoryBound: 0
; FloatMode: 240
; IeeeMode: 1
; LDSByteSize: 0 bytes/workgroup (compile time only)
; SGPRBlocks: 0
; VGPRBlocks: 0
; NumSGPRsForWavesPerEU: 1
; NumVGPRsForWavesPerEU: 1
; Occupancy: 16
; WaveLimiterHint : 0
; COMPUTE_PGM_RSRC2:SCRATCH_EN: 0
; COMPUTE_PGM_RSRC2:USER_SGPR: 15
; COMPUTE_PGM_RSRC2:TRAP_HANDLER: 0
; COMPUTE_PGM_RSRC2:TGID_X_EN: 1
; COMPUTE_PGM_RSRC2:TGID_Y_EN: 0
; COMPUTE_PGM_RSRC2:TGID_Z_EN: 0
; COMPUTE_PGM_RSRC2:TIDIG_COMP_CNT: 0
	.section	.text._ZN7rocprim17ROCPRIM_400000_NS6detail17trampoline_kernelINS0_14default_configENS1_29reduce_by_key_config_selectorIijN6thrust23THRUST_200600_302600_NS4plusIjEEEEZZNS1_33reduce_by_key_impl_wrapped_configILNS1_25lookback_scan_determinismE0ES3_S9_NS6_6detail15normal_iteratorINS6_10device_ptrIiEEEENSD_INSE_IjEEEESG_SI_PmS8_NS6_8equal_toIiEEEE10hipError_tPvRmT2_T3_mT4_T5_T6_T7_T8_P12ihipStream_tbENKUlT_T0_E_clISt17integral_constantIbLb1EES13_EEDaSY_SZ_EUlSY_E_NS1_11comp_targetILNS1_3genE0ELNS1_11target_archE4294967295ELNS1_3gpuE0ELNS1_3repE0EEENS1_30default_config_static_selectorELNS0_4arch9wavefront6targetE0EEEvT1_,"axG",@progbits,_ZN7rocprim17ROCPRIM_400000_NS6detail17trampoline_kernelINS0_14default_configENS1_29reduce_by_key_config_selectorIijN6thrust23THRUST_200600_302600_NS4plusIjEEEEZZNS1_33reduce_by_key_impl_wrapped_configILNS1_25lookback_scan_determinismE0ES3_S9_NS6_6detail15normal_iteratorINS6_10device_ptrIiEEEENSD_INSE_IjEEEESG_SI_PmS8_NS6_8equal_toIiEEEE10hipError_tPvRmT2_T3_mT4_T5_T6_T7_T8_P12ihipStream_tbENKUlT_T0_E_clISt17integral_constantIbLb1EES13_EEDaSY_SZ_EUlSY_E_NS1_11comp_targetILNS1_3genE0ELNS1_11target_archE4294967295ELNS1_3gpuE0ELNS1_3repE0EEENS1_30default_config_static_selectorELNS0_4arch9wavefront6targetE0EEEvT1_,comdat
	.protected	_ZN7rocprim17ROCPRIM_400000_NS6detail17trampoline_kernelINS0_14default_configENS1_29reduce_by_key_config_selectorIijN6thrust23THRUST_200600_302600_NS4plusIjEEEEZZNS1_33reduce_by_key_impl_wrapped_configILNS1_25lookback_scan_determinismE0ES3_S9_NS6_6detail15normal_iteratorINS6_10device_ptrIiEEEENSD_INSE_IjEEEESG_SI_PmS8_NS6_8equal_toIiEEEE10hipError_tPvRmT2_T3_mT4_T5_T6_T7_T8_P12ihipStream_tbENKUlT_T0_E_clISt17integral_constantIbLb1EES13_EEDaSY_SZ_EUlSY_E_NS1_11comp_targetILNS1_3genE0ELNS1_11target_archE4294967295ELNS1_3gpuE0ELNS1_3repE0EEENS1_30default_config_static_selectorELNS0_4arch9wavefront6targetE0EEEvT1_ ; -- Begin function _ZN7rocprim17ROCPRIM_400000_NS6detail17trampoline_kernelINS0_14default_configENS1_29reduce_by_key_config_selectorIijN6thrust23THRUST_200600_302600_NS4plusIjEEEEZZNS1_33reduce_by_key_impl_wrapped_configILNS1_25lookback_scan_determinismE0ES3_S9_NS6_6detail15normal_iteratorINS6_10device_ptrIiEEEENSD_INSE_IjEEEESG_SI_PmS8_NS6_8equal_toIiEEEE10hipError_tPvRmT2_T3_mT4_T5_T6_T7_T8_P12ihipStream_tbENKUlT_T0_E_clISt17integral_constantIbLb1EES13_EEDaSY_SZ_EUlSY_E_NS1_11comp_targetILNS1_3genE0ELNS1_11target_archE4294967295ELNS1_3gpuE0ELNS1_3repE0EEENS1_30default_config_static_selectorELNS0_4arch9wavefront6targetE0EEEvT1_
	.globl	_ZN7rocprim17ROCPRIM_400000_NS6detail17trampoline_kernelINS0_14default_configENS1_29reduce_by_key_config_selectorIijN6thrust23THRUST_200600_302600_NS4plusIjEEEEZZNS1_33reduce_by_key_impl_wrapped_configILNS1_25lookback_scan_determinismE0ES3_S9_NS6_6detail15normal_iteratorINS6_10device_ptrIiEEEENSD_INSE_IjEEEESG_SI_PmS8_NS6_8equal_toIiEEEE10hipError_tPvRmT2_T3_mT4_T5_T6_T7_T8_P12ihipStream_tbENKUlT_T0_E_clISt17integral_constantIbLb1EES13_EEDaSY_SZ_EUlSY_E_NS1_11comp_targetILNS1_3genE0ELNS1_11target_archE4294967295ELNS1_3gpuE0ELNS1_3repE0EEENS1_30default_config_static_selectorELNS0_4arch9wavefront6targetE0EEEvT1_
	.p2align	8
	.type	_ZN7rocprim17ROCPRIM_400000_NS6detail17trampoline_kernelINS0_14default_configENS1_29reduce_by_key_config_selectorIijN6thrust23THRUST_200600_302600_NS4plusIjEEEEZZNS1_33reduce_by_key_impl_wrapped_configILNS1_25lookback_scan_determinismE0ES3_S9_NS6_6detail15normal_iteratorINS6_10device_ptrIiEEEENSD_INSE_IjEEEESG_SI_PmS8_NS6_8equal_toIiEEEE10hipError_tPvRmT2_T3_mT4_T5_T6_T7_T8_P12ihipStream_tbENKUlT_T0_E_clISt17integral_constantIbLb1EES13_EEDaSY_SZ_EUlSY_E_NS1_11comp_targetILNS1_3genE0ELNS1_11target_archE4294967295ELNS1_3gpuE0ELNS1_3repE0EEENS1_30default_config_static_selectorELNS0_4arch9wavefront6targetE0EEEvT1_,@function
_ZN7rocprim17ROCPRIM_400000_NS6detail17trampoline_kernelINS0_14default_configENS1_29reduce_by_key_config_selectorIijN6thrust23THRUST_200600_302600_NS4plusIjEEEEZZNS1_33reduce_by_key_impl_wrapped_configILNS1_25lookback_scan_determinismE0ES3_S9_NS6_6detail15normal_iteratorINS6_10device_ptrIiEEEENSD_INSE_IjEEEESG_SI_PmS8_NS6_8equal_toIiEEEE10hipError_tPvRmT2_T3_mT4_T5_T6_T7_T8_P12ihipStream_tbENKUlT_T0_E_clISt17integral_constantIbLb1EES13_EEDaSY_SZ_EUlSY_E_NS1_11comp_targetILNS1_3genE0ELNS1_11target_archE4294967295ELNS1_3gpuE0ELNS1_3repE0EEENS1_30default_config_static_selectorELNS0_4arch9wavefront6targetE0EEEvT1_: ; @_ZN7rocprim17ROCPRIM_400000_NS6detail17trampoline_kernelINS0_14default_configENS1_29reduce_by_key_config_selectorIijN6thrust23THRUST_200600_302600_NS4plusIjEEEEZZNS1_33reduce_by_key_impl_wrapped_configILNS1_25lookback_scan_determinismE0ES3_S9_NS6_6detail15normal_iteratorINS6_10device_ptrIiEEEENSD_INSE_IjEEEESG_SI_PmS8_NS6_8equal_toIiEEEE10hipError_tPvRmT2_T3_mT4_T5_T6_T7_T8_P12ihipStream_tbENKUlT_T0_E_clISt17integral_constantIbLb1EES13_EEDaSY_SZ_EUlSY_E_NS1_11comp_targetILNS1_3genE0ELNS1_11target_archE4294967295ELNS1_3gpuE0ELNS1_3repE0EEENS1_30default_config_static_selectorELNS0_4arch9wavefront6targetE0EEEvT1_
; %bb.0:
	.section	.rodata,"a",@progbits
	.p2align	6, 0x0
	.amdhsa_kernel _ZN7rocprim17ROCPRIM_400000_NS6detail17trampoline_kernelINS0_14default_configENS1_29reduce_by_key_config_selectorIijN6thrust23THRUST_200600_302600_NS4plusIjEEEEZZNS1_33reduce_by_key_impl_wrapped_configILNS1_25lookback_scan_determinismE0ES3_S9_NS6_6detail15normal_iteratorINS6_10device_ptrIiEEEENSD_INSE_IjEEEESG_SI_PmS8_NS6_8equal_toIiEEEE10hipError_tPvRmT2_T3_mT4_T5_T6_T7_T8_P12ihipStream_tbENKUlT_T0_E_clISt17integral_constantIbLb1EES13_EEDaSY_SZ_EUlSY_E_NS1_11comp_targetILNS1_3genE0ELNS1_11target_archE4294967295ELNS1_3gpuE0ELNS1_3repE0EEENS1_30default_config_static_selectorELNS0_4arch9wavefront6targetE0EEEvT1_
		.amdhsa_group_segment_fixed_size 0
		.amdhsa_private_segment_fixed_size 0
		.amdhsa_kernarg_size 120
		.amdhsa_user_sgpr_count 15
		.amdhsa_user_sgpr_dispatch_ptr 0
		.amdhsa_user_sgpr_queue_ptr 0
		.amdhsa_user_sgpr_kernarg_segment_ptr 1
		.amdhsa_user_sgpr_dispatch_id 0
		.amdhsa_user_sgpr_private_segment_size 0
		.amdhsa_wavefront_size32 1
		.amdhsa_uses_dynamic_stack 0
		.amdhsa_enable_private_segment 0
		.amdhsa_system_sgpr_workgroup_id_x 1
		.amdhsa_system_sgpr_workgroup_id_y 0
		.amdhsa_system_sgpr_workgroup_id_z 0
		.amdhsa_system_sgpr_workgroup_info 0
		.amdhsa_system_vgpr_workitem_id 0
		.amdhsa_next_free_vgpr 1
		.amdhsa_next_free_sgpr 1
		.amdhsa_reserve_vcc 0
		.amdhsa_float_round_mode_32 0
		.amdhsa_float_round_mode_16_64 0
		.amdhsa_float_denorm_mode_32 3
		.amdhsa_float_denorm_mode_16_64 3
		.amdhsa_dx10_clamp 1
		.amdhsa_ieee_mode 1
		.amdhsa_fp16_overflow 0
		.amdhsa_workgroup_processor_mode 1
		.amdhsa_memory_ordered 1
		.amdhsa_forward_progress 0
		.amdhsa_shared_vgpr_count 0
		.amdhsa_exception_fp_ieee_invalid_op 0
		.amdhsa_exception_fp_denorm_src 0
		.amdhsa_exception_fp_ieee_div_zero 0
		.amdhsa_exception_fp_ieee_overflow 0
		.amdhsa_exception_fp_ieee_underflow 0
		.amdhsa_exception_fp_ieee_inexact 0
		.amdhsa_exception_int_div_zero 0
	.end_amdhsa_kernel
	.section	.text._ZN7rocprim17ROCPRIM_400000_NS6detail17trampoline_kernelINS0_14default_configENS1_29reduce_by_key_config_selectorIijN6thrust23THRUST_200600_302600_NS4plusIjEEEEZZNS1_33reduce_by_key_impl_wrapped_configILNS1_25lookback_scan_determinismE0ES3_S9_NS6_6detail15normal_iteratorINS6_10device_ptrIiEEEENSD_INSE_IjEEEESG_SI_PmS8_NS6_8equal_toIiEEEE10hipError_tPvRmT2_T3_mT4_T5_T6_T7_T8_P12ihipStream_tbENKUlT_T0_E_clISt17integral_constantIbLb1EES13_EEDaSY_SZ_EUlSY_E_NS1_11comp_targetILNS1_3genE0ELNS1_11target_archE4294967295ELNS1_3gpuE0ELNS1_3repE0EEENS1_30default_config_static_selectorELNS0_4arch9wavefront6targetE0EEEvT1_,"axG",@progbits,_ZN7rocprim17ROCPRIM_400000_NS6detail17trampoline_kernelINS0_14default_configENS1_29reduce_by_key_config_selectorIijN6thrust23THRUST_200600_302600_NS4plusIjEEEEZZNS1_33reduce_by_key_impl_wrapped_configILNS1_25lookback_scan_determinismE0ES3_S9_NS6_6detail15normal_iteratorINS6_10device_ptrIiEEEENSD_INSE_IjEEEESG_SI_PmS8_NS6_8equal_toIiEEEE10hipError_tPvRmT2_T3_mT4_T5_T6_T7_T8_P12ihipStream_tbENKUlT_T0_E_clISt17integral_constantIbLb1EES13_EEDaSY_SZ_EUlSY_E_NS1_11comp_targetILNS1_3genE0ELNS1_11target_archE4294967295ELNS1_3gpuE0ELNS1_3repE0EEENS1_30default_config_static_selectorELNS0_4arch9wavefront6targetE0EEEvT1_,comdat
.Lfunc_end814:
	.size	_ZN7rocprim17ROCPRIM_400000_NS6detail17trampoline_kernelINS0_14default_configENS1_29reduce_by_key_config_selectorIijN6thrust23THRUST_200600_302600_NS4plusIjEEEEZZNS1_33reduce_by_key_impl_wrapped_configILNS1_25lookback_scan_determinismE0ES3_S9_NS6_6detail15normal_iteratorINS6_10device_ptrIiEEEENSD_INSE_IjEEEESG_SI_PmS8_NS6_8equal_toIiEEEE10hipError_tPvRmT2_T3_mT4_T5_T6_T7_T8_P12ihipStream_tbENKUlT_T0_E_clISt17integral_constantIbLb1EES13_EEDaSY_SZ_EUlSY_E_NS1_11comp_targetILNS1_3genE0ELNS1_11target_archE4294967295ELNS1_3gpuE0ELNS1_3repE0EEENS1_30default_config_static_selectorELNS0_4arch9wavefront6targetE0EEEvT1_, .Lfunc_end814-_ZN7rocprim17ROCPRIM_400000_NS6detail17trampoline_kernelINS0_14default_configENS1_29reduce_by_key_config_selectorIijN6thrust23THRUST_200600_302600_NS4plusIjEEEEZZNS1_33reduce_by_key_impl_wrapped_configILNS1_25lookback_scan_determinismE0ES3_S9_NS6_6detail15normal_iteratorINS6_10device_ptrIiEEEENSD_INSE_IjEEEESG_SI_PmS8_NS6_8equal_toIiEEEE10hipError_tPvRmT2_T3_mT4_T5_T6_T7_T8_P12ihipStream_tbENKUlT_T0_E_clISt17integral_constantIbLb1EES13_EEDaSY_SZ_EUlSY_E_NS1_11comp_targetILNS1_3genE0ELNS1_11target_archE4294967295ELNS1_3gpuE0ELNS1_3repE0EEENS1_30default_config_static_selectorELNS0_4arch9wavefront6targetE0EEEvT1_
                                        ; -- End function
	.section	.AMDGPU.csdata,"",@progbits
; Kernel info:
; codeLenInByte = 0
; NumSgprs: 0
; NumVgprs: 0
; ScratchSize: 0
; MemoryBound: 0
; FloatMode: 240
; IeeeMode: 1
; LDSByteSize: 0 bytes/workgroup (compile time only)
; SGPRBlocks: 0
; VGPRBlocks: 0
; NumSGPRsForWavesPerEU: 1
; NumVGPRsForWavesPerEU: 1
; Occupancy: 16
; WaveLimiterHint : 0
; COMPUTE_PGM_RSRC2:SCRATCH_EN: 0
; COMPUTE_PGM_RSRC2:USER_SGPR: 15
; COMPUTE_PGM_RSRC2:TRAP_HANDLER: 0
; COMPUTE_PGM_RSRC2:TGID_X_EN: 1
; COMPUTE_PGM_RSRC2:TGID_Y_EN: 0
; COMPUTE_PGM_RSRC2:TGID_Z_EN: 0
; COMPUTE_PGM_RSRC2:TIDIG_COMP_CNT: 0
	.section	.text._ZN7rocprim17ROCPRIM_400000_NS6detail17trampoline_kernelINS0_14default_configENS1_29reduce_by_key_config_selectorIijN6thrust23THRUST_200600_302600_NS4plusIjEEEEZZNS1_33reduce_by_key_impl_wrapped_configILNS1_25lookback_scan_determinismE0ES3_S9_NS6_6detail15normal_iteratorINS6_10device_ptrIiEEEENSD_INSE_IjEEEESG_SI_PmS8_NS6_8equal_toIiEEEE10hipError_tPvRmT2_T3_mT4_T5_T6_T7_T8_P12ihipStream_tbENKUlT_T0_E_clISt17integral_constantIbLb1EES13_EEDaSY_SZ_EUlSY_E_NS1_11comp_targetILNS1_3genE5ELNS1_11target_archE942ELNS1_3gpuE9ELNS1_3repE0EEENS1_30default_config_static_selectorELNS0_4arch9wavefront6targetE0EEEvT1_,"axG",@progbits,_ZN7rocprim17ROCPRIM_400000_NS6detail17trampoline_kernelINS0_14default_configENS1_29reduce_by_key_config_selectorIijN6thrust23THRUST_200600_302600_NS4plusIjEEEEZZNS1_33reduce_by_key_impl_wrapped_configILNS1_25lookback_scan_determinismE0ES3_S9_NS6_6detail15normal_iteratorINS6_10device_ptrIiEEEENSD_INSE_IjEEEESG_SI_PmS8_NS6_8equal_toIiEEEE10hipError_tPvRmT2_T3_mT4_T5_T6_T7_T8_P12ihipStream_tbENKUlT_T0_E_clISt17integral_constantIbLb1EES13_EEDaSY_SZ_EUlSY_E_NS1_11comp_targetILNS1_3genE5ELNS1_11target_archE942ELNS1_3gpuE9ELNS1_3repE0EEENS1_30default_config_static_selectorELNS0_4arch9wavefront6targetE0EEEvT1_,comdat
	.protected	_ZN7rocprim17ROCPRIM_400000_NS6detail17trampoline_kernelINS0_14default_configENS1_29reduce_by_key_config_selectorIijN6thrust23THRUST_200600_302600_NS4plusIjEEEEZZNS1_33reduce_by_key_impl_wrapped_configILNS1_25lookback_scan_determinismE0ES3_S9_NS6_6detail15normal_iteratorINS6_10device_ptrIiEEEENSD_INSE_IjEEEESG_SI_PmS8_NS6_8equal_toIiEEEE10hipError_tPvRmT2_T3_mT4_T5_T6_T7_T8_P12ihipStream_tbENKUlT_T0_E_clISt17integral_constantIbLb1EES13_EEDaSY_SZ_EUlSY_E_NS1_11comp_targetILNS1_3genE5ELNS1_11target_archE942ELNS1_3gpuE9ELNS1_3repE0EEENS1_30default_config_static_selectorELNS0_4arch9wavefront6targetE0EEEvT1_ ; -- Begin function _ZN7rocprim17ROCPRIM_400000_NS6detail17trampoline_kernelINS0_14default_configENS1_29reduce_by_key_config_selectorIijN6thrust23THRUST_200600_302600_NS4plusIjEEEEZZNS1_33reduce_by_key_impl_wrapped_configILNS1_25lookback_scan_determinismE0ES3_S9_NS6_6detail15normal_iteratorINS6_10device_ptrIiEEEENSD_INSE_IjEEEESG_SI_PmS8_NS6_8equal_toIiEEEE10hipError_tPvRmT2_T3_mT4_T5_T6_T7_T8_P12ihipStream_tbENKUlT_T0_E_clISt17integral_constantIbLb1EES13_EEDaSY_SZ_EUlSY_E_NS1_11comp_targetILNS1_3genE5ELNS1_11target_archE942ELNS1_3gpuE9ELNS1_3repE0EEENS1_30default_config_static_selectorELNS0_4arch9wavefront6targetE0EEEvT1_
	.globl	_ZN7rocprim17ROCPRIM_400000_NS6detail17trampoline_kernelINS0_14default_configENS1_29reduce_by_key_config_selectorIijN6thrust23THRUST_200600_302600_NS4plusIjEEEEZZNS1_33reduce_by_key_impl_wrapped_configILNS1_25lookback_scan_determinismE0ES3_S9_NS6_6detail15normal_iteratorINS6_10device_ptrIiEEEENSD_INSE_IjEEEESG_SI_PmS8_NS6_8equal_toIiEEEE10hipError_tPvRmT2_T3_mT4_T5_T6_T7_T8_P12ihipStream_tbENKUlT_T0_E_clISt17integral_constantIbLb1EES13_EEDaSY_SZ_EUlSY_E_NS1_11comp_targetILNS1_3genE5ELNS1_11target_archE942ELNS1_3gpuE9ELNS1_3repE0EEENS1_30default_config_static_selectorELNS0_4arch9wavefront6targetE0EEEvT1_
	.p2align	8
	.type	_ZN7rocprim17ROCPRIM_400000_NS6detail17trampoline_kernelINS0_14default_configENS1_29reduce_by_key_config_selectorIijN6thrust23THRUST_200600_302600_NS4plusIjEEEEZZNS1_33reduce_by_key_impl_wrapped_configILNS1_25lookback_scan_determinismE0ES3_S9_NS6_6detail15normal_iteratorINS6_10device_ptrIiEEEENSD_INSE_IjEEEESG_SI_PmS8_NS6_8equal_toIiEEEE10hipError_tPvRmT2_T3_mT4_T5_T6_T7_T8_P12ihipStream_tbENKUlT_T0_E_clISt17integral_constantIbLb1EES13_EEDaSY_SZ_EUlSY_E_NS1_11comp_targetILNS1_3genE5ELNS1_11target_archE942ELNS1_3gpuE9ELNS1_3repE0EEENS1_30default_config_static_selectorELNS0_4arch9wavefront6targetE0EEEvT1_,@function
_ZN7rocprim17ROCPRIM_400000_NS6detail17trampoline_kernelINS0_14default_configENS1_29reduce_by_key_config_selectorIijN6thrust23THRUST_200600_302600_NS4plusIjEEEEZZNS1_33reduce_by_key_impl_wrapped_configILNS1_25lookback_scan_determinismE0ES3_S9_NS6_6detail15normal_iteratorINS6_10device_ptrIiEEEENSD_INSE_IjEEEESG_SI_PmS8_NS6_8equal_toIiEEEE10hipError_tPvRmT2_T3_mT4_T5_T6_T7_T8_P12ihipStream_tbENKUlT_T0_E_clISt17integral_constantIbLb1EES13_EEDaSY_SZ_EUlSY_E_NS1_11comp_targetILNS1_3genE5ELNS1_11target_archE942ELNS1_3gpuE9ELNS1_3repE0EEENS1_30default_config_static_selectorELNS0_4arch9wavefront6targetE0EEEvT1_: ; @_ZN7rocprim17ROCPRIM_400000_NS6detail17trampoline_kernelINS0_14default_configENS1_29reduce_by_key_config_selectorIijN6thrust23THRUST_200600_302600_NS4plusIjEEEEZZNS1_33reduce_by_key_impl_wrapped_configILNS1_25lookback_scan_determinismE0ES3_S9_NS6_6detail15normal_iteratorINS6_10device_ptrIiEEEENSD_INSE_IjEEEESG_SI_PmS8_NS6_8equal_toIiEEEE10hipError_tPvRmT2_T3_mT4_T5_T6_T7_T8_P12ihipStream_tbENKUlT_T0_E_clISt17integral_constantIbLb1EES13_EEDaSY_SZ_EUlSY_E_NS1_11comp_targetILNS1_3genE5ELNS1_11target_archE942ELNS1_3gpuE9ELNS1_3repE0EEENS1_30default_config_static_selectorELNS0_4arch9wavefront6targetE0EEEvT1_
; %bb.0:
	.section	.rodata,"a",@progbits
	.p2align	6, 0x0
	.amdhsa_kernel _ZN7rocprim17ROCPRIM_400000_NS6detail17trampoline_kernelINS0_14default_configENS1_29reduce_by_key_config_selectorIijN6thrust23THRUST_200600_302600_NS4plusIjEEEEZZNS1_33reduce_by_key_impl_wrapped_configILNS1_25lookback_scan_determinismE0ES3_S9_NS6_6detail15normal_iteratorINS6_10device_ptrIiEEEENSD_INSE_IjEEEESG_SI_PmS8_NS6_8equal_toIiEEEE10hipError_tPvRmT2_T3_mT4_T5_T6_T7_T8_P12ihipStream_tbENKUlT_T0_E_clISt17integral_constantIbLb1EES13_EEDaSY_SZ_EUlSY_E_NS1_11comp_targetILNS1_3genE5ELNS1_11target_archE942ELNS1_3gpuE9ELNS1_3repE0EEENS1_30default_config_static_selectorELNS0_4arch9wavefront6targetE0EEEvT1_
		.amdhsa_group_segment_fixed_size 0
		.amdhsa_private_segment_fixed_size 0
		.amdhsa_kernarg_size 120
		.amdhsa_user_sgpr_count 15
		.amdhsa_user_sgpr_dispatch_ptr 0
		.amdhsa_user_sgpr_queue_ptr 0
		.amdhsa_user_sgpr_kernarg_segment_ptr 1
		.amdhsa_user_sgpr_dispatch_id 0
		.amdhsa_user_sgpr_private_segment_size 0
		.amdhsa_wavefront_size32 1
		.amdhsa_uses_dynamic_stack 0
		.amdhsa_enable_private_segment 0
		.amdhsa_system_sgpr_workgroup_id_x 1
		.amdhsa_system_sgpr_workgroup_id_y 0
		.amdhsa_system_sgpr_workgroup_id_z 0
		.amdhsa_system_sgpr_workgroup_info 0
		.amdhsa_system_vgpr_workitem_id 0
		.amdhsa_next_free_vgpr 1
		.amdhsa_next_free_sgpr 1
		.amdhsa_reserve_vcc 0
		.amdhsa_float_round_mode_32 0
		.amdhsa_float_round_mode_16_64 0
		.amdhsa_float_denorm_mode_32 3
		.amdhsa_float_denorm_mode_16_64 3
		.amdhsa_dx10_clamp 1
		.amdhsa_ieee_mode 1
		.amdhsa_fp16_overflow 0
		.amdhsa_workgroup_processor_mode 1
		.amdhsa_memory_ordered 1
		.amdhsa_forward_progress 0
		.amdhsa_shared_vgpr_count 0
		.amdhsa_exception_fp_ieee_invalid_op 0
		.amdhsa_exception_fp_denorm_src 0
		.amdhsa_exception_fp_ieee_div_zero 0
		.amdhsa_exception_fp_ieee_overflow 0
		.amdhsa_exception_fp_ieee_underflow 0
		.amdhsa_exception_fp_ieee_inexact 0
		.amdhsa_exception_int_div_zero 0
	.end_amdhsa_kernel
	.section	.text._ZN7rocprim17ROCPRIM_400000_NS6detail17trampoline_kernelINS0_14default_configENS1_29reduce_by_key_config_selectorIijN6thrust23THRUST_200600_302600_NS4plusIjEEEEZZNS1_33reduce_by_key_impl_wrapped_configILNS1_25lookback_scan_determinismE0ES3_S9_NS6_6detail15normal_iteratorINS6_10device_ptrIiEEEENSD_INSE_IjEEEESG_SI_PmS8_NS6_8equal_toIiEEEE10hipError_tPvRmT2_T3_mT4_T5_T6_T7_T8_P12ihipStream_tbENKUlT_T0_E_clISt17integral_constantIbLb1EES13_EEDaSY_SZ_EUlSY_E_NS1_11comp_targetILNS1_3genE5ELNS1_11target_archE942ELNS1_3gpuE9ELNS1_3repE0EEENS1_30default_config_static_selectorELNS0_4arch9wavefront6targetE0EEEvT1_,"axG",@progbits,_ZN7rocprim17ROCPRIM_400000_NS6detail17trampoline_kernelINS0_14default_configENS1_29reduce_by_key_config_selectorIijN6thrust23THRUST_200600_302600_NS4plusIjEEEEZZNS1_33reduce_by_key_impl_wrapped_configILNS1_25lookback_scan_determinismE0ES3_S9_NS6_6detail15normal_iteratorINS6_10device_ptrIiEEEENSD_INSE_IjEEEESG_SI_PmS8_NS6_8equal_toIiEEEE10hipError_tPvRmT2_T3_mT4_T5_T6_T7_T8_P12ihipStream_tbENKUlT_T0_E_clISt17integral_constantIbLb1EES13_EEDaSY_SZ_EUlSY_E_NS1_11comp_targetILNS1_3genE5ELNS1_11target_archE942ELNS1_3gpuE9ELNS1_3repE0EEENS1_30default_config_static_selectorELNS0_4arch9wavefront6targetE0EEEvT1_,comdat
.Lfunc_end815:
	.size	_ZN7rocprim17ROCPRIM_400000_NS6detail17trampoline_kernelINS0_14default_configENS1_29reduce_by_key_config_selectorIijN6thrust23THRUST_200600_302600_NS4plusIjEEEEZZNS1_33reduce_by_key_impl_wrapped_configILNS1_25lookback_scan_determinismE0ES3_S9_NS6_6detail15normal_iteratorINS6_10device_ptrIiEEEENSD_INSE_IjEEEESG_SI_PmS8_NS6_8equal_toIiEEEE10hipError_tPvRmT2_T3_mT4_T5_T6_T7_T8_P12ihipStream_tbENKUlT_T0_E_clISt17integral_constantIbLb1EES13_EEDaSY_SZ_EUlSY_E_NS1_11comp_targetILNS1_3genE5ELNS1_11target_archE942ELNS1_3gpuE9ELNS1_3repE0EEENS1_30default_config_static_selectorELNS0_4arch9wavefront6targetE0EEEvT1_, .Lfunc_end815-_ZN7rocprim17ROCPRIM_400000_NS6detail17trampoline_kernelINS0_14default_configENS1_29reduce_by_key_config_selectorIijN6thrust23THRUST_200600_302600_NS4plusIjEEEEZZNS1_33reduce_by_key_impl_wrapped_configILNS1_25lookback_scan_determinismE0ES3_S9_NS6_6detail15normal_iteratorINS6_10device_ptrIiEEEENSD_INSE_IjEEEESG_SI_PmS8_NS6_8equal_toIiEEEE10hipError_tPvRmT2_T3_mT4_T5_T6_T7_T8_P12ihipStream_tbENKUlT_T0_E_clISt17integral_constantIbLb1EES13_EEDaSY_SZ_EUlSY_E_NS1_11comp_targetILNS1_3genE5ELNS1_11target_archE942ELNS1_3gpuE9ELNS1_3repE0EEENS1_30default_config_static_selectorELNS0_4arch9wavefront6targetE0EEEvT1_
                                        ; -- End function
	.section	.AMDGPU.csdata,"",@progbits
; Kernel info:
; codeLenInByte = 0
; NumSgprs: 0
; NumVgprs: 0
; ScratchSize: 0
; MemoryBound: 0
; FloatMode: 240
; IeeeMode: 1
; LDSByteSize: 0 bytes/workgroup (compile time only)
; SGPRBlocks: 0
; VGPRBlocks: 0
; NumSGPRsForWavesPerEU: 1
; NumVGPRsForWavesPerEU: 1
; Occupancy: 16
; WaveLimiterHint : 0
; COMPUTE_PGM_RSRC2:SCRATCH_EN: 0
; COMPUTE_PGM_RSRC2:USER_SGPR: 15
; COMPUTE_PGM_RSRC2:TRAP_HANDLER: 0
; COMPUTE_PGM_RSRC2:TGID_X_EN: 1
; COMPUTE_PGM_RSRC2:TGID_Y_EN: 0
; COMPUTE_PGM_RSRC2:TGID_Z_EN: 0
; COMPUTE_PGM_RSRC2:TIDIG_COMP_CNT: 0
	.section	.text._ZN7rocprim17ROCPRIM_400000_NS6detail17trampoline_kernelINS0_14default_configENS1_29reduce_by_key_config_selectorIijN6thrust23THRUST_200600_302600_NS4plusIjEEEEZZNS1_33reduce_by_key_impl_wrapped_configILNS1_25lookback_scan_determinismE0ES3_S9_NS6_6detail15normal_iteratorINS6_10device_ptrIiEEEENSD_INSE_IjEEEESG_SI_PmS8_NS6_8equal_toIiEEEE10hipError_tPvRmT2_T3_mT4_T5_T6_T7_T8_P12ihipStream_tbENKUlT_T0_E_clISt17integral_constantIbLb1EES13_EEDaSY_SZ_EUlSY_E_NS1_11comp_targetILNS1_3genE4ELNS1_11target_archE910ELNS1_3gpuE8ELNS1_3repE0EEENS1_30default_config_static_selectorELNS0_4arch9wavefront6targetE0EEEvT1_,"axG",@progbits,_ZN7rocprim17ROCPRIM_400000_NS6detail17trampoline_kernelINS0_14default_configENS1_29reduce_by_key_config_selectorIijN6thrust23THRUST_200600_302600_NS4plusIjEEEEZZNS1_33reduce_by_key_impl_wrapped_configILNS1_25lookback_scan_determinismE0ES3_S9_NS6_6detail15normal_iteratorINS6_10device_ptrIiEEEENSD_INSE_IjEEEESG_SI_PmS8_NS6_8equal_toIiEEEE10hipError_tPvRmT2_T3_mT4_T5_T6_T7_T8_P12ihipStream_tbENKUlT_T0_E_clISt17integral_constantIbLb1EES13_EEDaSY_SZ_EUlSY_E_NS1_11comp_targetILNS1_3genE4ELNS1_11target_archE910ELNS1_3gpuE8ELNS1_3repE0EEENS1_30default_config_static_selectorELNS0_4arch9wavefront6targetE0EEEvT1_,comdat
	.protected	_ZN7rocprim17ROCPRIM_400000_NS6detail17trampoline_kernelINS0_14default_configENS1_29reduce_by_key_config_selectorIijN6thrust23THRUST_200600_302600_NS4plusIjEEEEZZNS1_33reduce_by_key_impl_wrapped_configILNS1_25lookback_scan_determinismE0ES3_S9_NS6_6detail15normal_iteratorINS6_10device_ptrIiEEEENSD_INSE_IjEEEESG_SI_PmS8_NS6_8equal_toIiEEEE10hipError_tPvRmT2_T3_mT4_T5_T6_T7_T8_P12ihipStream_tbENKUlT_T0_E_clISt17integral_constantIbLb1EES13_EEDaSY_SZ_EUlSY_E_NS1_11comp_targetILNS1_3genE4ELNS1_11target_archE910ELNS1_3gpuE8ELNS1_3repE0EEENS1_30default_config_static_selectorELNS0_4arch9wavefront6targetE0EEEvT1_ ; -- Begin function _ZN7rocprim17ROCPRIM_400000_NS6detail17trampoline_kernelINS0_14default_configENS1_29reduce_by_key_config_selectorIijN6thrust23THRUST_200600_302600_NS4plusIjEEEEZZNS1_33reduce_by_key_impl_wrapped_configILNS1_25lookback_scan_determinismE0ES3_S9_NS6_6detail15normal_iteratorINS6_10device_ptrIiEEEENSD_INSE_IjEEEESG_SI_PmS8_NS6_8equal_toIiEEEE10hipError_tPvRmT2_T3_mT4_T5_T6_T7_T8_P12ihipStream_tbENKUlT_T0_E_clISt17integral_constantIbLb1EES13_EEDaSY_SZ_EUlSY_E_NS1_11comp_targetILNS1_3genE4ELNS1_11target_archE910ELNS1_3gpuE8ELNS1_3repE0EEENS1_30default_config_static_selectorELNS0_4arch9wavefront6targetE0EEEvT1_
	.globl	_ZN7rocprim17ROCPRIM_400000_NS6detail17trampoline_kernelINS0_14default_configENS1_29reduce_by_key_config_selectorIijN6thrust23THRUST_200600_302600_NS4plusIjEEEEZZNS1_33reduce_by_key_impl_wrapped_configILNS1_25lookback_scan_determinismE0ES3_S9_NS6_6detail15normal_iteratorINS6_10device_ptrIiEEEENSD_INSE_IjEEEESG_SI_PmS8_NS6_8equal_toIiEEEE10hipError_tPvRmT2_T3_mT4_T5_T6_T7_T8_P12ihipStream_tbENKUlT_T0_E_clISt17integral_constantIbLb1EES13_EEDaSY_SZ_EUlSY_E_NS1_11comp_targetILNS1_3genE4ELNS1_11target_archE910ELNS1_3gpuE8ELNS1_3repE0EEENS1_30default_config_static_selectorELNS0_4arch9wavefront6targetE0EEEvT1_
	.p2align	8
	.type	_ZN7rocprim17ROCPRIM_400000_NS6detail17trampoline_kernelINS0_14default_configENS1_29reduce_by_key_config_selectorIijN6thrust23THRUST_200600_302600_NS4plusIjEEEEZZNS1_33reduce_by_key_impl_wrapped_configILNS1_25lookback_scan_determinismE0ES3_S9_NS6_6detail15normal_iteratorINS6_10device_ptrIiEEEENSD_INSE_IjEEEESG_SI_PmS8_NS6_8equal_toIiEEEE10hipError_tPvRmT2_T3_mT4_T5_T6_T7_T8_P12ihipStream_tbENKUlT_T0_E_clISt17integral_constantIbLb1EES13_EEDaSY_SZ_EUlSY_E_NS1_11comp_targetILNS1_3genE4ELNS1_11target_archE910ELNS1_3gpuE8ELNS1_3repE0EEENS1_30default_config_static_selectorELNS0_4arch9wavefront6targetE0EEEvT1_,@function
_ZN7rocprim17ROCPRIM_400000_NS6detail17trampoline_kernelINS0_14default_configENS1_29reduce_by_key_config_selectorIijN6thrust23THRUST_200600_302600_NS4plusIjEEEEZZNS1_33reduce_by_key_impl_wrapped_configILNS1_25lookback_scan_determinismE0ES3_S9_NS6_6detail15normal_iteratorINS6_10device_ptrIiEEEENSD_INSE_IjEEEESG_SI_PmS8_NS6_8equal_toIiEEEE10hipError_tPvRmT2_T3_mT4_T5_T6_T7_T8_P12ihipStream_tbENKUlT_T0_E_clISt17integral_constantIbLb1EES13_EEDaSY_SZ_EUlSY_E_NS1_11comp_targetILNS1_3genE4ELNS1_11target_archE910ELNS1_3gpuE8ELNS1_3repE0EEENS1_30default_config_static_selectorELNS0_4arch9wavefront6targetE0EEEvT1_: ; @_ZN7rocprim17ROCPRIM_400000_NS6detail17trampoline_kernelINS0_14default_configENS1_29reduce_by_key_config_selectorIijN6thrust23THRUST_200600_302600_NS4plusIjEEEEZZNS1_33reduce_by_key_impl_wrapped_configILNS1_25lookback_scan_determinismE0ES3_S9_NS6_6detail15normal_iteratorINS6_10device_ptrIiEEEENSD_INSE_IjEEEESG_SI_PmS8_NS6_8equal_toIiEEEE10hipError_tPvRmT2_T3_mT4_T5_T6_T7_T8_P12ihipStream_tbENKUlT_T0_E_clISt17integral_constantIbLb1EES13_EEDaSY_SZ_EUlSY_E_NS1_11comp_targetILNS1_3genE4ELNS1_11target_archE910ELNS1_3gpuE8ELNS1_3repE0EEENS1_30default_config_static_selectorELNS0_4arch9wavefront6targetE0EEEvT1_
; %bb.0:
	.section	.rodata,"a",@progbits
	.p2align	6, 0x0
	.amdhsa_kernel _ZN7rocprim17ROCPRIM_400000_NS6detail17trampoline_kernelINS0_14default_configENS1_29reduce_by_key_config_selectorIijN6thrust23THRUST_200600_302600_NS4plusIjEEEEZZNS1_33reduce_by_key_impl_wrapped_configILNS1_25lookback_scan_determinismE0ES3_S9_NS6_6detail15normal_iteratorINS6_10device_ptrIiEEEENSD_INSE_IjEEEESG_SI_PmS8_NS6_8equal_toIiEEEE10hipError_tPvRmT2_T3_mT4_T5_T6_T7_T8_P12ihipStream_tbENKUlT_T0_E_clISt17integral_constantIbLb1EES13_EEDaSY_SZ_EUlSY_E_NS1_11comp_targetILNS1_3genE4ELNS1_11target_archE910ELNS1_3gpuE8ELNS1_3repE0EEENS1_30default_config_static_selectorELNS0_4arch9wavefront6targetE0EEEvT1_
		.amdhsa_group_segment_fixed_size 0
		.amdhsa_private_segment_fixed_size 0
		.amdhsa_kernarg_size 120
		.amdhsa_user_sgpr_count 15
		.amdhsa_user_sgpr_dispatch_ptr 0
		.amdhsa_user_sgpr_queue_ptr 0
		.amdhsa_user_sgpr_kernarg_segment_ptr 1
		.amdhsa_user_sgpr_dispatch_id 0
		.amdhsa_user_sgpr_private_segment_size 0
		.amdhsa_wavefront_size32 1
		.amdhsa_uses_dynamic_stack 0
		.amdhsa_enable_private_segment 0
		.amdhsa_system_sgpr_workgroup_id_x 1
		.amdhsa_system_sgpr_workgroup_id_y 0
		.amdhsa_system_sgpr_workgroup_id_z 0
		.amdhsa_system_sgpr_workgroup_info 0
		.amdhsa_system_vgpr_workitem_id 0
		.amdhsa_next_free_vgpr 1
		.amdhsa_next_free_sgpr 1
		.amdhsa_reserve_vcc 0
		.amdhsa_float_round_mode_32 0
		.amdhsa_float_round_mode_16_64 0
		.amdhsa_float_denorm_mode_32 3
		.amdhsa_float_denorm_mode_16_64 3
		.amdhsa_dx10_clamp 1
		.amdhsa_ieee_mode 1
		.amdhsa_fp16_overflow 0
		.amdhsa_workgroup_processor_mode 1
		.amdhsa_memory_ordered 1
		.amdhsa_forward_progress 0
		.amdhsa_shared_vgpr_count 0
		.amdhsa_exception_fp_ieee_invalid_op 0
		.amdhsa_exception_fp_denorm_src 0
		.amdhsa_exception_fp_ieee_div_zero 0
		.amdhsa_exception_fp_ieee_overflow 0
		.amdhsa_exception_fp_ieee_underflow 0
		.amdhsa_exception_fp_ieee_inexact 0
		.amdhsa_exception_int_div_zero 0
	.end_amdhsa_kernel
	.section	.text._ZN7rocprim17ROCPRIM_400000_NS6detail17trampoline_kernelINS0_14default_configENS1_29reduce_by_key_config_selectorIijN6thrust23THRUST_200600_302600_NS4plusIjEEEEZZNS1_33reduce_by_key_impl_wrapped_configILNS1_25lookback_scan_determinismE0ES3_S9_NS6_6detail15normal_iteratorINS6_10device_ptrIiEEEENSD_INSE_IjEEEESG_SI_PmS8_NS6_8equal_toIiEEEE10hipError_tPvRmT2_T3_mT4_T5_T6_T7_T8_P12ihipStream_tbENKUlT_T0_E_clISt17integral_constantIbLb1EES13_EEDaSY_SZ_EUlSY_E_NS1_11comp_targetILNS1_3genE4ELNS1_11target_archE910ELNS1_3gpuE8ELNS1_3repE0EEENS1_30default_config_static_selectorELNS0_4arch9wavefront6targetE0EEEvT1_,"axG",@progbits,_ZN7rocprim17ROCPRIM_400000_NS6detail17trampoline_kernelINS0_14default_configENS1_29reduce_by_key_config_selectorIijN6thrust23THRUST_200600_302600_NS4plusIjEEEEZZNS1_33reduce_by_key_impl_wrapped_configILNS1_25lookback_scan_determinismE0ES3_S9_NS6_6detail15normal_iteratorINS6_10device_ptrIiEEEENSD_INSE_IjEEEESG_SI_PmS8_NS6_8equal_toIiEEEE10hipError_tPvRmT2_T3_mT4_T5_T6_T7_T8_P12ihipStream_tbENKUlT_T0_E_clISt17integral_constantIbLb1EES13_EEDaSY_SZ_EUlSY_E_NS1_11comp_targetILNS1_3genE4ELNS1_11target_archE910ELNS1_3gpuE8ELNS1_3repE0EEENS1_30default_config_static_selectorELNS0_4arch9wavefront6targetE0EEEvT1_,comdat
.Lfunc_end816:
	.size	_ZN7rocprim17ROCPRIM_400000_NS6detail17trampoline_kernelINS0_14default_configENS1_29reduce_by_key_config_selectorIijN6thrust23THRUST_200600_302600_NS4plusIjEEEEZZNS1_33reduce_by_key_impl_wrapped_configILNS1_25lookback_scan_determinismE0ES3_S9_NS6_6detail15normal_iteratorINS6_10device_ptrIiEEEENSD_INSE_IjEEEESG_SI_PmS8_NS6_8equal_toIiEEEE10hipError_tPvRmT2_T3_mT4_T5_T6_T7_T8_P12ihipStream_tbENKUlT_T0_E_clISt17integral_constantIbLb1EES13_EEDaSY_SZ_EUlSY_E_NS1_11comp_targetILNS1_3genE4ELNS1_11target_archE910ELNS1_3gpuE8ELNS1_3repE0EEENS1_30default_config_static_selectorELNS0_4arch9wavefront6targetE0EEEvT1_, .Lfunc_end816-_ZN7rocprim17ROCPRIM_400000_NS6detail17trampoline_kernelINS0_14default_configENS1_29reduce_by_key_config_selectorIijN6thrust23THRUST_200600_302600_NS4plusIjEEEEZZNS1_33reduce_by_key_impl_wrapped_configILNS1_25lookback_scan_determinismE0ES3_S9_NS6_6detail15normal_iteratorINS6_10device_ptrIiEEEENSD_INSE_IjEEEESG_SI_PmS8_NS6_8equal_toIiEEEE10hipError_tPvRmT2_T3_mT4_T5_T6_T7_T8_P12ihipStream_tbENKUlT_T0_E_clISt17integral_constantIbLb1EES13_EEDaSY_SZ_EUlSY_E_NS1_11comp_targetILNS1_3genE4ELNS1_11target_archE910ELNS1_3gpuE8ELNS1_3repE0EEENS1_30default_config_static_selectorELNS0_4arch9wavefront6targetE0EEEvT1_
                                        ; -- End function
	.section	.AMDGPU.csdata,"",@progbits
; Kernel info:
; codeLenInByte = 0
; NumSgprs: 0
; NumVgprs: 0
; ScratchSize: 0
; MemoryBound: 0
; FloatMode: 240
; IeeeMode: 1
; LDSByteSize: 0 bytes/workgroup (compile time only)
; SGPRBlocks: 0
; VGPRBlocks: 0
; NumSGPRsForWavesPerEU: 1
; NumVGPRsForWavesPerEU: 1
; Occupancy: 16
; WaveLimiterHint : 0
; COMPUTE_PGM_RSRC2:SCRATCH_EN: 0
; COMPUTE_PGM_RSRC2:USER_SGPR: 15
; COMPUTE_PGM_RSRC2:TRAP_HANDLER: 0
; COMPUTE_PGM_RSRC2:TGID_X_EN: 1
; COMPUTE_PGM_RSRC2:TGID_Y_EN: 0
; COMPUTE_PGM_RSRC2:TGID_Z_EN: 0
; COMPUTE_PGM_RSRC2:TIDIG_COMP_CNT: 0
	.section	.text._ZN7rocprim17ROCPRIM_400000_NS6detail17trampoline_kernelINS0_14default_configENS1_29reduce_by_key_config_selectorIijN6thrust23THRUST_200600_302600_NS4plusIjEEEEZZNS1_33reduce_by_key_impl_wrapped_configILNS1_25lookback_scan_determinismE0ES3_S9_NS6_6detail15normal_iteratorINS6_10device_ptrIiEEEENSD_INSE_IjEEEESG_SI_PmS8_NS6_8equal_toIiEEEE10hipError_tPvRmT2_T3_mT4_T5_T6_T7_T8_P12ihipStream_tbENKUlT_T0_E_clISt17integral_constantIbLb1EES13_EEDaSY_SZ_EUlSY_E_NS1_11comp_targetILNS1_3genE3ELNS1_11target_archE908ELNS1_3gpuE7ELNS1_3repE0EEENS1_30default_config_static_selectorELNS0_4arch9wavefront6targetE0EEEvT1_,"axG",@progbits,_ZN7rocprim17ROCPRIM_400000_NS6detail17trampoline_kernelINS0_14default_configENS1_29reduce_by_key_config_selectorIijN6thrust23THRUST_200600_302600_NS4plusIjEEEEZZNS1_33reduce_by_key_impl_wrapped_configILNS1_25lookback_scan_determinismE0ES3_S9_NS6_6detail15normal_iteratorINS6_10device_ptrIiEEEENSD_INSE_IjEEEESG_SI_PmS8_NS6_8equal_toIiEEEE10hipError_tPvRmT2_T3_mT4_T5_T6_T7_T8_P12ihipStream_tbENKUlT_T0_E_clISt17integral_constantIbLb1EES13_EEDaSY_SZ_EUlSY_E_NS1_11comp_targetILNS1_3genE3ELNS1_11target_archE908ELNS1_3gpuE7ELNS1_3repE0EEENS1_30default_config_static_selectorELNS0_4arch9wavefront6targetE0EEEvT1_,comdat
	.protected	_ZN7rocprim17ROCPRIM_400000_NS6detail17trampoline_kernelINS0_14default_configENS1_29reduce_by_key_config_selectorIijN6thrust23THRUST_200600_302600_NS4plusIjEEEEZZNS1_33reduce_by_key_impl_wrapped_configILNS1_25lookback_scan_determinismE0ES3_S9_NS6_6detail15normal_iteratorINS6_10device_ptrIiEEEENSD_INSE_IjEEEESG_SI_PmS8_NS6_8equal_toIiEEEE10hipError_tPvRmT2_T3_mT4_T5_T6_T7_T8_P12ihipStream_tbENKUlT_T0_E_clISt17integral_constantIbLb1EES13_EEDaSY_SZ_EUlSY_E_NS1_11comp_targetILNS1_3genE3ELNS1_11target_archE908ELNS1_3gpuE7ELNS1_3repE0EEENS1_30default_config_static_selectorELNS0_4arch9wavefront6targetE0EEEvT1_ ; -- Begin function _ZN7rocprim17ROCPRIM_400000_NS6detail17trampoline_kernelINS0_14default_configENS1_29reduce_by_key_config_selectorIijN6thrust23THRUST_200600_302600_NS4plusIjEEEEZZNS1_33reduce_by_key_impl_wrapped_configILNS1_25lookback_scan_determinismE0ES3_S9_NS6_6detail15normal_iteratorINS6_10device_ptrIiEEEENSD_INSE_IjEEEESG_SI_PmS8_NS6_8equal_toIiEEEE10hipError_tPvRmT2_T3_mT4_T5_T6_T7_T8_P12ihipStream_tbENKUlT_T0_E_clISt17integral_constantIbLb1EES13_EEDaSY_SZ_EUlSY_E_NS1_11comp_targetILNS1_3genE3ELNS1_11target_archE908ELNS1_3gpuE7ELNS1_3repE0EEENS1_30default_config_static_selectorELNS0_4arch9wavefront6targetE0EEEvT1_
	.globl	_ZN7rocprim17ROCPRIM_400000_NS6detail17trampoline_kernelINS0_14default_configENS1_29reduce_by_key_config_selectorIijN6thrust23THRUST_200600_302600_NS4plusIjEEEEZZNS1_33reduce_by_key_impl_wrapped_configILNS1_25lookback_scan_determinismE0ES3_S9_NS6_6detail15normal_iteratorINS6_10device_ptrIiEEEENSD_INSE_IjEEEESG_SI_PmS8_NS6_8equal_toIiEEEE10hipError_tPvRmT2_T3_mT4_T5_T6_T7_T8_P12ihipStream_tbENKUlT_T0_E_clISt17integral_constantIbLb1EES13_EEDaSY_SZ_EUlSY_E_NS1_11comp_targetILNS1_3genE3ELNS1_11target_archE908ELNS1_3gpuE7ELNS1_3repE0EEENS1_30default_config_static_selectorELNS0_4arch9wavefront6targetE0EEEvT1_
	.p2align	8
	.type	_ZN7rocprim17ROCPRIM_400000_NS6detail17trampoline_kernelINS0_14default_configENS1_29reduce_by_key_config_selectorIijN6thrust23THRUST_200600_302600_NS4plusIjEEEEZZNS1_33reduce_by_key_impl_wrapped_configILNS1_25lookback_scan_determinismE0ES3_S9_NS6_6detail15normal_iteratorINS6_10device_ptrIiEEEENSD_INSE_IjEEEESG_SI_PmS8_NS6_8equal_toIiEEEE10hipError_tPvRmT2_T3_mT4_T5_T6_T7_T8_P12ihipStream_tbENKUlT_T0_E_clISt17integral_constantIbLb1EES13_EEDaSY_SZ_EUlSY_E_NS1_11comp_targetILNS1_3genE3ELNS1_11target_archE908ELNS1_3gpuE7ELNS1_3repE0EEENS1_30default_config_static_selectorELNS0_4arch9wavefront6targetE0EEEvT1_,@function
_ZN7rocprim17ROCPRIM_400000_NS6detail17trampoline_kernelINS0_14default_configENS1_29reduce_by_key_config_selectorIijN6thrust23THRUST_200600_302600_NS4plusIjEEEEZZNS1_33reduce_by_key_impl_wrapped_configILNS1_25lookback_scan_determinismE0ES3_S9_NS6_6detail15normal_iteratorINS6_10device_ptrIiEEEENSD_INSE_IjEEEESG_SI_PmS8_NS6_8equal_toIiEEEE10hipError_tPvRmT2_T3_mT4_T5_T6_T7_T8_P12ihipStream_tbENKUlT_T0_E_clISt17integral_constantIbLb1EES13_EEDaSY_SZ_EUlSY_E_NS1_11comp_targetILNS1_3genE3ELNS1_11target_archE908ELNS1_3gpuE7ELNS1_3repE0EEENS1_30default_config_static_selectorELNS0_4arch9wavefront6targetE0EEEvT1_: ; @_ZN7rocprim17ROCPRIM_400000_NS6detail17trampoline_kernelINS0_14default_configENS1_29reduce_by_key_config_selectorIijN6thrust23THRUST_200600_302600_NS4plusIjEEEEZZNS1_33reduce_by_key_impl_wrapped_configILNS1_25lookback_scan_determinismE0ES3_S9_NS6_6detail15normal_iteratorINS6_10device_ptrIiEEEENSD_INSE_IjEEEESG_SI_PmS8_NS6_8equal_toIiEEEE10hipError_tPvRmT2_T3_mT4_T5_T6_T7_T8_P12ihipStream_tbENKUlT_T0_E_clISt17integral_constantIbLb1EES13_EEDaSY_SZ_EUlSY_E_NS1_11comp_targetILNS1_3genE3ELNS1_11target_archE908ELNS1_3gpuE7ELNS1_3repE0EEENS1_30default_config_static_selectorELNS0_4arch9wavefront6targetE0EEEvT1_
; %bb.0:
	.section	.rodata,"a",@progbits
	.p2align	6, 0x0
	.amdhsa_kernel _ZN7rocprim17ROCPRIM_400000_NS6detail17trampoline_kernelINS0_14default_configENS1_29reduce_by_key_config_selectorIijN6thrust23THRUST_200600_302600_NS4plusIjEEEEZZNS1_33reduce_by_key_impl_wrapped_configILNS1_25lookback_scan_determinismE0ES3_S9_NS6_6detail15normal_iteratorINS6_10device_ptrIiEEEENSD_INSE_IjEEEESG_SI_PmS8_NS6_8equal_toIiEEEE10hipError_tPvRmT2_T3_mT4_T5_T6_T7_T8_P12ihipStream_tbENKUlT_T0_E_clISt17integral_constantIbLb1EES13_EEDaSY_SZ_EUlSY_E_NS1_11comp_targetILNS1_3genE3ELNS1_11target_archE908ELNS1_3gpuE7ELNS1_3repE0EEENS1_30default_config_static_selectorELNS0_4arch9wavefront6targetE0EEEvT1_
		.amdhsa_group_segment_fixed_size 0
		.amdhsa_private_segment_fixed_size 0
		.amdhsa_kernarg_size 120
		.amdhsa_user_sgpr_count 15
		.amdhsa_user_sgpr_dispatch_ptr 0
		.amdhsa_user_sgpr_queue_ptr 0
		.amdhsa_user_sgpr_kernarg_segment_ptr 1
		.amdhsa_user_sgpr_dispatch_id 0
		.amdhsa_user_sgpr_private_segment_size 0
		.amdhsa_wavefront_size32 1
		.amdhsa_uses_dynamic_stack 0
		.amdhsa_enable_private_segment 0
		.amdhsa_system_sgpr_workgroup_id_x 1
		.amdhsa_system_sgpr_workgroup_id_y 0
		.amdhsa_system_sgpr_workgroup_id_z 0
		.amdhsa_system_sgpr_workgroup_info 0
		.amdhsa_system_vgpr_workitem_id 0
		.amdhsa_next_free_vgpr 1
		.amdhsa_next_free_sgpr 1
		.amdhsa_reserve_vcc 0
		.amdhsa_float_round_mode_32 0
		.amdhsa_float_round_mode_16_64 0
		.amdhsa_float_denorm_mode_32 3
		.amdhsa_float_denorm_mode_16_64 3
		.amdhsa_dx10_clamp 1
		.amdhsa_ieee_mode 1
		.amdhsa_fp16_overflow 0
		.amdhsa_workgroup_processor_mode 1
		.amdhsa_memory_ordered 1
		.amdhsa_forward_progress 0
		.amdhsa_shared_vgpr_count 0
		.amdhsa_exception_fp_ieee_invalid_op 0
		.amdhsa_exception_fp_denorm_src 0
		.amdhsa_exception_fp_ieee_div_zero 0
		.amdhsa_exception_fp_ieee_overflow 0
		.amdhsa_exception_fp_ieee_underflow 0
		.amdhsa_exception_fp_ieee_inexact 0
		.amdhsa_exception_int_div_zero 0
	.end_amdhsa_kernel
	.section	.text._ZN7rocprim17ROCPRIM_400000_NS6detail17trampoline_kernelINS0_14default_configENS1_29reduce_by_key_config_selectorIijN6thrust23THRUST_200600_302600_NS4plusIjEEEEZZNS1_33reduce_by_key_impl_wrapped_configILNS1_25lookback_scan_determinismE0ES3_S9_NS6_6detail15normal_iteratorINS6_10device_ptrIiEEEENSD_INSE_IjEEEESG_SI_PmS8_NS6_8equal_toIiEEEE10hipError_tPvRmT2_T3_mT4_T5_T6_T7_T8_P12ihipStream_tbENKUlT_T0_E_clISt17integral_constantIbLb1EES13_EEDaSY_SZ_EUlSY_E_NS1_11comp_targetILNS1_3genE3ELNS1_11target_archE908ELNS1_3gpuE7ELNS1_3repE0EEENS1_30default_config_static_selectorELNS0_4arch9wavefront6targetE0EEEvT1_,"axG",@progbits,_ZN7rocprim17ROCPRIM_400000_NS6detail17trampoline_kernelINS0_14default_configENS1_29reduce_by_key_config_selectorIijN6thrust23THRUST_200600_302600_NS4plusIjEEEEZZNS1_33reduce_by_key_impl_wrapped_configILNS1_25lookback_scan_determinismE0ES3_S9_NS6_6detail15normal_iteratorINS6_10device_ptrIiEEEENSD_INSE_IjEEEESG_SI_PmS8_NS6_8equal_toIiEEEE10hipError_tPvRmT2_T3_mT4_T5_T6_T7_T8_P12ihipStream_tbENKUlT_T0_E_clISt17integral_constantIbLb1EES13_EEDaSY_SZ_EUlSY_E_NS1_11comp_targetILNS1_3genE3ELNS1_11target_archE908ELNS1_3gpuE7ELNS1_3repE0EEENS1_30default_config_static_selectorELNS0_4arch9wavefront6targetE0EEEvT1_,comdat
.Lfunc_end817:
	.size	_ZN7rocprim17ROCPRIM_400000_NS6detail17trampoline_kernelINS0_14default_configENS1_29reduce_by_key_config_selectorIijN6thrust23THRUST_200600_302600_NS4plusIjEEEEZZNS1_33reduce_by_key_impl_wrapped_configILNS1_25lookback_scan_determinismE0ES3_S9_NS6_6detail15normal_iteratorINS6_10device_ptrIiEEEENSD_INSE_IjEEEESG_SI_PmS8_NS6_8equal_toIiEEEE10hipError_tPvRmT2_T3_mT4_T5_T6_T7_T8_P12ihipStream_tbENKUlT_T0_E_clISt17integral_constantIbLb1EES13_EEDaSY_SZ_EUlSY_E_NS1_11comp_targetILNS1_3genE3ELNS1_11target_archE908ELNS1_3gpuE7ELNS1_3repE0EEENS1_30default_config_static_selectorELNS0_4arch9wavefront6targetE0EEEvT1_, .Lfunc_end817-_ZN7rocprim17ROCPRIM_400000_NS6detail17trampoline_kernelINS0_14default_configENS1_29reduce_by_key_config_selectorIijN6thrust23THRUST_200600_302600_NS4plusIjEEEEZZNS1_33reduce_by_key_impl_wrapped_configILNS1_25lookback_scan_determinismE0ES3_S9_NS6_6detail15normal_iteratorINS6_10device_ptrIiEEEENSD_INSE_IjEEEESG_SI_PmS8_NS6_8equal_toIiEEEE10hipError_tPvRmT2_T3_mT4_T5_T6_T7_T8_P12ihipStream_tbENKUlT_T0_E_clISt17integral_constantIbLb1EES13_EEDaSY_SZ_EUlSY_E_NS1_11comp_targetILNS1_3genE3ELNS1_11target_archE908ELNS1_3gpuE7ELNS1_3repE0EEENS1_30default_config_static_selectorELNS0_4arch9wavefront6targetE0EEEvT1_
                                        ; -- End function
	.section	.AMDGPU.csdata,"",@progbits
; Kernel info:
; codeLenInByte = 0
; NumSgprs: 0
; NumVgprs: 0
; ScratchSize: 0
; MemoryBound: 0
; FloatMode: 240
; IeeeMode: 1
; LDSByteSize: 0 bytes/workgroup (compile time only)
; SGPRBlocks: 0
; VGPRBlocks: 0
; NumSGPRsForWavesPerEU: 1
; NumVGPRsForWavesPerEU: 1
; Occupancy: 16
; WaveLimiterHint : 0
; COMPUTE_PGM_RSRC2:SCRATCH_EN: 0
; COMPUTE_PGM_RSRC2:USER_SGPR: 15
; COMPUTE_PGM_RSRC2:TRAP_HANDLER: 0
; COMPUTE_PGM_RSRC2:TGID_X_EN: 1
; COMPUTE_PGM_RSRC2:TGID_Y_EN: 0
; COMPUTE_PGM_RSRC2:TGID_Z_EN: 0
; COMPUTE_PGM_RSRC2:TIDIG_COMP_CNT: 0
	.section	.text._ZN7rocprim17ROCPRIM_400000_NS6detail17trampoline_kernelINS0_14default_configENS1_29reduce_by_key_config_selectorIijN6thrust23THRUST_200600_302600_NS4plusIjEEEEZZNS1_33reduce_by_key_impl_wrapped_configILNS1_25lookback_scan_determinismE0ES3_S9_NS6_6detail15normal_iteratorINS6_10device_ptrIiEEEENSD_INSE_IjEEEESG_SI_PmS8_NS6_8equal_toIiEEEE10hipError_tPvRmT2_T3_mT4_T5_T6_T7_T8_P12ihipStream_tbENKUlT_T0_E_clISt17integral_constantIbLb1EES13_EEDaSY_SZ_EUlSY_E_NS1_11comp_targetILNS1_3genE2ELNS1_11target_archE906ELNS1_3gpuE6ELNS1_3repE0EEENS1_30default_config_static_selectorELNS0_4arch9wavefront6targetE0EEEvT1_,"axG",@progbits,_ZN7rocprim17ROCPRIM_400000_NS6detail17trampoline_kernelINS0_14default_configENS1_29reduce_by_key_config_selectorIijN6thrust23THRUST_200600_302600_NS4plusIjEEEEZZNS1_33reduce_by_key_impl_wrapped_configILNS1_25lookback_scan_determinismE0ES3_S9_NS6_6detail15normal_iteratorINS6_10device_ptrIiEEEENSD_INSE_IjEEEESG_SI_PmS8_NS6_8equal_toIiEEEE10hipError_tPvRmT2_T3_mT4_T5_T6_T7_T8_P12ihipStream_tbENKUlT_T0_E_clISt17integral_constantIbLb1EES13_EEDaSY_SZ_EUlSY_E_NS1_11comp_targetILNS1_3genE2ELNS1_11target_archE906ELNS1_3gpuE6ELNS1_3repE0EEENS1_30default_config_static_selectorELNS0_4arch9wavefront6targetE0EEEvT1_,comdat
	.protected	_ZN7rocprim17ROCPRIM_400000_NS6detail17trampoline_kernelINS0_14default_configENS1_29reduce_by_key_config_selectorIijN6thrust23THRUST_200600_302600_NS4plusIjEEEEZZNS1_33reduce_by_key_impl_wrapped_configILNS1_25lookback_scan_determinismE0ES3_S9_NS6_6detail15normal_iteratorINS6_10device_ptrIiEEEENSD_INSE_IjEEEESG_SI_PmS8_NS6_8equal_toIiEEEE10hipError_tPvRmT2_T3_mT4_T5_T6_T7_T8_P12ihipStream_tbENKUlT_T0_E_clISt17integral_constantIbLb1EES13_EEDaSY_SZ_EUlSY_E_NS1_11comp_targetILNS1_3genE2ELNS1_11target_archE906ELNS1_3gpuE6ELNS1_3repE0EEENS1_30default_config_static_selectorELNS0_4arch9wavefront6targetE0EEEvT1_ ; -- Begin function _ZN7rocprim17ROCPRIM_400000_NS6detail17trampoline_kernelINS0_14default_configENS1_29reduce_by_key_config_selectorIijN6thrust23THRUST_200600_302600_NS4plusIjEEEEZZNS1_33reduce_by_key_impl_wrapped_configILNS1_25lookback_scan_determinismE0ES3_S9_NS6_6detail15normal_iteratorINS6_10device_ptrIiEEEENSD_INSE_IjEEEESG_SI_PmS8_NS6_8equal_toIiEEEE10hipError_tPvRmT2_T3_mT4_T5_T6_T7_T8_P12ihipStream_tbENKUlT_T0_E_clISt17integral_constantIbLb1EES13_EEDaSY_SZ_EUlSY_E_NS1_11comp_targetILNS1_3genE2ELNS1_11target_archE906ELNS1_3gpuE6ELNS1_3repE0EEENS1_30default_config_static_selectorELNS0_4arch9wavefront6targetE0EEEvT1_
	.globl	_ZN7rocprim17ROCPRIM_400000_NS6detail17trampoline_kernelINS0_14default_configENS1_29reduce_by_key_config_selectorIijN6thrust23THRUST_200600_302600_NS4plusIjEEEEZZNS1_33reduce_by_key_impl_wrapped_configILNS1_25lookback_scan_determinismE0ES3_S9_NS6_6detail15normal_iteratorINS6_10device_ptrIiEEEENSD_INSE_IjEEEESG_SI_PmS8_NS6_8equal_toIiEEEE10hipError_tPvRmT2_T3_mT4_T5_T6_T7_T8_P12ihipStream_tbENKUlT_T0_E_clISt17integral_constantIbLb1EES13_EEDaSY_SZ_EUlSY_E_NS1_11comp_targetILNS1_3genE2ELNS1_11target_archE906ELNS1_3gpuE6ELNS1_3repE0EEENS1_30default_config_static_selectorELNS0_4arch9wavefront6targetE0EEEvT1_
	.p2align	8
	.type	_ZN7rocprim17ROCPRIM_400000_NS6detail17trampoline_kernelINS0_14default_configENS1_29reduce_by_key_config_selectorIijN6thrust23THRUST_200600_302600_NS4plusIjEEEEZZNS1_33reduce_by_key_impl_wrapped_configILNS1_25lookback_scan_determinismE0ES3_S9_NS6_6detail15normal_iteratorINS6_10device_ptrIiEEEENSD_INSE_IjEEEESG_SI_PmS8_NS6_8equal_toIiEEEE10hipError_tPvRmT2_T3_mT4_T5_T6_T7_T8_P12ihipStream_tbENKUlT_T0_E_clISt17integral_constantIbLb1EES13_EEDaSY_SZ_EUlSY_E_NS1_11comp_targetILNS1_3genE2ELNS1_11target_archE906ELNS1_3gpuE6ELNS1_3repE0EEENS1_30default_config_static_selectorELNS0_4arch9wavefront6targetE0EEEvT1_,@function
_ZN7rocprim17ROCPRIM_400000_NS6detail17trampoline_kernelINS0_14default_configENS1_29reduce_by_key_config_selectorIijN6thrust23THRUST_200600_302600_NS4plusIjEEEEZZNS1_33reduce_by_key_impl_wrapped_configILNS1_25lookback_scan_determinismE0ES3_S9_NS6_6detail15normal_iteratorINS6_10device_ptrIiEEEENSD_INSE_IjEEEESG_SI_PmS8_NS6_8equal_toIiEEEE10hipError_tPvRmT2_T3_mT4_T5_T6_T7_T8_P12ihipStream_tbENKUlT_T0_E_clISt17integral_constantIbLb1EES13_EEDaSY_SZ_EUlSY_E_NS1_11comp_targetILNS1_3genE2ELNS1_11target_archE906ELNS1_3gpuE6ELNS1_3repE0EEENS1_30default_config_static_selectorELNS0_4arch9wavefront6targetE0EEEvT1_: ; @_ZN7rocprim17ROCPRIM_400000_NS6detail17trampoline_kernelINS0_14default_configENS1_29reduce_by_key_config_selectorIijN6thrust23THRUST_200600_302600_NS4plusIjEEEEZZNS1_33reduce_by_key_impl_wrapped_configILNS1_25lookback_scan_determinismE0ES3_S9_NS6_6detail15normal_iteratorINS6_10device_ptrIiEEEENSD_INSE_IjEEEESG_SI_PmS8_NS6_8equal_toIiEEEE10hipError_tPvRmT2_T3_mT4_T5_T6_T7_T8_P12ihipStream_tbENKUlT_T0_E_clISt17integral_constantIbLb1EES13_EEDaSY_SZ_EUlSY_E_NS1_11comp_targetILNS1_3genE2ELNS1_11target_archE906ELNS1_3gpuE6ELNS1_3repE0EEENS1_30default_config_static_selectorELNS0_4arch9wavefront6targetE0EEEvT1_
; %bb.0:
	.section	.rodata,"a",@progbits
	.p2align	6, 0x0
	.amdhsa_kernel _ZN7rocprim17ROCPRIM_400000_NS6detail17trampoline_kernelINS0_14default_configENS1_29reduce_by_key_config_selectorIijN6thrust23THRUST_200600_302600_NS4plusIjEEEEZZNS1_33reduce_by_key_impl_wrapped_configILNS1_25lookback_scan_determinismE0ES3_S9_NS6_6detail15normal_iteratorINS6_10device_ptrIiEEEENSD_INSE_IjEEEESG_SI_PmS8_NS6_8equal_toIiEEEE10hipError_tPvRmT2_T3_mT4_T5_T6_T7_T8_P12ihipStream_tbENKUlT_T0_E_clISt17integral_constantIbLb1EES13_EEDaSY_SZ_EUlSY_E_NS1_11comp_targetILNS1_3genE2ELNS1_11target_archE906ELNS1_3gpuE6ELNS1_3repE0EEENS1_30default_config_static_selectorELNS0_4arch9wavefront6targetE0EEEvT1_
		.amdhsa_group_segment_fixed_size 0
		.amdhsa_private_segment_fixed_size 0
		.amdhsa_kernarg_size 120
		.amdhsa_user_sgpr_count 15
		.amdhsa_user_sgpr_dispatch_ptr 0
		.amdhsa_user_sgpr_queue_ptr 0
		.amdhsa_user_sgpr_kernarg_segment_ptr 1
		.amdhsa_user_sgpr_dispatch_id 0
		.amdhsa_user_sgpr_private_segment_size 0
		.amdhsa_wavefront_size32 1
		.amdhsa_uses_dynamic_stack 0
		.amdhsa_enable_private_segment 0
		.amdhsa_system_sgpr_workgroup_id_x 1
		.amdhsa_system_sgpr_workgroup_id_y 0
		.amdhsa_system_sgpr_workgroup_id_z 0
		.amdhsa_system_sgpr_workgroup_info 0
		.amdhsa_system_vgpr_workitem_id 0
		.amdhsa_next_free_vgpr 1
		.amdhsa_next_free_sgpr 1
		.amdhsa_reserve_vcc 0
		.amdhsa_float_round_mode_32 0
		.amdhsa_float_round_mode_16_64 0
		.amdhsa_float_denorm_mode_32 3
		.amdhsa_float_denorm_mode_16_64 3
		.amdhsa_dx10_clamp 1
		.amdhsa_ieee_mode 1
		.amdhsa_fp16_overflow 0
		.amdhsa_workgroup_processor_mode 1
		.amdhsa_memory_ordered 1
		.amdhsa_forward_progress 0
		.amdhsa_shared_vgpr_count 0
		.amdhsa_exception_fp_ieee_invalid_op 0
		.amdhsa_exception_fp_denorm_src 0
		.amdhsa_exception_fp_ieee_div_zero 0
		.amdhsa_exception_fp_ieee_overflow 0
		.amdhsa_exception_fp_ieee_underflow 0
		.amdhsa_exception_fp_ieee_inexact 0
		.amdhsa_exception_int_div_zero 0
	.end_amdhsa_kernel
	.section	.text._ZN7rocprim17ROCPRIM_400000_NS6detail17trampoline_kernelINS0_14default_configENS1_29reduce_by_key_config_selectorIijN6thrust23THRUST_200600_302600_NS4plusIjEEEEZZNS1_33reduce_by_key_impl_wrapped_configILNS1_25lookback_scan_determinismE0ES3_S9_NS6_6detail15normal_iteratorINS6_10device_ptrIiEEEENSD_INSE_IjEEEESG_SI_PmS8_NS6_8equal_toIiEEEE10hipError_tPvRmT2_T3_mT4_T5_T6_T7_T8_P12ihipStream_tbENKUlT_T0_E_clISt17integral_constantIbLb1EES13_EEDaSY_SZ_EUlSY_E_NS1_11comp_targetILNS1_3genE2ELNS1_11target_archE906ELNS1_3gpuE6ELNS1_3repE0EEENS1_30default_config_static_selectorELNS0_4arch9wavefront6targetE0EEEvT1_,"axG",@progbits,_ZN7rocprim17ROCPRIM_400000_NS6detail17trampoline_kernelINS0_14default_configENS1_29reduce_by_key_config_selectorIijN6thrust23THRUST_200600_302600_NS4plusIjEEEEZZNS1_33reduce_by_key_impl_wrapped_configILNS1_25lookback_scan_determinismE0ES3_S9_NS6_6detail15normal_iteratorINS6_10device_ptrIiEEEENSD_INSE_IjEEEESG_SI_PmS8_NS6_8equal_toIiEEEE10hipError_tPvRmT2_T3_mT4_T5_T6_T7_T8_P12ihipStream_tbENKUlT_T0_E_clISt17integral_constantIbLb1EES13_EEDaSY_SZ_EUlSY_E_NS1_11comp_targetILNS1_3genE2ELNS1_11target_archE906ELNS1_3gpuE6ELNS1_3repE0EEENS1_30default_config_static_selectorELNS0_4arch9wavefront6targetE0EEEvT1_,comdat
.Lfunc_end818:
	.size	_ZN7rocprim17ROCPRIM_400000_NS6detail17trampoline_kernelINS0_14default_configENS1_29reduce_by_key_config_selectorIijN6thrust23THRUST_200600_302600_NS4plusIjEEEEZZNS1_33reduce_by_key_impl_wrapped_configILNS1_25lookback_scan_determinismE0ES3_S9_NS6_6detail15normal_iteratorINS6_10device_ptrIiEEEENSD_INSE_IjEEEESG_SI_PmS8_NS6_8equal_toIiEEEE10hipError_tPvRmT2_T3_mT4_T5_T6_T7_T8_P12ihipStream_tbENKUlT_T0_E_clISt17integral_constantIbLb1EES13_EEDaSY_SZ_EUlSY_E_NS1_11comp_targetILNS1_3genE2ELNS1_11target_archE906ELNS1_3gpuE6ELNS1_3repE0EEENS1_30default_config_static_selectorELNS0_4arch9wavefront6targetE0EEEvT1_, .Lfunc_end818-_ZN7rocprim17ROCPRIM_400000_NS6detail17trampoline_kernelINS0_14default_configENS1_29reduce_by_key_config_selectorIijN6thrust23THRUST_200600_302600_NS4plusIjEEEEZZNS1_33reduce_by_key_impl_wrapped_configILNS1_25lookback_scan_determinismE0ES3_S9_NS6_6detail15normal_iteratorINS6_10device_ptrIiEEEENSD_INSE_IjEEEESG_SI_PmS8_NS6_8equal_toIiEEEE10hipError_tPvRmT2_T3_mT4_T5_T6_T7_T8_P12ihipStream_tbENKUlT_T0_E_clISt17integral_constantIbLb1EES13_EEDaSY_SZ_EUlSY_E_NS1_11comp_targetILNS1_3genE2ELNS1_11target_archE906ELNS1_3gpuE6ELNS1_3repE0EEENS1_30default_config_static_selectorELNS0_4arch9wavefront6targetE0EEEvT1_
                                        ; -- End function
	.section	.AMDGPU.csdata,"",@progbits
; Kernel info:
; codeLenInByte = 0
; NumSgprs: 0
; NumVgprs: 0
; ScratchSize: 0
; MemoryBound: 0
; FloatMode: 240
; IeeeMode: 1
; LDSByteSize: 0 bytes/workgroup (compile time only)
; SGPRBlocks: 0
; VGPRBlocks: 0
; NumSGPRsForWavesPerEU: 1
; NumVGPRsForWavesPerEU: 1
; Occupancy: 16
; WaveLimiterHint : 0
; COMPUTE_PGM_RSRC2:SCRATCH_EN: 0
; COMPUTE_PGM_RSRC2:USER_SGPR: 15
; COMPUTE_PGM_RSRC2:TRAP_HANDLER: 0
; COMPUTE_PGM_RSRC2:TGID_X_EN: 1
; COMPUTE_PGM_RSRC2:TGID_Y_EN: 0
; COMPUTE_PGM_RSRC2:TGID_Z_EN: 0
; COMPUTE_PGM_RSRC2:TIDIG_COMP_CNT: 0
	.section	.text._ZN7rocprim17ROCPRIM_400000_NS6detail17trampoline_kernelINS0_14default_configENS1_29reduce_by_key_config_selectorIijN6thrust23THRUST_200600_302600_NS4plusIjEEEEZZNS1_33reduce_by_key_impl_wrapped_configILNS1_25lookback_scan_determinismE0ES3_S9_NS6_6detail15normal_iteratorINS6_10device_ptrIiEEEENSD_INSE_IjEEEESG_SI_PmS8_NS6_8equal_toIiEEEE10hipError_tPvRmT2_T3_mT4_T5_T6_T7_T8_P12ihipStream_tbENKUlT_T0_E_clISt17integral_constantIbLb1EES13_EEDaSY_SZ_EUlSY_E_NS1_11comp_targetILNS1_3genE10ELNS1_11target_archE1201ELNS1_3gpuE5ELNS1_3repE0EEENS1_30default_config_static_selectorELNS0_4arch9wavefront6targetE0EEEvT1_,"axG",@progbits,_ZN7rocprim17ROCPRIM_400000_NS6detail17trampoline_kernelINS0_14default_configENS1_29reduce_by_key_config_selectorIijN6thrust23THRUST_200600_302600_NS4plusIjEEEEZZNS1_33reduce_by_key_impl_wrapped_configILNS1_25lookback_scan_determinismE0ES3_S9_NS6_6detail15normal_iteratorINS6_10device_ptrIiEEEENSD_INSE_IjEEEESG_SI_PmS8_NS6_8equal_toIiEEEE10hipError_tPvRmT2_T3_mT4_T5_T6_T7_T8_P12ihipStream_tbENKUlT_T0_E_clISt17integral_constantIbLb1EES13_EEDaSY_SZ_EUlSY_E_NS1_11comp_targetILNS1_3genE10ELNS1_11target_archE1201ELNS1_3gpuE5ELNS1_3repE0EEENS1_30default_config_static_selectorELNS0_4arch9wavefront6targetE0EEEvT1_,comdat
	.protected	_ZN7rocprim17ROCPRIM_400000_NS6detail17trampoline_kernelINS0_14default_configENS1_29reduce_by_key_config_selectorIijN6thrust23THRUST_200600_302600_NS4plusIjEEEEZZNS1_33reduce_by_key_impl_wrapped_configILNS1_25lookback_scan_determinismE0ES3_S9_NS6_6detail15normal_iteratorINS6_10device_ptrIiEEEENSD_INSE_IjEEEESG_SI_PmS8_NS6_8equal_toIiEEEE10hipError_tPvRmT2_T3_mT4_T5_T6_T7_T8_P12ihipStream_tbENKUlT_T0_E_clISt17integral_constantIbLb1EES13_EEDaSY_SZ_EUlSY_E_NS1_11comp_targetILNS1_3genE10ELNS1_11target_archE1201ELNS1_3gpuE5ELNS1_3repE0EEENS1_30default_config_static_selectorELNS0_4arch9wavefront6targetE0EEEvT1_ ; -- Begin function _ZN7rocprim17ROCPRIM_400000_NS6detail17trampoline_kernelINS0_14default_configENS1_29reduce_by_key_config_selectorIijN6thrust23THRUST_200600_302600_NS4plusIjEEEEZZNS1_33reduce_by_key_impl_wrapped_configILNS1_25lookback_scan_determinismE0ES3_S9_NS6_6detail15normal_iteratorINS6_10device_ptrIiEEEENSD_INSE_IjEEEESG_SI_PmS8_NS6_8equal_toIiEEEE10hipError_tPvRmT2_T3_mT4_T5_T6_T7_T8_P12ihipStream_tbENKUlT_T0_E_clISt17integral_constantIbLb1EES13_EEDaSY_SZ_EUlSY_E_NS1_11comp_targetILNS1_3genE10ELNS1_11target_archE1201ELNS1_3gpuE5ELNS1_3repE0EEENS1_30default_config_static_selectorELNS0_4arch9wavefront6targetE0EEEvT1_
	.globl	_ZN7rocprim17ROCPRIM_400000_NS6detail17trampoline_kernelINS0_14default_configENS1_29reduce_by_key_config_selectorIijN6thrust23THRUST_200600_302600_NS4plusIjEEEEZZNS1_33reduce_by_key_impl_wrapped_configILNS1_25lookback_scan_determinismE0ES3_S9_NS6_6detail15normal_iteratorINS6_10device_ptrIiEEEENSD_INSE_IjEEEESG_SI_PmS8_NS6_8equal_toIiEEEE10hipError_tPvRmT2_T3_mT4_T5_T6_T7_T8_P12ihipStream_tbENKUlT_T0_E_clISt17integral_constantIbLb1EES13_EEDaSY_SZ_EUlSY_E_NS1_11comp_targetILNS1_3genE10ELNS1_11target_archE1201ELNS1_3gpuE5ELNS1_3repE0EEENS1_30default_config_static_selectorELNS0_4arch9wavefront6targetE0EEEvT1_
	.p2align	8
	.type	_ZN7rocprim17ROCPRIM_400000_NS6detail17trampoline_kernelINS0_14default_configENS1_29reduce_by_key_config_selectorIijN6thrust23THRUST_200600_302600_NS4plusIjEEEEZZNS1_33reduce_by_key_impl_wrapped_configILNS1_25lookback_scan_determinismE0ES3_S9_NS6_6detail15normal_iteratorINS6_10device_ptrIiEEEENSD_INSE_IjEEEESG_SI_PmS8_NS6_8equal_toIiEEEE10hipError_tPvRmT2_T3_mT4_T5_T6_T7_T8_P12ihipStream_tbENKUlT_T0_E_clISt17integral_constantIbLb1EES13_EEDaSY_SZ_EUlSY_E_NS1_11comp_targetILNS1_3genE10ELNS1_11target_archE1201ELNS1_3gpuE5ELNS1_3repE0EEENS1_30default_config_static_selectorELNS0_4arch9wavefront6targetE0EEEvT1_,@function
_ZN7rocprim17ROCPRIM_400000_NS6detail17trampoline_kernelINS0_14default_configENS1_29reduce_by_key_config_selectorIijN6thrust23THRUST_200600_302600_NS4plusIjEEEEZZNS1_33reduce_by_key_impl_wrapped_configILNS1_25lookback_scan_determinismE0ES3_S9_NS6_6detail15normal_iteratorINS6_10device_ptrIiEEEENSD_INSE_IjEEEESG_SI_PmS8_NS6_8equal_toIiEEEE10hipError_tPvRmT2_T3_mT4_T5_T6_T7_T8_P12ihipStream_tbENKUlT_T0_E_clISt17integral_constantIbLb1EES13_EEDaSY_SZ_EUlSY_E_NS1_11comp_targetILNS1_3genE10ELNS1_11target_archE1201ELNS1_3gpuE5ELNS1_3repE0EEENS1_30default_config_static_selectorELNS0_4arch9wavefront6targetE0EEEvT1_: ; @_ZN7rocprim17ROCPRIM_400000_NS6detail17trampoline_kernelINS0_14default_configENS1_29reduce_by_key_config_selectorIijN6thrust23THRUST_200600_302600_NS4plusIjEEEEZZNS1_33reduce_by_key_impl_wrapped_configILNS1_25lookback_scan_determinismE0ES3_S9_NS6_6detail15normal_iteratorINS6_10device_ptrIiEEEENSD_INSE_IjEEEESG_SI_PmS8_NS6_8equal_toIiEEEE10hipError_tPvRmT2_T3_mT4_T5_T6_T7_T8_P12ihipStream_tbENKUlT_T0_E_clISt17integral_constantIbLb1EES13_EEDaSY_SZ_EUlSY_E_NS1_11comp_targetILNS1_3genE10ELNS1_11target_archE1201ELNS1_3gpuE5ELNS1_3repE0EEENS1_30default_config_static_selectorELNS0_4arch9wavefront6targetE0EEEvT1_
; %bb.0:
	.section	.rodata,"a",@progbits
	.p2align	6, 0x0
	.amdhsa_kernel _ZN7rocprim17ROCPRIM_400000_NS6detail17trampoline_kernelINS0_14default_configENS1_29reduce_by_key_config_selectorIijN6thrust23THRUST_200600_302600_NS4plusIjEEEEZZNS1_33reduce_by_key_impl_wrapped_configILNS1_25lookback_scan_determinismE0ES3_S9_NS6_6detail15normal_iteratorINS6_10device_ptrIiEEEENSD_INSE_IjEEEESG_SI_PmS8_NS6_8equal_toIiEEEE10hipError_tPvRmT2_T3_mT4_T5_T6_T7_T8_P12ihipStream_tbENKUlT_T0_E_clISt17integral_constantIbLb1EES13_EEDaSY_SZ_EUlSY_E_NS1_11comp_targetILNS1_3genE10ELNS1_11target_archE1201ELNS1_3gpuE5ELNS1_3repE0EEENS1_30default_config_static_selectorELNS0_4arch9wavefront6targetE0EEEvT1_
		.amdhsa_group_segment_fixed_size 0
		.amdhsa_private_segment_fixed_size 0
		.amdhsa_kernarg_size 120
		.amdhsa_user_sgpr_count 15
		.amdhsa_user_sgpr_dispatch_ptr 0
		.amdhsa_user_sgpr_queue_ptr 0
		.amdhsa_user_sgpr_kernarg_segment_ptr 1
		.amdhsa_user_sgpr_dispatch_id 0
		.amdhsa_user_sgpr_private_segment_size 0
		.amdhsa_wavefront_size32 1
		.amdhsa_uses_dynamic_stack 0
		.amdhsa_enable_private_segment 0
		.amdhsa_system_sgpr_workgroup_id_x 1
		.amdhsa_system_sgpr_workgroup_id_y 0
		.amdhsa_system_sgpr_workgroup_id_z 0
		.amdhsa_system_sgpr_workgroup_info 0
		.amdhsa_system_vgpr_workitem_id 0
		.amdhsa_next_free_vgpr 1
		.amdhsa_next_free_sgpr 1
		.amdhsa_reserve_vcc 0
		.amdhsa_float_round_mode_32 0
		.amdhsa_float_round_mode_16_64 0
		.amdhsa_float_denorm_mode_32 3
		.amdhsa_float_denorm_mode_16_64 3
		.amdhsa_dx10_clamp 1
		.amdhsa_ieee_mode 1
		.amdhsa_fp16_overflow 0
		.amdhsa_workgroup_processor_mode 1
		.amdhsa_memory_ordered 1
		.amdhsa_forward_progress 0
		.amdhsa_shared_vgpr_count 0
		.amdhsa_exception_fp_ieee_invalid_op 0
		.amdhsa_exception_fp_denorm_src 0
		.amdhsa_exception_fp_ieee_div_zero 0
		.amdhsa_exception_fp_ieee_overflow 0
		.amdhsa_exception_fp_ieee_underflow 0
		.amdhsa_exception_fp_ieee_inexact 0
		.amdhsa_exception_int_div_zero 0
	.end_amdhsa_kernel
	.section	.text._ZN7rocprim17ROCPRIM_400000_NS6detail17trampoline_kernelINS0_14default_configENS1_29reduce_by_key_config_selectorIijN6thrust23THRUST_200600_302600_NS4plusIjEEEEZZNS1_33reduce_by_key_impl_wrapped_configILNS1_25lookback_scan_determinismE0ES3_S9_NS6_6detail15normal_iteratorINS6_10device_ptrIiEEEENSD_INSE_IjEEEESG_SI_PmS8_NS6_8equal_toIiEEEE10hipError_tPvRmT2_T3_mT4_T5_T6_T7_T8_P12ihipStream_tbENKUlT_T0_E_clISt17integral_constantIbLb1EES13_EEDaSY_SZ_EUlSY_E_NS1_11comp_targetILNS1_3genE10ELNS1_11target_archE1201ELNS1_3gpuE5ELNS1_3repE0EEENS1_30default_config_static_selectorELNS0_4arch9wavefront6targetE0EEEvT1_,"axG",@progbits,_ZN7rocprim17ROCPRIM_400000_NS6detail17trampoline_kernelINS0_14default_configENS1_29reduce_by_key_config_selectorIijN6thrust23THRUST_200600_302600_NS4plusIjEEEEZZNS1_33reduce_by_key_impl_wrapped_configILNS1_25lookback_scan_determinismE0ES3_S9_NS6_6detail15normal_iteratorINS6_10device_ptrIiEEEENSD_INSE_IjEEEESG_SI_PmS8_NS6_8equal_toIiEEEE10hipError_tPvRmT2_T3_mT4_T5_T6_T7_T8_P12ihipStream_tbENKUlT_T0_E_clISt17integral_constantIbLb1EES13_EEDaSY_SZ_EUlSY_E_NS1_11comp_targetILNS1_3genE10ELNS1_11target_archE1201ELNS1_3gpuE5ELNS1_3repE0EEENS1_30default_config_static_selectorELNS0_4arch9wavefront6targetE0EEEvT1_,comdat
.Lfunc_end819:
	.size	_ZN7rocprim17ROCPRIM_400000_NS6detail17trampoline_kernelINS0_14default_configENS1_29reduce_by_key_config_selectorIijN6thrust23THRUST_200600_302600_NS4plusIjEEEEZZNS1_33reduce_by_key_impl_wrapped_configILNS1_25lookback_scan_determinismE0ES3_S9_NS6_6detail15normal_iteratorINS6_10device_ptrIiEEEENSD_INSE_IjEEEESG_SI_PmS8_NS6_8equal_toIiEEEE10hipError_tPvRmT2_T3_mT4_T5_T6_T7_T8_P12ihipStream_tbENKUlT_T0_E_clISt17integral_constantIbLb1EES13_EEDaSY_SZ_EUlSY_E_NS1_11comp_targetILNS1_3genE10ELNS1_11target_archE1201ELNS1_3gpuE5ELNS1_3repE0EEENS1_30default_config_static_selectorELNS0_4arch9wavefront6targetE0EEEvT1_, .Lfunc_end819-_ZN7rocprim17ROCPRIM_400000_NS6detail17trampoline_kernelINS0_14default_configENS1_29reduce_by_key_config_selectorIijN6thrust23THRUST_200600_302600_NS4plusIjEEEEZZNS1_33reduce_by_key_impl_wrapped_configILNS1_25lookback_scan_determinismE0ES3_S9_NS6_6detail15normal_iteratorINS6_10device_ptrIiEEEENSD_INSE_IjEEEESG_SI_PmS8_NS6_8equal_toIiEEEE10hipError_tPvRmT2_T3_mT4_T5_T6_T7_T8_P12ihipStream_tbENKUlT_T0_E_clISt17integral_constantIbLb1EES13_EEDaSY_SZ_EUlSY_E_NS1_11comp_targetILNS1_3genE10ELNS1_11target_archE1201ELNS1_3gpuE5ELNS1_3repE0EEENS1_30default_config_static_selectorELNS0_4arch9wavefront6targetE0EEEvT1_
                                        ; -- End function
	.section	.AMDGPU.csdata,"",@progbits
; Kernel info:
; codeLenInByte = 0
; NumSgprs: 0
; NumVgprs: 0
; ScratchSize: 0
; MemoryBound: 0
; FloatMode: 240
; IeeeMode: 1
; LDSByteSize: 0 bytes/workgroup (compile time only)
; SGPRBlocks: 0
; VGPRBlocks: 0
; NumSGPRsForWavesPerEU: 1
; NumVGPRsForWavesPerEU: 1
; Occupancy: 16
; WaveLimiterHint : 0
; COMPUTE_PGM_RSRC2:SCRATCH_EN: 0
; COMPUTE_PGM_RSRC2:USER_SGPR: 15
; COMPUTE_PGM_RSRC2:TRAP_HANDLER: 0
; COMPUTE_PGM_RSRC2:TGID_X_EN: 1
; COMPUTE_PGM_RSRC2:TGID_Y_EN: 0
; COMPUTE_PGM_RSRC2:TGID_Z_EN: 0
; COMPUTE_PGM_RSRC2:TIDIG_COMP_CNT: 0
	.section	.text._ZN7rocprim17ROCPRIM_400000_NS6detail17trampoline_kernelINS0_14default_configENS1_29reduce_by_key_config_selectorIijN6thrust23THRUST_200600_302600_NS4plusIjEEEEZZNS1_33reduce_by_key_impl_wrapped_configILNS1_25lookback_scan_determinismE0ES3_S9_NS6_6detail15normal_iteratorINS6_10device_ptrIiEEEENSD_INSE_IjEEEESG_SI_PmS8_NS6_8equal_toIiEEEE10hipError_tPvRmT2_T3_mT4_T5_T6_T7_T8_P12ihipStream_tbENKUlT_T0_E_clISt17integral_constantIbLb1EES13_EEDaSY_SZ_EUlSY_E_NS1_11comp_targetILNS1_3genE10ELNS1_11target_archE1200ELNS1_3gpuE4ELNS1_3repE0EEENS1_30default_config_static_selectorELNS0_4arch9wavefront6targetE0EEEvT1_,"axG",@progbits,_ZN7rocprim17ROCPRIM_400000_NS6detail17trampoline_kernelINS0_14default_configENS1_29reduce_by_key_config_selectorIijN6thrust23THRUST_200600_302600_NS4plusIjEEEEZZNS1_33reduce_by_key_impl_wrapped_configILNS1_25lookback_scan_determinismE0ES3_S9_NS6_6detail15normal_iteratorINS6_10device_ptrIiEEEENSD_INSE_IjEEEESG_SI_PmS8_NS6_8equal_toIiEEEE10hipError_tPvRmT2_T3_mT4_T5_T6_T7_T8_P12ihipStream_tbENKUlT_T0_E_clISt17integral_constantIbLb1EES13_EEDaSY_SZ_EUlSY_E_NS1_11comp_targetILNS1_3genE10ELNS1_11target_archE1200ELNS1_3gpuE4ELNS1_3repE0EEENS1_30default_config_static_selectorELNS0_4arch9wavefront6targetE0EEEvT1_,comdat
	.protected	_ZN7rocprim17ROCPRIM_400000_NS6detail17trampoline_kernelINS0_14default_configENS1_29reduce_by_key_config_selectorIijN6thrust23THRUST_200600_302600_NS4plusIjEEEEZZNS1_33reduce_by_key_impl_wrapped_configILNS1_25lookback_scan_determinismE0ES3_S9_NS6_6detail15normal_iteratorINS6_10device_ptrIiEEEENSD_INSE_IjEEEESG_SI_PmS8_NS6_8equal_toIiEEEE10hipError_tPvRmT2_T3_mT4_T5_T6_T7_T8_P12ihipStream_tbENKUlT_T0_E_clISt17integral_constantIbLb1EES13_EEDaSY_SZ_EUlSY_E_NS1_11comp_targetILNS1_3genE10ELNS1_11target_archE1200ELNS1_3gpuE4ELNS1_3repE0EEENS1_30default_config_static_selectorELNS0_4arch9wavefront6targetE0EEEvT1_ ; -- Begin function _ZN7rocprim17ROCPRIM_400000_NS6detail17trampoline_kernelINS0_14default_configENS1_29reduce_by_key_config_selectorIijN6thrust23THRUST_200600_302600_NS4plusIjEEEEZZNS1_33reduce_by_key_impl_wrapped_configILNS1_25lookback_scan_determinismE0ES3_S9_NS6_6detail15normal_iteratorINS6_10device_ptrIiEEEENSD_INSE_IjEEEESG_SI_PmS8_NS6_8equal_toIiEEEE10hipError_tPvRmT2_T3_mT4_T5_T6_T7_T8_P12ihipStream_tbENKUlT_T0_E_clISt17integral_constantIbLb1EES13_EEDaSY_SZ_EUlSY_E_NS1_11comp_targetILNS1_3genE10ELNS1_11target_archE1200ELNS1_3gpuE4ELNS1_3repE0EEENS1_30default_config_static_selectorELNS0_4arch9wavefront6targetE0EEEvT1_
	.globl	_ZN7rocprim17ROCPRIM_400000_NS6detail17trampoline_kernelINS0_14default_configENS1_29reduce_by_key_config_selectorIijN6thrust23THRUST_200600_302600_NS4plusIjEEEEZZNS1_33reduce_by_key_impl_wrapped_configILNS1_25lookback_scan_determinismE0ES3_S9_NS6_6detail15normal_iteratorINS6_10device_ptrIiEEEENSD_INSE_IjEEEESG_SI_PmS8_NS6_8equal_toIiEEEE10hipError_tPvRmT2_T3_mT4_T5_T6_T7_T8_P12ihipStream_tbENKUlT_T0_E_clISt17integral_constantIbLb1EES13_EEDaSY_SZ_EUlSY_E_NS1_11comp_targetILNS1_3genE10ELNS1_11target_archE1200ELNS1_3gpuE4ELNS1_3repE0EEENS1_30default_config_static_selectorELNS0_4arch9wavefront6targetE0EEEvT1_
	.p2align	8
	.type	_ZN7rocprim17ROCPRIM_400000_NS6detail17trampoline_kernelINS0_14default_configENS1_29reduce_by_key_config_selectorIijN6thrust23THRUST_200600_302600_NS4plusIjEEEEZZNS1_33reduce_by_key_impl_wrapped_configILNS1_25lookback_scan_determinismE0ES3_S9_NS6_6detail15normal_iteratorINS6_10device_ptrIiEEEENSD_INSE_IjEEEESG_SI_PmS8_NS6_8equal_toIiEEEE10hipError_tPvRmT2_T3_mT4_T5_T6_T7_T8_P12ihipStream_tbENKUlT_T0_E_clISt17integral_constantIbLb1EES13_EEDaSY_SZ_EUlSY_E_NS1_11comp_targetILNS1_3genE10ELNS1_11target_archE1200ELNS1_3gpuE4ELNS1_3repE0EEENS1_30default_config_static_selectorELNS0_4arch9wavefront6targetE0EEEvT1_,@function
_ZN7rocprim17ROCPRIM_400000_NS6detail17trampoline_kernelINS0_14default_configENS1_29reduce_by_key_config_selectorIijN6thrust23THRUST_200600_302600_NS4plusIjEEEEZZNS1_33reduce_by_key_impl_wrapped_configILNS1_25lookback_scan_determinismE0ES3_S9_NS6_6detail15normal_iteratorINS6_10device_ptrIiEEEENSD_INSE_IjEEEESG_SI_PmS8_NS6_8equal_toIiEEEE10hipError_tPvRmT2_T3_mT4_T5_T6_T7_T8_P12ihipStream_tbENKUlT_T0_E_clISt17integral_constantIbLb1EES13_EEDaSY_SZ_EUlSY_E_NS1_11comp_targetILNS1_3genE10ELNS1_11target_archE1200ELNS1_3gpuE4ELNS1_3repE0EEENS1_30default_config_static_selectorELNS0_4arch9wavefront6targetE0EEEvT1_: ; @_ZN7rocprim17ROCPRIM_400000_NS6detail17trampoline_kernelINS0_14default_configENS1_29reduce_by_key_config_selectorIijN6thrust23THRUST_200600_302600_NS4plusIjEEEEZZNS1_33reduce_by_key_impl_wrapped_configILNS1_25lookback_scan_determinismE0ES3_S9_NS6_6detail15normal_iteratorINS6_10device_ptrIiEEEENSD_INSE_IjEEEESG_SI_PmS8_NS6_8equal_toIiEEEE10hipError_tPvRmT2_T3_mT4_T5_T6_T7_T8_P12ihipStream_tbENKUlT_T0_E_clISt17integral_constantIbLb1EES13_EEDaSY_SZ_EUlSY_E_NS1_11comp_targetILNS1_3genE10ELNS1_11target_archE1200ELNS1_3gpuE4ELNS1_3repE0EEENS1_30default_config_static_selectorELNS0_4arch9wavefront6targetE0EEEvT1_
; %bb.0:
	.section	.rodata,"a",@progbits
	.p2align	6, 0x0
	.amdhsa_kernel _ZN7rocprim17ROCPRIM_400000_NS6detail17trampoline_kernelINS0_14default_configENS1_29reduce_by_key_config_selectorIijN6thrust23THRUST_200600_302600_NS4plusIjEEEEZZNS1_33reduce_by_key_impl_wrapped_configILNS1_25lookback_scan_determinismE0ES3_S9_NS6_6detail15normal_iteratorINS6_10device_ptrIiEEEENSD_INSE_IjEEEESG_SI_PmS8_NS6_8equal_toIiEEEE10hipError_tPvRmT2_T3_mT4_T5_T6_T7_T8_P12ihipStream_tbENKUlT_T0_E_clISt17integral_constantIbLb1EES13_EEDaSY_SZ_EUlSY_E_NS1_11comp_targetILNS1_3genE10ELNS1_11target_archE1200ELNS1_3gpuE4ELNS1_3repE0EEENS1_30default_config_static_selectorELNS0_4arch9wavefront6targetE0EEEvT1_
		.amdhsa_group_segment_fixed_size 0
		.amdhsa_private_segment_fixed_size 0
		.amdhsa_kernarg_size 120
		.amdhsa_user_sgpr_count 15
		.amdhsa_user_sgpr_dispatch_ptr 0
		.amdhsa_user_sgpr_queue_ptr 0
		.amdhsa_user_sgpr_kernarg_segment_ptr 1
		.amdhsa_user_sgpr_dispatch_id 0
		.amdhsa_user_sgpr_private_segment_size 0
		.amdhsa_wavefront_size32 1
		.amdhsa_uses_dynamic_stack 0
		.amdhsa_enable_private_segment 0
		.amdhsa_system_sgpr_workgroup_id_x 1
		.amdhsa_system_sgpr_workgroup_id_y 0
		.amdhsa_system_sgpr_workgroup_id_z 0
		.amdhsa_system_sgpr_workgroup_info 0
		.amdhsa_system_vgpr_workitem_id 0
		.amdhsa_next_free_vgpr 1
		.amdhsa_next_free_sgpr 1
		.amdhsa_reserve_vcc 0
		.amdhsa_float_round_mode_32 0
		.amdhsa_float_round_mode_16_64 0
		.amdhsa_float_denorm_mode_32 3
		.amdhsa_float_denorm_mode_16_64 3
		.amdhsa_dx10_clamp 1
		.amdhsa_ieee_mode 1
		.amdhsa_fp16_overflow 0
		.amdhsa_workgroup_processor_mode 1
		.amdhsa_memory_ordered 1
		.amdhsa_forward_progress 0
		.amdhsa_shared_vgpr_count 0
		.amdhsa_exception_fp_ieee_invalid_op 0
		.amdhsa_exception_fp_denorm_src 0
		.amdhsa_exception_fp_ieee_div_zero 0
		.amdhsa_exception_fp_ieee_overflow 0
		.amdhsa_exception_fp_ieee_underflow 0
		.amdhsa_exception_fp_ieee_inexact 0
		.amdhsa_exception_int_div_zero 0
	.end_amdhsa_kernel
	.section	.text._ZN7rocprim17ROCPRIM_400000_NS6detail17trampoline_kernelINS0_14default_configENS1_29reduce_by_key_config_selectorIijN6thrust23THRUST_200600_302600_NS4plusIjEEEEZZNS1_33reduce_by_key_impl_wrapped_configILNS1_25lookback_scan_determinismE0ES3_S9_NS6_6detail15normal_iteratorINS6_10device_ptrIiEEEENSD_INSE_IjEEEESG_SI_PmS8_NS6_8equal_toIiEEEE10hipError_tPvRmT2_T3_mT4_T5_T6_T7_T8_P12ihipStream_tbENKUlT_T0_E_clISt17integral_constantIbLb1EES13_EEDaSY_SZ_EUlSY_E_NS1_11comp_targetILNS1_3genE10ELNS1_11target_archE1200ELNS1_3gpuE4ELNS1_3repE0EEENS1_30default_config_static_selectorELNS0_4arch9wavefront6targetE0EEEvT1_,"axG",@progbits,_ZN7rocprim17ROCPRIM_400000_NS6detail17trampoline_kernelINS0_14default_configENS1_29reduce_by_key_config_selectorIijN6thrust23THRUST_200600_302600_NS4plusIjEEEEZZNS1_33reduce_by_key_impl_wrapped_configILNS1_25lookback_scan_determinismE0ES3_S9_NS6_6detail15normal_iteratorINS6_10device_ptrIiEEEENSD_INSE_IjEEEESG_SI_PmS8_NS6_8equal_toIiEEEE10hipError_tPvRmT2_T3_mT4_T5_T6_T7_T8_P12ihipStream_tbENKUlT_T0_E_clISt17integral_constantIbLb1EES13_EEDaSY_SZ_EUlSY_E_NS1_11comp_targetILNS1_3genE10ELNS1_11target_archE1200ELNS1_3gpuE4ELNS1_3repE0EEENS1_30default_config_static_selectorELNS0_4arch9wavefront6targetE0EEEvT1_,comdat
.Lfunc_end820:
	.size	_ZN7rocprim17ROCPRIM_400000_NS6detail17trampoline_kernelINS0_14default_configENS1_29reduce_by_key_config_selectorIijN6thrust23THRUST_200600_302600_NS4plusIjEEEEZZNS1_33reduce_by_key_impl_wrapped_configILNS1_25lookback_scan_determinismE0ES3_S9_NS6_6detail15normal_iteratorINS6_10device_ptrIiEEEENSD_INSE_IjEEEESG_SI_PmS8_NS6_8equal_toIiEEEE10hipError_tPvRmT2_T3_mT4_T5_T6_T7_T8_P12ihipStream_tbENKUlT_T0_E_clISt17integral_constantIbLb1EES13_EEDaSY_SZ_EUlSY_E_NS1_11comp_targetILNS1_3genE10ELNS1_11target_archE1200ELNS1_3gpuE4ELNS1_3repE0EEENS1_30default_config_static_selectorELNS0_4arch9wavefront6targetE0EEEvT1_, .Lfunc_end820-_ZN7rocprim17ROCPRIM_400000_NS6detail17trampoline_kernelINS0_14default_configENS1_29reduce_by_key_config_selectorIijN6thrust23THRUST_200600_302600_NS4plusIjEEEEZZNS1_33reduce_by_key_impl_wrapped_configILNS1_25lookback_scan_determinismE0ES3_S9_NS6_6detail15normal_iteratorINS6_10device_ptrIiEEEENSD_INSE_IjEEEESG_SI_PmS8_NS6_8equal_toIiEEEE10hipError_tPvRmT2_T3_mT4_T5_T6_T7_T8_P12ihipStream_tbENKUlT_T0_E_clISt17integral_constantIbLb1EES13_EEDaSY_SZ_EUlSY_E_NS1_11comp_targetILNS1_3genE10ELNS1_11target_archE1200ELNS1_3gpuE4ELNS1_3repE0EEENS1_30default_config_static_selectorELNS0_4arch9wavefront6targetE0EEEvT1_
                                        ; -- End function
	.section	.AMDGPU.csdata,"",@progbits
; Kernel info:
; codeLenInByte = 0
; NumSgprs: 0
; NumVgprs: 0
; ScratchSize: 0
; MemoryBound: 0
; FloatMode: 240
; IeeeMode: 1
; LDSByteSize: 0 bytes/workgroup (compile time only)
; SGPRBlocks: 0
; VGPRBlocks: 0
; NumSGPRsForWavesPerEU: 1
; NumVGPRsForWavesPerEU: 1
; Occupancy: 16
; WaveLimiterHint : 0
; COMPUTE_PGM_RSRC2:SCRATCH_EN: 0
; COMPUTE_PGM_RSRC2:USER_SGPR: 15
; COMPUTE_PGM_RSRC2:TRAP_HANDLER: 0
; COMPUTE_PGM_RSRC2:TGID_X_EN: 1
; COMPUTE_PGM_RSRC2:TGID_Y_EN: 0
; COMPUTE_PGM_RSRC2:TGID_Z_EN: 0
; COMPUTE_PGM_RSRC2:TIDIG_COMP_CNT: 0
	.section	.text._ZN7rocprim17ROCPRIM_400000_NS6detail17trampoline_kernelINS0_14default_configENS1_29reduce_by_key_config_selectorIijN6thrust23THRUST_200600_302600_NS4plusIjEEEEZZNS1_33reduce_by_key_impl_wrapped_configILNS1_25lookback_scan_determinismE0ES3_S9_NS6_6detail15normal_iteratorINS6_10device_ptrIiEEEENSD_INSE_IjEEEESG_SI_PmS8_NS6_8equal_toIiEEEE10hipError_tPvRmT2_T3_mT4_T5_T6_T7_T8_P12ihipStream_tbENKUlT_T0_E_clISt17integral_constantIbLb1EES13_EEDaSY_SZ_EUlSY_E_NS1_11comp_targetILNS1_3genE9ELNS1_11target_archE1100ELNS1_3gpuE3ELNS1_3repE0EEENS1_30default_config_static_selectorELNS0_4arch9wavefront6targetE0EEEvT1_,"axG",@progbits,_ZN7rocprim17ROCPRIM_400000_NS6detail17trampoline_kernelINS0_14default_configENS1_29reduce_by_key_config_selectorIijN6thrust23THRUST_200600_302600_NS4plusIjEEEEZZNS1_33reduce_by_key_impl_wrapped_configILNS1_25lookback_scan_determinismE0ES3_S9_NS6_6detail15normal_iteratorINS6_10device_ptrIiEEEENSD_INSE_IjEEEESG_SI_PmS8_NS6_8equal_toIiEEEE10hipError_tPvRmT2_T3_mT4_T5_T6_T7_T8_P12ihipStream_tbENKUlT_T0_E_clISt17integral_constantIbLb1EES13_EEDaSY_SZ_EUlSY_E_NS1_11comp_targetILNS1_3genE9ELNS1_11target_archE1100ELNS1_3gpuE3ELNS1_3repE0EEENS1_30default_config_static_selectorELNS0_4arch9wavefront6targetE0EEEvT1_,comdat
	.protected	_ZN7rocprim17ROCPRIM_400000_NS6detail17trampoline_kernelINS0_14default_configENS1_29reduce_by_key_config_selectorIijN6thrust23THRUST_200600_302600_NS4plusIjEEEEZZNS1_33reduce_by_key_impl_wrapped_configILNS1_25lookback_scan_determinismE0ES3_S9_NS6_6detail15normal_iteratorINS6_10device_ptrIiEEEENSD_INSE_IjEEEESG_SI_PmS8_NS6_8equal_toIiEEEE10hipError_tPvRmT2_T3_mT4_T5_T6_T7_T8_P12ihipStream_tbENKUlT_T0_E_clISt17integral_constantIbLb1EES13_EEDaSY_SZ_EUlSY_E_NS1_11comp_targetILNS1_3genE9ELNS1_11target_archE1100ELNS1_3gpuE3ELNS1_3repE0EEENS1_30default_config_static_selectorELNS0_4arch9wavefront6targetE0EEEvT1_ ; -- Begin function _ZN7rocprim17ROCPRIM_400000_NS6detail17trampoline_kernelINS0_14default_configENS1_29reduce_by_key_config_selectorIijN6thrust23THRUST_200600_302600_NS4plusIjEEEEZZNS1_33reduce_by_key_impl_wrapped_configILNS1_25lookback_scan_determinismE0ES3_S9_NS6_6detail15normal_iteratorINS6_10device_ptrIiEEEENSD_INSE_IjEEEESG_SI_PmS8_NS6_8equal_toIiEEEE10hipError_tPvRmT2_T3_mT4_T5_T6_T7_T8_P12ihipStream_tbENKUlT_T0_E_clISt17integral_constantIbLb1EES13_EEDaSY_SZ_EUlSY_E_NS1_11comp_targetILNS1_3genE9ELNS1_11target_archE1100ELNS1_3gpuE3ELNS1_3repE0EEENS1_30default_config_static_selectorELNS0_4arch9wavefront6targetE0EEEvT1_
	.globl	_ZN7rocprim17ROCPRIM_400000_NS6detail17trampoline_kernelINS0_14default_configENS1_29reduce_by_key_config_selectorIijN6thrust23THRUST_200600_302600_NS4plusIjEEEEZZNS1_33reduce_by_key_impl_wrapped_configILNS1_25lookback_scan_determinismE0ES3_S9_NS6_6detail15normal_iteratorINS6_10device_ptrIiEEEENSD_INSE_IjEEEESG_SI_PmS8_NS6_8equal_toIiEEEE10hipError_tPvRmT2_T3_mT4_T5_T6_T7_T8_P12ihipStream_tbENKUlT_T0_E_clISt17integral_constantIbLb1EES13_EEDaSY_SZ_EUlSY_E_NS1_11comp_targetILNS1_3genE9ELNS1_11target_archE1100ELNS1_3gpuE3ELNS1_3repE0EEENS1_30default_config_static_selectorELNS0_4arch9wavefront6targetE0EEEvT1_
	.p2align	8
	.type	_ZN7rocprim17ROCPRIM_400000_NS6detail17trampoline_kernelINS0_14default_configENS1_29reduce_by_key_config_selectorIijN6thrust23THRUST_200600_302600_NS4plusIjEEEEZZNS1_33reduce_by_key_impl_wrapped_configILNS1_25lookback_scan_determinismE0ES3_S9_NS6_6detail15normal_iteratorINS6_10device_ptrIiEEEENSD_INSE_IjEEEESG_SI_PmS8_NS6_8equal_toIiEEEE10hipError_tPvRmT2_T3_mT4_T5_T6_T7_T8_P12ihipStream_tbENKUlT_T0_E_clISt17integral_constantIbLb1EES13_EEDaSY_SZ_EUlSY_E_NS1_11comp_targetILNS1_3genE9ELNS1_11target_archE1100ELNS1_3gpuE3ELNS1_3repE0EEENS1_30default_config_static_selectorELNS0_4arch9wavefront6targetE0EEEvT1_,@function
_ZN7rocprim17ROCPRIM_400000_NS6detail17trampoline_kernelINS0_14default_configENS1_29reduce_by_key_config_selectorIijN6thrust23THRUST_200600_302600_NS4plusIjEEEEZZNS1_33reduce_by_key_impl_wrapped_configILNS1_25lookback_scan_determinismE0ES3_S9_NS6_6detail15normal_iteratorINS6_10device_ptrIiEEEENSD_INSE_IjEEEESG_SI_PmS8_NS6_8equal_toIiEEEE10hipError_tPvRmT2_T3_mT4_T5_T6_T7_T8_P12ihipStream_tbENKUlT_T0_E_clISt17integral_constantIbLb1EES13_EEDaSY_SZ_EUlSY_E_NS1_11comp_targetILNS1_3genE9ELNS1_11target_archE1100ELNS1_3gpuE3ELNS1_3repE0EEENS1_30default_config_static_selectorELNS0_4arch9wavefront6targetE0EEEvT1_: ; @_ZN7rocprim17ROCPRIM_400000_NS6detail17trampoline_kernelINS0_14default_configENS1_29reduce_by_key_config_selectorIijN6thrust23THRUST_200600_302600_NS4plusIjEEEEZZNS1_33reduce_by_key_impl_wrapped_configILNS1_25lookback_scan_determinismE0ES3_S9_NS6_6detail15normal_iteratorINS6_10device_ptrIiEEEENSD_INSE_IjEEEESG_SI_PmS8_NS6_8equal_toIiEEEE10hipError_tPvRmT2_T3_mT4_T5_T6_T7_T8_P12ihipStream_tbENKUlT_T0_E_clISt17integral_constantIbLb1EES13_EEDaSY_SZ_EUlSY_E_NS1_11comp_targetILNS1_3genE9ELNS1_11target_archE1100ELNS1_3gpuE3ELNS1_3repE0EEENS1_30default_config_static_selectorELNS0_4arch9wavefront6targetE0EEEvT1_
; %bb.0:
	s_clause 0x4
	s_load_b256 s[20:27], s[0:1], 0x0
	s_load_b128 s[28:31], s[0:1], 0x20
	s_load_b256 s[36:43], s[0:1], 0x38
	s_load_b64 s[34:35], s[0:1], 0x68
	s_load_b128 s[44:47], s[0:1], 0x58
	v_cmp_ne_u32_e64 s3, 0, v0
	v_cmp_eq_u32_e64 s2, 0, v0
	s_delay_alu instid0(VALU_DEP_1)
	s_and_saveexec_b32 s4, s2
	s_cbranch_execz .LBB821_4
; %bb.1:
	s_mov_b32 s6, exec_lo
	s_mov_b32 s5, exec_lo
	v_mbcnt_lo_u32_b32 v1, s6, 0
                                        ; implicit-def: $vgpr2
	s_delay_alu instid0(VALU_DEP_1)
	v_cmpx_eq_u32_e32 0, v1
	s_cbranch_execz .LBB821_3
; %bb.2:
	s_load_b64 s[0:1], s[0:1], 0x70
	s_bcnt1_i32_b32 s6, s6
	s_delay_alu instid0(SALU_CYCLE_1)
	v_dual_mov_b32 v2, 0 :: v_dual_mov_b32 v3, s6
	s_waitcnt lgkmcnt(0)
	global_atomic_add_u32 v2, v2, v3, s[0:1] glc
.LBB821_3:
	s_or_b32 exec_lo, exec_lo, s5
	s_waitcnt vmcnt(0)
	v_readfirstlane_b32 s0, v2
	s_delay_alu instid0(VALU_DEP_1)
	v_dual_mov_b32 v2, 0 :: v_dual_add_nc_u32 v1, s0, v1
	ds_store_b32 v2, v1
.LBB821_4:
	s_or_b32 exec_lo, exec_lo, s4
	v_mov_b32_e32 v2, 0
	s_waitcnt lgkmcnt(0)
	s_barrier
	buffer_gl0_inv
	s_lshl_b64 s[4:5], s[22:23], 2
	ds_load_b32 v1, v2
	s_add_u32 s9, s20, s4
	s_mul_i32 s1, s40, s39
	s_mul_hi_u32 s6, s40, s38
	s_addc_u32 s10, s21, s5
	s_add_u32 s11, s24, s4
	s_mul_i32 s7, s41, s38
	s_addc_u32 s12, s25, s5
	s_add_i32 s1, s6, s1
	s_mul_i32 s8, s40, s38
	s_add_i32 s1, s1, s7
	s_mov_b32 s0, 0
	s_waitcnt lgkmcnt(0)
	s_barrier
	buffer_gl0_inv
	v_readfirstlane_b32 s48, v1
	v_mul_lo_u32 v1, 0xf00, v1
	s_delay_alu instid0(VALU_DEP_2) | instskip(SKIP_3) | instid1(VALU_DEP_1)
	s_add_u32 s18, s8, s48
	s_addc_u32 s19, s1, 0
	s_add_u32 s4, s42, -1
	s_addc_u32 s5, s43, -1
	v_lshlrev_b64 v[3:4], 2, v[1:2]
	s_cmp_eq_u64 s[18:19], s[4:5]
	s_mul_i32 s40, s4, 0xfffff100
	s_cselect_b32 s33, -1, 0
	s_cmp_lg_u64 s[18:19], s[4:5]
	s_delay_alu instid0(VALU_DEP_1)
	v_add_co_u32 v2, vcc_lo, s9, v3
	v_add_co_ci_u32_e32 v1, vcc_lo, s10, v4, vcc_lo
	v_add_co_u32 v3, vcc_lo, s11, v3
	v_add_co_ci_u32_e32 v4, vcc_lo, s12, v4, vcc_lo
	s_cselect_b32 s17, -1, 0
	s_and_b32 vcc_lo, exec_lo, s33
	s_cbranch_vccnz .LBB821_6
; %bb.5:
	v_lshlrev_b32_e32 v29, 2, v0
	s_delay_alu instid0(VALU_DEP_1) | instskip(SKIP_1) | instid1(VALU_DEP_2)
	v_add_co_u32 v5, vcc_lo, v2, v29
	v_add_co_ci_u32_e32 v6, vcc_lo, 0, v1, vcc_lo
	v_add_co_u32 v7, vcc_lo, 0x1000, v5
	s_delay_alu instid0(VALU_DEP_2)
	v_add_co_ci_u32_e32 v8, vcc_lo, 0, v6, vcc_lo
	s_clause 0x7
	flat_load_b32 v9, v[5:6]
	flat_load_b32 v10, v[5:6] offset:1024
	flat_load_b32 v11, v[5:6] offset:2048
	;; [unrolled: 1-line block ×3, first 2 shown]
	flat_load_b32 v13, v[7:8]
	flat_load_b32 v14, v[7:8] offset:1024
	flat_load_b32 v15, v[7:8] offset:2048
	;; [unrolled: 1-line block ×3, first 2 shown]
	v_add_co_u32 v7, vcc_lo, 0x2000, v5
	v_add_co_ci_u32_e32 v8, vcc_lo, 0, v6, vcc_lo
	v_add_co_u32 v5, vcc_lo, 0x3000, v5
	v_add_co_ci_u32_e32 v6, vcc_lo, 0, v6, vcc_lo
	s_clause 0x6
	flat_load_b32 v17, v[7:8]
	flat_load_b32 v18, v[7:8] offset:1024
	flat_load_b32 v19, v[7:8] offset:2048
	;; [unrolled: 1-line block ×3, first 2 shown]
	flat_load_b32 v20, v[5:6]
	flat_load_b32 v21, v[5:6] offset:1024
	flat_load_b32 v22, v[5:6] offset:2048
	v_add_co_u32 v6, vcc_lo, v3, v29
	v_add_co_ci_u32_e32 v7, vcc_lo, 0, v4, vcc_lo
	v_mad_u32_u24 v5, v0, 56, v29
	s_delay_alu instid0(VALU_DEP_3) | instskip(NEXT) | instid1(VALU_DEP_3)
	v_add_co_u32 v23, vcc_lo, 0x1000, v6
	v_add_co_ci_u32_e32 v24, vcc_lo, 0, v7, vcc_lo
	v_add_co_u32 v25, vcc_lo, 0x2000, v6
	v_add_co_ci_u32_e32 v26, vcc_lo, 0, v7, vcc_lo
	;; [unrolled: 2-line block ×3, first 2 shown]
	s_waitcnt vmcnt(13) lgkmcnt(13)
	ds_store_2addr_stride64_b32 v29, v9, v10 offset1:4
	s_waitcnt vmcnt(11) lgkmcnt(12)
	ds_store_2addr_stride64_b32 v29, v11, v12 offset0:8 offset1:12
	s_waitcnt vmcnt(9) lgkmcnt(11)
	ds_store_2addr_stride64_b32 v29, v13, v14 offset0:16 offset1:20
	;; [unrolled: 2-line block ×6, first 2 shown]
	s_waitcnt vmcnt(0) lgkmcnt(7)
	ds_store_b32 v29, v22 offset:14336
	s_waitcnt lgkmcnt(0)
	s_barrier
	buffer_gl0_inv
	ds_load_2addr_b32 v[21:22], v5 offset1:1
	ds_load_2addr_b32 v[19:20], v5 offset0:2 offset1:3
	ds_load_2addr_b32 v[17:18], v5 offset0:4 offset1:5
	;; [unrolled: 1-line block ×6, first 2 shown]
	ds_load_b32 v63, v5 offset:56
	s_waitcnt lgkmcnt(0)
	s_barrier
	buffer_gl0_inv
	s_clause 0xe
	flat_load_b32 v8, v[6:7]
	flat_load_b32 v30, v[6:7] offset:1024
	flat_load_b32 v31, v[6:7] offset:2048
	flat_load_b32 v6, v[6:7] offset:3072
	flat_load_b32 v7, v[23:24]
	flat_load_b32 v32, v[23:24] offset:1024
	flat_load_b32 v33, v[23:24] offset:2048
	flat_load_b32 v23, v[23:24] offset:3072
	;; [unrolled: 4-line block ×3, first 2 shown]
	flat_load_b32 v26, v[27:28]
	flat_load_b32 v36, v[27:28] offset:1024
	flat_load_b32 v27, v[27:28] offset:2048
	s_waitcnt vmcnt(13) lgkmcnt(13)
	ds_store_2addr_stride64_b32 v29, v8, v30 offset1:4
	s_waitcnt vmcnt(11) lgkmcnt(12)
	ds_store_2addr_stride64_b32 v29, v31, v6 offset0:8 offset1:12
	s_waitcnt vmcnt(9) lgkmcnt(11)
	ds_store_2addr_stride64_b32 v29, v7, v32 offset0:16 offset1:20
	;; [unrolled: 2-line block ×6, first 2 shown]
	s_waitcnt vmcnt(0) lgkmcnt(7)
	ds_store_b32 v29, v27 offset:14336
	s_waitcnt lgkmcnt(0)
	s_barrier
	s_and_not1_b32 vcc_lo, exec_lo, s0
	s_add_i32 s40, s40, s44
	s_cbranch_vccz .LBB821_7
	s_branch .LBB821_54
.LBB821_6:
                                        ; implicit-def: $vgpr5
                                        ; implicit-def: $vgpr21
                                        ; implicit-def: $vgpr19
                                        ; implicit-def: $vgpr17
                                        ; implicit-def: $vgpr15
                                        ; implicit-def: $vgpr13
                                        ; implicit-def: $vgpr11
                                        ; implicit-def: $vgpr9
                                        ; implicit-def: $vgpr63
	s_add_i32 s40, s40, s44
.LBB821_7:
	s_delay_alu instid0(SALU_CYCLE_1)
	v_cmp_gt_u32_e32 vcc_lo, s40, v0
                                        ; implicit-def: $vgpr5
	s_and_saveexec_b32 s1, vcc_lo
	s_cbranch_execz .LBB821_9
; %bb.8:
	v_lshlrev_b32_e32 v5, 2, v0
	s_delay_alu instid0(VALU_DEP_1) | instskip(NEXT) | instid1(VALU_DEP_1)
	v_add_co_u32 v5, s0, v2, v5
	v_add_co_ci_u32_e64 v6, s0, 0, v1, s0
	flat_load_b32 v5, v[5:6]
.LBB821_9:
	s_or_b32 exec_lo, exec_lo, s1
	v_or_b32_e32 v6, 0x100, v0
                                        ; implicit-def: $vgpr9
	s_delay_alu instid0(VALU_DEP_1) | instskip(NEXT) | instid1(VALU_DEP_1)
	v_cmp_gt_u32_e64 s0, s40, v6
	s_and_saveexec_b32 s4, s0
	s_cbranch_execz .LBB821_11
; %bb.10:
	v_lshlrev_b32_e32 v6, 2, v0
	s_delay_alu instid0(VALU_DEP_1) | instskip(NEXT) | instid1(VALU_DEP_1)
	v_add_co_u32 v6, s1, v2, v6
	v_add_co_ci_u32_e64 v7, s1, 0, v1, s1
	flat_load_b32 v9, v[6:7] offset:1024
.LBB821_11:
	s_or_b32 exec_lo, exec_lo, s4
	v_or_b32_e32 v6, 0x200, v0
                                        ; implicit-def: $vgpr10
	s_delay_alu instid0(VALU_DEP_1) | instskip(NEXT) | instid1(VALU_DEP_1)
	v_cmp_gt_u32_e64 s1, s40, v6
	s_and_saveexec_b32 s5, s1
	s_cbranch_execz .LBB821_13
; %bb.12:
	v_lshlrev_b32_e32 v6, 2, v0
	s_delay_alu instid0(VALU_DEP_1) | instskip(NEXT) | instid1(VALU_DEP_1)
	v_add_co_u32 v6, s4, v2, v6
	v_add_co_ci_u32_e64 v7, s4, 0, v1, s4
	flat_load_b32 v10, v[6:7] offset:2048
.LBB821_13:
	s_or_b32 exec_lo, exec_lo, s5
	v_or_b32_e32 v6, 0x300, v0
                                        ; implicit-def: $vgpr11
	s_delay_alu instid0(VALU_DEP_1) | instskip(NEXT) | instid1(VALU_DEP_1)
	v_cmp_gt_u32_e64 s4, s40, v6
	s_and_saveexec_b32 s6, s4
	s_cbranch_execz .LBB821_15
; %bb.14:
	v_lshlrev_b32_e32 v6, 2, v0
	s_delay_alu instid0(VALU_DEP_1) | instskip(NEXT) | instid1(VALU_DEP_1)
	v_add_co_u32 v6, s5, v2, v6
	v_add_co_ci_u32_e64 v7, s5, 0, v1, s5
	flat_load_b32 v11, v[6:7] offset:3072
.LBB821_15:
	s_or_b32 exec_lo, exec_lo, s6
	v_or_b32_e32 v6, 0x400, v0
                                        ; implicit-def: $vgpr12
	s_delay_alu instid0(VALU_DEP_1) | instskip(NEXT) | instid1(VALU_DEP_1)
	v_cmp_gt_u32_e64 s5, s40, v6
	s_and_saveexec_b32 s7, s5
	s_cbranch_execz .LBB821_17
; %bb.16:
	v_lshlrev_b32_e32 v7, 2, v6
	s_delay_alu instid0(VALU_DEP_1) | instskip(NEXT) | instid1(VALU_DEP_1)
	v_add_co_u32 v7, s6, v2, v7
	v_add_co_ci_u32_e64 v8, s6, 0, v1, s6
	flat_load_b32 v12, v[7:8]
.LBB821_17:
	s_or_b32 exec_lo, exec_lo, s7
	v_or_b32_e32 v7, 0x500, v0
                                        ; implicit-def: $vgpr13
	s_delay_alu instid0(VALU_DEP_1) | instskip(NEXT) | instid1(VALU_DEP_1)
	v_cmp_gt_u32_e64 s6, s40, v7
	s_and_saveexec_b32 s8, s6
	s_cbranch_execz .LBB821_19
; %bb.18:
	v_lshlrev_b32_e32 v8, 2, v7
	s_delay_alu instid0(VALU_DEP_1) | instskip(NEXT) | instid1(VALU_DEP_1)
	v_add_co_u32 v13, s7, v2, v8
	v_add_co_ci_u32_e64 v14, s7, 0, v1, s7
	flat_load_b32 v13, v[13:14]
.LBB821_19:
	s_or_b32 exec_lo, exec_lo, s8
	v_or_b32_e32 v8, 0x600, v0
                                        ; implicit-def: $vgpr14
	s_delay_alu instid0(VALU_DEP_1) | instskip(NEXT) | instid1(VALU_DEP_1)
	v_cmp_gt_u32_e64 s7, s40, v8
	s_and_saveexec_b32 s9, s7
	s_cbranch_execz .LBB821_21
; %bb.20:
	v_lshlrev_b32_e32 v14, 2, v8
	s_delay_alu instid0(VALU_DEP_1) | instskip(NEXT) | instid1(VALU_DEP_1)
	v_add_co_u32 v14, s8, v2, v14
	v_add_co_ci_u32_e64 v15, s8, 0, v1, s8
	flat_load_b32 v14, v[14:15]
.LBB821_21:
	s_or_b32 exec_lo, exec_lo, s9
	v_or_b32_e32 v23, 0x700, v0
                                        ; implicit-def: $vgpr15
	s_delay_alu instid0(VALU_DEP_1) | instskip(NEXT) | instid1(VALU_DEP_1)
	v_cmp_gt_u32_e64 s8, s40, v23
	s_and_saveexec_b32 s10, s8
	s_cbranch_execz .LBB821_23
; %bb.22:
	v_lshlrev_b32_e32 v15, 2, v23
	s_delay_alu instid0(VALU_DEP_1) | instskip(NEXT) | instid1(VALU_DEP_1)
	v_add_co_u32 v15, s9, v2, v15
	v_add_co_ci_u32_e64 v16, s9, 0, v1, s9
	flat_load_b32 v15, v[15:16]
.LBB821_23:
	s_or_b32 exec_lo, exec_lo, s10
	v_or_b32_e32 v24, 0x800, v0
                                        ; implicit-def: $vgpr16
	s_delay_alu instid0(VALU_DEP_1) | instskip(NEXT) | instid1(VALU_DEP_1)
	v_cmp_gt_u32_e64 s9, s40, v24
	s_and_saveexec_b32 s11, s9
	s_cbranch_execz .LBB821_25
; %bb.24:
	v_lshlrev_b32_e32 v16, 2, v24
	s_delay_alu instid0(VALU_DEP_1) | instskip(NEXT) | instid1(VALU_DEP_1)
	v_add_co_u32 v16, s10, v2, v16
	v_add_co_ci_u32_e64 v17, s10, 0, v1, s10
	flat_load_b32 v16, v[16:17]
.LBB821_25:
	s_or_b32 exec_lo, exec_lo, s11
	v_or_b32_e32 v26, 0x900, v0
                                        ; implicit-def: $vgpr17
	s_delay_alu instid0(VALU_DEP_1) | instskip(NEXT) | instid1(VALU_DEP_1)
	v_cmp_gt_u32_e64 s10, s40, v26
	s_and_saveexec_b32 s12, s10
	s_cbranch_execz .LBB821_27
; %bb.26:
	v_lshlrev_b32_e32 v17, 2, v26
	s_delay_alu instid0(VALU_DEP_1) | instskip(NEXT) | instid1(VALU_DEP_1)
	v_add_co_u32 v17, s11, v2, v17
	v_add_co_ci_u32_e64 v18, s11, 0, v1, s11
	flat_load_b32 v17, v[17:18]
.LBB821_27:
	s_or_b32 exec_lo, exec_lo, s12
	v_or_b32_e32 v27, 0xa00, v0
                                        ; implicit-def: $vgpr18
	s_delay_alu instid0(VALU_DEP_1) | instskip(NEXT) | instid1(VALU_DEP_1)
	v_cmp_gt_u32_e64 s11, s40, v27
	s_and_saveexec_b32 s13, s11
	s_cbranch_execz .LBB821_29
; %bb.28:
	v_lshlrev_b32_e32 v18, 2, v27
	s_delay_alu instid0(VALU_DEP_1) | instskip(NEXT) | instid1(VALU_DEP_1)
	v_add_co_u32 v18, s12, v2, v18
	v_add_co_ci_u32_e64 v19, s12, 0, v1, s12
	flat_load_b32 v18, v[18:19]
.LBB821_29:
	s_or_b32 exec_lo, exec_lo, s13
	v_or_b32_e32 v28, 0xb00, v0
                                        ; implicit-def: $vgpr19
	s_delay_alu instid0(VALU_DEP_1) | instskip(NEXT) | instid1(VALU_DEP_1)
	v_cmp_gt_u32_e64 s12, s40, v28
	s_and_saveexec_b32 s14, s12
	s_cbranch_execz .LBB821_31
; %bb.30:
	v_lshlrev_b32_e32 v19, 2, v28
	s_delay_alu instid0(VALU_DEP_1) | instskip(NEXT) | instid1(VALU_DEP_1)
	v_add_co_u32 v19, s13, v2, v19
	v_add_co_ci_u32_e64 v20, s13, 0, v1, s13
	flat_load_b32 v19, v[19:20]
.LBB821_31:
	s_or_b32 exec_lo, exec_lo, s14
	v_or_b32_e32 v29, 0xc00, v0
                                        ; implicit-def: $vgpr20
	s_delay_alu instid0(VALU_DEP_1) | instskip(NEXT) | instid1(VALU_DEP_1)
	v_cmp_gt_u32_e64 s13, s40, v29
	s_and_saveexec_b32 s15, s13
	s_cbranch_execz .LBB821_33
; %bb.32:
	v_lshlrev_b32_e32 v20, 2, v29
	s_delay_alu instid0(VALU_DEP_1) | instskip(NEXT) | instid1(VALU_DEP_1)
	v_add_co_u32 v20, s14, v2, v20
	v_add_co_ci_u32_e64 v21, s14, 0, v1, s14
	flat_load_b32 v20, v[20:21]
.LBB821_33:
	s_or_b32 exec_lo, exec_lo, s15
	v_or_b32_e32 v30, 0xd00, v0
                                        ; implicit-def: $vgpr21
	s_delay_alu instid0(VALU_DEP_1) | instskip(NEXT) | instid1(VALU_DEP_1)
	v_cmp_gt_u32_e64 s14, s40, v30
	s_and_saveexec_b32 s16, s14
	s_cbranch_execz .LBB821_35
; %bb.34:
	v_lshlrev_b32_e32 v21, 2, v30
	s_delay_alu instid0(VALU_DEP_1) | instskip(NEXT) | instid1(VALU_DEP_1)
	v_add_co_u32 v21, s15, v2, v21
	v_add_co_ci_u32_e64 v22, s15, 0, v1, s15
	flat_load_b32 v21, v[21:22]
.LBB821_35:
	s_or_b32 exec_lo, exec_lo, s16
	v_or_b32_e32 v31, 0xe00, v0
                                        ; implicit-def: $vgpr22
	s_delay_alu instid0(VALU_DEP_1) | instskip(NEXT) | instid1(VALU_DEP_1)
	v_cmp_gt_u32_e64 s15, s40, v31
	s_and_saveexec_b32 s20, s15
	s_cbranch_execz .LBB821_37
; %bb.36:
	v_lshlrev_b32_e32 v22, 2, v31
	s_delay_alu instid0(VALU_DEP_1) | instskip(NEXT) | instid1(VALU_DEP_1)
	v_add_co_u32 v32, s16, v2, v22
	v_add_co_ci_u32_e64 v33, s16, 0, v1, s16
	flat_load_b32 v22, v[32:33]
.LBB821_37:
	s_or_b32 exec_lo, exec_lo, s20
	v_lshlrev_b32_e32 v25, 2, v0
                                        ; implicit-def: $vgpr32
	s_waitcnt vmcnt(0) lgkmcnt(0)
	ds_store_2addr_stride64_b32 v25, v5, v9 offset1:4
	ds_store_2addr_stride64_b32 v25, v10, v11 offset0:8 offset1:12
	ds_store_2addr_stride64_b32 v25, v12, v13 offset0:16 offset1:20
	;; [unrolled: 1-line block ×6, first 2 shown]
	v_mad_u32_u24 v5, v0, 56, v25
	ds_store_b32 v25, v22 offset:14336
	s_waitcnt lgkmcnt(0)
	s_barrier
	buffer_gl0_inv
	ds_load_2addr_b32 v[21:22], v5 offset1:1
	ds_load_2addr_b32 v[19:20], v5 offset0:2 offset1:3
	ds_load_2addr_b32 v[17:18], v5 offset0:4 offset1:5
	ds_load_2addr_b32 v[15:16], v5 offset0:6 offset1:7
	ds_load_2addr_b32 v[13:14], v5 offset0:8 offset1:9
	ds_load_2addr_b32 v[11:12], v5 offset0:10 offset1:11
	ds_load_2addr_b32 v[9:10], v5 offset0:12 offset1:13
	ds_load_b32 v63, v5 offset:56
	s_waitcnt lgkmcnt(0)
	s_barrier
	buffer_gl0_inv
	s_and_saveexec_b32 s16, vcc_lo
	s_cbranch_execnz .LBB821_61
; %bb.38:
	s_or_b32 exec_lo, exec_lo, s16
                                        ; implicit-def: $vgpr33
	s_and_saveexec_b32 s16, s0
	s_cbranch_execnz .LBB821_62
.LBB821_39:
	s_or_b32 exec_lo, exec_lo, s16
                                        ; implicit-def: $vgpr34
	s_and_saveexec_b32 s0, s1
	s_cbranch_execnz .LBB821_63
.LBB821_40:
	s_or_b32 exec_lo, exec_lo, s0
                                        ; implicit-def: $vgpr35
	s_and_saveexec_b32 s0, s4
	s_cbranch_execnz .LBB821_64
.LBB821_41:
	s_or_b32 exec_lo, exec_lo, s0
                                        ; implicit-def: $vgpr36
	s_and_saveexec_b32 s0, s5
	s_cbranch_execnz .LBB821_65
.LBB821_42:
	s_or_b32 exec_lo, exec_lo, s0
                                        ; implicit-def: $vgpr6
	s_and_saveexec_b32 s0, s6
	s_cbranch_execnz .LBB821_66
.LBB821_43:
	s_or_b32 exec_lo, exec_lo, s0
                                        ; implicit-def: $vgpr7
	s_and_saveexec_b32 s0, s7
	s_cbranch_execnz .LBB821_67
.LBB821_44:
	s_or_b32 exec_lo, exec_lo, s0
                                        ; implicit-def: $vgpr8
	s_and_saveexec_b32 s0, s8
	s_cbranch_execnz .LBB821_68
.LBB821_45:
	s_or_b32 exec_lo, exec_lo, s0
                                        ; implicit-def: $vgpr23
	s_and_saveexec_b32 s0, s9
	s_cbranch_execnz .LBB821_69
.LBB821_46:
	s_or_b32 exec_lo, exec_lo, s0
                                        ; implicit-def: $vgpr24
	s_and_saveexec_b32 s0, s10
	s_cbranch_execnz .LBB821_70
.LBB821_47:
	s_or_b32 exec_lo, exec_lo, s0
                                        ; implicit-def: $vgpr26
	s_and_saveexec_b32 s0, s11
	s_cbranch_execnz .LBB821_71
.LBB821_48:
	s_or_b32 exec_lo, exec_lo, s0
                                        ; implicit-def: $vgpr27
	s_and_saveexec_b32 s0, s12
	s_cbranch_execnz .LBB821_72
.LBB821_49:
	s_or_b32 exec_lo, exec_lo, s0
                                        ; implicit-def: $vgpr28
	s_and_saveexec_b32 s0, s13
	s_cbranch_execnz .LBB821_73
.LBB821_50:
	s_or_b32 exec_lo, exec_lo, s0
                                        ; implicit-def: $vgpr29
	s_and_saveexec_b32 s0, s14
	s_cbranch_execnz .LBB821_74
.LBB821_51:
	s_or_b32 exec_lo, exec_lo, s0
                                        ; implicit-def: $vgpr30
	s_and_saveexec_b32 s0, s15
	s_cbranch_execz .LBB821_53
.LBB821_52:
	v_lshlrev_b32_e32 v30, 2, v31
	s_delay_alu instid0(VALU_DEP_1)
	v_add_co_u32 v3, vcc_lo, v3, v30
	v_add_co_ci_u32_e32 v4, vcc_lo, 0, v4, vcc_lo
	flat_load_b32 v30, v[3:4]
.LBB821_53:
	s_or_b32 exec_lo, exec_lo, s0
	s_waitcnt vmcnt(0) lgkmcnt(0)
	ds_store_2addr_stride64_b32 v25, v32, v33 offset1:4
	ds_store_2addr_stride64_b32 v25, v34, v35 offset0:8 offset1:12
	ds_store_2addr_stride64_b32 v25, v36, v6 offset0:16 offset1:20
	;; [unrolled: 1-line block ×6, first 2 shown]
	ds_store_b32 v25, v30 offset:14336
	s_waitcnt lgkmcnt(0)
	s_barrier
.LBB821_54:
	buffer_gl0_inv
	ds_load_2addr_b32 v[35:36], v5 offset1:1
	ds_load_2addr_b32 v[33:34], v5 offset0:2 offset1:3
	ds_load_2addr_b32 v[31:32], v5 offset0:4 offset1:5
	;; [unrolled: 1-line block ×6, first 2 shown]
	ds_load_b32 v79, v5 offset:56
	s_cmp_eq_u64 s[18:19], 0
	s_waitcnt lgkmcnt(0)
	s_cselect_b32 s41, -1, 0
	s_cmp_lg_u64 s[18:19], 0
	s_barrier
	s_cselect_b32 s15, -1, 0
	s_and_b32 vcc_lo, exec_lo, s17
	buffer_gl0_inv
	s_cbranch_vccz .LBB821_60
; %bb.55:
	s_and_b32 vcc_lo, exec_lo, s15
	s_cbranch_vccz .LBB821_75
; %bb.56:
	v_add_co_u32 v3, vcc_lo, -4, v2
	v_add_co_ci_u32_e32 v4, vcc_lo, -1, v1, vcc_lo
	v_cmp_ne_u32_e32 vcc_lo, v10, v63
	v_cmp_ne_u32_e64 s0, v9, v10
	v_cmp_ne_u32_e64 s1, v12, v9
	flat_load_b32 v3, v[3:4]
	v_lshlrev_b32_e32 v4, 2, v0
	v_cmp_ne_u32_e64 s4, v11, v12
	v_cmp_ne_u32_e64 s5, v14, v11
	v_cmp_ne_u32_e64 s6, v13, v14
	v_cmp_ne_u32_e64 s7, v16, v13
	v_cmp_ne_u32_e64 s8, v15, v16
	v_cmp_ne_u32_e64 s9, v18, v15
	v_cmp_ne_u32_e64 s10, v17, v18
	v_cmp_ne_u32_e64 s11, v20, v17
	v_cmp_ne_u32_e64 s12, v19, v20
	v_cmp_ne_u32_e64 s13, v22, v19
	v_cmp_ne_u32_e64 s14, v21, v22
	s_mov_b32 s42, -1
	ds_store_b32 v4, v63
	s_waitcnt vmcnt(0) lgkmcnt(0)
	s_barrier
	buffer_gl0_inv
	s_and_saveexec_b32 s16, s3
	s_cbranch_execz .LBB821_58
; %bb.57:
	v_add_nc_u32_e32 v3, -4, v4
	ds_load_b32 v3, v3
.LBB821_58:
	s_or_b32 exec_lo, exec_lo, s16
	v_cndmask_b32_e64 v71, 0, 1, vcc_lo
	v_cndmask_b32_e64 v64, 0, 1, s0
	v_cndmask_b32_e64 v65, 0, 1, s1
	;; [unrolled: 1-line block ×13, first 2 shown]
	s_waitcnt lgkmcnt(0)
	v_cmp_ne_u32_e64 s0, v3, v21
.LBB821_59:
                                        ; implicit-def: $sgpr1
	s_branch .LBB821_87
.LBB821_60:
	s_mov_b32 s42, 0
                                        ; implicit-def: $sgpr0
                                        ; implicit-def: $vgpr71
                                        ; implicit-def: $vgpr64
                                        ; implicit-def: $vgpr65
                                        ; implicit-def: $vgpr66
                                        ; implicit-def: $vgpr67
                                        ; implicit-def: $vgpr68
                                        ; implicit-def: $vgpr69
                                        ; implicit-def: $vgpr70
                                        ; implicit-def: $vgpr72
                                        ; implicit-def: $vgpr73
                                        ; implicit-def: $vgpr74
                                        ; implicit-def: $vgpr75
                                        ; implicit-def: $vgpr76
                                        ; implicit-def: $vgpr77
                                        ; implicit-def: $sgpr1
	s_cbranch_execnz .LBB821_79
	s_branch .LBB821_87
.LBB821_61:
	v_add_co_u32 v32, vcc_lo, v3, v25
	v_add_co_ci_u32_e32 v33, vcc_lo, 0, v4, vcc_lo
	flat_load_b32 v32, v[32:33]
	s_or_b32 exec_lo, exec_lo, s16
                                        ; implicit-def: $vgpr33
	s_and_saveexec_b32 s16, s0
	s_cbranch_execz .LBB821_39
.LBB821_62:
	v_add_co_u32 v33, vcc_lo, v3, v25
	v_add_co_ci_u32_e32 v34, vcc_lo, 0, v4, vcc_lo
	flat_load_b32 v33, v[33:34] offset:1024
	s_or_b32 exec_lo, exec_lo, s16
                                        ; implicit-def: $vgpr34
	s_and_saveexec_b32 s0, s1
	s_cbranch_execz .LBB821_40
.LBB821_63:
	v_add_co_u32 v34, vcc_lo, v3, v25
	v_add_co_ci_u32_e32 v35, vcc_lo, 0, v4, vcc_lo
	flat_load_b32 v34, v[34:35] offset:2048
	s_or_b32 exec_lo, exec_lo, s0
                                        ; implicit-def: $vgpr35
	s_and_saveexec_b32 s0, s4
	s_cbranch_execz .LBB821_41
.LBB821_64:
	v_add_co_u32 v35, vcc_lo, v3, v25
	v_add_co_ci_u32_e32 v36, vcc_lo, 0, v4, vcc_lo
	flat_load_b32 v35, v[35:36] offset:3072
	s_or_b32 exec_lo, exec_lo, s0
                                        ; implicit-def: $vgpr36
	s_and_saveexec_b32 s0, s5
	s_cbranch_execz .LBB821_42
.LBB821_65:
	v_lshlrev_b32_e32 v6, 2, v6
	s_delay_alu instid0(VALU_DEP_1)
	v_add_co_u32 v36, vcc_lo, v3, v6
	v_add_co_ci_u32_e32 v37, vcc_lo, 0, v4, vcc_lo
	flat_load_b32 v36, v[36:37]
	s_or_b32 exec_lo, exec_lo, s0
                                        ; implicit-def: $vgpr6
	s_and_saveexec_b32 s0, s6
	s_cbranch_execz .LBB821_43
.LBB821_66:
	v_lshlrev_b32_e32 v6, 2, v7
	s_delay_alu instid0(VALU_DEP_1)
	v_add_co_u32 v6, vcc_lo, v3, v6
	v_add_co_ci_u32_e32 v7, vcc_lo, 0, v4, vcc_lo
	flat_load_b32 v6, v[6:7]
	s_or_b32 exec_lo, exec_lo, s0
                                        ; implicit-def: $vgpr7
	s_and_saveexec_b32 s0, s7
	s_cbranch_execz .LBB821_44
.LBB821_67:
	v_lshlrev_b32_e32 v7, 2, v8
	s_delay_alu instid0(VALU_DEP_1)
	v_add_co_u32 v7, vcc_lo, v3, v7
	v_add_co_ci_u32_e32 v8, vcc_lo, 0, v4, vcc_lo
	flat_load_b32 v7, v[7:8]
	s_or_b32 exec_lo, exec_lo, s0
                                        ; implicit-def: $vgpr8
	s_and_saveexec_b32 s0, s8
	s_cbranch_execz .LBB821_45
.LBB821_68:
	v_lshlrev_b32_e32 v8, 2, v23
	s_delay_alu instid0(VALU_DEP_1)
	v_add_co_u32 v37, vcc_lo, v3, v8
	v_add_co_ci_u32_e32 v38, vcc_lo, 0, v4, vcc_lo
	flat_load_b32 v8, v[37:38]
	s_or_b32 exec_lo, exec_lo, s0
                                        ; implicit-def: $vgpr23
	s_and_saveexec_b32 s0, s9
	s_cbranch_execz .LBB821_46
.LBB821_69:
	v_lshlrev_b32_e32 v23, 2, v24
	s_delay_alu instid0(VALU_DEP_1)
	v_add_co_u32 v23, vcc_lo, v3, v23
	v_add_co_ci_u32_e32 v24, vcc_lo, 0, v4, vcc_lo
	flat_load_b32 v23, v[23:24]
	s_or_b32 exec_lo, exec_lo, s0
                                        ; implicit-def: $vgpr24
	s_and_saveexec_b32 s0, s10
	s_cbranch_execz .LBB821_47
.LBB821_70:
	v_lshlrev_b32_e32 v24, 2, v26
	s_delay_alu instid0(VALU_DEP_1)
	v_add_co_u32 v37, vcc_lo, v3, v24
	v_add_co_ci_u32_e32 v38, vcc_lo, 0, v4, vcc_lo
	flat_load_b32 v24, v[37:38]
	s_or_b32 exec_lo, exec_lo, s0
                                        ; implicit-def: $vgpr26
	s_and_saveexec_b32 s0, s11
	s_cbranch_execz .LBB821_48
.LBB821_71:
	v_lshlrev_b32_e32 v26, 2, v27
	s_delay_alu instid0(VALU_DEP_1)
	v_add_co_u32 v26, vcc_lo, v3, v26
	v_add_co_ci_u32_e32 v27, vcc_lo, 0, v4, vcc_lo
	flat_load_b32 v26, v[26:27]
	s_or_b32 exec_lo, exec_lo, s0
                                        ; implicit-def: $vgpr27
	s_and_saveexec_b32 s0, s12
	s_cbranch_execz .LBB821_49
.LBB821_72:
	v_lshlrev_b32_e32 v27, 2, v28
	s_delay_alu instid0(VALU_DEP_1)
	v_add_co_u32 v27, vcc_lo, v3, v27
	v_add_co_ci_u32_e32 v28, vcc_lo, 0, v4, vcc_lo
	flat_load_b32 v27, v[27:28]
	s_or_b32 exec_lo, exec_lo, s0
                                        ; implicit-def: $vgpr28
	s_and_saveexec_b32 s0, s13
	s_cbranch_execz .LBB821_50
.LBB821_73:
	v_lshlrev_b32_e32 v28, 2, v29
	s_delay_alu instid0(VALU_DEP_1)
	v_add_co_u32 v28, vcc_lo, v3, v28
	v_add_co_ci_u32_e32 v29, vcc_lo, 0, v4, vcc_lo
	flat_load_b32 v28, v[28:29]
	s_or_b32 exec_lo, exec_lo, s0
                                        ; implicit-def: $vgpr29
	s_and_saveexec_b32 s0, s14
	s_cbranch_execz .LBB821_51
.LBB821_74:
	v_lshlrev_b32_e32 v29, 2, v30
	s_delay_alu instid0(VALU_DEP_1)
	v_add_co_u32 v29, vcc_lo, v3, v29
	v_add_co_ci_u32_e32 v30, vcc_lo, 0, v4, vcc_lo
	flat_load_b32 v29, v[29:30]
	s_or_b32 exec_lo, exec_lo, s0
                                        ; implicit-def: $vgpr30
	s_and_saveexec_b32 s0, s15
	s_cbranch_execnz .LBB821_52
	s_branch .LBB821_53
.LBB821_75:
	s_mov_b32 s42, 0
                                        ; implicit-def: $sgpr0
                                        ; implicit-def: $vgpr71
                                        ; implicit-def: $vgpr64
                                        ; implicit-def: $vgpr65
                                        ; implicit-def: $vgpr66
                                        ; implicit-def: $vgpr67
                                        ; implicit-def: $vgpr68
                                        ; implicit-def: $vgpr69
                                        ; implicit-def: $vgpr70
                                        ; implicit-def: $vgpr72
                                        ; implicit-def: $vgpr73
                                        ; implicit-def: $vgpr74
                                        ; implicit-def: $vgpr75
                                        ; implicit-def: $vgpr76
                                        ; implicit-def: $vgpr77
	s_cbranch_execz .LBB821_59
; %bb.76:
	v_cmp_ne_u32_e32 vcc_lo, v10, v63
	v_lshlrev_b32_e32 v3, 2, v0
                                        ; implicit-def: $sgpr0
	v_cndmask_b32_e64 v71, 0, 1, vcc_lo
	v_cmp_ne_u32_e32 vcc_lo, v9, v10
	ds_store_b32 v3, v63
	s_waitcnt lgkmcnt(0)
	s_barrier
	buffer_gl0_inv
	v_cndmask_b32_e64 v64, 0, 1, vcc_lo
	v_cmp_ne_u32_e32 vcc_lo, v12, v9
	v_cndmask_b32_e64 v65, 0, 1, vcc_lo
	v_cmp_ne_u32_e32 vcc_lo, v11, v12
	;; [unrolled: 2-line block ×12, first 2 shown]
	v_cndmask_b32_e64 v77, 0, 1, vcc_lo
	s_and_saveexec_b32 s1, s3
	s_delay_alu instid0(SALU_CYCLE_1)
	s_xor_b32 s1, exec_lo, s1
	s_cbranch_execz .LBB821_78
; %bb.77:
	v_add_nc_u32_e32 v3, -4, v3
	s_or_b32 s42, s42, exec_lo
	ds_load_b32 v3, v3
	s_waitcnt lgkmcnt(0)
	v_cmp_ne_u32_e32 vcc_lo, v3, v21
	s_and_b32 s0, vcc_lo, exec_lo
.LBB821_78:
	s_or_b32 exec_lo, exec_lo, s1
	s_mov_b32 s1, 1
	s_branch .LBB821_87
.LBB821_79:
	s_mul_hi_u32 s0, s18, 0xfffff100
	s_mul_i32 s1, s19, 0xfffff100
	s_sub_i32 s0, s0, s18
	s_mul_i32 s4, s18, 0xfffff100
	s_add_i32 s0, s0, s1
	s_add_u32 s24, s4, s44
	s_addc_u32 s25, s0, s45
	s_and_b32 vcc_lo, exec_lo, s15
	s_cbranch_vccz .LBB821_84
; %bb.80:
	v_add_co_u32 v2, vcc_lo, -4, v2
	v_add_co_ci_u32_e32 v3, vcc_lo, -1, v1, vcc_lo
	v_mad_u32_u24 v1, v0, 15, 14
	v_cmp_ne_u32_e64 s8, v10, v63
	v_cmp_ne_u32_e64 s10, v12, v9
	flat_load_b32 v5, v[2:3]
	v_mov_b32_e32 v2, 0
	v_cmp_ne_u32_e64 s12, v14, v11
	v_cmp_ne_u32_e64 s11, v11, v12
	v_lshlrev_b32_e32 v4, 2, v0
	v_mul_u32_u24_e32 v3, 15, v0
	v_cmp_gt_u64_e32 vcc_lo, s[24:25], v[1:2]
	v_mad_u32_u24 v1, v0, 15, 13
	s_mov_b32 s42, -1
	s_mov_b32 s14, 0
	ds_store_b32 v4, v63
	s_waitcnt vmcnt(0) lgkmcnt(0)
	v_cmp_gt_u64_e64 s0, s[24:25], v[1:2]
	v_mad_u32_u24 v1, v0, 15, 12
	s_and_b32 s15, vcc_lo, s8
	v_cmp_ne_u32_e64 s8, v9, v10
	s_barrier
	buffer_gl0_inv
	v_cmp_gt_u64_e64 s1, s[24:25], v[1:2]
	v_mad_u32_u24 v1, v0, 15, 11
	s_and_b32 s16, s0, s8
	v_cmp_ne_u32_e64 s8, v18, v15
	s_delay_alu instid0(VALU_DEP_2) | instskip(SKIP_3) | instid1(VALU_DEP_2)
	v_cmp_gt_u64_e64 s4, s[24:25], v[1:2]
	v_mad_u32_u24 v1, v0, 15, 10
	s_and_b32 s17, s1, s10
	v_cmp_ne_u32_e64 s1, v13, v14
	v_cmp_gt_u64_e64 s5, s[24:25], v[1:2]
	v_mad_u32_u24 v1, v0, 15, 9
	s_and_b32 s11, s4, s11
	v_cmp_ne_u32_e64 s4, v16, v13
	s_delay_alu instid0(VALU_DEP_2) | instskip(SKIP_3) | instid1(VALU_DEP_2)
	v_cmp_gt_u64_e64 s6, s[24:25], v[1:2]
	v_mad_u32_u24 v1, v0, 15, 8
	s_and_b32 s12, s5, s12
	v_cmp_ne_u32_e64 s5, v15, v16
	v_cmp_gt_u64_e64 s7, s[24:25], v[1:2]
	v_mad_u32_u24 v1, v0, 15, 7
	s_and_b32 s18, s6, s1
	v_cmp_ne_u32_e64 s1, v17, v18
	v_cmp_ne_u32_e64 s6, v22, v19
	s_delay_alu instid0(VALU_DEP_3) | instskip(SKIP_3) | instid1(VALU_DEP_2)
	v_cmp_gt_u64_e64 s9, s[24:25], v[1:2]
	v_mad_u32_u24 v1, v0, 15, 6
	s_and_b32 s19, s7, s4
	v_cmp_ne_u32_e64 s4, v20, v17
	v_cmp_gt_u64_e32 vcc_lo, s[24:25], v[1:2]
	v_mad_u32_u24 v1, v0, 15, 5
	s_and_b32 s20, s9, s5
	v_cmp_ne_u32_e64 s5, v19, v20
	s_delay_alu instid0(VALU_DEP_2) | instskip(SKIP_3) | instid1(VALU_DEP_2)
	v_cmp_gt_u64_e64 s13, s[24:25], v[1:2]
	v_mad_u32_u24 v1, v0, 15, 4
	s_and_b32 s9, vcc_lo, s8
	v_cmp_ne_u32_e64 s8, v21, v22
	v_cmp_gt_u64_e64 s0, s[24:25], v[1:2]
	v_mad_u32_u24 v1, v0, 15, 3
	s_and_b32 s13, s13, s1
	s_delay_alu instid0(VALU_DEP_1) | instskip(SKIP_1) | instid1(VALU_DEP_4)
	v_cmp_gt_u64_e64 s10, s[24:25], v[1:2]
	v_mad_u32_u24 v1, v0, 15, 2
	s_and_b32 s0, s0, s4
	s_delay_alu instid0(VALU_DEP_1) | instskip(SKIP_1) | instid1(VALU_DEP_4)
	v_cmp_gt_u64_e32 vcc_lo, s[24:25], v[1:2]
	v_mad_u32_u24 v1, v0, 15, 1
	s_and_b32 s5, s10, s5
	s_delay_alu instid0(VALU_DEP_1) | instskip(SKIP_1) | instid1(VALU_DEP_1)
	v_cmp_gt_u64_e64 s7, s[24:25], v[1:2]
	s_and_b32 s1, vcc_lo, s6
	s_and_b32 s4, s7, s8
	s_and_saveexec_b32 s6, s3
	s_cbranch_execz .LBB821_82
; %bb.81:
	v_add_nc_u32_e32 v1, -4, v4
	ds_load_b32 v5, v1
.LBB821_82:
	s_or_b32 exec_lo, exec_lo, s6
	v_mov_b32_e32 v4, v2
	v_cndmask_b32_e64 v74, 0, 1, s0
	s_waitcnt lgkmcnt(0)
	v_cmp_ne_u32_e64 s0, v5, v21
	v_cndmask_b32_e64 v71, 0, 1, s15
	v_cndmask_b32_e64 v64, 0, 1, s16
	v_cmp_gt_u64_e32 vcc_lo, s[24:25], v[3:4]
	v_cndmask_b32_e64 v65, 0, 1, s17
	v_cndmask_b32_e64 v66, 0, 1, s11
	;; [unrolled: 1-line block ×11, first 2 shown]
	s_and_b32 s0, vcc_lo, s0
	s_and_b32 vcc_lo, exec_lo, s14
	s_cbranch_vccnz .LBB821_85
.LBB821_83:
                                        ; implicit-def: $sgpr1
	v_mov_b32_e32 v78, s1
	s_and_saveexec_b32 s1, s42
	s_cbranch_execnz .LBB821_88
	s_branch .LBB821_89
.LBB821_84:
                                        ; implicit-def: $sgpr0
                                        ; implicit-def: $vgpr71
                                        ; implicit-def: $vgpr64
                                        ; implicit-def: $vgpr65
                                        ; implicit-def: $vgpr66
                                        ; implicit-def: $vgpr67
                                        ; implicit-def: $vgpr68
                                        ; implicit-def: $vgpr69
                                        ; implicit-def: $vgpr70
                                        ; implicit-def: $vgpr72
                                        ; implicit-def: $vgpr73
                                        ; implicit-def: $vgpr74
                                        ; implicit-def: $vgpr75
                                        ; implicit-def: $vgpr76
                                        ; implicit-def: $vgpr77
	s_cbranch_execz .LBB821_83
.LBB821_85:
	v_mad_u32_u24 v1, v0, 15, 14
	v_dual_mov_b32 v2, 0 :: v_dual_lshlrev_b32 v3, 2, v0
	v_cmp_ne_u32_e64 s7, v9, v10
	v_cmp_ne_u32_e64 s6, v10, v63
	;; [unrolled: 1-line block ×3, first 2 shown]
	s_delay_alu instid0(VALU_DEP_4)
	v_cmp_gt_u64_e32 vcc_lo, s[24:25], v[1:2]
	v_mad_u32_u24 v1, v0, 15, 13
	v_cmp_ne_u32_e64 s10, v11, v12
	v_cmp_ne_u32_e64 s11, v14, v11
	;; [unrolled: 1-line block ×4, first 2 shown]
	v_cmp_gt_u64_e64 s0, s[24:25], v[1:2]
	v_mad_u32_u24 v1, v0, 15, 12
	s_and_b32 s6, vcc_lo, s6
	v_cmp_ne_u32_e64 s15, v15, v16
	v_cmp_ne_u32_e64 s16, v18, v15
	;; [unrolled: 1-line block ×3, first 2 shown]
	v_cmp_gt_u64_e64 s1, s[24:25], v[1:2]
	v_mad_u32_u24 v1, v0, 15, 11
	s_and_b32 s0, s0, s7
	v_cmp_ne_u32_e64 s18, v20, v17
	v_cndmask_b32_e64 v64, 0, 1, s0
	v_cmp_ne_u32_e64 s20, v19, v20
	v_cmp_gt_u64_e64 s4, s[24:25], v[1:2]
	v_mad_u32_u24 v1, v0, 15, 10
	s_and_b32 s0, s1, s8
	v_cmp_ne_u32_e64 s21, v22, v19
	v_cndmask_b32_e64 v65, 0, 1, s0
	v_cmp_ne_u32_e64 s22, v21, v22
	v_cmp_gt_u64_e64 s5, s[24:25], v[1:2]
	v_mad_u32_u24 v1, v0, 15, 9
	s_and_b32 s0, s4, s10
	v_cndmask_b32_e64 v71, 0, 1, s6
	v_cndmask_b32_e64 v66, 0, 1, s0
	ds_store_b32 v3, v63
	v_cmp_gt_u64_e64 s9, s[24:25], v[1:2]
	v_mad_u32_u24 v1, v0, 15, 8
	s_and_b32 s1, s5, s11
	s_waitcnt lgkmcnt(0)
	v_cndmask_b32_e64 v67, 0, 1, s1
	s_barrier
	v_cmp_gt_u64_e64 s14, s[24:25], v[1:2]
	v_mad_u32_u24 v1, v0, 15, 7
	s_and_b32 s1, s9, s12
	buffer_gl0_inv
	v_cndmask_b32_e64 v68, 0, 1, s1
	v_cmp_gt_u64_e64 s19, s[24:25], v[1:2]
	v_mad_u32_u24 v1, v0, 15, 6
	s_and_b32 s4, s14, s13
	s_delay_alu instid0(SALU_CYCLE_1) | instskip(NEXT) | instid1(VALU_DEP_2)
	v_cndmask_b32_e64 v69, 0, 1, s4
	v_cmp_gt_u64_e64 s23, s[24:25], v[1:2]
	v_mad_u32_u24 v1, v0, 15, 5
	s_and_b32 s4, s19, s15
	s_delay_alu instid0(SALU_CYCLE_1) | instskip(NEXT) | instid1(VALU_DEP_2)
	v_cndmask_b32_e64 v70, 0, 1, s4
	v_cmp_gt_u64_e32 vcc_lo, s[24:25], v[1:2]
	v_mad_u32_u24 v1, v0, 15, 4
	s_and_b32 s5, s23, s16
	s_delay_alu instid0(SALU_CYCLE_1) | instskip(NEXT) | instid1(VALU_DEP_2)
	v_cndmask_b32_e64 v72, 0, 1, s5
	v_cmp_gt_u64_e64 s0, s[24:25], v[1:2]
	v_mad_u32_u24 v1, v0, 15, 3
	s_and_b32 s5, vcc_lo, s17
	s_delay_alu instid0(SALU_CYCLE_1) | instskip(NEXT) | instid1(VALU_DEP_2)
	v_cndmask_b32_e64 v73, 0, 1, s5
	v_cmp_gt_u64_e64 s1, s[24:25], v[1:2]
	v_mad_u32_u24 v1, v0, 15, 2
	s_and_b32 s0, s0, s18
	s_delay_alu instid0(SALU_CYCLE_1) | instskip(NEXT) | instid1(VALU_DEP_2)
	v_cndmask_b32_e64 v74, 0, 1, s0
	v_cmp_gt_u64_e64 s4, s[24:25], v[1:2]
	v_mad_u32_u24 v1, v0, 15, 1
	s_and_b32 s0, s1, s20
	s_mov_b32 s1, 1
	v_cndmask_b32_e64 v75, 0, 1, s0
	s_delay_alu instid0(VALU_DEP_2) | instskip(SKIP_1) | instid1(SALU_CYCLE_1)
	v_cmp_gt_u64_e32 vcc_lo, s[24:25], v[1:2]
	s_and_b32 s0, s4, s21
	v_cndmask_b32_e64 v76, 0, 1, s0
	s_and_b32 s0, vcc_lo, s22
	s_delay_alu instid0(SALU_CYCLE_1)
	v_cndmask_b32_e64 v77, 0, 1, s0
                                        ; implicit-def: $sgpr0
	s_and_saveexec_b32 s4, s3
	s_cbranch_execz .LBB821_172
; %bb.86:
	v_add_nc_u32_e32 v1, -4, v3
	s_or_b32 s42, s42, exec_lo
	ds_load_b32 v3, v1
	v_mul_u32_u24_e32 v1, 15, v0
	s_delay_alu instid0(VALU_DEP_1) | instskip(SKIP_2) | instid1(VALU_DEP_1)
	v_cmp_gt_u64_e32 vcc_lo, s[24:25], v[1:2]
	s_waitcnt lgkmcnt(0)
	v_cmp_ne_u32_e64 s0, v3, v21
	s_and_b32 s0, vcc_lo, s0
	s_delay_alu instid0(SALU_CYCLE_1)
	s_and_b32 s0, s0, exec_lo
	s_or_b32 exec_lo, exec_lo, s4
.LBB821_87:
	v_mov_b32_e32 v78, s1
	s_and_saveexec_b32 s1, s42
.LBB821_88:
	s_delay_alu instid0(VALU_DEP_2)
	v_cndmask_b32_e64 v78, 0, 1, s0
.LBB821_89:
	s_or_b32 exec_lo, exec_lo, s1
	s_delay_alu instid0(VALU_DEP_1)
	v_add3_u32 v1, v77, v78, v76
	v_cmp_eq_u32_e64 s13, 0, v77
	v_cmp_eq_u32_e64 s12, 0, v76
	;; [unrolled: 1-line block ×4, first 2 shown]
	v_add3_u32 v84, v1, v75, v74
	v_cmp_eq_u32_e64 s9, 0, v73
	v_cmp_eq_u32_e64 s8, 0, v72
	;; [unrolled: 1-line block ×9, first 2 shown]
	v_cmp_eq_u32_e32 vcc_lo, 0, v71
	v_mbcnt_lo_u32_b32 v81, -1, 0
	v_lshrrev_b32_e32 v82, 5, v0
	v_or_b32_e32 v83, 31, v0
	s_cmp_eq_u64 s[38:39], 0
	s_cselect_b32 s16, -1, 0
	s_cmp_lg_u32 s48, 0
	s_cbranch_scc0 .LBB821_120
; %bb.90:
	v_cndmask_b32_e64 v1, 0, v35, s13
	v_add3_u32 v2, v84, v73, v72
	s_delay_alu instid0(VALU_DEP_2) | instskip(NEXT) | instid1(VALU_DEP_2)
	v_add_nc_u32_e32 v1, v1, v36
	v_add3_u32 v2, v2, v70, v69
	s_delay_alu instid0(VALU_DEP_2) | instskip(NEXT) | instid1(VALU_DEP_2)
	v_cndmask_b32_e64 v1, 0, v1, s12
	v_add3_u32 v2, v2, v68, v67
	s_delay_alu instid0(VALU_DEP_2) | instskip(NEXT) | instid1(VALU_DEP_2)
	v_add_nc_u32_e32 v1, v1, v33
	v_add3_u32 v2, v2, v66, v65
	s_delay_alu instid0(VALU_DEP_2) | instskip(NEXT) | instid1(VALU_DEP_2)
	v_cndmask_b32_e64 v1, 0, v1, s11
	v_add3_u32 v2, v2, v64, v71
	s_delay_alu instid0(VALU_DEP_2) | instskip(NEXT) | instid1(VALU_DEP_2)
	v_add_nc_u32_e32 v1, v1, v34
	v_mov_b32_dpp v5, v2 row_shr:1 row_mask:0xf bank_mask:0xf
	s_delay_alu instid0(VALU_DEP_2) | instskip(NEXT) | instid1(VALU_DEP_1)
	v_cndmask_b32_e64 v1, 0, v1, s10
	v_add_nc_u32_e32 v1, v1, v31
	s_delay_alu instid0(VALU_DEP_1) | instskip(NEXT) | instid1(VALU_DEP_1)
	v_cndmask_b32_e64 v1, 0, v1, s9
	v_add_nc_u32_e32 v1, v1, v32
	s_delay_alu instid0(VALU_DEP_1) | instskip(NEXT) | instid1(VALU_DEP_1)
	v_cndmask_b32_e64 v1, 0, v1, s8
	v_add_nc_u32_e32 v1, v1, v29
	s_delay_alu instid0(VALU_DEP_1) | instskip(NEXT) | instid1(VALU_DEP_1)
	v_cndmask_b32_e64 v1, 0, v1, s7
	v_add_nc_u32_e32 v1, v1, v30
	s_delay_alu instid0(VALU_DEP_1) | instskip(NEXT) | instid1(VALU_DEP_1)
	v_cndmask_b32_e64 v1, 0, v1, s6
	v_add_nc_u32_e32 v1, v1, v27
	s_delay_alu instid0(VALU_DEP_1) | instskip(NEXT) | instid1(VALU_DEP_1)
	v_cndmask_b32_e64 v1, 0, v1, s5
	v_add_nc_u32_e32 v1, v1, v28
	s_delay_alu instid0(VALU_DEP_1) | instskip(NEXT) | instid1(VALU_DEP_1)
	v_cndmask_b32_e64 v1, 0, v1, s4
	v_add_nc_u32_e32 v1, v1, v25
	s_delay_alu instid0(VALU_DEP_1) | instskip(NEXT) | instid1(VALU_DEP_1)
	v_cndmask_b32_e64 v1, 0, v1, s3
	v_add_nc_u32_e32 v1, v1, v26
	s_delay_alu instid0(VALU_DEP_1) | instskip(NEXT) | instid1(VALU_DEP_1)
	v_cndmask_b32_e64 v1, 0, v1, s1
	v_add_nc_u32_e32 v1, v1, v23
	s_delay_alu instid0(VALU_DEP_1) | instskip(NEXT) | instid1(VALU_DEP_1)
	v_cndmask_b32_e64 v1, 0, v1, s0
	v_add_nc_u32_e32 v1, v1, v24
	s_delay_alu instid0(VALU_DEP_1) | instskip(SKIP_1) | instid1(VALU_DEP_2)
	v_cndmask_b32_e32 v1, 0, v1, vcc_lo
	v_cmp_eq_u32_e32 vcc_lo, 0, v2
	v_add_nc_u32_e32 v1, v1, v79
	s_delay_alu instid0(VALU_DEP_1) | instskip(NEXT) | instid1(VALU_DEP_1)
	v_mov_b32_dpp v3, v1 row_shr:1 row_mask:0xf bank_mask:0xf
	v_dual_cndmask_b32 v3, 0, v3 :: v_dual_and_b32 v4, 15, v81
	s_delay_alu instid0(VALU_DEP_1) | instskip(SKIP_2) | instid1(VALU_DEP_4)
	v_cmp_eq_u32_e32 vcc_lo, 0, v4
	v_cmp_lt_u32_e64 s14, 1, v4
	v_cndmask_b32_e64 v5, v5, 0, vcc_lo
	v_cndmask_b32_e64 v3, v3, 0, vcc_lo
	s_delay_alu instid0(VALU_DEP_2) | instskip(NEXT) | instid1(VALU_DEP_2)
	v_add_nc_u32_e32 v2, v5, v2
	v_add_nc_u32_e32 v1, v3, v1
	s_delay_alu instid0(VALU_DEP_2) | instskip(SKIP_1) | instid1(VALU_DEP_3)
	v_mov_b32_dpp v3, v2 row_shr:2 row_mask:0xf bank_mask:0xf
	v_cmp_eq_u32_e32 vcc_lo, 0, v2
	v_mov_b32_dpp v5, v1 row_shr:2 row_mask:0xf bank_mask:0xf
	s_delay_alu instid0(VALU_DEP_3) | instskip(SKIP_2) | instid1(VALU_DEP_2)
	v_cndmask_b32_e64 v3, 0, v3, s14
	s_and_b32 vcc_lo, s14, vcc_lo
	v_cmp_lt_u32_e64 s14, 3, v4
	v_dual_cndmask_b32 v5, 0, v5 :: v_dual_add_nc_u32 v2, v2, v3
	s_delay_alu instid0(VALU_DEP_1) | instskip(NEXT) | instid1(VALU_DEP_2)
	v_add_nc_u32_e32 v1, v5, v1
	v_mov_b32_dpp v3, v2 row_shr:4 row_mask:0xf bank_mask:0xf
	v_cmp_eq_u32_e32 vcc_lo, 0, v2
	s_delay_alu instid0(VALU_DEP_3) | instskip(NEXT) | instid1(VALU_DEP_3)
	v_mov_b32_dpp v5, v1 row_shr:4 row_mask:0xf bank_mask:0xf
	v_cndmask_b32_e64 v3, 0, v3, s14
	s_and_b32 vcc_lo, s14, vcc_lo
	v_cmp_lt_u32_e64 s14, 7, v4
	s_delay_alu instid0(VALU_DEP_2) | instskip(NEXT) | instid1(VALU_DEP_1)
	v_dual_cndmask_b32 v5, 0, v5 :: v_dual_add_nc_u32 v2, v3, v2
	v_add_nc_u32_e32 v1, v1, v5
	v_bfe_i32 v5, v81, 4, 1
	s_delay_alu instid0(VALU_DEP_3) | instskip(SKIP_1) | instid1(VALU_DEP_4)
	v_cmp_eq_u32_e32 vcc_lo, 0, v2
	v_mov_b32_dpp v3, v2 row_shr:8 row_mask:0xf bank_mask:0xf
	v_mov_b32_dpp v4, v1 row_shr:8 row_mask:0xf bank_mask:0xf
	s_and_b32 vcc_lo, s14, vcc_lo
	s_delay_alu instid0(VALU_DEP_2) | instskip(SKIP_1) | instid1(VALU_DEP_2)
	v_cndmask_b32_e64 v3, 0, v3, s14
	s_mov_b32 s14, exec_lo
	v_cndmask_b32_e32 v4, 0, v4, vcc_lo
	s_delay_alu instid0(VALU_DEP_1) | instskip(NEXT) | instid1(VALU_DEP_3)
	v_add_nc_u32_e32 v4, v4, v1
	v_add_nc_u32_e32 v1, v3, v2
	ds_swizzle_b32 v2, v4 offset:swizzle(BROADCAST,32,15)
	ds_swizzle_b32 v3, v1 offset:swizzle(BROADCAST,32,15)
	v_cmp_eq_u32_e32 vcc_lo, 0, v1
	s_waitcnt lgkmcnt(0)
	v_dual_cndmask_b32 v2, 0, v2 :: v_dual_and_b32 v3, v5, v3
	s_delay_alu instid0(VALU_DEP_1) | instskip(NEXT) | instid1(VALU_DEP_2)
	v_and_b32_e32 v2, v5, v2
	v_add_nc_u32_e32 v1, v3, v1
	v_lshlrev_b32_e32 v3, 3, v82
	s_delay_alu instid0(VALU_DEP_3)
	v_add_nc_u32_e32 v2, v2, v4
	v_cmpx_eq_u32_e64 v83, v0
	s_cbranch_execz .LBB821_92
; %bb.91:
	ds_store_b64 v3, v[1:2] offset:2064
.LBB821_92:
	s_or_b32 exec_lo, exec_lo, s14
	s_delay_alu instid0(SALU_CYCLE_1)
	s_mov_b32 s15, exec_lo
	s_waitcnt lgkmcnt(0)
	s_barrier
	buffer_gl0_inv
	v_cmpx_gt_u32_e32 8, v0
	s_cbranch_execz .LBB821_94
; %bb.93:
	v_lshlrev_b32_e32 v6, 3, v0
	v_and_b32_e32 v8, 7, v81
	ds_load_b64 v[4:5], v6 offset:2064
	v_cmp_lt_u32_e64 s14, 1, v8
	s_waitcnt lgkmcnt(0)
	v_mov_b32_dpp v7, v5 row_shr:1 row_mask:0xf bank_mask:0xf
	v_cmp_eq_u32_e32 vcc_lo, 0, v4
	v_mov_b32_dpp v37, v4 row_shr:1 row_mask:0xf bank_mask:0xf
	s_delay_alu instid0(VALU_DEP_3) | instskip(SKIP_1) | instid1(VALU_DEP_3)
	v_cndmask_b32_e32 v7, 0, v7, vcc_lo
	v_cmp_eq_u32_e32 vcc_lo, 0, v8
	v_cndmask_b32_e64 v37, v37, 0, vcc_lo
	s_delay_alu instid0(VALU_DEP_3) | instskip(NEXT) | instid1(VALU_DEP_2)
	v_cndmask_b32_e64 v7, v7, 0, vcc_lo
	v_add_nc_u32_e32 v4, v37, v4
	s_delay_alu instid0(VALU_DEP_2) | instskip(NEXT) | instid1(VALU_DEP_2)
	v_add_nc_u32_e32 v5, v7, v5
	v_cmp_eq_u32_e32 vcc_lo, 0, v4
	s_delay_alu instid0(VALU_DEP_2) | instskip(SKIP_1) | instid1(VALU_DEP_1)
	v_mov_b32_dpp v37, v5 row_shr:2 row_mask:0xf bank_mask:0xf
	s_and_b32 vcc_lo, s14, vcc_lo
	v_cndmask_b32_e32 v37, 0, v37, vcc_lo
	v_mov_b32_dpp v7, v4 row_shr:2 row_mask:0xf bank_mask:0xf
	s_delay_alu instid0(VALU_DEP_2) | instskip(NEXT) | instid1(VALU_DEP_2)
	v_add_nc_u32_e32 v5, v37, v5
	v_cndmask_b32_e64 v7, 0, v7, s14
	v_cmp_lt_u32_e64 s14, 3, v8
	s_delay_alu instid0(VALU_DEP_3) | instskip(NEXT) | instid1(VALU_DEP_3)
	v_mov_b32_dpp v8, v5 row_shr:4 row_mask:0xf bank_mask:0xf
	v_add_nc_u32_e32 v4, v7, v4
	s_delay_alu instid0(VALU_DEP_1) | instskip(SKIP_2) | instid1(VALU_DEP_1)
	v_cmp_eq_u32_e32 vcc_lo, 0, v4
	v_mov_b32_dpp v7, v4 row_shr:4 row_mask:0xf bank_mask:0xf
	s_and_b32 vcc_lo, s14, vcc_lo
	v_cndmask_b32_e64 v7, 0, v7, s14
	v_cndmask_b32_e32 v8, 0, v8, vcc_lo
	s_delay_alu instid0(VALU_DEP_2) | instskip(NEXT) | instid1(VALU_DEP_2)
	v_add_nc_u32_e32 v4, v7, v4
	v_add_nc_u32_e32 v5, v8, v5
	ds_store_b64 v6, v[4:5] offset:2064
.LBB821_94:
	s_or_b32 exec_lo, exec_lo, s15
	v_cmp_gt_u32_e32 vcc_lo, 32, v0
	v_dual_mov_b32 v37, 0 :: v_dual_mov_b32 v38, 0
	s_mov_b32 s15, exec_lo
	s_waitcnt lgkmcnt(0)
	s_barrier
	buffer_gl0_inv
	v_cmpx_lt_u32_e32 31, v0
	s_cbranch_execz .LBB821_96
; %bb.95:
	ds_load_b64 v[37:38], v3 offset:2056
	v_cmp_eq_u32_e64 s14, 0, v1
	s_waitcnt lgkmcnt(0)
	s_delay_alu instid0(VALU_DEP_1) | instskip(SKIP_1) | instid1(VALU_DEP_2)
	v_cndmask_b32_e64 v3, 0, v38, s14
	v_add_nc_u32_e32 v1, v37, v1
	v_add_nc_u32_e32 v2, v3, v2
.LBB821_96:
	s_or_b32 exec_lo, exec_lo, s15
	v_add_nc_u32_e32 v3, -1, v81
	s_delay_alu instid0(VALU_DEP_1) | instskip(NEXT) | instid1(VALU_DEP_1)
	v_cmp_gt_i32_e64 s14, 0, v3
	v_cndmask_b32_e64 v3, v3, v81, s14
	v_cmp_eq_u32_e64 s14, 0, v81
	s_delay_alu instid0(VALU_DEP_2)
	v_lshlrev_b32_e32 v3, 2, v3
	ds_bpermute_b32 v43, v3, v1
	ds_bpermute_b32 v44, v3, v2
	s_and_saveexec_b32 s17, vcc_lo
	s_cbranch_execz .LBB821_119
; %bb.97:
	v_mov_b32_e32 v4, 0
	ds_load_b64 v[1:2], v4 offset:2120
	s_waitcnt lgkmcnt(0)
	v_readfirstlane_b32 s18, v2
	s_and_saveexec_b32 s15, s14
	s_cbranch_execz .LBB821_99
; %bb.98:
	s_add_i32 s20, s48, 32
	s_mov_b32 s21, 0
	v_mov_b32_e32 v3, 1
	s_lshl_b64 s[22:23], s[20:21], 4
	s_mov_b32 s24, s21
	s_add_u32 s22, s36, s22
	s_addc_u32 s23, s37, s23
	s_and_b32 s25, s18, 0xff000000
	s_and_b32 s39, s18, 0xff0000
	s_mov_b32 s38, s21
	v_dual_mov_b32 v5, s22 :: v_dual_mov_b32 v6, s23
	s_or_b64 s[24:25], s[38:39], s[24:25]
	s_and_b32 s39, s18, 0xff00
	s_delay_alu instid0(SALU_CYCLE_1) | instskip(SKIP_1) | instid1(SALU_CYCLE_1)
	s_or_b64 s[24:25], s[24:25], s[38:39]
	s_and_b32 s39, s18, 0xff
	s_or_b64 s[20:21], s[24:25], s[38:39]
	s_delay_alu instid0(SALU_CYCLE_1)
	v_mov_b32_e32 v2, s21
	;;#ASMSTART
	global_store_dwordx4 v[5:6], v[1:4] off	
s_waitcnt vmcnt(0)
	;;#ASMEND
.LBB821_99:
	s_or_b32 exec_lo, exec_lo, s15
	v_xad_u32 v39, v81, -1, s48
	s_mov_b32 s19, 0
	s_mov_b32 s15, exec_lo
	s_delay_alu instid0(VALU_DEP_1) | instskip(NEXT) | instid1(VALU_DEP_1)
	v_add_nc_u32_e32 v3, 32, v39
	v_lshlrev_b64 v[2:3], 4, v[3:4]
	s_delay_alu instid0(VALU_DEP_1) | instskip(NEXT) | instid1(VALU_DEP_2)
	v_add_co_u32 v2, vcc_lo, s36, v2
	v_add_co_ci_u32_e32 v3, vcc_lo, s37, v3, vcc_lo
	;;#ASMSTART
	global_load_dwordx4 v[5:8], v[2:3] off glc	
s_waitcnt vmcnt(0)
	;;#ASMEND
	v_and_b32_e32 v4, 0xff, v6
	v_and_b32_e32 v8, 0xff00, v6
	;; [unrolled: 1-line block ×3, first 2 shown]
	v_or3_b32 v5, v5, 0, 0
	v_and_b32_e32 v6, 0xff000000, v6
	s_delay_alu instid0(VALU_DEP_4) | instskip(SKIP_1) | instid1(VALU_DEP_4)
	v_or3_b32 v4, 0, v4, v8
	v_and_b32_e32 v8, 0xff, v7
	v_or3_b32 v5, v5, 0, 0
	s_delay_alu instid0(VALU_DEP_3) | instskip(NEXT) | instid1(VALU_DEP_3)
	v_or3_b32 v6, v4, v40, v6
	v_cmpx_eq_u16_e32 0, v8
	s_cbranch_execz .LBB821_105
; %bb.100:
	s_mov_b32 s20, 1
	.p2align	6
.LBB821_101:                            ; =>This Loop Header: Depth=1
                                        ;     Child Loop BB821_102 Depth 2
	s_delay_alu instid0(SALU_CYCLE_1)
	s_max_u32 s21, s20, 1
.LBB821_102:                            ;   Parent Loop BB821_101 Depth=1
                                        ; =>  This Inner Loop Header: Depth=2
	s_delay_alu instid0(SALU_CYCLE_1)
	s_add_i32 s21, s21, -1
	s_sleep 1
	s_cmp_eq_u32 s21, 0
	s_cbranch_scc0 .LBB821_102
; %bb.103:                              ;   in Loop: Header=BB821_101 Depth=1
	;;#ASMSTART
	global_load_dwordx4 v[5:8], v[2:3] off glc	
s_waitcnt vmcnt(0)
	;;#ASMEND
	v_and_b32_e32 v4, 0xff, v7
	s_cmp_lt_u32 s20, 32
	s_cselect_b32 s21, -1, 0
	s_delay_alu instid0(VALU_DEP_1) | instskip(SKIP_3) | instid1(SALU_CYCLE_1)
	v_cmp_ne_u16_e32 vcc_lo, 0, v4
	s_cmp_lg_u32 s21, 0
	s_addc_u32 s20, s20, 0
	s_or_b32 s19, vcc_lo, s19
	s_and_not1_b32 exec_lo, exec_lo, s19
	s_cbranch_execnz .LBB821_101
; %bb.104:
	s_or_b32 exec_lo, exec_lo, s19
.LBB821_105:
	s_delay_alu instid0(SALU_CYCLE_1)
	s_or_b32 exec_lo, exec_lo, s15
	v_cmp_ne_u32_e32 vcc_lo, 31, v81
	v_and_b32_e32 v3, 0xff, v7
	v_lshlrev_b32_e64 v45, v81, -1
	v_add_nc_u32_e32 v47, 2, v81
	v_add_nc_u32_e32 v49, 4, v81
	v_add_co_ci_u32_e32 v2, vcc_lo, 0, v81, vcc_lo
	v_cmp_eq_u16_e32 vcc_lo, 2, v3
	v_add_nc_u32_e32 v51, 8, v81
	v_add_nc_u32_e32 v53, 16, v81
	v_and_or_b32 v8, vcc_lo, v45, 0x80000000
	v_cmp_gt_u32_e32 vcc_lo, 30, v81
	s_delay_alu instid0(VALU_DEP_2) | instskip(SKIP_2) | instid1(VALU_DEP_3)
	v_ctz_i32_b32_e32 v8, v8
	v_cndmask_b32_e64 v40, 0, 1, vcc_lo
	v_cmp_eq_u32_e32 vcc_lo, 0, v5
	v_cmp_lt_u32_e64 s15, v81, v8
	s_delay_alu instid0(VALU_DEP_3) | instskip(NEXT) | instid1(VALU_DEP_2)
	v_lshlrev_b32_e32 v40, 1, v40
	s_and_b32 vcc_lo, s15, vcc_lo
	v_lshlrev_b32_e32 v2, 2, v2
	s_delay_alu instid0(VALU_DEP_2)
	v_add_lshl_u32 v46, v40, v81, 2
	ds_bpermute_b32 v3, v2, v6
	s_waitcnt lgkmcnt(0)
	v_cndmask_b32_e32 v3, 0, v3, vcc_lo
	ds_bpermute_b32 v4, v2, v5
	v_cmp_gt_u32_e32 vcc_lo, 28, v81
	v_add_nc_u32_e32 v3, v3, v6
	ds_bpermute_b32 v6, v46, v3
	s_waitcnt lgkmcnt(1)
	v_cndmask_b32_e64 v4, 0, v4, s15
	s_delay_alu instid0(VALU_DEP_1) | instskip(SKIP_1) | instid1(VALU_DEP_2)
	v_add_nc_u32_e32 v4, v4, v5
	v_cndmask_b32_e64 v5, 0, 1, vcc_lo
	v_cmp_eq_u32_e32 vcc_lo, 0, v4
	ds_bpermute_b32 v40, v46, v4
	s_waitcnt lgkmcnt(1)
	v_dual_cndmask_b32 v6, 0, v6 :: v_dual_lshlrev_b32 v5, 2, v5
	v_cmp_gt_u32_e32 vcc_lo, v47, v8
	s_delay_alu instid0(VALU_DEP_2) | instskip(NEXT) | instid1(VALU_DEP_3)
	v_add_lshl_u32 v48, v5, v81, 2
	v_cndmask_b32_e64 v6, v6, 0, vcc_lo
	s_delay_alu instid0(VALU_DEP_1) | instskip(SKIP_4) | instid1(VALU_DEP_2)
	v_add_nc_u32_e32 v3, v6, v3
	ds_bpermute_b32 v5, v48, v3
	s_waitcnt lgkmcnt(1)
	v_cndmask_b32_e64 v6, v40, 0, vcc_lo
	v_cmp_gt_u32_e32 vcc_lo, 24, v81
	v_add_nc_u32_e32 v4, v4, v6
	v_cndmask_b32_e64 v40, 0, 1, vcc_lo
	ds_bpermute_b32 v6, v48, v4
	v_cmp_eq_u32_e32 vcc_lo, 0, v4
	v_lshlrev_b32_e32 v40, 3, v40
	s_delay_alu instid0(VALU_DEP_1) | instskip(SKIP_3) | instid1(VALU_DEP_2)
	v_add_lshl_u32 v50, v40, v81, 2
	s_waitcnt lgkmcnt(1)
	v_cndmask_b32_e32 v5, 0, v5, vcc_lo
	v_cmp_gt_u32_e32 vcc_lo, v49, v8
	v_cndmask_b32_e64 v5, v5, 0, vcc_lo
	s_delay_alu instid0(VALU_DEP_1)
	v_add_nc_u32_e32 v3, v3, v5
	s_waitcnt lgkmcnt(0)
	v_cndmask_b32_e64 v6, v6, 0, vcc_lo
	v_cmp_gt_u32_e32 vcc_lo, 16, v81
	ds_bpermute_b32 v5, v50, v3
	v_add_nc_u32_e32 v4, v4, v6
	v_cndmask_b32_e64 v40, 0, 1, vcc_lo
	ds_bpermute_b32 v6, v50, v4
	v_cmp_eq_u32_e32 vcc_lo, 0, v4
	v_lshlrev_b32_e32 v40, 4, v40
	s_delay_alu instid0(VALU_DEP_1) | instskip(SKIP_3) | instid1(VALU_DEP_2)
	v_add_lshl_u32 v52, v40, v81, 2
	s_waitcnt lgkmcnt(1)
	v_dual_mov_b32 v40, 0 :: v_dual_cndmask_b32 v5, 0, v5
	v_cmp_gt_u32_e32 vcc_lo, v51, v8
	v_cndmask_b32_e64 v5, v5, 0, vcc_lo
	s_delay_alu instid0(VALU_DEP_1)
	v_add_nc_u32_e32 v3, v3, v5
	s_waitcnt lgkmcnt(0)
	v_cndmask_b32_e64 v5, v6, 0, vcc_lo
	ds_bpermute_b32 v6, v52, v3
	v_add_nc_u32_e32 v4, v4, v5
	ds_bpermute_b32 v5, v52, v4
	v_cmp_eq_u32_e32 vcc_lo, 0, v4
	s_waitcnt lgkmcnt(1)
	v_cndmask_b32_e32 v6, 0, v6, vcc_lo
	v_cmp_gt_u32_e32 vcc_lo, v53, v8
	s_delay_alu instid0(VALU_DEP_2) | instskip(SKIP_2) | instid1(VALU_DEP_2)
	v_cndmask_b32_e64 v6, v6, 0, vcc_lo
	s_waitcnt lgkmcnt(0)
	v_cndmask_b32_e64 v5, v5, 0, vcc_lo
	v_add_nc_u32_e32 v6, v6, v3
	s_delay_alu instid0(VALU_DEP_2)
	v_add_nc_u32_e32 v5, v5, v4
	s_branch .LBB821_107
.LBB821_106:                            ;   in Loop: Header=BB821_107 Depth=1
	s_or_b32 exec_lo, exec_lo, s15
	v_and_b32_e32 v8, 0xff, v7
	ds_bpermute_b32 v41, v2, v5
	v_subrev_nc_u32_e32 v39, 32, v39
	v_cmp_eq_u16_e32 vcc_lo, 2, v8
	ds_bpermute_b32 v8, v2, v6
	v_and_or_b32 v42, vcc_lo, v45, 0x80000000
	v_cmp_eq_u32_e32 vcc_lo, 0, v5
	s_delay_alu instid0(VALU_DEP_2) | instskip(NEXT) | instid1(VALU_DEP_1)
	v_ctz_i32_b32_e32 v42, v42
	v_cmp_lt_u32_e64 s15, v81, v42
	s_delay_alu instid0(VALU_DEP_1) | instskip(SKIP_4) | instid1(VALU_DEP_2)
	s_and_b32 vcc_lo, s15, vcc_lo
	s_waitcnt lgkmcnt(1)
	v_cndmask_b32_e64 v41, 0, v41, s15
	s_waitcnt lgkmcnt(0)
	v_cndmask_b32_e32 v8, 0, v8, vcc_lo
	v_add_nc_u32_e32 v5, v41, v5
	s_delay_alu instid0(VALU_DEP_2)
	v_add_nc_u32_e32 v6, v8, v6
	ds_bpermute_b32 v41, v46, v5
	ds_bpermute_b32 v8, v46, v6
	v_cmp_eq_u32_e32 vcc_lo, 0, v5
	s_waitcnt lgkmcnt(0)
	v_cndmask_b32_e32 v8, 0, v8, vcc_lo
	v_cmp_gt_u32_e32 vcc_lo, v47, v42
	v_cndmask_b32_e64 v41, v41, 0, vcc_lo
	s_delay_alu instid0(VALU_DEP_1) | instskip(NEXT) | instid1(VALU_DEP_4)
	v_add_nc_u32_e32 v5, v5, v41
	v_cndmask_b32_e64 v8, v8, 0, vcc_lo
	ds_bpermute_b32 v41, v48, v5
	v_add_nc_u32_e32 v6, v8, v6
	v_cmp_eq_u32_e32 vcc_lo, 0, v5
	ds_bpermute_b32 v8, v48, v6
	s_waitcnt lgkmcnt(0)
	v_cndmask_b32_e32 v8, 0, v8, vcc_lo
	v_cmp_gt_u32_e32 vcc_lo, v49, v42
	v_cndmask_b32_e64 v41, v41, 0, vcc_lo
	s_delay_alu instid0(VALU_DEP_1) | instskip(NEXT) | instid1(VALU_DEP_4)
	v_add_nc_u32_e32 v5, v5, v41
	v_cndmask_b32_e64 v8, v8, 0, vcc_lo
	ds_bpermute_b32 v41, v50, v5
	v_add_nc_u32_e32 v6, v6, v8
	v_cmp_eq_u32_e32 vcc_lo, 0, v5
	ds_bpermute_b32 v8, v50, v6
	;; [unrolled: 11-line block ×3, first 2 shown]
	s_waitcnt lgkmcnt(0)
	v_cndmask_b32_e32 v8, 0, v8, vcc_lo
	v_cmp_gt_u32_e32 vcc_lo, v53, v42
	s_delay_alu instid0(VALU_DEP_2) | instskip(NEXT) | instid1(VALU_DEP_1)
	v_cndmask_b32_e64 v8, v8, 0, vcc_lo
	v_add_nc_u32_e32 v6, v8, v6
	v_cndmask_b32_e64 v8, v41, 0, vcc_lo
	v_cmp_eq_u32_e32 vcc_lo, 0, v3
	s_delay_alu instid0(VALU_DEP_2) | instskip(NEXT) | instid1(VALU_DEP_4)
	v_add3_u32 v5, v5, v3, v8
	v_cndmask_b32_e32 v6, 0, v6, vcc_lo
	s_delay_alu instid0(VALU_DEP_1)
	v_add_nc_u32_e32 v6, v6, v4
.LBB821_107:                            ; =>This Loop Header: Depth=1
                                        ;     Child Loop BB821_110 Depth 2
                                        ;       Child Loop BB821_111 Depth 3
	s_delay_alu instid0(VALU_DEP_1) | instskip(NEXT) | instid1(VALU_DEP_1)
	v_dual_mov_b32 v4, v6 :: v_dual_and_b32 v3, 0xff, v7
	v_cmp_ne_u16_e32 vcc_lo, 2, v3
	v_cndmask_b32_e64 v3, 0, 1, vcc_lo
	;;#ASMSTART
	;;#ASMEND
	s_delay_alu instid0(VALU_DEP_1)
	v_cmp_ne_u32_e32 vcc_lo, 0, v3
	v_mov_b32_e32 v3, v5
	s_cmp_lg_u32 vcc_lo, exec_lo
	s_cbranch_scc1 .LBB821_114
; %bb.108:                              ;   in Loop: Header=BB821_107 Depth=1
	v_lshlrev_b64 v[5:6], 4, v[39:40]
	s_mov_b32 s15, exec_lo
	s_delay_alu instid0(VALU_DEP_1) | instskip(NEXT) | instid1(VALU_DEP_2)
	v_add_co_u32 v41, vcc_lo, s36, v5
	v_add_co_ci_u32_e32 v42, vcc_lo, s37, v6, vcc_lo
	;;#ASMSTART
	global_load_dwordx4 v[5:8], v[41:42] off glc	
s_waitcnt vmcnt(0)
	;;#ASMEND
	v_and_b32_e32 v8, 0xff, v6
	v_and_b32_e32 v54, 0xff00, v6
	;; [unrolled: 1-line block ×3, first 2 shown]
	v_or3_b32 v5, v5, 0, 0
	v_and_b32_e32 v6, 0xff000000, v6
	s_delay_alu instid0(VALU_DEP_4) | instskip(SKIP_1) | instid1(VALU_DEP_4)
	v_or3_b32 v8, 0, v8, v54
	v_and_b32_e32 v54, 0xff, v7
	v_or3_b32 v5, v5, 0, 0
	s_delay_alu instid0(VALU_DEP_3) | instskip(NEXT) | instid1(VALU_DEP_3)
	v_or3_b32 v6, v8, v55, v6
	v_cmpx_eq_u16_e32 0, v54
	s_cbranch_execz .LBB821_106
; %bb.109:                              ;   in Loop: Header=BB821_107 Depth=1
	s_mov_b32 s20, 1
	s_mov_b32 s19, 0
	.p2align	6
.LBB821_110:                            ;   Parent Loop BB821_107 Depth=1
                                        ; =>  This Loop Header: Depth=2
                                        ;       Child Loop BB821_111 Depth 3
	s_max_u32 s21, s20, 1
.LBB821_111:                            ;   Parent Loop BB821_107 Depth=1
                                        ;     Parent Loop BB821_110 Depth=2
                                        ; =>    This Inner Loop Header: Depth=3
	s_delay_alu instid0(SALU_CYCLE_1)
	s_add_i32 s21, s21, -1
	s_sleep 1
	s_cmp_eq_u32 s21, 0
	s_cbranch_scc0 .LBB821_111
; %bb.112:                              ;   in Loop: Header=BB821_110 Depth=2
	;;#ASMSTART
	global_load_dwordx4 v[5:8], v[41:42] off glc	
s_waitcnt vmcnt(0)
	;;#ASMEND
	v_and_b32_e32 v8, 0xff, v7
	s_cmp_lt_u32 s20, 32
	s_cselect_b32 s21, -1, 0
	s_delay_alu instid0(SALU_CYCLE_1) | instskip(NEXT) | instid1(VALU_DEP_1)
	s_cmp_lg_u32 s21, 0
	v_cmp_ne_u16_e32 vcc_lo, 0, v8
	s_addc_u32 s20, s20, 0
	s_or_b32 s19, vcc_lo, s19
	s_delay_alu instid0(SALU_CYCLE_1)
	s_and_not1_b32 exec_lo, exec_lo, s19
	s_cbranch_execnz .LBB821_110
; %bb.113:                              ;   in Loop: Header=BB821_107 Depth=1
	s_or_b32 exec_lo, exec_lo, s19
	s_branch .LBB821_106
.LBB821_114:                            ;   in Loop: Header=BB821_107 Depth=1
                                        ; implicit-def: $vgpr6
                                        ; implicit-def: $vgpr5
                                        ; implicit-def: $vgpr7
	s_cbranch_execz .LBB821_107
; %bb.115:
	s_and_saveexec_b32 s15, s14
	s_cbranch_execz .LBB821_117
; %bb.116:
	v_cmp_eq_u32_e32 vcc_lo, 0, v1
	s_mov_b32 s21, 0
	s_add_i32 s20, s48, 32
	v_add_nc_u32_e32 v5, v3, v1
	s_lshl_b64 s[20:21], s[20:21], 4
	v_cndmask_b32_e32 v2, 0, v4, vcc_lo
	s_add_u32 s20, s36, s20
	s_addc_u32 s21, s37, s21
	v_mov_b32_e32 v8, 0
	s_delay_alu instid0(VALU_DEP_2) | instskip(NEXT) | instid1(VALU_DEP_1)
	v_add_nc_u32_e32 v2, s18, v2
	v_and_b32_e32 v6, 0xff000000, v2
	v_and_b32_e32 v7, 0xff0000, v2
	s_delay_alu instid0(VALU_DEP_1) | instskip(SKIP_3) | instid1(VALU_DEP_1)
	v_or_b32_e32 v6, v7, v6
	v_mov_b32_e32 v7, 2
	v_and_b32_e32 v39, 0xff00, v2
	v_and_b32_e32 v2, 0xff, v2
	v_or3_b32 v6, v6, v39, v2
	v_mov_b32_e32 v2, s18
	v_dual_mov_b32 v40, s21 :: v_dual_mov_b32 v39, s20
	;;#ASMSTART
	global_store_dwordx4 v[39:40], v[5:8] off	
s_waitcnt vmcnt(0)
	;;#ASMEND
	ds_store_b128 v8, v[1:4] offset:2048
.LBB821_117:
	s_or_b32 exec_lo, exec_lo, s15
	s_delay_alu instid0(SALU_CYCLE_1)
	s_and_b32 exec_lo, exec_lo, s2
	s_cbranch_execz .LBB821_119
; %bb.118:
	v_mov_b32_e32 v1, 0
	ds_store_b64 v1, v[3:4] offset:2120
.LBB821_119:
	s_or_b32 exec_lo, exec_lo, s17
	s_waitcnt lgkmcnt(1)
	v_cndmask_b32_e64 v4, v43, v37, s14
	s_waitcnt lgkmcnt(0)
	s_barrier
	buffer_gl0_inv
	v_cndmask_b32_e64 v5, v44, v38, s14
	v_cmp_eq_u32_e32 vcc_lo, 0, v4
	v_mov_b32_e32 v3, 0
	ds_load_b64 v[1:2], v3 offset:2120
	s_waitcnt lgkmcnt(0)
	s_barrier
	buffer_gl0_inv
	v_cndmask_b32_e32 v6, 0, v2, vcc_lo
	v_cmp_eq_u32_e32 vcc_lo, 0, v78
	s_delay_alu instid0(VALU_DEP_2) | instskip(NEXT) | instid1(VALU_DEP_1)
	v_add_nc_u32_e32 v5, v6, v5
	v_cndmask_b32_e64 v54, v5, v2, s2
	s_delay_alu instid0(VALU_DEP_1) | instskip(NEXT) | instid1(VALU_DEP_1)
	v_cndmask_b32_e32 v2, 0, v54, vcc_lo
	v_add_nc_u32_e32 v60, v2, v35
	s_delay_alu instid0(VALU_DEP_1) | instskip(NEXT) | instid1(VALU_DEP_1)
	v_cndmask_b32_e64 v2, 0, v60, s13
	v_add_nc_u32_e32 v56, v2, v36
	s_delay_alu instid0(VALU_DEP_1) | instskip(NEXT) | instid1(VALU_DEP_1)
	v_cndmask_b32_e64 v2, 0, v56, s12
	;; [unrolled: 3-line block ×5, first 2 shown]
	v_add_nc_u32_e32 v40, v2, v32
	v_cndmask_b32_e64 v2, v4, 0, s2
	s_delay_alu instid0(VALU_DEP_2) | instskip(NEXT) | instid1(VALU_DEP_2)
	v_cndmask_b32_e64 v4, 0, v40, s8
	v_add_nc_u32_e32 v53, v1, v2
	s_delay_alu instid0(VALU_DEP_2) | instskip(NEXT) | instid1(VALU_DEP_1)
	v_add_nc_u32_e32 v44, v4, v29
	v_cndmask_b32_e64 v1, 0, v44, s7
	s_delay_alu instid0(VALU_DEP_1) | instskip(NEXT) | instid1(VALU_DEP_1)
	v_add_nc_u32_e32 v48, v1, v30
	v_cndmask_b32_e64 v1, 0, v48, s6
	s_delay_alu instid0(VALU_DEP_1) | instskip(NEXT) | instid1(VALU_DEP_1)
	;; [unrolled: 3-line block ×3, first 2 shown]
	v_add_nc_u32_e32 v8, v1, v28
	v_cndmask_b32_e64 v1, 0, v8, s4
	s_delay_alu instid0(VALU_DEP_1) | instskip(SKIP_2) | instid1(VALU_DEP_1)
	v_add_nc_u32_e32 v38, v1, v25
	ds_load_b128 v[1:4], v3 offset:2048
	v_cndmask_b32_e64 v37, 0, v38, s3
	v_add_nc_u32_e32 v62, v37, v26
	s_delay_alu instid0(VALU_DEP_1) | instskip(NEXT) | instid1(VALU_DEP_1)
	v_cndmask_b32_e64 v49, 0, v62, s1
	v_add_nc_u32_e32 v58, v49, v23
	s_waitcnt lgkmcnt(0)
	v_cmp_eq_u32_e32 vcc_lo, 0, v1
	s_delay_alu instid0(VALU_DEP_2) | instskip(SKIP_1) | instid1(VALU_DEP_2)
	v_cndmask_b32_e64 v50, 0, v58, s0
	v_dual_cndmask_b32 v4, 0, v4 :: v_dual_add_nc_u32 v59, v53, v78
	v_add_nc_u32_e32 v50, v50, v24
	s_delay_alu instid0(VALU_DEP_2) | instskip(NEXT) | instid1(VALU_DEP_3)
	v_add_nc_u32_e32 v80, v4, v2
	v_add_nc_u32_e32 v55, v59, v77
	s_delay_alu instid0(VALU_DEP_1) | instskip(NEXT) | instid1(VALU_DEP_1)
	v_add_nc_u32_e32 v51, v55, v76
	v_add_nc_u32_e32 v45, v51, v75
	s_delay_alu instid0(VALU_DEP_1) | instskip(NEXT) | instid1(VALU_DEP_1)
	;; [unrolled: 3-line block ×6, first 2 shown]
	v_add_nc_u32_e32 v57, v61, v65
	v_add_nc_u32_e32 v49, v57, v64
	s_branch .LBB821_132
.LBB821_120:
                                        ; implicit-def: $vgpr1
                                        ; implicit-def: $vgpr80
                                        ; implicit-def: $vgpr53_vgpr54
                                        ; implicit-def: $vgpr59_vgpr60
                                        ; implicit-def: $vgpr55_vgpr56
                                        ; implicit-def: $vgpr51_vgpr52
                                        ; implicit-def: $vgpr45_vgpr46
                                        ; implicit-def: $vgpr41_vgpr42
                                        ; implicit-def: $vgpr39_vgpr40
                                        ; implicit-def: $vgpr43_vgpr44
                                        ; implicit-def: $vgpr47_vgpr48
                                        ; implicit-def: $vgpr5_vgpr6
                                        ; implicit-def: $vgpr7_vgpr8
                                        ; implicit-def: $vgpr37_vgpr38
                                        ; implicit-def: $vgpr61_vgpr62
                                        ; implicit-def: $vgpr57_vgpr58
                                        ; implicit-def: $vgpr49_vgpr50
	s_cbranch_execz .LBB821_132
; %bb.121:
	s_and_b32 s0, s16, exec_lo
	v_mov_b32_e32 v49, v35
	s_cselect_b32 s1, 0, s35
	s_cselect_b32 s0, 0, s34
	s_delay_alu instid0(SALU_CYCLE_1)
	s_cmp_eq_u64 s[0:1], 0
	s_cbranch_scc1 .LBB821_123
; %bb.122:
	v_mov_b32_e32 v1, 0
	global_load_b32 v49, v1, s[0:1]
.LBB821_123:
	v_cmp_eq_u32_e64 s7, 0, v77
	v_cmp_eq_u32_e64 s8, 0, v76
	;; [unrolled: 1-line block ×5, first 2 shown]
	v_cndmask_b32_e64 v1, 0, v35, s7
	v_cmp_eq_u32_e64 s12, 0, v72
	v_cmp_eq_u32_e64 s6, 0, v70
	;; [unrolled: 1-line block ×4, first 2 shown]
	v_add_nc_u32_e32 v1, v1, v36
	v_cmp_eq_u32_e64 s3, 0, v67
	v_add3_u32 v2, v84, v73, v72
	v_cmp_eq_u32_e64 s1, 0, v66
	v_cmp_eq_u32_e32 vcc_lo, 0, v65
	v_cndmask_b32_e64 v1, 0, v1, s8
	v_cmp_eq_u32_e64 s0, 0, v64
	v_add3_u32 v2, v2, v70, v69
	v_cmp_eq_u32_e64 s13, 0, v71
	v_and_b32_e32 v4, 15, v81
	v_add_nc_u32_e32 v1, v1, v33
	s_delay_alu instid0(VALU_DEP_4) | instskip(NEXT) | instid1(VALU_DEP_3)
	v_add3_u32 v2, v2, v68, v67
	v_cmp_lt_u32_e64 s14, 1, v4
	s_delay_alu instid0(VALU_DEP_3) | instskip(NEXT) | instid1(VALU_DEP_3)
	v_cndmask_b32_e64 v1, 0, v1, s9
	v_add3_u32 v2, v2, v66, v65
	s_delay_alu instid0(VALU_DEP_2) | instskip(NEXT) | instid1(VALU_DEP_2)
	v_add_nc_u32_e32 v1, v1, v34
	v_add3_u32 v2, v2, v64, v71
	s_delay_alu instid0(VALU_DEP_2) | instskip(NEXT) | instid1(VALU_DEP_2)
	v_cndmask_b32_e64 v1, 0, v1, s10
	v_mov_b32_dpp v5, v2 row_shr:1 row_mask:0xf bank_mask:0xf
	s_delay_alu instid0(VALU_DEP_2) | instskip(NEXT) | instid1(VALU_DEP_1)
	v_add_nc_u32_e32 v1, v1, v31
	v_cndmask_b32_e64 v1, 0, v1, s11
	s_delay_alu instid0(VALU_DEP_1) | instskip(NEXT) | instid1(VALU_DEP_1)
	v_add_nc_u32_e32 v1, v1, v32
	v_cndmask_b32_e64 v1, 0, v1, s12
	s_delay_alu instid0(VALU_DEP_1) | instskip(NEXT) | instid1(VALU_DEP_1)
	v_add_nc_u32_e32 v1, v1, v29
	v_cndmask_b32_e64 v1, 0, v1, s6
	s_delay_alu instid0(VALU_DEP_1) | instskip(NEXT) | instid1(VALU_DEP_1)
	v_add_nc_u32_e32 v1, v1, v30
	v_cndmask_b32_e64 v1, 0, v1, s5
	s_delay_alu instid0(VALU_DEP_1) | instskip(NEXT) | instid1(VALU_DEP_1)
	v_add_nc_u32_e32 v1, v1, v27
	v_cndmask_b32_e64 v1, 0, v1, s4
	s_delay_alu instid0(VALU_DEP_1) | instskip(NEXT) | instid1(VALU_DEP_1)
	v_add_nc_u32_e32 v1, v1, v28
	v_cndmask_b32_e64 v1, 0, v1, s3
	s_delay_alu instid0(VALU_DEP_1) | instskip(NEXT) | instid1(VALU_DEP_1)
	v_add_nc_u32_e32 v1, v1, v25
	v_cndmask_b32_e64 v1, 0, v1, s1
	s_delay_alu instid0(VALU_DEP_1) | instskip(NEXT) | instid1(VALU_DEP_1)
	v_add_nc_u32_e32 v1, v1, v26
	v_cndmask_b32_e32 v1, 0, v1, vcc_lo
	s_delay_alu instid0(VALU_DEP_1) | instskip(NEXT) | instid1(VALU_DEP_1)
	v_add_nc_u32_e32 v1, v1, v23
	v_cndmask_b32_e64 v1, 0, v1, s0
	s_delay_alu instid0(VALU_DEP_1) | instskip(NEXT) | instid1(VALU_DEP_1)
	v_add_nc_u32_e32 v1, v1, v24
	v_cndmask_b32_e64 v1, 0, v1, s13
	v_cmp_eq_u32_e64 s13, 0, v2
	s_delay_alu instid0(VALU_DEP_2) | instskip(NEXT) | instid1(VALU_DEP_1)
	v_add_nc_u32_e32 v1, v1, v79
	v_mov_b32_dpp v3, v1 row_shr:1 row_mask:0xf bank_mask:0xf
	s_delay_alu instid0(VALU_DEP_1) | instskip(SKIP_1) | instid1(VALU_DEP_1)
	v_cndmask_b32_e64 v3, 0, v3, s13
	v_cmp_eq_u32_e64 s13, 0, v4
	v_cndmask_b32_e64 v5, v5, 0, s13
	s_delay_alu instid0(VALU_DEP_3) | instskip(NEXT) | instid1(VALU_DEP_2)
	v_cndmask_b32_e64 v3, v3, 0, s13
	v_add_nc_u32_e32 v2, v5, v2
	s_delay_alu instid0(VALU_DEP_2) | instskip(NEXT) | instid1(VALU_DEP_2)
	v_add_nc_u32_e32 v1, v3, v1
	v_mov_b32_dpp v3, v2 row_shr:2 row_mask:0xf bank_mask:0xf
	v_cmp_eq_u32_e64 s13, 0, v2
	s_delay_alu instid0(VALU_DEP_3) | instskip(NEXT) | instid1(VALU_DEP_3)
	v_mov_b32_dpp v5, v1 row_shr:2 row_mask:0xf bank_mask:0xf
	v_cndmask_b32_e64 v3, 0, v3, s14
	s_delay_alu instid0(VALU_DEP_3) | instskip(SKIP_1) | instid1(VALU_DEP_3)
	s_and_b32 s13, s14, s13
	v_cmp_lt_u32_e64 s14, 3, v4
	v_cndmask_b32_e64 v5, 0, v5, s13
	s_delay_alu instid0(VALU_DEP_3) | instskip(NEXT) | instid1(VALU_DEP_2)
	v_add_nc_u32_e32 v2, v2, v3
	v_add_nc_u32_e32 v1, v5, v1
	s_delay_alu instid0(VALU_DEP_2) | instskip(SKIP_1) | instid1(VALU_DEP_3)
	v_mov_b32_dpp v3, v2 row_shr:4 row_mask:0xf bank_mask:0xf
	v_cmp_eq_u32_e64 s13, 0, v2
	v_mov_b32_dpp v5, v1 row_shr:4 row_mask:0xf bank_mask:0xf
	s_delay_alu instid0(VALU_DEP_3) | instskip(NEXT) | instid1(VALU_DEP_3)
	v_cndmask_b32_e64 v3, 0, v3, s14
	s_and_b32 s13, s14, s13
	v_cmp_lt_u32_e64 s14, 7, v4
	s_delay_alu instid0(VALU_DEP_3) | instskip(NEXT) | instid1(VALU_DEP_3)
	v_cndmask_b32_e64 v5, 0, v5, s13
	v_add_nc_u32_e32 v2, v3, v2
	s_delay_alu instid0(VALU_DEP_2) | instskip(SKIP_1) | instid1(VALU_DEP_3)
	v_add_nc_u32_e32 v1, v1, v5
	v_bfe_i32 v5, v81, 4, 1
	v_cmp_eq_u32_e64 s13, 0, v2
	v_mov_b32_dpp v3, v2 row_shr:8 row_mask:0xf bank_mask:0xf
	s_delay_alu instid0(VALU_DEP_4) | instskip(NEXT) | instid1(VALU_DEP_3)
	v_mov_b32_dpp v4, v1 row_shr:8 row_mask:0xf bank_mask:0xf
	s_and_b32 s13, s14, s13
	s_delay_alu instid0(VALU_DEP_2) | instskip(SKIP_1) | instid1(VALU_DEP_2)
	v_cndmask_b32_e64 v3, 0, v3, s14
	s_mov_b32 s14, exec_lo
	v_cndmask_b32_e64 v4, 0, v4, s13
	s_delay_alu instid0(VALU_DEP_1) | instskip(NEXT) | instid1(VALU_DEP_3)
	v_add_nc_u32_e32 v4, v4, v1
	v_add_nc_u32_e32 v1, v3, v2
	ds_swizzle_b32 v2, v4 offset:swizzle(BROADCAST,32,15)
	ds_swizzle_b32 v3, v1 offset:swizzle(BROADCAST,32,15)
	v_cmp_eq_u32_e64 s13, 0, v1
	s_waitcnt lgkmcnt(1)
	s_delay_alu instid0(VALU_DEP_1) | instskip(SKIP_2) | instid1(VALU_DEP_2)
	v_cndmask_b32_e64 v2, 0, v2, s13
	s_waitcnt lgkmcnt(0)
	v_and_b32_e32 v3, v5, v3
	v_and_b32_e32 v2, v5, v2
	s_delay_alu instid0(VALU_DEP_2) | instskip(NEXT) | instid1(VALU_DEP_2)
	v_add_nc_u32_e32 v1, v3, v1
	v_add_nc_u32_e32 v2, v2, v4
	v_cmpx_eq_u32_e64 v83, v0
	s_cbranch_execz .LBB821_125
; %bb.124:
	v_lshlrev_b32_e32 v3, 3, v82
	ds_store_b64 v3, v[1:2] offset:2064
.LBB821_125:
	s_or_b32 exec_lo, exec_lo, s14
	s_delay_alu instid0(SALU_CYCLE_1)
	s_mov_b32 s15, exec_lo
	s_waitcnt vmcnt(0) lgkmcnt(0)
	s_barrier
	buffer_gl0_inv
	v_cmpx_gt_u32_e32 8, v0
	s_cbranch_execz .LBB821_127
; %bb.126:
	v_lshlrev_b32_e32 v5, 3, v0
	v_and_b32_e32 v7, 7, v81
	ds_load_b64 v[3:4], v5 offset:2064
	v_cmp_lt_u32_e64 s14, 1, v7
	s_waitcnt lgkmcnt(0)
	v_mov_b32_dpp v6, v4 row_shr:1 row_mask:0xf bank_mask:0xf
	v_cmp_eq_u32_e64 s13, 0, v3
	v_mov_b32_dpp v8, v3 row_shr:1 row_mask:0xf bank_mask:0xf
	s_delay_alu instid0(VALU_DEP_2) | instskip(SKIP_1) | instid1(VALU_DEP_1)
	v_cndmask_b32_e64 v6, 0, v6, s13
	v_cmp_eq_u32_e64 s13, 0, v7
	v_cndmask_b32_e64 v8, v8, 0, s13
	s_delay_alu instid0(VALU_DEP_3) | instskip(NEXT) | instid1(VALU_DEP_2)
	v_cndmask_b32_e64 v6, v6, 0, s13
	v_add_nc_u32_e32 v3, v8, v3
	s_delay_alu instid0(VALU_DEP_2) | instskip(NEXT) | instid1(VALU_DEP_2)
	v_add_nc_u32_e32 v4, v6, v4
	v_mov_b32_dpp v6, v3 row_shr:2 row_mask:0xf bank_mask:0xf
	v_cmp_eq_u32_e64 s13, 0, v3
	s_delay_alu instid0(VALU_DEP_3) | instskip(NEXT) | instid1(VALU_DEP_3)
	v_mov_b32_dpp v8, v4 row_shr:2 row_mask:0xf bank_mask:0xf
	v_cndmask_b32_e64 v6, 0, v6, s14
	s_delay_alu instid0(VALU_DEP_3) | instskip(SKIP_1) | instid1(VALU_DEP_3)
	s_and_b32 s13, s14, s13
	v_cmp_lt_u32_e64 s14, 3, v7
	v_cndmask_b32_e64 v8, 0, v8, s13
	s_delay_alu instid0(VALU_DEP_3) | instskip(NEXT) | instid1(VALU_DEP_2)
	v_add_nc_u32_e32 v3, v6, v3
	v_add_nc_u32_e32 v4, v8, v4
	s_delay_alu instid0(VALU_DEP_2) | instskip(SKIP_1) | instid1(VALU_DEP_3)
	v_cmp_eq_u32_e64 s13, 0, v3
	v_mov_b32_dpp v6, v3 row_shr:4 row_mask:0xf bank_mask:0xf
	v_mov_b32_dpp v7, v4 row_shr:4 row_mask:0xf bank_mask:0xf
	s_delay_alu instid0(VALU_DEP_3) | instskip(NEXT) | instid1(VALU_DEP_2)
	s_and_b32 s13, s14, s13
	v_cndmask_b32_e64 v6, 0, v6, s14
	s_delay_alu instid0(VALU_DEP_2) | instskip(NEXT) | instid1(VALU_DEP_2)
	v_cndmask_b32_e64 v7, 0, v7, s13
	v_add_nc_u32_e32 v3, v6, v3
	s_delay_alu instid0(VALU_DEP_2)
	v_add_nc_u32_e32 v4, v7, v4
	ds_store_b64 v5, v[3:4] offset:2064
.LBB821_127:
	s_or_b32 exec_lo, exec_lo, s15
	v_dual_mov_b32 v7, 0 :: v_dual_mov_b32 v4, v49
	v_mov_b32_e32 v3, 0
	s_mov_b32 s14, exec_lo
	s_waitcnt lgkmcnt(0)
	s_barrier
	buffer_gl0_inv
	v_cmpx_lt_u32_e32 31, v0
	s_cbranch_execz .LBB821_129
; %bb.128:
	v_lshlrev_b32_e32 v3, 3, v82
	ds_load_b64 v[3:4], v3 offset:2056
	s_waitcnt lgkmcnt(0)
	v_cmp_eq_u32_e64 s13, 0, v3
	s_delay_alu instid0(VALU_DEP_1) | instskip(NEXT) | instid1(VALU_DEP_1)
	v_cndmask_b32_e64 v5, 0, v49, s13
	v_add_nc_u32_e32 v4, v5, v4
.LBB821_129:
	s_or_b32 exec_lo, exec_lo, s14
	v_add_nc_u32_e32 v5, -1, v81
	s_delay_alu instid0(VALU_DEP_1) | instskip(NEXT) | instid1(VALU_DEP_1)
	v_cmp_gt_i32_e64 s13, 0, v5
	v_cndmask_b32_e64 v5, v5, v81, s13
	v_cmp_eq_u32_e64 s13, 0, v1
	v_add_nc_u32_e32 v1, v3, v1
	s_delay_alu instid0(VALU_DEP_3) | instskip(NEXT) | instid1(VALU_DEP_3)
	v_lshlrev_b32_e32 v5, 2, v5
	v_cndmask_b32_e64 v6, 0, v4, s13
	v_cmp_eq_u32_e64 s13, 0, v81
	ds_bpermute_b32 v1, v5, v1
	v_add_nc_u32_e32 v2, v6, v2
	ds_bpermute_b32 v2, v5, v2
	s_waitcnt lgkmcnt(1)
	v_cndmask_b32_e64 v1, v1, v3, s13
	s_delay_alu instid0(VALU_DEP_1) | instskip(SKIP_3) | instid1(VALU_DEP_2)
	v_cndmask_b32_e64 v53, v1, 0, s2
	s_waitcnt lgkmcnt(0)
	v_cndmask_b32_e64 v2, v2, v4, s13
	v_cmp_eq_u32_e64 s13, 0, v78
	v_cndmask_b32_e64 v54, v2, v49, s2
	s_delay_alu instid0(VALU_DEP_1) | instskip(NEXT) | instid1(VALU_DEP_1)
	v_cndmask_b32_e64 v2, 0, v54, s13
	v_add_nc_u32_e32 v60, v2, v35
	s_delay_alu instid0(VALU_DEP_1) | instskip(NEXT) | instid1(VALU_DEP_1)
	v_cndmask_b32_e64 v2, 0, v60, s7
	v_add_nc_u32_e32 v56, v2, v36
	;; [unrolled: 3-line block ×11, first 2 shown]
	ds_load_b64 v[1:2], v7 offset:2120
	v_cndmask_b32_e64 v3, 0, v38, s1
	s_delay_alu instid0(VALU_DEP_1) | instskip(NEXT) | instid1(VALU_DEP_1)
	v_add_nc_u32_e32 v62, v3, v26
	v_cndmask_b32_e32 v3, 0, v62, vcc_lo
	s_delay_alu instid0(VALU_DEP_1) | instskip(SKIP_3) | instid1(VALU_DEP_3)
	v_add_nc_u32_e32 v58, v3, v23
	s_waitcnt lgkmcnt(0)
	v_cmp_eq_u32_e32 vcc_lo, 0, v1
	v_add_nc_u32_e32 v59, v53, v78
	v_cndmask_b32_e64 v3, 0, v58, s0
	v_cndmask_b32_e32 v4, 0, v49, vcc_lo
	s_delay_alu instid0(VALU_DEP_3) | instskip(NEXT) | instid1(VALU_DEP_3)
	v_add_nc_u32_e32 v55, v59, v77
	v_add_nc_u32_e32 v50, v3, v24
	s_delay_alu instid0(VALU_DEP_3) | instskip(NEXT) | instid1(VALU_DEP_3)
	v_add_nc_u32_e32 v80, v4, v2
	v_add_nc_u32_e32 v51, v55, v76
	s_delay_alu instid0(VALU_DEP_1) | instskip(NEXT) | instid1(VALU_DEP_1)
	v_add_nc_u32_e32 v45, v51, v75
	v_add_nc_u32_e32 v41, v45, v74
	s_delay_alu instid0(VALU_DEP_1) | instskip(NEXT) | instid1(VALU_DEP_1)
	;; [unrolled: 3-line block ×5, first 2 shown]
	v_add_nc_u32_e32 v61, v37, v66
	v_add_nc_u32_e32 v57, v61, v65
	s_delay_alu instid0(VALU_DEP_1)
	v_add_nc_u32_e32 v49, v57, v64
	s_and_saveexec_b32 s0, s2
	s_cbranch_execz .LBB821_131
; %bb.130:
	v_and_b32_e32 v2, 0xff000000, v80
	v_dual_mov_b32 v4, 0 :: v_dual_and_b32 v3, 0xff0000, v80
	s_add_u32 s4, s36, 0x200
	v_and_b32_e32 v23, 0xff00, v80
	s_addc_u32 s5, s37, 0
	v_and_b32_e32 v24, 0xff, v80
	v_or_b32_e32 v2, v3, v2
	v_mov_b32_e32 v3, 2
	s_delay_alu instid0(VALU_DEP_2)
	v_or3_b32 v2, v2, v23, v24
	v_dual_mov_b32 v24, s5 :: v_dual_mov_b32 v23, s4
	;;#ASMSTART
	global_store_dwordx4 v[23:24], v[1:4] off	
s_waitcnt vmcnt(0)
	;;#ASMEND
.LBB821_131:
	s_or_b32 exec_lo, exec_lo, s0
	v_mov_b32_e32 v3, 0
.LBB821_132:
	v_mov_b32_e32 v23, 0
	s_and_b32 s0, s16, exec_lo
	v_mov_b32_e32 v24, 0
	s_cselect_b32 s1, 0, s47
	s_cselect_b32 s0, 0, s46
	s_delay_alu instid0(SALU_CYCLE_1)
	s_cmp_eq_u64 s[0:1], 0
	s_barrier
	buffer_gl0_inv
	s_cbranch_scc1 .LBB821_134
; %bb.133:
	v_mov_b32_e32 v2, 0
	global_load_b64 v[23:24], v2, s[0:1]
.LBB821_134:
	v_cmp_eq_u32_e32 vcc_lo, 0, v78
	v_cmp_ne_u32_e64 s15, 0, v78
	v_cmp_ne_u32_e64 s14, 0, v77
	v_cmp_ne_u32_e64 s13, 0, v76
	v_cmp_ne_u32_e64 s12, 0, v75
	v_cndmask_b32_e64 v2, 1, 2, vcc_lo
	v_cmp_eq_u32_e32 vcc_lo, 0, v77
	v_cmp_ne_u32_e64 s11, 0, v74
	v_cmp_ne_u32_e64 s10, 0, v73
	;; [unrolled: 1-line block ×4, first 2 shown]
	v_cndmask_b32_e64 v4, 1, 2, vcc_lo
	v_cmp_eq_u32_e32 vcc_lo, 0, v76
	v_cmp_ne_u32_e64 s9, 0, v69
	v_cmp_ne_u32_e64 s7, 0, v68
	;; [unrolled: 1-line block ×3, first 2 shown]
	v_and_b32_e32 v2, v4, v2
	v_cndmask_b32_e64 v25, 1, 2, vcc_lo
	v_cmp_eq_u32_e32 vcc_lo, 0, v75
	v_cmp_ne_u32_e64 s4, 0, v66
	v_cmp_ne_u32_e64 s3, 0, v65
	;; [unrolled: 1-line block ×3, first 2 shown]
	v_and_b32_e32 v2, v2, v25
	v_cndmask_b32_e64 v4, 1, 2, vcc_lo
	v_cmp_eq_u32_e32 vcc_lo, 0, v74
	v_cmp_ne_u32_e64 s0, 0, v71
	s_mov_b32 s17, -1
	s_delay_alu instid0(VALU_DEP_3) | instskip(SKIP_2) | instid1(VALU_DEP_2)
	v_and_b32_e32 v2, v2, v4
	v_cndmask_b32_e64 v25, 1, 2, vcc_lo
	v_cmp_eq_u32_e32 vcc_lo, 0, v73
	v_and_b32_e32 v2, v2, v25
	v_cndmask_b32_e64 v4, 1, 2, vcc_lo
	v_cmp_eq_u32_e32 vcc_lo, 0, v72
	s_waitcnt vmcnt(0)
	v_lshlrev_b64 v[25:26], 2, v[23:24]
	s_delay_alu instid0(VALU_DEP_3) | instskip(SKIP_2) | instid1(VALU_DEP_2)
	v_and_b32_e32 v2, v2, v4
	v_cndmask_b32_e64 v27, 1, 2, vcc_lo
	v_cmp_eq_u32_e32 vcc_lo, 0, v70
	v_and_b32_e32 v2, v2, v27
	v_cndmask_b32_e64 v28, 1, 2, vcc_lo
	v_cmp_eq_u32_e32 vcc_lo, 0, v69
	s_delay_alu instid0(VALU_DEP_2) | instskip(SKIP_2) | instid1(VALU_DEP_2)
	v_and_b32_e32 v2, v2, v28
	v_cndmask_b32_e64 v27, 1, 2, vcc_lo
	v_cmp_eq_u32_e32 vcc_lo, 0, v68
	v_and_b32_e32 v2, v2, v27
	v_cndmask_b32_e64 v28, 1, 2, vcc_lo
	v_cmp_eq_u32_e32 vcc_lo, 0, v67
	s_delay_alu instid0(VALU_DEP_2) | instskip(SKIP_2) | instid1(VALU_DEP_2)
	;; [unrolled: 7-line block ×3, first 2 shown]
	v_and_b32_e32 v2, v2, v29
	v_cndmask_b32_e64 v30, 1, 2, vcc_lo
	v_cmp_eq_u32_e32 vcc_lo, 0, v64
	v_and_b32_e32 v30, v2, v30
	v_cndmask_b32_e64 v31, 1, 2, vcc_lo
	v_mov_b32_e32 v4, 0
	s_delay_alu instid0(VALU_DEP_1) | instskip(SKIP_2) | instid1(VALU_DEP_2)
	v_lshlrev_b64 v[27:28], 2, v[3:4]
	v_add_co_u32 v4, vcc_lo, s26, v25
	v_add_co_ci_u32_e32 v29, vcc_lo, s27, v26, vcc_lo
	v_add_co_u32 v2, vcc_lo, v4, v27
	s_delay_alu instid0(VALU_DEP_2) | instskip(SKIP_4) | instid1(VALU_DEP_2)
	v_add_co_ci_u32_e32 v4, vcc_lo, v29, v28, vcc_lo
	v_and_b32_e32 v29, v30, v31
	v_cmp_eq_u32_e32 vcc_lo, 0, v71
	v_cndmask_b32_e64 v30, 1, 2, vcc_lo
	v_cmp_gt_u32_e32 vcc_lo, 0x100, v1
	v_and_b32_e32 v29, v29, v30
	s_delay_alu instid0(VALU_DEP_1)
	v_cmp_gt_i16_e64 s16, 2, v29
	s_cbranch_vccz .LBB821_141
; %bb.135:
	s_delay_alu instid0(VALU_DEP_1)
	s_and_saveexec_b32 s17, s16
	s_cbranch_execz .LBB821_140
; %bb.136:
	s_mov_b32 s18, 0
	s_mov_b32 s16, exec_lo
	v_cmpx_ne_u16_e32 1, v29
	s_xor_b32 s16, exec_lo, s16
	s_cbranch_execnz .LBB821_173
; %bb.137:
	s_and_not1_saveexec_b32 s16, s16
	s_cbranch_execnz .LBB821_189
.LBB821_138:
	s_or_b32 exec_lo, exec_lo, s16
	s_delay_alu instid0(SALU_CYCLE_1)
	s_and_b32 exec_lo, exec_lo, s18
	s_cbranch_execz .LBB821_140
.LBB821_139:
	v_sub_nc_u32_e32 v30, v49, v3
	v_mov_b32_e32 v31, 0
	s_delay_alu instid0(VALU_DEP_1) | instskip(NEXT) | instid1(VALU_DEP_1)
	v_lshlrev_b64 v[30:31], 2, v[30:31]
	v_add_co_u32 v30, vcc_lo, v2, v30
	s_delay_alu instid0(VALU_DEP_2)
	v_add_co_ci_u32_e32 v31, vcc_lo, v4, v31, vcc_lo
	global_store_b32 v[30:31], v63, off
.LBB821_140:
	s_or_b32 exec_lo, exec_lo, s17
	s_mov_b32 s17, 0
.LBB821_141:
	s_delay_alu instid0(SALU_CYCLE_1)
	s_and_b32 vcc_lo, exec_lo, s17
	s_cbranch_vccz .LBB821_151
; %bb.142:
	s_mov_b32 s16, exec_lo
	v_cmpx_gt_i16_e32 2, v29
	s_cbranch_execz .LBB821_147
; %bb.143:
	s_mov_b32 s18, 0
	s_mov_b32 s17, exec_lo
	v_cmpx_ne_u16_e32 1, v29
	s_xor_b32 s17, exec_lo, s17
	s_cbranch_execnz .LBB821_190
; %bb.144:
	s_and_not1_saveexec_b32 s0, s17
	s_cbranch_execnz .LBB821_206
.LBB821_145:
	s_or_b32 exec_lo, exec_lo, s0
	s_delay_alu instid0(SALU_CYCLE_1)
	s_and_b32 exec_lo, exec_lo, s18
	s_cbranch_execz .LBB821_147
.LBB821_146:
	v_sub_nc_u32_e32 v9, v49, v3
	s_delay_alu instid0(VALU_DEP_1)
	v_lshlrev_b32_e32 v9, 2, v9
	ds_store_b32 v9, v63
.LBB821_147:
	s_or_b32 exec_lo, exec_lo, s16
	s_delay_alu instid0(SALU_CYCLE_1)
	s_mov_b32 s1, exec_lo
	s_waitcnt lgkmcnt(0)
	s_waitcnt_vscnt null, 0x0
	s_barrier
	buffer_gl0_inv
	v_cmpx_lt_u32_e64 v0, v1
	s_cbranch_execz .LBB821_150
; %bb.148:
	v_dual_mov_b32 v10, 0 :: v_dual_lshlrev_b32 v11, 2, v0
	v_mov_b32_e32 v9, v0
	s_mov_b32 s3, 0
	.p2align	6
.LBB821_149:                            ; =>This Inner Loop Header: Depth=1
	ds_load_b32 v14, v11
	v_lshlrev_b64 v[12:13], 2, v[9:10]
	v_add_nc_u32_e32 v9, 0x100, v9
	v_add_nc_u32_e32 v11, 0x400, v11
	s_delay_alu instid0(VALU_DEP_2) | instskip(NEXT) | instid1(VALU_DEP_4)
	v_cmp_ge_u32_e32 vcc_lo, v9, v1
	v_add_co_u32 v12, s0, v2, v12
	s_delay_alu instid0(VALU_DEP_1)
	v_add_co_ci_u32_e64 v13, s0, v4, v13, s0
	s_or_b32 s3, vcc_lo, s3
	s_waitcnt lgkmcnt(0)
	global_store_b32 v[12:13], v14, off
	s_and_not1_b32 exec_lo, exec_lo, s3
	s_cbranch_execnz .LBB821_149
.LBB821_150:
	s_or_b32 exec_lo, exec_lo, s1
.LBB821_151:
	s_cmpk_lg_i32 s40, 0xf00
	v_cndmask_b32_e64 v4, 0, 1, s41
	s_cselect_b32 s0, -1, 0
	v_mad_i32_i24 v10, v0, -15, s40
	s_and_b32 s0, s0, s33
	s_and_b32 s1, s2, s41
	v_cndmask_b32_e64 v9, 0, 1, s0
	s_mul_hi_u32 s0, s40, 0x88888889
	v_sub_nc_u32_e32 v2, v1, v4
	s_lshr_b32 s0, s0, 3
	v_cndmask_b32_e64 v11, v78, 0, s1
	v_cmp_eq_u32_e32 vcc_lo, s0, v0
	v_cmp_ne_u32_e64 s0, 0, v10
	s_mov_b32 s16, -1
	s_waitcnt_vscnt null, 0x0
	s_barrier
	s_and_b32 vcc_lo, vcc_lo, s33
	v_add_nc_u32_e32 v2, v2, v9
	v_cndmask_b32_e64 v9, 1, v11, s0
	v_cmp_ne_u32_e64 s0, 1, v10
	buffer_gl0_inv
	v_cndmask_b32_e64 v12, 1, v77, s0
	v_cmp_ne_u32_e64 s0, 14, v10
	s_delay_alu instid0(VALU_DEP_2) | instskip(NEXT) | instid1(VALU_DEP_2)
	v_cndmask_b32_e32 v17, v77, v12, vcc_lo
	v_cndmask_b32_e64 v13, 1, v71, s0
	v_cmp_ne_u32_e64 s0, 2, v10
	s_delay_alu instid0(VALU_DEP_3) | instskip(NEXT) | instid1(VALU_DEP_3)
	v_cmp_ne_u32_e64 s13, 0, v17
	v_cndmask_b32_e32 v16, v71, v13, vcc_lo
	s_delay_alu instid0(VALU_DEP_3) | instskip(SKIP_1) | instid1(VALU_DEP_2)
	v_cndmask_b32_e64 v14, 1, v76, s0
	v_cmp_ne_u32_e64 s0, 3, v10
	v_dual_cndmask_b32 v13, v11, v9 :: v_dual_cndmask_b32 v14, v76, v14
	s_delay_alu instid0(VALU_DEP_2) | instskip(SKIP_1) | instid1(VALU_DEP_3)
	v_cndmask_b32_e64 v15, 1, v75, s0
	v_cmp_ne_u32_e64 s0, 4, v10
	v_cmp_ne_u32_e64 s14, 0, v13
	s_delay_alu instid0(VALU_DEP_4) | instskip(NEXT) | instid1(VALU_DEP_3)
	v_cmp_ne_u32_e64 s12, 0, v14
	v_cndmask_b32_e64 v9, 1, v74, s0
	v_cmp_ne_u32_e64 s0, 5, v10
	s_delay_alu instid0(VALU_DEP_1) | instskip(SKIP_1) | instid1(VALU_DEP_2)
	v_cndmask_b32_e64 v11, 1, v73, s0
	v_cmp_eq_u32_e64 s0, 0, v13
	v_cndmask_b32_e32 v29, v73, v11, vcc_lo
	s_delay_alu instid0(VALU_DEP_2) | instskip(SKIP_1) | instid1(VALU_DEP_3)
	v_cndmask_b32_e64 v12, 1, 2, s0
	v_cmp_eq_u32_e64 s0, 0, v17
	v_cmp_ne_u32_e64 s9, 0, v29
	s_delay_alu instid0(VALU_DEP_2) | instskip(SKIP_1) | instid1(VALU_DEP_2)
	v_cndmask_b32_e64 v18, 1, 2, s0
	v_cmp_ne_u32_e64 s0, 6, v10
	v_dual_cndmask_b32 v15, v75, v15 :: v_dual_and_b32 v12, v18, v12
	s_delay_alu instid0(VALU_DEP_2) | instskip(SKIP_1) | instid1(VALU_DEP_3)
	v_cndmask_b32_e64 v19, 1, v72, s0
	v_cmp_eq_u32_e64 s0, 0, v14
	v_cmp_ne_u32_e64 s11, 0, v15
	s_delay_alu instid0(VALU_DEP_2) | instskip(SKIP_1) | instid1(VALU_DEP_1)
	v_cndmask_b32_e64 v18, 1, 2, s0
	v_cmp_ne_u32_e64 s0, 7, v10
	v_cndmask_b32_e64 v20, 1, v70, s0
	v_cmp_ne_u32_e64 s0, 8, v10
	s_delay_alu instid0(VALU_DEP_2) | instskip(NEXT) | instid1(VALU_DEP_2)
	v_dual_cndmask_b32 v19, v72, v19 :: v_dual_cndmask_b32 v20, v70, v20
	v_cndmask_b32_e64 v21, 1, v69, s0
	v_cmp_eq_u32_e64 s0, 0, v15
	v_and_b32_e32 v12, v12, v18
	s_delay_alu instid0(VALU_DEP_4)
	v_cmp_ne_u32_e64 s8, 0, v19
	v_cmp_ne_u32_e64 s7, 0, v20
	v_cndmask_b32_e32 v21, v69, v21, vcc_lo
	v_cndmask_b32_e64 v18, 1, 2, s0
	v_cndmask_b32_e32 v22, v74, v9, vcc_lo
	v_cmp_ne_u32_e64 s0, 9, v10
	s_delay_alu instid0(VALU_DEP_4) | instskip(NEXT) | instid1(VALU_DEP_4)
	v_cmp_ne_u32_e64 s6, 0, v21
	v_and_b32_e32 v11, v12, v18
	s_delay_alu instid0(VALU_DEP_4) | instskip(NEXT) | instid1(VALU_DEP_4)
	v_cmp_ne_u32_e64 s10, 0, v22
	v_cndmask_b32_e64 v9, 1, v68, s0
	v_cmp_eq_u32_e64 s0, 0, v22
	s_delay_alu instid0(VALU_DEP_2) | instskip(NEXT) | instid1(VALU_DEP_2)
	v_cndmask_b32_e32 v33, v68, v9, vcc_lo
	v_cndmask_b32_e64 v12, 1, 2, s0
	v_cmp_ne_u32_e64 s0, 10, v10
	s_delay_alu instid0(VALU_DEP_1) | instskip(SKIP_1) | instid1(VALU_DEP_2)
	v_cndmask_b32_e64 v18, 1, v67, s0
	v_cmp_ne_u32_e64 s0, 12, v10
	v_cndmask_b32_e32 v18, v67, v18, vcc_lo
	s_delay_alu instid0(VALU_DEP_2) | instskip(SKIP_2) | instid1(VALU_DEP_4)
	v_cndmask_b32_e64 v30, 1, v65, s0
	v_cmp_eq_u32_e64 s0, 0, v29
	v_and_b32_e32 v11, v11, v12
	v_cmp_ne_u32_e64 s4, 0, v18
	s_delay_alu instid0(VALU_DEP_4) | instskip(NEXT) | instid1(VALU_DEP_4)
	v_cndmask_b32_e32 v30, v65, v30, vcc_lo
	v_cndmask_b32_e64 v12, 1, 2, s0
	v_cmp_ne_u32_e64 s0, 13, v10
	s_delay_alu instid0(VALU_DEP_3) | instskip(NEXT) | instid1(VALU_DEP_3)
	v_cmp_ne_u32_e64 s2, 0, v30
	v_and_b32_e32 v11, v11, v12
	s_delay_alu instid0(VALU_DEP_3) | instskip(SKIP_1) | instid1(VALU_DEP_2)
	v_cndmask_b32_e64 v31, 1, v64, s0
	v_cmp_eq_u32_e64 s0, 0, v19
	v_cndmask_b32_e32 v31, v64, v31, vcc_lo
	s_delay_alu instid0(VALU_DEP_2) | instskip(SKIP_1) | instid1(VALU_DEP_3)
	v_cndmask_b32_e64 v12, 1, 2, s0
	v_cmp_ne_u32_e64 s0, 11, v10
	v_cmp_ne_u32_e64 s1, 0, v31
	s_delay_alu instid0(VALU_DEP_2) | instskip(SKIP_1) | instid1(VALU_DEP_2)
	v_cndmask_b32_e64 v10, 1, v66, s0
	v_cmp_eq_u32_e64 s0, 0, v20
	v_dual_cndmask_b32 v32, v66, v10 :: v_dual_and_b32 v11, v11, v12
	s_delay_alu instid0(VALU_DEP_2) | instskip(SKIP_2) | instid1(VALU_DEP_4)
	v_cndmask_b32_e64 v12, 1, 2, s0
	v_cmp_eq_u32_e32 vcc_lo, 0, v21
	v_cmp_ne_u32_e64 s0, 0, v16
	v_cmp_ne_u32_e64 s3, 0, v32
	s_delay_alu instid0(VALU_DEP_4) | instskip(SKIP_4) | instid1(VALU_DEP_4)
	v_and_b32_e32 v9, v11, v12
	v_cndmask_b32_e64 v10, 1, 2, vcc_lo
	v_add_co_u32 v11, vcc_lo, s28, v25
	v_add_co_ci_u32_e32 v12, vcc_lo, s29, v26, vcc_lo
	v_cmp_eq_u32_e32 vcc_lo, 0, v33
	v_and_b32_e32 v25, v9, v10
	v_cndmask_b32_e64 v26, 1, 2, vcc_lo
	v_add_co_u32 v9, vcc_lo, v11, v27
	v_add_co_ci_u32_e32 v10, vcc_lo, v12, v28, vcc_lo
	v_lshlrev_b32_e32 v11, 2, v4
	v_cmp_eq_u32_e32 vcc_lo, 0, v18
	v_and_b32_e32 v12, v25, v26
	v_add_nc_u32_e32 v4, v3, v4
	v_cmp_ne_u32_e64 s5, 0, v33
	v_cndmask_b32_e64 v25, 1, 2, vcc_lo
	v_add_co_u32 v11, vcc_lo, v11, v9
	v_add_co_ci_u32_e32 v26, vcc_lo, 0, v10, vcc_lo
	v_cmp_eq_u32_e32 vcc_lo, 0, v32
	s_delay_alu instid0(VALU_DEP_4) | instskip(SKIP_4) | instid1(VALU_DEP_4)
	v_and_b32_e32 v25, v12, v25
	v_cndmask_b32_e64 v27, 1, 2, vcc_lo
	v_add_co_u32 v11, vcc_lo, v11, -4
	v_add_co_ci_u32_e32 v12, vcc_lo, -1, v26, vcc_lo
	v_cmp_eq_u32_e32 vcc_lo, 0, v30
	v_and_b32_e32 v25, v25, v27
	v_cndmask_b32_e64 v26, 1, 2, vcc_lo
	v_cmp_eq_u32_e32 vcc_lo, 0, v31
	s_delay_alu instid0(VALU_DEP_2) | instskip(SKIP_2) | instid1(VALU_DEP_2)
	v_and_b32_e32 v13, v25, v26
	v_cndmask_b32_e64 v14, 1, 2, vcc_lo
	v_cmp_eq_u32_e32 vcc_lo, 0, v16
	v_and_b32_e32 v13, v13, v14
	v_cndmask_b32_e64 v14, 1, 2, vcc_lo
	v_cmp_gt_u32_e32 vcc_lo, 0x100, v2
	s_delay_alu instid0(VALU_DEP_2) | instskip(NEXT) | instid1(VALU_DEP_1)
	v_and_b32_e32 v13, v13, v14
	v_cmp_gt_i16_e64 s15, 2, v13
	s_cbranch_vccnz .LBB821_155
; %bb.152:
	s_and_b32 vcc_lo, exec_lo, s16
	s_cbranch_vccnz .LBB821_161
.LBB821_153:
	v_cmp_eq_u32_e32 vcc_lo, 0xff, v0
	s_and_b32 s0, vcc_lo, s33
	s_delay_alu instid0(SALU_CYCLE_1)
	s_and_saveexec_b32 s1, s0
	s_cbranch_execnz .LBB821_170
.LBB821_154:
	s_nop 0
	s_sendmsg sendmsg(MSG_DEALLOC_VGPRS)
	s_endpgm
.LBB821_155:
	s_delay_alu instid0(VALU_DEP_1)
	s_and_saveexec_b32 s16, s15
	s_cbranch_execz .LBB821_160
; %bb.156:
	s_mov_b32 s17, 0
	s_mov_b32 s15, exec_lo
	v_cmpx_ne_u16_e32 1, v13
	s_xor_b32 s15, exec_lo, s15
	s_cbranch_execnz .LBB821_207
; %bb.157:
	s_and_not1_saveexec_b32 s15, s15
	s_cbranch_execnz .LBB821_223
.LBB821_158:
	s_or_b32 exec_lo, exec_lo, s15
	s_delay_alu instid0(SALU_CYCLE_1)
	s_and_b32 exec_lo, exec_lo, s17
	s_cbranch_execz .LBB821_160
.LBB821_159:
	v_sub_nc_u32_e32 v14, v49, v4
	v_mov_b32_e32 v15, 0
	s_delay_alu instid0(VALU_DEP_1) | instskip(NEXT) | instid1(VALU_DEP_1)
	v_lshlrev_b64 v[14:15], 2, v[14:15]
	v_add_co_u32 v14, vcc_lo, v11, v14
	s_delay_alu instid0(VALU_DEP_2)
	v_add_co_ci_u32_e32 v15, vcc_lo, v12, v15, vcc_lo
	global_store_b32 v[14:15], v50, off
.LBB821_160:
	s_or_b32 exec_lo, exec_lo, s16
	s_branch .LBB821_153
.LBB821_161:
	s_mov_b32 s15, exec_lo
	v_cmpx_gt_i16_e32 2, v13
	s_cbranch_execz .LBB821_166
; %bb.162:
	s_mov_b32 s17, 0
	s_mov_b32 s16, exec_lo
	v_cmpx_ne_u16_e32 1, v13
	s_xor_b32 s16, exec_lo, s16
	s_cbranch_execnz .LBB821_224
; %bb.163:
	s_and_not1_saveexec_b32 s0, s16
	s_cbranch_execnz .LBB821_240
.LBB821_164:
	s_or_b32 exec_lo, exec_lo, s0
	s_delay_alu instid0(SALU_CYCLE_1)
	s_and_b32 exec_lo, exec_lo, s17
	s_cbranch_execz .LBB821_166
.LBB821_165:
	v_sub_nc_u32_e32 v4, v49, v4
	s_delay_alu instid0(VALU_DEP_1)
	v_lshlrev_b32_e32 v4, 2, v4
	ds_store_b32 v4, v50
.LBB821_166:
	s_or_b32 exec_lo, exec_lo, s15
	s_delay_alu instid0(SALU_CYCLE_1)
	s_mov_b32 s1, exec_lo
	s_waitcnt lgkmcnt(0)
	s_waitcnt_vscnt null, 0x0
	s_barrier
	buffer_gl0_inv
	v_cmpx_lt_u32_e64 v0, v2
	s_cbranch_execz .LBB821_169
; %bb.167:
	v_dual_mov_b32 v5, 0 :: v_dual_lshlrev_b32 v6, 2, v0
	v_mov_b32_e32 v4, v0
	s_mov_b32 s2, 0
	.p2align	6
.LBB821_168:                            ; =>This Inner Loop Header: Depth=1
	ds_load_b32 v13, v6
	v_lshlrev_b64 v[7:8], 2, v[4:5]
	v_add_nc_u32_e32 v4, 0x100, v4
	v_add_nc_u32_e32 v6, 0x400, v6
	s_delay_alu instid0(VALU_DEP_2) | instskip(NEXT) | instid1(VALU_DEP_4)
	v_cmp_ge_u32_e32 vcc_lo, v4, v2
	v_add_co_u32 v7, s0, v11, v7
	s_delay_alu instid0(VALU_DEP_1)
	v_add_co_ci_u32_e64 v8, s0, v12, v8, s0
	s_or_b32 s2, vcc_lo, s2
	s_waitcnt lgkmcnt(0)
	global_store_b32 v[7:8], v13, off
	s_and_not1_b32 exec_lo, exec_lo, s2
	s_cbranch_execnz .LBB821_168
.LBB821_169:
	s_or_b32 exec_lo, exec_lo, s1
	v_cmp_eq_u32_e32 vcc_lo, 0xff, v0
	s_and_b32 s0, vcc_lo, s33
	s_delay_alu instid0(SALU_CYCLE_1)
	s_and_saveexec_b32 s1, s0
	s_cbranch_execz .LBB821_154
.LBB821_170:
	v_add_co_u32 v0, s0, v1, v3
	s_delay_alu instid0(VALU_DEP_1) | instskip(SKIP_1) | instid1(VALU_DEP_3)
	v_add_co_ci_u32_e64 v4, null, 0, 0, s0
	v_mov_b32_e32 v2, 0
	v_add_co_u32 v3, vcc_lo, v0, v23
	s_delay_alu instid0(VALU_DEP_3)
	v_add_co_ci_u32_e32 v4, vcc_lo, v4, v24, vcc_lo
	s_cmpk_lg_i32 s40, 0xf00
	global_store_b64 v2, v[3:4], s[30:31]
	s_cbranch_scc1 .LBB821_154
; %bb.171:
	v_lshlrev_b64 v[0:1], 2, v[1:2]
	s_delay_alu instid0(VALU_DEP_1) | instskip(NEXT) | instid1(VALU_DEP_2)
	v_add_co_u32 v0, vcc_lo, v9, v0
	v_add_co_ci_u32_e32 v1, vcc_lo, v10, v1, vcc_lo
	global_store_b32 v[0:1], v80, off offset:-4
	s_nop 0
	s_sendmsg sendmsg(MSG_DEALLOC_VGPRS)
	s_endpgm
.LBB821_172:
	s_or_b32 exec_lo, exec_lo, s4
	v_mov_b32_e32 v78, s1
	s_and_saveexec_b32 s1, s42
	s_cbranch_execnz .LBB821_88
	s_branch .LBB821_89
.LBB821_173:
	s_and_saveexec_b32 s18, s15
	s_cbranch_execnz .LBB821_241
; %bb.174:
	s_or_b32 exec_lo, exec_lo, s18
	s_and_saveexec_b32 s18, s14
	s_cbranch_execnz .LBB821_242
.LBB821_175:
	s_or_b32 exec_lo, exec_lo, s18
	s_and_saveexec_b32 s18, s13
	s_cbranch_execnz .LBB821_243
.LBB821_176:
	s_or_b32 exec_lo, exec_lo, s18
	s_and_saveexec_b32 s18, s12
	s_cbranch_execnz .LBB821_244
.LBB821_177:
	s_or_b32 exec_lo, exec_lo, s18
	s_and_saveexec_b32 s18, s11
	s_cbranch_execnz .LBB821_245
.LBB821_178:
	s_or_b32 exec_lo, exec_lo, s18
	s_and_saveexec_b32 s18, s10
	s_cbranch_execnz .LBB821_246
.LBB821_179:
	s_or_b32 exec_lo, exec_lo, s18
	s_and_saveexec_b32 s18, s8
	s_cbranch_execnz .LBB821_247
.LBB821_180:
	s_or_b32 exec_lo, exec_lo, s18
	s_and_saveexec_b32 s18, s6
	s_cbranch_execnz .LBB821_248
.LBB821_181:
	s_or_b32 exec_lo, exec_lo, s18
	s_and_saveexec_b32 s18, s9
	s_cbranch_execnz .LBB821_249
.LBB821_182:
	s_or_b32 exec_lo, exec_lo, s18
	s_and_saveexec_b32 s18, s7
	s_cbranch_execnz .LBB821_250
.LBB821_183:
	s_or_b32 exec_lo, exec_lo, s18
	s_and_saveexec_b32 s18, s5
	s_cbranch_execnz .LBB821_251
.LBB821_184:
	s_or_b32 exec_lo, exec_lo, s18
	s_and_saveexec_b32 s18, s4
	s_cbranch_execnz .LBB821_252
.LBB821_185:
	s_or_b32 exec_lo, exec_lo, s18
	s_and_saveexec_b32 s18, s3
	s_cbranch_execnz .LBB821_253
.LBB821_186:
	s_or_b32 exec_lo, exec_lo, s18
	s_and_saveexec_b32 s18, s1
	s_cbranch_execz .LBB821_188
.LBB821_187:
	v_sub_nc_u32_e32 v30, v57, v3
	v_mov_b32_e32 v31, 0
	s_delay_alu instid0(VALU_DEP_1) | instskip(NEXT) | instid1(VALU_DEP_1)
	v_lshlrev_b64 v[30:31], 2, v[30:31]
	v_add_co_u32 v30, vcc_lo, v2, v30
	s_delay_alu instid0(VALU_DEP_2)
	v_add_co_ci_u32_e32 v31, vcc_lo, v4, v31, vcc_lo
	global_store_b32 v[30:31], v10, off
.LBB821_188:
	s_or_b32 exec_lo, exec_lo, s18
	s_delay_alu instid0(SALU_CYCLE_1)
	s_and_b32 s18, s0, exec_lo
	s_and_not1_saveexec_b32 s16, s16
	s_cbranch_execz .LBB821_138
.LBB821_189:
	v_sub_nc_u32_e32 v30, v53, v3
	v_mov_b32_e32 v31, 0
	s_or_b32 s18, s18, exec_lo
	s_delay_alu instid0(VALU_DEP_1) | instskip(SKIP_1) | instid1(VALU_DEP_1)
	v_lshlrev_b64 v[32:33], 2, v[30:31]
	v_sub_nc_u32_e32 v30, v59, v3
	v_lshlrev_b64 v[34:35], 2, v[30:31]
	v_sub_nc_u32_e32 v30, v55, v3
	s_delay_alu instid0(VALU_DEP_4) | instskip(SKIP_1) | instid1(VALU_DEP_3)
	v_add_co_u32 v32, vcc_lo, v2, v32
	v_add_co_ci_u32_e32 v33, vcc_lo, v4, v33, vcc_lo
	v_lshlrev_b64 v[81:82], 2, v[30:31]
	v_sub_nc_u32_e32 v30, v51, v3
	v_add_co_u32 v34, vcc_lo, v2, v34
	v_add_co_ci_u32_e32 v35, vcc_lo, v4, v35, vcc_lo
	global_store_b32 v[32:33], v21, off
	v_lshlrev_b64 v[32:33], 2, v[30:31]
	v_sub_nc_u32_e32 v30, v45, v3
	global_store_b32 v[34:35], v22, off
	v_add_co_u32 v34, vcc_lo, v2, v81
	v_add_co_ci_u32_e32 v35, vcc_lo, v4, v82, vcc_lo
	v_lshlrev_b64 v[81:82], 2, v[30:31]
	v_sub_nc_u32_e32 v30, v41, v3
	v_add_co_u32 v32, vcc_lo, v2, v32
	v_add_co_ci_u32_e32 v33, vcc_lo, v4, v33, vcc_lo
	s_delay_alu instid0(VALU_DEP_3) | instskip(SKIP_3) | instid1(VALU_DEP_3)
	v_lshlrev_b64 v[83:84], 2, v[30:31]
	v_sub_nc_u32_e32 v30, v39, v3
	v_add_co_u32 v81, vcc_lo, v2, v81
	v_add_co_ci_u32_e32 v82, vcc_lo, v4, v82, vcc_lo
	v_lshlrev_b64 v[85:86], 2, v[30:31]
	v_sub_nc_u32_e32 v30, v43, v3
	v_add_co_u32 v83, vcc_lo, v2, v83
	v_add_co_ci_u32_e32 v84, vcc_lo, v4, v84, vcc_lo
	s_clause 0x3
	global_store_b32 v[34:35], v19, off
	global_store_b32 v[32:33], v20, off
	;; [unrolled: 1-line block ×4, first 2 shown]
	v_lshlrev_b64 v[32:33], 2, v[30:31]
	v_sub_nc_u32_e32 v30, v47, v3
	v_add_co_u32 v34, vcc_lo, v2, v85
	v_add_co_ci_u32_e32 v35, vcc_lo, v4, v86, vcc_lo
	s_delay_alu instid0(VALU_DEP_3) | instskip(SKIP_3) | instid1(VALU_DEP_3)
	v_lshlrev_b64 v[81:82], 2, v[30:31]
	v_sub_nc_u32_e32 v30, v5, v3
	v_add_co_u32 v32, vcc_lo, v2, v32
	v_add_co_ci_u32_e32 v33, vcc_lo, v4, v33, vcc_lo
	v_lshlrev_b64 v[83:84], 2, v[30:31]
	v_sub_nc_u32_e32 v30, v7, v3
	v_add_co_u32 v81, vcc_lo, v2, v81
	v_add_co_ci_u32_e32 v82, vcc_lo, v4, v82, vcc_lo
	s_delay_alu instid0(VALU_DEP_3)
	v_lshlrev_b64 v[85:86], 2, v[30:31]
	v_sub_nc_u32_e32 v30, v37, v3
	v_add_co_u32 v83, vcc_lo, v2, v83
	v_add_co_ci_u32_e32 v84, vcc_lo, v4, v84, vcc_lo
	s_clause 0x3
	global_store_b32 v[34:35], v15, off
	global_store_b32 v[32:33], v16, off
	;; [unrolled: 1-line block ×4, first 2 shown]
	v_lshlrev_b64 v[32:33], 2, v[30:31]
	v_sub_nc_u32_e32 v30, v61, v3
	v_add_co_u32 v34, vcc_lo, v2, v85
	v_add_co_ci_u32_e32 v35, vcc_lo, v4, v86, vcc_lo
	s_delay_alu instid0(VALU_DEP_3) | instskip(SKIP_3) | instid1(VALU_DEP_3)
	v_lshlrev_b64 v[81:82], 2, v[30:31]
	v_sub_nc_u32_e32 v30, v57, v3
	v_add_co_u32 v32, vcc_lo, v2, v32
	v_add_co_ci_u32_e32 v33, vcc_lo, v4, v33, vcc_lo
	v_lshlrev_b64 v[30:31], 2, v[30:31]
	v_add_co_u32 v81, vcc_lo, v2, v81
	v_add_co_ci_u32_e32 v82, vcc_lo, v4, v82, vcc_lo
	s_clause 0x2
	global_store_b32 v[34:35], v11, off
	global_store_b32 v[32:33], v12, off
	;; [unrolled: 1-line block ×3, first 2 shown]
	v_add_co_u32 v30, vcc_lo, v2, v30
	v_add_co_ci_u32_e32 v31, vcc_lo, v4, v31, vcc_lo
	global_store_b32 v[30:31], v10, off
	s_or_b32 exec_lo, exec_lo, s16
	s_delay_alu instid0(SALU_CYCLE_1)
	s_and_b32 exec_lo, exec_lo, s18
	s_cbranch_execnz .LBB821_139
	s_branch .LBB821_140
.LBB821_190:
	s_and_saveexec_b32 s18, s15
	s_cbranch_execnz .LBB821_254
; %bb.191:
	s_or_b32 exec_lo, exec_lo, s18
	s_and_saveexec_b32 s15, s14
	s_cbranch_execnz .LBB821_255
.LBB821_192:
	s_or_b32 exec_lo, exec_lo, s15
	s_and_saveexec_b32 s14, s13
	s_cbranch_execnz .LBB821_256
.LBB821_193:
	s_or_b32 exec_lo, exec_lo, s14
	s_and_saveexec_b32 s13, s12
	s_cbranch_execnz .LBB821_257
.LBB821_194:
	s_or_b32 exec_lo, exec_lo, s13
	s_and_saveexec_b32 s12, s11
	s_cbranch_execnz .LBB821_258
.LBB821_195:
	s_or_b32 exec_lo, exec_lo, s12
	s_and_saveexec_b32 s11, s10
	s_cbranch_execnz .LBB821_259
.LBB821_196:
	s_or_b32 exec_lo, exec_lo, s11
	s_and_saveexec_b32 s10, s8
	s_cbranch_execnz .LBB821_260
.LBB821_197:
	s_or_b32 exec_lo, exec_lo, s10
	s_and_saveexec_b32 s8, s6
	s_cbranch_execnz .LBB821_261
.LBB821_198:
	s_or_b32 exec_lo, exec_lo, s8
	s_and_saveexec_b32 s6, s9
	s_cbranch_execnz .LBB821_262
.LBB821_199:
	s_or_b32 exec_lo, exec_lo, s6
	s_and_saveexec_b32 s6, s7
	s_cbranch_execnz .LBB821_263
.LBB821_200:
	s_or_b32 exec_lo, exec_lo, s6
	s_and_saveexec_b32 s6, s5
	s_cbranch_execnz .LBB821_264
.LBB821_201:
	s_or_b32 exec_lo, exec_lo, s6
	s_and_saveexec_b32 s5, s4
	s_cbranch_execnz .LBB821_265
.LBB821_202:
	s_or_b32 exec_lo, exec_lo, s5
	s_and_saveexec_b32 s4, s3
	s_cbranch_execnz .LBB821_266
.LBB821_203:
	s_or_b32 exec_lo, exec_lo, s4
	s_and_saveexec_b32 s3, s1
	s_cbranch_execz .LBB821_205
.LBB821_204:
	v_sub_nc_u32_e32 v9, v57, v3
	s_delay_alu instid0(VALU_DEP_1)
	v_lshlrev_b32_e32 v9, 2, v9
	ds_store_b32 v9, v10
.LBB821_205:
	s_or_b32 exec_lo, exec_lo, s3
	s_delay_alu instid0(SALU_CYCLE_1)
	s_and_b32 s18, s0, exec_lo
                                        ; implicit-def: $vgpr21
                                        ; implicit-def: $vgpr19
                                        ; implicit-def: $vgpr17
                                        ; implicit-def: $vgpr15
                                        ; implicit-def: $vgpr13
                                        ; implicit-def: $vgpr11
                                        ; implicit-def: $vgpr9
	s_and_not1_saveexec_b32 s0, s17
	s_cbranch_execz .LBB821_145
.LBB821_206:
	v_sub_nc_u32_e32 v29, v53, v3
	v_sub_nc_u32_e32 v32, v51, v3
	;; [unrolled: 1-line block ×4, first 2 shown]
	s_or_b32 s18, s18, exec_lo
	v_lshlrev_b32_e32 v29, 2, v29
	v_lshlrev_b32_e32 v32, 2, v32
	;; [unrolled: 1-line block ×4, first 2 shown]
	ds_store_b32 v29, v21
	ds_store_b32 v30, v22
	;; [unrolled: 1-line block ×3, first 2 shown]
	v_sub_nc_u32_e32 v19, v45, v3
	ds_store_b32 v32, v20
	v_sub_nc_u32_e32 v20, v41, v3
	v_sub_nc_u32_e32 v21, v39, v3
	;; [unrolled: 1-line block ×3, first 2 shown]
	v_lshlrev_b32_e32 v19, 2, v19
	v_sub_nc_u32_e32 v29, v47, v3
	v_lshlrev_b32_e32 v20, 2, v20
	v_lshlrev_b32_e32 v21, 2, v21
	;; [unrolled: 1-line block ×3, first 2 shown]
	ds_store_b32 v19, v17
	v_lshlrev_b32_e32 v17, 2, v29
	ds_store_b32 v20, v18
	ds_store_b32 v21, v15
	;; [unrolled: 1-line block ×3, first 2 shown]
	v_sub_nc_u32_e32 v15, v5, v3
	v_sub_nc_u32_e32 v18, v57, v3
	;; [unrolled: 1-line block ×3, first 2 shown]
	ds_store_b32 v17, v13
	v_sub_nc_u32_e32 v13, v7, v3
	v_lshlrev_b32_e32 v15, 2, v15
	v_sub_nc_u32_e32 v17, v61, v3
	v_lshlrev_b32_e32 v16, 2, v16
	s_delay_alu instid0(VALU_DEP_4)
	v_lshlrev_b32_e32 v13, 2, v13
	ds_store_b32 v15, v14
	v_lshlrev_b32_e32 v14, 2, v18
	v_lshlrev_b32_e32 v17, 2, v17
	ds_store_b32 v13, v11
	ds_store_b32 v16, v12
	;; [unrolled: 1-line block ×4, first 2 shown]
	s_or_b32 exec_lo, exec_lo, s0
	s_delay_alu instid0(SALU_CYCLE_1)
	s_and_b32 exec_lo, exec_lo, s18
	s_cbranch_execnz .LBB821_146
	s_branch .LBB821_147
.LBB821_207:
	s_and_saveexec_b32 s17, s14
	s_cbranch_execnz .LBB821_267
; %bb.208:
	s_or_b32 exec_lo, exec_lo, s17
	s_and_saveexec_b32 s17, s13
	s_cbranch_execnz .LBB821_268
.LBB821_209:
	s_or_b32 exec_lo, exec_lo, s17
	s_and_saveexec_b32 s17, s12
	s_cbranch_execnz .LBB821_269
.LBB821_210:
	s_or_b32 exec_lo, exec_lo, s17
	s_and_saveexec_b32 s17, s11
	s_cbranch_execnz .LBB821_270
.LBB821_211:
	s_or_b32 exec_lo, exec_lo, s17
	s_and_saveexec_b32 s17, s10
	s_cbranch_execnz .LBB821_271
.LBB821_212:
	s_or_b32 exec_lo, exec_lo, s17
	s_and_saveexec_b32 s17, s9
	s_cbranch_execnz .LBB821_272
.LBB821_213:
	s_or_b32 exec_lo, exec_lo, s17
	s_and_saveexec_b32 s17, s8
	s_cbranch_execnz .LBB821_273
.LBB821_214:
	s_or_b32 exec_lo, exec_lo, s17
	s_and_saveexec_b32 s17, s7
	s_cbranch_execnz .LBB821_274
.LBB821_215:
	s_or_b32 exec_lo, exec_lo, s17
	s_and_saveexec_b32 s17, s6
	s_cbranch_execnz .LBB821_275
.LBB821_216:
	s_or_b32 exec_lo, exec_lo, s17
	s_and_saveexec_b32 s17, s5
	s_cbranch_execnz .LBB821_276
.LBB821_217:
	s_or_b32 exec_lo, exec_lo, s17
	s_and_saveexec_b32 s17, s4
	s_cbranch_execnz .LBB821_277
.LBB821_218:
	s_or_b32 exec_lo, exec_lo, s17
	s_and_saveexec_b32 s17, s3
	s_cbranch_execnz .LBB821_278
.LBB821_219:
	s_or_b32 exec_lo, exec_lo, s17
	s_and_saveexec_b32 s17, s2
	s_cbranch_execnz .LBB821_279
.LBB821_220:
	s_or_b32 exec_lo, exec_lo, s17
	s_and_saveexec_b32 s17, s1
	s_cbranch_execz .LBB821_222
.LBB821_221:
	v_sub_nc_u32_e32 v14, v57, v4
	v_mov_b32_e32 v15, 0
	s_delay_alu instid0(VALU_DEP_1) | instskip(NEXT) | instid1(VALU_DEP_1)
	v_lshlrev_b64 v[14:15], 2, v[14:15]
	v_add_co_u32 v14, vcc_lo, v11, v14
	s_delay_alu instid0(VALU_DEP_2)
	v_add_co_ci_u32_e32 v15, vcc_lo, v12, v15, vcc_lo
	global_store_b32 v[14:15], v58, off
.LBB821_222:
	s_or_b32 exec_lo, exec_lo, s17
	s_delay_alu instid0(SALU_CYCLE_1)
	s_and_b32 s17, s0, exec_lo
	s_and_not1_saveexec_b32 s15, s15
	s_cbranch_execz .LBB821_158
.LBB821_223:
	v_sub_nc_u32_e32 v14, v53, v4
	v_mov_b32_e32 v15, 0
	s_or_b32 s17, s17, exec_lo
	s_delay_alu instid0(VALU_DEP_1) | instskip(SKIP_1) | instid1(VALU_DEP_1)
	v_lshlrev_b64 v[16:17], 2, v[14:15]
	v_sub_nc_u32_e32 v14, v59, v4
	v_lshlrev_b64 v[18:19], 2, v[14:15]
	v_sub_nc_u32_e32 v14, v55, v4
	s_delay_alu instid0(VALU_DEP_4) | instskip(SKIP_1) | instid1(VALU_DEP_3)
	v_add_co_u32 v16, vcc_lo, v11, v16
	v_add_co_ci_u32_e32 v17, vcc_lo, v12, v17, vcc_lo
	v_lshlrev_b64 v[20:21], 2, v[14:15]
	v_sub_nc_u32_e32 v14, v51, v4
	v_add_co_u32 v18, vcc_lo, v11, v18
	v_add_co_ci_u32_e32 v19, vcc_lo, v12, v19, vcc_lo
	global_store_b32 v[16:17], v54, off
	v_lshlrev_b64 v[16:17], 2, v[14:15]
	v_sub_nc_u32_e32 v14, v45, v4
	global_store_b32 v[18:19], v60, off
	v_add_co_u32 v18, vcc_lo, v11, v20
	v_add_co_ci_u32_e32 v19, vcc_lo, v12, v21, vcc_lo
	v_lshlrev_b64 v[20:21], 2, v[14:15]
	v_sub_nc_u32_e32 v14, v41, v4
	v_add_co_u32 v16, vcc_lo, v11, v16
	v_add_co_ci_u32_e32 v17, vcc_lo, v12, v17, vcc_lo
	s_delay_alu instid0(VALU_DEP_3) | instskip(SKIP_3) | instid1(VALU_DEP_3)
	v_lshlrev_b64 v[25:26], 2, v[14:15]
	v_sub_nc_u32_e32 v14, v39, v4
	v_add_co_u32 v20, vcc_lo, v11, v20
	v_add_co_ci_u32_e32 v21, vcc_lo, v12, v21, vcc_lo
	v_lshlrev_b64 v[27:28], 2, v[14:15]
	v_sub_nc_u32_e32 v14, v43, v4
	v_add_co_u32 v25, vcc_lo, v11, v25
	v_add_co_ci_u32_e32 v26, vcc_lo, v12, v26, vcc_lo
	s_clause 0x3
	global_store_b32 v[18:19], v56, off
	global_store_b32 v[16:17], v52, off
	;; [unrolled: 1-line block ×4, first 2 shown]
	v_lshlrev_b64 v[16:17], 2, v[14:15]
	v_sub_nc_u32_e32 v14, v47, v4
	v_add_co_u32 v18, vcc_lo, v11, v27
	v_add_co_ci_u32_e32 v19, vcc_lo, v12, v28, vcc_lo
	s_delay_alu instid0(VALU_DEP_3) | instskip(SKIP_3) | instid1(VALU_DEP_3)
	v_lshlrev_b64 v[20:21], 2, v[14:15]
	v_sub_nc_u32_e32 v14, v5, v4
	v_add_co_u32 v16, vcc_lo, v11, v16
	v_add_co_ci_u32_e32 v17, vcc_lo, v12, v17, vcc_lo
	v_lshlrev_b64 v[25:26], 2, v[14:15]
	v_sub_nc_u32_e32 v14, v7, v4
	v_add_co_u32 v20, vcc_lo, v11, v20
	v_add_co_ci_u32_e32 v21, vcc_lo, v12, v21, vcc_lo
	s_delay_alu instid0(VALU_DEP_3)
	v_lshlrev_b64 v[27:28], 2, v[14:15]
	v_sub_nc_u32_e32 v14, v37, v4
	v_add_co_u32 v25, vcc_lo, v11, v25
	v_add_co_ci_u32_e32 v26, vcc_lo, v12, v26, vcc_lo
	s_clause 0x3
	global_store_b32 v[18:19], v40, off
	global_store_b32 v[16:17], v44, off
	;; [unrolled: 1-line block ×4, first 2 shown]
	v_lshlrev_b64 v[16:17], 2, v[14:15]
	v_sub_nc_u32_e32 v14, v61, v4
	v_add_co_u32 v18, vcc_lo, v11, v27
	v_add_co_ci_u32_e32 v19, vcc_lo, v12, v28, vcc_lo
	s_delay_alu instid0(VALU_DEP_3) | instskip(SKIP_3) | instid1(VALU_DEP_3)
	v_lshlrev_b64 v[20:21], 2, v[14:15]
	v_sub_nc_u32_e32 v14, v57, v4
	v_add_co_u32 v16, vcc_lo, v11, v16
	v_add_co_ci_u32_e32 v17, vcc_lo, v12, v17, vcc_lo
	v_lshlrev_b64 v[14:15], 2, v[14:15]
	v_add_co_u32 v20, vcc_lo, v11, v20
	v_add_co_ci_u32_e32 v21, vcc_lo, v12, v21, vcc_lo
	s_clause 0x2
	global_store_b32 v[18:19], v8, off
	global_store_b32 v[16:17], v38, off
	;; [unrolled: 1-line block ×3, first 2 shown]
	v_add_co_u32 v14, vcc_lo, v11, v14
	v_add_co_ci_u32_e32 v15, vcc_lo, v12, v15, vcc_lo
	global_store_b32 v[14:15], v58, off
	s_or_b32 exec_lo, exec_lo, s15
	s_delay_alu instid0(SALU_CYCLE_1)
	s_and_b32 exec_lo, exec_lo, s17
	s_cbranch_execnz .LBB821_159
	s_branch .LBB821_160
.LBB821_224:
	s_and_saveexec_b32 s17, s14
	s_cbranch_execnz .LBB821_280
; %bb.225:
	s_or_b32 exec_lo, exec_lo, s17
	s_and_saveexec_b32 s14, s13
	s_cbranch_execnz .LBB821_281
.LBB821_226:
	s_or_b32 exec_lo, exec_lo, s14
	s_and_saveexec_b32 s13, s12
	s_cbranch_execnz .LBB821_282
.LBB821_227:
	s_or_b32 exec_lo, exec_lo, s13
	s_and_saveexec_b32 s12, s11
	s_cbranch_execnz .LBB821_283
.LBB821_228:
	s_or_b32 exec_lo, exec_lo, s12
	s_and_saveexec_b32 s11, s10
	s_cbranch_execnz .LBB821_284
.LBB821_229:
	s_or_b32 exec_lo, exec_lo, s11
	s_and_saveexec_b32 s10, s9
	s_cbranch_execnz .LBB821_285
.LBB821_230:
	s_or_b32 exec_lo, exec_lo, s10
	s_and_saveexec_b32 s9, s8
	s_cbranch_execnz .LBB821_286
.LBB821_231:
	s_or_b32 exec_lo, exec_lo, s9
	s_and_saveexec_b32 s8, s7
	s_cbranch_execnz .LBB821_287
.LBB821_232:
	s_or_b32 exec_lo, exec_lo, s8
	s_and_saveexec_b32 s7, s6
	s_cbranch_execnz .LBB821_288
.LBB821_233:
	s_or_b32 exec_lo, exec_lo, s7
	s_and_saveexec_b32 s6, s5
	s_cbranch_execnz .LBB821_289
.LBB821_234:
	s_or_b32 exec_lo, exec_lo, s6
	s_and_saveexec_b32 s5, s4
	s_cbranch_execnz .LBB821_290
.LBB821_235:
	s_or_b32 exec_lo, exec_lo, s5
	s_and_saveexec_b32 s4, s3
	s_cbranch_execnz .LBB821_291
.LBB821_236:
	s_or_b32 exec_lo, exec_lo, s4
	s_and_saveexec_b32 s3, s2
	s_cbranch_execnz .LBB821_292
.LBB821_237:
	s_or_b32 exec_lo, exec_lo, s3
	s_and_saveexec_b32 s2, s1
	s_cbranch_execz .LBB821_239
.LBB821_238:
	v_sub_nc_u32_e32 v5, v57, v4
	s_delay_alu instid0(VALU_DEP_1)
	v_lshlrev_b32_e32 v5, 2, v5
	ds_store_b32 v5, v58
.LBB821_239:
	s_or_b32 exec_lo, exec_lo, s2
	s_delay_alu instid0(SALU_CYCLE_1)
	s_and_b32 s17, s0, exec_lo
                                        ; implicit-def: $vgpr53_vgpr54
                                        ; implicit-def: $vgpr59_vgpr60
                                        ; implicit-def: $vgpr55_vgpr56
                                        ; implicit-def: $vgpr51_vgpr52
                                        ; implicit-def: $vgpr45_vgpr46
                                        ; implicit-def: $vgpr41_vgpr42
                                        ; implicit-def: $vgpr39_vgpr40
                                        ; implicit-def: $vgpr43_vgpr44
                                        ; implicit-def: $vgpr47_vgpr48
                                        ; implicit-def: $vgpr5_vgpr6
                                        ; implicit-def: $vgpr7_vgpr8
                                        ; implicit-def: $vgpr37_vgpr38
                                        ; implicit-def: $vgpr61_vgpr62
                                        ; implicit-def: $vgpr57_vgpr58
	s_and_not1_saveexec_b32 s0, s16
	s_cbranch_execz .LBB821_164
.LBB821_240:
	v_sub_nc_u32_e32 v13, v53, v4
	v_sub_nc_u32_e32 v14, v59, v4
	;; [unrolled: 1-line block ×5, first 2 shown]
	v_lshlrev_b32_e32 v13, 2, v13
	v_lshlrev_b32_e32 v14, 2, v14
	;; [unrolled: 1-line block ×4, first 2 shown]
	v_sub_nc_u32_e32 v5, v5, v4
	ds_store_b32 v13, v54
	ds_store_b32 v14, v60
	;; [unrolled: 1-line block ×3, first 2 shown]
	v_sub_nc_u32_e32 v13, v45, v4
	v_sub_nc_u32_e32 v14, v41, v4
	;; [unrolled: 1-line block ×3, first 2 shown]
	ds_store_b32 v16, v52
	v_sub_nc_u32_e32 v16, v43, v4
	v_lshlrev_b32_e32 v13, 2, v13
	v_lshlrev_b32_e32 v14, 2, v14
	;; [unrolled: 1-line block ×3, first 2 shown]
	v_sub_nc_u32_e32 v7, v7, v4
	v_lshlrev_b32_e32 v16, 2, v16
	ds_store_b32 v13, v46
	v_lshlrev_b32_e32 v13, 2, v17
	ds_store_b32 v14, v42
	ds_store_b32 v15, v40
	;; [unrolled: 1-line block ×3, first 2 shown]
	v_lshlrev_b32_e32 v5, 2, v5
	v_sub_nc_u32_e32 v15, v57, v4
	v_sub_nc_u32_e32 v14, v61, v4
	ds_store_b32 v13, v48
	v_sub_nc_u32_e32 v13, v37, v4
	v_lshlrev_b32_e32 v7, 2, v7
	ds_store_b32 v5, v6
	v_lshlrev_b32_e32 v5, 2, v15
	v_lshlrev_b32_e32 v14, 2, v14
	v_lshlrev_b32_e32 v13, 2, v13
	s_or_b32 s17, s17, exec_lo
	ds_store_b32 v7, v8
	ds_store_b32 v13, v38
	;; [unrolled: 1-line block ×4, first 2 shown]
	s_or_b32 exec_lo, exec_lo, s0
	s_delay_alu instid0(SALU_CYCLE_1)
	s_and_b32 exec_lo, exec_lo, s17
	s_cbranch_execnz .LBB821_165
	s_branch .LBB821_166
.LBB821_241:
	v_sub_nc_u32_e32 v30, v53, v3
	v_mov_b32_e32 v31, 0
	s_delay_alu instid0(VALU_DEP_1) | instskip(NEXT) | instid1(VALU_DEP_1)
	v_lshlrev_b64 v[30:31], 2, v[30:31]
	v_add_co_u32 v30, vcc_lo, v2, v30
	s_delay_alu instid0(VALU_DEP_2)
	v_add_co_ci_u32_e32 v31, vcc_lo, v4, v31, vcc_lo
	global_store_b32 v[30:31], v21, off
	s_or_b32 exec_lo, exec_lo, s18
	s_and_saveexec_b32 s18, s14
	s_cbranch_execz .LBB821_175
.LBB821_242:
	v_sub_nc_u32_e32 v30, v59, v3
	v_mov_b32_e32 v31, 0
	s_delay_alu instid0(VALU_DEP_1) | instskip(NEXT) | instid1(VALU_DEP_1)
	v_lshlrev_b64 v[30:31], 2, v[30:31]
	v_add_co_u32 v30, vcc_lo, v2, v30
	s_delay_alu instid0(VALU_DEP_2)
	v_add_co_ci_u32_e32 v31, vcc_lo, v4, v31, vcc_lo
	global_store_b32 v[30:31], v22, off
	s_or_b32 exec_lo, exec_lo, s18
	s_and_saveexec_b32 s18, s13
	s_cbranch_execz .LBB821_176
.LBB821_243:
	v_sub_nc_u32_e32 v30, v55, v3
	v_mov_b32_e32 v31, 0
	s_delay_alu instid0(VALU_DEP_1) | instskip(NEXT) | instid1(VALU_DEP_1)
	v_lshlrev_b64 v[30:31], 2, v[30:31]
	v_add_co_u32 v30, vcc_lo, v2, v30
	s_delay_alu instid0(VALU_DEP_2)
	v_add_co_ci_u32_e32 v31, vcc_lo, v4, v31, vcc_lo
	global_store_b32 v[30:31], v19, off
	s_or_b32 exec_lo, exec_lo, s18
	s_and_saveexec_b32 s18, s12
	s_cbranch_execz .LBB821_177
.LBB821_244:
	v_sub_nc_u32_e32 v30, v51, v3
	v_mov_b32_e32 v31, 0
	s_delay_alu instid0(VALU_DEP_1) | instskip(NEXT) | instid1(VALU_DEP_1)
	v_lshlrev_b64 v[30:31], 2, v[30:31]
	v_add_co_u32 v30, vcc_lo, v2, v30
	s_delay_alu instid0(VALU_DEP_2)
	v_add_co_ci_u32_e32 v31, vcc_lo, v4, v31, vcc_lo
	global_store_b32 v[30:31], v20, off
	s_or_b32 exec_lo, exec_lo, s18
	s_and_saveexec_b32 s18, s11
	s_cbranch_execz .LBB821_178
.LBB821_245:
	v_sub_nc_u32_e32 v30, v45, v3
	v_mov_b32_e32 v31, 0
	s_delay_alu instid0(VALU_DEP_1) | instskip(NEXT) | instid1(VALU_DEP_1)
	v_lshlrev_b64 v[30:31], 2, v[30:31]
	v_add_co_u32 v30, vcc_lo, v2, v30
	s_delay_alu instid0(VALU_DEP_2)
	v_add_co_ci_u32_e32 v31, vcc_lo, v4, v31, vcc_lo
	global_store_b32 v[30:31], v17, off
	s_or_b32 exec_lo, exec_lo, s18
	s_and_saveexec_b32 s18, s10
	s_cbranch_execz .LBB821_179
.LBB821_246:
	v_sub_nc_u32_e32 v30, v41, v3
	v_mov_b32_e32 v31, 0
	s_delay_alu instid0(VALU_DEP_1) | instskip(NEXT) | instid1(VALU_DEP_1)
	v_lshlrev_b64 v[30:31], 2, v[30:31]
	v_add_co_u32 v30, vcc_lo, v2, v30
	s_delay_alu instid0(VALU_DEP_2)
	v_add_co_ci_u32_e32 v31, vcc_lo, v4, v31, vcc_lo
	global_store_b32 v[30:31], v18, off
	s_or_b32 exec_lo, exec_lo, s18
	s_and_saveexec_b32 s18, s8
	s_cbranch_execz .LBB821_180
.LBB821_247:
	v_sub_nc_u32_e32 v30, v39, v3
	v_mov_b32_e32 v31, 0
	s_delay_alu instid0(VALU_DEP_1) | instskip(NEXT) | instid1(VALU_DEP_1)
	v_lshlrev_b64 v[30:31], 2, v[30:31]
	v_add_co_u32 v30, vcc_lo, v2, v30
	s_delay_alu instid0(VALU_DEP_2)
	v_add_co_ci_u32_e32 v31, vcc_lo, v4, v31, vcc_lo
	global_store_b32 v[30:31], v15, off
	s_or_b32 exec_lo, exec_lo, s18
	s_and_saveexec_b32 s18, s6
	s_cbranch_execz .LBB821_181
.LBB821_248:
	v_sub_nc_u32_e32 v30, v43, v3
	v_mov_b32_e32 v31, 0
	s_delay_alu instid0(VALU_DEP_1) | instskip(NEXT) | instid1(VALU_DEP_1)
	v_lshlrev_b64 v[30:31], 2, v[30:31]
	v_add_co_u32 v30, vcc_lo, v2, v30
	s_delay_alu instid0(VALU_DEP_2)
	v_add_co_ci_u32_e32 v31, vcc_lo, v4, v31, vcc_lo
	global_store_b32 v[30:31], v16, off
	s_or_b32 exec_lo, exec_lo, s18
	s_and_saveexec_b32 s18, s9
	s_cbranch_execz .LBB821_182
.LBB821_249:
	v_sub_nc_u32_e32 v30, v47, v3
	v_mov_b32_e32 v31, 0
	s_delay_alu instid0(VALU_DEP_1) | instskip(NEXT) | instid1(VALU_DEP_1)
	v_lshlrev_b64 v[30:31], 2, v[30:31]
	v_add_co_u32 v30, vcc_lo, v2, v30
	s_delay_alu instid0(VALU_DEP_2)
	v_add_co_ci_u32_e32 v31, vcc_lo, v4, v31, vcc_lo
	global_store_b32 v[30:31], v13, off
	s_or_b32 exec_lo, exec_lo, s18
	s_and_saveexec_b32 s18, s7
	s_cbranch_execz .LBB821_183
.LBB821_250:
	v_sub_nc_u32_e32 v30, v5, v3
	v_mov_b32_e32 v31, 0
	s_delay_alu instid0(VALU_DEP_1) | instskip(NEXT) | instid1(VALU_DEP_1)
	v_lshlrev_b64 v[30:31], 2, v[30:31]
	v_add_co_u32 v30, vcc_lo, v2, v30
	s_delay_alu instid0(VALU_DEP_2)
	v_add_co_ci_u32_e32 v31, vcc_lo, v4, v31, vcc_lo
	global_store_b32 v[30:31], v14, off
	s_or_b32 exec_lo, exec_lo, s18
	s_and_saveexec_b32 s18, s5
	s_cbranch_execz .LBB821_184
.LBB821_251:
	v_sub_nc_u32_e32 v30, v7, v3
	v_mov_b32_e32 v31, 0
	s_delay_alu instid0(VALU_DEP_1) | instskip(NEXT) | instid1(VALU_DEP_1)
	v_lshlrev_b64 v[30:31], 2, v[30:31]
	v_add_co_u32 v30, vcc_lo, v2, v30
	s_delay_alu instid0(VALU_DEP_2)
	v_add_co_ci_u32_e32 v31, vcc_lo, v4, v31, vcc_lo
	global_store_b32 v[30:31], v11, off
	s_or_b32 exec_lo, exec_lo, s18
	s_and_saveexec_b32 s18, s4
	s_cbranch_execz .LBB821_185
.LBB821_252:
	v_sub_nc_u32_e32 v30, v37, v3
	v_mov_b32_e32 v31, 0
	s_delay_alu instid0(VALU_DEP_1) | instskip(NEXT) | instid1(VALU_DEP_1)
	v_lshlrev_b64 v[30:31], 2, v[30:31]
	v_add_co_u32 v30, vcc_lo, v2, v30
	s_delay_alu instid0(VALU_DEP_2)
	v_add_co_ci_u32_e32 v31, vcc_lo, v4, v31, vcc_lo
	global_store_b32 v[30:31], v12, off
	s_or_b32 exec_lo, exec_lo, s18
	s_and_saveexec_b32 s18, s3
	s_cbranch_execz .LBB821_186
.LBB821_253:
	v_sub_nc_u32_e32 v30, v61, v3
	v_mov_b32_e32 v31, 0
	s_delay_alu instid0(VALU_DEP_1) | instskip(NEXT) | instid1(VALU_DEP_1)
	v_lshlrev_b64 v[30:31], 2, v[30:31]
	v_add_co_u32 v30, vcc_lo, v2, v30
	s_delay_alu instid0(VALU_DEP_2)
	v_add_co_ci_u32_e32 v31, vcc_lo, v4, v31, vcc_lo
	global_store_b32 v[30:31], v9, off
	s_or_b32 exec_lo, exec_lo, s18
	s_and_saveexec_b32 s18, s1
	s_cbranch_execnz .LBB821_187
	s_branch .LBB821_188
.LBB821_254:
	v_sub_nc_u32_e32 v29, v53, v3
	s_delay_alu instid0(VALU_DEP_1)
	v_lshlrev_b32_e32 v29, 2, v29
	ds_store_b32 v29, v21
	s_or_b32 exec_lo, exec_lo, s18
	s_and_saveexec_b32 s15, s14
	s_cbranch_execz .LBB821_192
.LBB821_255:
	v_sub_nc_u32_e32 v21, v59, v3
	s_delay_alu instid0(VALU_DEP_1)
	v_lshlrev_b32_e32 v21, 2, v21
	ds_store_b32 v21, v22
	s_or_b32 exec_lo, exec_lo, s15
	s_and_saveexec_b32 s14, s13
	s_cbranch_execz .LBB821_193
.LBB821_256:
	v_sub_nc_u32_e32 v21, v55, v3
	s_delay_alu instid0(VALU_DEP_1)
	v_lshlrev_b32_e32 v21, 2, v21
	ds_store_b32 v21, v19
	s_or_b32 exec_lo, exec_lo, s14
	s_and_saveexec_b32 s13, s12
	s_cbranch_execz .LBB821_194
.LBB821_257:
	v_sub_nc_u32_e32 v19, v51, v3
	s_delay_alu instid0(VALU_DEP_1)
	v_lshlrev_b32_e32 v19, 2, v19
	ds_store_b32 v19, v20
	s_or_b32 exec_lo, exec_lo, s13
	s_and_saveexec_b32 s12, s11
	s_cbranch_execz .LBB821_195
.LBB821_258:
	v_sub_nc_u32_e32 v19, v45, v3
	s_delay_alu instid0(VALU_DEP_1)
	v_lshlrev_b32_e32 v19, 2, v19
	ds_store_b32 v19, v17
	s_or_b32 exec_lo, exec_lo, s12
	s_and_saveexec_b32 s11, s10
	s_cbranch_execz .LBB821_196
.LBB821_259:
	v_sub_nc_u32_e32 v17, v41, v3
	s_delay_alu instid0(VALU_DEP_1)
	v_lshlrev_b32_e32 v17, 2, v17
	ds_store_b32 v17, v18
	s_or_b32 exec_lo, exec_lo, s11
	s_and_saveexec_b32 s10, s8
	s_cbranch_execz .LBB821_197
.LBB821_260:
	v_sub_nc_u32_e32 v17, v39, v3
	s_delay_alu instid0(VALU_DEP_1)
	v_lshlrev_b32_e32 v17, 2, v17
	ds_store_b32 v17, v15
	s_or_b32 exec_lo, exec_lo, s10
	s_and_saveexec_b32 s8, s6
	s_cbranch_execz .LBB821_198
.LBB821_261:
	v_sub_nc_u32_e32 v15, v43, v3
	s_delay_alu instid0(VALU_DEP_1)
	v_lshlrev_b32_e32 v15, 2, v15
	ds_store_b32 v15, v16
	s_or_b32 exec_lo, exec_lo, s8
	s_and_saveexec_b32 s6, s9
	s_cbranch_execz .LBB821_199
.LBB821_262:
	v_sub_nc_u32_e32 v15, v47, v3
	s_delay_alu instid0(VALU_DEP_1)
	v_lshlrev_b32_e32 v15, 2, v15
	ds_store_b32 v15, v13
	s_or_b32 exec_lo, exec_lo, s6
	s_and_saveexec_b32 s6, s7
	s_cbranch_execz .LBB821_200
.LBB821_263:
	v_sub_nc_u32_e32 v13, v5, v3
	s_delay_alu instid0(VALU_DEP_1)
	v_lshlrev_b32_e32 v13, 2, v13
	ds_store_b32 v13, v14
	s_or_b32 exec_lo, exec_lo, s6
	s_and_saveexec_b32 s6, s5
	s_cbranch_execz .LBB821_201
.LBB821_264:
	v_sub_nc_u32_e32 v13, v7, v3
	s_delay_alu instid0(VALU_DEP_1)
	v_lshlrev_b32_e32 v13, 2, v13
	ds_store_b32 v13, v11
	s_or_b32 exec_lo, exec_lo, s6
	s_and_saveexec_b32 s5, s4
	s_cbranch_execz .LBB821_202
.LBB821_265:
	v_sub_nc_u32_e32 v11, v37, v3
	s_delay_alu instid0(VALU_DEP_1)
	v_lshlrev_b32_e32 v11, 2, v11
	ds_store_b32 v11, v12
	s_or_b32 exec_lo, exec_lo, s5
	s_and_saveexec_b32 s4, s3
	s_cbranch_execz .LBB821_203
.LBB821_266:
	v_sub_nc_u32_e32 v11, v61, v3
	s_delay_alu instid0(VALU_DEP_1)
	v_lshlrev_b32_e32 v11, 2, v11
	ds_store_b32 v11, v9
	s_or_b32 exec_lo, exec_lo, s4
	s_and_saveexec_b32 s3, s1
	s_cbranch_execnz .LBB821_204
	s_branch .LBB821_205
.LBB821_267:
	v_sub_nc_u32_e32 v14, v53, v4
	v_mov_b32_e32 v15, 0
	s_delay_alu instid0(VALU_DEP_1) | instskip(NEXT) | instid1(VALU_DEP_1)
	v_lshlrev_b64 v[14:15], 2, v[14:15]
	v_add_co_u32 v14, vcc_lo, v11, v14
	s_delay_alu instid0(VALU_DEP_2)
	v_add_co_ci_u32_e32 v15, vcc_lo, v12, v15, vcc_lo
	global_store_b32 v[14:15], v54, off
	s_or_b32 exec_lo, exec_lo, s17
	s_and_saveexec_b32 s17, s13
	s_cbranch_execz .LBB821_209
.LBB821_268:
	v_sub_nc_u32_e32 v14, v59, v4
	v_mov_b32_e32 v15, 0
	s_delay_alu instid0(VALU_DEP_1) | instskip(NEXT) | instid1(VALU_DEP_1)
	v_lshlrev_b64 v[14:15], 2, v[14:15]
	v_add_co_u32 v14, vcc_lo, v11, v14
	s_delay_alu instid0(VALU_DEP_2)
	v_add_co_ci_u32_e32 v15, vcc_lo, v12, v15, vcc_lo
	global_store_b32 v[14:15], v60, off
	s_or_b32 exec_lo, exec_lo, s17
	s_and_saveexec_b32 s17, s12
	s_cbranch_execz .LBB821_210
.LBB821_269:
	v_sub_nc_u32_e32 v14, v55, v4
	v_mov_b32_e32 v15, 0
	s_delay_alu instid0(VALU_DEP_1) | instskip(NEXT) | instid1(VALU_DEP_1)
	v_lshlrev_b64 v[14:15], 2, v[14:15]
	v_add_co_u32 v14, vcc_lo, v11, v14
	s_delay_alu instid0(VALU_DEP_2)
	v_add_co_ci_u32_e32 v15, vcc_lo, v12, v15, vcc_lo
	global_store_b32 v[14:15], v56, off
	s_or_b32 exec_lo, exec_lo, s17
	s_and_saveexec_b32 s17, s11
	s_cbranch_execz .LBB821_211
.LBB821_270:
	v_sub_nc_u32_e32 v14, v51, v4
	v_mov_b32_e32 v15, 0
	s_delay_alu instid0(VALU_DEP_1) | instskip(NEXT) | instid1(VALU_DEP_1)
	v_lshlrev_b64 v[14:15], 2, v[14:15]
	v_add_co_u32 v14, vcc_lo, v11, v14
	s_delay_alu instid0(VALU_DEP_2)
	v_add_co_ci_u32_e32 v15, vcc_lo, v12, v15, vcc_lo
	global_store_b32 v[14:15], v52, off
	s_or_b32 exec_lo, exec_lo, s17
	s_and_saveexec_b32 s17, s10
	s_cbranch_execz .LBB821_212
.LBB821_271:
	v_sub_nc_u32_e32 v14, v45, v4
	v_mov_b32_e32 v15, 0
	s_delay_alu instid0(VALU_DEP_1) | instskip(NEXT) | instid1(VALU_DEP_1)
	v_lshlrev_b64 v[14:15], 2, v[14:15]
	v_add_co_u32 v14, vcc_lo, v11, v14
	s_delay_alu instid0(VALU_DEP_2)
	v_add_co_ci_u32_e32 v15, vcc_lo, v12, v15, vcc_lo
	global_store_b32 v[14:15], v46, off
	s_or_b32 exec_lo, exec_lo, s17
	s_and_saveexec_b32 s17, s9
	s_cbranch_execz .LBB821_213
.LBB821_272:
	v_sub_nc_u32_e32 v14, v41, v4
	v_mov_b32_e32 v15, 0
	s_delay_alu instid0(VALU_DEP_1) | instskip(NEXT) | instid1(VALU_DEP_1)
	v_lshlrev_b64 v[14:15], 2, v[14:15]
	v_add_co_u32 v14, vcc_lo, v11, v14
	s_delay_alu instid0(VALU_DEP_2)
	v_add_co_ci_u32_e32 v15, vcc_lo, v12, v15, vcc_lo
	global_store_b32 v[14:15], v42, off
	s_or_b32 exec_lo, exec_lo, s17
	s_and_saveexec_b32 s17, s8
	s_cbranch_execz .LBB821_214
.LBB821_273:
	v_sub_nc_u32_e32 v14, v39, v4
	v_mov_b32_e32 v15, 0
	s_delay_alu instid0(VALU_DEP_1) | instskip(NEXT) | instid1(VALU_DEP_1)
	v_lshlrev_b64 v[14:15], 2, v[14:15]
	v_add_co_u32 v14, vcc_lo, v11, v14
	s_delay_alu instid0(VALU_DEP_2)
	v_add_co_ci_u32_e32 v15, vcc_lo, v12, v15, vcc_lo
	global_store_b32 v[14:15], v40, off
	s_or_b32 exec_lo, exec_lo, s17
	s_and_saveexec_b32 s17, s7
	s_cbranch_execz .LBB821_215
.LBB821_274:
	v_sub_nc_u32_e32 v14, v43, v4
	v_mov_b32_e32 v15, 0
	s_delay_alu instid0(VALU_DEP_1) | instskip(NEXT) | instid1(VALU_DEP_1)
	v_lshlrev_b64 v[14:15], 2, v[14:15]
	v_add_co_u32 v14, vcc_lo, v11, v14
	s_delay_alu instid0(VALU_DEP_2)
	v_add_co_ci_u32_e32 v15, vcc_lo, v12, v15, vcc_lo
	global_store_b32 v[14:15], v44, off
	s_or_b32 exec_lo, exec_lo, s17
	s_and_saveexec_b32 s17, s6
	s_cbranch_execz .LBB821_216
.LBB821_275:
	v_sub_nc_u32_e32 v14, v47, v4
	v_mov_b32_e32 v15, 0
	s_delay_alu instid0(VALU_DEP_1) | instskip(NEXT) | instid1(VALU_DEP_1)
	v_lshlrev_b64 v[14:15], 2, v[14:15]
	v_add_co_u32 v14, vcc_lo, v11, v14
	s_delay_alu instid0(VALU_DEP_2)
	v_add_co_ci_u32_e32 v15, vcc_lo, v12, v15, vcc_lo
	global_store_b32 v[14:15], v48, off
	s_or_b32 exec_lo, exec_lo, s17
	s_and_saveexec_b32 s17, s5
	s_cbranch_execz .LBB821_217
.LBB821_276:
	v_sub_nc_u32_e32 v14, v5, v4
	v_mov_b32_e32 v15, 0
	s_delay_alu instid0(VALU_DEP_1) | instskip(NEXT) | instid1(VALU_DEP_1)
	v_lshlrev_b64 v[14:15], 2, v[14:15]
	v_add_co_u32 v14, vcc_lo, v11, v14
	s_delay_alu instid0(VALU_DEP_2)
	v_add_co_ci_u32_e32 v15, vcc_lo, v12, v15, vcc_lo
	global_store_b32 v[14:15], v6, off
	s_or_b32 exec_lo, exec_lo, s17
	s_and_saveexec_b32 s17, s4
	s_cbranch_execz .LBB821_218
.LBB821_277:
	v_sub_nc_u32_e32 v14, v7, v4
	v_mov_b32_e32 v15, 0
	s_delay_alu instid0(VALU_DEP_1) | instskip(NEXT) | instid1(VALU_DEP_1)
	v_lshlrev_b64 v[14:15], 2, v[14:15]
	v_add_co_u32 v14, vcc_lo, v11, v14
	s_delay_alu instid0(VALU_DEP_2)
	v_add_co_ci_u32_e32 v15, vcc_lo, v12, v15, vcc_lo
	global_store_b32 v[14:15], v8, off
	s_or_b32 exec_lo, exec_lo, s17
	s_and_saveexec_b32 s17, s3
	s_cbranch_execz .LBB821_219
.LBB821_278:
	v_sub_nc_u32_e32 v14, v37, v4
	v_mov_b32_e32 v15, 0
	s_delay_alu instid0(VALU_DEP_1) | instskip(NEXT) | instid1(VALU_DEP_1)
	v_lshlrev_b64 v[14:15], 2, v[14:15]
	v_add_co_u32 v14, vcc_lo, v11, v14
	s_delay_alu instid0(VALU_DEP_2)
	v_add_co_ci_u32_e32 v15, vcc_lo, v12, v15, vcc_lo
	global_store_b32 v[14:15], v38, off
	s_or_b32 exec_lo, exec_lo, s17
	s_and_saveexec_b32 s17, s2
	s_cbranch_execz .LBB821_220
.LBB821_279:
	v_sub_nc_u32_e32 v14, v61, v4
	v_mov_b32_e32 v15, 0
	s_delay_alu instid0(VALU_DEP_1) | instskip(NEXT) | instid1(VALU_DEP_1)
	v_lshlrev_b64 v[14:15], 2, v[14:15]
	v_add_co_u32 v14, vcc_lo, v11, v14
	s_delay_alu instid0(VALU_DEP_2)
	v_add_co_ci_u32_e32 v15, vcc_lo, v12, v15, vcc_lo
	global_store_b32 v[14:15], v62, off
	s_or_b32 exec_lo, exec_lo, s17
	s_and_saveexec_b32 s17, s1
	s_cbranch_execnz .LBB821_221
	s_branch .LBB821_222
.LBB821_280:
	v_sub_nc_u32_e32 v13, v53, v4
	s_delay_alu instid0(VALU_DEP_1)
	v_lshlrev_b32_e32 v13, 2, v13
	ds_store_b32 v13, v54
	s_or_b32 exec_lo, exec_lo, s17
	s_and_saveexec_b32 s14, s13
	s_cbranch_execz .LBB821_226
.LBB821_281:
	v_sub_nc_u32_e32 v13, v59, v4
	s_delay_alu instid0(VALU_DEP_1)
	v_lshlrev_b32_e32 v13, 2, v13
	ds_store_b32 v13, v60
	s_or_b32 exec_lo, exec_lo, s14
	s_and_saveexec_b32 s13, s12
	s_cbranch_execz .LBB821_227
.LBB821_282:
	v_sub_nc_u32_e32 v13, v55, v4
	s_delay_alu instid0(VALU_DEP_1)
	v_lshlrev_b32_e32 v13, 2, v13
	ds_store_b32 v13, v56
	s_or_b32 exec_lo, exec_lo, s13
	s_and_saveexec_b32 s12, s11
	s_cbranch_execz .LBB821_228
.LBB821_283:
	v_sub_nc_u32_e32 v13, v51, v4
	s_delay_alu instid0(VALU_DEP_1)
	v_lshlrev_b32_e32 v13, 2, v13
	ds_store_b32 v13, v52
	s_or_b32 exec_lo, exec_lo, s12
	s_and_saveexec_b32 s11, s10
	s_cbranch_execz .LBB821_229
.LBB821_284:
	v_sub_nc_u32_e32 v13, v45, v4
	s_delay_alu instid0(VALU_DEP_1)
	v_lshlrev_b32_e32 v13, 2, v13
	ds_store_b32 v13, v46
	s_or_b32 exec_lo, exec_lo, s11
	s_and_saveexec_b32 s10, s9
	s_cbranch_execz .LBB821_230
.LBB821_285:
	v_sub_nc_u32_e32 v13, v41, v4
	s_delay_alu instid0(VALU_DEP_1)
	v_lshlrev_b32_e32 v13, 2, v13
	ds_store_b32 v13, v42
	s_or_b32 exec_lo, exec_lo, s10
	s_and_saveexec_b32 s9, s8
	s_cbranch_execz .LBB821_231
.LBB821_286:
	v_sub_nc_u32_e32 v13, v39, v4
	s_delay_alu instid0(VALU_DEP_1)
	v_lshlrev_b32_e32 v13, 2, v13
	ds_store_b32 v13, v40
	s_or_b32 exec_lo, exec_lo, s9
	s_and_saveexec_b32 s8, s7
	s_cbranch_execz .LBB821_232
.LBB821_287:
	v_sub_nc_u32_e32 v13, v43, v4
	s_delay_alu instid0(VALU_DEP_1)
	v_lshlrev_b32_e32 v13, 2, v13
	ds_store_b32 v13, v44
	s_or_b32 exec_lo, exec_lo, s8
	s_and_saveexec_b32 s7, s6
	s_cbranch_execz .LBB821_233
.LBB821_288:
	v_sub_nc_u32_e32 v13, v47, v4
	s_delay_alu instid0(VALU_DEP_1)
	v_lshlrev_b32_e32 v13, 2, v13
	ds_store_b32 v13, v48
	s_or_b32 exec_lo, exec_lo, s7
	s_and_saveexec_b32 s6, s5
	s_cbranch_execz .LBB821_234
.LBB821_289:
	v_sub_nc_u32_e32 v5, v5, v4
	s_delay_alu instid0(VALU_DEP_1)
	v_lshlrev_b32_e32 v5, 2, v5
	ds_store_b32 v5, v6
	s_or_b32 exec_lo, exec_lo, s6
	s_and_saveexec_b32 s5, s4
	s_cbranch_execz .LBB821_235
.LBB821_290:
	v_sub_nc_u32_e32 v5, v7, v4
	s_delay_alu instid0(VALU_DEP_1)
	v_lshlrev_b32_e32 v5, 2, v5
	ds_store_b32 v5, v8
	s_or_b32 exec_lo, exec_lo, s5
	s_and_saveexec_b32 s4, s3
	s_cbranch_execz .LBB821_236
.LBB821_291:
	v_sub_nc_u32_e32 v5, v37, v4
	s_delay_alu instid0(VALU_DEP_1)
	v_lshlrev_b32_e32 v5, 2, v5
	ds_store_b32 v5, v38
	s_or_b32 exec_lo, exec_lo, s4
	s_and_saveexec_b32 s3, s2
	s_cbranch_execz .LBB821_237
.LBB821_292:
	v_sub_nc_u32_e32 v5, v61, v4
	s_delay_alu instid0(VALU_DEP_1)
	v_lshlrev_b32_e32 v5, 2, v5
	ds_store_b32 v5, v62
	s_or_b32 exec_lo, exec_lo, s3
	s_and_saveexec_b32 s2, s1
	s_cbranch_execnz .LBB821_238
	s_branch .LBB821_239
	.section	.rodata,"a",@progbits
	.p2align	6, 0x0
	.amdhsa_kernel _ZN7rocprim17ROCPRIM_400000_NS6detail17trampoline_kernelINS0_14default_configENS1_29reduce_by_key_config_selectorIijN6thrust23THRUST_200600_302600_NS4plusIjEEEEZZNS1_33reduce_by_key_impl_wrapped_configILNS1_25lookback_scan_determinismE0ES3_S9_NS6_6detail15normal_iteratorINS6_10device_ptrIiEEEENSD_INSE_IjEEEESG_SI_PmS8_NS6_8equal_toIiEEEE10hipError_tPvRmT2_T3_mT4_T5_T6_T7_T8_P12ihipStream_tbENKUlT_T0_E_clISt17integral_constantIbLb1EES13_EEDaSY_SZ_EUlSY_E_NS1_11comp_targetILNS1_3genE9ELNS1_11target_archE1100ELNS1_3gpuE3ELNS1_3repE0EEENS1_30default_config_static_selectorELNS0_4arch9wavefront6targetE0EEEvT1_
		.amdhsa_group_segment_fixed_size 15360
		.amdhsa_private_segment_fixed_size 0
		.amdhsa_kernarg_size 120
		.amdhsa_user_sgpr_count 15
		.amdhsa_user_sgpr_dispatch_ptr 0
		.amdhsa_user_sgpr_queue_ptr 0
		.amdhsa_user_sgpr_kernarg_segment_ptr 1
		.amdhsa_user_sgpr_dispatch_id 0
		.amdhsa_user_sgpr_private_segment_size 0
		.amdhsa_wavefront_size32 1
		.amdhsa_uses_dynamic_stack 0
		.amdhsa_enable_private_segment 0
		.amdhsa_system_sgpr_workgroup_id_x 1
		.amdhsa_system_sgpr_workgroup_id_y 0
		.amdhsa_system_sgpr_workgroup_id_z 0
		.amdhsa_system_sgpr_workgroup_info 0
		.amdhsa_system_vgpr_workitem_id 0
		.amdhsa_next_free_vgpr 87
		.amdhsa_next_free_sgpr 49
		.amdhsa_reserve_vcc 1
		.amdhsa_float_round_mode_32 0
		.amdhsa_float_round_mode_16_64 0
		.amdhsa_float_denorm_mode_32 3
		.amdhsa_float_denorm_mode_16_64 3
		.amdhsa_dx10_clamp 1
		.amdhsa_ieee_mode 1
		.amdhsa_fp16_overflow 0
		.amdhsa_workgroup_processor_mode 1
		.amdhsa_memory_ordered 1
		.amdhsa_forward_progress 0
		.amdhsa_shared_vgpr_count 0
		.amdhsa_exception_fp_ieee_invalid_op 0
		.amdhsa_exception_fp_denorm_src 0
		.amdhsa_exception_fp_ieee_div_zero 0
		.amdhsa_exception_fp_ieee_overflow 0
		.amdhsa_exception_fp_ieee_underflow 0
		.amdhsa_exception_fp_ieee_inexact 0
		.amdhsa_exception_int_div_zero 0
	.end_amdhsa_kernel
	.section	.text._ZN7rocprim17ROCPRIM_400000_NS6detail17trampoline_kernelINS0_14default_configENS1_29reduce_by_key_config_selectorIijN6thrust23THRUST_200600_302600_NS4plusIjEEEEZZNS1_33reduce_by_key_impl_wrapped_configILNS1_25lookback_scan_determinismE0ES3_S9_NS6_6detail15normal_iteratorINS6_10device_ptrIiEEEENSD_INSE_IjEEEESG_SI_PmS8_NS6_8equal_toIiEEEE10hipError_tPvRmT2_T3_mT4_T5_T6_T7_T8_P12ihipStream_tbENKUlT_T0_E_clISt17integral_constantIbLb1EES13_EEDaSY_SZ_EUlSY_E_NS1_11comp_targetILNS1_3genE9ELNS1_11target_archE1100ELNS1_3gpuE3ELNS1_3repE0EEENS1_30default_config_static_selectorELNS0_4arch9wavefront6targetE0EEEvT1_,"axG",@progbits,_ZN7rocprim17ROCPRIM_400000_NS6detail17trampoline_kernelINS0_14default_configENS1_29reduce_by_key_config_selectorIijN6thrust23THRUST_200600_302600_NS4plusIjEEEEZZNS1_33reduce_by_key_impl_wrapped_configILNS1_25lookback_scan_determinismE0ES3_S9_NS6_6detail15normal_iteratorINS6_10device_ptrIiEEEENSD_INSE_IjEEEESG_SI_PmS8_NS6_8equal_toIiEEEE10hipError_tPvRmT2_T3_mT4_T5_T6_T7_T8_P12ihipStream_tbENKUlT_T0_E_clISt17integral_constantIbLb1EES13_EEDaSY_SZ_EUlSY_E_NS1_11comp_targetILNS1_3genE9ELNS1_11target_archE1100ELNS1_3gpuE3ELNS1_3repE0EEENS1_30default_config_static_selectorELNS0_4arch9wavefront6targetE0EEEvT1_,comdat
.Lfunc_end821:
	.size	_ZN7rocprim17ROCPRIM_400000_NS6detail17trampoline_kernelINS0_14default_configENS1_29reduce_by_key_config_selectorIijN6thrust23THRUST_200600_302600_NS4plusIjEEEEZZNS1_33reduce_by_key_impl_wrapped_configILNS1_25lookback_scan_determinismE0ES3_S9_NS6_6detail15normal_iteratorINS6_10device_ptrIiEEEENSD_INSE_IjEEEESG_SI_PmS8_NS6_8equal_toIiEEEE10hipError_tPvRmT2_T3_mT4_T5_T6_T7_T8_P12ihipStream_tbENKUlT_T0_E_clISt17integral_constantIbLb1EES13_EEDaSY_SZ_EUlSY_E_NS1_11comp_targetILNS1_3genE9ELNS1_11target_archE1100ELNS1_3gpuE3ELNS1_3repE0EEENS1_30default_config_static_selectorELNS0_4arch9wavefront6targetE0EEEvT1_, .Lfunc_end821-_ZN7rocprim17ROCPRIM_400000_NS6detail17trampoline_kernelINS0_14default_configENS1_29reduce_by_key_config_selectorIijN6thrust23THRUST_200600_302600_NS4plusIjEEEEZZNS1_33reduce_by_key_impl_wrapped_configILNS1_25lookback_scan_determinismE0ES3_S9_NS6_6detail15normal_iteratorINS6_10device_ptrIiEEEENSD_INSE_IjEEEESG_SI_PmS8_NS6_8equal_toIiEEEE10hipError_tPvRmT2_T3_mT4_T5_T6_T7_T8_P12ihipStream_tbENKUlT_T0_E_clISt17integral_constantIbLb1EES13_EEDaSY_SZ_EUlSY_E_NS1_11comp_targetILNS1_3genE9ELNS1_11target_archE1100ELNS1_3gpuE3ELNS1_3repE0EEENS1_30default_config_static_selectorELNS0_4arch9wavefront6targetE0EEEvT1_
                                        ; -- End function
	.section	.AMDGPU.csdata,"",@progbits
; Kernel info:
; codeLenInByte = 17408
; NumSgprs: 51
; NumVgprs: 87
; ScratchSize: 0
; MemoryBound: 0
; FloatMode: 240
; IeeeMode: 1
; LDSByteSize: 15360 bytes/workgroup (compile time only)
; SGPRBlocks: 6
; VGPRBlocks: 10
; NumSGPRsForWavesPerEU: 51
; NumVGPRsForWavesPerEU: 87
; Occupancy: 16
; WaveLimiterHint : 1
; COMPUTE_PGM_RSRC2:SCRATCH_EN: 0
; COMPUTE_PGM_RSRC2:USER_SGPR: 15
; COMPUTE_PGM_RSRC2:TRAP_HANDLER: 0
; COMPUTE_PGM_RSRC2:TGID_X_EN: 1
; COMPUTE_PGM_RSRC2:TGID_Y_EN: 0
; COMPUTE_PGM_RSRC2:TGID_Z_EN: 0
; COMPUTE_PGM_RSRC2:TIDIG_COMP_CNT: 0
	.section	.text._ZN7rocprim17ROCPRIM_400000_NS6detail17trampoline_kernelINS0_14default_configENS1_29reduce_by_key_config_selectorIijN6thrust23THRUST_200600_302600_NS4plusIjEEEEZZNS1_33reduce_by_key_impl_wrapped_configILNS1_25lookback_scan_determinismE0ES3_S9_NS6_6detail15normal_iteratorINS6_10device_ptrIiEEEENSD_INSE_IjEEEESG_SI_PmS8_NS6_8equal_toIiEEEE10hipError_tPvRmT2_T3_mT4_T5_T6_T7_T8_P12ihipStream_tbENKUlT_T0_E_clISt17integral_constantIbLb1EES13_EEDaSY_SZ_EUlSY_E_NS1_11comp_targetILNS1_3genE8ELNS1_11target_archE1030ELNS1_3gpuE2ELNS1_3repE0EEENS1_30default_config_static_selectorELNS0_4arch9wavefront6targetE0EEEvT1_,"axG",@progbits,_ZN7rocprim17ROCPRIM_400000_NS6detail17trampoline_kernelINS0_14default_configENS1_29reduce_by_key_config_selectorIijN6thrust23THRUST_200600_302600_NS4plusIjEEEEZZNS1_33reduce_by_key_impl_wrapped_configILNS1_25lookback_scan_determinismE0ES3_S9_NS6_6detail15normal_iteratorINS6_10device_ptrIiEEEENSD_INSE_IjEEEESG_SI_PmS8_NS6_8equal_toIiEEEE10hipError_tPvRmT2_T3_mT4_T5_T6_T7_T8_P12ihipStream_tbENKUlT_T0_E_clISt17integral_constantIbLb1EES13_EEDaSY_SZ_EUlSY_E_NS1_11comp_targetILNS1_3genE8ELNS1_11target_archE1030ELNS1_3gpuE2ELNS1_3repE0EEENS1_30default_config_static_selectorELNS0_4arch9wavefront6targetE0EEEvT1_,comdat
	.protected	_ZN7rocprim17ROCPRIM_400000_NS6detail17trampoline_kernelINS0_14default_configENS1_29reduce_by_key_config_selectorIijN6thrust23THRUST_200600_302600_NS4plusIjEEEEZZNS1_33reduce_by_key_impl_wrapped_configILNS1_25lookback_scan_determinismE0ES3_S9_NS6_6detail15normal_iteratorINS6_10device_ptrIiEEEENSD_INSE_IjEEEESG_SI_PmS8_NS6_8equal_toIiEEEE10hipError_tPvRmT2_T3_mT4_T5_T6_T7_T8_P12ihipStream_tbENKUlT_T0_E_clISt17integral_constantIbLb1EES13_EEDaSY_SZ_EUlSY_E_NS1_11comp_targetILNS1_3genE8ELNS1_11target_archE1030ELNS1_3gpuE2ELNS1_3repE0EEENS1_30default_config_static_selectorELNS0_4arch9wavefront6targetE0EEEvT1_ ; -- Begin function _ZN7rocprim17ROCPRIM_400000_NS6detail17trampoline_kernelINS0_14default_configENS1_29reduce_by_key_config_selectorIijN6thrust23THRUST_200600_302600_NS4plusIjEEEEZZNS1_33reduce_by_key_impl_wrapped_configILNS1_25lookback_scan_determinismE0ES3_S9_NS6_6detail15normal_iteratorINS6_10device_ptrIiEEEENSD_INSE_IjEEEESG_SI_PmS8_NS6_8equal_toIiEEEE10hipError_tPvRmT2_T3_mT4_T5_T6_T7_T8_P12ihipStream_tbENKUlT_T0_E_clISt17integral_constantIbLb1EES13_EEDaSY_SZ_EUlSY_E_NS1_11comp_targetILNS1_3genE8ELNS1_11target_archE1030ELNS1_3gpuE2ELNS1_3repE0EEENS1_30default_config_static_selectorELNS0_4arch9wavefront6targetE0EEEvT1_
	.globl	_ZN7rocprim17ROCPRIM_400000_NS6detail17trampoline_kernelINS0_14default_configENS1_29reduce_by_key_config_selectorIijN6thrust23THRUST_200600_302600_NS4plusIjEEEEZZNS1_33reduce_by_key_impl_wrapped_configILNS1_25lookback_scan_determinismE0ES3_S9_NS6_6detail15normal_iteratorINS6_10device_ptrIiEEEENSD_INSE_IjEEEESG_SI_PmS8_NS6_8equal_toIiEEEE10hipError_tPvRmT2_T3_mT4_T5_T6_T7_T8_P12ihipStream_tbENKUlT_T0_E_clISt17integral_constantIbLb1EES13_EEDaSY_SZ_EUlSY_E_NS1_11comp_targetILNS1_3genE8ELNS1_11target_archE1030ELNS1_3gpuE2ELNS1_3repE0EEENS1_30default_config_static_selectorELNS0_4arch9wavefront6targetE0EEEvT1_
	.p2align	8
	.type	_ZN7rocprim17ROCPRIM_400000_NS6detail17trampoline_kernelINS0_14default_configENS1_29reduce_by_key_config_selectorIijN6thrust23THRUST_200600_302600_NS4plusIjEEEEZZNS1_33reduce_by_key_impl_wrapped_configILNS1_25lookback_scan_determinismE0ES3_S9_NS6_6detail15normal_iteratorINS6_10device_ptrIiEEEENSD_INSE_IjEEEESG_SI_PmS8_NS6_8equal_toIiEEEE10hipError_tPvRmT2_T3_mT4_T5_T6_T7_T8_P12ihipStream_tbENKUlT_T0_E_clISt17integral_constantIbLb1EES13_EEDaSY_SZ_EUlSY_E_NS1_11comp_targetILNS1_3genE8ELNS1_11target_archE1030ELNS1_3gpuE2ELNS1_3repE0EEENS1_30default_config_static_selectorELNS0_4arch9wavefront6targetE0EEEvT1_,@function
_ZN7rocprim17ROCPRIM_400000_NS6detail17trampoline_kernelINS0_14default_configENS1_29reduce_by_key_config_selectorIijN6thrust23THRUST_200600_302600_NS4plusIjEEEEZZNS1_33reduce_by_key_impl_wrapped_configILNS1_25lookback_scan_determinismE0ES3_S9_NS6_6detail15normal_iteratorINS6_10device_ptrIiEEEENSD_INSE_IjEEEESG_SI_PmS8_NS6_8equal_toIiEEEE10hipError_tPvRmT2_T3_mT4_T5_T6_T7_T8_P12ihipStream_tbENKUlT_T0_E_clISt17integral_constantIbLb1EES13_EEDaSY_SZ_EUlSY_E_NS1_11comp_targetILNS1_3genE8ELNS1_11target_archE1030ELNS1_3gpuE2ELNS1_3repE0EEENS1_30default_config_static_selectorELNS0_4arch9wavefront6targetE0EEEvT1_: ; @_ZN7rocprim17ROCPRIM_400000_NS6detail17trampoline_kernelINS0_14default_configENS1_29reduce_by_key_config_selectorIijN6thrust23THRUST_200600_302600_NS4plusIjEEEEZZNS1_33reduce_by_key_impl_wrapped_configILNS1_25lookback_scan_determinismE0ES3_S9_NS6_6detail15normal_iteratorINS6_10device_ptrIiEEEENSD_INSE_IjEEEESG_SI_PmS8_NS6_8equal_toIiEEEE10hipError_tPvRmT2_T3_mT4_T5_T6_T7_T8_P12ihipStream_tbENKUlT_T0_E_clISt17integral_constantIbLb1EES13_EEDaSY_SZ_EUlSY_E_NS1_11comp_targetILNS1_3genE8ELNS1_11target_archE1030ELNS1_3gpuE2ELNS1_3repE0EEENS1_30default_config_static_selectorELNS0_4arch9wavefront6targetE0EEEvT1_
; %bb.0:
	.section	.rodata,"a",@progbits
	.p2align	6, 0x0
	.amdhsa_kernel _ZN7rocprim17ROCPRIM_400000_NS6detail17trampoline_kernelINS0_14default_configENS1_29reduce_by_key_config_selectorIijN6thrust23THRUST_200600_302600_NS4plusIjEEEEZZNS1_33reduce_by_key_impl_wrapped_configILNS1_25lookback_scan_determinismE0ES3_S9_NS6_6detail15normal_iteratorINS6_10device_ptrIiEEEENSD_INSE_IjEEEESG_SI_PmS8_NS6_8equal_toIiEEEE10hipError_tPvRmT2_T3_mT4_T5_T6_T7_T8_P12ihipStream_tbENKUlT_T0_E_clISt17integral_constantIbLb1EES13_EEDaSY_SZ_EUlSY_E_NS1_11comp_targetILNS1_3genE8ELNS1_11target_archE1030ELNS1_3gpuE2ELNS1_3repE0EEENS1_30default_config_static_selectorELNS0_4arch9wavefront6targetE0EEEvT1_
		.amdhsa_group_segment_fixed_size 0
		.amdhsa_private_segment_fixed_size 0
		.amdhsa_kernarg_size 120
		.amdhsa_user_sgpr_count 15
		.amdhsa_user_sgpr_dispatch_ptr 0
		.amdhsa_user_sgpr_queue_ptr 0
		.amdhsa_user_sgpr_kernarg_segment_ptr 1
		.amdhsa_user_sgpr_dispatch_id 0
		.amdhsa_user_sgpr_private_segment_size 0
		.amdhsa_wavefront_size32 1
		.amdhsa_uses_dynamic_stack 0
		.amdhsa_enable_private_segment 0
		.amdhsa_system_sgpr_workgroup_id_x 1
		.amdhsa_system_sgpr_workgroup_id_y 0
		.amdhsa_system_sgpr_workgroup_id_z 0
		.amdhsa_system_sgpr_workgroup_info 0
		.amdhsa_system_vgpr_workitem_id 0
		.amdhsa_next_free_vgpr 1
		.amdhsa_next_free_sgpr 1
		.amdhsa_reserve_vcc 0
		.amdhsa_float_round_mode_32 0
		.amdhsa_float_round_mode_16_64 0
		.amdhsa_float_denorm_mode_32 3
		.amdhsa_float_denorm_mode_16_64 3
		.amdhsa_dx10_clamp 1
		.amdhsa_ieee_mode 1
		.amdhsa_fp16_overflow 0
		.amdhsa_workgroup_processor_mode 1
		.amdhsa_memory_ordered 1
		.amdhsa_forward_progress 0
		.amdhsa_shared_vgpr_count 0
		.amdhsa_exception_fp_ieee_invalid_op 0
		.amdhsa_exception_fp_denorm_src 0
		.amdhsa_exception_fp_ieee_div_zero 0
		.amdhsa_exception_fp_ieee_overflow 0
		.amdhsa_exception_fp_ieee_underflow 0
		.amdhsa_exception_fp_ieee_inexact 0
		.amdhsa_exception_int_div_zero 0
	.end_amdhsa_kernel
	.section	.text._ZN7rocprim17ROCPRIM_400000_NS6detail17trampoline_kernelINS0_14default_configENS1_29reduce_by_key_config_selectorIijN6thrust23THRUST_200600_302600_NS4plusIjEEEEZZNS1_33reduce_by_key_impl_wrapped_configILNS1_25lookback_scan_determinismE0ES3_S9_NS6_6detail15normal_iteratorINS6_10device_ptrIiEEEENSD_INSE_IjEEEESG_SI_PmS8_NS6_8equal_toIiEEEE10hipError_tPvRmT2_T3_mT4_T5_T6_T7_T8_P12ihipStream_tbENKUlT_T0_E_clISt17integral_constantIbLb1EES13_EEDaSY_SZ_EUlSY_E_NS1_11comp_targetILNS1_3genE8ELNS1_11target_archE1030ELNS1_3gpuE2ELNS1_3repE0EEENS1_30default_config_static_selectorELNS0_4arch9wavefront6targetE0EEEvT1_,"axG",@progbits,_ZN7rocprim17ROCPRIM_400000_NS6detail17trampoline_kernelINS0_14default_configENS1_29reduce_by_key_config_selectorIijN6thrust23THRUST_200600_302600_NS4plusIjEEEEZZNS1_33reduce_by_key_impl_wrapped_configILNS1_25lookback_scan_determinismE0ES3_S9_NS6_6detail15normal_iteratorINS6_10device_ptrIiEEEENSD_INSE_IjEEEESG_SI_PmS8_NS6_8equal_toIiEEEE10hipError_tPvRmT2_T3_mT4_T5_T6_T7_T8_P12ihipStream_tbENKUlT_T0_E_clISt17integral_constantIbLb1EES13_EEDaSY_SZ_EUlSY_E_NS1_11comp_targetILNS1_3genE8ELNS1_11target_archE1030ELNS1_3gpuE2ELNS1_3repE0EEENS1_30default_config_static_selectorELNS0_4arch9wavefront6targetE0EEEvT1_,comdat
.Lfunc_end822:
	.size	_ZN7rocprim17ROCPRIM_400000_NS6detail17trampoline_kernelINS0_14default_configENS1_29reduce_by_key_config_selectorIijN6thrust23THRUST_200600_302600_NS4plusIjEEEEZZNS1_33reduce_by_key_impl_wrapped_configILNS1_25lookback_scan_determinismE0ES3_S9_NS6_6detail15normal_iteratorINS6_10device_ptrIiEEEENSD_INSE_IjEEEESG_SI_PmS8_NS6_8equal_toIiEEEE10hipError_tPvRmT2_T3_mT4_T5_T6_T7_T8_P12ihipStream_tbENKUlT_T0_E_clISt17integral_constantIbLb1EES13_EEDaSY_SZ_EUlSY_E_NS1_11comp_targetILNS1_3genE8ELNS1_11target_archE1030ELNS1_3gpuE2ELNS1_3repE0EEENS1_30default_config_static_selectorELNS0_4arch9wavefront6targetE0EEEvT1_, .Lfunc_end822-_ZN7rocprim17ROCPRIM_400000_NS6detail17trampoline_kernelINS0_14default_configENS1_29reduce_by_key_config_selectorIijN6thrust23THRUST_200600_302600_NS4plusIjEEEEZZNS1_33reduce_by_key_impl_wrapped_configILNS1_25lookback_scan_determinismE0ES3_S9_NS6_6detail15normal_iteratorINS6_10device_ptrIiEEEENSD_INSE_IjEEEESG_SI_PmS8_NS6_8equal_toIiEEEE10hipError_tPvRmT2_T3_mT4_T5_T6_T7_T8_P12ihipStream_tbENKUlT_T0_E_clISt17integral_constantIbLb1EES13_EEDaSY_SZ_EUlSY_E_NS1_11comp_targetILNS1_3genE8ELNS1_11target_archE1030ELNS1_3gpuE2ELNS1_3repE0EEENS1_30default_config_static_selectorELNS0_4arch9wavefront6targetE0EEEvT1_
                                        ; -- End function
	.section	.AMDGPU.csdata,"",@progbits
; Kernel info:
; codeLenInByte = 0
; NumSgprs: 0
; NumVgprs: 0
; ScratchSize: 0
; MemoryBound: 0
; FloatMode: 240
; IeeeMode: 1
; LDSByteSize: 0 bytes/workgroup (compile time only)
; SGPRBlocks: 0
; VGPRBlocks: 0
; NumSGPRsForWavesPerEU: 1
; NumVGPRsForWavesPerEU: 1
; Occupancy: 16
; WaveLimiterHint : 0
; COMPUTE_PGM_RSRC2:SCRATCH_EN: 0
; COMPUTE_PGM_RSRC2:USER_SGPR: 15
; COMPUTE_PGM_RSRC2:TRAP_HANDLER: 0
; COMPUTE_PGM_RSRC2:TGID_X_EN: 1
; COMPUTE_PGM_RSRC2:TGID_Y_EN: 0
; COMPUTE_PGM_RSRC2:TGID_Z_EN: 0
; COMPUTE_PGM_RSRC2:TIDIG_COMP_CNT: 0
	.section	.text._ZN7rocprim17ROCPRIM_400000_NS6detail17trampoline_kernelINS0_14default_configENS1_29reduce_by_key_config_selectorIijN6thrust23THRUST_200600_302600_NS4plusIjEEEEZZNS1_33reduce_by_key_impl_wrapped_configILNS1_25lookback_scan_determinismE0ES3_S9_NS6_6detail15normal_iteratorINS6_10device_ptrIiEEEENSD_INSE_IjEEEESG_SI_PmS8_NS6_8equal_toIiEEEE10hipError_tPvRmT2_T3_mT4_T5_T6_T7_T8_P12ihipStream_tbENKUlT_T0_E_clISt17integral_constantIbLb1EES12_IbLb0EEEEDaSY_SZ_EUlSY_E_NS1_11comp_targetILNS1_3genE0ELNS1_11target_archE4294967295ELNS1_3gpuE0ELNS1_3repE0EEENS1_30default_config_static_selectorELNS0_4arch9wavefront6targetE0EEEvT1_,"axG",@progbits,_ZN7rocprim17ROCPRIM_400000_NS6detail17trampoline_kernelINS0_14default_configENS1_29reduce_by_key_config_selectorIijN6thrust23THRUST_200600_302600_NS4plusIjEEEEZZNS1_33reduce_by_key_impl_wrapped_configILNS1_25lookback_scan_determinismE0ES3_S9_NS6_6detail15normal_iteratorINS6_10device_ptrIiEEEENSD_INSE_IjEEEESG_SI_PmS8_NS6_8equal_toIiEEEE10hipError_tPvRmT2_T3_mT4_T5_T6_T7_T8_P12ihipStream_tbENKUlT_T0_E_clISt17integral_constantIbLb1EES12_IbLb0EEEEDaSY_SZ_EUlSY_E_NS1_11comp_targetILNS1_3genE0ELNS1_11target_archE4294967295ELNS1_3gpuE0ELNS1_3repE0EEENS1_30default_config_static_selectorELNS0_4arch9wavefront6targetE0EEEvT1_,comdat
	.protected	_ZN7rocprim17ROCPRIM_400000_NS6detail17trampoline_kernelINS0_14default_configENS1_29reduce_by_key_config_selectorIijN6thrust23THRUST_200600_302600_NS4plusIjEEEEZZNS1_33reduce_by_key_impl_wrapped_configILNS1_25lookback_scan_determinismE0ES3_S9_NS6_6detail15normal_iteratorINS6_10device_ptrIiEEEENSD_INSE_IjEEEESG_SI_PmS8_NS6_8equal_toIiEEEE10hipError_tPvRmT2_T3_mT4_T5_T6_T7_T8_P12ihipStream_tbENKUlT_T0_E_clISt17integral_constantIbLb1EES12_IbLb0EEEEDaSY_SZ_EUlSY_E_NS1_11comp_targetILNS1_3genE0ELNS1_11target_archE4294967295ELNS1_3gpuE0ELNS1_3repE0EEENS1_30default_config_static_selectorELNS0_4arch9wavefront6targetE0EEEvT1_ ; -- Begin function _ZN7rocprim17ROCPRIM_400000_NS6detail17trampoline_kernelINS0_14default_configENS1_29reduce_by_key_config_selectorIijN6thrust23THRUST_200600_302600_NS4plusIjEEEEZZNS1_33reduce_by_key_impl_wrapped_configILNS1_25lookback_scan_determinismE0ES3_S9_NS6_6detail15normal_iteratorINS6_10device_ptrIiEEEENSD_INSE_IjEEEESG_SI_PmS8_NS6_8equal_toIiEEEE10hipError_tPvRmT2_T3_mT4_T5_T6_T7_T8_P12ihipStream_tbENKUlT_T0_E_clISt17integral_constantIbLb1EES12_IbLb0EEEEDaSY_SZ_EUlSY_E_NS1_11comp_targetILNS1_3genE0ELNS1_11target_archE4294967295ELNS1_3gpuE0ELNS1_3repE0EEENS1_30default_config_static_selectorELNS0_4arch9wavefront6targetE0EEEvT1_
	.globl	_ZN7rocprim17ROCPRIM_400000_NS6detail17trampoline_kernelINS0_14default_configENS1_29reduce_by_key_config_selectorIijN6thrust23THRUST_200600_302600_NS4plusIjEEEEZZNS1_33reduce_by_key_impl_wrapped_configILNS1_25lookback_scan_determinismE0ES3_S9_NS6_6detail15normal_iteratorINS6_10device_ptrIiEEEENSD_INSE_IjEEEESG_SI_PmS8_NS6_8equal_toIiEEEE10hipError_tPvRmT2_T3_mT4_T5_T6_T7_T8_P12ihipStream_tbENKUlT_T0_E_clISt17integral_constantIbLb1EES12_IbLb0EEEEDaSY_SZ_EUlSY_E_NS1_11comp_targetILNS1_3genE0ELNS1_11target_archE4294967295ELNS1_3gpuE0ELNS1_3repE0EEENS1_30default_config_static_selectorELNS0_4arch9wavefront6targetE0EEEvT1_
	.p2align	8
	.type	_ZN7rocprim17ROCPRIM_400000_NS6detail17trampoline_kernelINS0_14default_configENS1_29reduce_by_key_config_selectorIijN6thrust23THRUST_200600_302600_NS4plusIjEEEEZZNS1_33reduce_by_key_impl_wrapped_configILNS1_25lookback_scan_determinismE0ES3_S9_NS6_6detail15normal_iteratorINS6_10device_ptrIiEEEENSD_INSE_IjEEEESG_SI_PmS8_NS6_8equal_toIiEEEE10hipError_tPvRmT2_T3_mT4_T5_T6_T7_T8_P12ihipStream_tbENKUlT_T0_E_clISt17integral_constantIbLb1EES12_IbLb0EEEEDaSY_SZ_EUlSY_E_NS1_11comp_targetILNS1_3genE0ELNS1_11target_archE4294967295ELNS1_3gpuE0ELNS1_3repE0EEENS1_30default_config_static_selectorELNS0_4arch9wavefront6targetE0EEEvT1_,@function
_ZN7rocprim17ROCPRIM_400000_NS6detail17trampoline_kernelINS0_14default_configENS1_29reduce_by_key_config_selectorIijN6thrust23THRUST_200600_302600_NS4plusIjEEEEZZNS1_33reduce_by_key_impl_wrapped_configILNS1_25lookback_scan_determinismE0ES3_S9_NS6_6detail15normal_iteratorINS6_10device_ptrIiEEEENSD_INSE_IjEEEESG_SI_PmS8_NS6_8equal_toIiEEEE10hipError_tPvRmT2_T3_mT4_T5_T6_T7_T8_P12ihipStream_tbENKUlT_T0_E_clISt17integral_constantIbLb1EES12_IbLb0EEEEDaSY_SZ_EUlSY_E_NS1_11comp_targetILNS1_3genE0ELNS1_11target_archE4294967295ELNS1_3gpuE0ELNS1_3repE0EEENS1_30default_config_static_selectorELNS0_4arch9wavefront6targetE0EEEvT1_: ; @_ZN7rocprim17ROCPRIM_400000_NS6detail17trampoline_kernelINS0_14default_configENS1_29reduce_by_key_config_selectorIijN6thrust23THRUST_200600_302600_NS4plusIjEEEEZZNS1_33reduce_by_key_impl_wrapped_configILNS1_25lookback_scan_determinismE0ES3_S9_NS6_6detail15normal_iteratorINS6_10device_ptrIiEEEENSD_INSE_IjEEEESG_SI_PmS8_NS6_8equal_toIiEEEE10hipError_tPvRmT2_T3_mT4_T5_T6_T7_T8_P12ihipStream_tbENKUlT_T0_E_clISt17integral_constantIbLb1EES12_IbLb0EEEEDaSY_SZ_EUlSY_E_NS1_11comp_targetILNS1_3genE0ELNS1_11target_archE4294967295ELNS1_3gpuE0ELNS1_3repE0EEENS1_30default_config_static_selectorELNS0_4arch9wavefront6targetE0EEEvT1_
; %bb.0:
	.section	.rodata,"a",@progbits
	.p2align	6, 0x0
	.amdhsa_kernel _ZN7rocprim17ROCPRIM_400000_NS6detail17trampoline_kernelINS0_14default_configENS1_29reduce_by_key_config_selectorIijN6thrust23THRUST_200600_302600_NS4plusIjEEEEZZNS1_33reduce_by_key_impl_wrapped_configILNS1_25lookback_scan_determinismE0ES3_S9_NS6_6detail15normal_iteratorINS6_10device_ptrIiEEEENSD_INSE_IjEEEESG_SI_PmS8_NS6_8equal_toIiEEEE10hipError_tPvRmT2_T3_mT4_T5_T6_T7_T8_P12ihipStream_tbENKUlT_T0_E_clISt17integral_constantIbLb1EES12_IbLb0EEEEDaSY_SZ_EUlSY_E_NS1_11comp_targetILNS1_3genE0ELNS1_11target_archE4294967295ELNS1_3gpuE0ELNS1_3repE0EEENS1_30default_config_static_selectorELNS0_4arch9wavefront6targetE0EEEvT1_
		.amdhsa_group_segment_fixed_size 0
		.amdhsa_private_segment_fixed_size 0
		.amdhsa_kernarg_size 120
		.amdhsa_user_sgpr_count 15
		.amdhsa_user_sgpr_dispatch_ptr 0
		.amdhsa_user_sgpr_queue_ptr 0
		.amdhsa_user_sgpr_kernarg_segment_ptr 1
		.amdhsa_user_sgpr_dispatch_id 0
		.amdhsa_user_sgpr_private_segment_size 0
		.amdhsa_wavefront_size32 1
		.amdhsa_uses_dynamic_stack 0
		.amdhsa_enable_private_segment 0
		.amdhsa_system_sgpr_workgroup_id_x 1
		.amdhsa_system_sgpr_workgroup_id_y 0
		.amdhsa_system_sgpr_workgroup_id_z 0
		.amdhsa_system_sgpr_workgroup_info 0
		.amdhsa_system_vgpr_workitem_id 0
		.amdhsa_next_free_vgpr 1
		.amdhsa_next_free_sgpr 1
		.amdhsa_reserve_vcc 0
		.amdhsa_float_round_mode_32 0
		.amdhsa_float_round_mode_16_64 0
		.amdhsa_float_denorm_mode_32 3
		.amdhsa_float_denorm_mode_16_64 3
		.amdhsa_dx10_clamp 1
		.amdhsa_ieee_mode 1
		.amdhsa_fp16_overflow 0
		.amdhsa_workgroup_processor_mode 1
		.amdhsa_memory_ordered 1
		.amdhsa_forward_progress 0
		.amdhsa_shared_vgpr_count 0
		.amdhsa_exception_fp_ieee_invalid_op 0
		.amdhsa_exception_fp_denorm_src 0
		.amdhsa_exception_fp_ieee_div_zero 0
		.amdhsa_exception_fp_ieee_overflow 0
		.amdhsa_exception_fp_ieee_underflow 0
		.amdhsa_exception_fp_ieee_inexact 0
		.amdhsa_exception_int_div_zero 0
	.end_amdhsa_kernel
	.section	.text._ZN7rocprim17ROCPRIM_400000_NS6detail17trampoline_kernelINS0_14default_configENS1_29reduce_by_key_config_selectorIijN6thrust23THRUST_200600_302600_NS4plusIjEEEEZZNS1_33reduce_by_key_impl_wrapped_configILNS1_25lookback_scan_determinismE0ES3_S9_NS6_6detail15normal_iteratorINS6_10device_ptrIiEEEENSD_INSE_IjEEEESG_SI_PmS8_NS6_8equal_toIiEEEE10hipError_tPvRmT2_T3_mT4_T5_T6_T7_T8_P12ihipStream_tbENKUlT_T0_E_clISt17integral_constantIbLb1EES12_IbLb0EEEEDaSY_SZ_EUlSY_E_NS1_11comp_targetILNS1_3genE0ELNS1_11target_archE4294967295ELNS1_3gpuE0ELNS1_3repE0EEENS1_30default_config_static_selectorELNS0_4arch9wavefront6targetE0EEEvT1_,"axG",@progbits,_ZN7rocprim17ROCPRIM_400000_NS6detail17trampoline_kernelINS0_14default_configENS1_29reduce_by_key_config_selectorIijN6thrust23THRUST_200600_302600_NS4plusIjEEEEZZNS1_33reduce_by_key_impl_wrapped_configILNS1_25lookback_scan_determinismE0ES3_S9_NS6_6detail15normal_iteratorINS6_10device_ptrIiEEEENSD_INSE_IjEEEESG_SI_PmS8_NS6_8equal_toIiEEEE10hipError_tPvRmT2_T3_mT4_T5_T6_T7_T8_P12ihipStream_tbENKUlT_T0_E_clISt17integral_constantIbLb1EES12_IbLb0EEEEDaSY_SZ_EUlSY_E_NS1_11comp_targetILNS1_3genE0ELNS1_11target_archE4294967295ELNS1_3gpuE0ELNS1_3repE0EEENS1_30default_config_static_selectorELNS0_4arch9wavefront6targetE0EEEvT1_,comdat
.Lfunc_end823:
	.size	_ZN7rocprim17ROCPRIM_400000_NS6detail17trampoline_kernelINS0_14default_configENS1_29reduce_by_key_config_selectorIijN6thrust23THRUST_200600_302600_NS4plusIjEEEEZZNS1_33reduce_by_key_impl_wrapped_configILNS1_25lookback_scan_determinismE0ES3_S9_NS6_6detail15normal_iteratorINS6_10device_ptrIiEEEENSD_INSE_IjEEEESG_SI_PmS8_NS6_8equal_toIiEEEE10hipError_tPvRmT2_T3_mT4_T5_T6_T7_T8_P12ihipStream_tbENKUlT_T0_E_clISt17integral_constantIbLb1EES12_IbLb0EEEEDaSY_SZ_EUlSY_E_NS1_11comp_targetILNS1_3genE0ELNS1_11target_archE4294967295ELNS1_3gpuE0ELNS1_3repE0EEENS1_30default_config_static_selectorELNS0_4arch9wavefront6targetE0EEEvT1_, .Lfunc_end823-_ZN7rocprim17ROCPRIM_400000_NS6detail17trampoline_kernelINS0_14default_configENS1_29reduce_by_key_config_selectorIijN6thrust23THRUST_200600_302600_NS4plusIjEEEEZZNS1_33reduce_by_key_impl_wrapped_configILNS1_25lookback_scan_determinismE0ES3_S9_NS6_6detail15normal_iteratorINS6_10device_ptrIiEEEENSD_INSE_IjEEEESG_SI_PmS8_NS6_8equal_toIiEEEE10hipError_tPvRmT2_T3_mT4_T5_T6_T7_T8_P12ihipStream_tbENKUlT_T0_E_clISt17integral_constantIbLb1EES12_IbLb0EEEEDaSY_SZ_EUlSY_E_NS1_11comp_targetILNS1_3genE0ELNS1_11target_archE4294967295ELNS1_3gpuE0ELNS1_3repE0EEENS1_30default_config_static_selectorELNS0_4arch9wavefront6targetE0EEEvT1_
                                        ; -- End function
	.section	.AMDGPU.csdata,"",@progbits
; Kernel info:
; codeLenInByte = 0
; NumSgprs: 0
; NumVgprs: 0
; ScratchSize: 0
; MemoryBound: 0
; FloatMode: 240
; IeeeMode: 1
; LDSByteSize: 0 bytes/workgroup (compile time only)
; SGPRBlocks: 0
; VGPRBlocks: 0
; NumSGPRsForWavesPerEU: 1
; NumVGPRsForWavesPerEU: 1
; Occupancy: 16
; WaveLimiterHint : 0
; COMPUTE_PGM_RSRC2:SCRATCH_EN: 0
; COMPUTE_PGM_RSRC2:USER_SGPR: 15
; COMPUTE_PGM_RSRC2:TRAP_HANDLER: 0
; COMPUTE_PGM_RSRC2:TGID_X_EN: 1
; COMPUTE_PGM_RSRC2:TGID_Y_EN: 0
; COMPUTE_PGM_RSRC2:TGID_Z_EN: 0
; COMPUTE_PGM_RSRC2:TIDIG_COMP_CNT: 0
	.section	.text._ZN7rocprim17ROCPRIM_400000_NS6detail17trampoline_kernelINS0_14default_configENS1_29reduce_by_key_config_selectorIijN6thrust23THRUST_200600_302600_NS4plusIjEEEEZZNS1_33reduce_by_key_impl_wrapped_configILNS1_25lookback_scan_determinismE0ES3_S9_NS6_6detail15normal_iteratorINS6_10device_ptrIiEEEENSD_INSE_IjEEEESG_SI_PmS8_NS6_8equal_toIiEEEE10hipError_tPvRmT2_T3_mT4_T5_T6_T7_T8_P12ihipStream_tbENKUlT_T0_E_clISt17integral_constantIbLb1EES12_IbLb0EEEEDaSY_SZ_EUlSY_E_NS1_11comp_targetILNS1_3genE5ELNS1_11target_archE942ELNS1_3gpuE9ELNS1_3repE0EEENS1_30default_config_static_selectorELNS0_4arch9wavefront6targetE0EEEvT1_,"axG",@progbits,_ZN7rocprim17ROCPRIM_400000_NS6detail17trampoline_kernelINS0_14default_configENS1_29reduce_by_key_config_selectorIijN6thrust23THRUST_200600_302600_NS4plusIjEEEEZZNS1_33reduce_by_key_impl_wrapped_configILNS1_25lookback_scan_determinismE0ES3_S9_NS6_6detail15normal_iteratorINS6_10device_ptrIiEEEENSD_INSE_IjEEEESG_SI_PmS8_NS6_8equal_toIiEEEE10hipError_tPvRmT2_T3_mT4_T5_T6_T7_T8_P12ihipStream_tbENKUlT_T0_E_clISt17integral_constantIbLb1EES12_IbLb0EEEEDaSY_SZ_EUlSY_E_NS1_11comp_targetILNS1_3genE5ELNS1_11target_archE942ELNS1_3gpuE9ELNS1_3repE0EEENS1_30default_config_static_selectorELNS0_4arch9wavefront6targetE0EEEvT1_,comdat
	.protected	_ZN7rocprim17ROCPRIM_400000_NS6detail17trampoline_kernelINS0_14default_configENS1_29reduce_by_key_config_selectorIijN6thrust23THRUST_200600_302600_NS4plusIjEEEEZZNS1_33reduce_by_key_impl_wrapped_configILNS1_25lookback_scan_determinismE0ES3_S9_NS6_6detail15normal_iteratorINS6_10device_ptrIiEEEENSD_INSE_IjEEEESG_SI_PmS8_NS6_8equal_toIiEEEE10hipError_tPvRmT2_T3_mT4_T5_T6_T7_T8_P12ihipStream_tbENKUlT_T0_E_clISt17integral_constantIbLb1EES12_IbLb0EEEEDaSY_SZ_EUlSY_E_NS1_11comp_targetILNS1_3genE5ELNS1_11target_archE942ELNS1_3gpuE9ELNS1_3repE0EEENS1_30default_config_static_selectorELNS0_4arch9wavefront6targetE0EEEvT1_ ; -- Begin function _ZN7rocprim17ROCPRIM_400000_NS6detail17trampoline_kernelINS0_14default_configENS1_29reduce_by_key_config_selectorIijN6thrust23THRUST_200600_302600_NS4plusIjEEEEZZNS1_33reduce_by_key_impl_wrapped_configILNS1_25lookback_scan_determinismE0ES3_S9_NS6_6detail15normal_iteratorINS6_10device_ptrIiEEEENSD_INSE_IjEEEESG_SI_PmS8_NS6_8equal_toIiEEEE10hipError_tPvRmT2_T3_mT4_T5_T6_T7_T8_P12ihipStream_tbENKUlT_T0_E_clISt17integral_constantIbLb1EES12_IbLb0EEEEDaSY_SZ_EUlSY_E_NS1_11comp_targetILNS1_3genE5ELNS1_11target_archE942ELNS1_3gpuE9ELNS1_3repE0EEENS1_30default_config_static_selectorELNS0_4arch9wavefront6targetE0EEEvT1_
	.globl	_ZN7rocprim17ROCPRIM_400000_NS6detail17trampoline_kernelINS0_14default_configENS1_29reduce_by_key_config_selectorIijN6thrust23THRUST_200600_302600_NS4plusIjEEEEZZNS1_33reduce_by_key_impl_wrapped_configILNS1_25lookback_scan_determinismE0ES3_S9_NS6_6detail15normal_iteratorINS6_10device_ptrIiEEEENSD_INSE_IjEEEESG_SI_PmS8_NS6_8equal_toIiEEEE10hipError_tPvRmT2_T3_mT4_T5_T6_T7_T8_P12ihipStream_tbENKUlT_T0_E_clISt17integral_constantIbLb1EES12_IbLb0EEEEDaSY_SZ_EUlSY_E_NS1_11comp_targetILNS1_3genE5ELNS1_11target_archE942ELNS1_3gpuE9ELNS1_3repE0EEENS1_30default_config_static_selectorELNS0_4arch9wavefront6targetE0EEEvT1_
	.p2align	8
	.type	_ZN7rocprim17ROCPRIM_400000_NS6detail17trampoline_kernelINS0_14default_configENS1_29reduce_by_key_config_selectorIijN6thrust23THRUST_200600_302600_NS4plusIjEEEEZZNS1_33reduce_by_key_impl_wrapped_configILNS1_25lookback_scan_determinismE0ES3_S9_NS6_6detail15normal_iteratorINS6_10device_ptrIiEEEENSD_INSE_IjEEEESG_SI_PmS8_NS6_8equal_toIiEEEE10hipError_tPvRmT2_T3_mT4_T5_T6_T7_T8_P12ihipStream_tbENKUlT_T0_E_clISt17integral_constantIbLb1EES12_IbLb0EEEEDaSY_SZ_EUlSY_E_NS1_11comp_targetILNS1_3genE5ELNS1_11target_archE942ELNS1_3gpuE9ELNS1_3repE0EEENS1_30default_config_static_selectorELNS0_4arch9wavefront6targetE0EEEvT1_,@function
_ZN7rocprim17ROCPRIM_400000_NS6detail17trampoline_kernelINS0_14default_configENS1_29reduce_by_key_config_selectorIijN6thrust23THRUST_200600_302600_NS4plusIjEEEEZZNS1_33reduce_by_key_impl_wrapped_configILNS1_25lookback_scan_determinismE0ES3_S9_NS6_6detail15normal_iteratorINS6_10device_ptrIiEEEENSD_INSE_IjEEEESG_SI_PmS8_NS6_8equal_toIiEEEE10hipError_tPvRmT2_T3_mT4_T5_T6_T7_T8_P12ihipStream_tbENKUlT_T0_E_clISt17integral_constantIbLb1EES12_IbLb0EEEEDaSY_SZ_EUlSY_E_NS1_11comp_targetILNS1_3genE5ELNS1_11target_archE942ELNS1_3gpuE9ELNS1_3repE0EEENS1_30default_config_static_selectorELNS0_4arch9wavefront6targetE0EEEvT1_: ; @_ZN7rocprim17ROCPRIM_400000_NS6detail17trampoline_kernelINS0_14default_configENS1_29reduce_by_key_config_selectorIijN6thrust23THRUST_200600_302600_NS4plusIjEEEEZZNS1_33reduce_by_key_impl_wrapped_configILNS1_25lookback_scan_determinismE0ES3_S9_NS6_6detail15normal_iteratorINS6_10device_ptrIiEEEENSD_INSE_IjEEEESG_SI_PmS8_NS6_8equal_toIiEEEE10hipError_tPvRmT2_T3_mT4_T5_T6_T7_T8_P12ihipStream_tbENKUlT_T0_E_clISt17integral_constantIbLb1EES12_IbLb0EEEEDaSY_SZ_EUlSY_E_NS1_11comp_targetILNS1_3genE5ELNS1_11target_archE942ELNS1_3gpuE9ELNS1_3repE0EEENS1_30default_config_static_selectorELNS0_4arch9wavefront6targetE0EEEvT1_
; %bb.0:
	.section	.rodata,"a",@progbits
	.p2align	6, 0x0
	.amdhsa_kernel _ZN7rocprim17ROCPRIM_400000_NS6detail17trampoline_kernelINS0_14default_configENS1_29reduce_by_key_config_selectorIijN6thrust23THRUST_200600_302600_NS4plusIjEEEEZZNS1_33reduce_by_key_impl_wrapped_configILNS1_25lookback_scan_determinismE0ES3_S9_NS6_6detail15normal_iteratorINS6_10device_ptrIiEEEENSD_INSE_IjEEEESG_SI_PmS8_NS6_8equal_toIiEEEE10hipError_tPvRmT2_T3_mT4_T5_T6_T7_T8_P12ihipStream_tbENKUlT_T0_E_clISt17integral_constantIbLb1EES12_IbLb0EEEEDaSY_SZ_EUlSY_E_NS1_11comp_targetILNS1_3genE5ELNS1_11target_archE942ELNS1_3gpuE9ELNS1_3repE0EEENS1_30default_config_static_selectorELNS0_4arch9wavefront6targetE0EEEvT1_
		.amdhsa_group_segment_fixed_size 0
		.amdhsa_private_segment_fixed_size 0
		.amdhsa_kernarg_size 120
		.amdhsa_user_sgpr_count 15
		.amdhsa_user_sgpr_dispatch_ptr 0
		.amdhsa_user_sgpr_queue_ptr 0
		.amdhsa_user_sgpr_kernarg_segment_ptr 1
		.amdhsa_user_sgpr_dispatch_id 0
		.amdhsa_user_sgpr_private_segment_size 0
		.amdhsa_wavefront_size32 1
		.amdhsa_uses_dynamic_stack 0
		.amdhsa_enable_private_segment 0
		.amdhsa_system_sgpr_workgroup_id_x 1
		.amdhsa_system_sgpr_workgroup_id_y 0
		.amdhsa_system_sgpr_workgroup_id_z 0
		.amdhsa_system_sgpr_workgroup_info 0
		.amdhsa_system_vgpr_workitem_id 0
		.amdhsa_next_free_vgpr 1
		.amdhsa_next_free_sgpr 1
		.amdhsa_reserve_vcc 0
		.amdhsa_float_round_mode_32 0
		.amdhsa_float_round_mode_16_64 0
		.amdhsa_float_denorm_mode_32 3
		.amdhsa_float_denorm_mode_16_64 3
		.amdhsa_dx10_clamp 1
		.amdhsa_ieee_mode 1
		.amdhsa_fp16_overflow 0
		.amdhsa_workgroup_processor_mode 1
		.amdhsa_memory_ordered 1
		.amdhsa_forward_progress 0
		.amdhsa_shared_vgpr_count 0
		.amdhsa_exception_fp_ieee_invalid_op 0
		.amdhsa_exception_fp_denorm_src 0
		.amdhsa_exception_fp_ieee_div_zero 0
		.amdhsa_exception_fp_ieee_overflow 0
		.amdhsa_exception_fp_ieee_underflow 0
		.amdhsa_exception_fp_ieee_inexact 0
		.amdhsa_exception_int_div_zero 0
	.end_amdhsa_kernel
	.section	.text._ZN7rocprim17ROCPRIM_400000_NS6detail17trampoline_kernelINS0_14default_configENS1_29reduce_by_key_config_selectorIijN6thrust23THRUST_200600_302600_NS4plusIjEEEEZZNS1_33reduce_by_key_impl_wrapped_configILNS1_25lookback_scan_determinismE0ES3_S9_NS6_6detail15normal_iteratorINS6_10device_ptrIiEEEENSD_INSE_IjEEEESG_SI_PmS8_NS6_8equal_toIiEEEE10hipError_tPvRmT2_T3_mT4_T5_T6_T7_T8_P12ihipStream_tbENKUlT_T0_E_clISt17integral_constantIbLb1EES12_IbLb0EEEEDaSY_SZ_EUlSY_E_NS1_11comp_targetILNS1_3genE5ELNS1_11target_archE942ELNS1_3gpuE9ELNS1_3repE0EEENS1_30default_config_static_selectorELNS0_4arch9wavefront6targetE0EEEvT1_,"axG",@progbits,_ZN7rocprim17ROCPRIM_400000_NS6detail17trampoline_kernelINS0_14default_configENS1_29reduce_by_key_config_selectorIijN6thrust23THRUST_200600_302600_NS4plusIjEEEEZZNS1_33reduce_by_key_impl_wrapped_configILNS1_25lookback_scan_determinismE0ES3_S9_NS6_6detail15normal_iteratorINS6_10device_ptrIiEEEENSD_INSE_IjEEEESG_SI_PmS8_NS6_8equal_toIiEEEE10hipError_tPvRmT2_T3_mT4_T5_T6_T7_T8_P12ihipStream_tbENKUlT_T0_E_clISt17integral_constantIbLb1EES12_IbLb0EEEEDaSY_SZ_EUlSY_E_NS1_11comp_targetILNS1_3genE5ELNS1_11target_archE942ELNS1_3gpuE9ELNS1_3repE0EEENS1_30default_config_static_selectorELNS0_4arch9wavefront6targetE0EEEvT1_,comdat
.Lfunc_end824:
	.size	_ZN7rocprim17ROCPRIM_400000_NS6detail17trampoline_kernelINS0_14default_configENS1_29reduce_by_key_config_selectorIijN6thrust23THRUST_200600_302600_NS4plusIjEEEEZZNS1_33reduce_by_key_impl_wrapped_configILNS1_25lookback_scan_determinismE0ES3_S9_NS6_6detail15normal_iteratorINS6_10device_ptrIiEEEENSD_INSE_IjEEEESG_SI_PmS8_NS6_8equal_toIiEEEE10hipError_tPvRmT2_T3_mT4_T5_T6_T7_T8_P12ihipStream_tbENKUlT_T0_E_clISt17integral_constantIbLb1EES12_IbLb0EEEEDaSY_SZ_EUlSY_E_NS1_11comp_targetILNS1_3genE5ELNS1_11target_archE942ELNS1_3gpuE9ELNS1_3repE0EEENS1_30default_config_static_selectorELNS0_4arch9wavefront6targetE0EEEvT1_, .Lfunc_end824-_ZN7rocprim17ROCPRIM_400000_NS6detail17trampoline_kernelINS0_14default_configENS1_29reduce_by_key_config_selectorIijN6thrust23THRUST_200600_302600_NS4plusIjEEEEZZNS1_33reduce_by_key_impl_wrapped_configILNS1_25lookback_scan_determinismE0ES3_S9_NS6_6detail15normal_iteratorINS6_10device_ptrIiEEEENSD_INSE_IjEEEESG_SI_PmS8_NS6_8equal_toIiEEEE10hipError_tPvRmT2_T3_mT4_T5_T6_T7_T8_P12ihipStream_tbENKUlT_T0_E_clISt17integral_constantIbLb1EES12_IbLb0EEEEDaSY_SZ_EUlSY_E_NS1_11comp_targetILNS1_3genE5ELNS1_11target_archE942ELNS1_3gpuE9ELNS1_3repE0EEENS1_30default_config_static_selectorELNS0_4arch9wavefront6targetE0EEEvT1_
                                        ; -- End function
	.section	.AMDGPU.csdata,"",@progbits
; Kernel info:
; codeLenInByte = 0
; NumSgprs: 0
; NumVgprs: 0
; ScratchSize: 0
; MemoryBound: 0
; FloatMode: 240
; IeeeMode: 1
; LDSByteSize: 0 bytes/workgroup (compile time only)
; SGPRBlocks: 0
; VGPRBlocks: 0
; NumSGPRsForWavesPerEU: 1
; NumVGPRsForWavesPerEU: 1
; Occupancy: 16
; WaveLimiterHint : 0
; COMPUTE_PGM_RSRC2:SCRATCH_EN: 0
; COMPUTE_PGM_RSRC2:USER_SGPR: 15
; COMPUTE_PGM_RSRC2:TRAP_HANDLER: 0
; COMPUTE_PGM_RSRC2:TGID_X_EN: 1
; COMPUTE_PGM_RSRC2:TGID_Y_EN: 0
; COMPUTE_PGM_RSRC2:TGID_Z_EN: 0
; COMPUTE_PGM_RSRC2:TIDIG_COMP_CNT: 0
	.section	.text._ZN7rocprim17ROCPRIM_400000_NS6detail17trampoline_kernelINS0_14default_configENS1_29reduce_by_key_config_selectorIijN6thrust23THRUST_200600_302600_NS4plusIjEEEEZZNS1_33reduce_by_key_impl_wrapped_configILNS1_25lookback_scan_determinismE0ES3_S9_NS6_6detail15normal_iteratorINS6_10device_ptrIiEEEENSD_INSE_IjEEEESG_SI_PmS8_NS6_8equal_toIiEEEE10hipError_tPvRmT2_T3_mT4_T5_T6_T7_T8_P12ihipStream_tbENKUlT_T0_E_clISt17integral_constantIbLb1EES12_IbLb0EEEEDaSY_SZ_EUlSY_E_NS1_11comp_targetILNS1_3genE4ELNS1_11target_archE910ELNS1_3gpuE8ELNS1_3repE0EEENS1_30default_config_static_selectorELNS0_4arch9wavefront6targetE0EEEvT1_,"axG",@progbits,_ZN7rocprim17ROCPRIM_400000_NS6detail17trampoline_kernelINS0_14default_configENS1_29reduce_by_key_config_selectorIijN6thrust23THRUST_200600_302600_NS4plusIjEEEEZZNS1_33reduce_by_key_impl_wrapped_configILNS1_25lookback_scan_determinismE0ES3_S9_NS6_6detail15normal_iteratorINS6_10device_ptrIiEEEENSD_INSE_IjEEEESG_SI_PmS8_NS6_8equal_toIiEEEE10hipError_tPvRmT2_T3_mT4_T5_T6_T7_T8_P12ihipStream_tbENKUlT_T0_E_clISt17integral_constantIbLb1EES12_IbLb0EEEEDaSY_SZ_EUlSY_E_NS1_11comp_targetILNS1_3genE4ELNS1_11target_archE910ELNS1_3gpuE8ELNS1_3repE0EEENS1_30default_config_static_selectorELNS0_4arch9wavefront6targetE0EEEvT1_,comdat
	.protected	_ZN7rocprim17ROCPRIM_400000_NS6detail17trampoline_kernelINS0_14default_configENS1_29reduce_by_key_config_selectorIijN6thrust23THRUST_200600_302600_NS4plusIjEEEEZZNS1_33reduce_by_key_impl_wrapped_configILNS1_25lookback_scan_determinismE0ES3_S9_NS6_6detail15normal_iteratorINS6_10device_ptrIiEEEENSD_INSE_IjEEEESG_SI_PmS8_NS6_8equal_toIiEEEE10hipError_tPvRmT2_T3_mT4_T5_T6_T7_T8_P12ihipStream_tbENKUlT_T0_E_clISt17integral_constantIbLb1EES12_IbLb0EEEEDaSY_SZ_EUlSY_E_NS1_11comp_targetILNS1_3genE4ELNS1_11target_archE910ELNS1_3gpuE8ELNS1_3repE0EEENS1_30default_config_static_selectorELNS0_4arch9wavefront6targetE0EEEvT1_ ; -- Begin function _ZN7rocprim17ROCPRIM_400000_NS6detail17trampoline_kernelINS0_14default_configENS1_29reduce_by_key_config_selectorIijN6thrust23THRUST_200600_302600_NS4plusIjEEEEZZNS1_33reduce_by_key_impl_wrapped_configILNS1_25lookback_scan_determinismE0ES3_S9_NS6_6detail15normal_iteratorINS6_10device_ptrIiEEEENSD_INSE_IjEEEESG_SI_PmS8_NS6_8equal_toIiEEEE10hipError_tPvRmT2_T3_mT4_T5_T6_T7_T8_P12ihipStream_tbENKUlT_T0_E_clISt17integral_constantIbLb1EES12_IbLb0EEEEDaSY_SZ_EUlSY_E_NS1_11comp_targetILNS1_3genE4ELNS1_11target_archE910ELNS1_3gpuE8ELNS1_3repE0EEENS1_30default_config_static_selectorELNS0_4arch9wavefront6targetE0EEEvT1_
	.globl	_ZN7rocprim17ROCPRIM_400000_NS6detail17trampoline_kernelINS0_14default_configENS1_29reduce_by_key_config_selectorIijN6thrust23THRUST_200600_302600_NS4plusIjEEEEZZNS1_33reduce_by_key_impl_wrapped_configILNS1_25lookback_scan_determinismE0ES3_S9_NS6_6detail15normal_iteratorINS6_10device_ptrIiEEEENSD_INSE_IjEEEESG_SI_PmS8_NS6_8equal_toIiEEEE10hipError_tPvRmT2_T3_mT4_T5_T6_T7_T8_P12ihipStream_tbENKUlT_T0_E_clISt17integral_constantIbLb1EES12_IbLb0EEEEDaSY_SZ_EUlSY_E_NS1_11comp_targetILNS1_3genE4ELNS1_11target_archE910ELNS1_3gpuE8ELNS1_3repE0EEENS1_30default_config_static_selectorELNS0_4arch9wavefront6targetE0EEEvT1_
	.p2align	8
	.type	_ZN7rocprim17ROCPRIM_400000_NS6detail17trampoline_kernelINS0_14default_configENS1_29reduce_by_key_config_selectorIijN6thrust23THRUST_200600_302600_NS4plusIjEEEEZZNS1_33reduce_by_key_impl_wrapped_configILNS1_25lookback_scan_determinismE0ES3_S9_NS6_6detail15normal_iteratorINS6_10device_ptrIiEEEENSD_INSE_IjEEEESG_SI_PmS8_NS6_8equal_toIiEEEE10hipError_tPvRmT2_T3_mT4_T5_T6_T7_T8_P12ihipStream_tbENKUlT_T0_E_clISt17integral_constantIbLb1EES12_IbLb0EEEEDaSY_SZ_EUlSY_E_NS1_11comp_targetILNS1_3genE4ELNS1_11target_archE910ELNS1_3gpuE8ELNS1_3repE0EEENS1_30default_config_static_selectorELNS0_4arch9wavefront6targetE0EEEvT1_,@function
_ZN7rocprim17ROCPRIM_400000_NS6detail17trampoline_kernelINS0_14default_configENS1_29reduce_by_key_config_selectorIijN6thrust23THRUST_200600_302600_NS4plusIjEEEEZZNS1_33reduce_by_key_impl_wrapped_configILNS1_25lookback_scan_determinismE0ES3_S9_NS6_6detail15normal_iteratorINS6_10device_ptrIiEEEENSD_INSE_IjEEEESG_SI_PmS8_NS6_8equal_toIiEEEE10hipError_tPvRmT2_T3_mT4_T5_T6_T7_T8_P12ihipStream_tbENKUlT_T0_E_clISt17integral_constantIbLb1EES12_IbLb0EEEEDaSY_SZ_EUlSY_E_NS1_11comp_targetILNS1_3genE4ELNS1_11target_archE910ELNS1_3gpuE8ELNS1_3repE0EEENS1_30default_config_static_selectorELNS0_4arch9wavefront6targetE0EEEvT1_: ; @_ZN7rocprim17ROCPRIM_400000_NS6detail17trampoline_kernelINS0_14default_configENS1_29reduce_by_key_config_selectorIijN6thrust23THRUST_200600_302600_NS4plusIjEEEEZZNS1_33reduce_by_key_impl_wrapped_configILNS1_25lookback_scan_determinismE0ES3_S9_NS6_6detail15normal_iteratorINS6_10device_ptrIiEEEENSD_INSE_IjEEEESG_SI_PmS8_NS6_8equal_toIiEEEE10hipError_tPvRmT2_T3_mT4_T5_T6_T7_T8_P12ihipStream_tbENKUlT_T0_E_clISt17integral_constantIbLb1EES12_IbLb0EEEEDaSY_SZ_EUlSY_E_NS1_11comp_targetILNS1_3genE4ELNS1_11target_archE910ELNS1_3gpuE8ELNS1_3repE0EEENS1_30default_config_static_selectorELNS0_4arch9wavefront6targetE0EEEvT1_
; %bb.0:
	.section	.rodata,"a",@progbits
	.p2align	6, 0x0
	.amdhsa_kernel _ZN7rocprim17ROCPRIM_400000_NS6detail17trampoline_kernelINS0_14default_configENS1_29reduce_by_key_config_selectorIijN6thrust23THRUST_200600_302600_NS4plusIjEEEEZZNS1_33reduce_by_key_impl_wrapped_configILNS1_25lookback_scan_determinismE0ES3_S9_NS6_6detail15normal_iteratorINS6_10device_ptrIiEEEENSD_INSE_IjEEEESG_SI_PmS8_NS6_8equal_toIiEEEE10hipError_tPvRmT2_T3_mT4_T5_T6_T7_T8_P12ihipStream_tbENKUlT_T0_E_clISt17integral_constantIbLb1EES12_IbLb0EEEEDaSY_SZ_EUlSY_E_NS1_11comp_targetILNS1_3genE4ELNS1_11target_archE910ELNS1_3gpuE8ELNS1_3repE0EEENS1_30default_config_static_selectorELNS0_4arch9wavefront6targetE0EEEvT1_
		.amdhsa_group_segment_fixed_size 0
		.amdhsa_private_segment_fixed_size 0
		.amdhsa_kernarg_size 120
		.amdhsa_user_sgpr_count 15
		.amdhsa_user_sgpr_dispatch_ptr 0
		.amdhsa_user_sgpr_queue_ptr 0
		.amdhsa_user_sgpr_kernarg_segment_ptr 1
		.amdhsa_user_sgpr_dispatch_id 0
		.amdhsa_user_sgpr_private_segment_size 0
		.amdhsa_wavefront_size32 1
		.amdhsa_uses_dynamic_stack 0
		.amdhsa_enable_private_segment 0
		.amdhsa_system_sgpr_workgroup_id_x 1
		.amdhsa_system_sgpr_workgroup_id_y 0
		.amdhsa_system_sgpr_workgroup_id_z 0
		.amdhsa_system_sgpr_workgroup_info 0
		.amdhsa_system_vgpr_workitem_id 0
		.amdhsa_next_free_vgpr 1
		.amdhsa_next_free_sgpr 1
		.amdhsa_reserve_vcc 0
		.amdhsa_float_round_mode_32 0
		.amdhsa_float_round_mode_16_64 0
		.amdhsa_float_denorm_mode_32 3
		.amdhsa_float_denorm_mode_16_64 3
		.amdhsa_dx10_clamp 1
		.amdhsa_ieee_mode 1
		.amdhsa_fp16_overflow 0
		.amdhsa_workgroup_processor_mode 1
		.amdhsa_memory_ordered 1
		.amdhsa_forward_progress 0
		.amdhsa_shared_vgpr_count 0
		.amdhsa_exception_fp_ieee_invalid_op 0
		.amdhsa_exception_fp_denorm_src 0
		.amdhsa_exception_fp_ieee_div_zero 0
		.amdhsa_exception_fp_ieee_overflow 0
		.amdhsa_exception_fp_ieee_underflow 0
		.amdhsa_exception_fp_ieee_inexact 0
		.amdhsa_exception_int_div_zero 0
	.end_amdhsa_kernel
	.section	.text._ZN7rocprim17ROCPRIM_400000_NS6detail17trampoline_kernelINS0_14default_configENS1_29reduce_by_key_config_selectorIijN6thrust23THRUST_200600_302600_NS4plusIjEEEEZZNS1_33reduce_by_key_impl_wrapped_configILNS1_25lookback_scan_determinismE0ES3_S9_NS6_6detail15normal_iteratorINS6_10device_ptrIiEEEENSD_INSE_IjEEEESG_SI_PmS8_NS6_8equal_toIiEEEE10hipError_tPvRmT2_T3_mT4_T5_T6_T7_T8_P12ihipStream_tbENKUlT_T0_E_clISt17integral_constantIbLb1EES12_IbLb0EEEEDaSY_SZ_EUlSY_E_NS1_11comp_targetILNS1_3genE4ELNS1_11target_archE910ELNS1_3gpuE8ELNS1_3repE0EEENS1_30default_config_static_selectorELNS0_4arch9wavefront6targetE0EEEvT1_,"axG",@progbits,_ZN7rocprim17ROCPRIM_400000_NS6detail17trampoline_kernelINS0_14default_configENS1_29reduce_by_key_config_selectorIijN6thrust23THRUST_200600_302600_NS4plusIjEEEEZZNS1_33reduce_by_key_impl_wrapped_configILNS1_25lookback_scan_determinismE0ES3_S9_NS6_6detail15normal_iteratorINS6_10device_ptrIiEEEENSD_INSE_IjEEEESG_SI_PmS8_NS6_8equal_toIiEEEE10hipError_tPvRmT2_T3_mT4_T5_T6_T7_T8_P12ihipStream_tbENKUlT_T0_E_clISt17integral_constantIbLb1EES12_IbLb0EEEEDaSY_SZ_EUlSY_E_NS1_11comp_targetILNS1_3genE4ELNS1_11target_archE910ELNS1_3gpuE8ELNS1_3repE0EEENS1_30default_config_static_selectorELNS0_4arch9wavefront6targetE0EEEvT1_,comdat
.Lfunc_end825:
	.size	_ZN7rocprim17ROCPRIM_400000_NS6detail17trampoline_kernelINS0_14default_configENS1_29reduce_by_key_config_selectorIijN6thrust23THRUST_200600_302600_NS4plusIjEEEEZZNS1_33reduce_by_key_impl_wrapped_configILNS1_25lookback_scan_determinismE0ES3_S9_NS6_6detail15normal_iteratorINS6_10device_ptrIiEEEENSD_INSE_IjEEEESG_SI_PmS8_NS6_8equal_toIiEEEE10hipError_tPvRmT2_T3_mT4_T5_T6_T7_T8_P12ihipStream_tbENKUlT_T0_E_clISt17integral_constantIbLb1EES12_IbLb0EEEEDaSY_SZ_EUlSY_E_NS1_11comp_targetILNS1_3genE4ELNS1_11target_archE910ELNS1_3gpuE8ELNS1_3repE0EEENS1_30default_config_static_selectorELNS0_4arch9wavefront6targetE0EEEvT1_, .Lfunc_end825-_ZN7rocprim17ROCPRIM_400000_NS6detail17trampoline_kernelINS0_14default_configENS1_29reduce_by_key_config_selectorIijN6thrust23THRUST_200600_302600_NS4plusIjEEEEZZNS1_33reduce_by_key_impl_wrapped_configILNS1_25lookback_scan_determinismE0ES3_S9_NS6_6detail15normal_iteratorINS6_10device_ptrIiEEEENSD_INSE_IjEEEESG_SI_PmS8_NS6_8equal_toIiEEEE10hipError_tPvRmT2_T3_mT4_T5_T6_T7_T8_P12ihipStream_tbENKUlT_T0_E_clISt17integral_constantIbLb1EES12_IbLb0EEEEDaSY_SZ_EUlSY_E_NS1_11comp_targetILNS1_3genE4ELNS1_11target_archE910ELNS1_3gpuE8ELNS1_3repE0EEENS1_30default_config_static_selectorELNS0_4arch9wavefront6targetE0EEEvT1_
                                        ; -- End function
	.section	.AMDGPU.csdata,"",@progbits
; Kernel info:
; codeLenInByte = 0
; NumSgprs: 0
; NumVgprs: 0
; ScratchSize: 0
; MemoryBound: 0
; FloatMode: 240
; IeeeMode: 1
; LDSByteSize: 0 bytes/workgroup (compile time only)
; SGPRBlocks: 0
; VGPRBlocks: 0
; NumSGPRsForWavesPerEU: 1
; NumVGPRsForWavesPerEU: 1
; Occupancy: 16
; WaveLimiterHint : 0
; COMPUTE_PGM_RSRC2:SCRATCH_EN: 0
; COMPUTE_PGM_RSRC2:USER_SGPR: 15
; COMPUTE_PGM_RSRC2:TRAP_HANDLER: 0
; COMPUTE_PGM_RSRC2:TGID_X_EN: 1
; COMPUTE_PGM_RSRC2:TGID_Y_EN: 0
; COMPUTE_PGM_RSRC2:TGID_Z_EN: 0
; COMPUTE_PGM_RSRC2:TIDIG_COMP_CNT: 0
	.section	.text._ZN7rocprim17ROCPRIM_400000_NS6detail17trampoline_kernelINS0_14default_configENS1_29reduce_by_key_config_selectorIijN6thrust23THRUST_200600_302600_NS4plusIjEEEEZZNS1_33reduce_by_key_impl_wrapped_configILNS1_25lookback_scan_determinismE0ES3_S9_NS6_6detail15normal_iteratorINS6_10device_ptrIiEEEENSD_INSE_IjEEEESG_SI_PmS8_NS6_8equal_toIiEEEE10hipError_tPvRmT2_T3_mT4_T5_T6_T7_T8_P12ihipStream_tbENKUlT_T0_E_clISt17integral_constantIbLb1EES12_IbLb0EEEEDaSY_SZ_EUlSY_E_NS1_11comp_targetILNS1_3genE3ELNS1_11target_archE908ELNS1_3gpuE7ELNS1_3repE0EEENS1_30default_config_static_selectorELNS0_4arch9wavefront6targetE0EEEvT1_,"axG",@progbits,_ZN7rocprim17ROCPRIM_400000_NS6detail17trampoline_kernelINS0_14default_configENS1_29reduce_by_key_config_selectorIijN6thrust23THRUST_200600_302600_NS4plusIjEEEEZZNS1_33reduce_by_key_impl_wrapped_configILNS1_25lookback_scan_determinismE0ES3_S9_NS6_6detail15normal_iteratorINS6_10device_ptrIiEEEENSD_INSE_IjEEEESG_SI_PmS8_NS6_8equal_toIiEEEE10hipError_tPvRmT2_T3_mT4_T5_T6_T7_T8_P12ihipStream_tbENKUlT_T0_E_clISt17integral_constantIbLb1EES12_IbLb0EEEEDaSY_SZ_EUlSY_E_NS1_11comp_targetILNS1_3genE3ELNS1_11target_archE908ELNS1_3gpuE7ELNS1_3repE0EEENS1_30default_config_static_selectorELNS0_4arch9wavefront6targetE0EEEvT1_,comdat
	.protected	_ZN7rocprim17ROCPRIM_400000_NS6detail17trampoline_kernelINS0_14default_configENS1_29reduce_by_key_config_selectorIijN6thrust23THRUST_200600_302600_NS4plusIjEEEEZZNS1_33reduce_by_key_impl_wrapped_configILNS1_25lookback_scan_determinismE0ES3_S9_NS6_6detail15normal_iteratorINS6_10device_ptrIiEEEENSD_INSE_IjEEEESG_SI_PmS8_NS6_8equal_toIiEEEE10hipError_tPvRmT2_T3_mT4_T5_T6_T7_T8_P12ihipStream_tbENKUlT_T0_E_clISt17integral_constantIbLb1EES12_IbLb0EEEEDaSY_SZ_EUlSY_E_NS1_11comp_targetILNS1_3genE3ELNS1_11target_archE908ELNS1_3gpuE7ELNS1_3repE0EEENS1_30default_config_static_selectorELNS0_4arch9wavefront6targetE0EEEvT1_ ; -- Begin function _ZN7rocprim17ROCPRIM_400000_NS6detail17trampoline_kernelINS0_14default_configENS1_29reduce_by_key_config_selectorIijN6thrust23THRUST_200600_302600_NS4plusIjEEEEZZNS1_33reduce_by_key_impl_wrapped_configILNS1_25lookback_scan_determinismE0ES3_S9_NS6_6detail15normal_iteratorINS6_10device_ptrIiEEEENSD_INSE_IjEEEESG_SI_PmS8_NS6_8equal_toIiEEEE10hipError_tPvRmT2_T3_mT4_T5_T6_T7_T8_P12ihipStream_tbENKUlT_T0_E_clISt17integral_constantIbLb1EES12_IbLb0EEEEDaSY_SZ_EUlSY_E_NS1_11comp_targetILNS1_3genE3ELNS1_11target_archE908ELNS1_3gpuE7ELNS1_3repE0EEENS1_30default_config_static_selectorELNS0_4arch9wavefront6targetE0EEEvT1_
	.globl	_ZN7rocprim17ROCPRIM_400000_NS6detail17trampoline_kernelINS0_14default_configENS1_29reduce_by_key_config_selectorIijN6thrust23THRUST_200600_302600_NS4plusIjEEEEZZNS1_33reduce_by_key_impl_wrapped_configILNS1_25lookback_scan_determinismE0ES3_S9_NS6_6detail15normal_iteratorINS6_10device_ptrIiEEEENSD_INSE_IjEEEESG_SI_PmS8_NS6_8equal_toIiEEEE10hipError_tPvRmT2_T3_mT4_T5_T6_T7_T8_P12ihipStream_tbENKUlT_T0_E_clISt17integral_constantIbLb1EES12_IbLb0EEEEDaSY_SZ_EUlSY_E_NS1_11comp_targetILNS1_3genE3ELNS1_11target_archE908ELNS1_3gpuE7ELNS1_3repE0EEENS1_30default_config_static_selectorELNS0_4arch9wavefront6targetE0EEEvT1_
	.p2align	8
	.type	_ZN7rocprim17ROCPRIM_400000_NS6detail17trampoline_kernelINS0_14default_configENS1_29reduce_by_key_config_selectorIijN6thrust23THRUST_200600_302600_NS4plusIjEEEEZZNS1_33reduce_by_key_impl_wrapped_configILNS1_25lookback_scan_determinismE0ES3_S9_NS6_6detail15normal_iteratorINS6_10device_ptrIiEEEENSD_INSE_IjEEEESG_SI_PmS8_NS6_8equal_toIiEEEE10hipError_tPvRmT2_T3_mT4_T5_T6_T7_T8_P12ihipStream_tbENKUlT_T0_E_clISt17integral_constantIbLb1EES12_IbLb0EEEEDaSY_SZ_EUlSY_E_NS1_11comp_targetILNS1_3genE3ELNS1_11target_archE908ELNS1_3gpuE7ELNS1_3repE0EEENS1_30default_config_static_selectorELNS0_4arch9wavefront6targetE0EEEvT1_,@function
_ZN7rocprim17ROCPRIM_400000_NS6detail17trampoline_kernelINS0_14default_configENS1_29reduce_by_key_config_selectorIijN6thrust23THRUST_200600_302600_NS4plusIjEEEEZZNS1_33reduce_by_key_impl_wrapped_configILNS1_25lookback_scan_determinismE0ES3_S9_NS6_6detail15normal_iteratorINS6_10device_ptrIiEEEENSD_INSE_IjEEEESG_SI_PmS8_NS6_8equal_toIiEEEE10hipError_tPvRmT2_T3_mT4_T5_T6_T7_T8_P12ihipStream_tbENKUlT_T0_E_clISt17integral_constantIbLb1EES12_IbLb0EEEEDaSY_SZ_EUlSY_E_NS1_11comp_targetILNS1_3genE3ELNS1_11target_archE908ELNS1_3gpuE7ELNS1_3repE0EEENS1_30default_config_static_selectorELNS0_4arch9wavefront6targetE0EEEvT1_: ; @_ZN7rocprim17ROCPRIM_400000_NS6detail17trampoline_kernelINS0_14default_configENS1_29reduce_by_key_config_selectorIijN6thrust23THRUST_200600_302600_NS4plusIjEEEEZZNS1_33reduce_by_key_impl_wrapped_configILNS1_25lookback_scan_determinismE0ES3_S9_NS6_6detail15normal_iteratorINS6_10device_ptrIiEEEENSD_INSE_IjEEEESG_SI_PmS8_NS6_8equal_toIiEEEE10hipError_tPvRmT2_T3_mT4_T5_T6_T7_T8_P12ihipStream_tbENKUlT_T0_E_clISt17integral_constantIbLb1EES12_IbLb0EEEEDaSY_SZ_EUlSY_E_NS1_11comp_targetILNS1_3genE3ELNS1_11target_archE908ELNS1_3gpuE7ELNS1_3repE0EEENS1_30default_config_static_selectorELNS0_4arch9wavefront6targetE0EEEvT1_
; %bb.0:
	.section	.rodata,"a",@progbits
	.p2align	6, 0x0
	.amdhsa_kernel _ZN7rocprim17ROCPRIM_400000_NS6detail17trampoline_kernelINS0_14default_configENS1_29reduce_by_key_config_selectorIijN6thrust23THRUST_200600_302600_NS4plusIjEEEEZZNS1_33reduce_by_key_impl_wrapped_configILNS1_25lookback_scan_determinismE0ES3_S9_NS6_6detail15normal_iteratorINS6_10device_ptrIiEEEENSD_INSE_IjEEEESG_SI_PmS8_NS6_8equal_toIiEEEE10hipError_tPvRmT2_T3_mT4_T5_T6_T7_T8_P12ihipStream_tbENKUlT_T0_E_clISt17integral_constantIbLb1EES12_IbLb0EEEEDaSY_SZ_EUlSY_E_NS1_11comp_targetILNS1_3genE3ELNS1_11target_archE908ELNS1_3gpuE7ELNS1_3repE0EEENS1_30default_config_static_selectorELNS0_4arch9wavefront6targetE0EEEvT1_
		.amdhsa_group_segment_fixed_size 0
		.amdhsa_private_segment_fixed_size 0
		.amdhsa_kernarg_size 120
		.amdhsa_user_sgpr_count 15
		.amdhsa_user_sgpr_dispatch_ptr 0
		.amdhsa_user_sgpr_queue_ptr 0
		.amdhsa_user_sgpr_kernarg_segment_ptr 1
		.amdhsa_user_sgpr_dispatch_id 0
		.amdhsa_user_sgpr_private_segment_size 0
		.amdhsa_wavefront_size32 1
		.amdhsa_uses_dynamic_stack 0
		.amdhsa_enable_private_segment 0
		.amdhsa_system_sgpr_workgroup_id_x 1
		.amdhsa_system_sgpr_workgroup_id_y 0
		.amdhsa_system_sgpr_workgroup_id_z 0
		.amdhsa_system_sgpr_workgroup_info 0
		.amdhsa_system_vgpr_workitem_id 0
		.amdhsa_next_free_vgpr 1
		.amdhsa_next_free_sgpr 1
		.amdhsa_reserve_vcc 0
		.amdhsa_float_round_mode_32 0
		.amdhsa_float_round_mode_16_64 0
		.amdhsa_float_denorm_mode_32 3
		.amdhsa_float_denorm_mode_16_64 3
		.amdhsa_dx10_clamp 1
		.amdhsa_ieee_mode 1
		.amdhsa_fp16_overflow 0
		.amdhsa_workgroup_processor_mode 1
		.amdhsa_memory_ordered 1
		.amdhsa_forward_progress 0
		.amdhsa_shared_vgpr_count 0
		.amdhsa_exception_fp_ieee_invalid_op 0
		.amdhsa_exception_fp_denorm_src 0
		.amdhsa_exception_fp_ieee_div_zero 0
		.amdhsa_exception_fp_ieee_overflow 0
		.amdhsa_exception_fp_ieee_underflow 0
		.amdhsa_exception_fp_ieee_inexact 0
		.amdhsa_exception_int_div_zero 0
	.end_amdhsa_kernel
	.section	.text._ZN7rocprim17ROCPRIM_400000_NS6detail17trampoline_kernelINS0_14default_configENS1_29reduce_by_key_config_selectorIijN6thrust23THRUST_200600_302600_NS4plusIjEEEEZZNS1_33reduce_by_key_impl_wrapped_configILNS1_25lookback_scan_determinismE0ES3_S9_NS6_6detail15normal_iteratorINS6_10device_ptrIiEEEENSD_INSE_IjEEEESG_SI_PmS8_NS6_8equal_toIiEEEE10hipError_tPvRmT2_T3_mT4_T5_T6_T7_T8_P12ihipStream_tbENKUlT_T0_E_clISt17integral_constantIbLb1EES12_IbLb0EEEEDaSY_SZ_EUlSY_E_NS1_11comp_targetILNS1_3genE3ELNS1_11target_archE908ELNS1_3gpuE7ELNS1_3repE0EEENS1_30default_config_static_selectorELNS0_4arch9wavefront6targetE0EEEvT1_,"axG",@progbits,_ZN7rocprim17ROCPRIM_400000_NS6detail17trampoline_kernelINS0_14default_configENS1_29reduce_by_key_config_selectorIijN6thrust23THRUST_200600_302600_NS4plusIjEEEEZZNS1_33reduce_by_key_impl_wrapped_configILNS1_25lookback_scan_determinismE0ES3_S9_NS6_6detail15normal_iteratorINS6_10device_ptrIiEEEENSD_INSE_IjEEEESG_SI_PmS8_NS6_8equal_toIiEEEE10hipError_tPvRmT2_T3_mT4_T5_T6_T7_T8_P12ihipStream_tbENKUlT_T0_E_clISt17integral_constantIbLb1EES12_IbLb0EEEEDaSY_SZ_EUlSY_E_NS1_11comp_targetILNS1_3genE3ELNS1_11target_archE908ELNS1_3gpuE7ELNS1_3repE0EEENS1_30default_config_static_selectorELNS0_4arch9wavefront6targetE0EEEvT1_,comdat
.Lfunc_end826:
	.size	_ZN7rocprim17ROCPRIM_400000_NS6detail17trampoline_kernelINS0_14default_configENS1_29reduce_by_key_config_selectorIijN6thrust23THRUST_200600_302600_NS4plusIjEEEEZZNS1_33reduce_by_key_impl_wrapped_configILNS1_25lookback_scan_determinismE0ES3_S9_NS6_6detail15normal_iteratorINS6_10device_ptrIiEEEENSD_INSE_IjEEEESG_SI_PmS8_NS6_8equal_toIiEEEE10hipError_tPvRmT2_T3_mT4_T5_T6_T7_T8_P12ihipStream_tbENKUlT_T0_E_clISt17integral_constantIbLb1EES12_IbLb0EEEEDaSY_SZ_EUlSY_E_NS1_11comp_targetILNS1_3genE3ELNS1_11target_archE908ELNS1_3gpuE7ELNS1_3repE0EEENS1_30default_config_static_selectorELNS0_4arch9wavefront6targetE0EEEvT1_, .Lfunc_end826-_ZN7rocprim17ROCPRIM_400000_NS6detail17trampoline_kernelINS0_14default_configENS1_29reduce_by_key_config_selectorIijN6thrust23THRUST_200600_302600_NS4plusIjEEEEZZNS1_33reduce_by_key_impl_wrapped_configILNS1_25lookback_scan_determinismE0ES3_S9_NS6_6detail15normal_iteratorINS6_10device_ptrIiEEEENSD_INSE_IjEEEESG_SI_PmS8_NS6_8equal_toIiEEEE10hipError_tPvRmT2_T3_mT4_T5_T6_T7_T8_P12ihipStream_tbENKUlT_T0_E_clISt17integral_constantIbLb1EES12_IbLb0EEEEDaSY_SZ_EUlSY_E_NS1_11comp_targetILNS1_3genE3ELNS1_11target_archE908ELNS1_3gpuE7ELNS1_3repE0EEENS1_30default_config_static_selectorELNS0_4arch9wavefront6targetE0EEEvT1_
                                        ; -- End function
	.section	.AMDGPU.csdata,"",@progbits
; Kernel info:
; codeLenInByte = 0
; NumSgprs: 0
; NumVgprs: 0
; ScratchSize: 0
; MemoryBound: 0
; FloatMode: 240
; IeeeMode: 1
; LDSByteSize: 0 bytes/workgroup (compile time only)
; SGPRBlocks: 0
; VGPRBlocks: 0
; NumSGPRsForWavesPerEU: 1
; NumVGPRsForWavesPerEU: 1
; Occupancy: 16
; WaveLimiterHint : 0
; COMPUTE_PGM_RSRC2:SCRATCH_EN: 0
; COMPUTE_PGM_RSRC2:USER_SGPR: 15
; COMPUTE_PGM_RSRC2:TRAP_HANDLER: 0
; COMPUTE_PGM_RSRC2:TGID_X_EN: 1
; COMPUTE_PGM_RSRC2:TGID_Y_EN: 0
; COMPUTE_PGM_RSRC2:TGID_Z_EN: 0
; COMPUTE_PGM_RSRC2:TIDIG_COMP_CNT: 0
	.section	.text._ZN7rocprim17ROCPRIM_400000_NS6detail17trampoline_kernelINS0_14default_configENS1_29reduce_by_key_config_selectorIijN6thrust23THRUST_200600_302600_NS4plusIjEEEEZZNS1_33reduce_by_key_impl_wrapped_configILNS1_25lookback_scan_determinismE0ES3_S9_NS6_6detail15normal_iteratorINS6_10device_ptrIiEEEENSD_INSE_IjEEEESG_SI_PmS8_NS6_8equal_toIiEEEE10hipError_tPvRmT2_T3_mT4_T5_T6_T7_T8_P12ihipStream_tbENKUlT_T0_E_clISt17integral_constantIbLb1EES12_IbLb0EEEEDaSY_SZ_EUlSY_E_NS1_11comp_targetILNS1_3genE2ELNS1_11target_archE906ELNS1_3gpuE6ELNS1_3repE0EEENS1_30default_config_static_selectorELNS0_4arch9wavefront6targetE0EEEvT1_,"axG",@progbits,_ZN7rocprim17ROCPRIM_400000_NS6detail17trampoline_kernelINS0_14default_configENS1_29reduce_by_key_config_selectorIijN6thrust23THRUST_200600_302600_NS4plusIjEEEEZZNS1_33reduce_by_key_impl_wrapped_configILNS1_25lookback_scan_determinismE0ES3_S9_NS6_6detail15normal_iteratorINS6_10device_ptrIiEEEENSD_INSE_IjEEEESG_SI_PmS8_NS6_8equal_toIiEEEE10hipError_tPvRmT2_T3_mT4_T5_T6_T7_T8_P12ihipStream_tbENKUlT_T0_E_clISt17integral_constantIbLb1EES12_IbLb0EEEEDaSY_SZ_EUlSY_E_NS1_11comp_targetILNS1_3genE2ELNS1_11target_archE906ELNS1_3gpuE6ELNS1_3repE0EEENS1_30default_config_static_selectorELNS0_4arch9wavefront6targetE0EEEvT1_,comdat
	.protected	_ZN7rocprim17ROCPRIM_400000_NS6detail17trampoline_kernelINS0_14default_configENS1_29reduce_by_key_config_selectorIijN6thrust23THRUST_200600_302600_NS4plusIjEEEEZZNS1_33reduce_by_key_impl_wrapped_configILNS1_25lookback_scan_determinismE0ES3_S9_NS6_6detail15normal_iteratorINS6_10device_ptrIiEEEENSD_INSE_IjEEEESG_SI_PmS8_NS6_8equal_toIiEEEE10hipError_tPvRmT2_T3_mT4_T5_T6_T7_T8_P12ihipStream_tbENKUlT_T0_E_clISt17integral_constantIbLb1EES12_IbLb0EEEEDaSY_SZ_EUlSY_E_NS1_11comp_targetILNS1_3genE2ELNS1_11target_archE906ELNS1_3gpuE6ELNS1_3repE0EEENS1_30default_config_static_selectorELNS0_4arch9wavefront6targetE0EEEvT1_ ; -- Begin function _ZN7rocprim17ROCPRIM_400000_NS6detail17trampoline_kernelINS0_14default_configENS1_29reduce_by_key_config_selectorIijN6thrust23THRUST_200600_302600_NS4plusIjEEEEZZNS1_33reduce_by_key_impl_wrapped_configILNS1_25lookback_scan_determinismE0ES3_S9_NS6_6detail15normal_iteratorINS6_10device_ptrIiEEEENSD_INSE_IjEEEESG_SI_PmS8_NS6_8equal_toIiEEEE10hipError_tPvRmT2_T3_mT4_T5_T6_T7_T8_P12ihipStream_tbENKUlT_T0_E_clISt17integral_constantIbLb1EES12_IbLb0EEEEDaSY_SZ_EUlSY_E_NS1_11comp_targetILNS1_3genE2ELNS1_11target_archE906ELNS1_3gpuE6ELNS1_3repE0EEENS1_30default_config_static_selectorELNS0_4arch9wavefront6targetE0EEEvT1_
	.globl	_ZN7rocprim17ROCPRIM_400000_NS6detail17trampoline_kernelINS0_14default_configENS1_29reduce_by_key_config_selectorIijN6thrust23THRUST_200600_302600_NS4plusIjEEEEZZNS1_33reduce_by_key_impl_wrapped_configILNS1_25lookback_scan_determinismE0ES3_S9_NS6_6detail15normal_iteratorINS6_10device_ptrIiEEEENSD_INSE_IjEEEESG_SI_PmS8_NS6_8equal_toIiEEEE10hipError_tPvRmT2_T3_mT4_T5_T6_T7_T8_P12ihipStream_tbENKUlT_T0_E_clISt17integral_constantIbLb1EES12_IbLb0EEEEDaSY_SZ_EUlSY_E_NS1_11comp_targetILNS1_3genE2ELNS1_11target_archE906ELNS1_3gpuE6ELNS1_3repE0EEENS1_30default_config_static_selectorELNS0_4arch9wavefront6targetE0EEEvT1_
	.p2align	8
	.type	_ZN7rocprim17ROCPRIM_400000_NS6detail17trampoline_kernelINS0_14default_configENS1_29reduce_by_key_config_selectorIijN6thrust23THRUST_200600_302600_NS4plusIjEEEEZZNS1_33reduce_by_key_impl_wrapped_configILNS1_25lookback_scan_determinismE0ES3_S9_NS6_6detail15normal_iteratorINS6_10device_ptrIiEEEENSD_INSE_IjEEEESG_SI_PmS8_NS6_8equal_toIiEEEE10hipError_tPvRmT2_T3_mT4_T5_T6_T7_T8_P12ihipStream_tbENKUlT_T0_E_clISt17integral_constantIbLb1EES12_IbLb0EEEEDaSY_SZ_EUlSY_E_NS1_11comp_targetILNS1_3genE2ELNS1_11target_archE906ELNS1_3gpuE6ELNS1_3repE0EEENS1_30default_config_static_selectorELNS0_4arch9wavefront6targetE0EEEvT1_,@function
_ZN7rocprim17ROCPRIM_400000_NS6detail17trampoline_kernelINS0_14default_configENS1_29reduce_by_key_config_selectorIijN6thrust23THRUST_200600_302600_NS4plusIjEEEEZZNS1_33reduce_by_key_impl_wrapped_configILNS1_25lookback_scan_determinismE0ES3_S9_NS6_6detail15normal_iteratorINS6_10device_ptrIiEEEENSD_INSE_IjEEEESG_SI_PmS8_NS6_8equal_toIiEEEE10hipError_tPvRmT2_T3_mT4_T5_T6_T7_T8_P12ihipStream_tbENKUlT_T0_E_clISt17integral_constantIbLb1EES12_IbLb0EEEEDaSY_SZ_EUlSY_E_NS1_11comp_targetILNS1_3genE2ELNS1_11target_archE906ELNS1_3gpuE6ELNS1_3repE0EEENS1_30default_config_static_selectorELNS0_4arch9wavefront6targetE0EEEvT1_: ; @_ZN7rocprim17ROCPRIM_400000_NS6detail17trampoline_kernelINS0_14default_configENS1_29reduce_by_key_config_selectorIijN6thrust23THRUST_200600_302600_NS4plusIjEEEEZZNS1_33reduce_by_key_impl_wrapped_configILNS1_25lookback_scan_determinismE0ES3_S9_NS6_6detail15normal_iteratorINS6_10device_ptrIiEEEENSD_INSE_IjEEEESG_SI_PmS8_NS6_8equal_toIiEEEE10hipError_tPvRmT2_T3_mT4_T5_T6_T7_T8_P12ihipStream_tbENKUlT_T0_E_clISt17integral_constantIbLb1EES12_IbLb0EEEEDaSY_SZ_EUlSY_E_NS1_11comp_targetILNS1_3genE2ELNS1_11target_archE906ELNS1_3gpuE6ELNS1_3repE0EEENS1_30default_config_static_selectorELNS0_4arch9wavefront6targetE0EEEvT1_
; %bb.0:
	.section	.rodata,"a",@progbits
	.p2align	6, 0x0
	.amdhsa_kernel _ZN7rocprim17ROCPRIM_400000_NS6detail17trampoline_kernelINS0_14default_configENS1_29reduce_by_key_config_selectorIijN6thrust23THRUST_200600_302600_NS4plusIjEEEEZZNS1_33reduce_by_key_impl_wrapped_configILNS1_25lookback_scan_determinismE0ES3_S9_NS6_6detail15normal_iteratorINS6_10device_ptrIiEEEENSD_INSE_IjEEEESG_SI_PmS8_NS6_8equal_toIiEEEE10hipError_tPvRmT2_T3_mT4_T5_T6_T7_T8_P12ihipStream_tbENKUlT_T0_E_clISt17integral_constantIbLb1EES12_IbLb0EEEEDaSY_SZ_EUlSY_E_NS1_11comp_targetILNS1_3genE2ELNS1_11target_archE906ELNS1_3gpuE6ELNS1_3repE0EEENS1_30default_config_static_selectorELNS0_4arch9wavefront6targetE0EEEvT1_
		.amdhsa_group_segment_fixed_size 0
		.amdhsa_private_segment_fixed_size 0
		.amdhsa_kernarg_size 120
		.amdhsa_user_sgpr_count 15
		.amdhsa_user_sgpr_dispatch_ptr 0
		.amdhsa_user_sgpr_queue_ptr 0
		.amdhsa_user_sgpr_kernarg_segment_ptr 1
		.amdhsa_user_sgpr_dispatch_id 0
		.amdhsa_user_sgpr_private_segment_size 0
		.amdhsa_wavefront_size32 1
		.amdhsa_uses_dynamic_stack 0
		.amdhsa_enable_private_segment 0
		.amdhsa_system_sgpr_workgroup_id_x 1
		.amdhsa_system_sgpr_workgroup_id_y 0
		.amdhsa_system_sgpr_workgroup_id_z 0
		.amdhsa_system_sgpr_workgroup_info 0
		.amdhsa_system_vgpr_workitem_id 0
		.amdhsa_next_free_vgpr 1
		.amdhsa_next_free_sgpr 1
		.amdhsa_reserve_vcc 0
		.amdhsa_float_round_mode_32 0
		.amdhsa_float_round_mode_16_64 0
		.amdhsa_float_denorm_mode_32 3
		.amdhsa_float_denorm_mode_16_64 3
		.amdhsa_dx10_clamp 1
		.amdhsa_ieee_mode 1
		.amdhsa_fp16_overflow 0
		.amdhsa_workgroup_processor_mode 1
		.amdhsa_memory_ordered 1
		.amdhsa_forward_progress 0
		.amdhsa_shared_vgpr_count 0
		.amdhsa_exception_fp_ieee_invalid_op 0
		.amdhsa_exception_fp_denorm_src 0
		.amdhsa_exception_fp_ieee_div_zero 0
		.amdhsa_exception_fp_ieee_overflow 0
		.amdhsa_exception_fp_ieee_underflow 0
		.amdhsa_exception_fp_ieee_inexact 0
		.amdhsa_exception_int_div_zero 0
	.end_amdhsa_kernel
	.section	.text._ZN7rocprim17ROCPRIM_400000_NS6detail17trampoline_kernelINS0_14default_configENS1_29reduce_by_key_config_selectorIijN6thrust23THRUST_200600_302600_NS4plusIjEEEEZZNS1_33reduce_by_key_impl_wrapped_configILNS1_25lookback_scan_determinismE0ES3_S9_NS6_6detail15normal_iteratorINS6_10device_ptrIiEEEENSD_INSE_IjEEEESG_SI_PmS8_NS6_8equal_toIiEEEE10hipError_tPvRmT2_T3_mT4_T5_T6_T7_T8_P12ihipStream_tbENKUlT_T0_E_clISt17integral_constantIbLb1EES12_IbLb0EEEEDaSY_SZ_EUlSY_E_NS1_11comp_targetILNS1_3genE2ELNS1_11target_archE906ELNS1_3gpuE6ELNS1_3repE0EEENS1_30default_config_static_selectorELNS0_4arch9wavefront6targetE0EEEvT1_,"axG",@progbits,_ZN7rocprim17ROCPRIM_400000_NS6detail17trampoline_kernelINS0_14default_configENS1_29reduce_by_key_config_selectorIijN6thrust23THRUST_200600_302600_NS4plusIjEEEEZZNS1_33reduce_by_key_impl_wrapped_configILNS1_25lookback_scan_determinismE0ES3_S9_NS6_6detail15normal_iteratorINS6_10device_ptrIiEEEENSD_INSE_IjEEEESG_SI_PmS8_NS6_8equal_toIiEEEE10hipError_tPvRmT2_T3_mT4_T5_T6_T7_T8_P12ihipStream_tbENKUlT_T0_E_clISt17integral_constantIbLb1EES12_IbLb0EEEEDaSY_SZ_EUlSY_E_NS1_11comp_targetILNS1_3genE2ELNS1_11target_archE906ELNS1_3gpuE6ELNS1_3repE0EEENS1_30default_config_static_selectorELNS0_4arch9wavefront6targetE0EEEvT1_,comdat
.Lfunc_end827:
	.size	_ZN7rocprim17ROCPRIM_400000_NS6detail17trampoline_kernelINS0_14default_configENS1_29reduce_by_key_config_selectorIijN6thrust23THRUST_200600_302600_NS4plusIjEEEEZZNS1_33reduce_by_key_impl_wrapped_configILNS1_25lookback_scan_determinismE0ES3_S9_NS6_6detail15normal_iteratorINS6_10device_ptrIiEEEENSD_INSE_IjEEEESG_SI_PmS8_NS6_8equal_toIiEEEE10hipError_tPvRmT2_T3_mT4_T5_T6_T7_T8_P12ihipStream_tbENKUlT_T0_E_clISt17integral_constantIbLb1EES12_IbLb0EEEEDaSY_SZ_EUlSY_E_NS1_11comp_targetILNS1_3genE2ELNS1_11target_archE906ELNS1_3gpuE6ELNS1_3repE0EEENS1_30default_config_static_selectorELNS0_4arch9wavefront6targetE0EEEvT1_, .Lfunc_end827-_ZN7rocprim17ROCPRIM_400000_NS6detail17trampoline_kernelINS0_14default_configENS1_29reduce_by_key_config_selectorIijN6thrust23THRUST_200600_302600_NS4plusIjEEEEZZNS1_33reduce_by_key_impl_wrapped_configILNS1_25lookback_scan_determinismE0ES3_S9_NS6_6detail15normal_iteratorINS6_10device_ptrIiEEEENSD_INSE_IjEEEESG_SI_PmS8_NS6_8equal_toIiEEEE10hipError_tPvRmT2_T3_mT4_T5_T6_T7_T8_P12ihipStream_tbENKUlT_T0_E_clISt17integral_constantIbLb1EES12_IbLb0EEEEDaSY_SZ_EUlSY_E_NS1_11comp_targetILNS1_3genE2ELNS1_11target_archE906ELNS1_3gpuE6ELNS1_3repE0EEENS1_30default_config_static_selectorELNS0_4arch9wavefront6targetE0EEEvT1_
                                        ; -- End function
	.section	.AMDGPU.csdata,"",@progbits
; Kernel info:
; codeLenInByte = 0
; NumSgprs: 0
; NumVgprs: 0
; ScratchSize: 0
; MemoryBound: 0
; FloatMode: 240
; IeeeMode: 1
; LDSByteSize: 0 bytes/workgroup (compile time only)
; SGPRBlocks: 0
; VGPRBlocks: 0
; NumSGPRsForWavesPerEU: 1
; NumVGPRsForWavesPerEU: 1
; Occupancy: 16
; WaveLimiterHint : 0
; COMPUTE_PGM_RSRC2:SCRATCH_EN: 0
; COMPUTE_PGM_RSRC2:USER_SGPR: 15
; COMPUTE_PGM_RSRC2:TRAP_HANDLER: 0
; COMPUTE_PGM_RSRC2:TGID_X_EN: 1
; COMPUTE_PGM_RSRC2:TGID_Y_EN: 0
; COMPUTE_PGM_RSRC2:TGID_Z_EN: 0
; COMPUTE_PGM_RSRC2:TIDIG_COMP_CNT: 0
	.section	.text._ZN7rocprim17ROCPRIM_400000_NS6detail17trampoline_kernelINS0_14default_configENS1_29reduce_by_key_config_selectorIijN6thrust23THRUST_200600_302600_NS4plusIjEEEEZZNS1_33reduce_by_key_impl_wrapped_configILNS1_25lookback_scan_determinismE0ES3_S9_NS6_6detail15normal_iteratorINS6_10device_ptrIiEEEENSD_INSE_IjEEEESG_SI_PmS8_NS6_8equal_toIiEEEE10hipError_tPvRmT2_T3_mT4_T5_T6_T7_T8_P12ihipStream_tbENKUlT_T0_E_clISt17integral_constantIbLb1EES12_IbLb0EEEEDaSY_SZ_EUlSY_E_NS1_11comp_targetILNS1_3genE10ELNS1_11target_archE1201ELNS1_3gpuE5ELNS1_3repE0EEENS1_30default_config_static_selectorELNS0_4arch9wavefront6targetE0EEEvT1_,"axG",@progbits,_ZN7rocprim17ROCPRIM_400000_NS6detail17trampoline_kernelINS0_14default_configENS1_29reduce_by_key_config_selectorIijN6thrust23THRUST_200600_302600_NS4plusIjEEEEZZNS1_33reduce_by_key_impl_wrapped_configILNS1_25lookback_scan_determinismE0ES3_S9_NS6_6detail15normal_iteratorINS6_10device_ptrIiEEEENSD_INSE_IjEEEESG_SI_PmS8_NS6_8equal_toIiEEEE10hipError_tPvRmT2_T3_mT4_T5_T6_T7_T8_P12ihipStream_tbENKUlT_T0_E_clISt17integral_constantIbLb1EES12_IbLb0EEEEDaSY_SZ_EUlSY_E_NS1_11comp_targetILNS1_3genE10ELNS1_11target_archE1201ELNS1_3gpuE5ELNS1_3repE0EEENS1_30default_config_static_selectorELNS0_4arch9wavefront6targetE0EEEvT1_,comdat
	.protected	_ZN7rocprim17ROCPRIM_400000_NS6detail17trampoline_kernelINS0_14default_configENS1_29reduce_by_key_config_selectorIijN6thrust23THRUST_200600_302600_NS4plusIjEEEEZZNS1_33reduce_by_key_impl_wrapped_configILNS1_25lookback_scan_determinismE0ES3_S9_NS6_6detail15normal_iteratorINS6_10device_ptrIiEEEENSD_INSE_IjEEEESG_SI_PmS8_NS6_8equal_toIiEEEE10hipError_tPvRmT2_T3_mT4_T5_T6_T7_T8_P12ihipStream_tbENKUlT_T0_E_clISt17integral_constantIbLb1EES12_IbLb0EEEEDaSY_SZ_EUlSY_E_NS1_11comp_targetILNS1_3genE10ELNS1_11target_archE1201ELNS1_3gpuE5ELNS1_3repE0EEENS1_30default_config_static_selectorELNS0_4arch9wavefront6targetE0EEEvT1_ ; -- Begin function _ZN7rocprim17ROCPRIM_400000_NS6detail17trampoline_kernelINS0_14default_configENS1_29reduce_by_key_config_selectorIijN6thrust23THRUST_200600_302600_NS4plusIjEEEEZZNS1_33reduce_by_key_impl_wrapped_configILNS1_25lookback_scan_determinismE0ES3_S9_NS6_6detail15normal_iteratorINS6_10device_ptrIiEEEENSD_INSE_IjEEEESG_SI_PmS8_NS6_8equal_toIiEEEE10hipError_tPvRmT2_T3_mT4_T5_T6_T7_T8_P12ihipStream_tbENKUlT_T0_E_clISt17integral_constantIbLb1EES12_IbLb0EEEEDaSY_SZ_EUlSY_E_NS1_11comp_targetILNS1_3genE10ELNS1_11target_archE1201ELNS1_3gpuE5ELNS1_3repE0EEENS1_30default_config_static_selectorELNS0_4arch9wavefront6targetE0EEEvT1_
	.globl	_ZN7rocprim17ROCPRIM_400000_NS6detail17trampoline_kernelINS0_14default_configENS1_29reduce_by_key_config_selectorIijN6thrust23THRUST_200600_302600_NS4plusIjEEEEZZNS1_33reduce_by_key_impl_wrapped_configILNS1_25lookback_scan_determinismE0ES3_S9_NS6_6detail15normal_iteratorINS6_10device_ptrIiEEEENSD_INSE_IjEEEESG_SI_PmS8_NS6_8equal_toIiEEEE10hipError_tPvRmT2_T3_mT4_T5_T6_T7_T8_P12ihipStream_tbENKUlT_T0_E_clISt17integral_constantIbLb1EES12_IbLb0EEEEDaSY_SZ_EUlSY_E_NS1_11comp_targetILNS1_3genE10ELNS1_11target_archE1201ELNS1_3gpuE5ELNS1_3repE0EEENS1_30default_config_static_selectorELNS0_4arch9wavefront6targetE0EEEvT1_
	.p2align	8
	.type	_ZN7rocprim17ROCPRIM_400000_NS6detail17trampoline_kernelINS0_14default_configENS1_29reduce_by_key_config_selectorIijN6thrust23THRUST_200600_302600_NS4plusIjEEEEZZNS1_33reduce_by_key_impl_wrapped_configILNS1_25lookback_scan_determinismE0ES3_S9_NS6_6detail15normal_iteratorINS6_10device_ptrIiEEEENSD_INSE_IjEEEESG_SI_PmS8_NS6_8equal_toIiEEEE10hipError_tPvRmT2_T3_mT4_T5_T6_T7_T8_P12ihipStream_tbENKUlT_T0_E_clISt17integral_constantIbLb1EES12_IbLb0EEEEDaSY_SZ_EUlSY_E_NS1_11comp_targetILNS1_3genE10ELNS1_11target_archE1201ELNS1_3gpuE5ELNS1_3repE0EEENS1_30default_config_static_selectorELNS0_4arch9wavefront6targetE0EEEvT1_,@function
_ZN7rocprim17ROCPRIM_400000_NS6detail17trampoline_kernelINS0_14default_configENS1_29reduce_by_key_config_selectorIijN6thrust23THRUST_200600_302600_NS4plusIjEEEEZZNS1_33reduce_by_key_impl_wrapped_configILNS1_25lookback_scan_determinismE0ES3_S9_NS6_6detail15normal_iteratorINS6_10device_ptrIiEEEENSD_INSE_IjEEEESG_SI_PmS8_NS6_8equal_toIiEEEE10hipError_tPvRmT2_T3_mT4_T5_T6_T7_T8_P12ihipStream_tbENKUlT_T0_E_clISt17integral_constantIbLb1EES12_IbLb0EEEEDaSY_SZ_EUlSY_E_NS1_11comp_targetILNS1_3genE10ELNS1_11target_archE1201ELNS1_3gpuE5ELNS1_3repE0EEENS1_30default_config_static_selectorELNS0_4arch9wavefront6targetE0EEEvT1_: ; @_ZN7rocprim17ROCPRIM_400000_NS6detail17trampoline_kernelINS0_14default_configENS1_29reduce_by_key_config_selectorIijN6thrust23THRUST_200600_302600_NS4plusIjEEEEZZNS1_33reduce_by_key_impl_wrapped_configILNS1_25lookback_scan_determinismE0ES3_S9_NS6_6detail15normal_iteratorINS6_10device_ptrIiEEEENSD_INSE_IjEEEESG_SI_PmS8_NS6_8equal_toIiEEEE10hipError_tPvRmT2_T3_mT4_T5_T6_T7_T8_P12ihipStream_tbENKUlT_T0_E_clISt17integral_constantIbLb1EES12_IbLb0EEEEDaSY_SZ_EUlSY_E_NS1_11comp_targetILNS1_3genE10ELNS1_11target_archE1201ELNS1_3gpuE5ELNS1_3repE0EEENS1_30default_config_static_selectorELNS0_4arch9wavefront6targetE0EEEvT1_
; %bb.0:
	.section	.rodata,"a",@progbits
	.p2align	6, 0x0
	.amdhsa_kernel _ZN7rocprim17ROCPRIM_400000_NS6detail17trampoline_kernelINS0_14default_configENS1_29reduce_by_key_config_selectorIijN6thrust23THRUST_200600_302600_NS4plusIjEEEEZZNS1_33reduce_by_key_impl_wrapped_configILNS1_25lookback_scan_determinismE0ES3_S9_NS6_6detail15normal_iteratorINS6_10device_ptrIiEEEENSD_INSE_IjEEEESG_SI_PmS8_NS6_8equal_toIiEEEE10hipError_tPvRmT2_T3_mT4_T5_T6_T7_T8_P12ihipStream_tbENKUlT_T0_E_clISt17integral_constantIbLb1EES12_IbLb0EEEEDaSY_SZ_EUlSY_E_NS1_11comp_targetILNS1_3genE10ELNS1_11target_archE1201ELNS1_3gpuE5ELNS1_3repE0EEENS1_30default_config_static_selectorELNS0_4arch9wavefront6targetE0EEEvT1_
		.amdhsa_group_segment_fixed_size 0
		.amdhsa_private_segment_fixed_size 0
		.amdhsa_kernarg_size 120
		.amdhsa_user_sgpr_count 15
		.amdhsa_user_sgpr_dispatch_ptr 0
		.amdhsa_user_sgpr_queue_ptr 0
		.amdhsa_user_sgpr_kernarg_segment_ptr 1
		.amdhsa_user_sgpr_dispatch_id 0
		.amdhsa_user_sgpr_private_segment_size 0
		.amdhsa_wavefront_size32 1
		.amdhsa_uses_dynamic_stack 0
		.amdhsa_enable_private_segment 0
		.amdhsa_system_sgpr_workgroup_id_x 1
		.amdhsa_system_sgpr_workgroup_id_y 0
		.amdhsa_system_sgpr_workgroup_id_z 0
		.amdhsa_system_sgpr_workgroup_info 0
		.amdhsa_system_vgpr_workitem_id 0
		.amdhsa_next_free_vgpr 1
		.amdhsa_next_free_sgpr 1
		.amdhsa_reserve_vcc 0
		.amdhsa_float_round_mode_32 0
		.amdhsa_float_round_mode_16_64 0
		.amdhsa_float_denorm_mode_32 3
		.amdhsa_float_denorm_mode_16_64 3
		.amdhsa_dx10_clamp 1
		.amdhsa_ieee_mode 1
		.amdhsa_fp16_overflow 0
		.amdhsa_workgroup_processor_mode 1
		.amdhsa_memory_ordered 1
		.amdhsa_forward_progress 0
		.amdhsa_shared_vgpr_count 0
		.amdhsa_exception_fp_ieee_invalid_op 0
		.amdhsa_exception_fp_denorm_src 0
		.amdhsa_exception_fp_ieee_div_zero 0
		.amdhsa_exception_fp_ieee_overflow 0
		.amdhsa_exception_fp_ieee_underflow 0
		.amdhsa_exception_fp_ieee_inexact 0
		.amdhsa_exception_int_div_zero 0
	.end_amdhsa_kernel
	.section	.text._ZN7rocprim17ROCPRIM_400000_NS6detail17trampoline_kernelINS0_14default_configENS1_29reduce_by_key_config_selectorIijN6thrust23THRUST_200600_302600_NS4plusIjEEEEZZNS1_33reduce_by_key_impl_wrapped_configILNS1_25lookback_scan_determinismE0ES3_S9_NS6_6detail15normal_iteratorINS6_10device_ptrIiEEEENSD_INSE_IjEEEESG_SI_PmS8_NS6_8equal_toIiEEEE10hipError_tPvRmT2_T3_mT4_T5_T6_T7_T8_P12ihipStream_tbENKUlT_T0_E_clISt17integral_constantIbLb1EES12_IbLb0EEEEDaSY_SZ_EUlSY_E_NS1_11comp_targetILNS1_3genE10ELNS1_11target_archE1201ELNS1_3gpuE5ELNS1_3repE0EEENS1_30default_config_static_selectorELNS0_4arch9wavefront6targetE0EEEvT1_,"axG",@progbits,_ZN7rocprim17ROCPRIM_400000_NS6detail17trampoline_kernelINS0_14default_configENS1_29reduce_by_key_config_selectorIijN6thrust23THRUST_200600_302600_NS4plusIjEEEEZZNS1_33reduce_by_key_impl_wrapped_configILNS1_25lookback_scan_determinismE0ES3_S9_NS6_6detail15normal_iteratorINS6_10device_ptrIiEEEENSD_INSE_IjEEEESG_SI_PmS8_NS6_8equal_toIiEEEE10hipError_tPvRmT2_T3_mT4_T5_T6_T7_T8_P12ihipStream_tbENKUlT_T0_E_clISt17integral_constantIbLb1EES12_IbLb0EEEEDaSY_SZ_EUlSY_E_NS1_11comp_targetILNS1_3genE10ELNS1_11target_archE1201ELNS1_3gpuE5ELNS1_3repE0EEENS1_30default_config_static_selectorELNS0_4arch9wavefront6targetE0EEEvT1_,comdat
.Lfunc_end828:
	.size	_ZN7rocprim17ROCPRIM_400000_NS6detail17trampoline_kernelINS0_14default_configENS1_29reduce_by_key_config_selectorIijN6thrust23THRUST_200600_302600_NS4plusIjEEEEZZNS1_33reduce_by_key_impl_wrapped_configILNS1_25lookback_scan_determinismE0ES3_S9_NS6_6detail15normal_iteratorINS6_10device_ptrIiEEEENSD_INSE_IjEEEESG_SI_PmS8_NS6_8equal_toIiEEEE10hipError_tPvRmT2_T3_mT4_T5_T6_T7_T8_P12ihipStream_tbENKUlT_T0_E_clISt17integral_constantIbLb1EES12_IbLb0EEEEDaSY_SZ_EUlSY_E_NS1_11comp_targetILNS1_3genE10ELNS1_11target_archE1201ELNS1_3gpuE5ELNS1_3repE0EEENS1_30default_config_static_selectorELNS0_4arch9wavefront6targetE0EEEvT1_, .Lfunc_end828-_ZN7rocprim17ROCPRIM_400000_NS6detail17trampoline_kernelINS0_14default_configENS1_29reduce_by_key_config_selectorIijN6thrust23THRUST_200600_302600_NS4plusIjEEEEZZNS1_33reduce_by_key_impl_wrapped_configILNS1_25lookback_scan_determinismE0ES3_S9_NS6_6detail15normal_iteratorINS6_10device_ptrIiEEEENSD_INSE_IjEEEESG_SI_PmS8_NS6_8equal_toIiEEEE10hipError_tPvRmT2_T3_mT4_T5_T6_T7_T8_P12ihipStream_tbENKUlT_T0_E_clISt17integral_constantIbLb1EES12_IbLb0EEEEDaSY_SZ_EUlSY_E_NS1_11comp_targetILNS1_3genE10ELNS1_11target_archE1201ELNS1_3gpuE5ELNS1_3repE0EEENS1_30default_config_static_selectorELNS0_4arch9wavefront6targetE0EEEvT1_
                                        ; -- End function
	.section	.AMDGPU.csdata,"",@progbits
; Kernel info:
; codeLenInByte = 0
; NumSgprs: 0
; NumVgprs: 0
; ScratchSize: 0
; MemoryBound: 0
; FloatMode: 240
; IeeeMode: 1
; LDSByteSize: 0 bytes/workgroup (compile time only)
; SGPRBlocks: 0
; VGPRBlocks: 0
; NumSGPRsForWavesPerEU: 1
; NumVGPRsForWavesPerEU: 1
; Occupancy: 16
; WaveLimiterHint : 0
; COMPUTE_PGM_RSRC2:SCRATCH_EN: 0
; COMPUTE_PGM_RSRC2:USER_SGPR: 15
; COMPUTE_PGM_RSRC2:TRAP_HANDLER: 0
; COMPUTE_PGM_RSRC2:TGID_X_EN: 1
; COMPUTE_PGM_RSRC2:TGID_Y_EN: 0
; COMPUTE_PGM_RSRC2:TGID_Z_EN: 0
; COMPUTE_PGM_RSRC2:TIDIG_COMP_CNT: 0
	.section	.text._ZN7rocprim17ROCPRIM_400000_NS6detail17trampoline_kernelINS0_14default_configENS1_29reduce_by_key_config_selectorIijN6thrust23THRUST_200600_302600_NS4plusIjEEEEZZNS1_33reduce_by_key_impl_wrapped_configILNS1_25lookback_scan_determinismE0ES3_S9_NS6_6detail15normal_iteratorINS6_10device_ptrIiEEEENSD_INSE_IjEEEESG_SI_PmS8_NS6_8equal_toIiEEEE10hipError_tPvRmT2_T3_mT4_T5_T6_T7_T8_P12ihipStream_tbENKUlT_T0_E_clISt17integral_constantIbLb1EES12_IbLb0EEEEDaSY_SZ_EUlSY_E_NS1_11comp_targetILNS1_3genE10ELNS1_11target_archE1200ELNS1_3gpuE4ELNS1_3repE0EEENS1_30default_config_static_selectorELNS0_4arch9wavefront6targetE0EEEvT1_,"axG",@progbits,_ZN7rocprim17ROCPRIM_400000_NS6detail17trampoline_kernelINS0_14default_configENS1_29reduce_by_key_config_selectorIijN6thrust23THRUST_200600_302600_NS4plusIjEEEEZZNS1_33reduce_by_key_impl_wrapped_configILNS1_25lookback_scan_determinismE0ES3_S9_NS6_6detail15normal_iteratorINS6_10device_ptrIiEEEENSD_INSE_IjEEEESG_SI_PmS8_NS6_8equal_toIiEEEE10hipError_tPvRmT2_T3_mT4_T5_T6_T7_T8_P12ihipStream_tbENKUlT_T0_E_clISt17integral_constantIbLb1EES12_IbLb0EEEEDaSY_SZ_EUlSY_E_NS1_11comp_targetILNS1_3genE10ELNS1_11target_archE1200ELNS1_3gpuE4ELNS1_3repE0EEENS1_30default_config_static_selectorELNS0_4arch9wavefront6targetE0EEEvT1_,comdat
	.protected	_ZN7rocprim17ROCPRIM_400000_NS6detail17trampoline_kernelINS0_14default_configENS1_29reduce_by_key_config_selectorIijN6thrust23THRUST_200600_302600_NS4plusIjEEEEZZNS1_33reduce_by_key_impl_wrapped_configILNS1_25lookback_scan_determinismE0ES3_S9_NS6_6detail15normal_iteratorINS6_10device_ptrIiEEEENSD_INSE_IjEEEESG_SI_PmS8_NS6_8equal_toIiEEEE10hipError_tPvRmT2_T3_mT4_T5_T6_T7_T8_P12ihipStream_tbENKUlT_T0_E_clISt17integral_constantIbLb1EES12_IbLb0EEEEDaSY_SZ_EUlSY_E_NS1_11comp_targetILNS1_3genE10ELNS1_11target_archE1200ELNS1_3gpuE4ELNS1_3repE0EEENS1_30default_config_static_selectorELNS0_4arch9wavefront6targetE0EEEvT1_ ; -- Begin function _ZN7rocprim17ROCPRIM_400000_NS6detail17trampoline_kernelINS0_14default_configENS1_29reduce_by_key_config_selectorIijN6thrust23THRUST_200600_302600_NS4plusIjEEEEZZNS1_33reduce_by_key_impl_wrapped_configILNS1_25lookback_scan_determinismE0ES3_S9_NS6_6detail15normal_iteratorINS6_10device_ptrIiEEEENSD_INSE_IjEEEESG_SI_PmS8_NS6_8equal_toIiEEEE10hipError_tPvRmT2_T3_mT4_T5_T6_T7_T8_P12ihipStream_tbENKUlT_T0_E_clISt17integral_constantIbLb1EES12_IbLb0EEEEDaSY_SZ_EUlSY_E_NS1_11comp_targetILNS1_3genE10ELNS1_11target_archE1200ELNS1_3gpuE4ELNS1_3repE0EEENS1_30default_config_static_selectorELNS0_4arch9wavefront6targetE0EEEvT1_
	.globl	_ZN7rocprim17ROCPRIM_400000_NS6detail17trampoline_kernelINS0_14default_configENS1_29reduce_by_key_config_selectorIijN6thrust23THRUST_200600_302600_NS4plusIjEEEEZZNS1_33reduce_by_key_impl_wrapped_configILNS1_25lookback_scan_determinismE0ES3_S9_NS6_6detail15normal_iteratorINS6_10device_ptrIiEEEENSD_INSE_IjEEEESG_SI_PmS8_NS6_8equal_toIiEEEE10hipError_tPvRmT2_T3_mT4_T5_T6_T7_T8_P12ihipStream_tbENKUlT_T0_E_clISt17integral_constantIbLb1EES12_IbLb0EEEEDaSY_SZ_EUlSY_E_NS1_11comp_targetILNS1_3genE10ELNS1_11target_archE1200ELNS1_3gpuE4ELNS1_3repE0EEENS1_30default_config_static_selectorELNS0_4arch9wavefront6targetE0EEEvT1_
	.p2align	8
	.type	_ZN7rocprim17ROCPRIM_400000_NS6detail17trampoline_kernelINS0_14default_configENS1_29reduce_by_key_config_selectorIijN6thrust23THRUST_200600_302600_NS4plusIjEEEEZZNS1_33reduce_by_key_impl_wrapped_configILNS1_25lookback_scan_determinismE0ES3_S9_NS6_6detail15normal_iteratorINS6_10device_ptrIiEEEENSD_INSE_IjEEEESG_SI_PmS8_NS6_8equal_toIiEEEE10hipError_tPvRmT2_T3_mT4_T5_T6_T7_T8_P12ihipStream_tbENKUlT_T0_E_clISt17integral_constantIbLb1EES12_IbLb0EEEEDaSY_SZ_EUlSY_E_NS1_11comp_targetILNS1_3genE10ELNS1_11target_archE1200ELNS1_3gpuE4ELNS1_3repE0EEENS1_30default_config_static_selectorELNS0_4arch9wavefront6targetE0EEEvT1_,@function
_ZN7rocprim17ROCPRIM_400000_NS6detail17trampoline_kernelINS0_14default_configENS1_29reduce_by_key_config_selectorIijN6thrust23THRUST_200600_302600_NS4plusIjEEEEZZNS1_33reduce_by_key_impl_wrapped_configILNS1_25lookback_scan_determinismE0ES3_S9_NS6_6detail15normal_iteratorINS6_10device_ptrIiEEEENSD_INSE_IjEEEESG_SI_PmS8_NS6_8equal_toIiEEEE10hipError_tPvRmT2_T3_mT4_T5_T6_T7_T8_P12ihipStream_tbENKUlT_T0_E_clISt17integral_constantIbLb1EES12_IbLb0EEEEDaSY_SZ_EUlSY_E_NS1_11comp_targetILNS1_3genE10ELNS1_11target_archE1200ELNS1_3gpuE4ELNS1_3repE0EEENS1_30default_config_static_selectorELNS0_4arch9wavefront6targetE0EEEvT1_: ; @_ZN7rocprim17ROCPRIM_400000_NS6detail17trampoline_kernelINS0_14default_configENS1_29reduce_by_key_config_selectorIijN6thrust23THRUST_200600_302600_NS4plusIjEEEEZZNS1_33reduce_by_key_impl_wrapped_configILNS1_25lookback_scan_determinismE0ES3_S9_NS6_6detail15normal_iteratorINS6_10device_ptrIiEEEENSD_INSE_IjEEEESG_SI_PmS8_NS6_8equal_toIiEEEE10hipError_tPvRmT2_T3_mT4_T5_T6_T7_T8_P12ihipStream_tbENKUlT_T0_E_clISt17integral_constantIbLb1EES12_IbLb0EEEEDaSY_SZ_EUlSY_E_NS1_11comp_targetILNS1_3genE10ELNS1_11target_archE1200ELNS1_3gpuE4ELNS1_3repE0EEENS1_30default_config_static_selectorELNS0_4arch9wavefront6targetE0EEEvT1_
; %bb.0:
	.section	.rodata,"a",@progbits
	.p2align	6, 0x0
	.amdhsa_kernel _ZN7rocprim17ROCPRIM_400000_NS6detail17trampoline_kernelINS0_14default_configENS1_29reduce_by_key_config_selectorIijN6thrust23THRUST_200600_302600_NS4plusIjEEEEZZNS1_33reduce_by_key_impl_wrapped_configILNS1_25lookback_scan_determinismE0ES3_S9_NS6_6detail15normal_iteratorINS6_10device_ptrIiEEEENSD_INSE_IjEEEESG_SI_PmS8_NS6_8equal_toIiEEEE10hipError_tPvRmT2_T3_mT4_T5_T6_T7_T8_P12ihipStream_tbENKUlT_T0_E_clISt17integral_constantIbLb1EES12_IbLb0EEEEDaSY_SZ_EUlSY_E_NS1_11comp_targetILNS1_3genE10ELNS1_11target_archE1200ELNS1_3gpuE4ELNS1_3repE0EEENS1_30default_config_static_selectorELNS0_4arch9wavefront6targetE0EEEvT1_
		.amdhsa_group_segment_fixed_size 0
		.amdhsa_private_segment_fixed_size 0
		.amdhsa_kernarg_size 120
		.amdhsa_user_sgpr_count 15
		.amdhsa_user_sgpr_dispatch_ptr 0
		.amdhsa_user_sgpr_queue_ptr 0
		.amdhsa_user_sgpr_kernarg_segment_ptr 1
		.amdhsa_user_sgpr_dispatch_id 0
		.amdhsa_user_sgpr_private_segment_size 0
		.amdhsa_wavefront_size32 1
		.amdhsa_uses_dynamic_stack 0
		.amdhsa_enable_private_segment 0
		.amdhsa_system_sgpr_workgroup_id_x 1
		.amdhsa_system_sgpr_workgroup_id_y 0
		.amdhsa_system_sgpr_workgroup_id_z 0
		.amdhsa_system_sgpr_workgroup_info 0
		.amdhsa_system_vgpr_workitem_id 0
		.amdhsa_next_free_vgpr 1
		.amdhsa_next_free_sgpr 1
		.amdhsa_reserve_vcc 0
		.amdhsa_float_round_mode_32 0
		.amdhsa_float_round_mode_16_64 0
		.amdhsa_float_denorm_mode_32 3
		.amdhsa_float_denorm_mode_16_64 3
		.amdhsa_dx10_clamp 1
		.amdhsa_ieee_mode 1
		.amdhsa_fp16_overflow 0
		.amdhsa_workgroup_processor_mode 1
		.amdhsa_memory_ordered 1
		.amdhsa_forward_progress 0
		.amdhsa_shared_vgpr_count 0
		.amdhsa_exception_fp_ieee_invalid_op 0
		.amdhsa_exception_fp_denorm_src 0
		.amdhsa_exception_fp_ieee_div_zero 0
		.amdhsa_exception_fp_ieee_overflow 0
		.amdhsa_exception_fp_ieee_underflow 0
		.amdhsa_exception_fp_ieee_inexact 0
		.amdhsa_exception_int_div_zero 0
	.end_amdhsa_kernel
	.section	.text._ZN7rocprim17ROCPRIM_400000_NS6detail17trampoline_kernelINS0_14default_configENS1_29reduce_by_key_config_selectorIijN6thrust23THRUST_200600_302600_NS4plusIjEEEEZZNS1_33reduce_by_key_impl_wrapped_configILNS1_25lookback_scan_determinismE0ES3_S9_NS6_6detail15normal_iteratorINS6_10device_ptrIiEEEENSD_INSE_IjEEEESG_SI_PmS8_NS6_8equal_toIiEEEE10hipError_tPvRmT2_T3_mT4_T5_T6_T7_T8_P12ihipStream_tbENKUlT_T0_E_clISt17integral_constantIbLb1EES12_IbLb0EEEEDaSY_SZ_EUlSY_E_NS1_11comp_targetILNS1_3genE10ELNS1_11target_archE1200ELNS1_3gpuE4ELNS1_3repE0EEENS1_30default_config_static_selectorELNS0_4arch9wavefront6targetE0EEEvT1_,"axG",@progbits,_ZN7rocprim17ROCPRIM_400000_NS6detail17trampoline_kernelINS0_14default_configENS1_29reduce_by_key_config_selectorIijN6thrust23THRUST_200600_302600_NS4plusIjEEEEZZNS1_33reduce_by_key_impl_wrapped_configILNS1_25lookback_scan_determinismE0ES3_S9_NS6_6detail15normal_iteratorINS6_10device_ptrIiEEEENSD_INSE_IjEEEESG_SI_PmS8_NS6_8equal_toIiEEEE10hipError_tPvRmT2_T3_mT4_T5_T6_T7_T8_P12ihipStream_tbENKUlT_T0_E_clISt17integral_constantIbLb1EES12_IbLb0EEEEDaSY_SZ_EUlSY_E_NS1_11comp_targetILNS1_3genE10ELNS1_11target_archE1200ELNS1_3gpuE4ELNS1_3repE0EEENS1_30default_config_static_selectorELNS0_4arch9wavefront6targetE0EEEvT1_,comdat
.Lfunc_end829:
	.size	_ZN7rocprim17ROCPRIM_400000_NS6detail17trampoline_kernelINS0_14default_configENS1_29reduce_by_key_config_selectorIijN6thrust23THRUST_200600_302600_NS4plusIjEEEEZZNS1_33reduce_by_key_impl_wrapped_configILNS1_25lookback_scan_determinismE0ES3_S9_NS6_6detail15normal_iteratorINS6_10device_ptrIiEEEENSD_INSE_IjEEEESG_SI_PmS8_NS6_8equal_toIiEEEE10hipError_tPvRmT2_T3_mT4_T5_T6_T7_T8_P12ihipStream_tbENKUlT_T0_E_clISt17integral_constantIbLb1EES12_IbLb0EEEEDaSY_SZ_EUlSY_E_NS1_11comp_targetILNS1_3genE10ELNS1_11target_archE1200ELNS1_3gpuE4ELNS1_3repE0EEENS1_30default_config_static_selectorELNS0_4arch9wavefront6targetE0EEEvT1_, .Lfunc_end829-_ZN7rocprim17ROCPRIM_400000_NS6detail17trampoline_kernelINS0_14default_configENS1_29reduce_by_key_config_selectorIijN6thrust23THRUST_200600_302600_NS4plusIjEEEEZZNS1_33reduce_by_key_impl_wrapped_configILNS1_25lookback_scan_determinismE0ES3_S9_NS6_6detail15normal_iteratorINS6_10device_ptrIiEEEENSD_INSE_IjEEEESG_SI_PmS8_NS6_8equal_toIiEEEE10hipError_tPvRmT2_T3_mT4_T5_T6_T7_T8_P12ihipStream_tbENKUlT_T0_E_clISt17integral_constantIbLb1EES12_IbLb0EEEEDaSY_SZ_EUlSY_E_NS1_11comp_targetILNS1_3genE10ELNS1_11target_archE1200ELNS1_3gpuE4ELNS1_3repE0EEENS1_30default_config_static_selectorELNS0_4arch9wavefront6targetE0EEEvT1_
                                        ; -- End function
	.section	.AMDGPU.csdata,"",@progbits
; Kernel info:
; codeLenInByte = 0
; NumSgprs: 0
; NumVgprs: 0
; ScratchSize: 0
; MemoryBound: 0
; FloatMode: 240
; IeeeMode: 1
; LDSByteSize: 0 bytes/workgroup (compile time only)
; SGPRBlocks: 0
; VGPRBlocks: 0
; NumSGPRsForWavesPerEU: 1
; NumVGPRsForWavesPerEU: 1
; Occupancy: 16
; WaveLimiterHint : 0
; COMPUTE_PGM_RSRC2:SCRATCH_EN: 0
; COMPUTE_PGM_RSRC2:USER_SGPR: 15
; COMPUTE_PGM_RSRC2:TRAP_HANDLER: 0
; COMPUTE_PGM_RSRC2:TGID_X_EN: 1
; COMPUTE_PGM_RSRC2:TGID_Y_EN: 0
; COMPUTE_PGM_RSRC2:TGID_Z_EN: 0
; COMPUTE_PGM_RSRC2:TIDIG_COMP_CNT: 0
	.section	.text._ZN7rocprim17ROCPRIM_400000_NS6detail17trampoline_kernelINS0_14default_configENS1_29reduce_by_key_config_selectorIijN6thrust23THRUST_200600_302600_NS4plusIjEEEEZZNS1_33reduce_by_key_impl_wrapped_configILNS1_25lookback_scan_determinismE0ES3_S9_NS6_6detail15normal_iteratorINS6_10device_ptrIiEEEENSD_INSE_IjEEEESG_SI_PmS8_NS6_8equal_toIiEEEE10hipError_tPvRmT2_T3_mT4_T5_T6_T7_T8_P12ihipStream_tbENKUlT_T0_E_clISt17integral_constantIbLb1EES12_IbLb0EEEEDaSY_SZ_EUlSY_E_NS1_11comp_targetILNS1_3genE9ELNS1_11target_archE1100ELNS1_3gpuE3ELNS1_3repE0EEENS1_30default_config_static_selectorELNS0_4arch9wavefront6targetE0EEEvT1_,"axG",@progbits,_ZN7rocprim17ROCPRIM_400000_NS6detail17trampoline_kernelINS0_14default_configENS1_29reduce_by_key_config_selectorIijN6thrust23THRUST_200600_302600_NS4plusIjEEEEZZNS1_33reduce_by_key_impl_wrapped_configILNS1_25lookback_scan_determinismE0ES3_S9_NS6_6detail15normal_iteratorINS6_10device_ptrIiEEEENSD_INSE_IjEEEESG_SI_PmS8_NS6_8equal_toIiEEEE10hipError_tPvRmT2_T3_mT4_T5_T6_T7_T8_P12ihipStream_tbENKUlT_T0_E_clISt17integral_constantIbLb1EES12_IbLb0EEEEDaSY_SZ_EUlSY_E_NS1_11comp_targetILNS1_3genE9ELNS1_11target_archE1100ELNS1_3gpuE3ELNS1_3repE0EEENS1_30default_config_static_selectorELNS0_4arch9wavefront6targetE0EEEvT1_,comdat
	.protected	_ZN7rocprim17ROCPRIM_400000_NS6detail17trampoline_kernelINS0_14default_configENS1_29reduce_by_key_config_selectorIijN6thrust23THRUST_200600_302600_NS4plusIjEEEEZZNS1_33reduce_by_key_impl_wrapped_configILNS1_25lookback_scan_determinismE0ES3_S9_NS6_6detail15normal_iteratorINS6_10device_ptrIiEEEENSD_INSE_IjEEEESG_SI_PmS8_NS6_8equal_toIiEEEE10hipError_tPvRmT2_T3_mT4_T5_T6_T7_T8_P12ihipStream_tbENKUlT_T0_E_clISt17integral_constantIbLb1EES12_IbLb0EEEEDaSY_SZ_EUlSY_E_NS1_11comp_targetILNS1_3genE9ELNS1_11target_archE1100ELNS1_3gpuE3ELNS1_3repE0EEENS1_30default_config_static_selectorELNS0_4arch9wavefront6targetE0EEEvT1_ ; -- Begin function _ZN7rocprim17ROCPRIM_400000_NS6detail17trampoline_kernelINS0_14default_configENS1_29reduce_by_key_config_selectorIijN6thrust23THRUST_200600_302600_NS4plusIjEEEEZZNS1_33reduce_by_key_impl_wrapped_configILNS1_25lookback_scan_determinismE0ES3_S9_NS6_6detail15normal_iteratorINS6_10device_ptrIiEEEENSD_INSE_IjEEEESG_SI_PmS8_NS6_8equal_toIiEEEE10hipError_tPvRmT2_T3_mT4_T5_T6_T7_T8_P12ihipStream_tbENKUlT_T0_E_clISt17integral_constantIbLb1EES12_IbLb0EEEEDaSY_SZ_EUlSY_E_NS1_11comp_targetILNS1_3genE9ELNS1_11target_archE1100ELNS1_3gpuE3ELNS1_3repE0EEENS1_30default_config_static_selectorELNS0_4arch9wavefront6targetE0EEEvT1_
	.globl	_ZN7rocprim17ROCPRIM_400000_NS6detail17trampoline_kernelINS0_14default_configENS1_29reduce_by_key_config_selectorIijN6thrust23THRUST_200600_302600_NS4plusIjEEEEZZNS1_33reduce_by_key_impl_wrapped_configILNS1_25lookback_scan_determinismE0ES3_S9_NS6_6detail15normal_iteratorINS6_10device_ptrIiEEEENSD_INSE_IjEEEESG_SI_PmS8_NS6_8equal_toIiEEEE10hipError_tPvRmT2_T3_mT4_T5_T6_T7_T8_P12ihipStream_tbENKUlT_T0_E_clISt17integral_constantIbLb1EES12_IbLb0EEEEDaSY_SZ_EUlSY_E_NS1_11comp_targetILNS1_3genE9ELNS1_11target_archE1100ELNS1_3gpuE3ELNS1_3repE0EEENS1_30default_config_static_selectorELNS0_4arch9wavefront6targetE0EEEvT1_
	.p2align	8
	.type	_ZN7rocprim17ROCPRIM_400000_NS6detail17trampoline_kernelINS0_14default_configENS1_29reduce_by_key_config_selectorIijN6thrust23THRUST_200600_302600_NS4plusIjEEEEZZNS1_33reduce_by_key_impl_wrapped_configILNS1_25lookback_scan_determinismE0ES3_S9_NS6_6detail15normal_iteratorINS6_10device_ptrIiEEEENSD_INSE_IjEEEESG_SI_PmS8_NS6_8equal_toIiEEEE10hipError_tPvRmT2_T3_mT4_T5_T6_T7_T8_P12ihipStream_tbENKUlT_T0_E_clISt17integral_constantIbLb1EES12_IbLb0EEEEDaSY_SZ_EUlSY_E_NS1_11comp_targetILNS1_3genE9ELNS1_11target_archE1100ELNS1_3gpuE3ELNS1_3repE0EEENS1_30default_config_static_selectorELNS0_4arch9wavefront6targetE0EEEvT1_,@function
_ZN7rocprim17ROCPRIM_400000_NS6detail17trampoline_kernelINS0_14default_configENS1_29reduce_by_key_config_selectorIijN6thrust23THRUST_200600_302600_NS4plusIjEEEEZZNS1_33reduce_by_key_impl_wrapped_configILNS1_25lookback_scan_determinismE0ES3_S9_NS6_6detail15normal_iteratorINS6_10device_ptrIiEEEENSD_INSE_IjEEEESG_SI_PmS8_NS6_8equal_toIiEEEE10hipError_tPvRmT2_T3_mT4_T5_T6_T7_T8_P12ihipStream_tbENKUlT_T0_E_clISt17integral_constantIbLb1EES12_IbLb0EEEEDaSY_SZ_EUlSY_E_NS1_11comp_targetILNS1_3genE9ELNS1_11target_archE1100ELNS1_3gpuE3ELNS1_3repE0EEENS1_30default_config_static_selectorELNS0_4arch9wavefront6targetE0EEEvT1_: ; @_ZN7rocprim17ROCPRIM_400000_NS6detail17trampoline_kernelINS0_14default_configENS1_29reduce_by_key_config_selectorIijN6thrust23THRUST_200600_302600_NS4plusIjEEEEZZNS1_33reduce_by_key_impl_wrapped_configILNS1_25lookback_scan_determinismE0ES3_S9_NS6_6detail15normal_iteratorINS6_10device_ptrIiEEEENSD_INSE_IjEEEESG_SI_PmS8_NS6_8equal_toIiEEEE10hipError_tPvRmT2_T3_mT4_T5_T6_T7_T8_P12ihipStream_tbENKUlT_T0_E_clISt17integral_constantIbLb1EES12_IbLb0EEEEDaSY_SZ_EUlSY_E_NS1_11comp_targetILNS1_3genE9ELNS1_11target_archE1100ELNS1_3gpuE3ELNS1_3repE0EEENS1_30default_config_static_selectorELNS0_4arch9wavefront6targetE0EEEvT1_
; %bb.0:
	s_clause 0x4
	s_load_b256 s[20:27], s[0:1], 0x0
	s_load_b256 s[36:43], s[0:1], 0x38
	s_load_b128 s[28:31], s[0:1], 0x20
	s_load_b64 s[34:35], s[0:1], 0x68
	s_load_b128 s[44:47], s[0:1], 0x58
	s_mov_b32 s3, 0
	s_mul_i32 s2, s15, 0xf00
	s_waitcnt lgkmcnt(0)
	s_lshl_b64 s[0:1], s[22:23], 2
	s_mul_i32 s4, s40, s39
	s_add_u32 s8, s20, s0
	s_mul_hi_u32 s5, s40, s38
	s_addc_u32 s9, s21, s1
	s_add_u32 s10, s24, s0
	s_mul_i32 s6, s41, s38
	s_addc_u32 s11, s25, s1
	s_add_i32 s4, s5, s4
	s_lshl_b64 s[0:1], s[2:3], 2
	s_add_i32 s4, s4, s6
	s_add_u32 s18, s8, s0
	s_addc_u32 s14, s9, s1
	s_mul_i32 s7, s40, s38
	s_add_u32 s20, s10, s0
	s_addc_u32 s21, s11, s1
	s_add_u32 s16, s7, s15
	s_addc_u32 s17, s4, 0
	s_add_u32 s0, s42, -1
	s_addc_u32 s1, s43, -1
	s_mul_i32 s33, s0, 0xfffff100
	s_cmp_eq_u64 s[16:17], s[0:1]
	s_cselect_b32 s23, -1, 0
	s_cmp_lg_u64 s[16:17], s[0:1]
	s_cselect_b32 s19, -1, 0
	s_and_b32 vcc_lo, exec_lo, s23
	s_cbranch_vccnz .LBB830_2
; %bb.1:
	v_lshlrev_b32_e32 v8, 2, v0
	s_delay_alu instid0(VALU_DEP_1) | instskip(NEXT) | instid1(VALU_DEP_1)
	v_add_co_u32 v1, s0, s18, v8
	v_add_co_ci_u32_e64 v2, null, s14, 0, s0
	s_delay_alu instid0(VALU_DEP_2) | instskip(NEXT) | instid1(VALU_DEP_2)
	v_add_co_u32 v3, vcc_lo, 0x1000, v1
	v_add_co_ci_u32_e32 v4, vcc_lo, 0, v2, vcc_lo
	s_clause 0x7
	flat_load_b32 v9, v[1:2]
	flat_load_b32 v10, v[1:2] offset:1024
	flat_load_b32 v11, v[1:2] offset:2048
	flat_load_b32 v12, v[1:2] offset:3072
	flat_load_b32 v13, v[3:4]
	flat_load_b32 v14, v[3:4] offset:1024
	flat_load_b32 v15, v[3:4] offset:2048
	;; [unrolled: 1-line block ×3, first 2 shown]
	v_add_co_u32 v3, vcc_lo, 0x2000, v1
	v_add_co_ci_u32_e32 v4, vcc_lo, 0, v2, vcc_lo
	v_add_co_u32 v1, vcc_lo, 0x3000, v1
	v_add_co_ci_u32_e32 v2, vcc_lo, 0, v2, vcc_lo
	s_clause 0x6
	flat_load_b32 v17, v[3:4]
	flat_load_b32 v18, v[3:4] offset:1024
	flat_load_b32 v19, v[3:4] offset:2048
	;; [unrolled: 1-line block ×3, first 2 shown]
	flat_load_b32 v21, v[1:2]
	flat_load_b32 v22, v[1:2] offset:1024
	flat_load_b32 v25, v[1:2] offset:2048
	v_add_co_u32 v2, s0, s20, v8
	s_delay_alu instid0(VALU_DEP_1) | instskip(SKIP_1) | instid1(VALU_DEP_3)
	v_add_co_ci_u32_e64 v3, null, s21, 0, s0
	v_mad_u32_u24 v1, v0, 56, v8
	v_add_co_u32 v4, vcc_lo, 0x1000, v2
	s_delay_alu instid0(VALU_DEP_3)
	v_add_co_ci_u32_e32 v5, vcc_lo, 0, v3, vcc_lo
	v_add_co_u32 v6, vcc_lo, 0x2000, v2
	v_add_co_ci_u32_e32 v7, vcc_lo, 0, v3, vcc_lo
	v_add_co_u32 v23, vcc_lo, 0x3000, v2
	v_add_co_ci_u32_e32 v24, vcc_lo, 0, v3, vcc_lo
	s_waitcnt vmcnt(13) lgkmcnt(13)
	ds_store_2addr_stride64_b32 v8, v9, v10 offset1:4
	s_waitcnt vmcnt(11) lgkmcnt(12)
	ds_store_2addr_stride64_b32 v8, v11, v12 offset0:8 offset1:12
	s_waitcnt vmcnt(9) lgkmcnt(11)
	ds_store_2addr_stride64_b32 v8, v13, v14 offset0:16 offset1:20
	;; [unrolled: 2-line block ×6, first 2 shown]
	s_waitcnt vmcnt(0) lgkmcnt(7)
	ds_store_b32 v8, v25 offset:14336
	s_waitcnt lgkmcnt(0)
	s_barrier
	buffer_gl0_inv
	ds_load_2addr_b32 v[21:22], v1 offset1:1
	ds_load_2addr_b32 v[19:20], v1 offset0:2 offset1:3
	ds_load_2addr_b32 v[17:18], v1 offset0:4 offset1:5
	;; [unrolled: 1-line block ×6, first 2 shown]
	ds_load_b32 v63, v1 offset:56
	s_waitcnt lgkmcnt(0)
	s_barrier
	buffer_gl0_inv
	s_clause 0xe
	flat_load_b32 v25, v[2:3]
	flat_load_b32 v26, v[2:3] offset:1024
	flat_load_b32 v27, v[2:3] offset:2048
	flat_load_b32 v2, v[2:3] offset:3072
	flat_load_b32 v3, v[4:5]
	flat_load_b32 v28, v[4:5] offset:1024
	flat_load_b32 v29, v[4:5] offset:2048
	flat_load_b32 v4, v[4:5] offset:3072
	;; [unrolled: 4-line block ×3, first 2 shown]
	flat_load_b32 v7, v[23:24]
	flat_load_b32 v32, v[23:24] offset:1024
	flat_load_b32 v23, v[23:24] offset:2048
	s_waitcnt vmcnt(13) lgkmcnt(13)
	ds_store_2addr_stride64_b32 v8, v25, v26 offset1:4
	s_waitcnt vmcnt(11) lgkmcnt(12)
	ds_store_2addr_stride64_b32 v8, v27, v2 offset0:8 offset1:12
	s_waitcnt vmcnt(9) lgkmcnt(11)
	ds_store_2addr_stride64_b32 v8, v3, v28 offset0:16 offset1:20
	;; [unrolled: 2-line block ×6, first 2 shown]
	s_waitcnt vmcnt(0) lgkmcnt(7)
	ds_store_b32 v8, v23 offset:14336
	s_waitcnt lgkmcnt(0)
	s_barrier
	s_and_not1_b32 vcc_lo, exec_lo, s3
	s_add_i32 s33, s33, s44
	s_cbranch_vccz .LBB830_3
	s_branch .LBB830_50
.LBB830_2:
                                        ; implicit-def: $vgpr1
                                        ; implicit-def: $vgpr21
                                        ; implicit-def: $vgpr19
                                        ; implicit-def: $vgpr17
                                        ; implicit-def: $vgpr15
                                        ; implicit-def: $vgpr13
                                        ; implicit-def: $vgpr11
                                        ; implicit-def: $vgpr9
                                        ; implicit-def: $vgpr63
	s_add_i32 s33, s33, s44
.LBB830_3:
	s_delay_alu instid0(SALU_CYCLE_1)
	v_cmp_gt_u32_e32 vcc_lo, s33, v0
                                        ; implicit-def: $vgpr1
	s_and_saveexec_b32 s0, vcc_lo
	s_cbranch_execz .LBB830_5
; %bb.4:
	v_lshlrev_b32_e32 v1, 2, v0
	s_delay_alu instid0(VALU_DEP_1) | instskip(NEXT) | instid1(VALU_DEP_1)
	v_add_co_u32 v1, s1, s18, v1
	v_add_co_ci_u32_e64 v2, null, s14, 0, s1
	flat_load_b32 v1, v[1:2]
.LBB830_5:
	s_or_b32 exec_lo, exec_lo, s0
	v_or_b32_e32 v2, 0x100, v0
                                        ; implicit-def: $vgpr9
	s_delay_alu instid0(VALU_DEP_1) | instskip(NEXT) | instid1(VALU_DEP_1)
	v_cmp_gt_u32_e64 s0, s33, v2
	s_and_saveexec_b32 s1, s0
	s_cbranch_execz .LBB830_7
; %bb.6:
	v_lshlrev_b32_e32 v2, 2, v0
	s_delay_alu instid0(VALU_DEP_1) | instskip(NEXT) | instid1(VALU_DEP_1)
	v_add_co_u32 v2, s2, s18, v2
	v_add_co_ci_u32_e64 v3, null, s14, 0, s2
	flat_load_b32 v9, v[2:3] offset:1024
.LBB830_7:
	s_or_b32 exec_lo, exec_lo, s1
	v_or_b32_e32 v2, 0x200, v0
                                        ; implicit-def: $vgpr10
	s_delay_alu instid0(VALU_DEP_1) | instskip(NEXT) | instid1(VALU_DEP_1)
	v_cmp_gt_u32_e64 s1, s33, v2
	s_and_saveexec_b32 s2, s1
	s_cbranch_execz .LBB830_9
; %bb.8:
	v_lshlrev_b32_e32 v2, 2, v0
	s_delay_alu instid0(VALU_DEP_1) | instskip(NEXT) | instid1(VALU_DEP_1)
	v_add_co_u32 v2, s3, s18, v2
	v_add_co_ci_u32_e64 v3, null, s14, 0, s3
	flat_load_b32 v10, v[2:3] offset:2048
.LBB830_9:
	s_or_b32 exec_lo, exec_lo, s2
	v_or_b32_e32 v2, 0x300, v0
                                        ; implicit-def: $vgpr11
	s_delay_alu instid0(VALU_DEP_1) | instskip(NEXT) | instid1(VALU_DEP_1)
	v_cmp_gt_u32_e64 s2, s33, v2
	s_and_saveexec_b32 s3, s2
	s_cbranch_execz .LBB830_11
; %bb.10:
	v_lshlrev_b32_e32 v2, 2, v0
	s_delay_alu instid0(VALU_DEP_1) | instskip(NEXT) | instid1(VALU_DEP_1)
	v_add_co_u32 v2, s4, s18, v2
	v_add_co_ci_u32_e64 v3, null, s14, 0, s4
	flat_load_b32 v11, v[2:3] offset:3072
.LBB830_11:
	s_or_b32 exec_lo, exec_lo, s3
	v_or_b32_e32 v2, 0x400, v0
                                        ; implicit-def: $vgpr12
	s_delay_alu instid0(VALU_DEP_1) | instskip(NEXT) | instid1(VALU_DEP_1)
	v_cmp_gt_u32_e64 s3, s33, v2
	s_and_saveexec_b32 s4, s3
	s_cbranch_execz .LBB830_13
; %bb.12:
	v_lshlrev_b32_e32 v3, 2, v2
	s_delay_alu instid0(VALU_DEP_1) | instskip(NEXT) | instid1(VALU_DEP_1)
	v_add_co_u32 v3, s5, s18, v3
	v_add_co_ci_u32_e64 v4, null, s14, 0, s5
	flat_load_b32 v12, v[3:4]
.LBB830_13:
	s_or_b32 exec_lo, exec_lo, s4
	v_or_b32_e32 v3, 0x500, v0
                                        ; implicit-def: $vgpr13
	s_delay_alu instid0(VALU_DEP_1) | instskip(NEXT) | instid1(VALU_DEP_1)
	v_cmp_gt_u32_e64 s4, s33, v3
	s_and_saveexec_b32 s5, s4
	s_cbranch_execz .LBB830_15
; %bb.14:
	v_lshlrev_b32_e32 v4, 2, v3
	s_delay_alu instid0(VALU_DEP_1) | instskip(NEXT) | instid1(VALU_DEP_1)
	v_add_co_u32 v4, s6, s18, v4
	v_add_co_ci_u32_e64 v5, null, s14, 0, s6
	flat_load_b32 v13, v[4:5]
.LBB830_15:
	s_or_b32 exec_lo, exec_lo, s5
	v_or_b32_e32 v4, 0x600, v0
                                        ; implicit-def: $vgpr14
	s_delay_alu instid0(VALU_DEP_1) | instskip(NEXT) | instid1(VALU_DEP_1)
	v_cmp_gt_u32_e64 s5, s33, v4
	s_and_saveexec_b32 s6, s5
	s_cbranch_execz .LBB830_17
; %bb.16:
	v_lshlrev_b32_e32 v5, 2, v4
	s_delay_alu instid0(VALU_DEP_1) | instskip(NEXT) | instid1(VALU_DEP_1)
	v_add_co_u32 v5, s7, s18, v5
	v_add_co_ci_u32_e64 v6, null, s14, 0, s7
	flat_load_b32 v14, v[5:6]
.LBB830_17:
	s_or_b32 exec_lo, exec_lo, s6
	v_or_b32_e32 v5, 0x700, v0
                                        ; implicit-def: $vgpr15
	s_delay_alu instid0(VALU_DEP_1) | instskip(NEXT) | instid1(VALU_DEP_1)
	v_cmp_gt_u32_e64 s6, s33, v5
	s_and_saveexec_b32 s7, s6
	s_cbranch_execz .LBB830_19
; %bb.18:
	v_lshlrev_b32_e32 v6, 2, v5
	s_delay_alu instid0(VALU_DEP_1) | instskip(NEXT) | instid1(VALU_DEP_1)
	v_add_co_u32 v6, s8, s18, v6
	v_add_co_ci_u32_e64 v7, null, s14, 0, s8
	flat_load_b32 v15, v[6:7]
.LBB830_19:
	s_or_b32 exec_lo, exec_lo, s7
	v_or_b32_e32 v6, 0x800, v0
                                        ; implicit-def: $vgpr16
	s_delay_alu instid0(VALU_DEP_1) | instskip(NEXT) | instid1(VALU_DEP_1)
	v_cmp_gt_u32_e64 s7, s33, v6
	s_and_saveexec_b32 s8, s7
	s_cbranch_execz .LBB830_21
; %bb.20:
	v_lshlrev_b32_e32 v7, 2, v6
	s_delay_alu instid0(VALU_DEP_1) | instskip(NEXT) | instid1(VALU_DEP_1)
	v_add_co_u32 v7, s9, s18, v7
	v_add_co_ci_u32_e64 v8, null, s14, 0, s9
	flat_load_b32 v16, v[7:8]
.LBB830_21:
	s_or_b32 exec_lo, exec_lo, s8
	v_or_b32_e32 v8, 0x900, v0
                                        ; implicit-def: $vgpr17
	s_delay_alu instid0(VALU_DEP_1) | instskip(NEXT) | instid1(VALU_DEP_1)
	v_cmp_gt_u32_e64 s8, s33, v8
	s_and_saveexec_b32 s9, s8
	s_cbranch_execz .LBB830_23
; %bb.22:
	v_lshlrev_b32_e32 v7, 2, v8
	s_delay_alu instid0(VALU_DEP_1) | instskip(NEXT) | instid1(VALU_DEP_1)
	v_add_co_u32 v17, s10, s18, v7
	v_add_co_ci_u32_e64 v18, null, s14, 0, s10
	flat_load_b32 v17, v[17:18]
.LBB830_23:
	s_or_b32 exec_lo, exec_lo, s9
	v_or_b32_e32 v23, 0xa00, v0
                                        ; implicit-def: $vgpr18
	s_delay_alu instid0(VALU_DEP_1) | instskip(NEXT) | instid1(VALU_DEP_1)
	v_cmp_gt_u32_e64 s9, s33, v23
	s_and_saveexec_b32 s10, s9
	s_cbranch_execz .LBB830_25
; %bb.24:
	v_lshlrev_b32_e32 v7, 2, v23
	s_delay_alu instid0(VALU_DEP_1) | instskip(NEXT) | instid1(VALU_DEP_1)
	v_add_co_u32 v18, s11, s18, v7
	v_add_co_ci_u32_e64 v19, null, s14, 0, s11
	flat_load_b32 v18, v[18:19]
.LBB830_25:
	s_or_b32 exec_lo, exec_lo, s10
	v_or_b32_e32 v24, 0xb00, v0
                                        ; implicit-def: $vgpr19
	s_delay_alu instid0(VALU_DEP_1) | instskip(NEXT) | instid1(VALU_DEP_1)
	v_cmp_gt_u32_e64 s10, s33, v24
	s_and_saveexec_b32 s11, s10
	s_cbranch_execz .LBB830_27
; %bb.26:
	v_lshlrev_b32_e32 v7, 2, v24
	s_delay_alu instid0(VALU_DEP_1) | instskip(NEXT) | instid1(VALU_DEP_1)
	v_add_co_u32 v19, s12, s18, v7
	v_add_co_ci_u32_e64 v20, null, s14, 0, s12
	flat_load_b32 v19, v[19:20]
.LBB830_27:
	s_or_b32 exec_lo, exec_lo, s11
	v_or_b32_e32 v25, 0xc00, v0
                                        ; implicit-def: $vgpr20
	s_delay_alu instid0(VALU_DEP_1) | instskip(NEXT) | instid1(VALU_DEP_1)
	v_cmp_gt_u32_e64 s11, s33, v25
	s_and_saveexec_b32 s12, s11
	s_cbranch_execz .LBB830_29
; %bb.28:
	v_lshlrev_b32_e32 v7, 2, v25
	s_delay_alu instid0(VALU_DEP_1) | instskip(NEXT) | instid1(VALU_DEP_1)
	v_add_co_u32 v20, s13, s18, v7
	v_add_co_ci_u32_e64 v21, null, s14, 0, s13
	flat_load_b32 v20, v[20:21]
.LBB830_29:
	s_or_b32 exec_lo, exec_lo, s12
	v_or_b32_e32 v26, 0xd00, v0
                                        ; implicit-def: $vgpr21
	s_delay_alu instid0(VALU_DEP_1) | instskip(NEXT) | instid1(VALU_DEP_1)
	v_cmp_gt_u32_e64 s12, s33, v26
	s_and_saveexec_b32 s13, s12
	s_cbranch_execz .LBB830_31
; %bb.30:
	v_lshlrev_b32_e32 v7, 2, v26
	s_delay_alu instid0(VALU_DEP_1) | instskip(NEXT) | instid1(VALU_DEP_1)
	v_add_co_u32 v21, s22, s18, v7
	v_add_co_ci_u32_e64 v22, null, s14, 0, s22
	flat_load_b32 v21, v[21:22]
.LBB830_31:
	s_or_b32 exec_lo, exec_lo, s13
	v_or_b32_e32 v27, 0xe00, v0
                                        ; implicit-def: $vgpr22
	s_delay_alu instid0(VALU_DEP_1) | instskip(NEXT) | instid1(VALU_DEP_1)
	v_cmp_gt_u32_e64 s13, s33, v27
	s_and_saveexec_b32 s22, s13
	s_cbranch_execz .LBB830_33
; %bb.32:
	v_lshlrev_b32_e32 v7, 2, v27
	s_delay_alu instid0(VALU_DEP_1) | instskip(NEXT) | instid1(VALU_DEP_1)
	v_add_co_u32 v28, s24, s18, v7
	v_add_co_ci_u32_e64 v29, null, s14, 0, s24
	flat_load_b32 v22, v[28:29]
.LBB830_33:
	s_or_b32 exec_lo, exec_lo, s22
	v_lshlrev_b32_e32 v7, 2, v0
                                        ; implicit-def: $vgpr28
	s_waitcnt vmcnt(0) lgkmcnt(0)
	ds_store_2addr_stride64_b32 v7, v1, v9 offset1:4
	ds_store_2addr_stride64_b32 v7, v10, v11 offset0:8 offset1:12
	ds_store_2addr_stride64_b32 v7, v12, v13 offset0:16 offset1:20
	;; [unrolled: 1-line block ×6, first 2 shown]
	v_mad_u32_u24 v1, v0, 56, v7
	ds_store_b32 v7, v22 offset:14336
	s_waitcnt lgkmcnt(0)
	s_barrier
	buffer_gl0_inv
	ds_load_2addr_b32 v[21:22], v1 offset1:1
	ds_load_2addr_b32 v[19:20], v1 offset0:2 offset1:3
	ds_load_2addr_b32 v[17:18], v1 offset0:4 offset1:5
	;; [unrolled: 1-line block ×6, first 2 shown]
	ds_load_b32 v63, v1 offset:56
	s_waitcnt lgkmcnt(0)
	s_barrier
	buffer_gl0_inv
	s_and_saveexec_b32 s22, vcc_lo
	s_cbranch_execnz .LBB830_57
; %bb.34:
	s_or_b32 exec_lo, exec_lo, s22
                                        ; implicit-def: $vgpr29
	s_and_saveexec_b32 s22, s0
	s_cbranch_execnz .LBB830_58
.LBB830_35:
	s_or_b32 exec_lo, exec_lo, s22
                                        ; implicit-def: $vgpr30
	s_and_saveexec_b32 s0, s1
	s_cbranch_execnz .LBB830_59
.LBB830_36:
	s_or_b32 exec_lo, exec_lo, s0
                                        ; implicit-def: $vgpr31
	s_and_saveexec_b32 s0, s2
	s_cbranch_execnz .LBB830_60
.LBB830_37:
	s_or_b32 exec_lo, exec_lo, s0
                                        ; implicit-def: $vgpr32
	s_and_saveexec_b32 s0, s3
	s_cbranch_execnz .LBB830_61
.LBB830_38:
	s_or_b32 exec_lo, exec_lo, s0
                                        ; implicit-def: $vgpr2
	s_and_saveexec_b32 s0, s4
	s_cbranch_execnz .LBB830_62
.LBB830_39:
	s_or_b32 exec_lo, exec_lo, s0
                                        ; implicit-def: $vgpr3
	s_and_saveexec_b32 s0, s5
	s_cbranch_execnz .LBB830_63
.LBB830_40:
	s_or_b32 exec_lo, exec_lo, s0
                                        ; implicit-def: $vgpr4
	s_and_saveexec_b32 s0, s6
	s_cbranch_execnz .LBB830_64
.LBB830_41:
	s_or_b32 exec_lo, exec_lo, s0
                                        ; implicit-def: $vgpr5
	s_and_saveexec_b32 s0, s7
	s_cbranch_execnz .LBB830_65
.LBB830_42:
	s_or_b32 exec_lo, exec_lo, s0
                                        ; implicit-def: $vgpr6
	s_and_saveexec_b32 s0, s8
	s_cbranch_execnz .LBB830_66
.LBB830_43:
	s_or_b32 exec_lo, exec_lo, s0
                                        ; implicit-def: $vgpr8
	s_and_saveexec_b32 s0, s9
	s_cbranch_execnz .LBB830_67
.LBB830_44:
	s_or_b32 exec_lo, exec_lo, s0
                                        ; implicit-def: $vgpr23
	s_and_saveexec_b32 s0, s10
	s_cbranch_execnz .LBB830_68
.LBB830_45:
	s_or_b32 exec_lo, exec_lo, s0
                                        ; implicit-def: $vgpr24
	s_and_saveexec_b32 s0, s11
	s_cbranch_execnz .LBB830_69
.LBB830_46:
	s_or_b32 exec_lo, exec_lo, s0
                                        ; implicit-def: $vgpr25
	s_and_saveexec_b32 s0, s12
	s_cbranch_execnz .LBB830_70
.LBB830_47:
	s_or_b32 exec_lo, exec_lo, s0
                                        ; implicit-def: $vgpr26
	s_and_saveexec_b32 s0, s13
	s_cbranch_execz .LBB830_49
.LBB830_48:
	v_lshlrev_b32_e32 v26, 2, v27
	s_delay_alu instid0(VALU_DEP_1) | instskip(NEXT) | instid1(VALU_DEP_1)
	v_add_co_u32 v26, s1, s20, v26
	v_add_co_ci_u32_e64 v27, null, s21, 0, s1
	flat_load_b32 v26, v[26:27]
.LBB830_49:
	s_or_b32 exec_lo, exec_lo, s0
	s_waitcnt vmcnt(0) lgkmcnt(0)
	ds_store_2addr_stride64_b32 v7, v28, v29 offset1:4
	ds_store_2addr_stride64_b32 v7, v30, v31 offset0:8 offset1:12
	ds_store_2addr_stride64_b32 v7, v32, v2 offset0:16 offset1:20
	;; [unrolled: 1-line block ×6, first 2 shown]
	ds_store_b32 v7, v26 offset:14336
	s_waitcnt lgkmcnt(0)
	s_barrier
.LBB830_50:
	buffer_gl0_inv
	ds_load_2addr_b32 v[35:36], v1 offset1:1
	ds_load_2addr_b32 v[33:34], v1 offset0:2 offset1:3
	ds_load_2addr_b32 v[31:32], v1 offset0:4 offset1:5
	;; [unrolled: 1-line block ×6, first 2 shown]
	ds_load_b32 v79, v1 offset:56
	s_cmp_eq_u64 s[16:17], 0
	s_waitcnt lgkmcnt(0)
	s_cselect_b32 s40, -1, 0
	s_cmp_lg_u64 s[16:17], 0
	s_barrier
	s_cselect_b32 s20, -1, 0
	s_and_b32 vcc_lo, exec_lo, s19
	buffer_gl0_inv
	s_cbranch_vccz .LBB830_56
; %bb.51:
	s_and_b32 vcc_lo, exec_lo, s20
	s_cbranch_vccz .LBB830_71
; %bb.52:
	v_add_co_u32 v1, s0, -4, s18
	s_delay_alu instid0(VALU_DEP_1)
	v_add_co_ci_u32_e64 v2, null, -1, s14, s0
	v_cmp_ne_u32_e32 vcc_lo, v10, v63
	v_cmp_ne_u32_e64 s0, v9, v10
	v_cmp_ne_u32_e64 s1, v12, v9
	flat_load_b32 v1, v[1:2]
	v_lshlrev_b32_e32 v2, 2, v0
	v_cmp_ne_u32_e64 s2, v11, v12
	v_cmp_ne_u32_e64 s3, v14, v11
	;; [unrolled: 1-line block ×11, first 2 shown]
	s_mov_b32 s41, -1
	s_mov_b32 s19, 0
	s_mov_b32 s21, exec_lo
	ds_store_b32 v2, v63
	s_waitcnt vmcnt(0) lgkmcnt(0)
	s_barrier
	buffer_gl0_inv
	v_cmpx_ne_u32_e32 0, v0
	s_cbranch_execz .LBB830_54
; %bb.53:
	v_add_nc_u32_e32 v1, -4, v2
	ds_load_b32 v1, v1
.LBB830_54:
	s_or_b32 exec_lo, exec_lo, s21
	v_cndmask_b32_e64 v71, 0, 1, vcc_lo
	v_cndmask_b32_e64 v64, 0, 1, s0
	v_cndmask_b32_e64 v65, 0, 1, s1
	;; [unrolled: 1-line block ×13, first 2 shown]
	s_waitcnt lgkmcnt(0)
	v_cmp_ne_u32_e64 s0, v1, v21
	s_and_b32 vcc_lo, exec_lo, s19
	s_cbranch_vccnz .LBB830_72
.LBB830_55:
                                        ; implicit-def: $sgpr1
	s_branch .LBB830_83
.LBB830_56:
	s_mov_b32 s41, 0
                                        ; implicit-def: $sgpr0
                                        ; implicit-def: $vgpr71
                                        ; implicit-def: $vgpr64
                                        ; implicit-def: $vgpr65
                                        ; implicit-def: $vgpr66
                                        ; implicit-def: $vgpr67
                                        ; implicit-def: $vgpr68
                                        ; implicit-def: $vgpr69
                                        ; implicit-def: $vgpr70
                                        ; implicit-def: $vgpr72
                                        ; implicit-def: $vgpr73
                                        ; implicit-def: $vgpr74
                                        ; implicit-def: $vgpr75
                                        ; implicit-def: $vgpr76
                                        ; implicit-def: $vgpr77
                                        ; implicit-def: $sgpr1
	s_cbranch_execnz .LBB830_75
	s_branch .LBB830_83
.LBB830_57:
	v_add_co_u32 v28, s24, s20, v7
	s_delay_alu instid0(VALU_DEP_1)
	v_add_co_ci_u32_e64 v29, null, s21, 0, s24
	flat_load_b32 v28, v[28:29]
	s_or_b32 exec_lo, exec_lo, s22
                                        ; implicit-def: $vgpr29
	s_and_saveexec_b32 s22, s0
	s_cbranch_execz .LBB830_35
.LBB830_58:
	v_add_co_u32 v29, s0, s20, v7
	s_delay_alu instid0(VALU_DEP_1)
	v_add_co_ci_u32_e64 v30, null, s21, 0, s0
	flat_load_b32 v29, v[29:30] offset:1024
	s_or_b32 exec_lo, exec_lo, s22
                                        ; implicit-def: $vgpr30
	s_and_saveexec_b32 s0, s1
	s_cbranch_execz .LBB830_36
.LBB830_59:
	v_add_co_u32 v30, s1, s20, v7
	s_delay_alu instid0(VALU_DEP_1)
	v_add_co_ci_u32_e64 v31, null, s21, 0, s1
	flat_load_b32 v30, v[30:31] offset:2048
	s_or_b32 exec_lo, exec_lo, s0
                                        ; implicit-def: $vgpr31
	s_and_saveexec_b32 s0, s2
	s_cbranch_execz .LBB830_37
.LBB830_60:
	v_add_co_u32 v31, s1, s20, v7
	s_delay_alu instid0(VALU_DEP_1)
	v_add_co_ci_u32_e64 v32, null, s21, 0, s1
	flat_load_b32 v31, v[31:32] offset:3072
	s_or_b32 exec_lo, exec_lo, s0
                                        ; implicit-def: $vgpr32
	s_and_saveexec_b32 s0, s3
	s_cbranch_execz .LBB830_38
.LBB830_61:
	v_lshlrev_b32_e32 v2, 2, v2
	s_delay_alu instid0(VALU_DEP_1) | instskip(NEXT) | instid1(VALU_DEP_1)
	v_add_co_u32 v32, s1, s20, v2
	v_add_co_ci_u32_e64 v33, null, s21, 0, s1
	flat_load_b32 v32, v[32:33]
	s_or_b32 exec_lo, exec_lo, s0
                                        ; implicit-def: $vgpr2
	s_and_saveexec_b32 s0, s4
	s_cbranch_execz .LBB830_39
.LBB830_62:
	v_lshlrev_b32_e32 v2, 2, v3
	s_delay_alu instid0(VALU_DEP_1) | instskip(NEXT) | instid1(VALU_DEP_1)
	v_add_co_u32 v2, s1, s20, v2
	v_add_co_ci_u32_e64 v3, null, s21, 0, s1
	flat_load_b32 v2, v[2:3]
	s_or_b32 exec_lo, exec_lo, s0
                                        ; implicit-def: $vgpr3
	s_and_saveexec_b32 s0, s5
	s_cbranch_execz .LBB830_40
.LBB830_63:
	v_lshlrev_b32_e32 v3, 2, v4
	s_delay_alu instid0(VALU_DEP_1) | instskip(NEXT) | instid1(VALU_DEP_1)
	v_add_co_u32 v3, s1, s20, v3
	v_add_co_ci_u32_e64 v4, null, s21, 0, s1
	flat_load_b32 v3, v[3:4]
	s_or_b32 exec_lo, exec_lo, s0
                                        ; implicit-def: $vgpr4
	s_and_saveexec_b32 s0, s6
	s_cbranch_execz .LBB830_41
.LBB830_64:
	v_lshlrev_b32_e32 v4, 2, v5
	s_delay_alu instid0(VALU_DEP_1) | instskip(NEXT) | instid1(VALU_DEP_1)
	v_add_co_u32 v4, s1, s20, v4
	v_add_co_ci_u32_e64 v5, null, s21, 0, s1
	flat_load_b32 v4, v[4:5]
	s_or_b32 exec_lo, exec_lo, s0
                                        ; implicit-def: $vgpr5
	s_and_saveexec_b32 s0, s7
	s_cbranch_execz .LBB830_42
.LBB830_65:
	v_lshlrev_b32_e32 v5, 2, v6
	s_delay_alu instid0(VALU_DEP_1) | instskip(NEXT) | instid1(VALU_DEP_1)
	v_add_co_u32 v5, s1, s20, v5
	v_add_co_ci_u32_e64 v6, null, s21, 0, s1
	flat_load_b32 v5, v[5:6]
	s_or_b32 exec_lo, exec_lo, s0
                                        ; implicit-def: $vgpr6
	s_and_saveexec_b32 s0, s8
	s_cbranch_execz .LBB830_43
.LBB830_66:
	v_lshlrev_b32_e32 v6, 2, v8
	s_delay_alu instid0(VALU_DEP_1) | instskip(NEXT) | instid1(VALU_DEP_1)
	v_add_co_u32 v33, s1, s20, v6
	v_add_co_ci_u32_e64 v34, null, s21, 0, s1
	flat_load_b32 v6, v[33:34]
	s_or_b32 exec_lo, exec_lo, s0
                                        ; implicit-def: $vgpr8
	s_and_saveexec_b32 s0, s9
	s_cbranch_execz .LBB830_44
.LBB830_67:
	v_lshlrev_b32_e32 v8, 2, v23
	s_delay_alu instid0(VALU_DEP_1) | instskip(NEXT) | instid1(VALU_DEP_1)
	v_add_co_u32 v33, s1, s20, v8
	v_add_co_ci_u32_e64 v34, null, s21, 0, s1
	flat_load_b32 v8, v[33:34]
	s_or_b32 exec_lo, exec_lo, s0
                                        ; implicit-def: $vgpr23
	s_and_saveexec_b32 s0, s10
	s_cbranch_execz .LBB830_45
.LBB830_68:
	v_lshlrev_b32_e32 v23, 2, v24
	s_delay_alu instid0(VALU_DEP_1) | instskip(NEXT) | instid1(VALU_DEP_1)
	v_add_co_u32 v23, s1, s20, v23
	v_add_co_ci_u32_e64 v24, null, s21, 0, s1
	flat_load_b32 v23, v[23:24]
	s_or_b32 exec_lo, exec_lo, s0
                                        ; implicit-def: $vgpr24
	s_and_saveexec_b32 s0, s11
	s_cbranch_execz .LBB830_46
.LBB830_69:
	v_lshlrev_b32_e32 v24, 2, v25
	s_delay_alu instid0(VALU_DEP_1) | instskip(NEXT) | instid1(VALU_DEP_1)
	v_add_co_u32 v24, s1, s20, v24
	v_add_co_ci_u32_e64 v25, null, s21, 0, s1
	flat_load_b32 v24, v[24:25]
	s_or_b32 exec_lo, exec_lo, s0
                                        ; implicit-def: $vgpr25
	s_and_saveexec_b32 s0, s12
	s_cbranch_execz .LBB830_47
.LBB830_70:
	v_lshlrev_b32_e32 v25, 2, v26
	s_delay_alu instid0(VALU_DEP_1) | instskip(NEXT) | instid1(VALU_DEP_1)
	v_add_co_u32 v25, s1, s20, v25
	v_add_co_ci_u32_e64 v26, null, s21, 0, s1
	flat_load_b32 v25, v[25:26]
	s_or_b32 exec_lo, exec_lo, s0
                                        ; implicit-def: $vgpr26
	s_and_saveexec_b32 s0, s13
	s_cbranch_execnz .LBB830_48
	s_branch .LBB830_49
.LBB830_71:
	s_mov_b32 s41, 0
                                        ; implicit-def: $sgpr0
                                        ; implicit-def: $vgpr71
                                        ; implicit-def: $vgpr64
                                        ; implicit-def: $vgpr65
                                        ; implicit-def: $vgpr66
                                        ; implicit-def: $vgpr67
                                        ; implicit-def: $vgpr68
                                        ; implicit-def: $vgpr69
                                        ; implicit-def: $vgpr70
                                        ; implicit-def: $vgpr72
                                        ; implicit-def: $vgpr73
                                        ; implicit-def: $vgpr74
                                        ; implicit-def: $vgpr75
                                        ; implicit-def: $vgpr76
                                        ; implicit-def: $vgpr77
	s_cbranch_execz .LBB830_55
.LBB830_72:
	v_cmp_ne_u32_e32 vcc_lo, v10, v63
	v_lshlrev_b32_e32 v1, 2, v0
	s_mov_b32 s1, exec_lo
                                        ; implicit-def: $sgpr0
	v_cndmask_b32_e64 v71, 0, 1, vcc_lo
	v_cmp_ne_u32_e32 vcc_lo, v9, v10
	ds_store_b32 v1, v63
	s_waitcnt lgkmcnt(0)
	s_barrier
	buffer_gl0_inv
	v_cndmask_b32_e64 v64, 0, 1, vcc_lo
	v_cmp_ne_u32_e32 vcc_lo, v12, v9
	v_cndmask_b32_e64 v65, 0, 1, vcc_lo
	v_cmp_ne_u32_e32 vcc_lo, v11, v12
	;; [unrolled: 2-line block ×12, first 2 shown]
	v_cndmask_b32_e64 v77, 0, 1, vcc_lo
	v_cmpx_ne_u32_e32 0, v0
	s_xor_b32 s1, exec_lo, s1
	s_cbranch_execz .LBB830_74
; %bb.73:
	v_add_nc_u32_e32 v1, -4, v1
	s_or_b32 s41, s41, exec_lo
	ds_load_b32 v1, v1
	s_waitcnt lgkmcnt(0)
	v_cmp_ne_u32_e32 vcc_lo, v1, v21
	s_and_b32 s0, vcc_lo, exec_lo
.LBB830_74:
	s_or_b32 exec_lo, exec_lo, s1
	s_mov_b32 s1, 1
	s_branch .LBB830_83
.LBB830_75:
	s_mul_hi_u32 s0, s16, 0xfffff100
	s_mul_i32 s1, s17, 0xfffff100
	s_sub_i32 s0, s0, s16
	s_mul_i32 s2, s16, 0xfffff100
	s_add_i32 s0, s0, s1
	s_add_u32 s24, s2, s44
	s_addc_u32 s25, s0, s45
	s_and_b32 vcc_lo, exec_lo, s20
	s_cbranch_vccz .LBB830_80
; %bb.76:
	v_add_co_u32 v1, s0, -4, s18
	s_delay_alu instid0(VALU_DEP_1)
	v_add_co_ci_u32_e64 v2, null, -1, s14, s0
	v_cmp_ne_u32_e64 s6, v10, v63
	v_cmp_ne_u32_e64 s8, v9, v10
	v_lshlrev_b32_e32 v4, 2, v0
	flat_load_b32 v5, v[1:2]
	v_mad_u32_u24 v1, v0, 15, 14
	v_mov_b32_e32 v2, 0
	v_mul_u32_u24_e32 v3, 15, v0
	s_mov_b32 s41, -1
	s_mov_b32 s10, 0
	ds_store_b32 v4, v63
	v_cmp_gt_u64_e32 vcc_lo, s[24:25], v[1:2]
	v_mad_u32_u24 v1, v0, 15, 13
	s_waitcnt vmcnt(0) lgkmcnt(0)
	s_barrier
	buffer_gl0_inv
	v_cmp_gt_u64_e64 s0, s[24:25], v[1:2]
	v_mad_u32_u24 v1, v0, 15, 12
	s_and_b32 s11, vcc_lo, s6
	v_cmp_ne_u32_e64 s6, v11, v12
	s_delay_alu instid0(VALU_DEP_2) | instskip(SKIP_4) | instid1(VALU_DEP_3)
	v_cmp_gt_u64_e64 s1, s[24:25], v[1:2]
	v_mad_u32_u24 v1, v0, 15, 11
	s_and_b32 s12, s0, s8
	v_cmp_ne_u32_e64 s0, v12, v9
	v_cmp_ne_u32_e64 s8, v14, v11
	v_cmp_gt_u64_e64 s2, s[24:25], v[1:2]
	v_mad_u32_u24 v1, v0, 15, 10
	s_delay_alu instid0(VALU_DEP_4) | instskip(SKIP_1) | instid1(VALU_DEP_2)
	s_and_b32 s13, s1, s0
	v_cmp_ne_u32_e64 s0, v13, v14
	v_cmp_gt_u64_e64 s3, s[24:25], v[1:2]
	v_mad_u32_u24 v1, v0, 15, 9
	s_and_b32 s14, s2, s6
	v_cmp_ne_u32_e64 s2, v15, v16
	v_cmp_ne_u32_e64 s6, v21, v22
	s_delay_alu instid0(VALU_DEP_3) | instskip(SKIP_3) | instid1(VALU_DEP_2)
	v_cmp_gt_u64_e64 s4, s[24:25], v[1:2]
	v_mad_u32_u24 v1, v0, 15, 8
	s_and_b32 s8, s3, s8
	v_cmp_ne_u32_e64 s3, v18, v15
	v_cmp_gt_u64_e64 s5, s[24:25], v[1:2]
	v_mad_u32_u24 v1, v0, 15, 7
	s_and_b32 s16, s4, s0
	v_cmp_ne_u32_e64 s0, v16, v13
	s_delay_alu instid0(VALU_DEP_2) | instskip(SKIP_1) | instid1(VALU_DEP_3)
	v_cmp_gt_u64_e64 s7, s[24:25], v[1:2]
	v_mad_u32_u24 v1, v0, 15, 6
	s_and_b32 s17, s5, s0
	v_cmp_ne_u32_e64 s0, v17, v18
	s_delay_alu instid0(VALU_DEP_2) | instskip(SKIP_3) | instid1(VALU_DEP_2)
	v_cmp_gt_u64_e32 vcc_lo, s[24:25], v[1:2]
	v_mad_u32_u24 v1, v0, 15, 5
	s_and_b32 s18, s7, s2
	v_cmp_ne_u32_e64 s2, v19, v20
	v_cmp_gt_u64_e64 s9, s[24:25], v[1:2]
	v_mad_u32_u24 v1, v0, 15, 4
	s_and_b32 s7, vcc_lo, s3
	v_cmp_ne_u32_e64 s3, v22, v19
	s_delay_alu instid0(VALU_DEP_2) | instskip(SKIP_3) | instid1(VALU_DEP_2)
	v_cmp_gt_u64_e64 s1, s[24:25], v[1:2]
	v_mad_u32_u24 v1, v0, 15, 3
	s_and_b32 s9, s9, s0
	v_cmp_ne_u32_e64 s0, v20, v17
	v_cmp_gt_u64_e64 s4, s[24:25], v[1:2]
	v_mad_u32_u24 v1, v0, 15, 2
	s_delay_alu instid0(VALU_DEP_3) | instskip(NEXT) | instid1(VALU_DEP_1)
	s_and_b32 s0, s1, s0
	v_cmp_gt_u64_e32 vcc_lo, s[24:25], v[1:2]
	v_mad_u32_u24 v1, v0, 15, 1
	s_delay_alu instid0(VALU_DEP_4) | instskip(SKIP_1) | instid1(VALU_DEP_1)
	s_and_b32 s2, s4, s2
	s_mov_b32 s4, exec_lo
	v_cmp_gt_u64_e64 s5, s[24:25], v[1:2]
	s_and_b32 s1, vcc_lo, s3
	s_delay_alu instid0(VALU_DEP_1)
	s_and_b32 s3, s5, s6
	v_cmpx_ne_u32_e32 0, v0
	s_cbranch_execz .LBB830_78
; %bb.77:
	v_add_nc_u32_e32 v1, -4, v4
	ds_load_b32 v5, v1
.LBB830_78:
	s_or_b32 exec_lo, exec_lo, s4
	v_mov_b32_e32 v4, v2
	v_cndmask_b32_e64 v74, 0, 1, s0
	s_waitcnt lgkmcnt(0)
	v_cmp_ne_u32_e64 s0, v5, v21
	v_cndmask_b32_e64 v71, 0, 1, s11
	v_cndmask_b32_e64 v64, 0, 1, s12
	v_cmp_gt_u64_e32 vcc_lo, s[24:25], v[3:4]
	v_cndmask_b32_e64 v65, 0, 1, s13
	v_cndmask_b32_e64 v66, 0, 1, s14
	;; [unrolled: 1-line block ×11, first 2 shown]
	s_and_b32 s0, vcc_lo, s0
	s_and_b32 vcc_lo, exec_lo, s10
	s_cbranch_vccnz .LBB830_81
.LBB830_79:
                                        ; implicit-def: $sgpr1
	v_mov_b32_e32 v78, s1
	s_and_saveexec_b32 s1, s41
	s_cbranch_execnz .LBB830_84
	s_branch .LBB830_85
.LBB830_80:
                                        ; implicit-def: $sgpr0
                                        ; implicit-def: $vgpr71
                                        ; implicit-def: $vgpr64
                                        ; implicit-def: $vgpr65
                                        ; implicit-def: $vgpr66
                                        ; implicit-def: $vgpr67
                                        ; implicit-def: $vgpr68
                                        ; implicit-def: $vgpr69
                                        ; implicit-def: $vgpr70
                                        ; implicit-def: $vgpr72
                                        ; implicit-def: $vgpr73
                                        ; implicit-def: $vgpr74
                                        ; implicit-def: $vgpr75
                                        ; implicit-def: $vgpr76
                                        ; implicit-def: $vgpr77
	s_cbranch_execz .LBB830_79
.LBB830_81:
	v_mad_u32_u24 v1, v0, 15, 14
	v_dual_mov_b32 v2, 0 :: v_dual_lshlrev_b32 v3, 2, v0
	v_cmp_ne_u32_e64 s5, v9, v10
	v_cmp_ne_u32_e64 s4, v10, v63
	;; [unrolled: 1-line block ×3, first 2 shown]
	s_delay_alu instid0(VALU_DEP_4)
	v_cmp_gt_u64_e32 vcc_lo, s[24:25], v[1:2]
	v_mad_u32_u24 v1, v0, 15, 13
	v_cmp_ne_u32_e64 s8, v11, v12
	v_cmp_ne_u32_e64 s9, v14, v11
	;; [unrolled: 1-line block ×4, first 2 shown]
	v_cmp_gt_u64_e64 s0, s[24:25], v[1:2]
	v_mad_u32_u24 v1, v0, 15, 12
	s_and_b32 s4, vcc_lo, s4
	v_cmp_ne_u32_e64 s13, v15, v16
	v_cmp_ne_u32_e64 s14, v18, v15
	;; [unrolled: 1-line block ×3, first 2 shown]
	v_cmp_gt_u64_e64 s1, s[24:25], v[1:2]
	v_mad_u32_u24 v1, v0, 15, 11
	s_and_b32 s0, s0, s5
	v_cmp_ne_u32_e64 s17, v20, v17
	v_cndmask_b32_e64 v64, 0, 1, s0
	v_cmp_ne_u32_e64 s19, v19, v20
	v_cmp_gt_u64_e64 s2, s[24:25], v[1:2]
	v_mad_u32_u24 v1, v0, 15, 10
	s_and_b32 s0, s1, s6
	v_cmp_ne_u32_e64 s20, v22, v19
	v_cndmask_b32_e64 v65, 0, 1, s0
	v_cmp_ne_u32_e64 s21, v21, v22
	v_cmp_gt_u64_e64 s3, s[24:25], v[1:2]
	v_mad_u32_u24 v1, v0, 15, 9
	s_and_b32 s0, s2, s8
	v_cndmask_b32_e64 v71, 0, 1, s4
	v_cndmask_b32_e64 v66, 0, 1, s0
	ds_store_b32 v3, v63
	v_cmp_gt_u64_e64 s7, s[24:25], v[1:2]
	v_mad_u32_u24 v1, v0, 15, 8
	s_and_b32 s1, s3, s9
	s_waitcnt lgkmcnt(0)
	v_cndmask_b32_e64 v67, 0, 1, s1
	s_barrier
	v_cmp_gt_u64_e64 s12, s[24:25], v[1:2]
	v_mad_u32_u24 v1, v0, 15, 7
	s_and_b32 s1, s7, s10
	buffer_gl0_inv
	v_cndmask_b32_e64 v68, 0, 1, s1
	v_cmp_gt_u64_e64 s18, s[24:25], v[1:2]
	v_mad_u32_u24 v1, v0, 15, 6
	s_and_b32 s2, s12, s11
	s_delay_alu instid0(SALU_CYCLE_1) | instskip(NEXT) | instid1(VALU_DEP_2)
	v_cndmask_b32_e64 v69, 0, 1, s2
	v_cmp_gt_u64_e64 s22, s[24:25], v[1:2]
	v_mad_u32_u24 v1, v0, 15, 5
	s_and_b32 s2, s18, s13
	s_delay_alu instid0(SALU_CYCLE_1) | instskip(NEXT) | instid1(VALU_DEP_2)
	v_cndmask_b32_e64 v70, 0, 1, s2
	v_cmp_gt_u64_e32 vcc_lo, s[24:25], v[1:2]
	v_mad_u32_u24 v1, v0, 15, 4
	s_and_b32 s3, s22, s14
	s_delay_alu instid0(SALU_CYCLE_1) | instskip(NEXT) | instid1(VALU_DEP_2)
	v_cndmask_b32_e64 v72, 0, 1, s3
	v_cmp_gt_u64_e64 s0, s[24:25], v[1:2]
	v_mad_u32_u24 v1, v0, 15, 3
	s_and_b32 s3, vcc_lo, s16
	s_delay_alu instid0(SALU_CYCLE_1) | instskip(NEXT) | instid1(VALU_DEP_2)
	v_cndmask_b32_e64 v73, 0, 1, s3
	v_cmp_gt_u64_e64 s1, s[24:25], v[1:2]
	v_mad_u32_u24 v1, v0, 15, 2
	s_and_b32 s0, s0, s17
	s_delay_alu instid0(SALU_CYCLE_1) | instskip(NEXT) | instid1(VALU_DEP_2)
	v_cndmask_b32_e64 v74, 0, 1, s0
	v_cmp_gt_u64_e64 s2, s[24:25], v[1:2]
	v_mad_u32_u24 v1, v0, 15, 1
	s_and_b32 s0, s1, s19
	s_mov_b32 s1, 1
	v_cndmask_b32_e64 v75, 0, 1, s0
	s_delay_alu instid0(VALU_DEP_2) | instskip(SKIP_4) | instid1(SALU_CYCLE_1)
	v_cmp_gt_u64_e32 vcc_lo, s[24:25], v[1:2]
	s_and_b32 s0, s2, s20
	s_mov_b32 s2, exec_lo
	v_cndmask_b32_e64 v76, 0, 1, s0
	s_and_b32 s0, vcc_lo, s21
	v_cndmask_b32_e64 v77, 0, 1, s0
                                        ; implicit-def: $sgpr0
	v_cmpx_ne_u32_e32 0, v0
	s_cbranch_execz .LBB830_168
; %bb.82:
	v_add_nc_u32_e32 v1, -4, v3
	s_or_b32 s41, s41, exec_lo
	ds_load_b32 v3, v1
	v_mul_u32_u24_e32 v1, 15, v0
	s_delay_alu instid0(VALU_DEP_1) | instskip(SKIP_2) | instid1(VALU_DEP_1)
	v_cmp_gt_u64_e32 vcc_lo, s[24:25], v[1:2]
	s_waitcnt lgkmcnt(0)
	v_cmp_ne_u32_e64 s0, v3, v21
	s_and_b32 s0, vcc_lo, s0
	s_delay_alu instid0(SALU_CYCLE_1)
	s_and_b32 s0, s0, exec_lo
	s_or_b32 exec_lo, exec_lo, s2
.LBB830_83:
	v_mov_b32_e32 v78, s1
	s_and_saveexec_b32 s1, s41
.LBB830_84:
	v_cndmask_b32_e64 v78, 0, 1, s0
.LBB830_85:
	s_or_b32 exec_lo, exec_lo, s1
	s_delay_alu instid0(VALU_DEP_1)
	v_add3_u32 v1, v77, v78, v76
	v_cmp_eq_u32_e64 s12, 0, v77
	v_cmp_eq_u32_e64 s11, 0, v76
	;; [unrolled: 1-line block ×4, first 2 shown]
	v_add3_u32 v84, v1, v75, v74
	v_cmp_eq_u32_e64 s8, 0, v73
	v_cmp_eq_u32_e64 s7, 0, v72
	;; [unrolled: 1-line block ×9, first 2 shown]
	v_cmp_eq_u32_e32 vcc_lo, 0, v71
	v_mbcnt_lo_u32_b32 v81, -1, 0
	v_lshrrev_b32_e32 v82, 5, v0
	v_or_b32_e32 v83, 31, v0
	s_cmp_eq_u64 s[38:39], 0
	s_cselect_b32 s16, -1, 0
	s_cmp_lg_u32 s15, 0
	s_cbranch_scc0 .LBB830_116
; %bb.86:
	v_cndmask_b32_e64 v1, 0, v35, s12
	v_add3_u32 v2, v84, v73, v72
	s_delay_alu instid0(VALU_DEP_2) | instskip(NEXT) | instid1(VALU_DEP_2)
	v_add_nc_u32_e32 v1, v1, v36
	v_add3_u32 v2, v2, v70, v69
	s_delay_alu instid0(VALU_DEP_2) | instskip(NEXT) | instid1(VALU_DEP_2)
	v_cndmask_b32_e64 v1, 0, v1, s11
	v_add3_u32 v2, v2, v68, v67
	s_delay_alu instid0(VALU_DEP_2) | instskip(NEXT) | instid1(VALU_DEP_2)
	v_add_nc_u32_e32 v1, v1, v33
	v_add3_u32 v2, v2, v66, v65
	s_delay_alu instid0(VALU_DEP_2) | instskip(NEXT) | instid1(VALU_DEP_2)
	v_cndmask_b32_e64 v1, 0, v1, s10
	v_add3_u32 v2, v2, v64, v71
	s_delay_alu instid0(VALU_DEP_2) | instskip(NEXT) | instid1(VALU_DEP_2)
	v_add_nc_u32_e32 v1, v1, v34
	v_mov_b32_dpp v5, v2 row_shr:1 row_mask:0xf bank_mask:0xf
	s_delay_alu instid0(VALU_DEP_2) | instskip(NEXT) | instid1(VALU_DEP_1)
	v_cndmask_b32_e64 v1, 0, v1, s9
	v_add_nc_u32_e32 v1, v1, v31
	s_delay_alu instid0(VALU_DEP_1) | instskip(NEXT) | instid1(VALU_DEP_1)
	v_cndmask_b32_e64 v1, 0, v1, s8
	v_add_nc_u32_e32 v1, v1, v32
	s_delay_alu instid0(VALU_DEP_1) | instskip(NEXT) | instid1(VALU_DEP_1)
	;; [unrolled: 3-line block ×9, first 2 shown]
	v_cndmask_b32_e64 v1, 0, v1, s0
	v_add_nc_u32_e32 v1, v1, v24
	s_delay_alu instid0(VALU_DEP_1) | instskip(SKIP_1) | instid1(VALU_DEP_2)
	v_cndmask_b32_e32 v1, 0, v1, vcc_lo
	v_cmp_eq_u32_e32 vcc_lo, 0, v2
	v_add_nc_u32_e32 v1, v1, v79
	s_delay_alu instid0(VALU_DEP_1) | instskip(NEXT) | instid1(VALU_DEP_1)
	v_mov_b32_dpp v3, v1 row_shr:1 row_mask:0xf bank_mask:0xf
	v_dual_cndmask_b32 v3, 0, v3 :: v_dual_and_b32 v4, 15, v81
	s_delay_alu instid0(VALU_DEP_1) | instskip(SKIP_2) | instid1(VALU_DEP_4)
	v_cmp_eq_u32_e32 vcc_lo, 0, v4
	v_cmp_lt_u32_e64 s13, 1, v4
	v_cndmask_b32_e64 v5, v5, 0, vcc_lo
	v_cndmask_b32_e64 v3, v3, 0, vcc_lo
	s_delay_alu instid0(VALU_DEP_2) | instskip(NEXT) | instid1(VALU_DEP_2)
	v_add_nc_u32_e32 v2, v5, v2
	v_add_nc_u32_e32 v1, v3, v1
	s_delay_alu instid0(VALU_DEP_2) | instskip(SKIP_1) | instid1(VALU_DEP_3)
	v_mov_b32_dpp v3, v2 row_shr:2 row_mask:0xf bank_mask:0xf
	v_cmp_eq_u32_e32 vcc_lo, 0, v2
	v_mov_b32_dpp v5, v1 row_shr:2 row_mask:0xf bank_mask:0xf
	s_delay_alu instid0(VALU_DEP_3) | instskip(SKIP_2) | instid1(VALU_DEP_2)
	v_cndmask_b32_e64 v3, 0, v3, s13
	s_and_b32 vcc_lo, s13, vcc_lo
	v_cmp_lt_u32_e64 s13, 3, v4
	v_dual_cndmask_b32 v5, 0, v5 :: v_dual_add_nc_u32 v2, v2, v3
	s_delay_alu instid0(VALU_DEP_1) | instskip(NEXT) | instid1(VALU_DEP_2)
	v_add_nc_u32_e32 v1, v5, v1
	v_mov_b32_dpp v3, v2 row_shr:4 row_mask:0xf bank_mask:0xf
	v_cmp_eq_u32_e32 vcc_lo, 0, v2
	s_delay_alu instid0(VALU_DEP_3) | instskip(NEXT) | instid1(VALU_DEP_3)
	v_mov_b32_dpp v5, v1 row_shr:4 row_mask:0xf bank_mask:0xf
	v_cndmask_b32_e64 v3, 0, v3, s13
	s_and_b32 vcc_lo, s13, vcc_lo
	v_cmp_lt_u32_e64 s13, 7, v4
	s_delay_alu instid0(VALU_DEP_2) | instskip(NEXT) | instid1(VALU_DEP_1)
	v_dual_cndmask_b32 v5, 0, v5 :: v_dual_add_nc_u32 v2, v3, v2
	v_add_nc_u32_e32 v1, v1, v5
	v_bfe_i32 v5, v81, 4, 1
	s_delay_alu instid0(VALU_DEP_3) | instskip(SKIP_1) | instid1(VALU_DEP_4)
	v_cmp_eq_u32_e32 vcc_lo, 0, v2
	v_mov_b32_dpp v3, v2 row_shr:8 row_mask:0xf bank_mask:0xf
	v_mov_b32_dpp v4, v1 row_shr:8 row_mask:0xf bank_mask:0xf
	s_and_b32 vcc_lo, s13, vcc_lo
	s_delay_alu instid0(VALU_DEP_2) | instskip(SKIP_1) | instid1(VALU_DEP_2)
	v_cndmask_b32_e64 v3, 0, v3, s13
	s_mov_b32 s13, exec_lo
	v_cndmask_b32_e32 v4, 0, v4, vcc_lo
	s_delay_alu instid0(VALU_DEP_1) | instskip(NEXT) | instid1(VALU_DEP_3)
	v_add_nc_u32_e32 v4, v4, v1
	v_add_nc_u32_e32 v1, v3, v2
	ds_swizzle_b32 v2, v4 offset:swizzle(BROADCAST,32,15)
	ds_swizzle_b32 v3, v1 offset:swizzle(BROADCAST,32,15)
	v_cmp_eq_u32_e32 vcc_lo, 0, v1
	s_waitcnt lgkmcnt(0)
	v_dual_cndmask_b32 v2, 0, v2 :: v_dual_and_b32 v3, v5, v3
	s_delay_alu instid0(VALU_DEP_1) | instskip(NEXT) | instid1(VALU_DEP_2)
	v_and_b32_e32 v2, v5, v2
	v_add_nc_u32_e32 v1, v3, v1
	v_lshlrev_b32_e32 v3, 3, v82
	s_delay_alu instid0(VALU_DEP_3)
	v_add_nc_u32_e32 v2, v2, v4
	v_cmpx_eq_u32_e64 v83, v0
	s_cbranch_execz .LBB830_88
; %bb.87:
	ds_store_b64 v3, v[1:2] offset:2064
.LBB830_88:
	s_or_b32 exec_lo, exec_lo, s13
	s_delay_alu instid0(SALU_CYCLE_1)
	s_mov_b32 s14, exec_lo
	s_waitcnt lgkmcnt(0)
	s_barrier
	buffer_gl0_inv
	v_cmpx_gt_u32_e32 8, v0
	s_cbranch_execz .LBB830_90
; %bb.89:
	v_lshlrev_b32_e32 v6, 3, v0
	v_and_b32_e32 v8, 7, v81
	ds_load_b64 v[4:5], v6 offset:2064
	v_cmp_lt_u32_e64 s13, 1, v8
	s_waitcnt lgkmcnt(0)
	v_mov_b32_dpp v7, v5 row_shr:1 row_mask:0xf bank_mask:0xf
	v_cmp_eq_u32_e32 vcc_lo, 0, v4
	v_mov_b32_dpp v37, v4 row_shr:1 row_mask:0xf bank_mask:0xf
	s_delay_alu instid0(VALU_DEP_3) | instskip(SKIP_1) | instid1(VALU_DEP_3)
	v_cndmask_b32_e32 v7, 0, v7, vcc_lo
	v_cmp_eq_u32_e32 vcc_lo, 0, v8
	v_cndmask_b32_e64 v37, v37, 0, vcc_lo
	s_delay_alu instid0(VALU_DEP_3) | instskip(NEXT) | instid1(VALU_DEP_2)
	v_cndmask_b32_e64 v7, v7, 0, vcc_lo
	v_add_nc_u32_e32 v4, v37, v4
	s_delay_alu instid0(VALU_DEP_2) | instskip(NEXT) | instid1(VALU_DEP_2)
	v_add_nc_u32_e32 v5, v7, v5
	v_cmp_eq_u32_e32 vcc_lo, 0, v4
	s_delay_alu instid0(VALU_DEP_2) | instskip(SKIP_1) | instid1(VALU_DEP_1)
	v_mov_b32_dpp v37, v5 row_shr:2 row_mask:0xf bank_mask:0xf
	s_and_b32 vcc_lo, s13, vcc_lo
	v_cndmask_b32_e32 v37, 0, v37, vcc_lo
	v_mov_b32_dpp v7, v4 row_shr:2 row_mask:0xf bank_mask:0xf
	s_delay_alu instid0(VALU_DEP_2) | instskip(NEXT) | instid1(VALU_DEP_2)
	v_add_nc_u32_e32 v5, v37, v5
	v_cndmask_b32_e64 v7, 0, v7, s13
	v_cmp_lt_u32_e64 s13, 3, v8
	s_delay_alu instid0(VALU_DEP_3) | instskip(NEXT) | instid1(VALU_DEP_3)
	v_mov_b32_dpp v8, v5 row_shr:4 row_mask:0xf bank_mask:0xf
	v_add_nc_u32_e32 v4, v7, v4
	s_delay_alu instid0(VALU_DEP_1) | instskip(SKIP_2) | instid1(VALU_DEP_1)
	v_cmp_eq_u32_e32 vcc_lo, 0, v4
	v_mov_b32_dpp v7, v4 row_shr:4 row_mask:0xf bank_mask:0xf
	s_and_b32 vcc_lo, s13, vcc_lo
	v_cndmask_b32_e64 v7, 0, v7, s13
	v_cndmask_b32_e32 v8, 0, v8, vcc_lo
	s_delay_alu instid0(VALU_DEP_2) | instskip(NEXT) | instid1(VALU_DEP_2)
	v_add_nc_u32_e32 v4, v7, v4
	v_add_nc_u32_e32 v5, v8, v5
	ds_store_b64 v6, v[4:5] offset:2064
.LBB830_90:
	s_or_b32 exec_lo, exec_lo, s14
	v_cmp_gt_u32_e32 vcc_lo, 32, v0
	v_dual_mov_b32 v37, 0 :: v_dual_mov_b32 v38, 0
	s_mov_b32 s14, exec_lo
	s_waitcnt lgkmcnt(0)
	s_barrier
	buffer_gl0_inv
	v_cmpx_lt_u32_e32 31, v0
	s_cbranch_execz .LBB830_92
; %bb.91:
	ds_load_b64 v[37:38], v3 offset:2056
	v_cmp_eq_u32_e64 s13, 0, v1
	s_waitcnt lgkmcnt(0)
	s_delay_alu instid0(VALU_DEP_1) | instskip(SKIP_1) | instid1(VALU_DEP_2)
	v_cndmask_b32_e64 v3, 0, v38, s13
	v_add_nc_u32_e32 v1, v37, v1
	v_add_nc_u32_e32 v2, v3, v2
.LBB830_92:
	s_or_b32 exec_lo, exec_lo, s14
	v_add_nc_u32_e32 v3, -1, v81
	s_delay_alu instid0(VALU_DEP_1) | instskip(NEXT) | instid1(VALU_DEP_1)
	v_cmp_gt_i32_e64 s13, 0, v3
	v_cndmask_b32_e64 v3, v3, v81, s13
	v_cmp_eq_u32_e64 s13, 0, v81
	s_delay_alu instid0(VALU_DEP_2)
	v_lshlrev_b32_e32 v3, 2, v3
	ds_bpermute_b32 v43, v3, v1
	ds_bpermute_b32 v44, v3, v2
	s_and_saveexec_b32 s17, vcc_lo
	s_cbranch_execz .LBB830_115
; %bb.93:
	v_mov_b32_e32 v4, 0
	ds_load_b64 v[1:2], v4 offset:2120
	s_waitcnt lgkmcnt(0)
	v_readfirstlane_b32 s18, v2
	s_and_saveexec_b32 s14, s13
	s_cbranch_execz .LBB830_95
; %bb.94:
	s_add_i32 s20, s15, 32
	s_mov_b32 s21, 0
	v_mov_b32_e32 v3, 1
	s_lshl_b64 s[24:25], s[20:21], 4
	s_mov_b32 s38, s21
	s_add_u32 s24, s36, s24
	s_addc_u32 s25, s37, s25
	s_and_b32 s39, s18, 0xff000000
	s_and_b32 s43, s18, 0xff0000
	s_mov_b32 s42, s21
	v_dual_mov_b32 v5, s24 :: v_dual_mov_b32 v6, s25
	s_or_b64 s[38:39], s[42:43], s[38:39]
	s_and_b32 s43, s18, 0xff00
	s_delay_alu instid0(SALU_CYCLE_1) | instskip(SKIP_1) | instid1(SALU_CYCLE_1)
	s_or_b64 s[38:39], s[38:39], s[42:43]
	s_and_b32 s43, s18, 0xff
	s_or_b64 s[20:21], s[38:39], s[42:43]
	s_delay_alu instid0(SALU_CYCLE_1)
	v_mov_b32_e32 v2, s21
	;;#ASMSTART
	global_store_dwordx4 v[5:6], v[1:4] off	
s_waitcnt vmcnt(0)
	;;#ASMEND
.LBB830_95:
	s_or_b32 exec_lo, exec_lo, s14
	v_xad_u32 v39, v81, -1, s15
	s_mov_b32 s19, 0
	s_mov_b32 s14, exec_lo
	s_delay_alu instid0(VALU_DEP_1) | instskip(NEXT) | instid1(VALU_DEP_1)
	v_add_nc_u32_e32 v3, 32, v39
	v_lshlrev_b64 v[2:3], 4, v[3:4]
	s_delay_alu instid0(VALU_DEP_1) | instskip(NEXT) | instid1(VALU_DEP_2)
	v_add_co_u32 v2, vcc_lo, s36, v2
	v_add_co_ci_u32_e32 v3, vcc_lo, s37, v3, vcc_lo
	;;#ASMSTART
	global_load_dwordx4 v[5:8], v[2:3] off glc	
s_waitcnt vmcnt(0)
	;;#ASMEND
	v_and_b32_e32 v4, 0xff, v6
	v_and_b32_e32 v8, 0xff00, v6
	;; [unrolled: 1-line block ×3, first 2 shown]
	v_or3_b32 v5, v5, 0, 0
	v_and_b32_e32 v6, 0xff000000, v6
	s_delay_alu instid0(VALU_DEP_4) | instskip(SKIP_1) | instid1(VALU_DEP_4)
	v_or3_b32 v4, 0, v4, v8
	v_and_b32_e32 v8, 0xff, v7
	v_or3_b32 v5, v5, 0, 0
	s_delay_alu instid0(VALU_DEP_3) | instskip(NEXT) | instid1(VALU_DEP_3)
	v_or3_b32 v6, v4, v40, v6
	v_cmpx_eq_u16_e32 0, v8
	s_cbranch_execz .LBB830_101
; %bb.96:
	s_mov_b32 s20, 1
	.p2align	6
.LBB830_97:                             ; =>This Loop Header: Depth=1
                                        ;     Child Loop BB830_98 Depth 2
	s_delay_alu instid0(SALU_CYCLE_1)
	s_max_u32 s21, s20, 1
.LBB830_98:                             ;   Parent Loop BB830_97 Depth=1
                                        ; =>  This Inner Loop Header: Depth=2
	s_delay_alu instid0(SALU_CYCLE_1)
	s_add_i32 s21, s21, -1
	s_sleep 1
	s_cmp_eq_u32 s21, 0
	s_cbranch_scc0 .LBB830_98
; %bb.99:                               ;   in Loop: Header=BB830_97 Depth=1
	;;#ASMSTART
	global_load_dwordx4 v[5:8], v[2:3] off glc	
s_waitcnt vmcnt(0)
	;;#ASMEND
	v_and_b32_e32 v4, 0xff, v7
	s_cmp_lt_u32 s20, 32
	s_cselect_b32 s21, -1, 0
	s_delay_alu instid0(VALU_DEP_1) | instskip(SKIP_3) | instid1(SALU_CYCLE_1)
	v_cmp_ne_u16_e32 vcc_lo, 0, v4
	s_cmp_lg_u32 s21, 0
	s_addc_u32 s20, s20, 0
	s_or_b32 s19, vcc_lo, s19
	s_and_not1_b32 exec_lo, exec_lo, s19
	s_cbranch_execnz .LBB830_97
; %bb.100:
	s_or_b32 exec_lo, exec_lo, s19
.LBB830_101:
	s_delay_alu instid0(SALU_CYCLE_1)
	s_or_b32 exec_lo, exec_lo, s14
	v_cmp_ne_u32_e32 vcc_lo, 31, v81
	v_and_b32_e32 v3, 0xff, v7
	v_lshlrev_b32_e64 v45, v81, -1
	v_add_nc_u32_e32 v47, 2, v81
	v_add_nc_u32_e32 v49, 4, v81
	v_add_co_ci_u32_e32 v2, vcc_lo, 0, v81, vcc_lo
	v_cmp_eq_u16_e32 vcc_lo, 2, v3
	v_add_nc_u32_e32 v51, 8, v81
	v_add_nc_u32_e32 v53, 16, v81
	v_and_or_b32 v8, vcc_lo, v45, 0x80000000
	v_cmp_gt_u32_e32 vcc_lo, 30, v81
	s_delay_alu instid0(VALU_DEP_2) | instskip(SKIP_2) | instid1(VALU_DEP_3)
	v_ctz_i32_b32_e32 v8, v8
	v_cndmask_b32_e64 v40, 0, 1, vcc_lo
	v_cmp_eq_u32_e32 vcc_lo, 0, v5
	v_cmp_lt_u32_e64 s14, v81, v8
	s_delay_alu instid0(VALU_DEP_3) | instskip(NEXT) | instid1(VALU_DEP_2)
	v_lshlrev_b32_e32 v40, 1, v40
	s_and_b32 vcc_lo, s14, vcc_lo
	v_lshlrev_b32_e32 v2, 2, v2
	s_delay_alu instid0(VALU_DEP_2)
	v_add_lshl_u32 v46, v40, v81, 2
	ds_bpermute_b32 v3, v2, v6
	s_waitcnt lgkmcnt(0)
	v_cndmask_b32_e32 v3, 0, v3, vcc_lo
	ds_bpermute_b32 v4, v2, v5
	v_cmp_gt_u32_e32 vcc_lo, 28, v81
	v_add_nc_u32_e32 v3, v3, v6
	ds_bpermute_b32 v6, v46, v3
	s_waitcnt lgkmcnt(1)
	v_cndmask_b32_e64 v4, 0, v4, s14
	s_delay_alu instid0(VALU_DEP_1) | instskip(SKIP_1) | instid1(VALU_DEP_2)
	v_add_nc_u32_e32 v4, v4, v5
	v_cndmask_b32_e64 v5, 0, 1, vcc_lo
	v_cmp_eq_u32_e32 vcc_lo, 0, v4
	ds_bpermute_b32 v40, v46, v4
	s_waitcnt lgkmcnt(1)
	v_dual_cndmask_b32 v6, 0, v6 :: v_dual_lshlrev_b32 v5, 2, v5
	v_cmp_gt_u32_e32 vcc_lo, v47, v8
	s_delay_alu instid0(VALU_DEP_2) | instskip(NEXT) | instid1(VALU_DEP_3)
	v_add_lshl_u32 v48, v5, v81, 2
	v_cndmask_b32_e64 v6, v6, 0, vcc_lo
	s_delay_alu instid0(VALU_DEP_1) | instskip(SKIP_4) | instid1(VALU_DEP_2)
	v_add_nc_u32_e32 v3, v6, v3
	ds_bpermute_b32 v5, v48, v3
	s_waitcnt lgkmcnt(1)
	v_cndmask_b32_e64 v6, v40, 0, vcc_lo
	v_cmp_gt_u32_e32 vcc_lo, 24, v81
	v_add_nc_u32_e32 v4, v4, v6
	v_cndmask_b32_e64 v40, 0, 1, vcc_lo
	ds_bpermute_b32 v6, v48, v4
	v_cmp_eq_u32_e32 vcc_lo, 0, v4
	v_lshlrev_b32_e32 v40, 3, v40
	s_delay_alu instid0(VALU_DEP_1) | instskip(SKIP_3) | instid1(VALU_DEP_2)
	v_add_lshl_u32 v50, v40, v81, 2
	s_waitcnt lgkmcnt(1)
	v_cndmask_b32_e32 v5, 0, v5, vcc_lo
	v_cmp_gt_u32_e32 vcc_lo, v49, v8
	v_cndmask_b32_e64 v5, v5, 0, vcc_lo
	s_delay_alu instid0(VALU_DEP_1)
	v_add_nc_u32_e32 v3, v3, v5
	s_waitcnt lgkmcnt(0)
	v_cndmask_b32_e64 v6, v6, 0, vcc_lo
	v_cmp_gt_u32_e32 vcc_lo, 16, v81
	ds_bpermute_b32 v5, v50, v3
	v_add_nc_u32_e32 v4, v4, v6
	v_cndmask_b32_e64 v40, 0, 1, vcc_lo
	ds_bpermute_b32 v6, v50, v4
	v_cmp_eq_u32_e32 vcc_lo, 0, v4
	v_lshlrev_b32_e32 v40, 4, v40
	s_delay_alu instid0(VALU_DEP_1) | instskip(SKIP_3) | instid1(VALU_DEP_2)
	v_add_lshl_u32 v52, v40, v81, 2
	s_waitcnt lgkmcnt(1)
	v_dual_mov_b32 v40, 0 :: v_dual_cndmask_b32 v5, 0, v5
	v_cmp_gt_u32_e32 vcc_lo, v51, v8
	v_cndmask_b32_e64 v5, v5, 0, vcc_lo
	s_delay_alu instid0(VALU_DEP_1)
	v_add_nc_u32_e32 v3, v3, v5
	s_waitcnt lgkmcnt(0)
	v_cndmask_b32_e64 v5, v6, 0, vcc_lo
	ds_bpermute_b32 v6, v52, v3
	v_add_nc_u32_e32 v4, v4, v5
	ds_bpermute_b32 v5, v52, v4
	v_cmp_eq_u32_e32 vcc_lo, 0, v4
	s_waitcnt lgkmcnt(1)
	v_cndmask_b32_e32 v6, 0, v6, vcc_lo
	v_cmp_gt_u32_e32 vcc_lo, v53, v8
	s_delay_alu instid0(VALU_DEP_2) | instskip(SKIP_2) | instid1(VALU_DEP_2)
	v_cndmask_b32_e64 v6, v6, 0, vcc_lo
	s_waitcnt lgkmcnt(0)
	v_cndmask_b32_e64 v5, v5, 0, vcc_lo
	v_add_nc_u32_e32 v6, v6, v3
	s_delay_alu instid0(VALU_DEP_2)
	v_add_nc_u32_e32 v5, v5, v4
	s_branch .LBB830_103
.LBB830_102:                            ;   in Loop: Header=BB830_103 Depth=1
	s_or_b32 exec_lo, exec_lo, s14
	v_and_b32_e32 v8, 0xff, v7
	ds_bpermute_b32 v41, v2, v5
	v_subrev_nc_u32_e32 v39, 32, v39
	v_cmp_eq_u16_e32 vcc_lo, 2, v8
	ds_bpermute_b32 v8, v2, v6
	v_and_or_b32 v42, vcc_lo, v45, 0x80000000
	v_cmp_eq_u32_e32 vcc_lo, 0, v5
	s_delay_alu instid0(VALU_DEP_2) | instskip(NEXT) | instid1(VALU_DEP_1)
	v_ctz_i32_b32_e32 v42, v42
	v_cmp_lt_u32_e64 s14, v81, v42
	s_delay_alu instid0(VALU_DEP_1) | instskip(SKIP_4) | instid1(VALU_DEP_2)
	s_and_b32 vcc_lo, s14, vcc_lo
	s_waitcnt lgkmcnt(1)
	v_cndmask_b32_e64 v41, 0, v41, s14
	s_waitcnt lgkmcnt(0)
	v_cndmask_b32_e32 v8, 0, v8, vcc_lo
	v_add_nc_u32_e32 v5, v41, v5
	s_delay_alu instid0(VALU_DEP_2)
	v_add_nc_u32_e32 v6, v8, v6
	ds_bpermute_b32 v41, v46, v5
	ds_bpermute_b32 v8, v46, v6
	v_cmp_eq_u32_e32 vcc_lo, 0, v5
	s_waitcnt lgkmcnt(0)
	v_cndmask_b32_e32 v8, 0, v8, vcc_lo
	v_cmp_gt_u32_e32 vcc_lo, v47, v42
	v_cndmask_b32_e64 v41, v41, 0, vcc_lo
	s_delay_alu instid0(VALU_DEP_1) | instskip(NEXT) | instid1(VALU_DEP_4)
	v_add_nc_u32_e32 v5, v5, v41
	v_cndmask_b32_e64 v8, v8, 0, vcc_lo
	ds_bpermute_b32 v41, v48, v5
	v_add_nc_u32_e32 v6, v8, v6
	v_cmp_eq_u32_e32 vcc_lo, 0, v5
	ds_bpermute_b32 v8, v48, v6
	s_waitcnt lgkmcnt(0)
	v_cndmask_b32_e32 v8, 0, v8, vcc_lo
	v_cmp_gt_u32_e32 vcc_lo, v49, v42
	v_cndmask_b32_e64 v41, v41, 0, vcc_lo
	s_delay_alu instid0(VALU_DEP_1) | instskip(NEXT) | instid1(VALU_DEP_4)
	v_add_nc_u32_e32 v5, v5, v41
	v_cndmask_b32_e64 v8, v8, 0, vcc_lo
	ds_bpermute_b32 v41, v50, v5
	v_add_nc_u32_e32 v6, v6, v8
	v_cmp_eq_u32_e32 vcc_lo, 0, v5
	ds_bpermute_b32 v8, v50, v6
	;; [unrolled: 11-line block ×3, first 2 shown]
	s_waitcnt lgkmcnt(0)
	v_cndmask_b32_e32 v8, 0, v8, vcc_lo
	v_cmp_gt_u32_e32 vcc_lo, v53, v42
	s_delay_alu instid0(VALU_DEP_2) | instskip(NEXT) | instid1(VALU_DEP_1)
	v_cndmask_b32_e64 v8, v8, 0, vcc_lo
	v_add_nc_u32_e32 v6, v8, v6
	v_cndmask_b32_e64 v8, v41, 0, vcc_lo
	v_cmp_eq_u32_e32 vcc_lo, 0, v3
	s_delay_alu instid0(VALU_DEP_2) | instskip(NEXT) | instid1(VALU_DEP_4)
	v_add3_u32 v5, v5, v3, v8
	v_cndmask_b32_e32 v6, 0, v6, vcc_lo
	s_delay_alu instid0(VALU_DEP_1)
	v_add_nc_u32_e32 v6, v6, v4
.LBB830_103:                            ; =>This Loop Header: Depth=1
                                        ;     Child Loop BB830_106 Depth 2
                                        ;       Child Loop BB830_107 Depth 3
	s_delay_alu instid0(VALU_DEP_1) | instskip(NEXT) | instid1(VALU_DEP_1)
	v_dual_mov_b32 v4, v6 :: v_dual_and_b32 v3, 0xff, v7
	v_cmp_ne_u16_e32 vcc_lo, 2, v3
	v_cndmask_b32_e64 v3, 0, 1, vcc_lo
	;;#ASMSTART
	;;#ASMEND
	s_delay_alu instid0(VALU_DEP_1)
	v_cmp_ne_u32_e32 vcc_lo, 0, v3
	v_mov_b32_e32 v3, v5
	s_cmp_lg_u32 vcc_lo, exec_lo
	s_cbranch_scc1 .LBB830_110
; %bb.104:                              ;   in Loop: Header=BB830_103 Depth=1
	v_lshlrev_b64 v[5:6], 4, v[39:40]
	s_mov_b32 s14, exec_lo
	s_delay_alu instid0(VALU_DEP_1) | instskip(NEXT) | instid1(VALU_DEP_2)
	v_add_co_u32 v41, vcc_lo, s36, v5
	v_add_co_ci_u32_e32 v42, vcc_lo, s37, v6, vcc_lo
	;;#ASMSTART
	global_load_dwordx4 v[5:8], v[41:42] off glc	
s_waitcnt vmcnt(0)
	;;#ASMEND
	v_and_b32_e32 v8, 0xff, v6
	v_and_b32_e32 v54, 0xff00, v6
	;; [unrolled: 1-line block ×3, first 2 shown]
	v_or3_b32 v5, v5, 0, 0
	v_and_b32_e32 v6, 0xff000000, v6
	s_delay_alu instid0(VALU_DEP_4) | instskip(SKIP_1) | instid1(VALU_DEP_4)
	v_or3_b32 v8, 0, v8, v54
	v_and_b32_e32 v54, 0xff, v7
	v_or3_b32 v5, v5, 0, 0
	s_delay_alu instid0(VALU_DEP_3) | instskip(NEXT) | instid1(VALU_DEP_3)
	v_or3_b32 v6, v8, v55, v6
	v_cmpx_eq_u16_e32 0, v54
	s_cbranch_execz .LBB830_102
; %bb.105:                              ;   in Loop: Header=BB830_103 Depth=1
	s_mov_b32 s20, 1
	s_mov_b32 s19, 0
	.p2align	6
.LBB830_106:                            ;   Parent Loop BB830_103 Depth=1
                                        ; =>  This Loop Header: Depth=2
                                        ;       Child Loop BB830_107 Depth 3
	s_max_u32 s21, s20, 1
.LBB830_107:                            ;   Parent Loop BB830_103 Depth=1
                                        ;     Parent Loop BB830_106 Depth=2
                                        ; =>    This Inner Loop Header: Depth=3
	s_delay_alu instid0(SALU_CYCLE_1)
	s_add_i32 s21, s21, -1
	s_sleep 1
	s_cmp_eq_u32 s21, 0
	s_cbranch_scc0 .LBB830_107
; %bb.108:                              ;   in Loop: Header=BB830_106 Depth=2
	;;#ASMSTART
	global_load_dwordx4 v[5:8], v[41:42] off glc	
s_waitcnt vmcnt(0)
	;;#ASMEND
	v_and_b32_e32 v8, 0xff, v7
	s_cmp_lt_u32 s20, 32
	s_cselect_b32 s21, -1, 0
	s_delay_alu instid0(SALU_CYCLE_1) | instskip(NEXT) | instid1(VALU_DEP_1)
	s_cmp_lg_u32 s21, 0
	v_cmp_ne_u16_e32 vcc_lo, 0, v8
	s_addc_u32 s20, s20, 0
	s_or_b32 s19, vcc_lo, s19
	s_delay_alu instid0(SALU_CYCLE_1)
	s_and_not1_b32 exec_lo, exec_lo, s19
	s_cbranch_execnz .LBB830_106
; %bb.109:                              ;   in Loop: Header=BB830_103 Depth=1
	s_or_b32 exec_lo, exec_lo, s19
	s_branch .LBB830_102
.LBB830_110:                            ;   in Loop: Header=BB830_103 Depth=1
                                        ; implicit-def: $vgpr6
                                        ; implicit-def: $vgpr5
                                        ; implicit-def: $vgpr7
	s_cbranch_execz .LBB830_103
; %bb.111:
	s_and_saveexec_b32 s14, s13
	s_cbranch_execz .LBB830_113
; %bb.112:
	v_cmp_eq_u32_e32 vcc_lo, 0, v1
	s_mov_b32 s21, 0
	s_add_i32 s20, s15, 32
	v_add_nc_u32_e32 v5, v3, v1
	s_lshl_b64 s[20:21], s[20:21], 4
	v_cndmask_b32_e32 v2, 0, v4, vcc_lo
	s_add_u32 s20, s36, s20
	s_addc_u32 s21, s37, s21
	v_mov_b32_e32 v8, 0
	s_delay_alu instid0(VALU_DEP_2) | instskip(NEXT) | instid1(VALU_DEP_1)
	v_add_nc_u32_e32 v2, s18, v2
	v_and_b32_e32 v6, 0xff000000, v2
	v_and_b32_e32 v7, 0xff0000, v2
	s_delay_alu instid0(VALU_DEP_1) | instskip(SKIP_3) | instid1(VALU_DEP_1)
	v_or_b32_e32 v6, v7, v6
	v_mov_b32_e32 v7, 2
	v_and_b32_e32 v39, 0xff00, v2
	v_and_b32_e32 v2, 0xff, v2
	v_or3_b32 v6, v6, v39, v2
	v_mov_b32_e32 v2, s18
	v_dual_mov_b32 v40, s21 :: v_dual_mov_b32 v39, s20
	;;#ASMSTART
	global_store_dwordx4 v[39:40], v[5:8] off	
s_waitcnt vmcnt(0)
	;;#ASMEND
	ds_store_b128 v8, v[1:4] offset:2048
.LBB830_113:
	s_or_b32 exec_lo, exec_lo, s14
	v_cmp_eq_u32_e32 vcc_lo, 0, v0
	s_and_b32 exec_lo, exec_lo, vcc_lo
	s_cbranch_execz .LBB830_115
; %bb.114:
	v_mov_b32_e32 v1, 0
	ds_store_b64 v1, v[3:4] offset:2120
.LBB830_115:
	s_or_b32 exec_lo, exec_lo, s17
	s_waitcnt lgkmcnt(1)
	v_cndmask_b32_e64 v4, v43, v37, s13
	s_waitcnt lgkmcnt(0)
	s_barrier
	buffer_gl0_inv
	v_cndmask_b32_e64 v5, v44, v38, s13
	v_cmp_eq_u32_e32 vcc_lo, 0, v4
	v_mov_b32_e32 v3, 0
	v_cmp_eq_u32_e64 s13, 0, v78
	ds_load_b64 v[1:2], v3 offset:2120
	s_waitcnt lgkmcnt(0)
	s_barrier
	buffer_gl0_inv
	v_cndmask_b32_e32 v6, 0, v2, vcc_lo
	v_cmp_eq_u32_e32 vcc_lo, 0, v0
	s_delay_alu instid0(VALU_DEP_2) | instskip(NEXT) | instid1(VALU_DEP_1)
	v_add_nc_u32_e32 v5, v6, v5
	v_cndmask_b32_e32 v54, v5, v2, vcc_lo
	s_delay_alu instid0(VALU_DEP_1) | instskip(NEXT) | instid1(VALU_DEP_1)
	v_cndmask_b32_e64 v2, 0, v54, s13
	v_add_nc_u32_e32 v60, v2, v35
	s_delay_alu instid0(VALU_DEP_1) | instskip(NEXT) | instid1(VALU_DEP_1)
	v_cndmask_b32_e64 v2, 0, v60, s12
	v_add_nc_u32_e32 v56, v2, v36
	;; [unrolled: 3-line block ×6, first 2 shown]
	v_cndmask_b32_e64 v2, v4, 0, vcc_lo
	s_delay_alu instid0(VALU_DEP_2) | instskip(NEXT) | instid1(VALU_DEP_2)
	v_cndmask_b32_e64 v4, 0, v40, s7
	v_add_nc_u32_e32 v53, v1, v2
	s_delay_alu instid0(VALU_DEP_2) | instskip(NEXT) | instid1(VALU_DEP_2)
	v_add_nc_u32_e32 v44, v4, v29
	v_add_nc_u32_e32 v59, v53, v78
	s_delay_alu instid0(VALU_DEP_2) | instskip(NEXT) | instid1(VALU_DEP_2)
	v_cndmask_b32_e64 v1, 0, v44, s6
	v_add_nc_u32_e32 v55, v59, v77
	s_delay_alu instid0(VALU_DEP_2) | instskip(NEXT) | instid1(VALU_DEP_2)
	v_add_nc_u32_e32 v48, v1, v30
	v_add_nc_u32_e32 v51, v55, v76
	;; [unrolled: 6-line block ×4, first 2 shown]
	s_delay_alu instid0(VALU_DEP_2) | instskip(NEXT) | instid1(VALU_DEP_2)
	v_cndmask_b32_e64 v1, 0, v8, s3
	v_add_nc_u32_e32 v47, v43, v70
	s_delay_alu instid0(VALU_DEP_2) | instskip(SKIP_3) | instid1(VALU_DEP_2)
	v_add_nc_u32_e32 v38, v1, v25
	ds_load_b128 v[1:4], v3 offset:2048
	v_add_nc_u32_e32 v5, v47, v69
	v_cndmask_b32_e64 v37, 0, v38, s2
	v_add_nc_u32_e32 v7, v5, v68
	s_delay_alu instid0(VALU_DEP_2) | instskip(NEXT) | instid1(VALU_DEP_2)
	v_add_nc_u32_e32 v62, v37, v26
	v_add_nc_u32_e32 v37, v7, v67
	s_delay_alu instid0(VALU_DEP_2) | instskip(NEXT) | instid1(VALU_DEP_2)
	v_cndmask_b32_e64 v49, 0, v62, s1
	v_add_nc_u32_e32 v61, v37, v66
	s_delay_alu instid0(VALU_DEP_2) | instskip(SKIP_2) | instid1(VALU_DEP_3)
	v_add_nc_u32_e32 v58, v49, v23
	s_waitcnt lgkmcnt(0)
	v_cmp_eq_u32_e32 vcc_lo, 0, v1
	v_add_nc_u32_e32 v57, v61, v65
	s_delay_alu instid0(VALU_DEP_3) | instskip(SKIP_1) | instid1(VALU_DEP_3)
	v_cndmask_b32_e64 v50, 0, v58, s0
	v_cndmask_b32_e32 v4, 0, v4, vcc_lo
	v_add_nc_u32_e32 v49, v57, v64
	s_delay_alu instid0(VALU_DEP_3) | instskip(NEXT) | instid1(VALU_DEP_3)
	v_add_nc_u32_e32 v50, v50, v24
	v_add_nc_u32_e32 v80, v4, v2
	s_branch .LBB830_128
.LBB830_116:
                                        ; implicit-def: $vgpr1
                                        ; implicit-def: $vgpr80
                                        ; implicit-def: $vgpr53_vgpr54
                                        ; implicit-def: $vgpr59_vgpr60
                                        ; implicit-def: $vgpr55_vgpr56
                                        ; implicit-def: $vgpr51_vgpr52
                                        ; implicit-def: $vgpr45_vgpr46
                                        ; implicit-def: $vgpr41_vgpr42
                                        ; implicit-def: $vgpr39_vgpr40
                                        ; implicit-def: $vgpr43_vgpr44
                                        ; implicit-def: $vgpr47_vgpr48
                                        ; implicit-def: $vgpr5_vgpr6
                                        ; implicit-def: $vgpr7_vgpr8
                                        ; implicit-def: $vgpr37_vgpr38
                                        ; implicit-def: $vgpr61_vgpr62
                                        ; implicit-def: $vgpr57_vgpr58
                                        ; implicit-def: $vgpr49_vgpr50
	s_cbranch_execz .LBB830_128
; %bb.117:
	s_and_b32 s0, s16, exec_lo
	v_mov_b32_e32 v49, v35
	s_cselect_b32 s1, 0, s35
	s_cselect_b32 s0, 0, s34
	s_delay_alu instid0(SALU_CYCLE_1)
	s_cmp_eq_u64 s[0:1], 0
	s_cbranch_scc1 .LBB830_119
; %bb.118:
	v_mov_b32_e32 v1, 0
	global_load_b32 v49, v1, s[0:1]
.LBB830_119:
	v_cmp_eq_u32_e64 s6, 0, v77
	v_cmp_eq_u32_e64 s7, 0, v76
	;; [unrolled: 1-line block ×5, first 2 shown]
	v_cndmask_b32_e64 v1, 0, v35, s6
	v_cmp_eq_u32_e64 s11, 0, v72
	v_cmp_eq_u32_e64 s5, 0, v70
	;; [unrolled: 1-line block ×4, first 2 shown]
	v_add_nc_u32_e32 v1, v1, v36
	v_cmp_eq_u32_e64 s2, 0, v67
	v_add3_u32 v2, v84, v73, v72
	v_cmp_eq_u32_e64 s1, 0, v66
	v_cmp_eq_u32_e32 vcc_lo, 0, v65
	v_cndmask_b32_e64 v1, 0, v1, s7
	v_cmp_eq_u32_e64 s0, 0, v64
	v_add3_u32 v2, v2, v70, v69
	v_cmp_eq_u32_e64 s12, 0, v71
	v_and_b32_e32 v4, 15, v81
	v_add_nc_u32_e32 v1, v1, v33
	s_delay_alu instid0(VALU_DEP_4) | instskip(NEXT) | instid1(VALU_DEP_3)
	v_add3_u32 v2, v2, v68, v67
	v_cmp_lt_u32_e64 s13, 1, v4
	s_delay_alu instid0(VALU_DEP_3) | instskip(NEXT) | instid1(VALU_DEP_3)
	v_cndmask_b32_e64 v1, 0, v1, s8
	v_add3_u32 v2, v2, v66, v65
	s_delay_alu instid0(VALU_DEP_2) | instskip(NEXT) | instid1(VALU_DEP_2)
	v_add_nc_u32_e32 v1, v1, v34
	v_add3_u32 v2, v2, v64, v71
	s_delay_alu instid0(VALU_DEP_2) | instskip(NEXT) | instid1(VALU_DEP_2)
	v_cndmask_b32_e64 v1, 0, v1, s9
	v_mov_b32_dpp v5, v2 row_shr:1 row_mask:0xf bank_mask:0xf
	s_delay_alu instid0(VALU_DEP_2) | instskip(NEXT) | instid1(VALU_DEP_1)
	v_add_nc_u32_e32 v1, v1, v31
	v_cndmask_b32_e64 v1, 0, v1, s10
	s_delay_alu instid0(VALU_DEP_1) | instskip(NEXT) | instid1(VALU_DEP_1)
	v_add_nc_u32_e32 v1, v1, v32
	v_cndmask_b32_e64 v1, 0, v1, s11
	s_delay_alu instid0(VALU_DEP_1) | instskip(NEXT) | instid1(VALU_DEP_1)
	;; [unrolled: 3-line block ×7, first 2 shown]
	v_add_nc_u32_e32 v1, v1, v26
	v_cndmask_b32_e32 v1, 0, v1, vcc_lo
	s_delay_alu instid0(VALU_DEP_1) | instskip(NEXT) | instid1(VALU_DEP_1)
	v_add_nc_u32_e32 v1, v1, v23
	v_cndmask_b32_e64 v1, 0, v1, s0
	s_delay_alu instid0(VALU_DEP_1) | instskip(NEXT) | instid1(VALU_DEP_1)
	v_add_nc_u32_e32 v1, v1, v24
	v_cndmask_b32_e64 v1, 0, v1, s12
	v_cmp_eq_u32_e64 s12, 0, v2
	s_delay_alu instid0(VALU_DEP_2) | instskip(NEXT) | instid1(VALU_DEP_1)
	v_add_nc_u32_e32 v1, v1, v79
	v_mov_b32_dpp v3, v1 row_shr:1 row_mask:0xf bank_mask:0xf
	s_delay_alu instid0(VALU_DEP_1) | instskip(SKIP_1) | instid1(VALU_DEP_1)
	v_cndmask_b32_e64 v3, 0, v3, s12
	v_cmp_eq_u32_e64 s12, 0, v4
	v_cndmask_b32_e64 v5, v5, 0, s12
	s_delay_alu instid0(VALU_DEP_3) | instskip(NEXT) | instid1(VALU_DEP_2)
	v_cndmask_b32_e64 v3, v3, 0, s12
	v_add_nc_u32_e32 v2, v5, v2
	s_delay_alu instid0(VALU_DEP_2) | instskip(NEXT) | instid1(VALU_DEP_2)
	v_add_nc_u32_e32 v1, v3, v1
	v_mov_b32_dpp v3, v2 row_shr:2 row_mask:0xf bank_mask:0xf
	v_cmp_eq_u32_e64 s12, 0, v2
	s_delay_alu instid0(VALU_DEP_3) | instskip(NEXT) | instid1(VALU_DEP_3)
	v_mov_b32_dpp v5, v1 row_shr:2 row_mask:0xf bank_mask:0xf
	v_cndmask_b32_e64 v3, 0, v3, s13
	s_delay_alu instid0(VALU_DEP_3) | instskip(SKIP_1) | instid1(VALU_DEP_3)
	s_and_b32 s12, s13, s12
	v_cmp_lt_u32_e64 s13, 3, v4
	v_cndmask_b32_e64 v5, 0, v5, s12
	s_delay_alu instid0(VALU_DEP_3) | instskip(NEXT) | instid1(VALU_DEP_2)
	v_add_nc_u32_e32 v2, v2, v3
	v_add_nc_u32_e32 v1, v5, v1
	s_delay_alu instid0(VALU_DEP_2) | instskip(SKIP_1) | instid1(VALU_DEP_3)
	v_mov_b32_dpp v3, v2 row_shr:4 row_mask:0xf bank_mask:0xf
	v_cmp_eq_u32_e64 s12, 0, v2
	v_mov_b32_dpp v5, v1 row_shr:4 row_mask:0xf bank_mask:0xf
	s_delay_alu instid0(VALU_DEP_3) | instskip(NEXT) | instid1(VALU_DEP_3)
	v_cndmask_b32_e64 v3, 0, v3, s13
	s_and_b32 s12, s13, s12
	v_cmp_lt_u32_e64 s13, 7, v4
	s_delay_alu instid0(VALU_DEP_3) | instskip(NEXT) | instid1(VALU_DEP_3)
	v_cndmask_b32_e64 v5, 0, v5, s12
	v_add_nc_u32_e32 v2, v3, v2
	s_delay_alu instid0(VALU_DEP_2) | instskip(SKIP_1) | instid1(VALU_DEP_3)
	v_add_nc_u32_e32 v1, v1, v5
	v_bfe_i32 v5, v81, 4, 1
	v_cmp_eq_u32_e64 s12, 0, v2
	v_mov_b32_dpp v3, v2 row_shr:8 row_mask:0xf bank_mask:0xf
	s_delay_alu instid0(VALU_DEP_4) | instskip(NEXT) | instid1(VALU_DEP_3)
	v_mov_b32_dpp v4, v1 row_shr:8 row_mask:0xf bank_mask:0xf
	s_and_b32 s12, s13, s12
	s_delay_alu instid0(VALU_DEP_2) | instskip(SKIP_1) | instid1(VALU_DEP_2)
	v_cndmask_b32_e64 v3, 0, v3, s13
	s_mov_b32 s13, exec_lo
	v_cndmask_b32_e64 v4, 0, v4, s12
	s_delay_alu instid0(VALU_DEP_1) | instskip(NEXT) | instid1(VALU_DEP_3)
	v_add_nc_u32_e32 v4, v4, v1
	v_add_nc_u32_e32 v1, v3, v2
	ds_swizzle_b32 v2, v4 offset:swizzle(BROADCAST,32,15)
	ds_swizzle_b32 v3, v1 offset:swizzle(BROADCAST,32,15)
	v_cmp_eq_u32_e64 s12, 0, v1
	s_waitcnt lgkmcnt(1)
	s_delay_alu instid0(VALU_DEP_1) | instskip(SKIP_2) | instid1(VALU_DEP_2)
	v_cndmask_b32_e64 v2, 0, v2, s12
	s_waitcnt lgkmcnt(0)
	v_and_b32_e32 v3, v5, v3
	v_and_b32_e32 v2, v5, v2
	s_delay_alu instid0(VALU_DEP_2) | instskip(NEXT) | instid1(VALU_DEP_2)
	v_add_nc_u32_e32 v1, v3, v1
	v_add_nc_u32_e32 v2, v2, v4
	v_cmpx_eq_u32_e64 v83, v0
	s_cbranch_execz .LBB830_121
; %bb.120:
	v_lshlrev_b32_e32 v3, 3, v82
	ds_store_b64 v3, v[1:2] offset:2064
.LBB830_121:
	s_or_b32 exec_lo, exec_lo, s13
	s_delay_alu instid0(SALU_CYCLE_1)
	s_mov_b32 s14, exec_lo
	s_waitcnt vmcnt(0) lgkmcnt(0)
	s_barrier
	buffer_gl0_inv
	v_cmpx_gt_u32_e32 8, v0
	s_cbranch_execz .LBB830_123
; %bb.122:
	v_lshlrev_b32_e32 v5, 3, v0
	v_and_b32_e32 v7, 7, v81
	ds_load_b64 v[3:4], v5 offset:2064
	v_cmp_lt_u32_e64 s13, 1, v7
	s_waitcnt lgkmcnt(0)
	v_mov_b32_dpp v6, v4 row_shr:1 row_mask:0xf bank_mask:0xf
	v_cmp_eq_u32_e64 s12, 0, v3
	v_mov_b32_dpp v8, v3 row_shr:1 row_mask:0xf bank_mask:0xf
	s_delay_alu instid0(VALU_DEP_2) | instskip(SKIP_1) | instid1(VALU_DEP_1)
	v_cndmask_b32_e64 v6, 0, v6, s12
	v_cmp_eq_u32_e64 s12, 0, v7
	v_cndmask_b32_e64 v8, v8, 0, s12
	s_delay_alu instid0(VALU_DEP_3) | instskip(NEXT) | instid1(VALU_DEP_2)
	v_cndmask_b32_e64 v6, v6, 0, s12
	v_add_nc_u32_e32 v3, v8, v3
	s_delay_alu instid0(VALU_DEP_2) | instskip(NEXT) | instid1(VALU_DEP_2)
	v_add_nc_u32_e32 v4, v6, v4
	v_mov_b32_dpp v6, v3 row_shr:2 row_mask:0xf bank_mask:0xf
	v_cmp_eq_u32_e64 s12, 0, v3
	s_delay_alu instid0(VALU_DEP_3) | instskip(NEXT) | instid1(VALU_DEP_3)
	v_mov_b32_dpp v8, v4 row_shr:2 row_mask:0xf bank_mask:0xf
	v_cndmask_b32_e64 v6, 0, v6, s13
	s_delay_alu instid0(VALU_DEP_3) | instskip(SKIP_1) | instid1(VALU_DEP_3)
	s_and_b32 s12, s13, s12
	v_cmp_lt_u32_e64 s13, 3, v7
	v_cndmask_b32_e64 v8, 0, v8, s12
	s_delay_alu instid0(VALU_DEP_3) | instskip(NEXT) | instid1(VALU_DEP_2)
	v_add_nc_u32_e32 v3, v6, v3
	v_add_nc_u32_e32 v4, v8, v4
	s_delay_alu instid0(VALU_DEP_2) | instskip(SKIP_1) | instid1(VALU_DEP_3)
	v_cmp_eq_u32_e64 s12, 0, v3
	v_mov_b32_dpp v6, v3 row_shr:4 row_mask:0xf bank_mask:0xf
	v_mov_b32_dpp v7, v4 row_shr:4 row_mask:0xf bank_mask:0xf
	s_delay_alu instid0(VALU_DEP_3) | instskip(NEXT) | instid1(VALU_DEP_2)
	s_and_b32 s12, s13, s12
	v_cndmask_b32_e64 v6, 0, v6, s13
	s_delay_alu instid0(VALU_DEP_2) | instskip(NEXT) | instid1(VALU_DEP_2)
	v_cndmask_b32_e64 v7, 0, v7, s12
	v_add_nc_u32_e32 v3, v6, v3
	s_delay_alu instid0(VALU_DEP_2)
	v_add_nc_u32_e32 v4, v7, v4
	ds_store_b64 v5, v[3:4] offset:2064
.LBB830_123:
	s_or_b32 exec_lo, exec_lo, s14
	v_dual_mov_b32 v7, 0 :: v_dual_mov_b32 v4, v49
	v_mov_b32_e32 v3, 0
	s_mov_b32 s13, exec_lo
	s_waitcnt lgkmcnt(0)
	s_barrier
	buffer_gl0_inv
	v_cmpx_lt_u32_e32 31, v0
	s_cbranch_execz .LBB830_125
; %bb.124:
	v_lshlrev_b32_e32 v3, 3, v82
	ds_load_b64 v[3:4], v3 offset:2056
	s_waitcnt lgkmcnt(0)
	v_cmp_eq_u32_e64 s12, 0, v3
	s_delay_alu instid0(VALU_DEP_1) | instskip(NEXT) | instid1(VALU_DEP_1)
	v_cndmask_b32_e64 v5, 0, v49, s12
	v_add_nc_u32_e32 v4, v5, v4
.LBB830_125:
	s_or_b32 exec_lo, exec_lo, s13
	v_add_nc_u32_e32 v5, -1, v81
	v_cmp_eq_u32_e64 s13, 0, v78
	s_delay_alu instid0(VALU_DEP_2) | instskip(NEXT) | instid1(VALU_DEP_1)
	v_cmp_gt_i32_e64 s12, 0, v5
	v_cndmask_b32_e64 v5, v5, v81, s12
	v_cmp_eq_u32_e64 s12, 0, v1
	v_add_nc_u32_e32 v1, v3, v1
	s_delay_alu instid0(VALU_DEP_3) | instskip(NEXT) | instid1(VALU_DEP_3)
	v_lshlrev_b32_e32 v5, 2, v5
	v_cndmask_b32_e64 v6, 0, v4, s12
	v_cmp_eq_u32_e64 s12, 0, v81
	ds_bpermute_b32 v1, v5, v1
	v_add_nc_u32_e32 v2, v6, v2
	ds_bpermute_b32 v2, v5, v2
	s_waitcnt lgkmcnt(1)
	v_cndmask_b32_e64 v1, v1, v3, s12
	s_waitcnt lgkmcnt(0)
	v_cndmask_b32_e64 v2, v2, v4, s12
	v_cmp_eq_u32_e64 s12, 0, v0
	s_delay_alu instid0(VALU_DEP_1) | instskip(SKIP_1) | instid1(VALU_DEP_2)
	v_cndmask_b32_e64 v54, v2, v49, s12
	v_cndmask_b32_e64 v53, v1, 0, s12
	v_cndmask_b32_e64 v2, 0, v54, s13
	s_delay_alu instid0(VALU_DEP_1) | instskip(NEXT) | instid1(VALU_DEP_1)
	v_add_nc_u32_e32 v60, v2, v35
	v_cndmask_b32_e64 v2, 0, v60, s6
	s_delay_alu instid0(VALU_DEP_1) | instskip(NEXT) | instid1(VALU_DEP_1)
	v_add_nc_u32_e32 v56, v2, v36
	v_cndmask_b32_e64 v2, 0, v56, s7
	s_delay_alu instid0(VALU_DEP_1) | instskip(NEXT) | instid1(VALU_DEP_1)
	v_add_nc_u32_e32 v52, v2, v33
	v_cndmask_b32_e64 v2, 0, v52, s8
	s_delay_alu instid0(VALU_DEP_1) | instskip(NEXT) | instid1(VALU_DEP_1)
	v_add_nc_u32_e32 v46, v2, v34
	v_cndmask_b32_e64 v2, 0, v46, s9
	s_delay_alu instid0(VALU_DEP_1) | instskip(NEXT) | instid1(VALU_DEP_1)
	v_add_nc_u32_e32 v42, v2, v31
	v_cndmask_b32_e64 v2, 0, v42, s10
	s_delay_alu instid0(VALU_DEP_1) | instskip(NEXT) | instid1(VALU_DEP_1)
	v_add_nc_u32_e32 v40, v2, v32
	v_cndmask_b32_e64 v2, 0, v40, s11
	s_delay_alu instid0(VALU_DEP_1) | instskip(NEXT) | instid1(VALU_DEP_1)
	v_add_nc_u32_e32 v44, v2, v29
	v_cndmask_b32_e64 v1, 0, v44, s5
	s_delay_alu instid0(VALU_DEP_1) | instskip(NEXT) | instid1(VALU_DEP_1)
	v_add_nc_u32_e32 v48, v1, v30
	v_cndmask_b32_e64 v1, 0, v48, s4
	s_delay_alu instid0(VALU_DEP_1) | instskip(NEXT) | instid1(VALU_DEP_1)
	v_add_nc_u32_e32 v6, v1, v27
	v_cndmask_b32_e64 v1, 0, v6, s3
	s_delay_alu instid0(VALU_DEP_1) | instskip(NEXT) | instid1(VALU_DEP_1)
	v_add_nc_u32_e32 v8, v1, v28
	v_cndmask_b32_e64 v1, 0, v8, s2
	s_delay_alu instid0(VALU_DEP_1) | instskip(SKIP_2) | instid1(VALU_DEP_1)
	v_add_nc_u32_e32 v38, v1, v25
	ds_load_b64 v[1:2], v7 offset:2120
	v_cndmask_b32_e64 v3, 0, v38, s1
	v_add_nc_u32_e32 v62, v3, v26
	s_delay_alu instid0(VALU_DEP_1) | instskip(NEXT) | instid1(VALU_DEP_1)
	v_cndmask_b32_e32 v3, 0, v62, vcc_lo
	v_add_nc_u32_e32 v58, v3, v23
	s_waitcnt lgkmcnt(0)
	v_cmp_eq_u32_e32 vcc_lo, 0, v1
	v_add_nc_u32_e32 v59, v53, v78
	s_delay_alu instid0(VALU_DEP_3) | instskip(SKIP_1) | instid1(VALU_DEP_3)
	v_cndmask_b32_e64 v3, 0, v58, s0
	v_cndmask_b32_e32 v4, 0, v49, vcc_lo
	v_add_nc_u32_e32 v55, v59, v77
	s_delay_alu instid0(VALU_DEP_3) | instskip(NEXT) | instid1(VALU_DEP_3)
	v_add_nc_u32_e32 v50, v3, v24
	v_add_nc_u32_e32 v80, v4, v2
	s_delay_alu instid0(VALU_DEP_3) | instskip(NEXT) | instid1(VALU_DEP_1)
	v_add_nc_u32_e32 v51, v55, v76
	v_add_nc_u32_e32 v45, v51, v75
	s_delay_alu instid0(VALU_DEP_1) | instskip(NEXT) | instid1(VALU_DEP_1)
	v_add_nc_u32_e32 v41, v45, v74
	v_add_nc_u32_e32 v39, v41, v73
	s_delay_alu instid0(VALU_DEP_1) | instskip(NEXT) | instid1(VALU_DEP_1)
	;; [unrolled: 3-line block ×5, first 2 shown]
	v_add_nc_u32_e32 v57, v61, v65
	v_add_nc_u32_e32 v49, v57, v64
	s_and_saveexec_b32 s0, s12
	s_cbranch_execz .LBB830_127
; %bb.126:
	v_and_b32_e32 v2, 0xff000000, v80
	v_dual_mov_b32 v4, 0 :: v_dual_and_b32 v3, 0xff0000, v80
	s_add_u32 s2, s36, 0x200
	v_and_b32_e32 v23, 0xff00, v80
	s_addc_u32 s3, s37, 0
	v_and_b32_e32 v24, 0xff, v80
	v_or_b32_e32 v2, v3, v2
	v_mov_b32_e32 v3, 2
	s_delay_alu instid0(VALU_DEP_2)
	v_or3_b32 v2, v2, v23, v24
	v_dual_mov_b32 v24, s3 :: v_dual_mov_b32 v23, s2
	;;#ASMSTART
	global_store_dwordx4 v[23:24], v[1:4] off	
s_waitcnt vmcnt(0)
	;;#ASMEND
.LBB830_127:
	s_or_b32 exec_lo, exec_lo, s0
	v_mov_b32_e32 v3, 0
.LBB830_128:
	v_mov_b32_e32 v23, 0
	s_and_b32 s0, s16, exec_lo
	v_mov_b32_e32 v24, 0
	s_cselect_b32 s1, 0, s47
	s_cselect_b32 s0, 0, s46
	s_delay_alu instid0(SALU_CYCLE_1)
	s_cmp_eq_u64 s[0:1], 0
	s_barrier
	buffer_gl0_inv
	s_cbranch_scc1 .LBB830_130
; %bb.129:
	v_mov_b32_e32 v2, 0
	global_load_b64 v[23:24], v2, s[0:1]
.LBB830_130:
	v_cmp_eq_u32_e32 vcc_lo, 0, v78
	v_cmp_ne_u32_e64 s14, 0, v78
	v_cmp_ne_u32_e64 s13, 0, v77
	;; [unrolled: 1-line block ×4, first 2 shown]
	v_cndmask_b32_e64 v2, 1, 2, vcc_lo
	v_cmp_eq_u32_e32 vcc_lo, 0, v77
	v_cmp_ne_u32_e64 s10, 0, v74
	v_cmp_ne_u32_e64 s9, 0, v73
	;; [unrolled: 1-line block ×4, first 2 shown]
	v_cndmask_b32_e64 v4, 1, 2, vcc_lo
	v_cmp_eq_u32_e32 vcc_lo, 0, v76
	v_cmp_ne_u32_e64 s8, 0, v69
	v_cmp_ne_u32_e64 s6, 0, v68
	;; [unrolled: 1-line block ×3, first 2 shown]
	v_and_b32_e32 v2, v4, v2
	v_cndmask_b32_e64 v25, 1, 2, vcc_lo
	v_cmp_eq_u32_e32 vcc_lo, 0, v75
	v_cmp_ne_u32_e64 s3, 0, v66
	v_cmp_ne_u32_e64 s2, 0, v65
	;; [unrolled: 1-line block ×3, first 2 shown]
	v_and_b32_e32 v2, v2, v25
	v_cndmask_b32_e64 v4, 1, 2, vcc_lo
	v_cmp_eq_u32_e32 vcc_lo, 0, v74
	v_cmp_ne_u32_e64 s0, 0, v71
	s_mov_b32 s16, -1
	s_delay_alu instid0(VALU_DEP_3) | instskip(SKIP_2) | instid1(VALU_DEP_2)
	v_and_b32_e32 v2, v2, v4
	v_cndmask_b32_e64 v25, 1, 2, vcc_lo
	v_cmp_eq_u32_e32 vcc_lo, 0, v73
	v_and_b32_e32 v2, v2, v25
	v_cndmask_b32_e64 v4, 1, 2, vcc_lo
	v_cmp_eq_u32_e32 vcc_lo, 0, v72
	s_waitcnt vmcnt(0)
	v_lshlrev_b64 v[25:26], 2, v[23:24]
	s_delay_alu instid0(VALU_DEP_3) | instskip(SKIP_2) | instid1(VALU_DEP_2)
	v_and_b32_e32 v2, v2, v4
	v_cndmask_b32_e64 v27, 1, 2, vcc_lo
	v_cmp_eq_u32_e32 vcc_lo, 0, v70
	v_and_b32_e32 v2, v2, v27
	v_cndmask_b32_e64 v28, 1, 2, vcc_lo
	v_cmp_eq_u32_e32 vcc_lo, 0, v69
	s_delay_alu instid0(VALU_DEP_2) | instskip(SKIP_2) | instid1(VALU_DEP_2)
	v_and_b32_e32 v2, v2, v28
	v_cndmask_b32_e64 v27, 1, 2, vcc_lo
	v_cmp_eq_u32_e32 vcc_lo, 0, v68
	v_and_b32_e32 v2, v2, v27
	v_cndmask_b32_e64 v28, 1, 2, vcc_lo
	v_cmp_eq_u32_e32 vcc_lo, 0, v67
	s_delay_alu instid0(VALU_DEP_2) | instskip(SKIP_2) | instid1(VALU_DEP_2)
	;; [unrolled: 7-line block ×3, first 2 shown]
	v_and_b32_e32 v2, v2, v29
	v_cndmask_b32_e64 v30, 1, 2, vcc_lo
	v_cmp_eq_u32_e32 vcc_lo, 0, v64
	v_and_b32_e32 v30, v2, v30
	v_cndmask_b32_e64 v31, 1, 2, vcc_lo
	v_mov_b32_e32 v4, 0
	s_delay_alu instid0(VALU_DEP_1) | instskip(SKIP_2) | instid1(VALU_DEP_2)
	v_lshlrev_b64 v[27:28], 2, v[3:4]
	v_add_co_u32 v4, vcc_lo, s26, v25
	v_add_co_ci_u32_e32 v29, vcc_lo, s27, v26, vcc_lo
	v_add_co_u32 v2, vcc_lo, v4, v27
	s_delay_alu instid0(VALU_DEP_2) | instskip(SKIP_4) | instid1(VALU_DEP_2)
	v_add_co_ci_u32_e32 v4, vcc_lo, v29, v28, vcc_lo
	v_and_b32_e32 v29, v30, v31
	v_cmp_eq_u32_e32 vcc_lo, 0, v71
	v_cndmask_b32_e64 v30, 1, 2, vcc_lo
	v_cmp_gt_u32_e32 vcc_lo, 0x100, v1
	v_and_b32_e32 v29, v29, v30
	s_delay_alu instid0(VALU_DEP_1)
	v_cmp_gt_i16_e64 s15, 2, v29
	s_cbranch_vccz .LBB830_137
; %bb.131:
	s_delay_alu instid0(VALU_DEP_1)
	s_and_saveexec_b32 s16, s15
	s_cbranch_execz .LBB830_136
; %bb.132:
	s_mov_b32 s17, 0
	s_mov_b32 s15, exec_lo
	v_cmpx_ne_u16_e32 1, v29
	s_xor_b32 s15, exec_lo, s15
	s_cbranch_execnz .LBB830_169
; %bb.133:
	s_and_not1_saveexec_b32 s15, s15
	s_cbranch_execnz .LBB830_185
.LBB830_134:
	s_or_b32 exec_lo, exec_lo, s15
	s_delay_alu instid0(SALU_CYCLE_1)
	s_and_b32 exec_lo, exec_lo, s17
	s_cbranch_execz .LBB830_136
.LBB830_135:
	v_sub_nc_u32_e32 v30, v49, v3
	v_mov_b32_e32 v31, 0
	s_delay_alu instid0(VALU_DEP_1) | instskip(NEXT) | instid1(VALU_DEP_1)
	v_lshlrev_b64 v[30:31], 2, v[30:31]
	v_add_co_u32 v30, vcc_lo, v2, v30
	s_delay_alu instid0(VALU_DEP_2)
	v_add_co_ci_u32_e32 v31, vcc_lo, v4, v31, vcc_lo
	global_store_b32 v[30:31], v63, off
.LBB830_136:
	s_or_b32 exec_lo, exec_lo, s16
	s_mov_b32 s16, 0
.LBB830_137:
	s_delay_alu instid0(SALU_CYCLE_1)
	s_and_b32 vcc_lo, exec_lo, s16
	s_cbranch_vccz .LBB830_147
; %bb.138:
	s_mov_b32 s15, exec_lo
	v_cmpx_gt_i16_e32 2, v29
	s_cbranch_execz .LBB830_143
; %bb.139:
	s_mov_b32 s17, 0
	s_mov_b32 s16, exec_lo
	v_cmpx_ne_u16_e32 1, v29
	s_xor_b32 s16, exec_lo, s16
	s_cbranch_execnz .LBB830_186
; %bb.140:
	s_and_not1_saveexec_b32 s0, s16
	s_cbranch_execnz .LBB830_202
.LBB830_141:
	s_or_b32 exec_lo, exec_lo, s0
	s_delay_alu instid0(SALU_CYCLE_1)
	s_and_b32 exec_lo, exec_lo, s17
	s_cbranch_execz .LBB830_143
.LBB830_142:
	v_sub_nc_u32_e32 v9, v49, v3
	s_delay_alu instid0(VALU_DEP_1)
	v_lshlrev_b32_e32 v9, 2, v9
	ds_store_b32 v9, v63
.LBB830_143:
	s_or_b32 exec_lo, exec_lo, s15
	s_delay_alu instid0(SALU_CYCLE_1)
	s_mov_b32 s1, exec_lo
	s_waitcnt lgkmcnt(0)
	s_waitcnt_vscnt null, 0x0
	s_barrier
	buffer_gl0_inv
	v_cmpx_lt_u32_e64 v0, v1
	s_cbranch_execz .LBB830_146
; %bb.144:
	v_dual_mov_b32 v10, 0 :: v_dual_lshlrev_b32 v11, 2, v0
	v_mov_b32_e32 v9, v0
	s_mov_b32 s2, 0
	.p2align	6
.LBB830_145:                            ; =>This Inner Loop Header: Depth=1
	ds_load_b32 v14, v11
	v_lshlrev_b64 v[12:13], 2, v[9:10]
	v_add_nc_u32_e32 v9, 0x100, v9
	v_add_nc_u32_e32 v11, 0x400, v11
	s_delay_alu instid0(VALU_DEP_2) | instskip(NEXT) | instid1(VALU_DEP_4)
	v_cmp_ge_u32_e32 vcc_lo, v9, v1
	v_add_co_u32 v12, s0, v2, v12
	s_delay_alu instid0(VALU_DEP_1)
	v_add_co_ci_u32_e64 v13, s0, v4, v13, s0
	s_or_b32 s2, vcc_lo, s2
	s_waitcnt lgkmcnt(0)
	global_store_b32 v[12:13], v14, off
	s_and_not1_b32 exec_lo, exec_lo, s2
	s_cbranch_execnz .LBB830_145
.LBB830_146:
	s_or_b32 exec_lo, exec_lo, s1
.LBB830_147:
	s_cmpk_lg_i32 s33, 0xf00
	v_cmp_eq_u32_e32 vcc_lo, 0, v0
	s_cselect_b32 s0, -1, 0
	v_cndmask_b32_e64 v4, 0, 1, s40
	s_and_b32 s0, s23, s0
	v_mad_i32_i24 v10, v0, -15, s33
	v_cndmask_b32_e64 v9, 0, 1, s0
	s_mul_hi_u32 s0, s33, 0x88888889
	s_and_b32 s1, vcc_lo, s40
	s_lshr_b32 s0, s0, 3
	v_sub_nc_u32_e32 v2, v1, v4
	v_cndmask_b32_e64 v11, v78, 0, s1
	v_cmp_eq_u32_e32 vcc_lo, s0, v0
	v_cmp_ne_u32_e64 s0, 0, v10
	s_mov_b32 s16, -1
	s_waitcnt_vscnt null, 0x0
	s_barrier
	s_and_b32 vcc_lo, s23, vcc_lo
	v_add_nc_u32_e32 v2, v2, v9
	v_cndmask_b32_e64 v9, 1, v11, s0
	v_cmp_ne_u32_e64 s0, 1, v10
	buffer_gl0_inv
	v_cndmask_b32_e64 v12, 1, v77, s0
	v_cmp_ne_u32_e64 s0, 14, v10
	s_delay_alu instid0(VALU_DEP_2) | instskip(NEXT) | instid1(VALU_DEP_2)
	v_cndmask_b32_e32 v17, v77, v12, vcc_lo
	v_cndmask_b32_e64 v13, 1, v71, s0
	v_cmp_ne_u32_e64 s0, 2, v10
	s_delay_alu instid0(VALU_DEP_3) | instskip(NEXT) | instid1(VALU_DEP_3)
	v_cmp_ne_u32_e64 s13, 0, v17
	v_cndmask_b32_e32 v16, v71, v13, vcc_lo
	s_delay_alu instid0(VALU_DEP_3) | instskip(SKIP_1) | instid1(VALU_DEP_2)
	v_cndmask_b32_e64 v14, 1, v76, s0
	v_cmp_ne_u32_e64 s0, 3, v10
	v_dual_cndmask_b32 v13, v11, v9 :: v_dual_cndmask_b32 v14, v76, v14
	s_delay_alu instid0(VALU_DEP_2) | instskip(SKIP_1) | instid1(VALU_DEP_3)
	v_cndmask_b32_e64 v15, 1, v75, s0
	v_cmp_ne_u32_e64 s0, 4, v10
	v_cmp_ne_u32_e64 s14, 0, v13
	s_delay_alu instid0(VALU_DEP_4) | instskip(NEXT) | instid1(VALU_DEP_3)
	v_cmp_ne_u32_e64 s12, 0, v14
	v_cndmask_b32_e64 v9, 1, v74, s0
	v_cmp_ne_u32_e64 s0, 5, v10
	s_delay_alu instid0(VALU_DEP_1) | instskip(SKIP_1) | instid1(VALU_DEP_2)
	v_cndmask_b32_e64 v11, 1, v73, s0
	v_cmp_eq_u32_e64 s0, 0, v13
	v_cndmask_b32_e32 v29, v73, v11, vcc_lo
	s_delay_alu instid0(VALU_DEP_2) | instskip(SKIP_1) | instid1(VALU_DEP_3)
	v_cndmask_b32_e64 v12, 1, 2, s0
	v_cmp_eq_u32_e64 s0, 0, v17
	v_cmp_ne_u32_e64 s9, 0, v29
	s_delay_alu instid0(VALU_DEP_2) | instskip(SKIP_1) | instid1(VALU_DEP_2)
	v_cndmask_b32_e64 v18, 1, 2, s0
	v_cmp_ne_u32_e64 s0, 6, v10
	v_dual_cndmask_b32 v15, v75, v15 :: v_dual_and_b32 v12, v18, v12
	s_delay_alu instid0(VALU_DEP_2) | instskip(SKIP_1) | instid1(VALU_DEP_3)
	v_cndmask_b32_e64 v19, 1, v72, s0
	v_cmp_eq_u32_e64 s0, 0, v14
	v_cmp_ne_u32_e64 s11, 0, v15
	s_delay_alu instid0(VALU_DEP_2) | instskip(SKIP_1) | instid1(VALU_DEP_1)
	v_cndmask_b32_e64 v18, 1, 2, s0
	v_cmp_ne_u32_e64 s0, 7, v10
	v_cndmask_b32_e64 v20, 1, v70, s0
	v_cmp_ne_u32_e64 s0, 8, v10
	s_delay_alu instid0(VALU_DEP_2) | instskip(NEXT) | instid1(VALU_DEP_2)
	v_dual_cndmask_b32 v19, v72, v19 :: v_dual_cndmask_b32 v20, v70, v20
	v_cndmask_b32_e64 v21, 1, v69, s0
	v_cmp_eq_u32_e64 s0, 0, v15
	v_and_b32_e32 v12, v12, v18
	s_delay_alu instid0(VALU_DEP_4)
	v_cmp_ne_u32_e64 s8, 0, v19
	v_cmp_ne_u32_e64 s7, 0, v20
	v_cndmask_b32_e32 v21, v69, v21, vcc_lo
	v_cndmask_b32_e64 v18, 1, 2, s0
	v_cndmask_b32_e32 v22, v74, v9, vcc_lo
	v_cmp_ne_u32_e64 s0, 9, v10
	s_delay_alu instid0(VALU_DEP_4) | instskip(NEXT) | instid1(VALU_DEP_4)
	v_cmp_ne_u32_e64 s6, 0, v21
	v_and_b32_e32 v11, v12, v18
	s_delay_alu instid0(VALU_DEP_4) | instskip(NEXT) | instid1(VALU_DEP_4)
	v_cmp_ne_u32_e64 s10, 0, v22
	v_cndmask_b32_e64 v9, 1, v68, s0
	v_cmp_eq_u32_e64 s0, 0, v22
	s_delay_alu instid0(VALU_DEP_2) | instskip(NEXT) | instid1(VALU_DEP_2)
	v_cndmask_b32_e32 v33, v68, v9, vcc_lo
	v_cndmask_b32_e64 v12, 1, 2, s0
	v_cmp_ne_u32_e64 s0, 10, v10
	s_delay_alu instid0(VALU_DEP_1) | instskip(SKIP_1) | instid1(VALU_DEP_2)
	v_cndmask_b32_e64 v18, 1, v67, s0
	v_cmp_ne_u32_e64 s0, 12, v10
	v_cndmask_b32_e32 v18, v67, v18, vcc_lo
	s_delay_alu instid0(VALU_DEP_2) | instskip(SKIP_2) | instid1(VALU_DEP_4)
	v_cndmask_b32_e64 v30, 1, v65, s0
	v_cmp_eq_u32_e64 s0, 0, v29
	v_and_b32_e32 v11, v11, v12
	v_cmp_ne_u32_e64 s4, 0, v18
	s_delay_alu instid0(VALU_DEP_4) | instskip(NEXT) | instid1(VALU_DEP_4)
	v_cndmask_b32_e32 v30, v65, v30, vcc_lo
	v_cndmask_b32_e64 v12, 1, 2, s0
	v_cmp_ne_u32_e64 s0, 13, v10
	s_delay_alu instid0(VALU_DEP_3) | instskip(NEXT) | instid1(VALU_DEP_3)
	v_cmp_ne_u32_e64 s2, 0, v30
	v_and_b32_e32 v11, v11, v12
	s_delay_alu instid0(VALU_DEP_3) | instskip(SKIP_1) | instid1(VALU_DEP_2)
	v_cndmask_b32_e64 v31, 1, v64, s0
	v_cmp_eq_u32_e64 s0, 0, v19
	v_cndmask_b32_e32 v31, v64, v31, vcc_lo
	s_delay_alu instid0(VALU_DEP_2) | instskip(SKIP_1) | instid1(VALU_DEP_3)
	v_cndmask_b32_e64 v12, 1, 2, s0
	v_cmp_ne_u32_e64 s0, 11, v10
	v_cmp_ne_u32_e64 s1, 0, v31
	s_delay_alu instid0(VALU_DEP_2) | instskip(SKIP_1) | instid1(VALU_DEP_2)
	v_cndmask_b32_e64 v10, 1, v66, s0
	v_cmp_eq_u32_e64 s0, 0, v20
	v_dual_cndmask_b32 v32, v66, v10 :: v_dual_and_b32 v11, v11, v12
	s_delay_alu instid0(VALU_DEP_2) | instskip(SKIP_2) | instid1(VALU_DEP_4)
	v_cndmask_b32_e64 v12, 1, 2, s0
	v_cmp_eq_u32_e32 vcc_lo, 0, v21
	v_cmp_ne_u32_e64 s0, 0, v16
	v_cmp_ne_u32_e64 s3, 0, v32
	s_delay_alu instid0(VALU_DEP_4) | instskip(SKIP_4) | instid1(VALU_DEP_4)
	v_and_b32_e32 v9, v11, v12
	v_cndmask_b32_e64 v10, 1, 2, vcc_lo
	v_add_co_u32 v11, vcc_lo, s28, v25
	v_add_co_ci_u32_e32 v12, vcc_lo, s29, v26, vcc_lo
	v_cmp_eq_u32_e32 vcc_lo, 0, v33
	v_and_b32_e32 v25, v9, v10
	v_cndmask_b32_e64 v26, 1, 2, vcc_lo
	v_add_co_u32 v9, vcc_lo, v11, v27
	v_add_co_ci_u32_e32 v10, vcc_lo, v12, v28, vcc_lo
	v_lshlrev_b32_e32 v11, 2, v4
	v_cmp_eq_u32_e32 vcc_lo, 0, v18
	v_and_b32_e32 v12, v25, v26
	v_add_nc_u32_e32 v4, v3, v4
	v_cmp_ne_u32_e64 s5, 0, v33
	v_cndmask_b32_e64 v25, 1, 2, vcc_lo
	v_add_co_u32 v11, vcc_lo, v11, v9
	v_add_co_ci_u32_e32 v26, vcc_lo, 0, v10, vcc_lo
	v_cmp_eq_u32_e32 vcc_lo, 0, v32
	s_delay_alu instid0(VALU_DEP_4) | instskip(SKIP_4) | instid1(VALU_DEP_4)
	v_and_b32_e32 v25, v12, v25
	v_cndmask_b32_e64 v27, 1, 2, vcc_lo
	v_add_co_u32 v11, vcc_lo, v11, -4
	v_add_co_ci_u32_e32 v12, vcc_lo, -1, v26, vcc_lo
	v_cmp_eq_u32_e32 vcc_lo, 0, v30
	v_and_b32_e32 v25, v25, v27
	v_cndmask_b32_e64 v26, 1, 2, vcc_lo
	v_cmp_eq_u32_e32 vcc_lo, 0, v31
	s_delay_alu instid0(VALU_DEP_2) | instskip(SKIP_2) | instid1(VALU_DEP_2)
	v_and_b32_e32 v13, v25, v26
	v_cndmask_b32_e64 v14, 1, 2, vcc_lo
	v_cmp_eq_u32_e32 vcc_lo, 0, v16
	v_and_b32_e32 v13, v13, v14
	v_cndmask_b32_e64 v14, 1, 2, vcc_lo
	v_cmp_gt_u32_e32 vcc_lo, 0x100, v2
	s_delay_alu instid0(VALU_DEP_2) | instskip(NEXT) | instid1(VALU_DEP_1)
	v_and_b32_e32 v13, v13, v14
	v_cmp_gt_i16_e64 s15, 2, v13
	s_cbranch_vccnz .LBB830_151
; %bb.148:
	s_and_b32 vcc_lo, exec_lo, s16
	s_cbranch_vccnz .LBB830_157
.LBB830_149:
	v_cmp_eq_u32_e32 vcc_lo, 0xff, v0
	s_and_b32 s0, vcc_lo, s23
	s_delay_alu instid0(SALU_CYCLE_1)
	s_and_saveexec_b32 s1, s0
	s_cbranch_execnz .LBB830_166
.LBB830_150:
	s_nop 0
	s_sendmsg sendmsg(MSG_DEALLOC_VGPRS)
	s_endpgm
.LBB830_151:
	s_delay_alu instid0(VALU_DEP_1)
	s_and_saveexec_b32 s16, s15
	s_cbranch_execz .LBB830_156
; %bb.152:
	s_mov_b32 s17, 0
	s_mov_b32 s15, exec_lo
	v_cmpx_ne_u16_e32 1, v13
	s_xor_b32 s15, exec_lo, s15
	s_cbranch_execnz .LBB830_203
; %bb.153:
	s_and_not1_saveexec_b32 s15, s15
	s_cbranch_execnz .LBB830_219
.LBB830_154:
	s_or_b32 exec_lo, exec_lo, s15
	s_delay_alu instid0(SALU_CYCLE_1)
	s_and_b32 exec_lo, exec_lo, s17
	s_cbranch_execz .LBB830_156
.LBB830_155:
	v_sub_nc_u32_e32 v14, v49, v4
	v_mov_b32_e32 v15, 0
	s_delay_alu instid0(VALU_DEP_1) | instskip(NEXT) | instid1(VALU_DEP_1)
	v_lshlrev_b64 v[14:15], 2, v[14:15]
	v_add_co_u32 v14, vcc_lo, v11, v14
	s_delay_alu instid0(VALU_DEP_2)
	v_add_co_ci_u32_e32 v15, vcc_lo, v12, v15, vcc_lo
	global_store_b32 v[14:15], v50, off
.LBB830_156:
	s_or_b32 exec_lo, exec_lo, s16
	s_branch .LBB830_149
.LBB830_157:
	s_mov_b32 s15, exec_lo
	v_cmpx_gt_i16_e32 2, v13
	s_cbranch_execz .LBB830_162
; %bb.158:
	s_mov_b32 s17, 0
	s_mov_b32 s16, exec_lo
	v_cmpx_ne_u16_e32 1, v13
	s_xor_b32 s16, exec_lo, s16
	s_cbranch_execnz .LBB830_220
; %bb.159:
	s_and_not1_saveexec_b32 s0, s16
	s_cbranch_execnz .LBB830_236
.LBB830_160:
	s_or_b32 exec_lo, exec_lo, s0
	s_delay_alu instid0(SALU_CYCLE_1)
	s_and_b32 exec_lo, exec_lo, s17
	s_cbranch_execz .LBB830_162
.LBB830_161:
	v_sub_nc_u32_e32 v4, v49, v4
	s_delay_alu instid0(VALU_DEP_1)
	v_lshlrev_b32_e32 v4, 2, v4
	ds_store_b32 v4, v50
.LBB830_162:
	s_or_b32 exec_lo, exec_lo, s15
	s_delay_alu instid0(SALU_CYCLE_1)
	s_mov_b32 s1, exec_lo
	s_waitcnt lgkmcnt(0)
	s_waitcnt_vscnt null, 0x0
	s_barrier
	buffer_gl0_inv
	v_cmpx_lt_u32_e64 v0, v2
	s_cbranch_execz .LBB830_165
; %bb.163:
	v_dual_mov_b32 v5, 0 :: v_dual_lshlrev_b32 v6, 2, v0
	v_mov_b32_e32 v4, v0
	s_mov_b32 s2, 0
	.p2align	6
.LBB830_164:                            ; =>This Inner Loop Header: Depth=1
	ds_load_b32 v13, v6
	v_lshlrev_b64 v[7:8], 2, v[4:5]
	v_add_nc_u32_e32 v4, 0x100, v4
	v_add_nc_u32_e32 v6, 0x400, v6
	s_delay_alu instid0(VALU_DEP_2) | instskip(NEXT) | instid1(VALU_DEP_4)
	v_cmp_ge_u32_e32 vcc_lo, v4, v2
	v_add_co_u32 v7, s0, v11, v7
	s_delay_alu instid0(VALU_DEP_1)
	v_add_co_ci_u32_e64 v8, s0, v12, v8, s0
	s_or_b32 s2, vcc_lo, s2
	s_waitcnt lgkmcnt(0)
	global_store_b32 v[7:8], v13, off
	s_and_not1_b32 exec_lo, exec_lo, s2
	s_cbranch_execnz .LBB830_164
.LBB830_165:
	s_or_b32 exec_lo, exec_lo, s1
	v_cmp_eq_u32_e32 vcc_lo, 0xff, v0
	s_and_b32 s0, vcc_lo, s23
	s_delay_alu instid0(SALU_CYCLE_1)
	s_and_saveexec_b32 s1, s0
	s_cbranch_execz .LBB830_150
.LBB830_166:
	v_add_co_u32 v0, s0, v1, v3
	s_delay_alu instid0(VALU_DEP_1) | instskip(SKIP_1) | instid1(VALU_DEP_3)
	v_add_co_ci_u32_e64 v4, null, 0, 0, s0
	v_mov_b32_e32 v2, 0
	v_add_co_u32 v3, vcc_lo, v0, v23
	s_delay_alu instid0(VALU_DEP_3)
	v_add_co_ci_u32_e32 v4, vcc_lo, v4, v24, vcc_lo
	s_cmpk_lg_i32 s33, 0xf00
	global_store_b64 v2, v[3:4], s[30:31]
	s_cbranch_scc1 .LBB830_150
; %bb.167:
	v_lshlrev_b64 v[0:1], 2, v[1:2]
	s_delay_alu instid0(VALU_DEP_1) | instskip(NEXT) | instid1(VALU_DEP_2)
	v_add_co_u32 v0, vcc_lo, v9, v0
	v_add_co_ci_u32_e32 v1, vcc_lo, v10, v1, vcc_lo
	global_store_b32 v[0:1], v80, off offset:-4
	s_nop 0
	s_sendmsg sendmsg(MSG_DEALLOC_VGPRS)
	s_endpgm
.LBB830_168:
	s_or_b32 exec_lo, exec_lo, s2
	v_mov_b32_e32 v78, s1
	s_and_saveexec_b32 s1, s41
	s_cbranch_execnz .LBB830_84
	s_branch .LBB830_85
.LBB830_169:
	s_and_saveexec_b32 s17, s14
	s_cbranch_execnz .LBB830_237
; %bb.170:
	s_or_b32 exec_lo, exec_lo, s17
	s_and_saveexec_b32 s17, s13
	s_cbranch_execnz .LBB830_238
.LBB830_171:
	s_or_b32 exec_lo, exec_lo, s17
	s_and_saveexec_b32 s17, s12
	s_cbranch_execnz .LBB830_239
.LBB830_172:
	s_or_b32 exec_lo, exec_lo, s17
	s_and_saveexec_b32 s17, s11
	s_cbranch_execnz .LBB830_240
.LBB830_173:
	s_or_b32 exec_lo, exec_lo, s17
	s_and_saveexec_b32 s17, s10
	s_cbranch_execnz .LBB830_241
.LBB830_174:
	s_or_b32 exec_lo, exec_lo, s17
	s_and_saveexec_b32 s17, s9
	s_cbranch_execnz .LBB830_242
.LBB830_175:
	s_or_b32 exec_lo, exec_lo, s17
	s_and_saveexec_b32 s17, s7
	s_cbranch_execnz .LBB830_243
.LBB830_176:
	s_or_b32 exec_lo, exec_lo, s17
	s_and_saveexec_b32 s17, s5
	s_cbranch_execnz .LBB830_244
.LBB830_177:
	s_or_b32 exec_lo, exec_lo, s17
	s_and_saveexec_b32 s17, s8
	s_cbranch_execnz .LBB830_245
.LBB830_178:
	s_or_b32 exec_lo, exec_lo, s17
	s_and_saveexec_b32 s17, s6
	s_cbranch_execnz .LBB830_246
.LBB830_179:
	s_or_b32 exec_lo, exec_lo, s17
	s_and_saveexec_b32 s17, s4
	s_cbranch_execnz .LBB830_247
.LBB830_180:
	s_or_b32 exec_lo, exec_lo, s17
	s_and_saveexec_b32 s17, s3
	s_cbranch_execnz .LBB830_248
.LBB830_181:
	s_or_b32 exec_lo, exec_lo, s17
	s_and_saveexec_b32 s17, s2
	s_cbranch_execnz .LBB830_249
.LBB830_182:
	s_or_b32 exec_lo, exec_lo, s17
	s_and_saveexec_b32 s17, s1
	s_cbranch_execz .LBB830_184
.LBB830_183:
	v_sub_nc_u32_e32 v30, v57, v3
	v_mov_b32_e32 v31, 0
	s_delay_alu instid0(VALU_DEP_1) | instskip(NEXT) | instid1(VALU_DEP_1)
	v_lshlrev_b64 v[30:31], 2, v[30:31]
	v_add_co_u32 v30, vcc_lo, v2, v30
	s_delay_alu instid0(VALU_DEP_2)
	v_add_co_ci_u32_e32 v31, vcc_lo, v4, v31, vcc_lo
	global_store_b32 v[30:31], v10, off
.LBB830_184:
	s_or_b32 exec_lo, exec_lo, s17
	s_delay_alu instid0(SALU_CYCLE_1)
	s_and_b32 s17, s0, exec_lo
	s_and_not1_saveexec_b32 s15, s15
	s_cbranch_execz .LBB830_134
.LBB830_185:
	v_sub_nc_u32_e32 v30, v53, v3
	v_mov_b32_e32 v31, 0
	s_or_b32 s17, s17, exec_lo
	s_delay_alu instid0(VALU_DEP_1) | instskip(SKIP_1) | instid1(VALU_DEP_1)
	v_lshlrev_b64 v[32:33], 2, v[30:31]
	v_sub_nc_u32_e32 v30, v59, v3
	v_lshlrev_b64 v[34:35], 2, v[30:31]
	v_sub_nc_u32_e32 v30, v55, v3
	s_delay_alu instid0(VALU_DEP_4) | instskip(SKIP_1) | instid1(VALU_DEP_3)
	v_add_co_u32 v32, vcc_lo, v2, v32
	v_add_co_ci_u32_e32 v33, vcc_lo, v4, v33, vcc_lo
	v_lshlrev_b64 v[81:82], 2, v[30:31]
	v_sub_nc_u32_e32 v30, v51, v3
	v_add_co_u32 v34, vcc_lo, v2, v34
	v_add_co_ci_u32_e32 v35, vcc_lo, v4, v35, vcc_lo
	global_store_b32 v[32:33], v21, off
	v_lshlrev_b64 v[32:33], 2, v[30:31]
	v_sub_nc_u32_e32 v30, v45, v3
	global_store_b32 v[34:35], v22, off
	v_add_co_u32 v34, vcc_lo, v2, v81
	v_add_co_ci_u32_e32 v35, vcc_lo, v4, v82, vcc_lo
	v_lshlrev_b64 v[81:82], 2, v[30:31]
	v_sub_nc_u32_e32 v30, v41, v3
	v_add_co_u32 v32, vcc_lo, v2, v32
	v_add_co_ci_u32_e32 v33, vcc_lo, v4, v33, vcc_lo
	s_delay_alu instid0(VALU_DEP_3) | instskip(SKIP_3) | instid1(VALU_DEP_3)
	v_lshlrev_b64 v[83:84], 2, v[30:31]
	v_sub_nc_u32_e32 v30, v39, v3
	v_add_co_u32 v81, vcc_lo, v2, v81
	v_add_co_ci_u32_e32 v82, vcc_lo, v4, v82, vcc_lo
	v_lshlrev_b64 v[85:86], 2, v[30:31]
	v_sub_nc_u32_e32 v30, v43, v3
	v_add_co_u32 v83, vcc_lo, v2, v83
	v_add_co_ci_u32_e32 v84, vcc_lo, v4, v84, vcc_lo
	s_clause 0x3
	global_store_b32 v[34:35], v19, off
	global_store_b32 v[32:33], v20, off
	;; [unrolled: 1-line block ×4, first 2 shown]
	v_lshlrev_b64 v[32:33], 2, v[30:31]
	v_sub_nc_u32_e32 v30, v47, v3
	v_add_co_u32 v34, vcc_lo, v2, v85
	v_add_co_ci_u32_e32 v35, vcc_lo, v4, v86, vcc_lo
	s_delay_alu instid0(VALU_DEP_3) | instskip(SKIP_3) | instid1(VALU_DEP_3)
	v_lshlrev_b64 v[81:82], 2, v[30:31]
	v_sub_nc_u32_e32 v30, v5, v3
	v_add_co_u32 v32, vcc_lo, v2, v32
	v_add_co_ci_u32_e32 v33, vcc_lo, v4, v33, vcc_lo
	v_lshlrev_b64 v[83:84], 2, v[30:31]
	v_sub_nc_u32_e32 v30, v7, v3
	v_add_co_u32 v81, vcc_lo, v2, v81
	v_add_co_ci_u32_e32 v82, vcc_lo, v4, v82, vcc_lo
	s_delay_alu instid0(VALU_DEP_3)
	v_lshlrev_b64 v[85:86], 2, v[30:31]
	v_sub_nc_u32_e32 v30, v37, v3
	v_add_co_u32 v83, vcc_lo, v2, v83
	v_add_co_ci_u32_e32 v84, vcc_lo, v4, v84, vcc_lo
	s_clause 0x3
	global_store_b32 v[34:35], v15, off
	global_store_b32 v[32:33], v16, off
	;; [unrolled: 1-line block ×4, first 2 shown]
	v_lshlrev_b64 v[32:33], 2, v[30:31]
	v_sub_nc_u32_e32 v30, v61, v3
	v_add_co_u32 v34, vcc_lo, v2, v85
	v_add_co_ci_u32_e32 v35, vcc_lo, v4, v86, vcc_lo
	s_delay_alu instid0(VALU_DEP_3) | instskip(SKIP_3) | instid1(VALU_DEP_3)
	v_lshlrev_b64 v[81:82], 2, v[30:31]
	v_sub_nc_u32_e32 v30, v57, v3
	v_add_co_u32 v32, vcc_lo, v2, v32
	v_add_co_ci_u32_e32 v33, vcc_lo, v4, v33, vcc_lo
	v_lshlrev_b64 v[30:31], 2, v[30:31]
	v_add_co_u32 v81, vcc_lo, v2, v81
	v_add_co_ci_u32_e32 v82, vcc_lo, v4, v82, vcc_lo
	s_clause 0x2
	global_store_b32 v[34:35], v11, off
	global_store_b32 v[32:33], v12, off
	;; [unrolled: 1-line block ×3, first 2 shown]
	v_add_co_u32 v30, vcc_lo, v2, v30
	v_add_co_ci_u32_e32 v31, vcc_lo, v4, v31, vcc_lo
	global_store_b32 v[30:31], v10, off
	s_or_b32 exec_lo, exec_lo, s15
	s_delay_alu instid0(SALU_CYCLE_1)
	s_and_b32 exec_lo, exec_lo, s17
	s_cbranch_execnz .LBB830_135
	s_branch .LBB830_136
.LBB830_186:
	s_and_saveexec_b32 s17, s14
	s_cbranch_execnz .LBB830_250
; %bb.187:
	s_or_b32 exec_lo, exec_lo, s17
	s_and_saveexec_b32 s14, s13
	s_cbranch_execnz .LBB830_251
.LBB830_188:
	s_or_b32 exec_lo, exec_lo, s14
	s_and_saveexec_b32 s13, s12
	s_cbranch_execnz .LBB830_252
.LBB830_189:
	s_or_b32 exec_lo, exec_lo, s13
	s_and_saveexec_b32 s12, s11
	s_cbranch_execnz .LBB830_253
.LBB830_190:
	s_or_b32 exec_lo, exec_lo, s12
	s_and_saveexec_b32 s11, s10
	s_cbranch_execnz .LBB830_254
.LBB830_191:
	s_or_b32 exec_lo, exec_lo, s11
	s_and_saveexec_b32 s10, s9
	s_cbranch_execnz .LBB830_255
.LBB830_192:
	s_or_b32 exec_lo, exec_lo, s10
	s_and_saveexec_b32 s9, s7
	s_cbranch_execnz .LBB830_256
.LBB830_193:
	s_or_b32 exec_lo, exec_lo, s9
	s_and_saveexec_b32 s7, s5
	s_cbranch_execnz .LBB830_257
.LBB830_194:
	s_or_b32 exec_lo, exec_lo, s7
	s_and_saveexec_b32 s5, s8
	s_cbranch_execnz .LBB830_258
.LBB830_195:
	s_or_b32 exec_lo, exec_lo, s5
	s_and_saveexec_b32 s5, s6
	s_cbranch_execnz .LBB830_259
.LBB830_196:
	s_or_b32 exec_lo, exec_lo, s5
	s_and_saveexec_b32 s5, s4
	s_cbranch_execnz .LBB830_260
.LBB830_197:
	s_or_b32 exec_lo, exec_lo, s5
	s_and_saveexec_b32 s4, s3
	s_cbranch_execnz .LBB830_261
.LBB830_198:
	s_or_b32 exec_lo, exec_lo, s4
	s_and_saveexec_b32 s3, s2
	s_cbranch_execnz .LBB830_262
.LBB830_199:
	s_or_b32 exec_lo, exec_lo, s3
	s_and_saveexec_b32 s2, s1
	s_cbranch_execz .LBB830_201
.LBB830_200:
	v_sub_nc_u32_e32 v9, v57, v3
	s_delay_alu instid0(VALU_DEP_1)
	v_lshlrev_b32_e32 v9, 2, v9
	ds_store_b32 v9, v10
.LBB830_201:
	s_or_b32 exec_lo, exec_lo, s2
	s_delay_alu instid0(SALU_CYCLE_1)
	s_and_b32 s17, s0, exec_lo
                                        ; implicit-def: $vgpr21
                                        ; implicit-def: $vgpr19
                                        ; implicit-def: $vgpr17
                                        ; implicit-def: $vgpr15
                                        ; implicit-def: $vgpr13
                                        ; implicit-def: $vgpr11
                                        ; implicit-def: $vgpr9
	s_and_not1_saveexec_b32 s0, s16
	s_cbranch_execz .LBB830_141
.LBB830_202:
	v_sub_nc_u32_e32 v29, v53, v3
	v_sub_nc_u32_e32 v32, v51, v3
	;; [unrolled: 1-line block ×4, first 2 shown]
	s_or_b32 s17, s17, exec_lo
	v_lshlrev_b32_e32 v29, 2, v29
	v_lshlrev_b32_e32 v32, 2, v32
	;; [unrolled: 1-line block ×4, first 2 shown]
	ds_store_b32 v29, v21
	ds_store_b32 v30, v22
	;; [unrolled: 1-line block ×3, first 2 shown]
	v_sub_nc_u32_e32 v19, v45, v3
	ds_store_b32 v32, v20
	v_sub_nc_u32_e32 v20, v41, v3
	v_sub_nc_u32_e32 v21, v39, v3
	;; [unrolled: 1-line block ×3, first 2 shown]
	v_lshlrev_b32_e32 v19, 2, v19
	v_sub_nc_u32_e32 v29, v47, v3
	v_lshlrev_b32_e32 v20, 2, v20
	v_lshlrev_b32_e32 v21, 2, v21
	;; [unrolled: 1-line block ×3, first 2 shown]
	ds_store_b32 v19, v17
	v_lshlrev_b32_e32 v17, 2, v29
	ds_store_b32 v20, v18
	ds_store_b32 v21, v15
	;; [unrolled: 1-line block ×3, first 2 shown]
	v_sub_nc_u32_e32 v15, v5, v3
	v_sub_nc_u32_e32 v18, v57, v3
	;; [unrolled: 1-line block ×3, first 2 shown]
	ds_store_b32 v17, v13
	v_sub_nc_u32_e32 v13, v7, v3
	v_lshlrev_b32_e32 v15, 2, v15
	v_sub_nc_u32_e32 v17, v61, v3
	v_lshlrev_b32_e32 v16, 2, v16
	s_delay_alu instid0(VALU_DEP_4)
	v_lshlrev_b32_e32 v13, 2, v13
	ds_store_b32 v15, v14
	v_lshlrev_b32_e32 v14, 2, v18
	v_lshlrev_b32_e32 v17, 2, v17
	ds_store_b32 v13, v11
	ds_store_b32 v16, v12
	;; [unrolled: 1-line block ×4, first 2 shown]
	s_or_b32 exec_lo, exec_lo, s0
	s_delay_alu instid0(SALU_CYCLE_1)
	s_and_b32 exec_lo, exec_lo, s17
	s_cbranch_execnz .LBB830_142
	s_branch .LBB830_143
.LBB830_203:
	s_and_saveexec_b32 s17, s14
	s_cbranch_execnz .LBB830_263
; %bb.204:
	s_or_b32 exec_lo, exec_lo, s17
	s_and_saveexec_b32 s17, s13
	s_cbranch_execnz .LBB830_264
.LBB830_205:
	s_or_b32 exec_lo, exec_lo, s17
	s_and_saveexec_b32 s17, s12
	s_cbranch_execnz .LBB830_265
.LBB830_206:
	s_or_b32 exec_lo, exec_lo, s17
	s_and_saveexec_b32 s17, s11
	s_cbranch_execnz .LBB830_266
.LBB830_207:
	s_or_b32 exec_lo, exec_lo, s17
	s_and_saveexec_b32 s17, s10
	s_cbranch_execnz .LBB830_267
.LBB830_208:
	s_or_b32 exec_lo, exec_lo, s17
	s_and_saveexec_b32 s17, s9
	s_cbranch_execnz .LBB830_268
.LBB830_209:
	s_or_b32 exec_lo, exec_lo, s17
	s_and_saveexec_b32 s17, s8
	s_cbranch_execnz .LBB830_269
.LBB830_210:
	s_or_b32 exec_lo, exec_lo, s17
	s_and_saveexec_b32 s17, s7
	s_cbranch_execnz .LBB830_270
.LBB830_211:
	s_or_b32 exec_lo, exec_lo, s17
	s_and_saveexec_b32 s17, s6
	s_cbranch_execnz .LBB830_271
.LBB830_212:
	s_or_b32 exec_lo, exec_lo, s17
	s_and_saveexec_b32 s17, s5
	s_cbranch_execnz .LBB830_272
.LBB830_213:
	s_or_b32 exec_lo, exec_lo, s17
	s_and_saveexec_b32 s17, s4
	s_cbranch_execnz .LBB830_273
.LBB830_214:
	s_or_b32 exec_lo, exec_lo, s17
	s_and_saveexec_b32 s17, s3
	s_cbranch_execnz .LBB830_274
.LBB830_215:
	s_or_b32 exec_lo, exec_lo, s17
	s_and_saveexec_b32 s17, s2
	s_cbranch_execnz .LBB830_275
.LBB830_216:
	s_or_b32 exec_lo, exec_lo, s17
	s_and_saveexec_b32 s17, s1
	s_cbranch_execz .LBB830_218
.LBB830_217:
	v_sub_nc_u32_e32 v14, v57, v4
	v_mov_b32_e32 v15, 0
	s_delay_alu instid0(VALU_DEP_1) | instskip(NEXT) | instid1(VALU_DEP_1)
	v_lshlrev_b64 v[14:15], 2, v[14:15]
	v_add_co_u32 v14, vcc_lo, v11, v14
	s_delay_alu instid0(VALU_DEP_2)
	v_add_co_ci_u32_e32 v15, vcc_lo, v12, v15, vcc_lo
	global_store_b32 v[14:15], v58, off
.LBB830_218:
	s_or_b32 exec_lo, exec_lo, s17
	s_delay_alu instid0(SALU_CYCLE_1)
	s_and_b32 s17, s0, exec_lo
	s_and_not1_saveexec_b32 s15, s15
	s_cbranch_execz .LBB830_154
.LBB830_219:
	v_sub_nc_u32_e32 v14, v53, v4
	v_mov_b32_e32 v15, 0
	s_or_b32 s17, s17, exec_lo
	s_delay_alu instid0(VALU_DEP_1) | instskip(SKIP_1) | instid1(VALU_DEP_1)
	v_lshlrev_b64 v[16:17], 2, v[14:15]
	v_sub_nc_u32_e32 v14, v59, v4
	v_lshlrev_b64 v[18:19], 2, v[14:15]
	v_sub_nc_u32_e32 v14, v55, v4
	s_delay_alu instid0(VALU_DEP_4) | instskip(SKIP_1) | instid1(VALU_DEP_3)
	v_add_co_u32 v16, vcc_lo, v11, v16
	v_add_co_ci_u32_e32 v17, vcc_lo, v12, v17, vcc_lo
	v_lshlrev_b64 v[20:21], 2, v[14:15]
	v_sub_nc_u32_e32 v14, v51, v4
	v_add_co_u32 v18, vcc_lo, v11, v18
	v_add_co_ci_u32_e32 v19, vcc_lo, v12, v19, vcc_lo
	global_store_b32 v[16:17], v54, off
	v_lshlrev_b64 v[16:17], 2, v[14:15]
	v_sub_nc_u32_e32 v14, v45, v4
	global_store_b32 v[18:19], v60, off
	v_add_co_u32 v18, vcc_lo, v11, v20
	v_add_co_ci_u32_e32 v19, vcc_lo, v12, v21, vcc_lo
	v_lshlrev_b64 v[20:21], 2, v[14:15]
	v_sub_nc_u32_e32 v14, v41, v4
	v_add_co_u32 v16, vcc_lo, v11, v16
	v_add_co_ci_u32_e32 v17, vcc_lo, v12, v17, vcc_lo
	s_delay_alu instid0(VALU_DEP_3) | instskip(SKIP_3) | instid1(VALU_DEP_3)
	v_lshlrev_b64 v[25:26], 2, v[14:15]
	v_sub_nc_u32_e32 v14, v39, v4
	v_add_co_u32 v20, vcc_lo, v11, v20
	v_add_co_ci_u32_e32 v21, vcc_lo, v12, v21, vcc_lo
	v_lshlrev_b64 v[27:28], 2, v[14:15]
	v_sub_nc_u32_e32 v14, v43, v4
	v_add_co_u32 v25, vcc_lo, v11, v25
	v_add_co_ci_u32_e32 v26, vcc_lo, v12, v26, vcc_lo
	s_clause 0x3
	global_store_b32 v[18:19], v56, off
	global_store_b32 v[16:17], v52, off
	;; [unrolled: 1-line block ×4, first 2 shown]
	v_lshlrev_b64 v[16:17], 2, v[14:15]
	v_sub_nc_u32_e32 v14, v47, v4
	v_add_co_u32 v18, vcc_lo, v11, v27
	v_add_co_ci_u32_e32 v19, vcc_lo, v12, v28, vcc_lo
	s_delay_alu instid0(VALU_DEP_3) | instskip(SKIP_3) | instid1(VALU_DEP_3)
	v_lshlrev_b64 v[20:21], 2, v[14:15]
	v_sub_nc_u32_e32 v14, v5, v4
	v_add_co_u32 v16, vcc_lo, v11, v16
	v_add_co_ci_u32_e32 v17, vcc_lo, v12, v17, vcc_lo
	v_lshlrev_b64 v[25:26], 2, v[14:15]
	v_sub_nc_u32_e32 v14, v7, v4
	v_add_co_u32 v20, vcc_lo, v11, v20
	v_add_co_ci_u32_e32 v21, vcc_lo, v12, v21, vcc_lo
	s_delay_alu instid0(VALU_DEP_3)
	v_lshlrev_b64 v[27:28], 2, v[14:15]
	v_sub_nc_u32_e32 v14, v37, v4
	v_add_co_u32 v25, vcc_lo, v11, v25
	v_add_co_ci_u32_e32 v26, vcc_lo, v12, v26, vcc_lo
	s_clause 0x3
	global_store_b32 v[18:19], v40, off
	global_store_b32 v[16:17], v44, off
	;; [unrolled: 1-line block ×4, first 2 shown]
	v_lshlrev_b64 v[16:17], 2, v[14:15]
	v_sub_nc_u32_e32 v14, v61, v4
	v_add_co_u32 v18, vcc_lo, v11, v27
	v_add_co_ci_u32_e32 v19, vcc_lo, v12, v28, vcc_lo
	s_delay_alu instid0(VALU_DEP_3) | instskip(SKIP_3) | instid1(VALU_DEP_3)
	v_lshlrev_b64 v[20:21], 2, v[14:15]
	v_sub_nc_u32_e32 v14, v57, v4
	v_add_co_u32 v16, vcc_lo, v11, v16
	v_add_co_ci_u32_e32 v17, vcc_lo, v12, v17, vcc_lo
	v_lshlrev_b64 v[14:15], 2, v[14:15]
	v_add_co_u32 v20, vcc_lo, v11, v20
	v_add_co_ci_u32_e32 v21, vcc_lo, v12, v21, vcc_lo
	s_clause 0x2
	global_store_b32 v[18:19], v8, off
	global_store_b32 v[16:17], v38, off
	global_store_b32 v[20:21], v62, off
	v_add_co_u32 v14, vcc_lo, v11, v14
	v_add_co_ci_u32_e32 v15, vcc_lo, v12, v15, vcc_lo
	global_store_b32 v[14:15], v58, off
	s_or_b32 exec_lo, exec_lo, s15
	s_delay_alu instid0(SALU_CYCLE_1)
	s_and_b32 exec_lo, exec_lo, s17
	s_cbranch_execnz .LBB830_155
	s_branch .LBB830_156
.LBB830_220:
	s_and_saveexec_b32 s17, s14
	s_cbranch_execnz .LBB830_276
; %bb.221:
	s_or_b32 exec_lo, exec_lo, s17
	s_and_saveexec_b32 s14, s13
	s_cbranch_execnz .LBB830_277
.LBB830_222:
	s_or_b32 exec_lo, exec_lo, s14
	s_and_saveexec_b32 s13, s12
	s_cbranch_execnz .LBB830_278
.LBB830_223:
	s_or_b32 exec_lo, exec_lo, s13
	s_and_saveexec_b32 s12, s11
	s_cbranch_execnz .LBB830_279
.LBB830_224:
	s_or_b32 exec_lo, exec_lo, s12
	s_and_saveexec_b32 s11, s10
	s_cbranch_execnz .LBB830_280
.LBB830_225:
	s_or_b32 exec_lo, exec_lo, s11
	s_and_saveexec_b32 s10, s9
	s_cbranch_execnz .LBB830_281
.LBB830_226:
	s_or_b32 exec_lo, exec_lo, s10
	s_and_saveexec_b32 s9, s8
	s_cbranch_execnz .LBB830_282
.LBB830_227:
	s_or_b32 exec_lo, exec_lo, s9
	s_and_saveexec_b32 s8, s7
	s_cbranch_execnz .LBB830_283
.LBB830_228:
	s_or_b32 exec_lo, exec_lo, s8
	s_and_saveexec_b32 s7, s6
	s_cbranch_execnz .LBB830_284
.LBB830_229:
	s_or_b32 exec_lo, exec_lo, s7
	s_and_saveexec_b32 s6, s5
	s_cbranch_execnz .LBB830_285
.LBB830_230:
	s_or_b32 exec_lo, exec_lo, s6
	s_and_saveexec_b32 s5, s4
	s_cbranch_execnz .LBB830_286
.LBB830_231:
	s_or_b32 exec_lo, exec_lo, s5
	s_and_saveexec_b32 s4, s3
	s_cbranch_execnz .LBB830_287
.LBB830_232:
	s_or_b32 exec_lo, exec_lo, s4
	s_and_saveexec_b32 s3, s2
	s_cbranch_execnz .LBB830_288
.LBB830_233:
	s_or_b32 exec_lo, exec_lo, s3
	s_and_saveexec_b32 s2, s1
	s_cbranch_execz .LBB830_235
.LBB830_234:
	v_sub_nc_u32_e32 v5, v57, v4
	s_delay_alu instid0(VALU_DEP_1)
	v_lshlrev_b32_e32 v5, 2, v5
	ds_store_b32 v5, v58
.LBB830_235:
	s_or_b32 exec_lo, exec_lo, s2
	s_delay_alu instid0(SALU_CYCLE_1)
	s_and_b32 s17, s0, exec_lo
                                        ; implicit-def: $vgpr53_vgpr54
                                        ; implicit-def: $vgpr59_vgpr60
                                        ; implicit-def: $vgpr55_vgpr56
                                        ; implicit-def: $vgpr51_vgpr52
                                        ; implicit-def: $vgpr45_vgpr46
                                        ; implicit-def: $vgpr41_vgpr42
                                        ; implicit-def: $vgpr39_vgpr40
                                        ; implicit-def: $vgpr43_vgpr44
                                        ; implicit-def: $vgpr47_vgpr48
                                        ; implicit-def: $vgpr5_vgpr6
                                        ; implicit-def: $vgpr7_vgpr8
                                        ; implicit-def: $vgpr37_vgpr38
                                        ; implicit-def: $vgpr61_vgpr62
                                        ; implicit-def: $vgpr57_vgpr58
	s_and_not1_saveexec_b32 s0, s16
	s_cbranch_execz .LBB830_160
.LBB830_236:
	v_sub_nc_u32_e32 v13, v53, v4
	v_sub_nc_u32_e32 v14, v59, v4
	v_sub_nc_u32_e32 v15, v55, v4
	v_sub_nc_u32_e32 v16, v51, v4
	v_sub_nc_u32_e32 v17, v47, v4
	v_lshlrev_b32_e32 v13, 2, v13
	v_lshlrev_b32_e32 v14, 2, v14
	;; [unrolled: 1-line block ×4, first 2 shown]
	v_sub_nc_u32_e32 v5, v5, v4
	ds_store_b32 v13, v54
	ds_store_b32 v14, v60
	;; [unrolled: 1-line block ×3, first 2 shown]
	v_sub_nc_u32_e32 v13, v45, v4
	v_sub_nc_u32_e32 v14, v41, v4
	;; [unrolled: 1-line block ×3, first 2 shown]
	ds_store_b32 v16, v52
	v_sub_nc_u32_e32 v16, v43, v4
	v_lshlrev_b32_e32 v13, 2, v13
	v_lshlrev_b32_e32 v14, 2, v14
	;; [unrolled: 1-line block ×3, first 2 shown]
	v_sub_nc_u32_e32 v7, v7, v4
	v_lshlrev_b32_e32 v16, 2, v16
	ds_store_b32 v13, v46
	v_lshlrev_b32_e32 v13, 2, v17
	ds_store_b32 v14, v42
	ds_store_b32 v15, v40
	;; [unrolled: 1-line block ×3, first 2 shown]
	v_lshlrev_b32_e32 v5, 2, v5
	v_sub_nc_u32_e32 v15, v57, v4
	v_sub_nc_u32_e32 v14, v61, v4
	ds_store_b32 v13, v48
	v_sub_nc_u32_e32 v13, v37, v4
	v_lshlrev_b32_e32 v7, 2, v7
	ds_store_b32 v5, v6
	v_lshlrev_b32_e32 v5, 2, v15
	v_lshlrev_b32_e32 v14, 2, v14
	;; [unrolled: 1-line block ×3, first 2 shown]
	s_or_b32 s17, s17, exec_lo
	ds_store_b32 v7, v8
	ds_store_b32 v13, v38
	;; [unrolled: 1-line block ×4, first 2 shown]
	s_or_b32 exec_lo, exec_lo, s0
	s_delay_alu instid0(SALU_CYCLE_1)
	s_and_b32 exec_lo, exec_lo, s17
	s_cbranch_execnz .LBB830_161
	s_branch .LBB830_162
.LBB830_237:
	v_sub_nc_u32_e32 v30, v53, v3
	v_mov_b32_e32 v31, 0
	s_delay_alu instid0(VALU_DEP_1) | instskip(NEXT) | instid1(VALU_DEP_1)
	v_lshlrev_b64 v[30:31], 2, v[30:31]
	v_add_co_u32 v30, vcc_lo, v2, v30
	s_delay_alu instid0(VALU_DEP_2)
	v_add_co_ci_u32_e32 v31, vcc_lo, v4, v31, vcc_lo
	global_store_b32 v[30:31], v21, off
	s_or_b32 exec_lo, exec_lo, s17
	s_and_saveexec_b32 s17, s13
	s_cbranch_execz .LBB830_171
.LBB830_238:
	v_sub_nc_u32_e32 v30, v59, v3
	v_mov_b32_e32 v31, 0
	s_delay_alu instid0(VALU_DEP_1) | instskip(NEXT) | instid1(VALU_DEP_1)
	v_lshlrev_b64 v[30:31], 2, v[30:31]
	v_add_co_u32 v30, vcc_lo, v2, v30
	s_delay_alu instid0(VALU_DEP_2)
	v_add_co_ci_u32_e32 v31, vcc_lo, v4, v31, vcc_lo
	global_store_b32 v[30:31], v22, off
	s_or_b32 exec_lo, exec_lo, s17
	s_and_saveexec_b32 s17, s12
	s_cbranch_execz .LBB830_172
.LBB830_239:
	v_sub_nc_u32_e32 v30, v55, v3
	v_mov_b32_e32 v31, 0
	s_delay_alu instid0(VALU_DEP_1) | instskip(NEXT) | instid1(VALU_DEP_1)
	v_lshlrev_b64 v[30:31], 2, v[30:31]
	v_add_co_u32 v30, vcc_lo, v2, v30
	s_delay_alu instid0(VALU_DEP_2)
	v_add_co_ci_u32_e32 v31, vcc_lo, v4, v31, vcc_lo
	global_store_b32 v[30:31], v19, off
	s_or_b32 exec_lo, exec_lo, s17
	s_and_saveexec_b32 s17, s11
	s_cbranch_execz .LBB830_173
.LBB830_240:
	v_sub_nc_u32_e32 v30, v51, v3
	v_mov_b32_e32 v31, 0
	s_delay_alu instid0(VALU_DEP_1) | instskip(NEXT) | instid1(VALU_DEP_1)
	v_lshlrev_b64 v[30:31], 2, v[30:31]
	v_add_co_u32 v30, vcc_lo, v2, v30
	s_delay_alu instid0(VALU_DEP_2)
	v_add_co_ci_u32_e32 v31, vcc_lo, v4, v31, vcc_lo
	global_store_b32 v[30:31], v20, off
	s_or_b32 exec_lo, exec_lo, s17
	s_and_saveexec_b32 s17, s10
	s_cbranch_execz .LBB830_174
.LBB830_241:
	v_sub_nc_u32_e32 v30, v45, v3
	v_mov_b32_e32 v31, 0
	s_delay_alu instid0(VALU_DEP_1) | instskip(NEXT) | instid1(VALU_DEP_1)
	v_lshlrev_b64 v[30:31], 2, v[30:31]
	v_add_co_u32 v30, vcc_lo, v2, v30
	s_delay_alu instid0(VALU_DEP_2)
	v_add_co_ci_u32_e32 v31, vcc_lo, v4, v31, vcc_lo
	global_store_b32 v[30:31], v17, off
	s_or_b32 exec_lo, exec_lo, s17
	s_and_saveexec_b32 s17, s9
	s_cbranch_execz .LBB830_175
.LBB830_242:
	v_sub_nc_u32_e32 v30, v41, v3
	v_mov_b32_e32 v31, 0
	s_delay_alu instid0(VALU_DEP_1) | instskip(NEXT) | instid1(VALU_DEP_1)
	v_lshlrev_b64 v[30:31], 2, v[30:31]
	v_add_co_u32 v30, vcc_lo, v2, v30
	s_delay_alu instid0(VALU_DEP_2)
	v_add_co_ci_u32_e32 v31, vcc_lo, v4, v31, vcc_lo
	global_store_b32 v[30:31], v18, off
	s_or_b32 exec_lo, exec_lo, s17
	s_and_saveexec_b32 s17, s7
	s_cbranch_execz .LBB830_176
.LBB830_243:
	v_sub_nc_u32_e32 v30, v39, v3
	v_mov_b32_e32 v31, 0
	s_delay_alu instid0(VALU_DEP_1) | instskip(NEXT) | instid1(VALU_DEP_1)
	v_lshlrev_b64 v[30:31], 2, v[30:31]
	v_add_co_u32 v30, vcc_lo, v2, v30
	s_delay_alu instid0(VALU_DEP_2)
	v_add_co_ci_u32_e32 v31, vcc_lo, v4, v31, vcc_lo
	global_store_b32 v[30:31], v15, off
	s_or_b32 exec_lo, exec_lo, s17
	s_and_saveexec_b32 s17, s5
	s_cbranch_execz .LBB830_177
.LBB830_244:
	v_sub_nc_u32_e32 v30, v43, v3
	v_mov_b32_e32 v31, 0
	s_delay_alu instid0(VALU_DEP_1) | instskip(NEXT) | instid1(VALU_DEP_1)
	v_lshlrev_b64 v[30:31], 2, v[30:31]
	v_add_co_u32 v30, vcc_lo, v2, v30
	s_delay_alu instid0(VALU_DEP_2)
	v_add_co_ci_u32_e32 v31, vcc_lo, v4, v31, vcc_lo
	global_store_b32 v[30:31], v16, off
	s_or_b32 exec_lo, exec_lo, s17
	s_and_saveexec_b32 s17, s8
	s_cbranch_execz .LBB830_178
.LBB830_245:
	v_sub_nc_u32_e32 v30, v47, v3
	v_mov_b32_e32 v31, 0
	s_delay_alu instid0(VALU_DEP_1) | instskip(NEXT) | instid1(VALU_DEP_1)
	v_lshlrev_b64 v[30:31], 2, v[30:31]
	v_add_co_u32 v30, vcc_lo, v2, v30
	s_delay_alu instid0(VALU_DEP_2)
	v_add_co_ci_u32_e32 v31, vcc_lo, v4, v31, vcc_lo
	global_store_b32 v[30:31], v13, off
	s_or_b32 exec_lo, exec_lo, s17
	s_and_saveexec_b32 s17, s6
	s_cbranch_execz .LBB830_179
.LBB830_246:
	v_sub_nc_u32_e32 v30, v5, v3
	v_mov_b32_e32 v31, 0
	s_delay_alu instid0(VALU_DEP_1) | instskip(NEXT) | instid1(VALU_DEP_1)
	v_lshlrev_b64 v[30:31], 2, v[30:31]
	v_add_co_u32 v30, vcc_lo, v2, v30
	s_delay_alu instid0(VALU_DEP_2)
	v_add_co_ci_u32_e32 v31, vcc_lo, v4, v31, vcc_lo
	global_store_b32 v[30:31], v14, off
	s_or_b32 exec_lo, exec_lo, s17
	s_and_saveexec_b32 s17, s4
	s_cbranch_execz .LBB830_180
.LBB830_247:
	v_sub_nc_u32_e32 v30, v7, v3
	v_mov_b32_e32 v31, 0
	s_delay_alu instid0(VALU_DEP_1) | instskip(NEXT) | instid1(VALU_DEP_1)
	v_lshlrev_b64 v[30:31], 2, v[30:31]
	v_add_co_u32 v30, vcc_lo, v2, v30
	s_delay_alu instid0(VALU_DEP_2)
	v_add_co_ci_u32_e32 v31, vcc_lo, v4, v31, vcc_lo
	global_store_b32 v[30:31], v11, off
	s_or_b32 exec_lo, exec_lo, s17
	s_and_saveexec_b32 s17, s3
	s_cbranch_execz .LBB830_181
.LBB830_248:
	v_sub_nc_u32_e32 v30, v37, v3
	v_mov_b32_e32 v31, 0
	s_delay_alu instid0(VALU_DEP_1) | instskip(NEXT) | instid1(VALU_DEP_1)
	v_lshlrev_b64 v[30:31], 2, v[30:31]
	v_add_co_u32 v30, vcc_lo, v2, v30
	s_delay_alu instid0(VALU_DEP_2)
	v_add_co_ci_u32_e32 v31, vcc_lo, v4, v31, vcc_lo
	global_store_b32 v[30:31], v12, off
	s_or_b32 exec_lo, exec_lo, s17
	s_and_saveexec_b32 s17, s2
	s_cbranch_execz .LBB830_182
.LBB830_249:
	v_sub_nc_u32_e32 v30, v61, v3
	v_mov_b32_e32 v31, 0
	s_delay_alu instid0(VALU_DEP_1) | instskip(NEXT) | instid1(VALU_DEP_1)
	v_lshlrev_b64 v[30:31], 2, v[30:31]
	v_add_co_u32 v30, vcc_lo, v2, v30
	s_delay_alu instid0(VALU_DEP_2)
	v_add_co_ci_u32_e32 v31, vcc_lo, v4, v31, vcc_lo
	global_store_b32 v[30:31], v9, off
	s_or_b32 exec_lo, exec_lo, s17
	s_and_saveexec_b32 s17, s1
	s_cbranch_execnz .LBB830_183
	s_branch .LBB830_184
.LBB830_250:
	v_sub_nc_u32_e32 v29, v53, v3
	s_delay_alu instid0(VALU_DEP_1)
	v_lshlrev_b32_e32 v29, 2, v29
	ds_store_b32 v29, v21
	s_or_b32 exec_lo, exec_lo, s17
	s_and_saveexec_b32 s14, s13
	s_cbranch_execz .LBB830_188
.LBB830_251:
	v_sub_nc_u32_e32 v21, v59, v3
	s_delay_alu instid0(VALU_DEP_1)
	v_lshlrev_b32_e32 v21, 2, v21
	ds_store_b32 v21, v22
	s_or_b32 exec_lo, exec_lo, s14
	s_and_saveexec_b32 s13, s12
	s_cbranch_execz .LBB830_189
.LBB830_252:
	v_sub_nc_u32_e32 v21, v55, v3
	s_delay_alu instid0(VALU_DEP_1)
	v_lshlrev_b32_e32 v21, 2, v21
	ds_store_b32 v21, v19
	s_or_b32 exec_lo, exec_lo, s13
	s_and_saveexec_b32 s12, s11
	s_cbranch_execz .LBB830_190
.LBB830_253:
	v_sub_nc_u32_e32 v19, v51, v3
	s_delay_alu instid0(VALU_DEP_1)
	v_lshlrev_b32_e32 v19, 2, v19
	ds_store_b32 v19, v20
	s_or_b32 exec_lo, exec_lo, s12
	s_and_saveexec_b32 s11, s10
	s_cbranch_execz .LBB830_191
.LBB830_254:
	v_sub_nc_u32_e32 v19, v45, v3
	s_delay_alu instid0(VALU_DEP_1)
	v_lshlrev_b32_e32 v19, 2, v19
	ds_store_b32 v19, v17
	s_or_b32 exec_lo, exec_lo, s11
	s_and_saveexec_b32 s10, s9
	s_cbranch_execz .LBB830_192
.LBB830_255:
	v_sub_nc_u32_e32 v17, v41, v3
	s_delay_alu instid0(VALU_DEP_1)
	v_lshlrev_b32_e32 v17, 2, v17
	ds_store_b32 v17, v18
	s_or_b32 exec_lo, exec_lo, s10
	s_and_saveexec_b32 s9, s7
	s_cbranch_execz .LBB830_193
.LBB830_256:
	v_sub_nc_u32_e32 v17, v39, v3
	s_delay_alu instid0(VALU_DEP_1)
	v_lshlrev_b32_e32 v17, 2, v17
	ds_store_b32 v17, v15
	s_or_b32 exec_lo, exec_lo, s9
	s_and_saveexec_b32 s7, s5
	s_cbranch_execz .LBB830_194
.LBB830_257:
	v_sub_nc_u32_e32 v15, v43, v3
	s_delay_alu instid0(VALU_DEP_1)
	v_lshlrev_b32_e32 v15, 2, v15
	ds_store_b32 v15, v16
	s_or_b32 exec_lo, exec_lo, s7
	s_and_saveexec_b32 s5, s8
	s_cbranch_execz .LBB830_195
.LBB830_258:
	v_sub_nc_u32_e32 v15, v47, v3
	s_delay_alu instid0(VALU_DEP_1)
	v_lshlrev_b32_e32 v15, 2, v15
	ds_store_b32 v15, v13
	s_or_b32 exec_lo, exec_lo, s5
	s_and_saveexec_b32 s5, s6
	s_cbranch_execz .LBB830_196
.LBB830_259:
	v_sub_nc_u32_e32 v13, v5, v3
	s_delay_alu instid0(VALU_DEP_1)
	v_lshlrev_b32_e32 v13, 2, v13
	ds_store_b32 v13, v14
	s_or_b32 exec_lo, exec_lo, s5
	s_and_saveexec_b32 s5, s4
	s_cbranch_execz .LBB830_197
.LBB830_260:
	v_sub_nc_u32_e32 v13, v7, v3
	s_delay_alu instid0(VALU_DEP_1)
	v_lshlrev_b32_e32 v13, 2, v13
	ds_store_b32 v13, v11
	s_or_b32 exec_lo, exec_lo, s5
	s_and_saveexec_b32 s4, s3
	s_cbranch_execz .LBB830_198
.LBB830_261:
	v_sub_nc_u32_e32 v11, v37, v3
	s_delay_alu instid0(VALU_DEP_1)
	v_lshlrev_b32_e32 v11, 2, v11
	ds_store_b32 v11, v12
	s_or_b32 exec_lo, exec_lo, s4
	s_and_saveexec_b32 s3, s2
	s_cbranch_execz .LBB830_199
.LBB830_262:
	v_sub_nc_u32_e32 v11, v61, v3
	s_delay_alu instid0(VALU_DEP_1)
	v_lshlrev_b32_e32 v11, 2, v11
	ds_store_b32 v11, v9
	s_or_b32 exec_lo, exec_lo, s3
	s_and_saveexec_b32 s2, s1
	s_cbranch_execnz .LBB830_200
	s_branch .LBB830_201
.LBB830_263:
	v_sub_nc_u32_e32 v14, v53, v4
	v_mov_b32_e32 v15, 0
	s_delay_alu instid0(VALU_DEP_1) | instskip(NEXT) | instid1(VALU_DEP_1)
	v_lshlrev_b64 v[14:15], 2, v[14:15]
	v_add_co_u32 v14, vcc_lo, v11, v14
	s_delay_alu instid0(VALU_DEP_2)
	v_add_co_ci_u32_e32 v15, vcc_lo, v12, v15, vcc_lo
	global_store_b32 v[14:15], v54, off
	s_or_b32 exec_lo, exec_lo, s17
	s_and_saveexec_b32 s17, s13
	s_cbranch_execz .LBB830_205
.LBB830_264:
	v_sub_nc_u32_e32 v14, v59, v4
	v_mov_b32_e32 v15, 0
	s_delay_alu instid0(VALU_DEP_1) | instskip(NEXT) | instid1(VALU_DEP_1)
	v_lshlrev_b64 v[14:15], 2, v[14:15]
	v_add_co_u32 v14, vcc_lo, v11, v14
	s_delay_alu instid0(VALU_DEP_2)
	v_add_co_ci_u32_e32 v15, vcc_lo, v12, v15, vcc_lo
	global_store_b32 v[14:15], v60, off
	s_or_b32 exec_lo, exec_lo, s17
	s_and_saveexec_b32 s17, s12
	s_cbranch_execz .LBB830_206
.LBB830_265:
	v_sub_nc_u32_e32 v14, v55, v4
	v_mov_b32_e32 v15, 0
	s_delay_alu instid0(VALU_DEP_1) | instskip(NEXT) | instid1(VALU_DEP_1)
	v_lshlrev_b64 v[14:15], 2, v[14:15]
	v_add_co_u32 v14, vcc_lo, v11, v14
	s_delay_alu instid0(VALU_DEP_2)
	v_add_co_ci_u32_e32 v15, vcc_lo, v12, v15, vcc_lo
	global_store_b32 v[14:15], v56, off
	s_or_b32 exec_lo, exec_lo, s17
	s_and_saveexec_b32 s17, s11
	s_cbranch_execz .LBB830_207
.LBB830_266:
	v_sub_nc_u32_e32 v14, v51, v4
	v_mov_b32_e32 v15, 0
	s_delay_alu instid0(VALU_DEP_1) | instskip(NEXT) | instid1(VALU_DEP_1)
	v_lshlrev_b64 v[14:15], 2, v[14:15]
	v_add_co_u32 v14, vcc_lo, v11, v14
	s_delay_alu instid0(VALU_DEP_2)
	v_add_co_ci_u32_e32 v15, vcc_lo, v12, v15, vcc_lo
	global_store_b32 v[14:15], v52, off
	s_or_b32 exec_lo, exec_lo, s17
	s_and_saveexec_b32 s17, s10
	s_cbranch_execz .LBB830_208
.LBB830_267:
	v_sub_nc_u32_e32 v14, v45, v4
	v_mov_b32_e32 v15, 0
	s_delay_alu instid0(VALU_DEP_1) | instskip(NEXT) | instid1(VALU_DEP_1)
	v_lshlrev_b64 v[14:15], 2, v[14:15]
	v_add_co_u32 v14, vcc_lo, v11, v14
	s_delay_alu instid0(VALU_DEP_2)
	v_add_co_ci_u32_e32 v15, vcc_lo, v12, v15, vcc_lo
	global_store_b32 v[14:15], v46, off
	s_or_b32 exec_lo, exec_lo, s17
	s_and_saveexec_b32 s17, s9
	s_cbranch_execz .LBB830_209
.LBB830_268:
	v_sub_nc_u32_e32 v14, v41, v4
	v_mov_b32_e32 v15, 0
	s_delay_alu instid0(VALU_DEP_1) | instskip(NEXT) | instid1(VALU_DEP_1)
	v_lshlrev_b64 v[14:15], 2, v[14:15]
	v_add_co_u32 v14, vcc_lo, v11, v14
	s_delay_alu instid0(VALU_DEP_2)
	v_add_co_ci_u32_e32 v15, vcc_lo, v12, v15, vcc_lo
	global_store_b32 v[14:15], v42, off
	s_or_b32 exec_lo, exec_lo, s17
	s_and_saveexec_b32 s17, s8
	s_cbranch_execz .LBB830_210
.LBB830_269:
	v_sub_nc_u32_e32 v14, v39, v4
	v_mov_b32_e32 v15, 0
	s_delay_alu instid0(VALU_DEP_1) | instskip(NEXT) | instid1(VALU_DEP_1)
	v_lshlrev_b64 v[14:15], 2, v[14:15]
	v_add_co_u32 v14, vcc_lo, v11, v14
	s_delay_alu instid0(VALU_DEP_2)
	v_add_co_ci_u32_e32 v15, vcc_lo, v12, v15, vcc_lo
	global_store_b32 v[14:15], v40, off
	s_or_b32 exec_lo, exec_lo, s17
	s_and_saveexec_b32 s17, s7
	s_cbranch_execz .LBB830_211
.LBB830_270:
	v_sub_nc_u32_e32 v14, v43, v4
	v_mov_b32_e32 v15, 0
	s_delay_alu instid0(VALU_DEP_1) | instskip(NEXT) | instid1(VALU_DEP_1)
	v_lshlrev_b64 v[14:15], 2, v[14:15]
	v_add_co_u32 v14, vcc_lo, v11, v14
	s_delay_alu instid0(VALU_DEP_2)
	v_add_co_ci_u32_e32 v15, vcc_lo, v12, v15, vcc_lo
	global_store_b32 v[14:15], v44, off
	s_or_b32 exec_lo, exec_lo, s17
	s_and_saveexec_b32 s17, s6
	s_cbranch_execz .LBB830_212
.LBB830_271:
	v_sub_nc_u32_e32 v14, v47, v4
	v_mov_b32_e32 v15, 0
	s_delay_alu instid0(VALU_DEP_1) | instskip(NEXT) | instid1(VALU_DEP_1)
	v_lshlrev_b64 v[14:15], 2, v[14:15]
	v_add_co_u32 v14, vcc_lo, v11, v14
	s_delay_alu instid0(VALU_DEP_2)
	v_add_co_ci_u32_e32 v15, vcc_lo, v12, v15, vcc_lo
	global_store_b32 v[14:15], v48, off
	s_or_b32 exec_lo, exec_lo, s17
	s_and_saveexec_b32 s17, s5
	s_cbranch_execz .LBB830_213
.LBB830_272:
	v_sub_nc_u32_e32 v14, v5, v4
	v_mov_b32_e32 v15, 0
	s_delay_alu instid0(VALU_DEP_1) | instskip(NEXT) | instid1(VALU_DEP_1)
	v_lshlrev_b64 v[14:15], 2, v[14:15]
	v_add_co_u32 v14, vcc_lo, v11, v14
	s_delay_alu instid0(VALU_DEP_2)
	v_add_co_ci_u32_e32 v15, vcc_lo, v12, v15, vcc_lo
	global_store_b32 v[14:15], v6, off
	s_or_b32 exec_lo, exec_lo, s17
	s_and_saveexec_b32 s17, s4
	s_cbranch_execz .LBB830_214
.LBB830_273:
	v_sub_nc_u32_e32 v14, v7, v4
	v_mov_b32_e32 v15, 0
	s_delay_alu instid0(VALU_DEP_1) | instskip(NEXT) | instid1(VALU_DEP_1)
	v_lshlrev_b64 v[14:15], 2, v[14:15]
	v_add_co_u32 v14, vcc_lo, v11, v14
	s_delay_alu instid0(VALU_DEP_2)
	v_add_co_ci_u32_e32 v15, vcc_lo, v12, v15, vcc_lo
	global_store_b32 v[14:15], v8, off
	s_or_b32 exec_lo, exec_lo, s17
	s_and_saveexec_b32 s17, s3
	s_cbranch_execz .LBB830_215
.LBB830_274:
	v_sub_nc_u32_e32 v14, v37, v4
	v_mov_b32_e32 v15, 0
	s_delay_alu instid0(VALU_DEP_1) | instskip(NEXT) | instid1(VALU_DEP_1)
	v_lshlrev_b64 v[14:15], 2, v[14:15]
	v_add_co_u32 v14, vcc_lo, v11, v14
	s_delay_alu instid0(VALU_DEP_2)
	v_add_co_ci_u32_e32 v15, vcc_lo, v12, v15, vcc_lo
	global_store_b32 v[14:15], v38, off
	s_or_b32 exec_lo, exec_lo, s17
	s_and_saveexec_b32 s17, s2
	s_cbranch_execz .LBB830_216
.LBB830_275:
	v_sub_nc_u32_e32 v14, v61, v4
	v_mov_b32_e32 v15, 0
	s_delay_alu instid0(VALU_DEP_1) | instskip(NEXT) | instid1(VALU_DEP_1)
	v_lshlrev_b64 v[14:15], 2, v[14:15]
	v_add_co_u32 v14, vcc_lo, v11, v14
	s_delay_alu instid0(VALU_DEP_2)
	v_add_co_ci_u32_e32 v15, vcc_lo, v12, v15, vcc_lo
	global_store_b32 v[14:15], v62, off
	s_or_b32 exec_lo, exec_lo, s17
	s_and_saveexec_b32 s17, s1
	s_cbranch_execnz .LBB830_217
	s_branch .LBB830_218
.LBB830_276:
	v_sub_nc_u32_e32 v13, v53, v4
	s_delay_alu instid0(VALU_DEP_1)
	v_lshlrev_b32_e32 v13, 2, v13
	ds_store_b32 v13, v54
	s_or_b32 exec_lo, exec_lo, s17
	s_and_saveexec_b32 s14, s13
	s_cbranch_execz .LBB830_222
.LBB830_277:
	v_sub_nc_u32_e32 v13, v59, v4
	s_delay_alu instid0(VALU_DEP_1)
	v_lshlrev_b32_e32 v13, 2, v13
	ds_store_b32 v13, v60
	s_or_b32 exec_lo, exec_lo, s14
	s_and_saveexec_b32 s13, s12
	s_cbranch_execz .LBB830_223
.LBB830_278:
	v_sub_nc_u32_e32 v13, v55, v4
	s_delay_alu instid0(VALU_DEP_1)
	v_lshlrev_b32_e32 v13, 2, v13
	ds_store_b32 v13, v56
	s_or_b32 exec_lo, exec_lo, s13
	s_and_saveexec_b32 s12, s11
	s_cbranch_execz .LBB830_224
.LBB830_279:
	v_sub_nc_u32_e32 v13, v51, v4
	s_delay_alu instid0(VALU_DEP_1)
	v_lshlrev_b32_e32 v13, 2, v13
	ds_store_b32 v13, v52
	s_or_b32 exec_lo, exec_lo, s12
	s_and_saveexec_b32 s11, s10
	s_cbranch_execz .LBB830_225
.LBB830_280:
	v_sub_nc_u32_e32 v13, v45, v4
	s_delay_alu instid0(VALU_DEP_1)
	v_lshlrev_b32_e32 v13, 2, v13
	ds_store_b32 v13, v46
	s_or_b32 exec_lo, exec_lo, s11
	s_and_saveexec_b32 s10, s9
	s_cbranch_execz .LBB830_226
.LBB830_281:
	v_sub_nc_u32_e32 v13, v41, v4
	s_delay_alu instid0(VALU_DEP_1)
	v_lshlrev_b32_e32 v13, 2, v13
	ds_store_b32 v13, v42
	s_or_b32 exec_lo, exec_lo, s10
	s_and_saveexec_b32 s9, s8
	s_cbranch_execz .LBB830_227
.LBB830_282:
	v_sub_nc_u32_e32 v13, v39, v4
	s_delay_alu instid0(VALU_DEP_1)
	v_lshlrev_b32_e32 v13, 2, v13
	ds_store_b32 v13, v40
	s_or_b32 exec_lo, exec_lo, s9
	s_and_saveexec_b32 s8, s7
	s_cbranch_execz .LBB830_228
.LBB830_283:
	v_sub_nc_u32_e32 v13, v43, v4
	s_delay_alu instid0(VALU_DEP_1)
	v_lshlrev_b32_e32 v13, 2, v13
	ds_store_b32 v13, v44
	s_or_b32 exec_lo, exec_lo, s8
	s_and_saveexec_b32 s7, s6
	s_cbranch_execz .LBB830_229
.LBB830_284:
	v_sub_nc_u32_e32 v13, v47, v4
	s_delay_alu instid0(VALU_DEP_1)
	v_lshlrev_b32_e32 v13, 2, v13
	ds_store_b32 v13, v48
	s_or_b32 exec_lo, exec_lo, s7
	s_and_saveexec_b32 s6, s5
	s_cbranch_execz .LBB830_230
.LBB830_285:
	v_sub_nc_u32_e32 v5, v5, v4
	s_delay_alu instid0(VALU_DEP_1)
	v_lshlrev_b32_e32 v5, 2, v5
	ds_store_b32 v5, v6
	s_or_b32 exec_lo, exec_lo, s6
	s_and_saveexec_b32 s5, s4
	s_cbranch_execz .LBB830_231
.LBB830_286:
	v_sub_nc_u32_e32 v5, v7, v4
	s_delay_alu instid0(VALU_DEP_1)
	v_lshlrev_b32_e32 v5, 2, v5
	ds_store_b32 v5, v8
	s_or_b32 exec_lo, exec_lo, s5
	s_and_saveexec_b32 s4, s3
	s_cbranch_execz .LBB830_232
.LBB830_287:
	v_sub_nc_u32_e32 v5, v37, v4
	s_delay_alu instid0(VALU_DEP_1)
	v_lshlrev_b32_e32 v5, 2, v5
	ds_store_b32 v5, v38
	s_or_b32 exec_lo, exec_lo, s4
	s_and_saveexec_b32 s3, s2
	s_cbranch_execz .LBB830_233
.LBB830_288:
	v_sub_nc_u32_e32 v5, v61, v4
	s_delay_alu instid0(VALU_DEP_1)
	v_lshlrev_b32_e32 v5, 2, v5
	ds_store_b32 v5, v62
	s_or_b32 exec_lo, exec_lo, s3
	s_and_saveexec_b32 s2, s1
	s_cbranch_execnz .LBB830_234
	s_branch .LBB830_235
	.section	.rodata,"a",@progbits
	.p2align	6, 0x0
	.amdhsa_kernel _ZN7rocprim17ROCPRIM_400000_NS6detail17trampoline_kernelINS0_14default_configENS1_29reduce_by_key_config_selectorIijN6thrust23THRUST_200600_302600_NS4plusIjEEEEZZNS1_33reduce_by_key_impl_wrapped_configILNS1_25lookback_scan_determinismE0ES3_S9_NS6_6detail15normal_iteratorINS6_10device_ptrIiEEEENSD_INSE_IjEEEESG_SI_PmS8_NS6_8equal_toIiEEEE10hipError_tPvRmT2_T3_mT4_T5_T6_T7_T8_P12ihipStream_tbENKUlT_T0_E_clISt17integral_constantIbLb1EES12_IbLb0EEEEDaSY_SZ_EUlSY_E_NS1_11comp_targetILNS1_3genE9ELNS1_11target_archE1100ELNS1_3gpuE3ELNS1_3repE0EEENS1_30default_config_static_selectorELNS0_4arch9wavefront6targetE0EEEvT1_
		.amdhsa_group_segment_fixed_size 15360
		.amdhsa_private_segment_fixed_size 0
		.amdhsa_kernarg_size 120
		.amdhsa_user_sgpr_count 15
		.amdhsa_user_sgpr_dispatch_ptr 0
		.amdhsa_user_sgpr_queue_ptr 0
		.amdhsa_user_sgpr_kernarg_segment_ptr 1
		.amdhsa_user_sgpr_dispatch_id 0
		.amdhsa_user_sgpr_private_segment_size 0
		.amdhsa_wavefront_size32 1
		.amdhsa_uses_dynamic_stack 0
		.amdhsa_enable_private_segment 0
		.amdhsa_system_sgpr_workgroup_id_x 1
		.amdhsa_system_sgpr_workgroup_id_y 0
		.amdhsa_system_sgpr_workgroup_id_z 0
		.amdhsa_system_sgpr_workgroup_info 0
		.amdhsa_system_vgpr_workitem_id 0
		.amdhsa_next_free_vgpr 87
		.amdhsa_next_free_sgpr 48
		.amdhsa_reserve_vcc 1
		.amdhsa_float_round_mode_32 0
		.amdhsa_float_round_mode_16_64 0
		.amdhsa_float_denorm_mode_32 3
		.amdhsa_float_denorm_mode_16_64 3
		.amdhsa_dx10_clamp 1
		.amdhsa_ieee_mode 1
		.amdhsa_fp16_overflow 0
		.amdhsa_workgroup_processor_mode 1
		.amdhsa_memory_ordered 1
		.amdhsa_forward_progress 0
		.amdhsa_shared_vgpr_count 0
		.amdhsa_exception_fp_ieee_invalid_op 0
		.amdhsa_exception_fp_denorm_src 0
		.amdhsa_exception_fp_ieee_div_zero 0
		.amdhsa_exception_fp_ieee_overflow 0
		.amdhsa_exception_fp_ieee_underflow 0
		.amdhsa_exception_fp_ieee_inexact 0
		.amdhsa_exception_int_div_zero 0
	.end_amdhsa_kernel
	.section	.text._ZN7rocprim17ROCPRIM_400000_NS6detail17trampoline_kernelINS0_14default_configENS1_29reduce_by_key_config_selectorIijN6thrust23THRUST_200600_302600_NS4plusIjEEEEZZNS1_33reduce_by_key_impl_wrapped_configILNS1_25lookback_scan_determinismE0ES3_S9_NS6_6detail15normal_iteratorINS6_10device_ptrIiEEEENSD_INSE_IjEEEESG_SI_PmS8_NS6_8equal_toIiEEEE10hipError_tPvRmT2_T3_mT4_T5_T6_T7_T8_P12ihipStream_tbENKUlT_T0_E_clISt17integral_constantIbLb1EES12_IbLb0EEEEDaSY_SZ_EUlSY_E_NS1_11comp_targetILNS1_3genE9ELNS1_11target_archE1100ELNS1_3gpuE3ELNS1_3repE0EEENS1_30default_config_static_selectorELNS0_4arch9wavefront6targetE0EEEvT1_,"axG",@progbits,_ZN7rocprim17ROCPRIM_400000_NS6detail17trampoline_kernelINS0_14default_configENS1_29reduce_by_key_config_selectorIijN6thrust23THRUST_200600_302600_NS4plusIjEEEEZZNS1_33reduce_by_key_impl_wrapped_configILNS1_25lookback_scan_determinismE0ES3_S9_NS6_6detail15normal_iteratorINS6_10device_ptrIiEEEENSD_INSE_IjEEEESG_SI_PmS8_NS6_8equal_toIiEEEE10hipError_tPvRmT2_T3_mT4_T5_T6_T7_T8_P12ihipStream_tbENKUlT_T0_E_clISt17integral_constantIbLb1EES12_IbLb0EEEEDaSY_SZ_EUlSY_E_NS1_11comp_targetILNS1_3genE9ELNS1_11target_archE1100ELNS1_3gpuE3ELNS1_3repE0EEENS1_30default_config_static_selectorELNS0_4arch9wavefront6targetE0EEEvT1_,comdat
.Lfunc_end830:
	.size	_ZN7rocprim17ROCPRIM_400000_NS6detail17trampoline_kernelINS0_14default_configENS1_29reduce_by_key_config_selectorIijN6thrust23THRUST_200600_302600_NS4plusIjEEEEZZNS1_33reduce_by_key_impl_wrapped_configILNS1_25lookback_scan_determinismE0ES3_S9_NS6_6detail15normal_iteratorINS6_10device_ptrIiEEEENSD_INSE_IjEEEESG_SI_PmS8_NS6_8equal_toIiEEEE10hipError_tPvRmT2_T3_mT4_T5_T6_T7_T8_P12ihipStream_tbENKUlT_T0_E_clISt17integral_constantIbLb1EES12_IbLb0EEEEDaSY_SZ_EUlSY_E_NS1_11comp_targetILNS1_3genE9ELNS1_11target_archE1100ELNS1_3gpuE3ELNS1_3repE0EEENS1_30default_config_static_selectorELNS0_4arch9wavefront6targetE0EEEvT1_, .Lfunc_end830-_ZN7rocprim17ROCPRIM_400000_NS6detail17trampoline_kernelINS0_14default_configENS1_29reduce_by_key_config_selectorIijN6thrust23THRUST_200600_302600_NS4plusIjEEEEZZNS1_33reduce_by_key_impl_wrapped_configILNS1_25lookback_scan_determinismE0ES3_S9_NS6_6detail15normal_iteratorINS6_10device_ptrIiEEEENSD_INSE_IjEEEESG_SI_PmS8_NS6_8equal_toIiEEEE10hipError_tPvRmT2_T3_mT4_T5_T6_T7_T8_P12ihipStream_tbENKUlT_T0_E_clISt17integral_constantIbLb1EES12_IbLb0EEEEDaSY_SZ_EUlSY_E_NS1_11comp_targetILNS1_3genE9ELNS1_11target_archE1100ELNS1_3gpuE3ELNS1_3repE0EEENS1_30default_config_static_selectorELNS0_4arch9wavefront6targetE0EEEvT1_
                                        ; -- End function
	.section	.AMDGPU.csdata,"",@progbits
; Kernel info:
; codeLenInByte = 17356
; NumSgprs: 50
; NumVgprs: 87
; ScratchSize: 0
; MemoryBound: 0
; FloatMode: 240
; IeeeMode: 1
; LDSByteSize: 15360 bytes/workgroup (compile time only)
; SGPRBlocks: 6
; VGPRBlocks: 10
; NumSGPRsForWavesPerEU: 50
; NumVGPRsForWavesPerEU: 87
; Occupancy: 16
; WaveLimiterHint : 1
; COMPUTE_PGM_RSRC2:SCRATCH_EN: 0
; COMPUTE_PGM_RSRC2:USER_SGPR: 15
; COMPUTE_PGM_RSRC2:TRAP_HANDLER: 0
; COMPUTE_PGM_RSRC2:TGID_X_EN: 1
; COMPUTE_PGM_RSRC2:TGID_Y_EN: 0
; COMPUTE_PGM_RSRC2:TGID_Z_EN: 0
; COMPUTE_PGM_RSRC2:TIDIG_COMP_CNT: 0
	.section	.text._ZN7rocprim17ROCPRIM_400000_NS6detail17trampoline_kernelINS0_14default_configENS1_29reduce_by_key_config_selectorIijN6thrust23THRUST_200600_302600_NS4plusIjEEEEZZNS1_33reduce_by_key_impl_wrapped_configILNS1_25lookback_scan_determinismE0ES3_S9_NS6_6detail15normal_iteratorINS6_10device_ptrIiEEEENSD_INSE_IjEEEESG_SI_PmS8_NS6_8equal_toIiEEEE10hipError_tPvRmT2_T3_mT4_T5_T6_T7_T8_P12ihipStream_tbENKUlT_T0_E_clISt17integral_constantIbLb1EES12_IbLb0EEEEDaSY_SZ_EUlSY_E_NS1_11comp_targetILNS1_3genE8ELNS1_11target_archE1030ELNS1_3gpuE2ELNS1_3repE0EEENS1_30default_config_static_selectorELNS0_4arch9wavefront6targetE0EEEvT1_,"axG",@progbits,_ZN7rocprim17ROCPRIM_400000_NS6detail17trampoline_kernelINS0_14default_configENS1_29reduce_by_key_config_selectorIijN6thrust23THRUST_200600_302600_NS4plusIjEEEEZZNS1_33reduce_by_key_impl_wrapped_configILNS1_25lookback_scan_determinismE0ES3_S9_NS6_6detail15normal_iteratorINS6_10device_ptrIiEEEENSD_INSE_IjEEEESG_SI_PmS8_NS6_8equal_toIiEEEE10hipError_tPvRmT2_T3_mT4_T5_T6_T7_T8_P12ihipStream_tbENKUlT_T0_E_clISt17integral_constantIbLb1EES12_IbLb0EEEEDaSY_SZ_EUlSY_E_NS1_11comp_targetILNS1_3genE8ELNS1_11target_archE1030ELNS1_3gpuE2ELNS1_3repE0EEENS1_30default_config_static_selectorELNS0_4arch9wavefront6targetE0EEEvT1_,comdat
	.protected	_ZN7rocprim17ROCPRIM_400000_NS6detail17trampoline_kernelINS0_14default_configENS1_29reduce_by_key_config_selectorIijN6thrust23THRUST_200600_302600_NS4plusIjEEEEZZNS1_33reduce_by_key_impl_wrapped_configILNS1_25lookback_scan_determinismE0ES3_S9_NS6_6detail15normal_iteratorINS6_10device_ptrIiEEEENSD_INSE_IjEEEESG_SI_PmS8_NS6_8equal_toIiEEEE10hipError_tPvRmT2_T3_mT4_T5_T6_T7_T8_P12ihipStream_tbENKUlT_T0_E_clISt17integral_constantIbLb1EES12_IbLb0EEEEDaSY_SZ_EUlSY_E_NS1_11comp_targetILNS1_3genE8ELNS1_11target_archE1030ELNS1_3gpuE2ELNS1_3repE0EEENS1_30default_config_static_selectorELNS0_4arch9wavefront6targetE0EEEvT1_ ; -- Begin function _ZN7rocprim17ROCPRIM_400000_NS6detail17trampoline_kernelINS0_14default_configENS1_29reduce_by_key_config_selectorIijN6thrust23THRUST_200600_302600_NS4plusIjEEEEZZNS1_33reduce_by_key_impl_wrapped_configILNS1_25lookback_scan_determinismE0ES3_S9_NS6_6detail15normal_iteratorINS6_10device_ptrIiEEEENSD_INSE_IjEEEESG_SI_PmS8_NS6_8equal_toIiEEEE10hipError_tPvRmT2_T3_mT4_T5_T6_T7_T8_P12ihipStream_tbENKUlT_T0_E_clISt17integral_constantIbLb1EES12_IbLb0EEEEDaSY_SZ_EUlSY_E_NS1_11comp_targetILNS1_3genE8ELNS1_11target_archE1030ELNS1_3gpuE2ELNS1_3repE0EEENS1_30default_config_static_selectorELNS0_4arch9wavefront6targetE0EEEvT1_
	.globl	_ZN7rocprim17ROCPRIM_400000_NS6detail17trampoline_kernelINS0_14default_configENS1_29reduce_by_key_config_selectorIijN6thrust23THRUST_200600_302600_NS4plusIjEEEEZZNS1_33reduce_by_key_impl_wrapped_configILNS1_25lookback_scan_determinismE0ES3_S9_NS6_6detail15normal_iteratorINS6_10device_ptrIiEEEENSD_INSE_IjEEEESG_SI_PmS8_NS6_8equal_toIiEEEE10hipError_tPvRmT2_T3_mT4_T5_T6_T7_T8_P12ihipStream_tbENKUlT_T0_E_clISt17integral_constantIbLb1EES12_IbLb0EEEEDaSY_SZ_EUlSY_E_NS1_11comp_targetILNS1_3genE8ELNS1_11target_archE1030ELNS1_3gpuE2ELNS1_3repE0EEENS1_30default_config_static_selectorELNS0_4arch9wavefront6targetE0EEEvT1_
	.p2align	8
	.type	_ZN7rocprim17ROCPRIM_400000_NS6detail17trampoline_kernelINS0_14default_configENS1_29reduce_by_key_config_selectorIijN6thrust23THRUST_200600_302600_NS4plusIjEEEEZZNS1_33reduce_by_key_impl_wrapped_configILNS1_25lookback_scan_determinismE0ES3_S9_NS6_6detail15normal_iteratorINS6_10device_ptrIiEEEENSD_INSE_IjEEEESG_SI_PmS8_NS6_8equal_toIiEEEE10hipError_tPvRmT2_T3_mT4_T5_T6_T7_T8_P12ihipStream_tbENKUlT_T0_E_clISt17integral_constantIbLb1EES12_IbLb0EEEEDaSY_SZ_EUlSY_E_NS1_11comp_targetILNS1_3genE8ELNS1_11target_archE1030ELNS1_3gpuE2ELNS1_3repE0EEENS1_30default_config_static_selectorELNS0_4arch9wavefront6targetE0EEEvT1_,@function
_ZN7rocprim17ROCPRIM_400000_NS6detail17trampoline_kernelINS0_14default_configENS1_29reduce_by_key_config_selectorIijN6thrust23THRUST_200600_302600_NS4plusIjEEEEZZNS1_33reduce_by_key_impl_wrapped_configILNS1_25lookback_scan_determinismE0ES3_S9_NS6_6detail15normal_iteratorINS6_10device_ptrIiEEEENSD_INSE_IjEEEESG_SI_PmS8_NS6_8equal_toIiEEEE10hipError_tPvRmT2_T3_mT4_T5_T6_T7_T8_P12ihipStream_tbENKUlT_T0_E_clISt17integral_constantIbLb1EES12_IbLb0EEEEDaSY_SZ_EUlSY_E_NS1_11comp_targetILNS1_3genE8ELNS1_11target_archE1030ELNS1_3gpuE2ELNS1_3repE0EEENS1_30default_config_static_selectorELNS0_4arch9wavefront6targetE0EEEvT1_: ; @_ZN7rocprim17ROCPRIM_400000_NS6detail17trampoline_kernelINS0_14default_configENS1_29reduce_by_key_config_selectorIijN6thrust23THRUST_200600_302600_NS4plusIjEEEEZZNS1_33reduce_by_key_impl_wrapped_configILNS1_25lookback_scan_determinismE0ES3_S9_NS6_6detail15normal_iteratorINS6_10device_ptrIiEEEENSD_INSE_IjEEEESG_SI_PmS8_NS6_8equal_toIiEEEE10hipError_tPvRmT2_T3_mT4_T5_T6_T7_T8_P12ihipStream_tbENKUlT_T0_E_clISt17integral_constantIbLb1EES12_IbLb0EEEEDaSY_SZ_EUlSY_E_NS1_11comp_targetILNS1_3genE8ELNS1_11target_archE1030ELNS1_3gpuE2ELNS1_3repE0EEENS1_30default_config_static_selectorELNS0_4arch9wavefront6targetE0EEEvT1_
; %bb.0:
	.section	.rodata,"a",@progbits
	.p2align	6, 0x0
	.amdhsa_kernel _ZN7rocprim17ROCPRIM_400000_NS6detail17trampoline_kernelINS0_14default_configENS1_29reduce_by_key_config_selectorIijN6thrust23THRUST_200600_302600_NS4plusIjEEEEZZNS1_33reduce_by_key_impl_wrapped_configILNS1_25lookback_scan_determinismE0ES3_S9_NS6_6detail15normal_iteratorINS6_10device_ptrIiEEEENSD_INSE_IjEEEESG_SI_PmS8_NS6_8equal_toIiEEEE10hipError_tPvRmT2_T3_mT4_T5_T6_T7_T8_P12ihipStream_tbENKUlT_T0_E_clISt17integral_constantIbLb1EES12_IbLb0EEEEDaSY_SZ_EUlSY_E_NS1_11comp_targetILNS1_3genE8ELNS1_11target_archE1030ELNS1_3gpuE2ELNS1_3repE0EEENS1_30default_config_static_selectorELNS0_4arch9wavefront6targetE0EEEvT1_
		.amdhsa_group_segment_fixed_size 0
		.amdhsa_private_segment_fixed_size 0
		.amdhsa_kernarg_size 120
		.amdhsa_user_sgpr_count 15
		.amdhsa_user_sgpr_dispatch_ptr 0
		.amdhsa_user_sgpr_queue_ptr 0
		.amdhsa_user_sgpr_kernarg_segment_ptr 1
		.amdhsa_user_sgpr_dispatch_id 0
		.amdhsa_user_sgpr_private_segment_size 0
		.amdhsa_wavefront_size32 1
		.amdhsa_uses_dynamic_stack 0
		.amdhsa_enable_private_segment 0
		.amdhsa_system_sgpr_workgroup_id_x 1
		.amdhsa_system_sgpr_workgroup_id_y 0
		.amdhsa_system_sgpr_workgroup_id_z 0
		.amdhsa_system_sgpr_workgroup_info 0
		.amdhsa_system_vgpr_workitem_id 0
		.amdhsa_next_free_vgpr 1
		.amdhsa_next_free_sgpr 1
		.amdhsa_reserve_vcc 0
		.amdhsa_float_round_mode_32 0
		.amdhsa_float_round_mode_16_64 0
		.amdhsa_float_denorm_mode_32 3
		.amdhsa_float_denorm_mode_16_64 3
		.amdhsa_dx10_clamp 1
		.amdhsa_ieee_mode 1
		.amdhsa_fp16_overflow 0
		.amdhsa_workgroup_processor_mode 1
		.amdhsa_memory_ordered 1
		.amdhsa_forward_progress 0
		.amdhsa_shared_vgpr_count 0
		.amdhsa_exception_fp_ieee_invalid_op 0
		.amdhsa_exception_fp_denorm_src 0
		.amdhsa_exception_fp_ieee_div_zero 0
		.amdhsa_exception_fp_ieee_overflow 0
		.amdhsa_exception_fp_ieee_underflow 0
		.amdhsa_exception_fp_ieee_inexact 0
		.amdhsa_exception_int_div_zero 0
	.end_amdhsa_kernel
	.section	.text._ZN7rocprim17ROCPRIM_400000_NS6detail17trampoline_kernelINS0_14default_configENS1_29reduce_by_key_config_selectorIijN6thrust23THRUST_200600_302600_NS4plusIjEEEEZZNS1_33reduce_by_key_impl_wrapped_configILNS1_25lookback_scan_determinismE0ES3_S9_NS6_6detail15normal_iteratorINS6_10device_ptrIiEEEENSD_INSE_IjEEEESG_SI_PmS8_NS6_8equal_toIiEEEE10hipError_tPvRmT2_T3_mT4_T5_T6_T7_T8_P12ihipStream_tbENKUlT_T0_E_clISt17integral_constantIbLb1EES12_IbLb0EEEEDaSY_SZ_EUlSY_E_NS1_11comp_targetILNS1_3genE8ELNS1_11target_archE1030ELNS1_3gpuE2ELNS1_3repE0EEENS1_30default_config_static_selectorELNS0_4arch9wavefront6targetE0EEEvT1_,"axG",@progbits,_ZN7rocprim17ROCPRIM_400000_NS6detail17trampoline_kernelINS0_14default_configENS1_29reduce_by_key_config_selectorIijN6thrust23THRUST_200600_302600_NS4plusIjEEEEZZNS1_33reduce_by_key_impl_wrapped_configILNS1_25lookback_scan_determinismE0ES3_S9_NS6_6detail15normal_iteratorINS6_10device_ptrIiEEEENSD_INSE_IjEEEESG_SI_PmS8_NS6_8equal_toIiEEEE10hipError_tPvRmT2_T3_mT4_T5_T6_T7_T8_P12ihipStream_tbENKUlT_T0_E_clISt17integral_constantIbLb1EES12_IbLb0EEEEDaSY_SZ_EUlSY_E_NS1_11comp_targetILNS1_3genE8ELNS1_11target_archE1030ELNS1_3gpuE2ELNS1_3repE0EEENS1_30default_config_static_selectorELNS0_4arch9wavefront6targetE0EEEvT1_,comdat
.Lfunc_end831:
	.size	_ZN7rocprim17ROCPRIM_400000_NS6detail17trampoline_kernelINS0_14default_configENS1_29reduce_by_key_config_selectorIijN6thrust23THRUST_200600_302600_NS4plusIjEEEEZZNS1_33reduce_by_key_impl_wrapped_configILNS1_25lookback_scan_determinismE0ES3_S9_NS6_6detail15normal_iteratorINS6_10device_ptrIiEEEENSD_INSE_IjEEEESG_SI_PmS8_NS6_8equal_toIiEEEE10hipError_tPvRmT2_T3_mT4_T5_T6_T7_T8_P12ihipStream_tbENKUlT_T0_E_clISt17integral_constantIbLb1EES12_IbLb0EEEEDaSY_SZ_EUlSY_E_NS1_11comp_targetILNS1_3genE8ELNS1_11target_archE1030ELNS1_3gpuE2ELNS1_3repE0EEENS1_30default_config_static_selectorELNS0_4arch9wavefront6targetE0EEEvT1_, .Lfunc_end831-_ZN7rocprim17ROCPRIM_400000_NS6detail17trampoline_kernelINS0_14default_configENS1_29reduce_by_key_config_selectorIijN6thrust23THRUST_200600_302600_NS4plusIjEEEEZZNS1_33reduce_by_key_impl_wrapped_configILNS1_25lookback_scan_determinismE0ES3_S9_NS6_6detail15normal_iteratorINS6_10device_ptrIiEEEENSD_INSE_IjEEEESG_SI_PmS8_NS6_8equal_toIiEEEE10hipError_tPvRmT2_T3_mT4_T5_T6_T7_T8_P12ihipStream_tbENKUlT_T0_E_clISt17integral_constantIbLb1EES12_IbLb0EEEEDaSY_SZ_EUlSY_E_NS1_11comp_targetILNS1_3genE8ELNS1_11target_archE1030ELNS1_3gpuE2ELNS1_3repE0EEENS1_30default_config_static_selectorELNS0_4arch9wavefront6targetE0EEEvT1_
                                        ; -- End function
	.section	.AMDGPU.csdata,"",@progbits
; Kernel info:
; codeLenInByte = 0
; NumSgprs: 0
; NumVgprs: 0
; ScratchSize: 0
; MemoryBound: 0
; FloatMode: 240
; IeeeMode: 1
; LDSByteSize: 0 bytes/workgroup (compile time only)
; SGPRBlocks: 0
; VGPRBlocks: 0
; NumSGPRsForWavesPerEU: 1
; NumVGPRsForWavesPerEU: 1
; Occupancy: 16
; WaveLimiterHint : 0
; COMPUTE_PGM_RSRC2:SCRATCH_EN: 0
; COMPUTE_PGM_RSRC2:USER_SGPR: 15
; COMPUTE_PGM_RSRC2:TRAP_HANDLER: 0
; COMPUTE_PGM_RSRC2:TGID_X_EN: 1
; COMPUTE_PGM_RSRC2:TGID_Y_EN: 0
; COMPUTE_PGM_RSRC2:TGID_Z_EN: 0
; COMPUTE_PGM_RSRC2:TIDIG_COMP_CNT: 0
	.section	.text._ZN7rocprim17ROCPRIM_400000_NS6detail17trampoline_kernelINS0_14default_configENS1_29reduce_by_key_config_selectorIijN6thrust23THRUST_200600_302600_NS4plusIjEEEEZZNS1_33reduce_by_key_impl_wrapped_configILNS1_25lookback_scan_determinismE0ES3_S9_NS6_6detail15normal_iteratorINS6_10device_ptrIiEEEENSD_INSE_IjEEEESG_SI_PmS8_NS6_8equal_toIiEEEE10hipError_tPvRmT2_T3_mT4_T5_T6_T7_T8_P12ihipStream_tbENKUlT_T0_E_clISt17integral_constantIbLb0EES12_IbLb1EEEEDaSY_SZ_EUlSY_E_NS1_11comp_targetILNS1_3genE0ELNS1_11target_archE4294967295ELNS1_3gpuE0ELNS1_3repE0EEENS1_30default_config_static_selectorELNS0_4arch9wavefront6targetE0EEEvT1_,"axG",@progbits,_ZN7rocprim17ROCPRIM_400000_NS6detail17trampoline_kernelINS0_14default_configENS1_29reduce_by_key_config_selectorIijN6thrust23THRUST_200600_302600_NS4plusIjEEEEZZNS1_33reduce_by_key_impl_wrapped_configILNS1_25lookback_scan_determinismE0ES3_S9_NS6_6detail15normal_iteratorINS6_10device_ptrIiEEEENSD_INSE_IjEEEESG_SI_PmS8_NS6_8equal_toIiEEEE10hipError_tPvRmT2_T3_mT4_T5_T6_T7_T8_P12ihipStream_tbENKUlT_T0_E_clISt17integral_constantIbLb0EES12_IbLb1EEEEDaSY_SZ_EUlSY_E_NS1_11comp_targetILNS1_3genE0ELNS1_11target_archE4294967295ELNS1_3gpuE0ELNS1_3repE0EEENS1_30default_config_static_selectorELNS0_4arch9wavefront6targetE0EEEvT1_,comdat
	.protected	_ZN7rocprim17ROCPRIM_400000_NS6detail17trampoline_kernelINS0_14default_configENS1_29reduce_by_key_config_selectorIijN6thrust23THRUST_200600_302600_NS4plusIjEEEEZZNS1_33reduce_by_key_impl_wrapped_configILNS1_25lookback_scan_determinismE0ES3_S9_NS6_6detail15normal_iteratorINS6_10device_ptrIiEEEENSD_INSE_IjEEEESG_SI_PmS8_NS6_8equal_toIiEEEE10hipError_tPvRmT2_T3_mT4_T5_T6_T7_T8_P12ihipStream_tbENKUlT_T0_E_clISt17integral_constantIbLb0EES12_IbLb1EEEEDaSY_SZ_EUlSY_E_NS1_11comp_targetILNS1_3genE0ELNS1_11target_archE4294967295ELNS1_3gpuE0ELNS1_3repE0EEENS1_30default_config_static_selectorELNS0_4arch9wavefront6targetE0EEEvT1_ ; -- Begin function _ZN7rocprim17ROCPRIM_400000_NS6detail17trampoline_kernelINS0_14default_configENS1_29reduce_by_key_config_selectorIijN6thrust23THRUST_200600_302600_NS4plusIjEEEEZZNS1_33reduce_by_key_impl_wrapped_configILNS1_25lookback_scan_determinismE0ES3_S9_NS6_6detail15normal_iteratorINS6_10device_ptrIiEEEENSD_INSE_IjEEEESG_SI_PmS8_NS6_8equal_toIiEEEE10hipError_tPvRmT2_T3_mT4_T5_T6_T7_T8_P12ihipStream_tbENKUlT_T0_E_clISt17integral_constantIbLb0EES12_IbLb1EEEEDaSY_SZ_EUlSY_E_NS1_11comp_targetILNS1_3genE0ELNS1_11target_archE4294967295ELNS1_3gpuE0ELNS1_3repE0EEENS1_30default_config_static_selectorELNS0_4arch9wavefront6targetE0EEEvT1_
	.globl	_ZN7rocprim17ROCPRIM_400000_NS6detail17trampoline_kernelINS0_14default_configENS1_29reduce_by_key_config_selectorIijN6thrust23THRUST_200600_302600_NS4plusIjEEEEZZNS1_33reduce_by_key_impl_wrapped_configILNS1_25lookback_scan_determinismE0ES3_S9_NS6_6detail15normal_iteratorINS6_10device_ptrIiEEEENSD_INSE_IjEEEESG_SI_PmS8_NS6_8equal_toIiEEEE10hipError_tPvRmT2_T3_mT4_T5_T6_T7_T8_P12ihipStream_tbENKUlT_T0_E_clISt17integral_constantIbLb0EES12_IbLb1EEEEDaSY_SZ_EUlSY_E_NS1_11comp_targetILNS1_3genE0ELNS1_11target_archE4294967295ELNS1_3gpuE0ELNS1_3repE0EEENS1_30default_config_static_selectorELNS0_4arch9wavefront6targetE0EEEvT1_
	.p2align	8
	.type	_ZN7rocprim17ROCPRIM_400000_NS6detail17trampoline_kernelINS0_14default_configENS1_29reduce_by_key_config_selectorIijN6thrust23THRUST_200600_302600_NS4plusIjEEEEZZNS1_33reduce_by_key_impl_wrapped_configILNS1_25lookback_scan_determinismE0ES3_S9_NS6_6detail15normal_iteratorINS6_10device_ptrIiEEEENSD_INSE_IjEEEESG_SI_PmS8_NS6_8equal_toIiEEEE10hipError_tPvRmT2_T3_mT4_T5_T6_T7_T8_P12ihipStream_tbENKUlT_T0_E_clISt17integral_constantIbLb0EES12_IbLb1EEEEDaSY_SZ_EUlSY_E_NS1_11comp_targetILNS1_3genE0ELNS1_11target_archE4294967295ELNS1_3gpuE0ELNS1_3repE0EEENS1_30default_config_static_selectorELNS0_4arch9wavefront6targetE0EEEvT1_,@function
_ZN7rocprim17ROCPRIM_400000_NS6detail17trampoline_kernelINS0_14default_configENS1_29reduce_by_key_config_selectorIijN6thrust23THRUST_200600_302600_NS4plusIjEEEEZZNS1_33reduce_by_key_impl_wrapped_configILNS1_25lookback_scan_determinismE0ES3_S9_NS6_6detail15normal_iteratorINS6_10device_ptrIiEEEENSD_INSE_IjEEEESG_SI_PmS8_NS6_8equal_toIiEEEE10hipError_tPvRmT2_T3_mT4_T5_T6_T7_T8_P12ihipStream_tbENKUlT_T0_E_clISt17integral_constantIbLb0EES12_IbLb1EEEEDaSY_SZ_EUlSY_E_NS1_11comp_targetILNS1_3genE0ELNS1_11target_archE4294967295ELNS1_3gpuE0ELNS1_3repE0EEENS1_30default_config_static_selectorELNS0_4arch9wavefront6targetE0EEEvT1_: ; @_ZN7rocprim17ROCPRIM_400000_NS6detail17trampoline_kernelINS0_14default_configENS1_29reduce_by_key_config_selectorIijN6thrust23THRUST_200600_302600_NS4plusIjEEEEZZNS1_33reduce_by_key_impl_wrapped_configILNS1_25lookback_scan_determinismE0ES3_S9_NS6_6detail15normal_iteratorINS6_10device_ptrIiEEEENSD_INSE_IjEEEESG_SI_PmS8_NS6_8equal_toIiEEEE10hipError_tPvRmT2_T3_mT4_T5_T6_T7_T8_P12ihipStream_tbENKUlT_T0_E_clISt17integral_constantIbLb0EES12_IbLb1EEEEDaSY_SZ_EUlSY_E_NS1_11comp_targetILNS1_3genE0ELNS1_11target_archE4294967295ELNS1_3gpuE0ELNS1_3repE0EEENS1_30default_config_static_selectorELNS0_4arch9wavefront6targetE0EEEvT1_
; %bb.0:
	.section	.rodata,"a",@progbits
	.p2align	6, 0x0
	.amdhsa_kernel _ZN7rocprim17ROCPRIM_400000_NS6detail17trampoline_kernelINS0_14default_configENS1_29reduce_by_key_config_selectorIijN6thrust23THRUST_200600_302600_NS4plusIjEEEEZZNS1_33reduce_by_key_impl_wrapped_configILNS1_25lookback_scan_determinismE0ES3_S9_NS6_6detail15normal_iteratorINS6_10device_ptrIiEEEENSD_INSE_IjEEEESG_SI_PmS8_NS6_8equal_toIiEEEE10hipError_tPvRmT2_T3_mT4_T5_T6_T7_T8_P12ihipStream_tbENKUlT_T0_E_clISt17integral_constantIbLb0EES12_IbLb1EEEEDaSY_SZ_EUlSY_E_NS1_11comp_targetILNS1_3genE0ELNS1_11target_archE4294967295ELNS1_3gpuE0ELNS1_3repE0EEENS1_30default_config_static_selectorELNS0_4arch9wavefront6targetE0EEEvT1_
		.amdhsa_group_segment_fixed_size 0
		.amdhsa_private_segment_fixed_size 0
		.amdhsa_kernarg_size 120
		.amdhsa_user_sgpr_count 15
		.amdhsa_user_sgpr_dispatch_ptr 0
		.amdhsa_user_sgpr_queue_ptr 0
		.amdhsa_user_sgpr_kernarg_segment_ptr 1
		.amdhsa_user_sgpr_dispatch_id 0
		.amdhsa_user_sgpr_private_segment_size 0
		.amdhsa_wavefront_size32 1
		.amdhsa_uses_dynamic_stack 0
		.amdhsa_enable_private_segment 0
		.amdhsa_system_sgpr_workgroup_id_x 1
		.amdhsa_system_sgpr_workgroup_id_y 0
		.amdhsa_system_sgpr_workgroup_id_z 0
		.amdhsa_system_sgpr_workgroup_info 0
		.amdhsa_system_vgpr_workitem_id 0
		.amdhsa_next_free_vgpr 1
		.amdhsa_next_free_sgpr 1
		.amdhsa_reserve_vcc 0
		.amdhsa_float_round_mode_32 0
		.amdhsa_float_round_mode_16_64 0
		.amdhsa_float_denorm_mode_32 3
		.amdhsa_float_denorm_mode_16_64 3
		.amdhsa_dx10_clamp 1
		.amdhsa_ieee_mode 1
		.amdhsa_fp16_overflow 0
		.amdhsa_workgroup_processor_mode 1
		.amdhsa_memory_ordered 1
		.amdhsa_forward_progress 0
		.amdhsa_shared_vgpr_count 0
		.amdhsa_exception_fp_ieee_invalid_op 0
		.amdhsa_exception_fp_denorm_src 0
		.amdhsa_exception_fp_ieee_div_zero 0
		.amdhsa_exception_fp_ieee_overflow 0
		.amdhsa_exception_fp_ieee_underflow 0
		.amdhsa_exception_fp_ieee_inexact 0
		.amdhsa_exception_int_div_zero 0
	.end_amdhsa_kernel
	.section	.text._ZN7rocprim17ROCPRIM_400000_NS6detail17trampoline_kernelINS0_14default_configENS1_29reduce_by_key_config_selectorIijN6thrust23THRUST_200600_302600_NS4plusIjEEEEZZNS1_33reduce_by_key_impl_wrapped_configILNS1_25lookback_scan_determinismE0ES3_S9_NS6_6detail15normal_iteratorINS6_10device_ptrIiEEEENSD_INSE_IjEEEESG_SI_PmS8_NS6_8equal_toIiEEEE10hipError_tPvRmT2_T3_mT4_T5_T6_T7_T8_P12ihipStream_tbENKUlT_T0_E_clISt17integral_constantIbLb0EES12_IbLb1EEEEDaSY_SZ_EUlSY_E_NS1_11comp_targetILNS1_3genE0ELNS1_11target_archE4294967295ELNS1_3gpuE0ELNS1_3repE0EEENS1_30default_config_static_selectorELNS0_4arch9wavefront6targetE0EEEvT1_,"axG",@progbits,_ZN7rocprim17ROCPRIM_400000_NS6detail17trampoline_kernelINS0_14default_configENS1_29reduce_by_key_config_selectorIijN6thrust23THRUST_200600_302600_NS4plusIjEEEEZZNS1_33reduce_by_key_impl_wrapped_configILNS1_25lookback_scan_determinismE0ES3_S9_NS6_6detail15normal_iteratorINS6_10device_ptrIiEEEENSD_INSE_IjEEEESG_SI_PmS8_NS6_8equal_toIiEEEE10hipError_tPvRmT2_T3_mT4_T5_T6_T7_T8_P12ihipStream_tbENKUlT_T0_E_clISt17integral_constantIbLb0EES12_IbLb1EEEEDaSY_SZ_EUlSY_E_NS1_11comp_targetILNS1_3genE0ELNS1_11target_archE4294967295ELNS1_3gpuE0ELNS1_3repE0EEENS1_30default_config_static_selectorELNS0_4arch9wavefront6targetE0EEEvT1_,comdat
.Lfunc_end832:
	.size	_ZN7rocprim17ROCPRIM_400000_NS6detail17trampoline_kernelINS0_14default_configENS1_29reduce_by_key_config_selectorIijN6thrust23THRUST_200600_302600_NS4plusIjEEEEZZNS1_33reduce_by_key_impl_wrapped_configILNS1_25lookback_scan_determinismE0ES3_S9_NS6_6detail15normal_iteratorINS6_10device_ptrIiEEEENSD_INSE_IjEEEESG_SI_PmS8_NS6_8equal_toIiEEEE10hipError_tPvRmT2_T3_mT4_T5_T6_T7_T8_P12ihipStream_tbENKUlT_T0_E_clISt17integral_constantIbLb0EES12_IbLb1EEEEDaSY_SZ_EUlSY_E_NS1_11comp_targetILNS1_3genE0ELNS1_11target_archE4294967295ELNS1_3gpuE0ELNS1_3repE0EEENS1_30default_config_static_selectorELNS0_4arch9wavefront6targetE0EEEvT1_, .Lfunc_end832-_ZN7rocprim17ROCPRIM_400000_NS6detail17trampoline_kernelINS0_14default_configENS1_29reduce_by_key_config_selectorIijN6thrust23THRUST_200600_302600_NS4plusIjEEEEZZNS1_33reduce_by_key_impl_wrapped_configILNS1_25lookback_scan_determinismE0ES3_S9_NS6_6detail15normal_iteratorINS6_10device_ptrIiEEEENSD_INSE_IjEEEESG_SI_PmS8_NS6_8equal_toIiEEEE10hipError_tPvRmT2_T3_mT4_T5_T6_T7_T8_P12ihipStream_tbENKUlT_T0_E_clISt17integral_constantIbLb0EES12_IbLb1EEEEDaSY_SZ_EUlSY_E_NS1_11comp_targetILNS1_3genE0ELNS1_11target_archE4294967295ELNS1_3gpuE0ELNS1_3repE0EEENS1_30default_config_static_selectorELNS0_4arch9wavefront6targetE0EEEvT1_
                                        ; -- End function
	.section	.AMDGPU.csdata,"",@progbits
; Kernel info:
; codeLenInByte = 0
; NumSgprs: 0
; NumVgprs: 0
; ScratchSize: 0
; MemoryBound: 0
; FloatMode: 240
; IeeeMode: 1
; LDSByteSize: 0 bytes/workgroup (compile time only)
; SGPRBlocks: 0
; VGPRBlocks: 0
; NumSGPRsForWavesPerEU: 1
; NumVGPRsForWavesPerEU: 1
; Occupancy: 16
; WaveLimiterHint : 0
; COMPUTE_PGM_RSRC2:SCRATCH_EN: 0
; COMPUTE_PGM_RSRC2:USER_SGPR: 15
; COMPUTE_PGM_RSRC2:TRAP_HANDLER: 0
; COMPUTE_PGM_RSRC2:TGID_X_EN: 1
; COMPUTE_PGM_RSRC2:TGID_Y_EN: 0
; COMPUTE_PGM_RSRC2:TGID_Z_EN: 0
; COMPUTE_PGM_RSRC2:TIDIG_COMP_CNT: 0
	.section	.text._ZN7rocprim17ROCPRIM_400000_NS6detail17trampoline_kernelINS0_14default_configENS1_29reduce_by_key_config_selectorIijN6thrust23THRUST_200600_302600_NS4plusIjEEEEZZNS1_33reduce_by_key_impl_wrapped_configILNS1_25lookback_scan_determinismE0ES3_S9_NS6_6detail15normal_iteratorINS6_10device_ptrIiEEEENSD_INSE_IjEEEESG_SI_PmS8_NS6_8equal_toIiEEEE10hipError_tPvRmT2_T3_mT4_T5_T6_T7_T8_P12ihipStream_tbENKUlT_T0_E_clISt17integral_constantIbLb0EES12_IbLb1EEEEDaSY_SZ_EUlSY_E_NS1_11comp_targetILNS1_3genE5ELNS1_11target_archE942ELNS1_3gpuE9ELNS1_3repE0EEENS1_30default_config_static_selectorELNS0_4arch9wavefront6targetE0EEEvT1_,"axG",@progbits,_ZN7rocprim17ROCPRIM_400000_NS6detail17trampoline_kernelINS0_14default_configENS1_29reduce_by_key_config_selectorIijN6thrust23THRUST_200600_302600_NS4plusIjEEEEZZNS1_33reduce_by_key_impl_wrapped_configILNS1_25lookback_scan_determinismE0ES3_S9_NS6_6detail15normal_iteratorINS6_10device_ptrIiEEEENSD_INSE_IjEEEESG_SI_PmS8_NS6_8equal_toIiEEEE10hipError_tPvRmT2_T3_mT4_T5_T6_T7_T8_P12ihipStream_tbENKUlT_T0_E_clISt17integral_constantIbLb0EES12_IbLb1EEEEDaSY_SZ_EUlSY_E_NS1_11comp_targetILNS1_3genE5ELNS1_11target_archE942ELNS1_3gpuE9ELNS1_3repE0EEENS1_30default_config_static_selectorELNS0_4arch9wavefront6targetE0EEEvT1_,comdat
	.protected	_ZN7rocprim17ROCPRIM_400000_NS6detail17trampoline_kernelINS0_14default_configENS1_29reduce_by_key_config_selectorIijN6thrust23THRUST_200600_302600_NS4plusIjEEEEZZNS1_33reduce_by_key_impl_wrapped_configILNS1_25lookback_scan_determinismE0ES3_S9_NS6_6detail15normal_iteratorINS6_10device_ptrIiEEEENSD_INSE_IjEEEESG_SI_PmS8_NS6_8equal_toIiEEEE10hipError_tPvRmT2_T3_mT4_T5_T6_T7_T8_P12ihipStream_tbENKUlT_T0_E_clISt17integral_constantIbLb0EES12_IbLb1EEEEDaSY_SZ_EUlSY_E_NS1_11comp_targetILNS1_3genE5ELNS1_11target_archE942ELNS1_3gpuE9ELNS1_3repE0EEENS1_30default_config_static_selectorELNS0_4arch9wavefront6targetE0EEEvT1_ ; -- Begin function _ZN7rocprim17ROCPRIM_400000_NS6detail17trampoline_kernelINS0_14default_configENS1_29reduce_by_key_config_selectorIijN6thrust23THRUST_200600_302600_NS4plusIjEEEEZZNS1_33reduce_by_key_impl_wrapped_configILNS1_25lookback_scan_determinismE0ES3_S9_NS6_6detail15normal_iteratorINS6_10device_ptrIiEEEENSD_INSE_IjEEEESG_SI_PmS8_NS6_8equal_toIiEEEE10hipError_tPvRmT2_T3_mT4_T5_T6_T7_T8_P12ihipStream_tbENKUlT_T0_E_clISt17integral_constantIbLb0EES12_IbLb1EEEEDaSY_SZ_EUlSY_E_NS1_11comp_targetILNS1_3genE5ELNS1_11target_archE942ELNS1_3gpuE9ELNS1_3repE0EEENS1_30default_config_static_selectorELNS0_4arch9wavefront6targetE0EEEvT1_
	.globl	_ZN7rocprim17ROCPRIM_400000_NS6detail17trampoline_kernelINS0_14default_configENS1_29reduce_by_key_config_selectorIijN6thrust23THRUST_200600_302600_NS4plusIjEEEEZZNS1_33reduce_by_key_impl_wrapped_configILNS1_25lookback_scan_determinismE0ES3_S9_NS6_6detail15normal_iteratorINS6_10device_ptrIiEEEENSD_INSE_IjEEEESG_SI_PmS8_NS6_8equal_toIiEEEE10hipError_tPvRmT2_T3_mT4_T5_T6_T7_T8_P12ihipStream_tbENKUlT_T0_E_clISt17integral_constantIbLb0EES12_IbLb1EEEEDaSY_SZ_EUlSY_E_NS1_11comp_targetILNS1_3genE5ELNS1_11target_archE942ELNS1_3gpuE9ELNS1_3repE0EEENS1_30default_config_static_selectorELNS0_4arch9wavefront6targetE0EEEvT1_
	.p2align	8
	.type	_ZN7rocprim17ROCPRIM_400000_NS6detail17trampoline_kernelINS0_14default_configENS1_29reduce_by_key_config_selectorIijN6thrust23THRUST_200600_302600_NS4plusIjEEEEZZNS1_33reduce_by_key_impl_wrapped_configILNS1_25lookback_scan_determinismE0ES3_S9_NS6_6detail15normal_iteratorINS6_10device_ptrIiEEEENSD_INSE_IjEEEESG_SI_PmS8_NS6_8equal_toIiEEEE10hipError_tPvRmT2_T3_mT4_T5_T6_T7_T8_P12ihipStream_tbENKUlT_T0_E_clISt17integral_constantIbLb0EES12_IbLb1EEEEDaSY_SZ_EUlSY_E_NS1_11comp_targetILNS1_3genE5ELNS1_11target_archE942ELNS1_3gpuE9ELNS1_3repE0EEENS1_30default_config_static_selectorELNS0_4arch9wavefront6targetE0EEEvT1_,@function
_ZN7rocprim17ROCPRIM_400000_NS6detail17trampoline_kernelINS0_14default_configENS1_29reduce_by_key_config_selectorIijN6thrust23THRUST_200600_302600_NS4plusIjEEEEZZNS1_33reduce_by_key_impl_wrapped_configILNS1_25lookback_scan_determinismE0ES3_S9_NS6_6detail15normal_iteratorINS6_10device_ptrIiEEEENSD_INSE_IjEEEESG_SI_PmS8_NS6_8equal_toIiEEEE10hipError_tPvRmT2_T3_mT4_T5_T6_T7_T8_P12ihipStream_tbENKUlT_T0_E_clISt17integral_constantIbLb0EES12_IbLb1EEEEDaSY_SZ_EUlSY_E_NS1_11comp_targetILNS1_3genE5ELNS1_11target_archE942ELNS1_3gpuE9ELNS1_3repE0EEENS1_30default_config_static_selectorELNS0_4arch9wavefront6targetE0EEEvT1_: ; @_ZN7rocprim17ROCPRIM_400000_NS6detail17trampoline_kernelINS0_14default_configENS1_29reduce_by_key_config_selectorIijN6thrust23THRUST_200600_302600_NS4plusIjEEEEZZNS1_33reduce_by_key_impl_wrapped_configILNS1_25lookback_scan_determinismE0ES3_S9_NS6_6detail15normal_iteratorINS6_10device_ptrIiEEEENSD_INSE_IjEEEESG_SI_PmS8_NS6_8equal_toIiEEEE10hipError_tPvRmT2_T3_mT4_T5_T6_T7_T8_P12ihipStream_tbENKUlT_T0_E_clISt17integral_constantIbLb0EES12_IbLb1EEEEDaSY_SZ_EUlSY_E_NS1_11comp_targetILNS1_3genE5ELNS1_11target_archE942ELNS1_3gpuE9ELNS1_3repE0EEENS1_30default_config_static_selectorELNS0_4arch9wavefront6targetE0EEEvT1_
; %bb.0:
	.section	.rodata,"a",@progbits
	.p2align	6, 0x0
	.amdhsa_kernel _ZN7rocprim17ROCPRIM_400000_NS6detail17trampoline_kernelINS0_14default_configENS1_29reduce_by_key_config_selectorIijN6thrust23THRUST_200600_302600_NS4plusIjEEEEZZNS1_33reduce_by_key_impl_wrapped_configILNS1_25lookback_scan_determinismE0ES3_S9_NS6_6detail15normal_iteratorINS6_10device_ptrIiEEEENSD_INSE_IjEEEESG_SI_PmS8_NS6_8equal_toIiEEEE10hipError_tPvRmT2_T3_mT4_T5_T6_T7_T8_P12ihipStream_tbENKUlT_T0_E_clISt17integral_constantIbLb0EES12_IbLb1EEEEDaSY_SZ_EUlSY_E_NS1_11comp_targetILNS1_3genE5ELNS1_11target_archE942ELNS1_3gpuE9ELNS1_3repE0EEENS1_30default_config_static_selectorELNS0_4arch9wavefront6targetE0EEEvT1_
		.amdhsa_group_segment_fixed_size 0
		.amdhsa_private_segment_fixed_size 0
		.amdhsa_kernarg_size 120
		.amdhsa_user_sgpr_count 15
		.amdhsa_user_sgpr_dispatch_ptr 0
		.amdhsa_user_sgpr_queue_ptr 0
		.amdhsa_user_sgpr_kernarg_segment_ptr 1
		.amdhsa_user_sgpr_dispatch_id 0
		.amdhsa_user_sgpr_private_segment_size 0
		.amdhsa_wavefront_size32 1
		.amdhsa_uses_dynamic_stack 0
		.amdhsa_enable_private_segment 0
		.amdhsa_system_sgpr_workgroup_id_x 1
		.amdhsa_system_sgpr_workgroup_id_y 0
		.amdhsa_system_sgpr_workgroup_id_z 0
		.amdhsa_system_sgpr_workgroup_info 0
		.amdhsa_system_vgpr_workitem_id 0
		.amdhsa_next_free_vgpr 1
		.amdhsa_next_free_sgpr 1
		.amdhsa_reserve_vcc 0
		.amdhsa_float_round_mode_32 0
		.amdhsa_float_round_mode_16_64 0
		.amdhsa_float_denorm_mode_32 3
		.amdhsa_float_denorm_mode_16_64 3
		.amdhsa_dx10_clamp 1
		.amdhsa_ieee_mode 1
		.amdhsa_fp16_overflow 0
		.amdhsa_workgroup_processor_mode 1
		.amdhsa_memory_ordered 1
		.amdhsa_forward_progress 0
		.amdhsa_shared_vgpr_count 0
		.amdhsa_exception_fp_ieee_invalid_op 0
		.amdhsa_exception_fp_denorm_src 0
		.amdhsa_exception_fp_ieee_div_zero 0
		.amdhsa_exception_fp_ieee_overflow 0
		.amdhsa_exception_fp_ieee_underflow 0
		.amdhsa_exception_fp_ieee_inexact 0
		.amdhsa_exception_int_div_zero 0
	.end_amdhsa_kernel
	.section	.text._ZN7rocprim17ROCPRIM_400000_NS6detail17trampoline_kernelINS0_14default_configENS1_29reduce_by_key_config_selectorIijN6thrust23THRUST_200600_302600_NS4plusIjEEEEZZNS1_33reduce_by_key_impl_wrapped_configILNS1_25lookback_scan_determinismE0ES3_S9_NS6_6detail15normal_iteratorINS6_10device_ptrIiEEEENSD_INSE_IjEEEESG_SI_PmS8_NS6_8equal_toIiEEEE10hipError_tPvRmT2_T3_mT4_T5_T6_T7_T8_P12ihipStream_tbENKUlT_T0_E_clISt17integral_constantIbLb0EES12_IbLb1EEEEDaSY_SZ_EUlSY_E_NS1_11comp_targetILNS1_3genE5ELNS1_11target_archE942ELNS1_3gpuE9ELNS1_3repE0EEENS1_30default_config_static_selectorELNS0_4arch9wavefront6targetE0EEEvT1_,"axG",@progbits,_ZN7rocprim17ROCPRIM_400000_NS6detail17trampoline_kernelINS0_14default_configENS1_29reduce_by_key_config_selectorIijN6thrust23THRUST_200600_302600_NS4plusIjEEEEZZNS1_33reduce_by_key_impl_wrapped_configILNS1_25lookback_scan_determinismE0ES3_S9_NS6_6detail15normal_iteratorINS6_10device_ptrIiEEEENSD_INSE_IjEEEESG_SI_PmS8_NS6_8equal_toIiEEEE10hipError_tPvRmT2_T3_mT4_T5_T6_T7_T8_P12ihipStream_tbENKUlT_T0_E_clISt17integral_constantIbLb0EES12_IbLb1EEEEDaSY_SZ_EUlSY_E_NS1_11comp_targetILNS1_3genE5ELNS1_11target_archE942ELNS1_3gpuE9ELNS1_3repE0EEENS1_30default_config_static_selectorELNS0_4arch9wavefront6targetE0EEEvT1_,comdat
.Lfunc_end833:
	.size	_ZN7rocprim17ROCPRIM_400000_NS6detail17trampoline_kernelINS0_14default_configENS1_29reduce_by_key_config_selectorIijN6thrust23THRUST_200600_302600_NS4plusIjEEEEZZNS1_33reduce_by_key_impl_wrapped_configILNS1_25lookback_scan_determinismE0ES3_S9_NS6_6detail15normal_iteratorINS6_10device_ptrIiEEEENSD_INSE_IjEEEESG_SI_PmS8_NS6_8equal_toIiEEEE10hipError_tPvRmT2_T3_mT4_T5_T6_T7_T8_P12ihipStream_tbENKUlT_T0_E_clISt17integral_constantIbLb0EES12_IbLb1EEEEDaSY_SZ_EUlSY_E_NS1_11comp_targetILNS1_3genE5ELNS1_11target_archE942ELNS1_3gpuE9ELNS1_3repE0EEENS1_30default_config_static_selectorELNS0_4arch9wavefront6targetE0EEEvT1_, .Lfunc_end833-_ZN7rocprim17ROCPRIM_400000_NS6detail17trampoline_kernelINS0_14default_configENS1_29reduce_by_key_config_selectorIijN6thrust23THRUST_200600_302600_NS4plusIjEEEEZZNS1_33reduce_by_key_impl_wrapped_configILNS1_25lookback_scan_determinismE0ES3_S9_NS6_6detail15normal_iteratorINS6_10device_ptrIiEEEENSD_INSE_IjEEEESG_SI_PmS8_NS6_8equal_toIiEEEE10hipError_tPvRmT2_T3_mT4_T5_T6_T7_T8_P12ihipStream_tbENKUlT_T0_E_clISt17integral_constantIbLb0EES12_IbLb1EEEEDaSY_SZ_EUlSY_E_NS1_11comp_targetILNS1_3genE5ELNS1_11target_archE942ELNS1_3gpuE9ELNS1_3repE0EEENS1_30default_config_static_selectorELNS0_4arch9wavefront6targetE0EEEvT1_
                                        ; -- End function
	.section	.AMDGPU.csdata,"",@progbits
; Kernel info:
; codeLenInByte = 0
; NumSgprs: 0
; NumVgprs: 0
; ScratchSize: 0
; MemoryBound: 0
; FloatMode: 240
; IeeeMode: 1
; LDSByteSize: 0 bytes/workgroup (compile time only)
; SGPRBlocks: 0
; VGPRBlocks: 0
; NumSGPRsForWavesPerEU: 1
; NumVGPRsForWavesPerEU: 1
; Occupancy: 16
; WaveLimiterHint : 0
; COMPUTE_PGM_RSRC2:SCRATCH_EN: 0
; COMPUTE_PGM_RSRC2:USER_SGPR: 15
; COMPUTE_PGM_RSRC2:TRAP_HANDLER: 0
; COMPUTE_PGM_RSRC2:TGID_X_EN: 1
; COMPUTE_PGM_RSRC2:TGID_Y_EN: 0
; COMPUTE_PGM_RSRC2:TGID_Z_EN: 0
; COMPUTE_PGM_RSRC2:TIDIG_COMP_CNT: 0
	.section	.text._ZN7rocprim17ROCPRIM_400000_NS6detail17trampoline_kernelINS0_14default_configENS1_29reduce_by_key_config_selectorIijN6thrust23THRUST_200600_302600_NS4plusIjEEEEZZNS1_33reduce_by_key_impl_wrapped_configILNS1_25lookback_scan_determinismE0ES3_S9_NS6_6detail15normal_iteratorINS6_10device_ptrIiEEEENSD_INSE_IjEEEESG_SI_PmS8_NS6_8equal_toIiEEEE10hipError_tPvRmT2_T3_mT4_T5_T6_T7_T8_P12ihipStream_tbENKUlT_T0_E_clISt17integral_constantIbLb0EES12_IbLb1EEEEDaSY_SZ_EUlSY_E_NS1_11comp_targetILNS1_3genE4ELNS1_11target_archE910ELNS1_3gpuE8ELNS1_3repE0EEENS1_30default_config_static_selectorELNS0_4arch9wavefront6targetE0EEEvT1_,"axG",@progbits,_ZN7rocprim17ROCPRIM_400000_NS6detail17trampoline_kernelINS0_14default_configENS1_29reduce_by_key_config_selectorIijN6thrust23THRUST_200600_302600_NS4plusIjEEEEZZNS1_33reduce_by_key_impl_wrapped_configILNS1_25lookback_scan_determinismE0ES3_S9_NS6_6detail15normal_iteratorINS6_10device_ptrIiEEEENSD_INSE_IjEEEESG_SI_PmS8_NS6_8equal_toIiEEEE10hipError_tPvRmT2_T3_mT4_T5_T6_T7_T8_P12ihipStream_tbENKUlT_T0_E_clISt17integral_constantIbLb0EES12_IbLb1EEEEDaSY_SZ_EUlSY_E_NS1_11comp_targetILNS1_3genE4ELNS1_11target_archE910ELNS1_3gpuE8ELNS1_3repE0EEENS1_30default_config_static_selectorELNS0_4arch9wavefront6targetE0EEEvT1_,comdat
	.protected	_ZN7rocprim17ROCPRIM_400000_NS6detail17trampoline_kernelINS0_14default_configENS1_29reduce_by_key_config_selectorIijN6thrust23THRUST_200600_302600_NS4plusIjEEEEZZNS1_33reduce_by_key_impl_wrapped_configILNS1_25lookback_scan_determinismE0ES3_S9_NS6_6detail15normal_iteratorINS6_10device_ptrIiEEEENSD_INSE_IjEEEESG_SI_PmS8_NS6_8equal_toIiEEEE10hipError_tPvRmT2_T3_mT4_T5_T6_T7_T8_P12ihipStream_tbENKUlT_T0_E_clISt17integral_constantIbLb0EES12_IbLb1EEEEDaSY_SZ_EUlSY_E_NS1_11comp_targetILNS1_3genE4ELNS1_11target_archE910ELNS1_3gpuE8ELNS1_3repE0EEENS1_30default_config_static_selectorELNS0_4arch9wavefront6targetE0EEEvT1_ ; -- Begin function _ZN7rocprim17ROCPRIM_400000_NS6detail17trampoline_kernelINS0_14default_configENS1_29reduce_by_key_config_selectorIijN6thrust23THRUST_200600_302600_NS4plusIjEEEEZZNS1_33reduce_by_key_impl_wrapped_configILNS1_25lookback_scan_determinismE0ES3_S9_NS6_6detail15normal_iteratorINS6_10device_ptrIiEEEENSD_INSE_IjEEEESG_SI_PmS8_NS6_8equal_toIiEEEE10hipError_tPvRmT2_T3_mT4_T5_T6_T7_T8_P12ihipStream_tbENKUlT_T0_E_clISt17integral_constantIbLb0EES12_IbLb1EEEEDaSY_SZ_EUlSY_E_NS1_11comp_targetILNS1_3genE4ELNS1_11target_archE910ELNS1_3gpuE8ELNS1_3repE0EEENS1_30default_config_static_selectorELNS0_4arch9wavefront6targetE0EEEvT1_
	.globl	_ZN7rocprim17ROCPRIM_400000_NS6detail17trampoline_kernelINS0_14default_configENS1_29reduce_by_key_config_selectorIijN6thrust23THRUST_200600_302600_NS4plusIjEEEEZZNS1_33reduce_by_key_impl_wrapped_configILNS1_25lookback_scan_determinismE0ES3_S9_NS6_6detail15normal_iteratorINS6_10device_ptrIiEEEENSD_INSE_IjEEEESG_SI_PmS8_NS6_8equal_toIiEEEE10hipError_tPvRmT2_T3_mT4_T5_T6_T7_T8_P12ihipStream_tbENKUlT_T0_E_clISt17integral_constantIbLb0EES12_IbLb1EEEEDaSY_SZ_EUlSY_E_NS1_11comp_targetILNS1_3genE4ELNS1_11target_archE910ELNS1_3gpuE8ELNS1_3repE0EEENS1_30default_config_static_selectorELNS0_4arch9wavefront6targetE0EEEvT1_
	.p2align	8
	.type	_ZN7rocprim17ROCPRIM_400000_NS6detail17trampoline_kernelINS0_14default_configENS1_29reduce_by_key_config_selectorIijN6thrust23THRUST_200600_302600_NS4plusIjEEEEZZNS1_33reduce_by_key_impl_wrapped_configILNS1_25lookback_scan_determinismE0ES3_S9_NS6_6detail15normal_iteratorINS6_10device_ptrIiEEEENSD_INSE_IjEEEESG_SI_PmS8_NS6_8equal_toIiEEEE10hipError_tPvRmT2_T3_mT4_T5_T6_T7_T8_P12ihipStream_tbENKUlT_T0_E_clISt17integral_constantIbLb0EES12_IbLb1EEEEDaSY_SZ_EUlSY_E_NS1_11comp_targetILNS1_3genE4ELNS1_11target_archE910ELNS1_3gpuE8ELNS1_3repE0EEENS1_30default_config_static_selectorELNS0_4arch9wavefront6targetE0EEEvT1_,@function
_ZN7rocprim17ROCPRIM_400000_NS6detail17trampoline_kernelINS0_14default_configENS1_29reduce_by_key_config_selectorIijN6thrust23THRUST_200600_302600_NS4plusIjEEEEZZNS1_33reduce_by_key_impl_wrapped_configILNS1_25lookback_scan_determinismE0ES3_S9_NS6_6detail15normal_iteratorINS6_10device_ptrIiEEEENSD_INSE_IjEEEESG_SI_PmS8_NS6_8equal_toIiEEEE10hipError_tPvRmT2_T3_mT4_T5_T6_T7_T8_P12ihipStream_tbENKUlT_T0_E_clISt17integral_constantIbLb0EES12_IbLb1EEEEDaSY_SZ_EUlSY_E_NS1_11comp_targetILNS1_3genE4ELNS1_11target_archE910ELNS1_3gpuE8ELNS1_3repE0EEENS1_30default_config_static_selectorELNS0_4arch9wavefront6targetE0EEEvT1_: ; @_ZN7rocprim17ROCPRIM_400000_NS6detail17trampoline_kernelINS0_14default_configENS1_29reduce_by_key_config_selectorIijN6thrust23THRUST_200600_302600_NS4plusIjEEEEZZNS1_33reduce_by_key_impl_wrapped_configILNS1_25lookback_scan_determinismE0ES3_S9_NS6_6detail15normal_iteratorINS6_10device_ptrIiEEEENSD_INSE_IjEEEESG_SI_PmS8_NS6_8equal_toIiEEEE10hipError_tPvRmT2_T3_mT4_T5_T6_T7_T8_P12ihipStream_tbENKUlT_T0_E_clISt17integral_constantIbLb0EES12_IbLb1EEEEDaSY_SZ_EUlSY_E_NS1_11comp_targetILNS1_3genE4ELNS1_11target_archE910ELNS1_3gpuE8ELNS1_3repE0EEENS1_30default_config_static_selectorELNS0_4arch9wavefront6targetE0EEEvT1_
; %bb.0:
	.section	.rodata,"a",@progbits
	.p2align	6, 0x0
	.amdhsa_kernel _ZN7rocprim17ROCPRIM_400000_NS6detail17trampoline_kernelINS0_14default_configENS1_29reduce_by_key_config_selectorIijN6thrust23THRUST_200600_302600_NS4plusIjEEEEZZNS1_33reduce_by_key_impl_wrapped_configILNS1_25lookback_scan_determinismE0ES3_S9_NS6_6detail15normal_iteratorINS6_10device_ptrIiEEEENSD_INSE_IjEEEESG_SI_PmS8_NS6_8equal_toIiEEEE10hipError_tPvRmT2_T3_mT4_T5_T6_T7_T8_P12ihipStream_tbENKUlT_T0_E_clISt17integral_constantIbLb0EES12_IbLb1EEEEDaSY_SZ_EUlSY_E_NS1_11comp_targetILNS1_3genE4ELNS1_11target_archE910ELNS1_3gpuE8ELNS1_3repE0EEENS1_30default_config_static_selectorELNS0_4arch9wavefront6targetE0EEEvT1_
		.amdhsa_group_segment_fixed_size 0
		.amdhsa_private_segment_fixed_size 0
		.amdhsa_kernarg_size 120
		.amdhsa_user_sgpr_count 15
		.amdhsa_user_sgpr_dispatch_ptr 0
		.amdhsa_user_sgpr_queue_ptr 0
		.amdhsa_user_sgpr_kernarg_segment_ptr 1
		.amdhsa_user_sgpr_dispatch_id 0
		.amdhsa_user_sgpr_private_segment_size 0
		.amdhsa_wavefront_size32 1
		.amdhsa_uses_dynamic_stack 0
		.amdhsa_enable_private_segment 0
		.amdhsa_system_sgpr_workgroup_id_x 1
		.amdhsa_system_sgpr_workgroup_id_y 0
		.amdhsa_system_sgpr_workgroup_id_z 0
		.amdhsa_system_sgpr_workgroup_info 0
		.amdhsa_system_vgpr_workitem_id 0
		.amdhsa_next_free_vgpr 1
		.amdhsa_next_free_sgpr 1
		.amdhsa_reserve_vcc 0
		.amdhsa_float_round_mode_32 0
		.amdhsa_float_round_mode_16_64 0
		.amdhsa_float_denorm_mode_32 3
		.amdhsa_float_denorm_mode_16_64 3
		.amdhsa_dx10_clamp 1
		.amdhsa_ieee_mode 1
		.amdhsa_fp16_overflow 0
		.amdhsa_workgroup_processor_mode 1
		.amdhsa_memory_ordered 1
		.amdhsa_forward_progress 0
		.amdhsa_shared_vgpr_count 0
		.amdhsa_exception_fp_ieee_invalid_op 0
		.amdhsa_exception_fp_denorm_src 0
		.amdhsa_exception_fp_ieee_div_zero 0
		.amdhsa_exception_fp_ieee_overflow 0
		.amdhsa_exception_fp_ieee_underflow 0
		.amdhsa_exception_fp_ieee_inexact 0
		.amdhsa_exception_int_div_zero 0
	.end_amdhsa_kernel
	.section	.text._ZN7rocprim17ROCPRIM_400000_NS6detail17trampoline_kernelINS0_14default_configENS1_29reduce_by_key_config_selectorIijN6thrust23THRUST_200600_302600_NS4plusIjEEEEZZNS1_33reduce_by_key_impl_wrapped_configILNS1_25lookback_scan_determinismE0ES3_S9_NS6_6detail15normal_iteratorINS6_10device_ptrIiEEEENSD_INSE_IjEEEESG_SI_PmS8_NS6_8equal_toIiEEEE10hipError_tPvRmT2_T3_mT4_T5_T6_T7_T8_P12ihipStream_tbENKUlT_T0_E_clISt17integral_constantIbLb0EES12_IbLb1EEEEDaSY_SZ_EUlSY_E_NS1_11comp_targetILNS1_3genE4ELNS1_11target_archE910ELNS1_3gpuE8ELNS1_3repE0EEENS1_30default_config_static_selectorELNS0_4arch9wavefront6targetE0EEEvT1_,"axG",@progbits,_ZN7rocprim17ROCPRIM_400000_NS6detail17trampoline_kernelINS0_14default_configENS1_29reduce_by_key_config_selectorIijN6thrust23THRUST_200600_302600_NS4plusIjEEEEZZNS1_33reduce_by_key_impl_wrapped_configILNS1_25lookback_scan_determinismE0ES3_S9_NS6_6detail15normal_iteratorINS6_10device_ptrIiEEEENSD_INSE_IjEEEESG_SI_PmS8_NS6_8equal_toIiEEEE10hipError_tPvRmT2_T3_mT4_T5_T6_T7_T8_P12ihipStream_tbENKUlT_T0_E_clISt17integral_constantIbLb0EES12_IbLb1EEEEDaSY_SZ_EUlSY_E_NS1_11comp_targetILNS1_3genE4ELNS1_11target_archE910ELNS1_3gpuE8ELNS1_3repE0EEENS1_30default_config_static_selectorELNS0_4arch9wavefront6targetE0EEEvT1_,comdat
.Lfunc_end834:
	.size	_ZN7rocprim17ROCPRIM_400000_NS6detail17trampoline_kernelINS0_14default_configENS1_29reduce_by_key_config_selectorIijN6thrust23THRUST_200600_302600_NS4plusIjEEEEZZNS1_33reduce_by_key_impl_wrapped_configILNS1_25lookback_scan_determinismE0ES3_S9_NS6_6detail15normal_iteratorINS6_10device_ptrIiEEEENSD_INSE_IjEEEESG_SI_PmS8_NS6_8equal_toIiEEEE10hipError_tPvRmT2_T3_mT4_T5_T6_T7_T8_P12ihipStream_tbENKUlT_T0_E_clISt17integral_constantIbLb0EES12_IbLb1EEEEDaSY_SZ_EUlSY_E_NS1_11comp_targetILNS1_3genE4ELNS1_11target_archE910ELNS1_3gpuE8ELNS1_3repE0EEENS1_30default_config_static_selectorELNS0_4arch9wavefront6targetE0EEEvT1_, .Lfunc_end834-_ZN7rocprim17ROCPRIM_400000_NS6detail17trampoline_kernelINS0_14default_configENS1_29reduce_by_key_config_selectorIijN6thrust23THRUST_200600_302600_NS4plusIjEEEEZZNS1_33reduce_by_key_impl_wrapped_configILNS1_25lookback_scan_determinismE0ES3_S9_NS6_6detail15normal_iteratorINS6_10device_ptrIiEEEENSD_INSE_IjEEEESG_SI_PmS8_NS6_8equal_toIiEEEE10hipError_tPvRmT2_T3_mT4_T5_T6_T7_T8_P12ihipStream_tbENKUlT_T0_E_clISt17integral_constantIbLb0EES12_IbLb1EEEEDaSY_SZ_EUlSY_E_NS1_11comp_targetILNS1_3genE4ELNS1_11target_archE910ELNS1_3gpuE8ELNS1_3repE0EEENS1_30default_config_static_selectorELNS0_4arch9wavefront6targetE0EEEvT1_
                                        ; -- End function
	.section	.AMDGPU.csdata,"",@progbits
; Kernel info:
; codeLenInByte = 0
; NumSgprs: 0
; NumVgprs: 0
; ScratchSize: 0
; MemoryBound: 0
; FloatMode: 240
; IeeeMode: 1
; LDSByteSize: 0 bytes/workgroup (compile time only)
; SGPRBlocks: 0
; VGPRBlocks: 0
; NumSGPRsForWavesPerEU: 1
; NumVGPRsForWavesPerEU: 1
; Occupancy: 16
; WaveLimiterHint : 0
; COMPUTE_PGM_RSRC2:SCRATCH_EN: 0
; COMPUTE_PGM_RSRC2:USER_SGPR: 15
; COMPUTE_PGM_RSRC2:TRAP_HANDLER: 0
; COMPUTE_PGM_RSRC2:TGID_X_EN: 1
; COMPUTE_PGM_RSRC2:TGID_Y_EN: 0
; COMPUTE_PGM_RSRC2:TGID_Z_EN: 0
; COMPUTE_PGM_RSRC2:TIDIG_COMP_CNT: 0
	.section	.text._ZN7rocprim17ROCPRIM_400000_NS6detail17trampoline_kernelINS0_14default_configENS1_29reduce_by_key_config_selectorIijN6thrust23THRUST_200600_302600_NS4plusIjEEEEZZNS1_33reduce_by_key_impl_wrapped_configILNS1_25lookback_scan_determinismE0ES3_S9_NS6_6detail15normal_iteratorINS6_10device_ptrIiEEEENSD_INSE_IjEEEESG_SI_PmS8_NS6_8equal_toIiEEEE10hipError_tPvRmT2_T3_mT4_T5_T6_T7_T8_P12ihipStream_tbENKUlT_T0_E_clISt17integral_constantIbLb0EES12_IbLb1EEEEDaSY_SZ_EUlSY_E_NS1_11comp_targetILNS1_3genE3ELNS1_11target_archE908ELNS1_3gpuE7ELNS1_3repE0EEENS1_30default_config_static_selectorELNS0_4arch9wavefront6targetE0EEEvT1_,"axG",@progbits,_ZN7rocprim17ROCPRIM_400000_NS6detail17trampoline_kernelINS0_14default_configENS1_29reduce_by_key_config_selectorIijN6thrust23THRUST_200600_302600_NS4plusIjEEEEZZNS1_33reduce_by_key_impl_wrapped_configILNS1_25lookback_scan_determinismE0ES3_S9_NS6_6detail15normal_iteratorINS6_10device_ptrIiEEEENSD_INSE_IjEEEESG_SI_PmS8_NS6_8equal_toIiEEEE10hipError_tPvRmT2_T3_mT4_T5_T6_T7_T8_P12ihipStream_tbENKUlT_T0_E_clISt17integral_constantIbLb0EES12_IbLb1EEEEDaSY_SZ_EUlSY_E_NS1_11comp_targetILNS1_3genE3ELNS1_11target_archE908ELNS1_3gpuE7ELNS1_3repE0EEENS1_30default_config_static_selectorELNS0_4arch9wavefront6targetE0EEEvT1_,comdat
	.protected	_ZN7rocprim17ROCPRIM_400000_NS6detail17trampoline_kernelINS0_14default_configENS1_29reduce_by_key_config_selectorIijN6thrust23THRUST_200600_302600_NS4plusIjEEEEZZNS1_33reduce_by_key_impl_wrapped_configILNS1_25lookback_scan_determinismE0ES3_S9_NS6_6detail15normal_iteratorINS6_10device_ptrIiEEEENSD_INSE_IjEEEESG_SI_PmS8_NS6_8equal_toIiEEEE10hipError_tPvRmT2_T3_mT4_T5_T6_T7_T8_P12ihipStream_tbENKUlT_T0_E_clISt17integral_constantIbLb0EES12_IbLb1EEEEDaSY_SZ_EUlSY_E_NS1_11comp_targetILNS1_3genE3ELNS1_11target_archE908ELNS1_3gpuE7ELNS1_3repE0EEENS1_30default_config_static_selectorELNS0_4arch9wavefront6targetE0EEEvT1_ ; -- Begin function _ZN7rocprim17ROCPRIM_400000_NS6detail17trampoline_kernelINS0_14default_configENS1_29reduce_by_key_config_selectorIijN6thrust23THRUST_200600_302600_NS4plusIjEEEEZZNS1_33reduce_by_key_impl_wrapped_configILNS1_25lookback_scan_determinismE0ES3_S9_NS6_6detail15normal_iteratorINS6_10device_ptrIiEEEENSD_INSE_IjEEEESG_SI_PmS8_NS6_8equal_toIiEEEE10hipError_tPvRmT2_T3_mT4_T5_T6_T7_T8_P12ihipStream_tbENKUlT_T0_E_clISt17integral_constantIbLb0EES12_IbLb1EEEEDaSY_SZ_EUlSY_E_NS1_11comp_targetILNS1_3genE3ELNS1_11target_archE908ELNS1_3gpuE7ELNS1_3repE0EEENS1_30default_config_static_selectorELNS0_4arch9wavefront6targetE0EEEvT1_
	.globl	_ZN7rocprim17ROCPRIM_400000_NS6detail17trampoline_kernelINS0_14default_configENS1_29reduce_by_key_config_selectorIijN6thrust23THRUST_200600_302600_NS4plusIjEEEEZZNS1_33reduce_by_key_impl_wrapped_configILNS1_25lookback_scan_determinismE0ES3_S9_NS6_6detail15normal_iteratorINS6_10device_ptrIiEEEENSD_INSE_IjEEEESG_SI_PmS8_NS6_8equal_toIiEEEE10hipError_tPvRmT2_T3_mT4_T5_T6_T7_T8_P12ihipStream_tbENKUlT_T0_E_clISt17integral_constantIbLb0EES12_IbLb1EEEEDaSY_SZ_EUlSY_E_NS1_11comp_targetILNS1_3genE3ELNS1_11target_archE908ELNS1_3gpuE7ELNS1_3repE0EEENS1_30default_config_static_selectorELNS0_4arch9wavefront6targetE0EEEvT1_
	.p2align	8
	.type	_ZN7rocprim17ROCPRIM_400000_NS6detail17trampoline_kernelINS0_14default_configENS1_29reduce_by_key_config_selectorIijN6thrust23THRUST_200600_302600_NS4plusIjEEEEZZNS1_33reduce_by_key_impl_wrapped_configILNS1_25lookback_scan_determinismE0ES3_S9_NS6_6detail15normal_iteratorINS6_10device_ptrIiEEEENSD_INSE_IjEEEESG_SI_PmS8_NS6_8equal_toIiEEEE10hipError_tPvRmT2_T3_mT4_T5_T6_T7_T8_P12ihipStream_tbENKUlT_T0_E_clISt17integral_constantIbLb0EES12_IbLb1EEEEDaSY_SZ_EUlSY_E_NS1_11comp_targetILNS1_3genE3ELNS1_11target_archE908ELNS1_3gpuE7ELNS1_3repE0EEENS1_30default_config_static_selectorELNS0_4arch9wavefront6targetE0EEEvT1_,@function
_ZN7rocprim17ROCPRIM_400000_NS6detail17trampoline_kernelINS0_14default_configENS1_29reduce_by_key_config_selectorIijN6thrust23THRUST_200600_302600_NS4plusIjEEEEZZNS1_33reduce_by_key_impl_wrapped_configILNS1_25lookback_scan_determinismE0ES3_S9_NS6_6detail15normal_iteratorINS6_10device_ptrIiEEEENSD_INSE_IjEEEESG_SI_PmS8_NS6_8equal_toIiEEEE10hipError_tPvRmT2_T3_mT4_T5_T6_T7_T8_P12ihipStream_tbENKUlT_T0_E_clISt17integral_constantIbLb0EES12_IbLb1EEEEDaSY_SZ_EUlSY_E_NS1_11comp_targetILNS1_3genE3ELNS1_11target_archE908ELNS1_3gpuE7ELNS1_3repE0EEENS1_30default_config_static_selectorELNS0_4arch9wavefront6targetE0EEEvT1_: ; @_ZN7rocprim17ROCPRIM_400000_NS6detail17trampoline_kernelINS0_14default_configENS1_29reduce_by_key_config_selectorIijN6thrust23THRUST_200600_302600_NS4plusIjEEEEZZNS1_33reduce_by_key_impl_wrapped_configILNS1_25lookback_scan_determinismE0ES3_S9_NS6_6detail15normal_iteratorINS6_10device_ptrIiEEEENSD_INSE_IjEEEESG_SI_PmS8_NS6_8equal_toIiEEEE10hipError_tPvRmT2_T3_mT4_T5_T6_T7_T8_P12ihipStream_tbENKUlT_T0_E_clISt17integral_constantIbLb0EES12_IbLb1EEEEDaSY_SZ_EUlSY_E_NS1_11comp_targetILNS1_3genE3ELNS1_11target_archE908ELNS1_3gpuE7ELNS1_3repE0EEENS1_30default_config_static_selectorELNS0_4arch9wavefront6targetE0EEEvT1_
; %bb.0:
	.section	.rodata,"a",@progbits
	.p2align	6, 0x0
	.amdhsa_kernel _ZN7rocprim17ROCPRIM_400000_NS6detail17trampoline_kernelINS0_14default_configENS1_29reduce_by_key_config_selectorIijN6thrust23THRUST_200600_302600_NS4plusIjEEEEZZNS1_33reduce_by_key_impl_wrapped_configILNS1_25lookback_scan_determinismE0ES3_S9_NS6_6detail15normal_iteratorINS6_10device_ptrIiEEEENSD_INSE_IjEEEESG_SI_PmS8_NS6_8equal_toIiEEEE10hipError_tPvRmT2_T3_mT4_T5_T6_T7_T8_P12ihipStream_tbENKUlT_T0_E_clISt17integral_constantIbLb0EES12_IbLb1EEEEDaSY_SZ_EUlSY_E_NS1_11comp_targetILNS1_3genE3ELNS1_11target_archE908ELNS1_3gpuE7ELNS1_3repE0EEENS1_30default_config_static_selectorELNS0_4arch9wavefront6targetE0EEEvT1_
		.amdhsa_group_segment_fixed_size 0
		.amdhsa_private_segment_fixed_size 0
		.amdhsa_kernarg_size 120
		.amdhsa_user_sgpr_count 15
		.amdhsa_user_sgpr_dispatch_ptr 0
		.amdhsa_user_sgpr_queue_ptr 0
		.amdhsa_user_sgpr_kernarg_segment_ptr 1
		.amdhsa_user_sgpr_dispatch_id 0
		.amdhsa_user_sgpr_private_segment_size 0
		.amdhsa_wavefront_size32 1
		.amdhsa_uses_dynamic_stack 0
		.amdhsa_enable_private_segment 0
		.amdhsa_system_sgpr_workgroup_id_x 1
		.amdhsa_system_sgpr_workgroup_id_y 0
		.amdhsa_system_sgpr_workgroup_id_z 0
		.amdhsa_system_sgpr_workgroup_info 0
		.amdhsa_system_vgpr_workitem_id 0
		.amdhsa_next_free_vgpr 1
		.amdhsa_next_free_sgpr 1
		.amdhsa_reserve_vcc 0
		.amdhsa_float_round_mode_32 0
		.amdhsa_float_round_mode_16_64 0
		.amdhsa_float_denorm_mode_32 3
		.amdhsa_float_denorm_mode_16_64 3
		.amdhsa_dx10_clamp 1
		.amdhsa_ieee_mode 1
		.amdhsa_fp16_overflow 0
		.amdhsa_workgroup_processor_mode 1
		.amdhsa_memory_ordered 1
		.amdhsa_forward_progress 0
		.amdhsa_shared_vgpr_count 0
		.amdhsa_exception_fp_ieee_invalid_op 0
		.amdhsa_exception_fp_denorm_src 0
		.amdhsa_exception_fp_ieee_div_zero 0
		.amdhsa_exception_fp_ieee_overflow 0
		.amdhsa_exception_fp_ieee_underflow 0
		.amdhsa_exception_fp_ieee_inexact 0
		.amdhsa_exception_int_div_zero 0
	.end_amdhsa_kernel
	.section	.text._ZN7rocprim17ROCPRIM_400000_NS6detail17trampoline_kernelINS0_14default_configENS1_29reduce_by_key_config_selectorIijN6thrust23THRUST_200600_302600_NS4plusIjEEEEZZNS1_33reduce_by_key_impl_wrapped_configILNS1_25lookback_scan_determinismE0ES3_S9_NS6_6detail15normal_iteratorINS6_10device_ptrIiEEEENSD_INSE_IjEEEESG_SI_PmS8_NS6_8equal_toIiEEEE10hipError_tPvRmT2_T3_mT4_T5_T6_T7_T8_P12ihipStream_tbENKUlT_T0_E_clISt17integral_constantIbLb0EES12_IbLb1EEEEDaSY_SZ_EUlSY_E_NS1_11comp_targetILNS1_3genE3ELNS1_11target_archE908ELNS1_3gpuE7ELNS1_3repE0EEENS1_30default_config_static_selectorELNS0_4arch9wavefront6targetE0EEEvT1_,"axG",@progbits,_ZN7rocprim17ROCPRIM_400000_NS6detail17trampoline_kernelINS0_14default_configENS1_29reduce_by_key_config_selectorIijN6thrust23THRUST_200600_302600_NS4plusIjEEEEZZNS1_33reduce_by_key_impl_wrapped_configILNS1_25lookback_scan_determinismE0ES3_S9_NS6_6detail15normal_iteratorINS6_10device_ptrIiEEEENSD_INSE_IjEEEESG_SI_PmS8_NS6_8equal_toIiEEEE10hipError_tPvRmT2_T3_mT4_T5_T6_T7_T8_P12ihipStream_tbENKUlT_T0_E_clISt17integral_constantIbLb0EES12_IbLb1EEEEDaSY_SZ_EUlSY_E_NS1_11comp_targetILNS1_3genE3ELNS1_11target_archE908ELNS1_3gpuE7ELNS1_3repE0EEENS1_30default_config_static_selectorELNS0_4arch9wavefront6targetE0EEEvT1_,comdat
.Lfunc_end835:
	.size	_ZN7rocprim17ROCPRIM_400000_NS6detail17trampoline_kernelINS0_14default_configENS1_29reduce_by_key_config_selectorIijN6thrust23THRUST_200600_302600_NS4plusIjEEEEZZNS1_33reduce_by_key_impl_wrapped_configILNS1_25lookback_scan_determinismE0ES3_S9_NS6_6detail15normal_iteratorINS6_10device_ptrIiEEEENSD_INSE_IjEEEESG_SI_PmS8_NS6_8equal_toIiEEEE10hipError_tPvRmT2_T3_mT4_T5_T6_T7_T8_P12ihipStream_tbENKUlT_T0_E_clISt17integral_constantIbLb0EES12_IbLb1EEEEDaSY_SZ_EUlSY_E_NS1_11comp_targetILNS1_3genE3ELNS1_11target_archE908ELNS1_3gpuE7ELNS1_3repE0EEENS1_30default_config_static_selectorELNS0_4arch9wavefront6targetE0EEEvT1_, .Lfunc_end835-_ZN7rocprim17ROCPRIM_400000_NS6detail17trampoline_kernelINS0_14default_configENS1_29reduce_by_key_config_selectorIijN6thrust23THRUST_200600_302600_NS4plusIjEEEEZZNS1_33reduce_by_key_impl_wrapped_configILNS1_25lookback_scan_determinismE0ES3_S9_NS6_6detail15normal_iteratorINS6_10device_ptrIiEEEENSD_INSE_IjEEEESG_SI_PmS8_NS6_8equal_toIiEEEE10hipError_tPvRmT2_T3_mT4_T5_T6_T7_T8_P12ihipStream_tbENKUlT_T0_E_clISt17integral_constantIbLb0EES12_IbLb1EEEEDaSY_SZ_EUlSY_E_NS1_11comp_targetILNS1_3genE3ELNS1_11target_archE908ELNS1_3gpuE7ELNS1_3repE0EEENS1_30default_config_static_selectorELNS0_4arch9wavefront6targetE0EEEvT1_
                                        ; -- End function
	.section	.AMDGPU.csdata,"",@progbits
; Kernel info:
; codeLenInByte = 0
; NumSgprs: 0
; NumVgprs: 0
; ScratchSize: 0
; MemoryBound: 0
; FloatMode: 240
; IeeeMode: 1
; LDSByteSize: 0 bytes/workgroup (compile time only)
; SGPRBlocks: 0
; VGPRBlocks: 0
; NumSGPRsForWavesPerEU: 1
; NumVGPRsForWavesPerEU: 1
; Occupancy: 16
; WaveLimiterHint : 0
; COMPUTE_PGM_RSRC2:SCRATCH_EN: 0
; COMPUTE_PGM_RSRC2:USER_SGPR: 15
; COMPUTE_PGM_RSRC2:TRAP_HANDLER: 0
; COMPUTE_PGM_RSRC2:TGID_X_EN: 1
; COMPUTE_PGM_RSRC2:TGID_Y_EN: 0
; COMPUTE_PGM_RSRC2:TGID_Z_EN: 0
; COMPUTE_PGM_RSRC2:TIDIG_COMP_CNT: 0
	.section	.text._ZN7rocprim17ROCPRIM_400000_NS6detail17trampoline_kernelINS0_14default_configENS1_29reduce_by_key_config_selectorIijN6thrust23THRUST_200600_302600_NS4plusIjEEEEZZNS1_33reduce_by_key_impl_wrapped_configILNS1_25lookback_scan_determinismE0ES3_S9_NS6_6detail15normal_iteratorINS6_10device_ptrIiEEEENSD_INSE_IjEEEESG_SI_PmS8_NS6_8equal_toIiEEEE10hipError_tPvRmT2_T3_mT4_T5_T6_T7_T8_P12ihipStream_tbENKUlT_T0_E_clISt17integral_constantIbLb0EES12_IbLb1EEEEDaSY_SZ_EUlSY_E_NS1_11comp_targetILNS1_3genE2ELNS1_11target_archE906ELNS1_3gpuE6ELNS1_3repE0EEENS1_30default_config_static_selectorELNS0_4arch9wavefront6targetE0EEEvT1_,"axG",@progbits,_ZN7rocprim17ROCPRIM_400000_NS6detail17trampoline_kernelINS0_14default_configENS1_29reduce_by_key_config_selectorIijN6thrust23THRUST_200600_302600_NS4plusIjEEEEZZNS1_33reduce_by_key_impl_wrapped_configILNS1_25lookback_scan_determinismE0ES3_S9_NS6_6detail15normal_iteratorINS6_10device_ptrIiEEEENSD_INSE_IjEEEESG_SI_PmS8_NS6_8equal_toIiEEEE10hipError_tPvRmT2_T3_mT4_T5_T6_T7_T8_P12ihipStream_tbENKUlT_T0_E_clISt17integral_constantIbLb0EES12_IbLb1EEEEDaSY_SZ_EUlSY_E_NS1_11comp_targetILNS1_3genE2ELNS1_11target_archE906ELNS1_3gpuE6ELNS1_3repE0EEENS1_30default_config_static_selectorELNS0_4arch9wavefront6targetE0EEEvT1_,comdat
	.protected	_ZN7rocprim17ROCPRIM_400000_NS6detail17trampoline_kernelINS0_14default_configENS1_29reduce_by_key_config_selectorIijN6thrust23THRUST_200600_302600_NS4plusIjEEEEZZNS1_33reduce_by_key_impl_wrapped_configILNS1_25lookback_scan_determinismE0ES3_S9_NS6_6detail15normal_iteratorINS6_10device_ptrIiEEEENSD_INSE_IjEEEESG_SI_PmS8_NS6_8equal_toIiEEEE10hipError_tPvRmT2_T3_mT4_T5_T6_T7_T8_P12ihipStream_tbENKUlT_T0_E_clISt17integral_constantIbLb0EES12_IbLb1EEEEDaSY_SZ_EUlSY_E_NS1_11comp_targetILNS1_3genE2ELNS1_11target_archE906ELNS1_3gpuE6ELNS1_3repE0EEENS1_30default_config_static_selectorELNS0_4arch9wavefront6targetE0EEEvT1_ ; -- Begin function _ZN7rocprim17ROCPRIM_400000_NS6detail17trampoline_kernelINS0_14default_configENS1_29reduce_by_key_config_selectorIijN6thrust23THRUST_200600_302600_NS4plusIjEEEEZZNS1_33reduce_by_key_impl_wrapped_configILNS1_25lookback_scan_determinismE0ES3_S9_NS6_6detail15normal_iteratorINS6_10device_ptrIiEEEENSD_INSE_IjEEEESG_SI_PmS8_NS6_8equal_toIiEEEE10hipError_tPvRmT2_T3_mT4_T5_T6_T7_T8_P12ihipStream_tbENKUlT_T0_E_clISt17integral_constantIbLb0EES12_IbLb1EEEEDaSY_SZ_EUlSY_E_NS1_11comp_targetILNS1_3genE2ELNS1_11target_archE906ELNS1_3gpuE6ELNS1_3repE0EEENS1_30default_config_static_selectorELNS0_4arch9wavefront6targetE0EEEvT1_
	.globl	_ZN7rocprim17ROCPRIM_400000_NS6detail17trampoline_kernelINS0_14default_configENS1_29reduce_by_key_config_selectorIijN6thrust23THRUST_200600_302600_NS4plusIjEEEEZZNS1_33reduce_by_key_impl_wrapped_configILNS1_25lookback_scan_determinismE0ES3_S9_NS6_6detail15normal_iteratorINS6_10device_ptrIiEEEENSD_INSE_IjEEEESG_SI_PmS8_NS6_8equal_toIiEEEE10hipError_tPvRmT2_T3_mT4_T5_T6_T7_T8_P12ihipStream_tbENKUlT_T0_E_clISt17integral_constantIbLb0EES12_IbLb1EEEEDaSY_SZ_EUlSY_E_NS1_11comp_targetILNS1_3genE2ELNS1_11target_archE906ELNS1_3gpuE6ELNS1_3repE0EEENS1_30default_config_static_selectorELNS0_4arch9wavefront6targetE0EEEvT1_
	.p2align	8
	.type	_ZN7rocprim17ROCPRIM_400000_NS6detail17trampoline_kernelINS0_14default_configENS1_29reduce_by_key_config_selectorIijN6thrust23THRUST_200600_302600_NS4plusIjEEEEZZNS1_33reduce_by_key_impl_wrapped_configILNS1_25lookback_scan_determinismE0ES3_S9_NS6_6detail15normal_iteratorINS6_10device_ptrIiEEEENSD_INSE_IjEEEESG_SI_PmS8_NS6_8equal_toIiEEEE10hipError_tPvRmT2_T3_mT4_T5_T6_T7_T8_P12ihipStream_tbENKUlT_T0_E_clISt17integral_constantIbLb0EES12_IbLb1EEEEDaSY_SZ_EUlSY_E_NS1_11comp_targetILNS1_3genE2ELNS1_11target_archE906ELNS1_3gpuE6ELNS1_3repE0EEENS1_30default_config_static_selectorELNS0_4arch9wavefront6targetE0EEEvT1_,@function
_ZN7rocprim17ROCPRIM_400000_NS6detail17trampoline_kernelINS0_14default_configENS1_29reduce_by_key_config_selectorIijN6thrust23THRUST_200600_302600_NS4plusIjEEEEZZNS1_33reduce_by_key_impl_wrapped_configILNS1_25lookback_scan_determinismE0ES3_S9_NS6_6detail15normal_iteratorINS6_10device_ptrIiEEEENSD_INSE_IjEEEESG_SI_PmS8_NS6_8equal_toIiEEEE10hipError_tPvRmT2_T3_mT4_T5_T6_T7_T8_P12ihipStream_tbENKUlT_T0_E_clISt17integral_constantIbLb0EES12_IbLb1EEEEDaSY_SZ_EUlSY_E_NS1_11comp_targetILNS1_3genE2ELNS1_11target_archE906ELNS1_3gpuE6ELNS1_3repE0EEENS1_30default_config_static_selectorELNS0_4arch9wavefront6targetE0EEEvT1_: ; @_ZN7rocprim17ROCPRIM_400000_NS6detail17trampoline_kernelINS0_14default_configENS1_29reduce_by_key_config_selectorIijN6thrust23THRUST_200600_302600_NS4plusIjEEEEZZNS1_33reduce_by_key_impl_wrapped_configILNS1_25lookback_scan_determinismE0ES3_S9_NS6_6detail15normal_iteratorINS6_10device_ptrIiEEEENSD_INSE_IjEEEESG_SI_PmS8_NS6_8equal_toIiEEEE10hipError_tPvRmT2_T3_mT4_T5_T6_T7_T8_P12ihipStream_tbENKUlT_T0_E_clISt17integral_constantIbLb0EES12_IbLb1EEEEDaSY_SZ_EUlSY_E_NS1_11comp_targetILNS1_3genE2ELNS1_11target_archE906ELNS1_3gpuE6ELNS1_3repE0EEENS1_30default_config_static_selectorELNS0_4arch9wavefront6targetE0EEEvT1_
; %bb.0:
	.section	.rodata,"a",@progbits
	.p2align	6, 0x0
	.amdhsa_kernel _ZN7rocprim17ROCPRIM_400000_NS6detail17trampoline_kernelINS0_14default_configENS1_29reduce_by_key_config_selectorIijN6thrust23THRUST_200600_302600_NS4plusIjEEEEZZNS1_33reduce_by_key_impl_wrapped_configILNS1_25lookback_scan_determinismE0ES3_S9_NS6_6detail15normal_iteratorINS6_10device_ptrIiEEEENSD_INSE_IjEEEESG_SI_PmS8_NS6_8equal_toIiEEEE10hipError_tPvRmT2_T3_mT4_T5_T6_T7_T8_P12ihipStream_tbENKUlT_T0_E_clISt17integral_constantIbLb0EES12_IbLb1EEEEDaSY_SZ_EUlSY_E_NS1_11comp_targetILNS1_3genE2ELNS1_11target_archE906ELNS1_3gpuE6ELNS1_3repE0EEENS1_30default_config_static_selectorELNS0_4arch9wavefront6targetE0EEEvT1_
		.amdhsa_group_segment_fixed_size 0
		.amdhsa_private_segment_fixed_size 0
		.amdhsa_kernarg_size 120
		.amdhsa_user_sgpr_count 15
		.amdhsa_user_sgpr_dispatch_ptr 0
		.amdhsa_user_sgpr_queue_ptr 0
		.amdhsa_user_sgpr_kernarg_segment_ptr 1
		.amdhsa_user_sgpr_dispatch_id 0
		.amdhsa_user_sgpr_private_segment_size 0
		.amdhsa_wavefront_size32 1
		.amdhsa_uses_dynamic_stack 0
		.amdhsa_enable_private_segment 0
		.amdhsa_system_sgpr_workgroup_id_x 1
		.amdhsa_system_sgpr_workgroup_id_y 0
		.amdhsa_system_sgpr_workgroup_id_z 0
		.amdhsa_system_sgpr_workgroup_info 0
		.amdhsa_system_vgpr_workitem_id 0
		.amdhsa_next_free_vgpr 1
		.amdhsa_next_free_sgpr 1
		.amdhsa_reserve_vcc 0
		.amdhsa_float_round_mode_32 0
		.amdhsa_float_round_mode_16_64 0
		.amdhsa_float_denorm_mode_32 3
		.amdhsa_float_denorm_mode_16_64 3
		.amdhsa_dx10_clamp 1
		.amdhsa_ieee_mode 1
		.amdhsa_fp16_overflow 0
		.amdhsa_workgroup_processor_mode 1
		.amdhsa_memory_ordered 1
		.amdhsa_forward_progress 0
		.amdhsa_shared_vgpr_count 0
		.amdhsa_exception_fp_ieee_invalid_op 0
		.amdhsa_exception_fp_denorm_src 0
		.amdhsa_exception_fp_ieee_div_zero 0
		.amdhsa_exception_fp_ieee_overflow 0
		.amdhsa_exception_fp_ieee_underflow 0
		.amdhsa_exception_fp_ieee_inexact 0
		.amdhsa_exception_int_div_zero 0
	.end_amdhsa_kernel
	.section	.text._ZN7rocprim17ROCPRIM_400000_NS6detail17trampoline_kernelINS0_14default_configENS1_29reduce_by_key_config_selectorIijN6thrust23THRUST_200600_302600_NS4plusIjEEEEZZNS1_33reduce_by_key_impl_wrapped_configILNS1_25lookback_scan_determinismE0ES3_S9_NS6_6detail15normal_iteratorINS6_10device_ptrIiEEEENSD_INSE_IjEEEESG_SI_PmS8_NS6_8equal_toIiEEEE10hipError_tPvRmT2_T3_mT4_T5_T6_T7_T8_P12ihipStream_tbENKUlT_T0_E_clISt17integral_constantIbLb0EES12_IbLb1EEEEDaSY_SZ_EUlSY_E_NS1_11comp_targetILNS1_3genE2ELNS1_11target_archE906ELNS1_3gpuE6ELNS1_3repE0EEENS1_30default_config_static_selectorELNS0_4arch9wavefront6targetE0EEEvT1_,"axG",@progbits,_ZN7rocprim17ROCPRIM_400000_NS6detail17trampoline_kernelINS0_14default_configENS1_29reduce_by_key_config_selectorIijN6thrust23THRUST_200600_302600_NS4plusIjEEEEZZNS1_33reduce_by_key_impl_wrapped_configILNS1_25lookback_scan_determinismE0ES3_S9_NS6_6detail15normal_iteratorINS6_10device_ptrIiEEEENSD_INSE_IjEEEESG_SI_PmS8_NS6_8equal_toIiEEEE10hipError_tPvRmT2_T3_mT4_T5_T6_T7_T8_P12ihipStream_tbENKUlT_T0_E_clISt17integral_constantIbLb0EES12_IbLb1EEEEDaSY_SZ_EUlSY_E_NS1_11comp_targetILNS1_3genE2ELNS1_11target_archE906ELNS1_3gpuE6ELNS1_3repE0EEENS1_30default_config_static_selectorELNS0_4arch9wavefront6targetE0EEEvT1_,comdat
.Lfunc_end836:
	.size	_ZN7rocprim17ROCPRIM_400000_NS6detail17trampoline_kernelINS0_14default_configENS1_29reduce_by_key_config_selectorIijN6thrust23THRUST_200600_302600_NS4plusIjEEEEZZNS1_33reduce_by_key_impl_wrapped_configILNS1_25lookback_scan_determinismE0ES3_S9_NS6_6detail15normal_iteratorINS6_10device_ptrIiEEEENSD_INSE_IjEEEESG_SI_PmS8_NS6_8equal_toIiEEEE10hipError_tPvRmT2_T3_mT4_T5_T6_T7_T8_P12ihipStream_tbENKUlT_T0_E_clISt17integral_constantIbLb0EES12_IbLb1EEEEDaSY_SZ_EUlSY_E_NS1_11comp_targetILNS1_3genE2ELNS1_11target_archE906ELNS1_3gpuE6ELNS1_3repE0EEENS1_30default_config_static_selectorELNS0_4arch9wavefront6targetE0EEEvT1_, .Lfunc_end836-_ZN7rocprim17ROCPRIM_400000_NS6detail17trampoline_kernelINS0_14default_configENS1_29reduce_by_key_config_selectorIijN6thrust23THRUST_200600_302600_NS4plusIjEEEEZZNS1_33reduce_by_key_impl_wrapped_configILNS1_25lookback_scan_determinismE0ES3_S9_NS6_6detail15normal_iteratorINS6_10device_ptrIiEEEENSD_INSE_IjEEEESG_SI_PmS8_NS6_8equal_toIiEEEE10hipError_tPvRmT2_T3_mT4_T5_T6_T7_T8_P12ihipStream_tbENKUlT_T0_E_clISt17integral_constantIbLb0EES12_IbLb1EEEEDaSY_SZ_EUlSY_E_NS1_11comp_targetILNS1_3genE2ELNS1_11target_archE906ELNS1_3gpuE6ELNS1_3repE0EEENS1_30default_config_static_selectorELNS0_4arch9wavefront6targetE0EEEvT1_
                                        ; -- End function
	.section	.AMDGPU.csdata,"",@progbits
; Kernel info:
; codeLenInByte = 0
; NumSgprs: 0
; NumVgprs: 0
; ScratchSize: 0
; MemoryBound: 0
; FloatMode: 240
; IeeeMode: 1
; LDSByteSize: 0 bytes/workgroup (compile time only)
; SGPRBlocks: 0
; VGPRBlocks: 0
; NumSGPRsForWavesPerEU: 1
; NumVGPRsForWavesPerEU: 1
; Occupancy: 16
; WaveLimiterHint : 0
; COMPUTE_PGM_RSRC2:SCRATCH_EN: 0
; COMPUTE_PGM_RSRC2:USER_SGPR: 15
; COMPUTE_PGM_RSRC2:TRAP_HANDLER: 0
; COMPUTE_PGM_RSRC2:TGID_X_EN: 1
; COMPUTE_PGM_RSRC2:TGID_Y_EN: 0
; COMPUTE_PGM_RSRC2:TGID_Z_EN: 0
; COMPUTE_PGM_RSRC2:TIDIG_COMP_CNT: 0
	.section	.text._ZN7rocprim17ROCPRIM_400000_NS6detail17trampoline_kernelINS0_14default_configENS1_29reduce_by_key_config_selectorIijN6thrust23THRUST_200600_302600_NS4plusIjEEEEZZNS1_33reduce_by_key_impl_wrapped_configILNS1_25lookback_scan_determinismE0ES3_S9_NS6_6detail15normal_iteratorINS6_10device_ptrIiEEEENSD_INSE_IjEEEESG_SI_PmS8_NS6_8equal_toIiEEEE10hipError_tPvRmT2_T3_mT4_T5_T6_T7_T8_P12ihipStream_tbENKUlT_T0_E_clISt17integral_constantIbLb0EES12_IbLb1EEEEDaSY_SZ_EUlSY_E_NS1_11comp_targetILNS1_3genE10ELNS1_11target_archE1201ELNS1_3gpuE5ELNS1_3repE0EEENS1_30default_config_static_selectorELNS0_4arch9wavefront6targetE0EEEvT1_,"axG",@progbits,_ZN7rocprim17ROCPRIM_400000_NS6detail17trampoline_kernelINS0_14default_configENS1_29reduce_by_key_config_selectorIijN6thrust23THRUST_200600_302600_NS4plusIjEEEEZZNS1_33reduce_by_key_impl_wrapped_configILNS1_25lookback_scan_determinismE0ES3_S9_NS6_6detail15normal_iteratorINS6_10device_ptrIiEEEENSD_INSE_IjEEEESG_SI_PmS8_NS6_8equal_toIiEEEE10hipError_tPvRmT2_T3_mT4_T5_T6_T7_T8_P12ihipStream_tbENKUlT_T0_E_clISt17integral_constantIbLb0EES12_IbLb1EEEEDaSY_SZ_EUlSY_E_NS1_11comp_targetILNS1_3genE10ELNS1_11target_archE1201ELNS1_3gpuE5ELNS1_3repE0EEENS1_30default_config_static_selectorELNS0_4arch9wavefront6targetE0EEEvT1_,comdat
	.protected	_ZN7rocprim17ROCPRIM_400000_NS6detail17trampoline_kernelINS0_14default_configENS1_29reduce_by_key_config_selectorIijN6thrust23THRUST_200600_302600_NS4plusIjEEEEZZNS1_33reduce_by_key_impl_wrapped_configILNS1_25lookback_scan_determinismE0ES3_S9_NS6_6detail15normal_iteratorINS6_10device_ptrIiEEEENSD_INSE_IjEEEESG_SI_PmS8_NS6_8equal_toIiEEEE10hipError_tPvRmT2_T3_mT4_T5_T6_T7_T8_P12ihipStream_tbENKUlT_T0_E_clISt17integral_constantIbLb0EES12_IbLb1EEEEDaSY_SZ_EUlSY_E_NS1_11comp_targetILNS1_3genE10ELNS1_11target_archE1201ELNS1_3gpuE5ELNS1_3repE0EEENS1_30default_config_static_selectorELNS0_4arch9wavefront6targetE0EEEvT1_ ; -- Begin function _ZN7rocprim17ROCPRIM_400000_NS6detail17trampoline_kernelINS0_14default_configENS1_29reduce_by_key_config_selectorIijN6thrust23THRUST_200600_302600_NS4plusIjEEEEZZNS1_33reduce_by_key_impl_wrapped_configILNS1_25lookback_scan_determinismE0ES3_S9_NS6_6detail15normal_iteratorINS6_10device_ptrIiEEEENSD_INSE_IjEEEESG_SI_PmS8_NS6_8equal_toIiEEEE10hipError_tPvRmT2_T3_mT4_T5_T6_T7_T8_P12ihipStream_tbENKUlT_T0_E_clISt17integral_constantIbLb0EES12_IbLb1EEEEDaSY_SZ_EUlSY_E_NS1_11comp_targetILNS1_3genE10ELNS1_11target_archE1201ELNS1_3gpuE5ELNS1_3repE0EEENS1_30default_config_static_selectorELNS0_4arch9wavefront6targetE0EEEvT1_
	.globl	_ZN7rocprim17ROCPRIM_400000_NS6detail17trampoline_kernelINS0_14default_configENS1_29reduce_by_key_config_selectorIijN6thrust23THRUST_200600_302600_NS4plusIjEEEEZZNS1_33reduce_by_key_impl_wrapped_configILNS1_25lookback_scan_determinismE0ES3_S9_NS6_6detail15normal_iteratorINS6_10device_ptrIiEEEENSD_INSE_IjEEEESG_SI_PmS8_NS6_8equal_toIiEEEE10hipError_tPvRmT2_T3_mT4_T5_T6_T7_T8_P12ihipStream_tbENKUlT_T0_E_clISt17integral_constantIbLb0EES12_IbLb1EEEEDaSY_SZ_EUlSY_E_NS1_11comp_targetILNS1_3genE10ELNS1_11target_archE1201ELNS1_3gpuE5ELNS1_3repE0EEENS1_30default_config_static_selectorELNS0_4arch9wavefront6targetE0EEEvT1_
	.p2align	8
	.type	_ZN7rocprim17ROCPRIM_400000_NS6detail17trampoline_kernelINS0_14default_configENS1_29reduce_by_key_config_selectorIijN6thrust23THRUST_200600_302600_NS4plusIjEEEEZZNS1_33reduce_by_key_impl_wrapped_configILNS1_25lookback_scan_determinismE0ES3_S9_NS6_6detail15normal_iteratorINS6_10device_ptrIiEEEENSD_INSE_IjEEEESG_SI_PmS8_NS6_8equal_toIiEEEE10hipError_tPvRmT2_T3_mT4_T5_T6_T7_T8_P12ihipStream_tbENKUlT_T0_E_clISt17integral_constantIbLb0EES12_IbLb1EEEEDaSY_SZ_EUlSY_E_NS1_11comp_targetILNS1_3genE10ELNS1_11target_archE1201ELNS1_3gpuE5ELNS1_3repE0EEENS1_30default_config_static_selectorELNS0_4arch9wavefront6targetE0EEEvT1_,@function
_ZN7rocprim17ROCPRIM_400000_NS6detail17trampoline_kernelINS0_14default_configENS1_29reduce_by_key_config_selectorIijN6thrust23THRUST_200600_302600_NS4plusIjEEEEZZNS1_33reduce_by_key_impl_wrapped_configILNS1_25lookback_scan_determinismE0ES3_S9_NS6_6detail15normal_iteratorINS6_10device_ptrIiEEEENSD_INSE_IjEEEESG_SI_PmS8_NS6_8equal_toIiEEEE10hipError_tPvRmT2_T3_mT4_T5_T6_T7_T8_P12ihipStream_tbENKUlT_T0_E_clISt17integral_constantIbLb0EES12_IbLb1EEEEDaSY_SZ_EUlSY_E_NS1_11comp_targetILNS1_3genE10ELNS1_11target_archE1201ELNS1_3gpuE5ELNS1_3repE0EEENS1_30default_config_static_selectorELNS0_4arch9wavefront6targetE0EEEvT1_: ; @_ZN7rocprim17ROCPRIM_400000_NS6detail17trampoline_kernelINS0_14default_configENS1_29reduce_by_key_config_selectorIijN6thrust23THRUST_200600_302600_NS4plusIjEEEEZZNS1_33reduce_by_key_impl_wrapped_configILNS1_25lookback_scan_determinismE0ES3_S9_NS6_6detail15normal_iteratorINS6_10device_ptrIiEEEENSD_INSE_IjEEEESG_SI_PmS8_NS6_8equal_toIiEEEE10hipError_tPvRmT2_T3_mT4_T5_T6_T7_T8_P12ihipStream_tbENKUlT_T0_E_clISt17integral_constantIbLb0EES12_IbLb1EEEEDaSY_SZ_EUlSY_E_NS1_11comp_targetILNS1_3genE10ELNS1_11target_archE1201ELNS1_3gpuE5ELNS1_3repE0EEENS1_30default_config_static_selectorELNS0_4arch9wavefront6targetE0EEEvT1_
; %bb.0:
	.section	.rodata,"a",@progbits
	.p2align	6, 0x0
	.amdhsa_kernel _ZN7rocprim17ROCPRIM_400000_NS6detail17trampoline_kernelINS0_14default_configENS1_29reduce_by_key_config_selectorIijN6thrust23THRUST_200600_302600_NS4plusIjEEEEZZNS1_33reduce_by_key_impl_wrapped_configILNS1_25lookback_scan_determinismE0ES3_S9_NS6_6detail15normal_iteratorINS6_10device_ptrIiEEEENSD_INSE_IjEEEESG_SI_PmS8_NS6_8equal_toIiEEEE10hipError_tPvRmT2_T3_mT4_T5_T6_T7_T8_P12ihipStream_tbENKUlT_T0_E_clISt17integral_constantIbLb0EES12_IbLb1EEEEDaSY_SZ_EUlSY_E_NS1_11comp_targetILNS1_3genE10ELNS1_11target_archE1201ELNS1_3gpuE5ELNS1_3repE0EEENS1_30default_config_static_selectorELNS0_4arch9wavefront6targetE0EEEvT1_
		.amdhsa_group_segment_fixed_size 0
		.amdhsa_private_segment_fixed_size 0
		.amdhsa_kernarg_size 120
		.amdhsa_user_sgpr_count 15
		.amdhsa_user_sgpr_dispatch_ptr 0
		.amdhsa_user_sgpr_queue_ptr 0
		.amdhsa_user_sgpr_kernarg_segment_ptr 1
		.amdhsa_user_sgpr_dispatch_id 0
		.amdhsa_user_sgpr_private_segment_size 0
		.amdhsa_wavefront_size32 1
		.amdhsa_uses_dynamic_stack 0
		.amdhsa_enable_private_segment 0
		.amdhsa_system_sgpr_workgroup_id_x 1
		.amdhsa_system_sgpr_workgroup_id_y 0
		.amdhsa_system_sgpr_workgroup_id_z 0
		.amdhsa_system_sgpr_workgroup_info 0
		.amdhsa_system_vgpr_workitem_id 0
		.amdhsa_next_free_vgpr 1
		.amdhsa_next_free_sgpr 1
		.amdhsa_reserve_vcc 0
		.amdhsa_float_round_mode_32 0
		.amdhsa_float_round_mode_16_64 0
		.amdhsa_float_denorm_mode_32 3
		.amdhsa_float_denorm_mode_16_64 3
		.amdhsa_dx10_clamp 1
		.amdhsa_ieee_mode 1
		.amdhsa_fp16_overflow 0
		.amdhsa_workgroup_processor_mode 1
		.amdhsa_memory_ordered 1
		.amdhsa_forward_progress 0
		.amdhsa_shared_vgpr_count 0
		.amdhsa_exception_fp_ieee_invalid_op 0
		.amdhsa_exception_fp_denorm_src 0
		.amdhsa_exception_fp_ieee_div_zero 0
		.amdhsa_exception_fp_ieee_overflow 0
		.amdhsa_exception_fp_ieee_underflow 0
		.amdhsa_exception_fp_ieee_inexact 0
		.amdhsa_exception_int_div_zero 0
	.end_amdhsa_kernel
	.section	.text._ZN7rocprim17ROCPRIM_400000_NS6detail17trampoline_kernelINS0_14default_configENS1_29reduce_by_key_config_selectorIijN6thrust23THRUST_200600_302600_NS4plusIjEEEEZZNS1_33reduce_by_key_impl_wrapped_configILNS1_25lookback_scan_determinismE0ES3_S9_NS6_6detail15normal_iteratorINS6_10device_ptrIiEEEENSD_INSE_IjEEEESG_SI_PmS8_NS6_8equal_toIiEEEE10hipError_tPvRmT2_T3_mT4_T5_T6_T7_T8_P12ihipStream_tbENKUlT_T0_E_clISt17integral_constantIbLb0EES12_IbLb1EEEEDaSY_SZ_EUlSY_E_NS1_11comp_targetILNS1_3genE10ELNS1_11target_archE1201ELNS1_3gpuE5ELNS1_3repE0EEENS1_30default_config_static_selectorELNS0_4arch9wavefront6targetE0EEEvT1_,"axG",@progbits,_ZN7rocprim17ROCPRIM_400000_NS6detail17trampoline_kernelINS0_14default_configENS1_29reduce_by_key_config_selectorIijN6thrust23THRUST_200600_302600_NS4plusIjEEEEZZNS1_33reduce_by_key_impl_wrapped_configILNS1_25lookback_scan_determinismE0ES3_S9_NS6_6detail15normal_iteratorINS6_10device_ptrIiEEEENSD_INSE_IjEEEESG_SI_PmS8_NS6_8equal_toIiEEEE10hipError_tPvRmT2_T3_mT4_T5_T6_T7_T8_P12ihipStream_tbENKUlT_T0_E_clISt17integral_constantIbLb0EES12_IbLb1EEEEDaSY_SZ_EUlSY_E_NS1_11comp_targetILNS1_3genE10ELNS1_11target_archE1201ELNS1_3gpuE5ELNS1_3repE0EEENS1_30default_config_static_selectorELNS0_4arch9wavefront6targetE0EEEvT1_,comdat
.Lfunc_end837:
	.size	_ZN7rocprim17ROCPRIM_400000_NS6detail17trampoline_kernelINS0_14default_configENS1_29reduce_by_key_config_selectorIijN6thrust23THRUST_200600_302600_NS4plusIjEEEEZZNS1_33reduce_by_key_impl_wrapped_configILNS1_25lookback_scan_determinismE0ES3_S9_NS6_6detail15normal_iteratorINS6_10device_ptrIiEEEENSD_INSE_IjEEEESG_SI_PmS8_NS6_8equal_toIiEEEE10hipError_tPvRmT2_T3_mT4_T5_T6_T7_T8_P12ihipStream_tbENKUlT_T0_E_clISt17integral_constantIbLb0EES12_IbLb1EEEEDaSY_SZ_EUlSY_E_NS1_11comp_targetILNS1_3genE10ELNS1_11target_archE1201ELNS1_3gpuE5ELNS1_3repE0EEENS1_30default_config_static_selectorELNS0_4arch9wavefront6targetE0EEEvT1_, .Lfunc_end837-_ZN7rocprim17ROCPRIM_400000_NS6detail17trampoline_kernelINS0_14default_configENS1_29reduce_by_key_config_selectorIijN6thrust23THRUST_200600_302600_NS4plusIjEEEEZZNS1_33reduce_by_key_impl_wrapped_configILNS1_25lookback_scan_determinismE0ES3_S9_NS6_6detail15normal_iteratorINS6_10device_ptrIiEEEENSD_INSE_IjEEEESG_SI_PmS8_NS6_8equal_toIiEEEE10hipError_tPvRmT2_T3_mT4_T5_T6_T7_T8_P12ihipStream_tbENKUlT_T0_E_clISt17integral_constantIbLb0EES12_IbLb1EEEEDaSY_SZ_EUlSY_E_NS1_11comp_targetILNS1_3genE10ELNS1_11target_archE1201ELNS1_3gpuE5ELNS1_3repE0EEENS1_30default_config_static_selectorELNS0_4arch9wavefront6targetE0EEEvT1_
                                        ; -- End function
	.section	.AMDGPU.csdata,"",@progbits
; Kernel info:
; codeLenInByte = 0
; NumSgprs: 0
; NumVgprs: 0
; ScratchSize: 0
; MemoryBound: 0
; FloatMode: 240
; IeeeMode: 1
; LDSByteSize: 0 bytes/workgroup (compile time only)
; SGPRBlocks: 0
; VGPRBlocks: 0
; NumSGPRsForWavesPerEU: 1
; NumVGPRsForWavesPerEU: 1
; Occupancy: 16
; WaveLimiterHint : 0
; COMPUTE_PGM_RSRC2:SCRATCH_EN: 0
; COMPUTE_PGM_RSRC2:USER_SGPR: 15
; COMPUTE_PGM_RSRC2:TRAP_HANDLER: 0
; COMPUTE_PGM_RSRC2:TGID_X_EN: 1
; COMPUTE_PGM_RSRC2:TGID_Y_EN: 0
; COMPUTE_PGM_RSRC2:TGID_Z_EN: 0
; COMPUTE_PGM_RSRC2:TIDIG_COMP_CNT: 0
	.section	.text._ZN7rocprim17ROCPRIM_400000_NS6detail17trampoline_kernelINS0_14default_configENS1_29reduce_by_key_config_selectorIijN6thrust23THRUST_200600_302600_NS4plusIjEEEEZZNS1_33reduce_by_key_impl_wrapped_configILNS1_25lookback_scan_determinismE0ES3_S9_NS6_6detail15normal_iteratorINS6_10device_ptrIiEEEENSD_INSE_IjEEEESG_SI_PmS8_NS6_8equal_toIiEEEE10hipError_tPvRmT2_T3_mT4_T5_T6_T7_T8_P12ihipStream_tbENKUlT_T0_E_clISt17integral_constantIbLb0EES12_IbLb1EEEEDaSY_SZ_EUlSY_E_NS1_11comp_targetILNS1_3genE10ELNS1_11target_archE1200ELNS1_3gpuE4ELNS1_3repE0EEENS1_30default_config_static_selectorELNS0_4arch9wavefront6targetE0EEEvT1_,"axG",@progbits,_ZN7rocprim17ROCPRIM_400000_NS6detail17trampoline_kernelINS0_14default_configENS1_29reduce_by_key_config_selectorIijN6thrust23THRUST_200600_302600_NS4plusIjEEEEZZNS1_33reduce_by_key_impl_wrapped_configILNS1_25lookback_scan_determinismE0ES3_S9_NS6_6detail15normal_iteratorINS6_10device_ptrIiEEEENSD_INSE_IjEEEESG_SI_PmS8_NS6_8equal_toIiEEEE10hipError_tPvRmT2_T3_mT4_T5_T6_T7_T8_P12ihipStream_tbENKUlT_T0_E_clISt17integral_constantIbLb0EES12_IbLb1EEEEDaSY_SZ_EUlSY_E_NS1_11comp_targetILNS1_3genE10ELNS1_11target_archE1200ELNS1_3gpuE4ELNS1_3repE0EEENS1_30default_config_static_selectorELNS0_4arch9wavefront6targetE0EEEvT1_,comdat
	.protected	_ZN7rocprim17ROCPRIM_400000_NS6detail17trampoline_kernelINS0_14default_configENS1_29reduce_by_key_config_selectorIijN6thrust23THRUST_200600_302600_NS4plusIjEEEEZZNS1_33reduce_by_key_impl_wrapped_configILNS1_25lookback_scan_determinismE0ES3_S9_NS6_6detail15normal_iteratorINS6_10device_ptrIiEEEENSD_INSE_IjEEEESG_SI_PmS8_NS6_8equal_toIiEEEE10hipError_tPvRmT2_T3_mT4_T5_T6_T7_T8_P12ihipStream_tbENKUlT_T0_E_clISt17integral_constantIbLb0EES12_IbLb1EEEEDaSY_SZ_EUlSY_E_NS1_11comp_targetILNS1_3genE10ELNS1_11target_archE1200ELNS1_3gpuE4ELNS1_3repE0EEENS1_30default_config_static_selectorELNS0_4arch9wavefront6targetE0EEEvT1_ ; -- Begin function _ZN7rocprim17ROCPRIM_400000_NS6detail17trampoline_kernelINS0_14default_configENS1_29reduce_by_key_config_selectorIijN6thrust23THRUST_200600_302600_NS4plusIjEEEEZZNS1_33reduce_by_key_impl_wrapped_configILNS1_25lookback_scan_determinismE0ES3_S9_NS6_6detail15normal_iteratorINS6_10device_ptrIiEEEENSD_INSE_IjEEEESG_SI_PmS8_NS6_8equal_toIiEEEE10hipError_tPvRmT2_T3_mT4_T5_T6_T7_T8_P12ihipStream_tbENKUlT_T0_E_clISt17integral_constantIbLb0EES12_IbLb1EEEEDaSY_SZ_EUlSY_E_NS1_11comp_targetILNS1_3genE10ELNS1_11target_archE1200ELNS1_3gpuE4ELNS1_3repE0EEENS1_30default_config_static_selectorELNS0_4arch9wavefront6targetE0EEEvT1_
	.globl	_ZN7rocprim17ROCPRIM_400000_NS6detail17trampoline_kernelINS0_14default_configENS1_29reduce_by_key_config_selectorIijN6thrust23THRUST_200600_302600_NS4plusIjEEEEZZNS1_33reduce_by_key_impl_wrapped_configILNS1_25lookback_scan_determinismE0ES3_S9_NS6_6detail15normal_iteratorINS6_10device_ptrIiEEEENSD_INSE_IjEEEESG_SI_PmS8_NS6_8equal_toIiEEEE10hipError_tPvRmT2_T3_mT4_T5_T6_T7_T8_P12ihipStream_tbENKUlT_T0_E_clISt17integral_constantIbLb0EES12_IbLb1EEEEDaSY_SZ_EUlSY_E_NS1_11comp_targetILNS1_3genE10ELNS1_11target_archE1200ELNS1_3gpuE4ELNS1_3repE0EEENS1_30default_config_static_selectorELNS0_4arch9wavefront6targetE0EEEvT1_
	.p2align	8
	.type	_ZN7rocprim17ROCPRIM_400000_NS6detail17trampoline_kernelINS0_14default_configENS1_29reduce_by_key_config_selectorIijN6thrust23THRUST_200600_302600_NS4plusIjEEEEZZNS1_33reduce_by_key_impl_wrapped_configILNS1_25lookback_scan_determinismE0ES3_S9_NS6_6detail15normal_iteratorINS6_10device_ptrIiEEEENSD_INSE_IjEEEESG_SI_PmS8_NS6_8equal_toIiEEEE10hipError_tPvRmT2_T3_mT4_T5_T6_T7_T8_P12ihipStream_tbENKUlT_T0_E_clISt17integral_constantIbLb0EES12_IbLb1EEEEDaSY_SZ_EUlSY_E_NS1_11comp_targetILNS1_3genE10ELNS1_11target_archE1200ELNS1_3gpuE4ELNS1_3repE0EEENS1_30default_config_static_selectorELNS0_4arch9wavefront6targetE0EEEvT1_,@function
_ZN7rocprim17ROCPRIM_400000_NS6detail17trampoline_kernelINS0_14default_configENS1_29reduce_by_key_config_selectorIijN6thrust23THRUST_200600_302600_NS4plusIjEEEEZZNS1_33reduce_by_key_impl_wrapped_configILNS1_25lookback_scan_determinismE0ES3_S9_NS6_6detail15normal_iteratorINS6_10device_ptrIiEEEENSD_INSE_IjEEEESG_SI_PmS8_NS6_8equal_toIiEEEE10hipError_tPvRmT2_T3_mT4_T5_T6_T7_T8_P12ihipStream_tbENKUlT_T0_E_clISt17integral_constantIbLb0EES12_IbLb1EEEEDaSY_SZ_EUlSY_E_NS1_11comp_targetILNS1_3genE10ELNS1_11target_archE1200ELNS1_3gpuE4ELNS1_3repE0EEENS1_30default_config_static_selectorELNS0_4arch9wavefront6targetE0EEEvT1_: ; @_ZN7rocprim17ROCPRIM_400000_NS6detail17trampoline_kernelINS0_14default_configENS1_29reduce_by_key_config_selectorIijN6thrust23THRUST_200600_302600_NS4plusIjEEEEZZNS1_33reduce_by_key_impl_wrapped_configILNS1_25lookback_scan_determinismE0ES3_S9_NS6_6detail15normal_iteratorINS6_10device_ptrIiEEEENSD_INSE_IjEEEESG_SI_PmS8_NS6_8equal_toIiEEEE10hipError_tPvRmT2_T3_mT4_T5_T6_T7_T8_P12ihipStream_tbENKUlT_T0_E_clISt17integral_constantIbLb0EES12_IbLb1EEEEDaSY_SZ_EUlSY_E_NS1_11comp_targetILNS1_3genE10ELNS1_11target_archE1200ELNS1_3gpuE4ELNS1_3repE0EEENS1_30default_config_static_selectorELNS0_4arch9wavefront6targetE0EEEvT1_
; %bb.0:
	.section	.rodata,"a",@progbits
	.p2align	6, 0x0
	.amdhsa_kernel _ZN7rocprim17ROCPRIM_400000_NS6detail17trampoline_kernelINS0_14default_configENS1_29reduce_by_key_config_selectorIijN6thrust23THRUST_200600_302600_NS4plusIjEEEEZZNS1_33reduce_by_key_impl_wrapped_configILNS1_25lookback_scan_determinismE0ES3_S9_NS6_6detail15normal_iteratorINS6_10device_ptrIiEEEENSD_INSE_IjEEEESG_SI_PmS8_NS6_8equal_toIiEEEE10hipError_tPvRmT2_T3_mT4_T5_T6_T7_T8_P12ihipStream_tbENKUlT_T0_E_clISt17integral_constantIbLb0EES12_IbLb1EEEEDaSY_SZ_EUlSY_E_NS1_11comp_targetILNS1_3genE10ELNS1_11target_archE1200ELNS1_3gpuE4ELNS1_3repE0EEENS1_30default_config_static_selectorELNS0_4arch9wavefront6targetE0EEEvT1_
		.amdhsa_group_segment_fixed_size 0
		.amdhsa_private_segment_fixed_size 0
		.amdhsa_kernarg_size 120
		.amdhsa_user_sgpr_count 15
		.amdhsa_user_sgpr_dispatch_ptr 0
		.amdhsa_user_sgpr_queue_ptr 0
		.amdhsa_user_sgpr_kernarg_segment_ptr 1
		.amdhsa_user_sgpr_dispatch_id 0
		.amdhsa_user_sgpr_private_segment_size 0
		.amdhsa_wavefront_size32 1
		.amdhsa_uses_dynamic_stack 0
		.amdhsa_enable_private_segment 0
		.amdhsa_system_sgpr_workgroup_id_x 1
		.amdhsa_system_sgpr_workgroup_id_y 0
		.amdhsa_system_sgpr_workgroup_id_z 0
		.amdhsa_system_sgpr_workgroup_info 0
		.amdhsa_system_vgpr_workitem_id 0
		.amdhsa_next_free_vgpr 1
		.amdhsa_next_free_sgpr 1
		.amdhsa_reserve_vcc 0
		.amdhsa_float_round_mode_32 0
		.amdhsa_float_round_mode_16_64 0
		.amdhsa_float_denorm_mode_32 3
		.amdhsa_float_denorm_mode_16_64 3
		.amdhsa_dx10_clamp 1
		.amdhsa_ieee_mode 1
		.amdhsa_fp16_overflow 0
		.amdhsa_workgroup_processor_mode 1
		.amdhsa_memory_ordered 1
		.amdhsa_forward_progress 0
		.amdhsa_shared_vgpr_count 0
		.amdhsa_exception_fp_ieee_invalid_op 0
		.amdhsa_exception_fp_denorm_src 0
		.amdhsa_exception_fp_ieee_div_zero 0
		.amdhsa_exception_fp_ieee_overflow 0
		.amdhsa_exception_fp_ieee_underflow 0
		.amdhsa_exception_fp_ieee_inexact 0
		.amdhsa_exception_int_div_zero 0
	.end_amdhsa_kernel
	.section	.text._ZN7rocprim17ROCPRIM_400000_NS6detail17trampoline_kernelINS0_14default_configENS1_29reduce_by_key_config_selectorIijN6thrust23THRUST_200600_302600_NS4plusIjEEEEZZNS1_33reduce_by_key_impl_wrapped_configILNS1_25lookback_scan_determinismE0ES3_S9_NS6_6detail15normal_iteratorINS6_10device_ptrIiEEEENSD_INSE_IjEEEESG_SI_PmS8_NS6_8equal_toIiEEEE10hipError_tPvRmT2_T3_mT4_T5_T6_T7_T8_P12ihipStream_tbENKUlT_T0_E_clISt17integral_constantIbLb0EES12_IbLb1EEEEDaSY_SZ_EUlSY_E_NS1_11comp_targetILNS1_3genE10ELNS1_11target_archE1200ELNS1_3gpuE4ELNS1_3repE0EEENS1_30default_config_static_selectorELNS0_4arch9wavefront6targetE0EEEvT1_,"axG",@progbits,_ZN7rocprim17ROCPRIM_400000_NS6detail17trampoline_kernelINS0_14default_configENS1_29reduce_by_key_config_selectorIijN6thrust23THRUST_200600_302600_NS4plusIjEEEEZZNS1_33reduce_by_key_impl_wrapped_configILNS1_25lookback_scan_determinismE0ES3_S9_NS6_6detail15normal_iteratorINS6_10device_ptrIiEEEENSD_INSE_IjEEEESG_SI_PmS8_NS6_8equal_toIiEEEE10hipError_tPvRmT2_T3_mT4_T5_T6_T7_T8_P12ihipStream_tbENKUlT_T0_E_clISt17integral_constantIbLb0EES12_IbLb1EEEEDaSY_SZ_EUlSY_E_NS1_11comp_targetILNS1_3genE10ELNS1_11target_archE1200ELNS1_3gpuE4ELNS1_3repE0EEENS1_30default_config_static_selectorELNS0_4arch9wavefront6targetE0EEEvT1_,comdat
.Lfunc_end838:
	.size	_ZN7rocprim17ROCPRIM_400000_NS6detail17trampoline_kernelINS0_14default_configENS1_29reduce_by_key_config_selectorIijN6thrust23THRUST_200600_302600_NS4plusIjEEEEZZNS1_33reduce_by_key_impl_wrapped_configILNS1_25lookback_scan_determinismE0ES3_S9_NS6_6detail15normal_iteratorINS6_10device_ptrIiEEEENSD_INSE_IjEEEESG_SI_PmS8_NS6_8equal_toIiEEEE10hipError_tPvRmT2_T3_mT4_T5_T6_T7_T8_P12ihipStream_tbENKUlT_T0_E_clISt17integral_constantIbLb0EES12_IbLb1EEEEDaSY_SZ_EUlSY_E_NS1_11comp_targetILNS1_3genE10ELNS1_11target_archE1200ELNS1_3gpuE4ELNS1_3repE0EEENS1_30default_config_static_selectorELNS0_4arch9wavefront6targetE0EEEvT1_, .Lfunc_end838-_ZN7rocprim17ROCPRIM_400000_NS6detail17trampoline_kernelINS0_14default_configENS1_29reduce_by_key_config_selectorIijN6thrust23THRUST_200600_302600_NS4plusIjEEEEZZNS1_33reduce_by_key_impl_wrapped_configILNS1_25lookback_scan_determinismE0ES3_S9_NS6_6detail15normal_iteratorINS6_10device_ptrIiEEEENSD_INSE_IjEEEESG_SI_PmS8_NS6_8equal_toIiEEEE10hipError_tPvRmT2_T3_mT4_T5_T6_T7_T8_P12ihipStream_tbENKUlT_T0_E_clISt17integral_constantIbLb0EES12_IbLb1EEEEDaSY_SZ_EUlSY_E_NS1_11comp_targetILNS1_3genE10ELNS1_11target_archE1200ELNS1_3gpuE4ELNS1_3repE0EEENS1_30default_config_static_selectorELNS0_4arch9wavefront6targetE0EEEvT1_
                                        ; -- End function
	.section	.AMDGPU.csdata,"",@progbits
; Kernel info:
; codeLenInByte = 0
; NumSgprs: 0
; NumVgprs: 0
; ScratchSize: 0
; MemoryBound: 0
; FloatMode: 240
; IeeeMode: 1
; LDSByteSize: 0 bytes/workgroup (compile time only)
; SGPRBlocks: 0
; VGPRBlocks: 0
; NumSGPRsForWavesPerEU: 1
; NumVGPRsForWavesPerEU: 1
; Occupancy: 16
; WaveLimiterHint : 0
; COMPUTE_PGM_RSRC2:SCRATCH_EN: 0
; COMPUTE_PGM_RSRC2:USER_SGPR: 15
; COMPUTE_PGM_RSRC2:TRAP_HANDLER: 0
; COMPUTE_PGM_RSRC2:TGID_X_EN: 1
; COMPUTE_PGM_RSRC2:TGID_Y_EN: 0
; COMPUTE_PGM_RSRC2:TGID_Z_EN: 0
; COMPUTE_PGM_RSRC2:TIDIG_COMP_CNT: 0
	.section	.text._ZN7rocprim17ROCPRIM_400000_NS6detail17trampoline_kernelINS0_14default_configENS1_29reduce_by_key_config_selectorIijN6thrust23THRUST_200600_302600_NS4plusIjEEEEZZNS1_33reduce_by_key_impl_wrapped_configILNS1_25lookback_scan_determinismE0ES3_S9_NS6_6detail15normal_iteratorINS6_10device_ptrIiEEEENSD_INSE_IjEEEESG_SI_PmS8_NS6_8equal_toIiEEEE10hipError_tPvRmT2_T3_mT4_T5_T6_T7_T8_P12ihipStream_tbENKUlT_T0_E_clISt17integral_constantIbLb0EES12_IbLb1EEEEDaSY_SZ_EUlSY_E_NS1_11comp_targetILNS1_3genE9ELNS1_11target_archE1100ELNS1_3gpuE3ELNS1_3repE0EEENS1_30default_config_static_selectorELNS0_4arch9wavefront6targetE0EEEvT1_,"axG",@progbits,_ZN7rocprim17ROCPRIM_400000_NS6detail17trampoline_kernelINS0_14default_configENS1_29reduce_by_key_config_selectorIijN6thrust23THRUST_200600_302600_NS4plusIjEEEEZZNS1_33reduce_by_key_impl_wrapped_configILNS1_25lookback_scan_determinismE0ES3_S9_NS6_6detail15normal_iteratorINS6_10device_ptrIiEEEENSD_INSE_IjEEEESG_SI_PmS8_NS6_8equal_toIiEEEE10hipError_tPvRmT2_T3_mT4_T5_T6_T7_T8_P12ihipStream_tbENKUlT_T0_E_clISt17integral_constantIbLb0EES12_IbLb1EEEEDaSY_SZ_EUlSY_E_NS1_11comp_targetILNS1_3genE9ELNS1_11target_archE1100ELNS1_3gpuE3ELNS1_3repE0EEENS1_30default_config_static_selectorELNS0_4arch9wavefront6targetE0EEEvT1_,comdat
	.protected	_ZN7rocprim17ROCPRIM_400000_NS6detail17trampoline_kernelINS0_14default_configENS1_29reduce_by_key_config_selectorIijN6thrust23THRUST_200600_302600_NS4plusIjEEEEZZNS1_33reduce_by_key_impl_wrapped_configILNS1_25lookback_scan_determinismE0ES3_S9_NS6_6detail15normal_iteratorINS6_10device_ptrIiEEEENSD_INSE_IjEEEESG_SI_PmS8_NS6_8equal_toIiEEEE10hipError_tPvRmT2_T3_mT4_T5_T6_T7_T8_P12ihipStream_tbENKUlT_T0_E_clISt17integral_constantIbLb0EES12_IbLb1EEEEDaSY_SZ_EUlSY_E_NS1_11comp_targetILNS1_3genE9ELNS1_11target_archE1100ELNS1_3gpuE3ELNS1_3repE0EEENS1_30default_config_static_selectorELNS0_4arch9wavefront6targetE0EEEvT1_ ; -- Begin function _ZN7rocprim17ROCPRIM_400000_NS6detail17trampoline_kernelINS0_14default_configENS1_29reduce_by_key_config_selectorIijN6thrust23THRUST_200600_302600_NS4plusIjEEEEZZNS1_33reduce_by_key_impl_wrapped_configILNS1_25lookback_scan_determinismE0ES3_S9_NS6_6detail15normal_iteratorINS6_10device_ptrIiEEEENSD_INSE_IjEEEESG_SI_PmS8_NS6_8equal_toIiEEEE10hipError_tPvRmT2_T3_mT4_T5_T6_T7_T8_P12ihipStream_tbENKUlT_T0_E_clISt17integral_constantIbLb0EES12_IbLb1EEEEDaSY_SZ_EUlSY_E_NS1_11comp_targetILNS1_3genE9ELNS1_11target_archE1100ELNS1_3gpuE3ELNS1_3repE0EEENS1_30default_config_static_selectorELNS0_4arch9wavefront6targetE0EEEvT1_
	.globl	_ZN7rocprim17ROCPRIM_400000_NS6detail17trampoline_kernelINS0_14default_configENS1_29reduce_by_key_config_selectorIijN6thrust23THRUST_200600_302600_NS4plusIjEEEEZZNS1_33reduce_by_key_impl_wrapped_configILNS1_25lookback_scan_determinismE0ES3_S9_NS6_6detail15normal_iteratorINS6_10device_ptrIiEEEENSD_INSE_IjEEEESG_SI_PmS8_NS6_8equal_toIiEEEE10hipError_tPvRmT2_T3_mT4_T5_T6_T7_T8_P12ihipStream_tbENKUlT_T0_E_clISt17integral_constantIbLb0EES12_IbLb1EEEEDaSY_SZ_EUlSY_E_NS1_11comp_targetILNS1_3genE9ELNS1_11target_archE1100ELNS1_3gpuE3ELNS1_3repE0EEENS1_30default_config_static_selectorELNS0_4arch9wavefront6targetE0EEEvT1_
	.p2align	8
	.type	_ZN7rocprim17ROCPRIM_400000_NS6detail17trampoline_kernelINS0_14default_configENS1_29reduce_by_key_config_selectorIijN6thrust23THRUST_200600_302600_NS4plusIjEEEEZZNS1_33reduce_by_key_impl_wrapped_configILNS1_25lookback_scan_determinismE0ES3_S9_NS6_6detail15normal_iteratorINS6_10device_ptrIiEEEENSD_INSE_IjEEEESG_SI_PmS8_NS6_8equal_toIiEEEE10hipError_tPvRmT2_T3_mT4_T5_T6_T7_T8_P12ihipStream_tbENKUlT_T0_E_clISt17integral_constantIbLb0EES12_IbLb1EEEEDaSY_SZ_EUlSY_E_NS1_11comp_targetILNS1_3genE9ELNS1_11target_archE1100ELNS1_3gpuE3ELNS1_3repE0EEENS1_30default_config_static_selectorELNS0_4arch9wavefront6targetE0EEEvT1_,@function
_ZN7rocprim17ROCPRIM_400000_NS6detail17trampoline_kernelINS0_14default_configENS1_29reduce_by_key_config_selectorIijN6thrust23THRUST_200600_302600_NS4plusIjEEEEZZNS1_33reduce_by_key_impl_wrapped_configILNS1_25lookback_scan_determinismE0ES3_S9_NS6_6detail15normal_iteratorINS6_10device_ptrIiEEEENSD_INSE_IjEEEESG_SI_PmS8_NS6_8equal_toIiEEEE10hipError_tPvRmT2_T3_mT4_T5_T6_T7_T8_P12ihipStream_tbENKUlT_T0_E_clISt17integral_constantIbLb0EES12_IbLb1EEEEDaSY_SZ_EUlSY_E_NS1_11comp_targetILNS1_3genE9ELNS1_11target_archE1100ELNS1_3gpuE3ELNS1_3repE0EEENS1_30default_config_static_selectorELNS0_4arch9wavefront6targetE0EEEvT1_: ; @_ZN7rocprim17ROCPRIM_400000_NS6detail17trampoline_kernelINS0_14default_configENS1_29reduce_by_key_config_selectorIijN6thrust23THRUST_200600_302600_NS4plusIjEEEEZZNS1_33reduce_by_key_impl_wrapped_configILNS1_25lookback_scan_determinismE0ES3_S9_NS6_6detail15normal_iteratorINS6_10device_ptrIiEEEENSD_INSE_IjEEEESG_SI_PmS8_NS6_8equal_toIiEEEE10hipError_tPvRmT2_T3_mT4_T5_T6_T7_T8_P12ihipStream_tbENKUlT_T0_E_clISt17integral_constantIbLb0EES12_IbLb1EEEEDaSY_SZ_EUlSY_E_NS1_11comp_targetILNS1_3genE9ELNS1_11target_archE1100ELNS1_3gpuE3ELNS1_3repE0EEENS1_30default_config_static_selectorELNS0_4arch9wavefront6targetE0EEEvT1_
; %bb.0:
	s_clause 0x4
	s_load_b256 s[12:19], s[0:1], 0x0
	s_load_b128 s[28:31], s[0:1], 0x20
	s_load_b256 s[20:27], s[0:1], 0x38
	s_load_b64 s[34:35], s[0:1], 0x68
	s_load_b128 s[36:39], s[0:1], 0x58
	v_cmp_ne_u32_e64 s3, 0, v0
	v_cmp_eq_u32_e64 s2, 0, v0
	s_delay_alu instid0(VALU_DEP_1)
	s_and_saveexec_b32 s4, s2
	s_cbranch_execz .LBB839_4
; %bb.1:
	s_mov_b32 s6, exec_lo
	s_mov_b32 s5, exec_lo
	v_mbcnt_lo_u32_b32 v1, s6, 0
                                        ; implicit-def: $vgpr2
	s_delay_alu instid0(VALU_DEP_1)
	v_cmpx_eq_u32_e32 0, v1
	s_cbranch_execz .LBB839_3
; %bb.2:
	s_load_b64 s[0:1], s[0:1], 0x70
	s_bcnt1_i32_b32 s6, s6
	s_delay_alu instid0(SALU_CYCLE_1)
	v_dual_mov_b32 v2, 0 :: v_dual_mov_b32 v3, s6
	s_waitcnt lgkmcnt(0)
	global_atomic_add_u32 v2, v2, v3, s[0:1] glc
.LBB839_3:
	s_or_b32 exec_lo, exec_lo, s5
	s_waitcnt vmcnt(0)
	v_readfirstlane_b32 s0, v2
	s_delay_alu instid0(VALU_DEP_1)
	v_dual_mov_b32 v2, 0 :: v_dual_add_nc_u32 v1, s0, v1
	ds_store_b32 v2, v1
.LBB839_4:
	s_or_b32 exec_lo, exec_lo, s4
	v_mov_b32_e32 v2, 0
	s_waitcnt lgkmcnt(0)
	s_barrier
	buffer_gl0_inv
	s_lshl_b64 s[4:5], s[14:15], 2
	ds_load_b32 v1, v2
	s_add_u32 s9, s12, s4
	s_mul_i32 s1, s24, s23
	s_mul_hi_u32 s6, s24, s22
	s_addc_u32 s10, s13, s5
	s_add_u32 s11, s16, s4
	s_mul_i32 s7, s25, s22
	s_addc_u32 s12, s17, s5
	s_add_i32 s1, s6, s1
	s_mul_i32 s8, s24, s22
	s_add_i32 s1, s1, s7
	s_mov_b32 s0, 0
	s_waitcnt lgkmcnt(0)
	s_barrier
	buffer_gl0_inv
	v_readfirstlane_b32 s33, v1
	v_mul_lo_u32 v1, 0xf00, v1
	s_delay_alu instid0(VALU_DEP_2) | instskip(SKIP_3) | instid1(VALU_DEP_1)
	s_add_u32 s24, s8, s33
	s_addc_u32 s25, s1, 0
	s_add_u32 s4, s26, -1
	s_addc_u32 s5, s27, -1
	v_lshlrev_b64 v[5:6], 2, v[1:2]
	s_cmp_eq_u64 s[24:25], s[4:5]
	s_mul_i32 s26, s4, 0xfffff100
	s_cselect_b32 s17, -1, 0
	s_cmp_lg_u64 s[24:25], s[4:5]
	s_delay_alu instid0(VALU_DEP_1)
	v_add_co_u32 v4, vcc_lo, s9, v5
	v_add_co_ci_u32_e32 v2, vcc_lo, s10, v6, vcc_lo
	v_add_co_u32 v1, vcc_lo, s11, v5
	v_add_co_ci_u32_e32 v3, vcc_lo, s12, v6, vcc_lo
	s_cselect_b32 s40, -1, 0
	s_and_b32 vcc_lo, exec_lo, s17
	s_cbranch_vccnz .LBB839_6
; %bb.5:
	v_lshlrev_b32_e32 v29, 2, v0
	s_delay_alu instid0(VALU_DEP_1) | instskip(SKIP_1) | instid1(VALU_DEP_2)
	v_add_co_u32 v5, vcc_lo, v4, v29
	v_add_co_ci_u32_e32 v6, vcc_lo, 0, v2, vcc_lo
	v_add_co_u32 v7, vcc_lo, 0x1000, v5
	s_delay_alu instid0(VALU_DEP_2)
	v_add_co_ci_u32_e32 v8, vcc_lo, 0, v6, vcc_lo
	s_clause 0x7
	flat_load_b32 v9, v[5:6]
	flat_load_b32 v10, v[5:6] offset:1024
	flat_load_b32 v11, v[5:6] offset:2048
	;; [unrolled: 1-line block ×3, first 2 shown]
	flat_load_b32 v13, v[7:8]
	flat_load_b32 v14, v[7:8] offset:1024
	flat_load_b32 v15, v[7:8] offset:2048
	;; [unrolled: 1-line block ×3, first 2 shown]
	v_add_co_u32 v7, vcc_lo, 0x2000, v5
	v_add_co_ci_u32_e32 v8, vcc_lo, 0, v6, vcc_lo
	v_add_co_u32 v5, vcc_lo, 0x3000, v5
	v_add_co_ci_u32_e32 v6, vcc_lo, 0, v6, vcc_lo
	s_clause 0x6
	flat_load_b32 v17, v[7:8]
	flat_load_b32 v18, v[7:8] offset:1024
	flat_load_b32 v19, v[7:8] offset:2048
	;; [unrolled: 1-line block ×3, first 2 shown]
	flat_load_b32 v20, v[5:6]
	flat_load_b32 v21, v[5:6] offset:1024
	flat_load_b32 v22, v[5:6] offset:2048
	v_add_co_u32 v6, vcc_lo, v1, v29
	v_add_co_ci_u32_e32 v7, vcc_lo, 0, v3, vcc_lo
	v_mad_u32_u24 v5, v0, 56, v29
	s_delay_alu instid0(VALU_DEP_3) | instskip(NEXT) | instid1(VALU_DEP_3)
	v_add_co_u32 v23, vcc_lo, 0x1000, v6
	v_add_co_ci_u32_e32 v24, vcc_lo, 0, v7, vcc_lo
	v_add_co_u32 v25, vcc_lo, 0x2000, v6
	v_add_co_ci_u32_e32 v26, vcc_lo, 0, v7, vcc_lo
	v_add_co_u32 v27, vcc_lo, 0x3000, v6
	v_add_co_ci_u32_e32 v28, vcc_lo, 0, v7, vcc_lo
	s_waitcnt vmcnt(13) lgkmcnt(13)
	ds_store_2addr_stride64_b32 v29, v9, v10 offset1:4
	s_waitcnt vmcnt(11) lgkmcnt(12)
	ds_store_2addr_stride64_b32 v29, v11, v12 offset0:8 offset1:12
	s_waitcnt vmcnt(9) lgkmcnt(11)
	ds_store_2addr_stride64_b32 v29, v13, v14 offset0:16 offset1:20
	s_waitcnt vmcnt(7) lgkmcnt(10)
	ds_store_2addr_stride64_b32 v29, v15, v16 offset0:24 offset1:28
	s_waitcnt vmcnt(5) lgkmcnt(9)
	ds_store_2addr_stride64_b32 v29, v17, v18 offset0:32 offset1:36
	s_waitcnt vmcnt(3) lgkmcnt(8)
	ds_store_2addr_stride64_b32 v29, v19, v8 offset0:40 offset1:44
	s_waitcnt vmcnt(1) lgkmcnt(7)
	ds_store_2addr_stride64_b32 v29, v20, v21 offset0:48 offset1:52
	s_waitcnt vmcnt(0) lgkmcnt(7)
	ds_store_b32 v29, v22 offset:14336
	s_waitcnt lgkmcnt(0)
	s_barrier
	buffer_gl0_inv
	ds_load_2addr_b32 v[21:22], v5 offset1:1
	ds_load_2addr_b32 v[19:20], v5 offset0:2 offset1:3
	ds_load_2addr_b32 v[17:18], v5 offset0:4 offset1:5
	;; [unrolled: 1-line block ×6, first 2 shown]
	ds_load_b32 v63, v5 offset:56
	s_waitcnt lgkmcnt(0)
	s_barrier
	buffer_gl0_inv
	s_clause 0xe
	flat_load_b32 v8, v[6:7]
	flat_load_b32 v30, v[6:7] offset:1024
	flat_load_b32 v31, v[6:7] offset:2048
	flat_load_b32 v6, v[6:7] offset:3072
	flat_load_b32 v7, v[23:24]
	flat_load_b32 v32, v[23:24] offset:1024
	flat_load_b32 v33, v[23:24] offset:2048
	flat_load_b32 v23, v[23:24] offset:3072
	;; [unrolled: 4-line block ×3, first 2 shown]
	flat_load_b32 v26, v[27:28]
	flat_load_b32 v36, v[27:28] offset:1024
	flat_load_b32 v27, v[27:28] offset:2048
	s_waitcnt vmcnt(13) lgkmcnt(13)
	ds_store_2addr_stride64_b32 v29, v8, v30 offset1:4
	s_waitcnt vmcnt(11) lgkmcnt(12)
	ds_store_2addr_stride64_b32 v29, v31, v6 offset0:8 offset1:12
	s_waitcnt vmcnt(9) lgkmcnt(11)
	ds_store_2addr_stride64_b32 v29, v7, v32 offset0:16 offset1:20
	s_waitcnt vmcnt(7) lgkmcnt(10)
	ds_store_2addr_stride64_b32 v29, v33, v23 offset0:24 offset1:28
	s_waitcnt vmcnt(5) lgkmcnt(9)
	ds_store_2addr_stride64_b32 v29, v24, v34 offset0:32 offset1:36
	s_waitcnt vmcnt(3) lgkmcnt(8)
	ds_store_2addr_stride64_b32 v29, v35, v25 offset0:40 offset1:44
	s_waitcnt vmcnt(1) lgkmcnt(7)
	ds_store_2addr_stride64_b32 v29, v26, v36 offset0:48 offset1:52
	s_waitcnt vmcnt(0) lgkmcnt(7)
	ds_store_b32 v29, v27 offset:14336
	s_waitcnt lgkmcnt(0)
	s_barrier
	s_and_not1_b32 vcc_lo, exec_lo, s0
	s_add_i32 s26, s26, s36
	s_cbranch_vccz .LBB839_7
	s_branch .LBB839_54
.LBB839_6:
                                        ; implicit-def: $vgpr5
                                        ; implicit-def: $vgpr21
                                        ; implicit-def: $vgpr19
                                        ; implicit-def: $vgpr17
                                        ; implicit-def: $vgpr15
                                        ; implicit-def: $vgpr13
                                        ; implicit-def: $vgpr11
                                        ; implicit-def: $vgpr9
                                        ; implicit-def: $vgpr63
	s_add_i32 s26, s26, s36
.LBB839_7:
	s_delay_alu instid0(SALU_CYCLE_1)
	v_cmp_gt_u32_e32 vcc_lo, s26, v0
                                        ; implicit-def: $vgpr5
	s_and_saveexec_b32 s1, vcc_lo
	s_cbranch_execz .LBB839_9
; %bb.8:
	v_lshlrev_b32_e32 v5, 2, v0
	s_delay_alu instid0(VALU_DEP_1) | instskip(NEXT) | instid1(VALU_DEP_1)
	v_add_co_u32 v5, s0, v4, v5
	v_add_co_ci_u32_e64 v6, s0, 0, v2, s0
	flat_load_b32 v5, v[5:6]
.LBB839_9:
	s_or_b32 exec_lo, exec_lo, s1
	v_or_b32_e32 v6, 0x100, v0
                                        ; implicit-def: $vgpr9
	s_delay_alu instid0(VALU_DEP_1) | instskip(NEXT) | instid1(VALU_DEP_1)
	v_cmp_gt_u32_e64 s0, s26, v6
	s_and_saveexec_b32 s4, s0
	s_cbranch_execz .LBB839_11
; %bb.10:
	v_lshlrev_b32_e32 v6, 2, v0
	s_delay_alu instid0(VALU_DEP_1) | instskip(NEXT) | instid1(VALU_DEP_1)
	v_add_co_u32 v6, s1, v4, v6
	v_add_co_ci_u32_e64 v7, s1, 0, v2, s1
	flat_load_b32 v9, v[6:7] offset:1024
.LBB839_11:
	s_or_b32 exec_lo, exec_lo, s4
	v_or_b32_e32 v6, 0x200, v0
                                        ; implicit-def: $vgpr10
	s_delay_alu instid0(VALU_DEP_1) | instskip(NEXT) | instid1(VALU_DEP_1)
	v_cmp_gt_u32_e64 s1, s26, v6
	s_and_saveexec_b32 s5, s1
	s_cbranch_execz .LBB839_13
; %bb.12:
	v_lshlrev_b32_e32 v6, 2, v0
	s_delay_alu instid0(VALU_DEP_1) | instskip(NEXT) | instid1(VALU_DEP_1)
	v_add_co_u32 v6, s4, v4, v6
	v_add_co_ci_u32_e64 v7, s4, 0, v2, s4
	flat_load_b32 v10, v[6:7] offset:2048
.LBB839_13:
	s_or_b32 exec_lo, exec_lo, s5
	v_or_b32_e32 v6, 0x300, v0
                                        ; implicit-def: $vgpr11
	s_delay_alu instid0(VALU_DEP_1) | instskip(NEXT) | instid1(VALU_DEP_1)
	v_cmp_gt_u32_e64 s4, s26, v6
	s_and_saveexec_b32 s6, s4
	s_cbranch_execz .LBB839_15
; %bb.14:
	v_lshlrev_b32_e32 v6, 2, v0
	s_delay_alu instid0(VALU_DEP_1) | instskip(NEXT) | instid1(VALU_DEP_1)
	v_add_co_u32 v6, s5, v4, v6
	v_add_co_ci_u32_e64 v7, s5, 0, v2, s5
	flat_load_b32 v11, v[6:7] offset:3072
.LBB839_15:
	s_or_b32 exec_lo, exec_lo, s6
	v_or_b32_e32 v6, 0x400, v0
                                        ; implicit-def: $vgpr12
	s_delay_alu instid0(VALU_DEP_1) | instskip(SKIP_1) | instid1(VALU_DEP_2)
	v_cmp_gt_u32_e64 s5, s26, v6
	v_lshlrev_b32_e32 v6, 2, v6
	s_and_saveexec_b32 s7, s5
	s_cbranch_execz .LBB839_17
; %bb.16:
	s_delay_alu instid0(VALU_DEP_1) | instskip(NEXT) | instid1(VALU_DEP_1)
	v_add_co_u32 v7, s6, v4, v6
	v_add_co_ci_u32_e64 v8, s6, 0, v2, s6
	flat_load_b32 v12, v[7:8]
.LBB839_17:
	s_or_b32 exec_lo, exec_lo, s7
	v_or_b32_e32 v7, 0x500, v0
                                        ; implicit-def: $vgpr13
	s_delay_alu instid0(VALU_DEP_1) | instskip(SKIP_1) | instid1(VALU_DEP_2)
	v_cmp_gt_u32_e64 s6, s26, v7
	v_lshlrev_b32_e32 v7, 2, v7
	s_and_saveexec_b32 s8, s6
	s_cbranch_execz .LBB839_19
; %bb.18:
	s_delay_alu instid0(VALU_DEP_1) | instskip(NEXT) | instid1(VALU_DEP_1)
	v_add_co_u32 v13, s7, v4, v7
	v_add_co_ci_u32_e64 v14, s7, 0, v2, s7
	flat_load_b32 v13, v[13:14]
.LBB839_19:
	s_or_b32 exec_lo, exec_lo, s8
	v_or_b32_e32 v8, 0x600, v0
                                        ; implicit-def: $vgpr14
	s_delay_alu instid0(VALU_DEP_1) | instskip(SKIP_1) | instid1(VALU_DEP_2)
	v_cmp_gt_u32_e64 s7, s26, v8
	v_lshlrev_b32_e32 v8, 2, v8
	s_and_saveexec_b32 s9, s7
	s_cbranch_execz .LBB839_21
; %bb.20:
	s_delay_alu instid0(VALU_DEP_1) | instskip(NEXT) | instid1(VALU_DEP_1)
	v_add_co_u32 v14, s8, v4, v8
	v_add_co_ci_u32_e64 v15, s8, 0, v2, s8
	flat_load_b32 v14, v[14:15]
.LBB839_21:
	s_or_b32 exec_lo, exec_lo, s9
	v_or_b32_e32 v15, 0x700, v0
	s_delay_alu instid0(VALU_DEP_1) | instskip(SKIP_1) | instid1(VALU_DEP_2)
	v_cmp_gt_u32_e64 s8, s26, v15
	v_lshlrev_b32_e32 v23, 2, v15
                                        ; implicit-def: $vgpr15
	s_and_saveexec_b32 s10, s8
	s_cbranch_execz .LBB839_23
; %bb.22:
	s_delay_alu instid0(VALU_DEP_1) | instskip(NEXT) | instid1(VALU_DEP_1)
	v_add_co_u32 v15, s9, v4, v23
	v_add_co_ci_u32_e64 v16, s9, 0, v2, s9
	flat_load_b32 v15, v[15:16]
.LBB839_23:
	s_or_b32 exec_lo, exec_lo, s10
	v_or_b32_e32 v16, 0x800, v0
	s_delay_alu instid0(VALU_DEP_1) | instskip(SKIP_1) | instid1(VALU_DEP_2)
	v_cmp_gt_u32_e64 s9, s26, v16
	v_lshlrev_b32_e32 v24, 2, v16
                                        ; implicit-def: $vgpr16
	s_and_saveexec_b32 s11, s9
	s_cbranch_execz .LBB839_25
; %bb.24:
	s_delay_alu instid0(VALU_DEP_1) | instskip(NEXT) | instid1(VALU_DEP_1)
	v_add_co_u32 v16, s10, v4, v24
	v_add_co_ci_u32_e64 v17, s10, 0, v2, s10
	flat_load_b32 v16, v[16:17]
.LBB839_25:
	s_or_b32 exec_lo, exec_lo, s11
	v_or_b32_e32 v17, 0x900, v0
	s_delay_alu instid0(VALU_DEP_1) | instskip(SKIP_1) | instid1(VALU_DEP_2)
	v_cmp_gt_u32_e64 s10, s26, v17
	v_lshlrev_b32_e32 v25, 2, v17
                                        ; implicit-def: $vgpr17
	s_and_saveexec_b32 s12, s10
	s_cbranch_execz .LBB839_27
; %bb.26:
	s_delay_alu instid0(VALU_DEP_1) | instskip(NEXT) | instid1(VALU_DEP_1)
	v_add_co_u32 v17, s11, v4, v25
	v_add_co_ci_u32_e64 v18, s11, 0, v2, s11
	flat_load_b32 v17, v[17:18]
.LBB839_27:
	s_or_b32 exec_lo, exec_lo, s12
	v_or_b32_e32 v18, 0xa00, v0
	s_delay_alu instid0(VALU_DEP_1) | instskip(SKIP_1) | instid1(VALU_DEP_2)
	v_cmp_gt_u32_e64 s11, s26, v18
	v_lshlrev_b32_e32 v27, 2, v18
                                        ; implicit-def: $vgpr18
	s_and_saveexec_b32 s13, s11
	s_cbranch_execz .LBB839_29
; %bb.28:
	s_delay_alu instid0(VALU_DEP_1) | instskip(NEXT) | instid1(VALU_DEP_1)
	v_add_co_u32 v18, s12, v4, v27
	v_add_co_ci_u32_e64 v19, s12, 0, v2, s12
	flat_load_b32 v18, v[18:19]
.LBB839_29:
	s_or_b32 exec_lo, exec_lo, s13
	v_or_b32_e32 v19, 0xb00, v0
	s_delay_alu instid0(VALU_DEP_1) | instskip(SKIP_1) | instid1(VALU_DEP_2)
	v_cmp_gt_u32_e64 s12, s26, v19
	v_lshlrev_b32_e32 v28, 2, v19
                                        ; implicit-def: $vgpr19
	s_and_saveexec_b32 s14, s12
	s_cbranch_execz .LBB839_31
; %bb.30:
	s_delay_alu instid0(VALU_DEP_1) | instskip(NEXT) | instid1(VALU_DEP_1)
	v_add_co_u32 v19, s13, v4, v28
	v_add_co_ci_u32_e64 v20, s13, 0, v2, s13
	flat_load_b32 v19, v[19:20]
.LBB839_31:
	s_or_b32 exec_lo, exec_lo, s14
	v_or_b32_e32 v20, 0xc00, v0
	s_delay_alu instid0(VALU_DEP_1) | instskip(SKIP_1) | instid1(VALU_DEP_2)
	v_cmp_gt_u32_e64 s13, s26, v20
	v_lshlrev_b32_e32 v29, 2, v20
                                        ; implicit-def: $vgpr20
	s_and_saveexec_b32 s15, s13
	s_cbranch_execz .LBB839_33
; %bb.32:
	s_delay_alu instid0(VALU_DEP_1) | instskip(NEXT) | instid1(VALU_DEP_1)
	v_add_co_u32 v20, s14, v4, v29
	v_add_co_ci_u32_e64 v21, s14, 0, v2, s14
	flat_load_b32 v20, v[20:21]
.LBB839_33:
	s_or_b32 exec_lo, exec_lo, s15
	v_or_b32_e32 v21, 0xd00, v0
	s_delay_alu instid0(VALU_DEP_1) | instskip(SKIP_1) | instid1(VALU_DEP_2)
	v_cmp_gt_u32_e64 s14, s26, v21
	v_lshlrev_b32_e32 v30, 2, v21
                                        ; implicit-def: $vgpr21
	s_and_saveexec_b32 s16, s14
	s_cbranch_execz .LBB839_35
; %bb.34:
	s_delay_alu instid0(VALU_DEP_1) | instskip(NEXT) | instid1(VALU_DEP_1)
	v_add_co_u32 v21, s15, v4, v30
	v_add_co_ci_u32_e64 v22, s15, 0, v2, s15
	flat_load_b32 v21, v[21:22]
.LBB839_35:
	s_or_b32 exec_lo, exec_lo, s16
	v_or_b32_e32 v22, 0xe00, v0
	s_delay_alu instid0(VALU_DEP_1) | instskip(SKIP_1) | instid1(VALU_DEP_2)
	v_cmp_gt_u32_e64 s15, s26, v22
	v_lshlrev_b32_e32 v31, 2, v22
                                        ; implicit-def: $vgpr22
	s_and_saveexec_b32 s27, s15
	s_cbranch_execz .LBB839_37
; %bb.36:
	s_delay_alu instid0(VALU_DEP_1) | instskip(NEXT) | instid1(VALU_DEP_1)
	v_add_co_u32 v32, s16, v4, v31
	v_add_co_ci_u32_e64 v33, s16, 0, v2, s16
	flat_load_b32 v22, v[32:33]
.LBB839_37:
	s_or_b32 exec_lo, exec_lo, s27
	v_lshlrev_b32_e32 v26, 2, v0
                                        ; implicit-def: $vgpr32
	s_waitcnt vmcnt(0) lgkmcnt(0)
	ds_store_2addr_stride64_b32 v26, v5, v9 offset1:4
	ds_store_2addr_stride64_b32 v26, v10, v11 offset0:8 offset1:12
	ds_store_2addr_stride64_b32 v26, v12, v13 offset0:16 offset1:20
	;; [unrolled: 1-line block ×6, first 2 shown]
	v_mad_u32_u24 v5, v0, 56, v26
	ds_store_b32 v26, v22 offset:14336
	s_waitcnt lgkmcnt(0)
	s_barrier
	buffer_gl0_inv
	ds_load_2addr_b32 v[21:22], v5 offset1:1
	ds_load_2addr_b32 v[19:20], v5 offset0:2 offset1:3
	ds_load_2addr_b32 v[17:18], v5 offset0:4 offset1:5
	;; [unrolled: 1-line block ×6, first 2 shown]
	ds_load_b32 v63, v5 offset:56
	s_waitcnt lgkmcnt(0)
	s_barrier
	buffer_gl0_inv
	s_and_saveexec_b32 s16, vcc_lo
	s_cbranch_execnz .LBB839_61
; %bb.38:
	s_or_b32 exec_lo, exec_lo, s16
                                        ; implicit-def: $vgpr33
	s_and_saveexec_b32 s16, s0
	s_cbranch_execnz .LBB839_62
.LBB839_39:
	s_or_b32 exec_lo, exec_lo, s16
                                        ; implicit-def: $vgpr34
	s_and_saveexec_b32 s0, s1
	s_cbranch_execnz .LBB839_63
.LBB839_40:
	s_or_b32 exec_lo, exec_lo, s0
                                        ; implicit-def: $vgpr35
	s_and_saveexec_b32 s0, s4
	s_cbranch_execnz .LBB839_64
.LBB839_41:
	s_or_b32 exec_lo, exec_lo, s0
                                        ; implicit-def: $vgpr36
	s_and_saveexec_b32 s0, s5
	s_cbranch_execnz .LBB839_65
.LBB839_42:
	s_or_b32 exec_lo, exec_lo, s0
                                        ; implicit-def: $vgpr6
	s_and_saveexec_b32 s0, s6
	s_cbranch_execnz .LBB839_66
.LBB839_43:
	s_or_b32 exec_lo, exec_lo, s0
                                        ; implicit-def: $vgpr7
	s_and_saveexec_b32 s0, s7
	s_cbranch_execnz .LBB839_67
.LBB839_44:
	s_or_b32 exec_lo, exec_lo, s0
                                        ; implicit-def: $vgpr8
	s_and_saveexec_b32 s0, s8
	s_cbranch_execnz .LBB839_68
.LBB839_45:
	s_or_b32 exec_lo, exec_lo, s0
                                        ; implicit-def: $vgpr23
	s_and_saveexec_b32 s0, s9
	s_cbranch_execnz .LBB839_69
.LBB839_46:
	s_or_b32 exec_lo, exec_lo, s0
                                        ; implicit-def: $vgpr24
	s_and_saveexec_b32 s0, s10
	s_cbranch_execnz .LBB839_70
.LBB839_47:
	s_or_b32 exec_lo, exec_lo, s0
                                        ; implicit-def: $vgpr25
	s_and_saveexec_b32 s0, s11
	s_cbranch_execnz .LBB839_71
.LBB839_48:
	s_or_b32 exec_lo, exec_lo, s0
                                        ; implicit-def: $vgpr27
	s_and_saveexec_b32 s0, s12
	s_cbranch_execnz .LBB839_72
.LBB839_49:
	s_or_b32 exec_lo, exec_lo, s0
                                        ; implicit-def: $vgpr28
	s_and_saveexec_b32 s0, s13
	s_cbranch_execnz .LBB839_73
.LBB839_50:
	s_or_b32 exec_lo, exec_lo, s0
                                        ; implicit-def: $vgpr29
	s_and_saveexec_b32 s0, s14
	s_cbranch_execnz .LBB839_74
.LBB839_51:
	s_or_b32 exec_lo, exec_lo, s0
                                        ; implicit-def: $vgpr30
	s_and_saveexec_b32 s0, s15
	s_cbranch_execz .LBB839_53
.LBB839_52:
	v_add_co_u32 v30, vcc_lo, v1, v31
	v_add_co_ci_u32_e32 v31, vcc_lo, 0, v3, vcc_lo
	flat_load_b32 v30, v[30:31]
.LBB839_53:
	s_or_b32 exec_lo, exec_lo, s0
	s_waitcnt vmcnt(0) lgkmcnt(0)
	ds_store_2addr_stride64_b32 v26, v32, v33 offset1:4
	ds_store_2addr_stride64_b32 v26, v34, v35 offset0:8 offset1:12
	ds_store_2addr_stride64_b32 v26, v36, v6 offset0:16 offset1:20
	;; [unrolled: 1-line block ×6, first 2 shown]
	ds_store_b32 v26, v30 offset:14336
	s_waitcnt lgkmcnt(0)
	s_barrier
.LBB839_54:
	buffer_gl0_inv
	ds_load_2addr_b32 v[35:36], v5 offset1:1
	ds_load_2addr_b32 v[33:34], v5 offset0:2 offset1:3
	ds_load_2addr_b32 v[31:32], v5 offset0:4 offset1:5
	;; [unrolled: 1-line block ×6, first 2 shown]
	ds_load_b32 v80, v5 offset:56
	s_cmp_eq_u64 s[24:25], 0
	s_waitcnt lgkmcnt(0)
	s_cselect_b32 s27, -1, 0
	s_cmp_lg_u64 s[24:25], 0
	s_barrier
	s_cselect_b32 s15, -1, 0
	s_and_b32 vcc_lo, exec_lo, s40
	buffer_gl0_inv
	s_cbranch_vccz .LBB839_60
; %bb.55:
	s_and_b32 vcc_lo, exec_lo, s15
	s_cbranch_vccz .LBB839_75
; %bb.56:
	v_add_co_u32 v5, vcc_lo, -4, v4
	v_add_co_ci_u32_e32 v6, vcc_lo, -1, v2, vcc_lo
	v_lshlrev_b32_e32 v3, 2, v0
	v_cmp_ne_u32_e32 vcc_lo, v10, v63
	v_cmp_ne_u32_e64 s0, v9, v10
	flat_load_b32 v1, v[5:6]
	v_cmp_ne_u32_e64 s1, v12, v9
	v_cmp_ne_u32_e64 s4, v11, v12
	;; [unrolled: 1-line block ×12, first 2 shown]
	s_mov_b32 s40, -1
	ds_store_b32 v3, v63
	s_waitcnt vmcnt(0) lgkmcnt(0)
	s_barrier
	buffer_gl0_inv
	s_and_saveexec_b32 s16, s3
	s_cbranch_execz .LBB839_58
; %bb.57:
	v_add_nc_u32_e32 v1, -4, v3
	ds_load_b32 v1, v1
.LBB839_58:
	s_or_b32 exec_lo, exec_lo, s16
	v_cndmask_b32_e64 v69, 0, 1, vcc_lo
	v_cndmask_b32_e64 v64, 0, 1, s0
	v_cndmask_b32_e64 v65, 0, 1, s1
	;; [unrolled: 1-line block ×13, first 2 shown]
	s_waitcnt lgkmcnt(0)
	v_cmp_ne_u32_e64 s0, v1, v21
.LBB839_59:
                                        ; implicit-def: $sgpr1
	s_branch .LBB839_87
.LBB839_60:
	s_mov_b32 s40, 0
                                        ; implicit-def: $sgpr0
                                        ; implicit-def: $vgpr69
                                        ; implicit-def: $vgpr64
                                        ; implicit-def: $vgpr65
                                        ; implicit-def: $vgpr66
                                        ; implicit-def: $vgpr67
                                        ; implicit-def: $vgpr68
                                        ; implicit-def: $vgpr70
                                        ; implicit-def: $vgpr71
                                        ; implicit-def: $vgpr72
                                        ; implicit-def: $vgpr73
                                        ; implicit-def: $vgpr74
                                        ; implicit-def: $vgpr75
                                        ; implicit-def: $vgpr76
                                        ; implicit-def: $vgpr77
                                        ; implicit-def: $sgpr1
	s_cbranch_execnz .LBB839_79
	s_branch .LBB839_87
.LBB839_61:
	v_add_co_u32 v32, vcc_lo, v1, v26
	v_add_co_ci_u32_e32 v33, vcc_lo, 0, v3, vcc_lo
	flat_load_b32 v32, v[32:33]
	s_or_b32 exec_lo, exec_lo, s16
                                        ; implicit-def: $vgpr33
	s_and_saveexec_b32 s16, s0
	s_cbranch_execz .LBB839_39
.LBB839_62:
	v_add_co_u32 v33, vcc_lo, v1, v26
	v_add_co_ci_u32_e32 v34, vcc_lo, 0, v3, vcc_lo
	flat_load_b32 v33, v[33:34] offset:1024
	s_or_b32 exec_lo, exec_lo, s16
                                        ; implicit-def: $vgpr34
	s_and_saveexec_b32 s0, s1
	s_cbranch_execz .LBB839_40
.LBB839_63:
	v_add_co_u32 v34, vcc_lo, v1, v26
	v_add_co_ci_u32_e32 v35, vcc_lo, 0, v3, vcc_lo
	flat_load_b32 v34, v[34:35] offset:2048
	s_or_b32 exec_lo, exec_lo, s0
                                        ; implicit-def: $vgpr35
	s_and_saveexec_b32 s0, s4
	s_cbranch_execz .LBB839_41
.LBB839_64:
	v_add_co_u32 v35, vcc_lo, v1, v26
	v_add_co_ci_u32_e32 v36, vcc_lo, 0, v3, vcc_lo
	flat_load_b32 v35, v[35:36] offset:3072
	s_or_b32 exec_lo, exec_lo, s0
                                        ; implicit-def: $vgpr36
	s_and_saveexec_b32 s0, s5
	s_cbranch_execz .LBB839_42
.LBB839_65:
	v_add_co_u32 v36, vcc_lo, v1, v6
	v_add_co_ci_u32_e32 v37, vcc_lo, 0, v3, vcc_lo
	flat_load_b32 v36, v[36:37]
	s_or_b32 exec_lo, exec_lo, s0
                                        ; implicit-def: $vgpr6
	s_and_saveexec_b32 s0, s6
	s_cbranch_execz .LBB839_43
.LBB839_66:
	v_add_co_u32 v6, vcc_lo, v1, v7
	v_add_co_ci_u32_e32 v7, vcc_lo, 0, v3, vcc_lo
	flat_load_b32 v6, v[6:7]
	s_or_b32 exec_lo, exec_lo, s0
                                        ; implicit-def: $vgpr7
	s_and_saveexec_b32 s0, s7
	s_cbranch_execz .LBB839_44
.LBB839_67:
	v_add_co_u32 v7, vcc_lo, v1, v8
	v_add_co_ci_u32_e32 v8, vcc_lo, 0, v3, vcc_lo
	flat_load_b32 v7, v[7:8]
	s_or_b32 exec_lo, exec_lo, s0
                                        ; implicit-def: $vgpr8
	s_and_saveexec_b32 s0, s8
	s_cbranch_execz .LBB839_45
.LBB839_68:
	v_add_co_u32 v37, vcc_lo, v1, v23
	v_add_co_ci_u32_e32 v38, vcc_lo, 0, v3, vcc_lo
	flat_load_b32 v8, v[37:38]
	s_or_b32 exec_lo, exec_lo, s0
                                        ; implicit-def: $vgpr23
	s_and_saveexec_b32 s0, s9
	s_cbranch_execz .LBB839_46
.LBB839_69:
	v_add_co_u32 v23, vcc_lo, v1, v24
	v_add_co_ci_u32_e32 v24, vcc_lo, 0, v3, vcc_lo
	flat_load_b32 v23, v[23:24]
	s_or_b32 exec_lo, exec_lo, s0
                                        ; implicit-def: $vgpr24
	s_and_saveexec_b32 s0, s10
	s_cbranch_execz .LBB839_47
.LBB839_70:
	v_add_co_u32 v24, vcc_lo, v1, v25
	v_add_co_ci_u32_e32 v25, vcc_lo, 0, v3, vcc_lo
	flat_load_b32 v24, v[24:25]
	s_or_b32 exec_lo, exec_lo, s0
                                        ; implicit-def: $vgpr25
	s_and_saveexec_b32 s0, s11
	s_cbranch_execz .LBB839_48
.LBB839_71:
	v_add_co_u32 v37, vcc_lo, v1, v27
	v_add_co_ci_u32_e32 v38, vcc_lo, 0, v3, vcc_lo
	flat_load_b32 v25, v[37:38]
	s_or_b32 exec_lo, exec_lo, s0
                                        ; implicit-def: $vgpr27
	s_and_saveexec_b32 s0, s12
	s_cbranch_execz .LBB839_49
.LBB839_72:
	v_add_co_u32 v27, vcc_lo, v1, v28
	v_add_co_ci_u32_e32 v28, vcc_lo, 0, v3, vcc_lo
	flat_load_b32 v27, v[27:28]
	s_or_b32 exec_lo, exec_lo, s0
                                        ; implicit-def: $vgpr28
	s_and_saveexec_b32 s0, s13
	s_cbranch_execz .LBB839_50
.LBB839_73:
	v_add_co_u32 v28, vcc_lo, v1, v29
	v_add_co_ci_u32_e32 v29, vcc_lo, 0, v3, vcc_lo
	flat_load_b32 v28, v[28:29]
	s_or_b32 exec_lo, exec_lo, s0
                                        ; implicit-def: $vgpr29
	s_and_saveexec_b32 s0, s14
	s_cbranch_execz .LBB839_51
.LBB839_74:
	v_add_co_u32 v29, vcc_lo, v1, v30
	v_add_co_ci_u32_e32 v30, vcc_lo, 0, v3, vcc_lo
	flat_load_b32 v29, v[29:30]
	s_or_b32 exec_lo, exec_lo, s0
                                        ; implicit-def: $vgpr30
	s_and_saveexec_b32 s0, s15
	s_cbranch_execnz .LBB839_52
	s_branch .LBB839_53
.LBB839_75:
	s_mov_b32 s40, 0
                                        ; implicit-def: $sgpr0
                                        ; implicit-def: $vgpr69
                                        ; implicit-def: $vgpr64
                                        ; implicit-def: $vgpr65
                                        ; implicit-def: $vgpr66
                                        ; implicit-def: $vgpr67
                                        ; implicit-def: $vgpr68
                                        ; implicit-def: $vgpr70
                                        ; implicit-def: $vgpr71
                                        ; implicit-def: $vgpr72
                                        ; implicit-def: $vgpr73
                                        ; implicit-def: $vgpr74
                                        ; implicit-def: $vgpr75
                                        ; implicit-def: $vgpr76
                                        ; implicit-def: $vgpr77
	s_cbranch_execz .LBB839_59
; %bb.76:
	v_cmp_ne_u32_e32 vcc_lo, v10, v63
	v_lshlrev_b32_e32 v1, 2, v0
                                        ; implicit-def: $sgpr0
	v_cndmask_b32_e64 v69, 0, 1, vcc_lo
	v_cmp_ne_u32_e32 vcc_lo, v9, v10
	ds_store_b32 v1, v63
	s_waitcnt lgkmcnt(0)
	s_barrier
	buffer_gl0_inv
	v_cndmask_b32_e64 v64, 0, 1, vcc_lo
	v_cmp_ne_u32_e32 vcc_lo, v12, v9
	v_cndmask_b32_e64 v65, 0, 1, vcc_lo
	v_cmp_ne_u32_e32 vcc_lo, v11, v12
	;; [unrolled: 2-line block ×12, first 2 shown]
	v_cndmask_b32_e64 v77, 0, 1, vcc_lo
	s_and_saveexec_b32 s1, s3
	s_delay_alu instid0(SALU_CYCLE_1)
	s_xor_b32 s1, exec_lo, s1
	s_cbranch_execz .LBB839_78
; %bb.77:
	v_add_nc_u32_e32 v1, -4, v1
	s_or_b32 s40, s40, exec_lo
	ds_load_b32 v1, v1
	s_waitcnt lgkmcnt(0)
	v_cmp_ne_u32_e32 vcc_lo, v1, v21
	s_and_b32 s0, vcc_lo, exec_lo
.LBB839_78:
	s_or_b32 exec_lo, exec_lo, s1
	s_mov_b32 s1, 1
	s_branch .LBB839_87
.LBB839_79:
	s_mul_hi_u32 s0, s24, 0xfffff100
	s_mul_i32 s1, s25, 0xfffff100
	s_sub_i32 s0, s0, s24
	s_mul_i32 s4, s24, 0xfffff100
	s_add_i32 s0, s0, s1
	s_add_u32 s24, s4, s36
	s_addc_u32 s25, s0, s37
	s_and_b32 vcc_lo, exec_lo, s15
	v_cmp_ne_u32_e64 s14, v10, v63
	v_cmp_ne_u32_e64 s15, v9, v10
	v_cmp_ne_u32_e64 s13, v12, v9
	v_cmp_ne_u32_e64 s12, v11, v12
	v_cmp_ne_u32_e64 s8, v14, v11
	v_cmp_ne_u32_e64 s9, v13, v14
	v_cmp_ne_u32_e64 s10, v16, v13
	v_cmp_ne_u32_e64 s11, v15, v16
	v_cmp_ne_u32_e64 s0, v18, v15
	v_cmp_ne_u32_e64 s1, v17, v18
	v_cmp_ne_u32_e64 s4, v20, v17
	v_cmp_ne_u32_e64 s5, v19, v20
	v_cmp_ne_u32_e64 s6, v22, v19
	v_cmp_ne_u32_e64 s7, v21, v22
	v_mad_u32_u24 v1, v0, 15, 14
	v_mad_u32_u24 v55, v0, 15, 13
	;; [unrolled: 1-line block ×14, first 2 shown]
	s_cbranch_vccz .LBB839_84
; %bb.80:
	v_add_co_u32 v56, vcc_lo, -4, v4
	v_add_co_ci_u32_e32 v57, vcc_lo, -1, v2, vcc_lo
	v_mov_b32_e32 v2, 0
	s_mov_b32 s40, -1
	s_mov_b32 s36, 0
	flat_load_b32 v58, v[56:57]
	v_lshlrev_b32_e32 v57, 2, v0
	v_cmp_gt_u64_e32 vcc_lo, s[24:25], v[1:2]
	v_mov_b32_e32 v56, v2
	v_mov_b32_e32 v54, v2
	;; [unrolled: 1-line block ×5, first 2 shown]
	v_cmp_gt_u64_e64 s16, s[24:25], v[55:56]
	s_and_b32 s37, vcc_lo, s14
	v_cmp_gt_u64_e32 vcc_lo, s[24:25], v[53:54]
	v_mov_b32_e32 v46, v2
	v_mov_b32_e32 v44, v2
	v_cmp_gt_u64_e64 s14, s[24:25], v[51:52]
	s_and_b32 s41, s16, s15
	v_mov_b32_e32 v42, v2
	s_and_b32 s42, vcc_lo, s13
	v_cmp_gt_u64_e32 vcc_lo, s[24:25], v[49:50]
	v_cmp_gt_u64_e64 s13, s[24:25], v[47:48]
	v_cmp_gt_u64_e64 s15, s[24:25], v[45:46]
	;; [unrolled: 1-line block ×3, first 2 shown]
	v_mov_b32_e32 v40, v2
	v_mov_b32_e32 v38, v2
	;; [unrolled: 1-line block ×5, first 2 shown]
	s_and_b32 s14, s14, s12
	s_and_b32 s43, vcc_lo, s8
	s_and_b32 s13, s13, s9
	s_and_b32 s15, s15, s10
	;; [unrolled: 1-line block ×3, first 2 shown]
	v_cmp_gt_u64_e32 vcc_lo, s[24:25], v[41:42]
	v_cmp_gt_u64_e64 s8, s[24:25], v[39:40]
	v_cmp_gt_u64_e64 s9, s[24:25], v[37:38]
	;; [unrolled: 1-line block ×5, first 2 shown]
	v_mul_u32_u24_e32 v56, 15, v0
	s_and_b32 s0, vcc_lo, s0
	s_and_b32 s8, s8, s1
	s_and_b32 s9, s9, s4
	s_and_b32 s5, s10, s5
	s_and_b32 s1, s11, s6
	s_and_b32 s4, s12, s7
	ds_store_b32 v57, v63
	s_waitcnt vmcnt(0) lgkmcnt(0)
	s_barrier
	buffer_gl0_inv
	s_and_saveexec_b32 s6, s3
	s_cbranch_execz .LBB839_82
; %bb.81:
	v_add_nc_u32_e32 v4, -4, v57
	ds_load_b32 v58, v4
.LBB839_82:
	s_or_b32 exec_lo, exec_lo, s6
	v_mov_b32_e32 v57, v2
	v_cndmask_b32_e64 v72, 0, 1, s0
	s_waitcnt lgkmcnt(0)
	v_cmp_ne_u32_e64 s0, v58, v21
	v_cndmask_b32_e64 v69, 0, 1, s37
	v_cndmask_b32_e64 v64, 0, 1, s41
	v_cmp_gt_u64_e32 vcc_lo, s[24:25], v[56:57]
	v_cndmask_b32_e64 v65, 0, 1, s42
	v_cndmask_b32_e64 v66, 0, 1, s14
	;; [unrolled: 1-line block ×11, first 2 shown]
	s_and_b32 s0, vcc_lo, s0
	s_and_b32 vcc_lo, exec_lo, s36
	s_cbranch_vccnz .LBB839_85
.LBB839_83:
                                        ; implicit-def: $sgpr1
	v_mov_b32_e32 v78, s1
	s_and_saveexec_b32 s1, s40
	s_cbranch_execnz .LBB839_88
	s_branch .LBB839_89
.LBB839_84:
                                        ; implicit-def: $sgpr0
                                        ; implicit-def: $vgpr69
                                        ; implicit-def: $vgpr64
                                        ; implicit-def: $vgpr65
                                        ; implicit-def: $vgpr66
                                        ; implicit-def: $vgpr67
                                        ; implicit-def: $vgpr68
                                        ; implicit-def: $vgpr70
                                        ; implicit-def: $vgpr71
                                        ; implicit-def: $vgpr72
                                        ; implicit-def: $vgpr73
                                        ; implicit-def: $vgpr74
                                        ; implicit-def: $vgpr75
                                        ; implicit-def: $vgpr76
                                        ; implicit-def: $vgpr77
	s_cbranch_execz .LBB839_83
.LBB839_85:
	v_dual_mov_b32 v2, 0 :: v_dual_lshlrev_b32 v57, 2, v0
	v_cmp_ne_u32_e64 s1, v12, v9
	v_cmp_ne_u32_e32 vcc_lo, v10, v63
	v_cmp_ne_u32_e64 s0, v9, v10
	s_delay_alu instid0(VALU_DEP_4)
	v_mov_b32_e32 v54, v2
	v_mov_b32_e32 v56, v2
	v_cmp_gt_u64_e64 s4, s[24:25], v[1:2]
	v_mov_b32_e32 v50, v2
	v_mov_b32_e32 v52, v2
	v_cmp_gt_u64_e64 s6, s[24:25], v[53:54]
	v_cmp_gt_u64_e64 s5, s[24:25], v[55:56]
	v_mov_b32_e32 v48, v2
	s_and_b32 s4, s4, vcc_lo
	v_cmp_gt_u64_e32 vcc_lo, s[24:25], v[51:52]
	v_cndmask_b32_e64 v69, 0, 1, s4
	s_and_b32 s1, s6, s1
	s_and_b32 s0, s5, s0
	v_cndmask_b32_e64 v65, 0, 1, s1
	v_cmp_gt_u64_e64 s1, s[24:25], v[49:50]
	v_cmp_ne_u32_e64 s4, v14, v11
	v_cndmask_b32_e64 v64, 0, 1, s0
	v_cmp_ne_u32_e64 s0, v11, v12
	v_mov_b32_e32 v46, v2
	v_mov_b32_e32 v44, v2
	s_and_b32 s1, s1, s4
	v_cmp_ne_u32_e64 s4, v16, v13
	s_and_b32 s0, vcc_lo, s0
	v_cmp_gt_u64_e32 vcc_lo, s[24:25], v[47:48]
	v_cndmask_b32_e64 v67, 0, 1, s1
	v_cmp_gt_u64_e64 s1, s[24:25], v[45:46]
	v_cndmask_b32_e64 v66, 0, 1, s0
	v_cmp_ne_u32_e64 s0, v13, v14
	v_mov_b32_e32 v42, v2
	v_mov_b32_e32 v40, v2
	;; [unrolled: 1-line block ×3, first 2 shown]
	s_and_b32 s1, s1, s4
	s_and_b32 s0, vcc_lo, s0
	v_cmp_gt_u64_e32 vcc_lo, s[24:25], v[43:44]
	v_cndmask_b32_e64 v68, 0, 1, s0
	v_cmp_ne_u32_e64 s0, v15, v16
	v_cndmask_b32_e64 v70, 0, 1, s1
	v_cmp_gt_u64_e64 s1, s[24:25], v[41:42]
	v_cmp_ne_u32_e64 s4, v18, v15
	v_mov_b32_e32 v8, v2
	s_and_b32 s0, vcc_lo, s0
	v_cmp_gt_u64_e32 vcc_lo, s[24:25], v[39:40]
	v_cndmask_b32_e64 v71, 0, 1, s0
	s_and_b32 s1, s1, s4
	v_cmp_ne_u32_e64 s0, v17, v18
	v_cndmask_b32_e64 v72, 0, 1, s1
	v_cmp_gt_u64_e64 s1, s[24:25], v[37:38]
	v_cmp_ne_u32_e64 s4, v20, v17
	v_mov_b32_e32 v6, v2
	s_and_b32 s0, vcc_lo, s0
	v_mov_b32_e32 v4, v2
	v_cndmask_b32_e64 v73, 0, 1, s0
	s_and_b32 s0, s1, s4
	v_cmp_gt_u64_e32 vcc_lo, s[24:25], v[7:8]
	v_cndmask_b32_e64 v74, 0, 1, s0
	v_cmp_ne_u32_e64 s0, v19, v20
	v_cmp_gt_u64_e64 s1, s[24:25], v[5:6]
	v_cmp_ne_u32_e64 s4, v22, v19
	v_cmp_gt_u64_e64 s5, s[24:25], v[3:4]
	v_cmp_ne_u32_e64 s6, v21, v22
	s_and_b32 s0, vcc_lo, s0
	ds_store_b32 v57, v63
	v_cndmask_b32_e64 v75, 0, 1, s0
	s_and_b32 s0, s1, s4
	s_mov_b32 s1, 1
	v_cndmask_b32_e64 v76, 0, 1, s0
	s_and_b32 s0, s5, s6
	s_waitcnt lgkmcnt(0)
	v_cndmask_b32_e64 v77, 0, 1, s0
	s_barrier
	buffer_gl0_inv
                                        ; implicit-def: $sgpr0
	s_and_saveexec_b32 s4, s3
	s_cbranch_execz .LBB839_167
; %bb.86:
	v_add_nc_u32_e32 v1, -4, v57
	s_or_b32 s40, s40, exec_lo
	ds_load_b32 v3, v1
	v_mul_u32_u24_e32 v1, 15, v0
	s_delay_alu instid0(VALU_DEP_1) | instskip(SKIP_2) | instid1(VALU_DEP_1)
	v_cmp_gt_u64_e32 vcc_lo, s[24:25], v[1:2]
	s_waitcnt lgkmcnt(0)
	v_cmp_ne_u32_e64 s0, v3, v21
	s_and_b32 s0, vcc_lo, s0
	s_delay_alu instid0(SALU_CYCLE_1)
	s_and_b32 s0, s0, exec_lo
	s_or_b32 exec_lo, exec_lo, s4
.LBB839_87:
	v_mov_b32_e32 v78, s1
	s_and_saveexec_b32 s1, s40
.LBB839_88:
	s_delay_alu instid0(VALU_DEP_2)
	v_cndmask_b32_e64 v78, 0, 1, s0
.LBB839_89:
	s_or_b32 exec_lo, exec_lo, s1
	s_delay_alu instid0(VALU_DEP_1)
	v_add3_u32 v1, v77, v78, v76
	v_cmp_eq_u32_e64 s13, 0, v77
	v_cmp_eq_u32_e64 s12, 0, v76
	;; [unrolled: 1-line block ×4, first 2 shown]
	v_add3_u32 v84, v1, v75, v74
	v_cmp_eq_u32_e64 s9, 0, v73
	v_cmp_eq_u32_e64 s8, 0, v72
	v_cmp_eq_u32_e64 s7, 0, v71
	v_cmp_eq_u32_e64 s6, 0, v70
	v_cmp_eq_u32_e64 s5, 0, v68
	v_cmp_eq_u32_e64 s4, 0, v67
	v_cmp_eq_u32_e64 s3, 0, v66
	v_cmp_eq_u32_e64 s1, 0, v65
	v_cmp_eq_u32_e64 s0, 0, v64
	v_cmp_eq_u32_e32 vcc_lo, 0, v69
	v_mbcnt_lo_u32_b32 v81, -1, 0
	v_lshrrev_b32_e32 v82, 5, v0
	v_or_b32_e32 v83, 31, v0
	s_cmp_eq_u64 s[22:23], 0
	s_cselect_b32 s16, -1, 0
	s_cmp_lg_u32 s33, 0
	s_cbranch_scc0 .LBB839_115
; %bb.90:
	v_cndmask_b32_e64 v1, 0, v35, s13
	v_add3_u32 v2, v84, v73, v72
	s_delay_alu instid0(VALU_DEP_2) | instskip(NEXT) | instid1(VALU_DEP_2)
	v_add_nc_u32_e32 v1, v1, v36
	v_add3_u32 v2, v2, v71, v70
	s_delay_alu instid0(VALU_DEP_2) | instskip(NEXT) | instid1(VALU_DEP_2)
	v_cndmask_b32_e64 v1, 0, v1, s12
	v_add3_u32 v2, v2, v68, v67
	s_delay_alu instid0(VALU_DEP_2) | instskip(NEXT) | instid1(VALU_DEP_2)
	v_add_nc_u32_e32 v1, v1, v33
	v_add3_u32 v2, v2, v66, v65
	s_delay_alu instid0(VALU_DEP_2) | instskip(NEXT) | instid1(VALU_DEP_2)
	v_cndmask_b32_e64 v1, 0, v1, s11
	v_add3_u32 v2, v2, v64, v69
	s_delay_alu instid0(VALU_DEP_2) | instskip(NEXT) | instid1(VALU_DEP_2)
	v_add_nc_u32_e32 v1, v1, v34
	v_mov_b32_dpp v5, v2 row_shr:1 row_mask:0xf bank_mask:0xf
	s_delay_alu instid0(VALU_DEP_2) | instskip(NEXT) | instid1(VALU_DEP_1)
	v_cndmask_b32_e64 v1, 0, v1, s10
	v_add_nc_u32_e32 v1, v1, v31
	s_delay_alu instid0(VALU_DEP_1) | instskip(NEXT) | instid1(VALU_DEP_1)
	v_cndmask_b32_e64 v1, 0, v1, s9
	v_add_nc_u32_e32 v1, v1, v32
	s_delay_alu instid0(VALU_DEP_1) | instskip(NEXT) | instid1(VALU_DEP_1)
	;; [unrolled: 3-line block ×9, first 2 shown]
	v_cndmask_b32_e64 v1, 0, v1, s0
	v_add_nc_u32_e32 v1, v1, v24
	s_delay_alu instid0(VALU_DEP_1) | instskip(SKIP_1) | instid1(VALU_DEP_2)
	v_cndmask_b32_e32 v1, 0, v1, vcc_lo
	v_cmp_eq_u32_e32 vcc_lo, 0, v2
	v_add_nc_u32_e32 v1, v1, v80
	s_delay_alu instid0(VALU_DEP_1) | instskip(NEXT) | instid1(VALU_DEP_1)
	v_mov_b32_dpp v3, v1 row_shr:1 row_mask:0xf bank_mask:0xf
	v_dual_cndmask_b32 v3, 0, v3 :: v_dual_and_b32 v4, 15, v81
	s_delay_alu instid0(VALU_DEP_1) | instskip(SKIP_2) | instid1(VALU_DEP_4)
	v_cmp_eq_u32_e32 vcc_lo, 0, v4
	v_cmp_lt_u32_e64 s14, 1, v4
	v_cndmask_b32_e64 v5, v5, 0, vcc_lo
	v_cndmask_b32_e64 v3, v3, 0, vcc_lo
	s_delay_alu instid0(VALU_DEP_2) | instskip(NEXT) | instid1(VALU_DEP_2)
	v_add_nc_u32_e32 v2, v5, v2
	v_add_nc_u32_e32 v1, v3, v1
	s_delay_alu instid0(VALU_DEP_2) | instskip(SKIP_1) | instid1(VALU_DEP_3)
	v_mov_b32_dpp v3, v2 row_shr:2 row_mask:0xf bank_mask:0xf
	v_cmp_eq_u32_e32 vcc_lo, 0, v2
	v_mov_b32_dpp v5, v1 row_shr:2 row_mask:0xf bank_mask:0xf
	s_delay_alu instid0(VALU_DEP_3) | instskip(SKIP_2) | instid1(VALU_DEP_2)
	v_cndmask_b32_e64 v3, 0, v3, s14
	s_and_b32 vcc_lo, s14, vcc_lo
	v_cmp_lt_u32_e64 s14, 3, v4
	v_dual_cndmask_b32 v5, 0, v5 :: v_dual_add_nc_u32 v2, v2, v3
	s_delay_alu instid0(VALU_DEP_1) | instskip(NEXT) | instid1(VALU_DEP_2)
	v_add_nc_u32_e32 v1, v5, v1
	v_mov_b32_dpp v3, v2 row_shr:4 row_mask:0xf bank_mask:0xf
	v_cmp_eq_u32_e32 vcc_lo, 0, v2
	s_delay_alu instid0(VALU_DEP_3) | instskip(NEXT) | instid1(VALU_DEP_3)
	v_mov_b32_dpp v5, v1 row_shr:4 row_mask:0xf bank_mask:0xf
	v_cndmask_b32_e64 v3, 0, v3, s14
	s_and_b32 vcc_lo, s14, vcc_lo
	v_cmp_lt_u32_e64 s14, 7, v4
	s_delay_alu instid0(VALU_DEP_2) | instskip(NEXT) | instid1(VALU_DEP_1)
	v_dual_cndmask_b32 v5, 0, v5 :: v_dual_add_nc_u32 v2, v3, v2
	v_add_nc_u32_e32 v1, v1, v5
	v_bfe_i32 v5, v81, 4, 1
	s_delay_alu instid0(VALU_DEP_3) | instskip(SKIP_1) | instid1(VALU_DEP_4)
	v_cmp_eq_u32_e32 vcc_lo, 0, v2
	v_mov_b32_dpp v3, v2 row_shr:8 row_mask:0xf bank_mask:0xf
	v_mov_b32_dpp v4, v1 row_shr:8 row_mask:0xf bank_mask:0xf
	s_and_b32 vcc_lo, s14, vcc_lo
	s_delay_alu instid0(VALU_DEP_2) | instskip(SKIP_1) | instid1(VALU_DEP_2)
	v_cndmask_b32_e64 v3, 0, v3, s14
	s_mov_b32 s14, exec_lo
	v_cndmask_b32_e32 v4, 0, v4, vcc_lo
	s_delay_alu instid0(VALU_DEP_1) | instskip(NEXT) | instid1(VALU_DEP_3)
	v_add_nc_u32_e32 v4, v4, v1
	v_add_nc_u32_e32 v1, v3, v2
	ds_swizzle_b32 v2, v4 offset:swizzle(BROADCAST,32,15)
	ds_swizzle_b32 v3, v1 offset:swizzle(BROADCAST,32,15)
	v_cmp_eq_u32_e32 vcc_lo, 0, v1
	s_waitcnt lgkmcnt(0)
	v_dual_cndmask_b32 v2, 0, v2 :: v_dual_and_b32 v3, v5, v3
	s_delay_alu instid0(VALU_DEP_1) | instskip(NEXT) | instid1(VALU_DEP_2)
	v_and_b32_e32 v2, v5, v2
	v_add_nc_u32_e32 v1, v3, v1
	v_lshlrev_b32_e32 v3, 3, v82
	s_delay_alu instid0(VALU_DEP_3)
	v_add_nc_u32_e32 v2, v2, v4
	v_cmpx_eq_u32_e64 v83, v0
	s_cbranch_execz .LBB839_92
; %bb.91:
	ds_store_b64 v3, v[1:2] offset:2064
.LBB839_92:
	s_or_b32 exec_lo, exec_lo, s14
	s_delay_alu instid0(SALU_CYCLE_1)
	s_mov_b32 s15, exec_lo
	s_waitcnt lgkmcnt(0)
	s_barrier
	buffer_gl0_inv
	v_cmpx_gt_u32_e32 8, v0
	s_cbranch_execz .LBB839_94
; %bb.93:
	v_lshlrev_b32_e32 v6, 3, v0
	v_and_b32_e32 v8, 7, v81
	ds_load_b64 v[4:5], v6 offset:2064
	v_cmp_lt_u32_e64 s14, 1, v8
	s_waitcnt lgkmcnt(0)
	v_mov_b32_dpp v7, v5 row_shr:1 row_mask:0xf bank_mask:0xf
	v_cmp_eq_u32_e32 vcc_lo, 0, v4
	v_mov_b32_dpp v37, v4 row_shr:1 row_mask:0xf bank_mask:0xf
	s_delay_alu instid0(VALU_DEP_3) | instskip(SKIP_1) | instid1(VALU_DEP_3)
	v_cndmask_b32_e32 v7, 0, v7, vcc_lo
	v_cmp_eq_u32_e32 vcc_lo, 0, v8
	v_cndmask_b32_e64 v37, v37, 0, vcc_lo
	s_delay_alu instid0(VALU_DEP_3) | instskip(NEXT) | instid1(VALU_DEP_2)
	v_cndmask_b32_e64 v7, v7, 0, vcc_lo
	v_add_nc_u32_e32 v4, v37, v4
	s_delay_alu instid0(VALU_DEP_2) | instskip(NEXT) | instid1(VALU_DEP_2)
	v_add_nc_u32_e32 v5, v7, v5
	v_cmp_eq_u32_e32 vcc_lo, 0, v4
	s_delay_alu instid0(VALU_DEP_2) | instskip(SKIP_1) | instid1(VALU_DEP_1)
	v_mov_b32_dpp v37, v5 row_shr:2 row_mask:0xf bank_mask:0xf
	s_and_b32 vcc_lo, s14, vcc_lo
	v_cndmask_b32_e32 v37, 0, v37, vcc_lo
	v_mov_b32_dpp v7, v4 row_shr:2 row_mask:0xf bank_mask:0xf
	s_delay_alu instid0(VALU_DEP_2) | instskip(NEXT) | instid1(VALU_DEP_2)
	v_add_nc_u32_e32 v5, v37, v5
	v_cndmask_b32_e64 v7, 0, v7, s14
	v_cmp_lt_u32_e64 s14, 3, v8
	s_delay_alu instid0(VALU_DEP_3) | instskip(NEXT) | instid1(VALU_DEP_3)
	v_mov_b32_dpp v8, v5 row_shr:4 row_mask:0xf bank_mask:0xf
	v_add_nc_u32_e32 v4, v7, v4
	s_delay_alu instid0(VALU_DEP_1) | instskip(SKIP_2) | instid1(VALU_DEP_1)
	v_cmp_eq_u32_e32 vcc_lo, 0, v4
	v_mov_b32_dpp v7, v4 row_shr:4 row_mask:0xf bank_mask:0xf
	s_and_b32 vcc_lo, s14, vcc_lo
	v_cndmask_b32_e64 v7, 0, v7, s14
	v_cndmask_b32_e32 v8, 0, v8, vcc_lo
	s_delay_alu instid0(VALU_DEP_2) | instskip(NEXT) | instid1(VALU_DEP_2)
	v_add_nc_u32_e32 v4, v7, v4
	v_add_nc_u32_e32 v5, v8, v5
	ds_store_b64 v6, v[4:5] offset:2064
.LBB839_94:
	s_or_b32 exec_lo, exec_lo, s15
	v_cmp_gt_u32_e32 vcc_lo, 32, v0
	v_dual_mov_b32 v37, 0 :: v_dual_mov_b32 v38, 0
	s_mov_b32 s15, exec_lo
	s_waitcnt lgkmcnt(0)
	s_barrier
	buffer_gl0_inv
	v_cmpx_lt_u32_e32 31, v0
	s_cbranch_execz .LBB839_96
; %bb.95:
	ds_load_b64 v[37:38], v3 offset:2056
	v_cmp_eq_u32_e64 s14, 0, v1
	s_waitcnt lgkmcnt(0)
	s_delay_alu instid0(VALU_DEP_1) | instskip(SKIP_1) | instid1(VALU_DEP_2)
	v_cndmask_b32_e64 v3, 0, v38, s14
	v_add_nc_u32_e32 v1, v37, v1
	v_add_nc_u32_e32 v2, v3, v2
.LBB839_96:
	s_or_b32 exec_lo, exec_lo, s15
	v_add_nc_u32_e32 v3, -1, v81
	s_delay_alu instid0(VALU_DEP_1) | instskip(NEXT) | instid1(VALU_DEP_1)
	v_cmp_gt_i32_e64 s14, 0, v3
	v_cndmask_b32_e64 v3, v3, v81, s14
	v_cmp_eq_u32_e64 s14, 0, v81
	s_delay_alu instid0(VALU_DEP_2)
	v_lshlrev_b32_e32 v3, 2, v3
	ds_bpermute_b32 v43, v3, v1
	ds_bpermute_b32 v44, v3, v2
	s_and_saveexec_b32 s22, vcc_lo
	s_cbranch_execz .LBB839_114
; %bb.97:
	v_mov_b32_e32 v4, 0
	ds_load_b64 v[1:2], v4 offset:2120
	s_waitcnt lgkmcnt(0)
	v_readfirstlane_b32 s23, v2
	s_and_saveexec_b32 s15, s14
	s_cbranch_execz .LBB839_99
; %bb.98:
	s_add_i32 s24, s33, 32
	s_mov_b32 s25, 0
	v_mov_b32_e32 v3, 1
	s_lshl_b64 s[36:37], s[24:25], 4
	s_mov_b32 s40, s25
	s_add_u32 s36, s20, s36
	s_addc_u32 s37, s21, s37
	s_and_b32 s41, s23, 0xff000000
	s_and_b32 s43, s23, 0xff0000
	s_mov_b32 s42, s25
	v_dual_mov_b32 v5, s36 :: v_dual_mov_b32 v6, s37
	s_or_b64 s[40:41], s[42:43], s[40:41]
	s_and_b32 s43, s23, 0xff00
	s_delay_alu instid0(SALU_CYCLE_1) | instskip(SKIP_1) | instid1(SALU_CYCLE_1)
	s_or_b64 s[40:41], s[40:41], s[42:43]
	s_and_b32 s43, s23, 0xff
	s_or_b64 s[24:25], s[40:41], s[42:43]
	s_delay_alu instid0(SALU_CYCLE_1)
	v_mov_b32_e32 v2, s25
	;;#ASMSTART
	global_store_dwordx4 v[5:6], v[1:4] off	
s_waitcnt vmcnt(0)
	;;#ASMEND
.LBB839_99:
	s_or_b32 exec_lo, exec_lo, s15
	v_xad_u32 v39, v81, -1, s33
	s_mov_b32 s24, 0
	s_mov_b32 s15, exec_lo
	s_delay_alu instid0(VALU_DEP_1) | instskip(NEXT) | instid1(VALU_DEP_1)
	v_add_nc_u32_e32 v3, 32, v39
	v_lshlrev_b64 v[2:3], 4, v[3:4]
	s_delay_alu instid0(VALU_DEP_1) | instskip(NEXT) | instid1(VALU_DEP_2)
	v_add_co_u32 v2, vcc_lo, s20, v2
	v_add_co_ci_u32_e32 v3, vcc_lo, s21, v3, vcc_lo
	;;#ASMSTART
	global_load_dwordx4 v[5:8], v[2:3] off glc	
s_waitcnt vmcnt(0)
	;;#ASMEND
	v_and_b32_e32 v4, 0xff, v6
	v_and_b32_e32 v8, 0xff00, v6
	;; [unrolled: 1-line block ×3, first 2 shown]
	v_or3_b32 v5, v5, 0, 0
	v_and_b32_e32 v6, 0xff000000, v6
	s_delay_alu instid0(VALU_DEP_4) | instskip(SKIP_1) | instid1(VALU_DEP_4)
	v_or3_b32 v4, 0, v4, v8
	v_and_b32_e32 v8, 0xff, v7
	v_or3_b32 v5, v5, 0, 0
	s_delay_alu instid0(VALU_DEP_3) | instskip(NEXT) | instid1(VALU_DEP_3)
	v_or3_b32 v6, v4, v40, v6
	v_cmpx_eq_u16_e32 0, v8
	s_cbranch_execz .LBB839_102
.LBB839_100:                            ; =>This Inner Loop Header: Depth=1
	;;#ASMSTART
	global_load_dwordx4 v[5:8], v[2:3] off glc	
s_waitcnt vmcnt(0)
	;;#ASMEND
	v_and_b32_e32 v4, 0xff, v7
	s_delay_alu instid0(VALU_DEP_1) | instskip(SKIP_1) | instid1(SALU_CYCLE_1)
	v_cmp_ne_u16_e32 vcc_lo, 0, v4
	s_or_b32 s24, vcc_lo, s24
	s_and_not1_b32 exec_lo, exec_lo, s24
	s_cbranch_execnz .LBB839_100
; %bb.101:
	s_or_b32 exec_lo, exec_lo, s24
.LBB839_102:
	s_delay_alu instid0(SALU_CYCLE_1)
	s_or_b32 exec_lo, exec_lo, s15
	v_cmp_ne_u32_e32 vcc_lo, 31, v81
	v_and_b32_e32 v3, 0xff, v7
	v_lshlrev_b32_e64 v45, v81, -1
	v_add_nc_u32_e32 v47, 2, v81
	v_add_nc_u32_e32 v49, 4, v81
	v_add_co_ci_u32_e32 v2, vcc_lo, 0, v81, vcc_lo
	v_cmp_eq_u16_e32 vcc_lo, 2, v3
	v_add_nc_u32_e32 v51, 8, v81
	v_add_nc_u32_e32 v53, 16, v81
	v_and_or_b32 v8, vcc_lo, v45, 0x80000000
	v_cmp_gt_u32_e32 vcc_lo, 30, v81
	s_delay_alu instid0(VALU_DEP_2) | instskip(SKIP_2) | instid1(VALU_DEP_3)
	v_ctz_i32_b32_e32 v8, v8
	v_cndmask_b32_e64 v40, 0, 1, vcc_lo
	v_cmp_eq_u32_e32 vcc_lo, 0, v5
	v_cmp_lt_u32_e64 s15, v81, v8
	s_delay_alu instid0(VALU_DEP_3) | instskip(NEXT) | instid1(VALU_DEP_2)
	v_lshlrev_b32_e32 v40, 1, v40
	s_and_b32 vcc_lo, s15, vcc_lo
	v_lshlrev_b32_e32 v2, 2, v2
	s_delay_alu instid0(VALU_DEP_2)
	v_add_lshl_u32 v46, v40, v81, 2
	ds_bpermute_b32 v3, v2, v6
	s_waitcnt lgkmcnt(0)
	v_cndmask_b32_e32 v3, 0, v3, vcc_lo
	ds_bpermute_b32 v4, v2, v5
	v_cmp_gt_u32_e32 vcc_lo, 28, v81
	v_add_nc_u32_e32 v3, v3, v6
	ds_bpermute_b32 v6, v46, v3
	s_waitcnt lgkmcnt(1)
	v_cndmask_b32_e64 v4, 0, v4, s15
	s_delay_alu instid0(VALU_DEP_1) | instskip(SKIP_1) | instid1(VALU_DEP_2)
	v_add_nc_u32_e32 v4, v4, v5
	v_cndmask_b32_e64 v5, 0, 1, vcc_lo
	v_cmp_eq_u32_e32 vcc_lo, 0, v4
	ds_bpermute_b32 v40, v46, v4
	s_waitcnt lgkmcnt(1)
	v_dual_cndmask_b32 v6, 0, v6 :: v_dual_lshlrev_b32 v5, 2, v5
	v_cmp_gt_u32_e32 vcc_lo, v47, v8
	s_delay_alu instid0(VALU_DEP_2) | instskip(NEXT) | instid1(VALU_DEP_3)
	v_add_lshl_u32 v48, v5, v81, 2
	v_cndmask_b32_e64 v6, v6, 0, vcc_lo
	s_delay_alu instid0(VALU_DEP_1) | instskip(SKIP_4) | instid1(VALU_DEP_2)
	v_add_nc_u32_e32 v3, v6, v3
	ds_bpermute_b32 v5, v48, v3
	s_waitcnt lgkmcnt(1)
	v_cndmask_b32_e64 v6, v40, 0, vcc_lo
	v_cmp_gt_u32_e32 vcc_lo, 24, v81
	v_add_nc_u32_e32 v4, v4, v6
	v_cndmask_b32_e64 v40, 0, 1, vcc_lo
	ds_bpermute_b32 v6, v48, v4
	v_cmp_eq_u32_e32 vcc_lo, 0, v4
	v_lshlrev_b32_e32 v40, 3, v40
	s_delay_alu instid0(VALU_DEP_1) | instskip(SKIP_3) | instid1(VALU_DEP_2)
	v_add_lshl_u32 v50, v40, v81, 2
	s_waitcnt lgkmcnt(1)
	v_cndmask_b32_e32 v5, 0, v5, vcc_lo
	v_cmp_gt_u32_e32 vcc_lo, v49, v8
	v_cndmask_b32_e64 v5, v5, 0, vcc_lo
	s_delay_alu instid0(VALU_DEP_1)
	v_add_nc_u32_e32 v3, v3, v5
	s_waitcnt lgkmcnt(0)
	v_cndmask_b32_e64 v6, v6, 0, vcc_lo
	v_cmp_gt_u32_e32 vcc_lo, 16, v81
	ds_bpermute_b32 v5, v50, v3
	v_add_nc_u32_e32 v4, v4, v6
	v_cndmask_b32_e64 v40, 0, 1, vcc_lo
	ds_bpermute_b32 v6, v50, v4
	v_cmp_eq_u32_e32 vcc_lo, 0, v4
	v_lshlrev_b32_e32 v40, 4, v40
	s_delay_alu instid0(VALU_DEP_1) | instskip(SKIP_3) | instid1(VALU_DEP_2)
	v_add_lshl_u32 v52, v40, v81, 2
	s_waitcnt lgkmcnt(1)
	v_dual_mov_b32 v40, 0 :: v_dual_cndmask_b32 v5, 0, v5
	v_cmp_gt_u32_e32 vcc_lo, v51, v8
	v_cndmask_b32_e64 v5, v5, 0, vcc_lo
	s_delay_alu instid0(VALU_DEP_1)
	v_add_nc_u32_e32 v3, v3, v5
	s_waitcnt lgkmcnt(0)
	v_cndmask_b32_e64 v5, v6, 0, vcc_lo
	ds_bpermute_b32 v6, v52, v3
	v_add_nc_u32_e32 v4, v4, v5
	ds_bpermute_b32 v5, v52, v4
	v_cmp_eq_u32_e32 vcc_lo, 0, v4
	s_waitcnt lgkmcnt(1)
	v_cndmask_b32_e32 v6, 0, v6, vcc_lo
	v_cmp_gt_u32_e32 vcc_lo, v53, v8
	s_delay_alu instid0(VALU_DEP_2) | instskip(SKIP_2) | instid1(VALU_DEP_2)
	v_cndmask_b32_e64 v6, v6, 0, vcc_lo
	s_waitcnt lgkmcnt(0)
	v_cndmask_b32_e64 v5, v5, 0, vcc_lo
	v_add_nc_u32_e32 v6, v6, v3
	s_delay_alu instid0(VALU_DEP_2)
	v_add_nc_u32_e32 v5, v5, v4
	s_branch .LBB839_104
.LBB839_103:                            ;   in Loop: Header=BB839_104 Depth=1
	s_or_b32 exec_lo, exec_lo, s15
	v_and_b32_e32 v8, 0xff, v7
	ds_bpermute_b32 v41, v2, v5
	v_subrev_nc_u32_e32 v39, 32, v39
	v_cmp_eq_u16_e32 vcc_lo, 2, v8
	ds_bpermute_b32 v8, v2, v6
	v_and_or_b32 v42, vcc_lo, v45, 0x80000000
	v_cmp_eq_u32_e32 vcc_lo, 0, v5
	s_delay_alu instid0(VALU_DEP_2) | instskip(NEXT) | instid1(VALU_DEP_1)
	v_ctz_i32_b32_e32 v42, v42
	v_cmp_lt_u32_e64 s15, v81, v42
	s_delay_alu instid0(VALU_DEP_1) | instskip(SKIP_4) | instid1(VALU_DEP_2)
	s_and_b32 vcc_lo, s15, vcc_lo
	s_waitcnt lgkmcnt(1)
	v_cndmask_b32_e64 v41, 0, v41, s15
	s_waitcnt lgkmcnt(0)
	v_cndmask_b32_e32 v8, 0, v8, vcc_lo
	v_add_nc_u32_e32 v5, v41, v5
	s_delay_alu instid0(VALU_DEP_2)
	v_add_nc_u32_e32 v6, v8, v6
	ds_bpermute_b32 v41, v46, v5
	ds_bpermute_b32 v8, v46, v6
	v_cmp_eq_u32_e32 vcc_lo, 0, v5
	s_waitcnt lgkmcnt(0)
	v_cndmask_b32_e32 v8, 0, v8, vcc_lo
	v_cmp_gt_u32_e32 vcc_lo, v47, v42
	v_cndmask_b32_e64 v41, v41, 0, vcc_lo
	s_delay_alu instid0(VALU_DEP_1) | instskip(NEXT) | instid1(VALU_DEP_4)
	v_add_nc_u32_e32 v5, v5, v41
	v_cndmask_b32_e64 v8, v8, 0, vcc_lo
	ds_bpermute_b32 v41, v48, v5
	v_add_nc_u32_e32 v6, v8, v6
	v_cmp_eq_u32_e32 vcc_lo, 0, v5
	ds_bpermute_b32 v8, v48, v6
	s_waitcnt lgkmcnt(0)
	v_cndmask_b32_e32 v8, 0, v8, vcc_lo
	v_cmp_gt_u32_e32 vcc_lo, v49, v42
	v_cndmask_b32_e64 v41, v41, 0, vcc_lo
	s_delay_alu instid0(VALU_DEP_1) | instskip(NEXT) | instid1(VALU_DEP_4)
	v_add_nc_u32_e32 v5, v5, v41
	v_cndmask_b32_e64 v8, v8, 0, vcc_lo
	ds_bpermute_b32 v41, v50, v5
	v_add_nc_u32_e32 v6, v6, v8
	v_cmp_eq_u32_e32 vcc_lo, 0, v5
	ds_bpermute_b32 v8, v50, v6
	;; [unrolled: 11-line block ×3, first 2 shown]
	s_waitcnt lgkmcnt(0)
	v_cndmask_b32_e32 v8, 0, v8, vcc_lo
	v_cmp_gt_u32_e32 vcc_lo, v53, v42
	s_delay_alu instid0(VALU_DEP_2) | instskip(NEXT) | instid1(VALU_DEP_1)
	v_cndmask_b32_e64 v8, v8, 0, vcc_lo
	v_add_nc_u32_e32 v6, v8, v6
	v_cndmask_b32_e64 v8, v41, 0, vcc_lo
	v_cmp_eq_u32_e32 vcc_lo, 0, v3
	s_delay_alu instid0(VALU_DEP_2) | instskip(NEXT) | instid1(VALU_DEP_4)
	v_add3_u32 v5, v5, v3, v8
	v_cndmask_b32_e32 v6, 0, v6, vcc_lo
	s_delay_alu instid0(VALU_DEP_1)
	v_add_nc_u32_e32 v6, v6, v4
.LBB839_104:                            ; =>This Loop Header: Depth=1
                                        ;     Child Loop BB839_107 Depth 2
	s_delay_alu instid0(VALU_DEP_1) | instskip(NEXT) | instid1(VALU_DEP_1)
	v_dual_mov_b32 v4, v6 :: v_dual_and_b32 v3, 0xff, v7
	v_cmp_ne_u16_e32 vcc_lo, 2, v3
	v_cndmask_b32_e64 v3, 0, 1, vcc_lo
	;;#ASMSTART
	;;#ASMEND
	s_delay_alu instid0(VALU_DEP_1)
	v_cmp_ne_u32_e32 vcc_lo, 0, v3
	v_mov_b32_e32 v3, v5
	s_cmp_lg_u32 vcc_lo, exec_lo
	s_cbranch_scc1 .LBB839_109
; %bb.105:                              ;   in Loop: Header=BB839_104 Depth=1
	v_lshlrev_b64 v[5:6], 4, v[39:40]
	s_mov_b32 s15, exec_lo
	s_delay_alu instid0(VALU_DEP_1) | instskip(NEXT) | instid1(VALU_DEP_2)
	v_add_co_u32 v41, vcc_lo, s20, v5
	v_add_co_ci_u32_e32 v42, vcc_lo, s21, v6, vcc_lo
	;;#ASMSTART
	global_load_dwordx4 v[5:8], v[41:42] off glc	
s_waitcnt vmcnt(0)
	;;#ASMEND
	v_and_b32_e32 v8, 0xff, v6
	v_and_b32_e32 v54, 0xff00, v6
	;; [unrolled: 1-line block ×3, first 2 shown]
	v_or3_b32 v5, v5, 0, 0
	v_and_b32_e32 v6, 0xff000000, v6
	s_delay_alu instid0(VALU_DEP_4) | instskip(SKIP_1) | instid1(VALU_DEP_4)
	v_or3_b32 v8, 0, v8, v54
	v_and_b32_e32 v54, 0xff, v7
	v_or3_b32 v5, v5, 0, 0
	s_delay_alu instid0(VALU_DEP_3) | instskip(NEXT) | instid1(VALU_DEP_3)
	v_or3_b32 v6, v8, v55, v6
	v_cmpx_eq_u16_e32 0, v54
	s_cbranch_execz .LBB839_103
; %bb.106:                              ;   in Loop: Header=BB839_104 Depth=1
	s_mov_b32 s24, 0
.LBB839_107:                            ;   Parent Loop BB839_104 Depth=1
                                        ; =>  This Inner Loop Header: Depth=2
	;;#ASMSTART
	global_load_dwordx4 v[5:8], v[41:42] off glc	
s_waitcnt vmcnt(0)
	;;#ASMEND
	v_and_b32_e32 v8, 0xff, v7
	s_delay_alu instid0(VALU_DEP_1) | instskip(SKIP_1) | instid1(SALU_CYCLE_1)
	v_cmp_ne_u16_e32 vcc_lo, 0, v8
	s_or_b32 s24, vcc_lo, s24
	s_and_not1_b32 exec_lo, exec_lo, s24
	s_cbranch_execnz .LBB839_107
; %bb.108:                              ;   in Loop: Header=BB839_104 Depth=1
	s_or_b32 exec_lo, exec_lo, s24
	s_branch .LBB839_103
.LBB839_109:                            ;   in Loop: Header=BB839_104 Depth=1
                                        ; implicit-def: $vgpr6
                                        ; implicit-def: $vgpr5
                                        ; implicit-def: $vgpr7
	s_cbranch_execz .LBB839_104
; %bb.110:
	s_and_saveexec_b32 s15, s14
	s_cbranch_execz .LBB839_112
; %bb.111:
	v_cmp_eq_u32_e32 vcc_lo, 0, v1
	s_mov_b32 s25, 0
	s_add_i32 s24, s33, 32
	v_add_nc_u32_e32 v5, v3, v1
	s_lshl_b64 s[24:25], s[24:25], 4
	v_cndmask_b32_e32 v2, 0, v4, vcc_lo
	s_add_u32 s24, s20, s24
	s_addc_u32 s25, s21, s25
	v_mov_b32_e32 v8, 0
	s_delay_alu instid0(VALU_DEP_2) | instskip(NEXT) | instid1(VALU_DEP_1)
	v_add_nc_u32_e32 v2, s23, v2
	v_and_b32_e32 v6, 0xff000000, v2
	v_and_b32_e32 v7, 0xff0000, v2
	s_delay_alu instid0(VALU_DEP_1) | instskip(SKIP_3) | instid1(VALU_DEP_1)
	v_or_b32_e32 v6, v7, v6
	v_mov_b32_e32 v7, 2
	v_and_b32_e32 v39, 0xff00, v2
	v_and_b32_e32 v2, 0xff, v2
	v_or3_b32 v6, v6, v39, v2
	v_mov_b32_e32 v2, s23
	v_dual_mov_b32 v40, s25 :: v_dual_mov_b32 v39, s24
	;;#ASMSTART
	global_store_dwordx4 v[39:40], v[5:8] off	
s_waitcnt vmcnt(0)
	;;#ASMEND
	ds_store_b128 v8, v[1:4] offset:2048
.LBB839_112:
	s_or_b32 exec_lo, exec_lo, s15
	s_delay_alu instid0(SALU_CYCLE_1)
	s_and_b32 exec_lo, exec_lo, s2
	s_cbranch_execz .LBB839_114
; %bb.113:
	v_mov_b32_e32 v1, 0
	ds_store_b64 v1, v[3:4] offset:2120
.LBB839_114:
	s_or_b32 exec_lo, exec_lo, s22
	s_waitcnt lgkmcnt(1)
	v_cndmask_b32_e64 v4, v43, v37, s14
	s_waitcnt lgkmcnt(0)
	s_barrier
	buffer_gl0_inv
	v_cndmask_b32_e64 v5, v44, v38, s14
	v_cmp_eq_u32_e32 vcc_lo, 0, v4
	v_mov_b32_e32 v3, 0
	ds_load_b64 v[1:2], v3 offset:2120
	s_waitcnt lgkmcnt(0)
	s_barrier
	buffer_gl0_inv
	v_cndmask_b32_e32 v6, 0, v2, vcc_lo
	v_cmp_eq_u32_e32 vcc_lo, 0, v78
	s_delay_alu instid0(VALU_DEP_2) | instskip(NEXT) | instid1(VALU_DEP_1)
	v_add_nc_u32_e32 v5, v6, v5
	v_cndmask_b32_e64 v54, v5, v2, s2
	s_delay_alu instid0(VALU_DEP_1) | instskip(NEXT) | instid1(VALU_DEP_1)
	v_cndmask_b32_e32 v2, 0, v54, vcc_lo
	v_add_nc_u32_e32 v60, v2, v35
	s_delay_alu instid0(VALU_DEP_1) | instskip(NEXT) | instid1(VALU_DEP_1)
	v_cndmask_b32_e64 v2, 0, v60, s13
	v_add_nc_u32_e32 v56, v2, v36
	s_delay_alu instid0(VALU_DEP_1) | instskip(NEXT) | instid1(VALU_DEP_1)
	v_cndmask_b32_e64 v2, 0, v56, s12
	;; [unrolled: 3-line block ×5, first 2 shown]
	v_add_nc_u32_e32 v40, v2, v32
	v_cndmask_b32_e64 v2, v4, 0, s2
	s_delay_alu instid0(VALU_DEP_2) | instskip(NEXT) | instid1(VALU_DEP_2)
	v_cndmask_b32_e64 v4, 0, v40, s8
	v_add_nc_u32_e32 v53, v1, v2
	s_delay_alu instid0(VALU_DEP_2) | instskip(NEXT) | instid1(VALU_DEP_1)
	v_add_nc_u32_e32 v44, v4, v29
	v_cndmask_b32_e64 v1, 0, v44, s7
	s_delay_alu instid0(VALU_DEP_1) | instskip(NEXT) | instid1(VALU_DEP_1)
	v_add_nc_u32_e32 v48, v1, v30
	v_cndmask_b32_e64 v1, 0, v48, s6
	s_delay_alu instid0(VALU_DEP_1) | instskip(NEXT) | instid1(VALU_DEP_1)
	;; [unrolled: 3-line block ×3, first 2 shown]
	v_add_nc_u32_e32 v8, v1, v28
	v_cndmask_b32_e64 v1, 0, v8, s4
	s_delay_alu instid0(VALU_DEP_1) | instskip(SKIP_2) | instid1(VALU_DEP_1)
	v_add_nc_u32_e32 v38, v1, v25
	ds_load_b128 v[1:4], v3 offset:2048
	v_cndmask_b32_e64 v37, 0, v38, s3
	v_add_nc_u32_e32 v62, v37, v26
	s_delay_alu instid0(VALU_DEP_1) | instskip(NEXT) | instid1(VALU_DEP_1)
	v_cndmask_b32_e64 v49, 0, v62, s1
	v_add_nc_u32_e32 v58, v49, v23
	s_waitcnt lgkmcnt(0)
	v_cmp_eq_u32_e32 vcc_lo, 0, v1
	s_delay_alu instid0(VALU_DEP_2) | instskip(SKIP_1) | instid1(VALU_DEP_2)
	v_cndmask_b32_e64 v50, 0, v58, s0
	v_dual_cndmask_b32 v4, 0, v4 :: v_dual_add_nc_u32 v59, v53, v78
	v_add_nc_u32_e32 v50, v50, v24
	s_delay_alu instid0(VALU_DEP_2) | instskip(NEXT) | instid1(VALU_DEP_3)
	v_add_nc_u32_e32 v79, v4, v2
	v_add_nc_u32_e32 v55, v59, v77
	s_delay_alu instid0(VALU_DEP_1) | instskip(NEXT) | instid1(VALU_DEP_1)
	v_add_nc_u32_e32 v51, v55, v76
	v_add_nc_u32_e32 v45, v51, v75
	s_delay_alu instid0(VALU_DEP_1) | instskip(NEXT) | instid1(VALU_DEP_1)
	;; [unrolled: 3-line block ×6, first 2 shown]
	v_add_nc_u32_e32 v57, v61, v65
	v_add_nc_u32_e32 v49, v57, v64
	s_branch .LBB839_127
.LBB839_115:
                                        ; implicit-def: $vgpr1
                                        ; implicit-def: $vgpr79
                                        ; implicit-def: $vgpr53_vgpr54
                                        ; implicit-def: $vgpr59_vgpr60
                                        ; implicit-def: $vgpr55_vgpr56
                                        ; implicit-def: $vgpr51_vgpr52
                                        ; implicit-def: $vgpr45_vgpr46
                                        ; implicit-def: $vgpr41_vgpr42
                                        ; implicit-def: $vgpr39_vgpr40
                                        ; implicit-def: $vgpr43_vgpr44
                                        ; implicit-def: $vgpr47_vgpr48
                                        ; implicit-def: $vgpr5_vgpr6
                                        ; implicit-def: $vgpr7_vgpr8
                                        ; implicit-def: $vgpr37_vgpr38
                                        ; implicit-def: $vgpr61_vgpr62
                                        ; implicit-def: $vgpr57_vgpr58
                                        ; implicit-def: $vgpr49_vgpr50
	s_cbranch_execz .LBB839_127
; %bb.116:
	s_and_b32 s0, s16, exec_lo
	v_mov_b32_e32 v49, v35
	s_cselect_b32 s1, 0, s35
	s_cselect_b32 s0, 0, s34
	s_delay_alu instid0(SALU_CYCLE_1)
	s_cmp_eq_u64 s[0:1], 0
	s_cbranch_scc1 .LBB839_118
; %bb.117:
	v_mov_b32_e32 v1, 0
	global_load_b32 v49, v1, s[0:1]
.LBB839_118:
	v_cmp_eq_u32_e64 s7, 0, v77
	v_cmp_eq_u32_e64 s8, 0, v76
	;; [unrolled: 1-line block ×5, first 2 shown]
	v_cndmask_b32_e64 v1, 0, v35, s7
	v_cmp_eq_u32_e64 s12, 0, v72
	v_cmp_eq_u32_e64 s6, 0, v71
	;; [unrolled: 1-line block ×4, first 2 shown]
	v_add_nc_u32_e32 v1, v1, v36
	v_cmp_eq_u32_e64 s3, 0, v67
	v_add3_u32 v2, v84, v73, v72
	v_cmp_eq_u32_e64 s1, 0, v66
	v_cmp_eq_u32_e32 vcc_lo, 0, v65
	v_cndmask_b32_e64 v1, 0, v1, s8
	v_cmp_eq_u32_e64 s0, 0, v64
	v_add3_u32 v2, v2, v71, v70
	v_cmp_eq_u32_e64 s13, 0, v69
	v_and_b32_e32 v4, 15, v81
	v_add_nc_u32_e32 v1, v1, v33
	s_delay_alu instid0(VALU_DEP_4) | instskip(NEXT) | instid1(VALU_DEP_3)
	v_add3_u32 v2, v2, v68, v67
	v_cmp_lt_u32_e64 s14, 1, v4
	s_delay_alu instid0(VALU_DEP_3) | instskip(NEXT) | instid1(VALU_DEP_3)
	v_cndmask_b32_e64 v1, 0, v1, s9
	v_add3_u32 v2, v2, v66, v65
	s_delay_alu instid0(VALU_DEP_2) | instskip(NEXT) | instid1(VALU_DEP_2)
	v_add_nc_u32_e32 v1, v1, v34
	v_add3_u32 v2, v2, v64, v69
	s_delay_alu instid0(VALU_DEP_2) | instskip(NEXT) | instid1(VALU_DEP_2)
	v_cndmask_b32_e64 v1, 0, v1, s10
	v_mov_b32_dpp v5, v2 row_shr:1 row_mask:0xf bank_mask:0xf
	s_delay_alu instid0(VALU_DEP_2) | instskip(NEXT) | instid1(VALU_DEP_1)
	v_add_nc_u32_e32 v1, v1, v31
	v_cndmask_b32_e64 v1, 0, v1, s11
	s_delay_alu instid0(VALU_DEP_1) | instskip(NEXT) | instid1(VALU_DEP_1)
	v_add_nc_u32_e32 v1, v1, v32
	v_cndmask_b32_e64 v1, 0, v1, s12
	s_delay_alu instid0(VALU_DEP_1) | instskip(NEXT) | instid1(VALU_DEP_1)
	;; [unrolled: 3-line block ×7, first 2 shown]
	v_add_nc_u32_e32 v1, v1, v26
	v_cndmask_b32_e32 v1, 0, v1, vcc_lo
	s_delay_alu instid0(VALU_DEP_1) | instskip(NEXT) | instid1(VALU_DEP_1)
	v_add_nc_u32_e32 v1, v1, v23
	v_cndmask_b32_e64 v1, 0, v1, s0
	s_delay_alu instid0(VALU_DEP_1) | instskip(NEXT) | instid1(VALU_DEP_1)
	v_add_nc_u32_e32 v1, v1, v24
	v_cndmask_b32_e64 v1, 0, v1, s13
	v_cmp_eq_u32_e64 s13, 0, v2
	s_delay_alu instid0(VALU_DEP_2) | instskip(NEXT) | instid1(VALU_DEP_1)
	v_add_nc_u32_e32 v1, v1, v80
	v_mov_b32_dpp v3, v1 row_shr:1 row_mask:0xf bank_mask:0xf
	s_delay_alu instid0(VALU_DEP_1) | instskip(SKIP_1) | instid1(VALU_DEP_1)
	v_cndmask_b32_e64 v3, 0, v3, s13
	v_cmp_eq_u32_e64 s13, 0, v4
	v_cndmask_b32_e64 v5, v5, 0, s13
	s_delay_alu instid0(VALU_DEP_3) | instskip(NEXT) | instid1(VALU_DEP_2)
	v_cndmask_b32_e64 v3, v3, 0, s13
	v_add_nc_u32_e32 v2, v5, v2
	s_delay_alu instid0(VALU_DEP_2) | instskip(NEXT) | instid1(VALU_DEP_2)
	v_add_nc_u32_e32 v1, v3, v1
	v_mov_b32_dpp v3, v2 row_shr:2 row_mask:0xf bank_mask:0xf
	v_cmp_eq_u32_e64 s13, 0, v2
	s_delay_alu instid0(VALU_DEP_3) | instskip(NEXT) | instid1(VALU_DEP_3)
	v_mov_b32_dpp v5, v1 row_shr:2 row_mask:0xf bank_mask:0xf
	v_cndmask_b32_e64 v3, 0, v3, s14
	s_delay_alu instid0(VALU_DEP_3) | instskip(SKIP_1) | instid1(VALU_DEP_3)
	s_and_b32 s13, s14, s13
	v_cmp_lt_u32_e64 s14, 3, v4
	v_cndmask_b32_e64 v5, 0, v5, s13
	s_delay_alu instid0(VALU_DEP_3) | instskip(NEXT) | instid1(VALU_DEP_2)
	v_add_nc_u32_e32 v2, v2, v3
	v_add_nc_u32_e32 v1, v5, v1
	s_delay_alu instid0(VALU_DEP_2) | instskip(SKIP_1) | instid1(VALU_DEP_3)
	v_mov_b32_dpp v3, v2 row_shr:4 row_mask:0xf bank_mask:0xf
	v_cmp_eq_u32_e64 s13, 0, v2
	v_mov_b32_dpp v5, v1 row_shr:4 row_mask:0xf bank_mask:0xf
	s_delay_alu instid0(VALU_DEP_3) | instskip(NEXT) | instid1(VALU_DEP_3)
	v_cndmask_b32_e64 v3, 0, v3, s14
	s_and_b32 s13, s14, s13
	v_cmp_lt_u32_e64 s14, 7, v4
	s_delay_alu instid0(VALU_DEP_3) | instskip(NEXT) | instid1(VALU_DEP_3)
	v_cndmask_b32_e64 v5, 0, v5, s13
	v_add_nc_u32_e32 v2, v3, v2
	s_delay_alu instid0(VALU_DEP_2) | instskip(SKIP_1) | instid1(VALU_DEP_3)
	v_add_nc_u32_e32 v1, v1, v5
	v_bfe_i32 v5, v81, 4, 1
	v_cmp_eq_u32_e64 s13, 0, v2
	v_mov_b32_dpp v3, v2 row_shr:8 row_mask:0xf bank_mask:0xf
	s_delay_alu instid0(VALU_DEP_4) | instskip(NEXT) | instid1(VALU_DEP_3)
	v_mov_b32_dpp v4, v1 row_shr:8 row_mask:0xf bank_mask:0xf
	s_and_b32 s13, s14, s13
	s_delay_alu instid0(VALU_DEP_2) | instskip(SKIP_1) | instid1(VALU_DEP_2)
	v_cndmask_b32_e64 v3, 0, v3, s14
	s_mov_b32 s14, exec_lo
	v_cndmask_b32_e64 v4, 0, v4, s13
	s_delay_alu instid0(VALU_DEP_1) | instskip(NEXT) | instid1(VALU_DEP_3)
	v_add_nc_u32_e32 v4, v4, v1
	v_add_nc_u32_e32 v1, v3, v2
	ds_swizzle_b32 v2, v4 offset:swizzle(BROADCAST,32,15)
	ds_swizzle_b32 v3, v1 offset:swizzle(BROADCAST,32,15)
	v_cmp_eq_u32_e64 s13, 0, v1
	s_waitcnt lgkmcnt(1)
	s_delay_alu instid0(VALU_DEP_1) | instskip(SKIP_2) | instid1(VALU_DEP_2)
	v_cndmask_b32_e64 v2, 0, v2, s13
	s_waitcnt lgkmcnt(0)
	v_and_b32_e32 v3, v5, v3
	v_and_b32_e32 v2, v5, v2
	s_delay_alu instid0(VALU_DEP_2) | instskip(NEXT) | instid1(VALU_DEP_2)
	v_add_nc_u32_e32 v1, v3, v1
	v_add_nc_u32_e32 v2, v2, v4
	v_lshlrev_b32_e32 v4, 3, v82
	v_cmpx_eq_u32_e64 v83, v0
	s_cbranch_execz .LBB839_120
; %bb.119:
	ds_store_b64 v4, v[1:2] offset:2064
.LBB839_120:
	s_or_b32 exec_lo, exec_lo, s14
	s_delay_alu instid0(SALU_CYCLE_1)
	s_mov_b32 s15, exec_lo
	s_waitcnt vmcnt(0) lgkmcnt(0)
	s_barrier
	buffer_gl0_inv
	v_cmpx_gt_u32_e32 8, v0
	s_cbranch_execz .LBB839_122
; %bb.121:
	v_lshlrev_b32_e32 v3, 3, v0
	v_and_b32_e32 v8, 7, v81
	ds_load_b64 v[5:6], v3 offset:2064
	v_cmp_lt_u32_e64 s14, 1, v8
	s_waitcnt lgkmcnt(0)
	v_mov_b32_dpp v7, v6 row_shr:1 row_mask:0xf bank_mask:0xf
	v_cmp_eq_u32_e64 s13, 0, v5
	v_mov_b32_dpp v37, v5 row_shr:1 row_mask:0xf bank_mask:0xf
	s_delay_alu instid0(VALU_DEP_2) | instskip(SKIP_1) | instid1(VALU_DEP_1)
	v_cndmask_b32_e64 v7, 0, v7, s13
	v_cmp_eq_u32_e64 s13, 0, v8
	v_cndmask_b32_e64 v37, v37, 0, s13
	s_delay_alu instid0(VALU_DEP_3) | instskip(NEXT) | instid1(VALU_DEP_2)
	v_cndmask_b32_e64 v7, v7, 0, s13
	v_add_nc_u32_e32 v5, v37, v5
	s_delay_alu instid0(VALU_DEP_2) | instskip(NEXT) | instid1(VALU_DEP_2)
	v_add_nc_u32_e32 v6, v7, v6
	v_mov_b32_dpp v7, v5 row_shr:2 row_mask:0xf bank_mask:0xf
	v_cmp_eq_u32_e64 s13, 0, v5
	s_delay_alu instid0(VALU_DEP_3) | instskip(NEXT) | instid1(VALU_DEP_3)
	v_mov_b32_dpp v37, v6 row_shr:2 row_mask:0xf bank_mask:0xf
	v_cndmask_b32_e64 v7, 0, v7, s14
	s_delay_alu instid0(VALU_DEP_3) | instskip(SKIP_1) | instid1(VALU_DEP_3)
	s_and_b32 s13, s14, s13
	v_cmp_lt_u32_e64 s14, 3, v8
	v_cndmask_b32_e64 v37, 0, v37, s13
	s_delay_alu instid0(VALU_DEP_3) | instskip(NEXT) | instid1(VALU_DEP_2)
	v_add_nc_u32_e32 v5, v7, v5
	v_add_nc_u32_e32 v6, v37, v6
	s_delay_alu instid0(VALU_DEP_2) | instskip(SKIP_1) | instid1(VALU_DEP_3)
	v_cmp_eq_u32_e64 s13, 0, v5
	v_mov_b32_dpp v7, v5 row_shr:4 row_mask:0xf bank_mask:0xf
	v_mov_b32_dpp v8, v6 row_shr:4 row_mask:0xf bank_mask:0xf
	s_delay_alu instid0(VALU_DEP_3) | instskip(NEXT) | instid1(VALU_DEP_2)
	s_and_b32 s13, s14, s13
	v_cndmask_b32_e64 v7, 0, v7, s14
	s_delay_alu instid0(VALU_DEP_2) | instskip(NEXT) | instid1(VALU_DEP_2)
	v_cndmask_b32_e64 v8, 0, v8, s13
	v_add_nc_u32_e32 v5, v7, v5
	s_delay_alu instid0(VALU_DEP_2)
	v_add_nc_u32_e32 v6, v8, v6
	ds_store_b64 v3, v[5:6] offset:2064
.LBB839_122:
	s_or_b32 exec_lo, exec_lo, s15
	v_mov_b32_e32 v7, 0
	v_mov_b32_e32 v3, 0
	;; [unrolled: 1-line block ×3, first 2 shown]
	s_mov_b32 s14, exec_lo
	s_waitcnt lgkmcnt(0)
	s_barrier
	buffer_gl0_inv
	v_cmpx_lt_u32_e32 31, v0
	s_cbranch_execz .LBB839_124
; %bb.123:
	ds_load_b64 v[3:4], v4 offset:2056
	s_waitcnt lgkmcnt(0)
	v_cmp_eq_u32_e64 s13, 0, v3
	s_delay_alu instid0(VALU_DEP_1) | instskip(NEXT) | instid1(VALU_DEP_1)
	v_cndmask_b32_e64 v5, 0, v49, s13
	v_add_nc_u32_e32 v5, v5, v4
.LBB839_124:
	s_or_b32 exec_lo, exec_lo, s14
	v_add_nc_u32_e32 v4, -1, v81
	s_delay_alu instid0(VALU_DEP_1) | instskip(NEXT) | instid1(VALU_DEP_1)
	v_cmp_gt_i32_e64 s13, 0, v4
	v_cndmask_b32_e64 v4, v4, v81, s13
	v_cmp_eq_u32_e64 s13, 0, v1
	v_add_nc_u32_e32 v1, v3, v1
	s_delay_alu instid0(VALU_DEP_3) | instskip(NEXT) | instid1(VALU_DEP_3)
	v_lshlrev_b32_e32 v4, 2, v4
	v_cndmask_b32_e64 v6, 0, v5, s13
	v_cmp_eq_u32_e64 s13, 0, v81
	ds_bpermute_b32 v1, v4, v1
	v_add_nc_u32_e32 v2, v6, v2
	ds_bpermute_b32 v2, v4, v2
	s_waitcnt lgkmcnt(1)
	v_cndmask_b32_e64 v1, v1, v3, s13
	s_delay_alu instid0(VALU_DEP_1) | instskip(SKIP_3) | instid1(VALU_DEP_2)
	v_cndmask_b32_e64 v53, v1, 0, s2
	s_waitcnt lgkmcnt(0)
	v_cndmask_b32_e64 v2, v2, v5, s13
	v_cmp_eq_u32_e64 s13, 0, v78
	v_cndmask_b32_e64 v54, v2, v49, s2
	s_delay_alu instid0(VALU_DEP_1) | instskip(NEXT) | instid1(VALU_DEP_1)
	v_cndmask_b32_e64 v2, 0, v54, s13
	v_add_nc_u32_e32 v60, v2, v35
	s_delay_alu instid0(VALU_DEP_1) | instskip(NEXT) | instid1(VALU_DEP_1)
	v_cndmask_b32_e64 v2, 0, v60, s7
	v_add_nc_u32_e32 v56, v2, v36
	;; [unrolled: 3-line block ×11, first 2 shown]
	ds_load_b64 v[1:2], v7 offset:2120
	v_cndmask_b32_e64 v3, 0, v38, s1
	s_delay_alu instid0(VALU_DEP_1) | instskip(NEXT) | instid1(VALU_DEP_1)
	v_add_nc_u32_e32 v62, v3, v26
	v_cndmask_b32_e32 v3, 0, v62, vcc_lo
	s_delay_alu instid0(VALU_DEP_1) | instskip(SKIP_3) | instid1(VALU_DEP_3)
	v_add_nc_u32_e32 v58, v3, v23
	s_waitcnt lgkmcnt(0)
	v_cmp_eq_u32_e32 vcc_lo, 0, v1
	v_add_nc_u32_e32 v59, v53, v78
	v_cndmask_b32_e64 v3, 0, v58, s0
	v_cndmask_b32_e32 v4, 0, v49, vcc_lo
	s_delay_alu instid0(VALU_DEP_3) | instskip(NEXT) | instid1(VALU_DEP_3)
	v_add_nc_u32_e32 v55, v59, v77
	v_add_nc_u32_e32 v50, v3, v24
	s_delay_alu instid0(VALU_DEP_3) | instskip(NEXT) | instid1(VALU_DEP_3)
	v_add_nc_u32_e32 v79, v4, v2
	v_add_nc_u32_e32 v51, v55, v76
	s_delay_alu instid0(VALU_DEP_1) | instskip(NEXT) | instid1(VALU_DEP_1)
	v_add_nc_u32_e32 v45, v51, v75
	v_add_nc_u32_e32 v41, v45, v74
	s_delay_alu instid0(VALU_DEP_1) | instskip(NEXT) | instid1(VALU_DEP_1)
	;; [unrolled: 3-line block ×5, first 2 shown]
	v_add_nc_u32_e32 v61, v37, v66
	v_add_nc_u32_e32 v57, v61, v65
	s_delay_alu instid0(VALU_DEP_1)
	v_add_nc_u32_e32 v49, v57, v64
	s_and_saveexec_b32 s0, s2
	s_cbranch_execz .LBB839_126
; %bb.125:
	v_and_b32_e32 v2, 0xff000000, v79
	v_dual_mov_b32 v4, 0 :: v_dual_and_b32 v3, 0xff0000, v79
	s_add_u32 s4, s20, 0x200
	v_and_b32_e32 v23, 0xff00, v79
	s_addc_u32 s5, s21, 0
	v_and_b32_e32 v24, 0xff, v79
	v_or_b32_e32 v2, v3, v2
	v_mov_b32_e32 v3, 2
	s_delay_alu instid0(VALU_DEP_2)
	v_or3_b32 v2, v2, v23, v24
	v_dual_mov_b32 v24, s5 :: v_dual_mov_b32 v23, s4
	;;#ASMSTART
	global_store_dwordx4 v[23:24], v[1:4] off	
s_waitcnt vmcnt(0)
	;;#ASMEND
.LBB839_126:
	s_or_b32 exec_lo, exec_lo, s0
	v_mov_b32_e32 v3, 0
.LBB839_127:
	v_mov_b32_e32 v23, 0
	s_and_b32 s0, s16, exec_lo
	v_mov_b32_e32 v24, 0
	s_cselect_b32 s1, 0, s39
	s_cselect_b32 s0, 0, s38
	s_delay_alu instid0(SALU_CYCLE_1)
	s_cmp_eq_u64 s[0:1], 0
	s_barrier
	buffer_gl0_inv
	s_cbranch_scc1 .LBB839_129
; %bb.128:
	v_mov_b32_e32 v2, 0
	global_load_b64 v[23:24], v2, s[0:1]
.LBB839_129:
	v_cmp_eq_u32_e32 vcc_lo, 0, v78
	v_cmp_ne_u32_e64 s15, 0, v78
	v_cmp_ne_u32_e64 s14, 0, v77
	;; [unrolled: 1-line block ×4, first 2 shown]
	v_cndmask_b32_e64 v2, 1, 2, vcc_lo
	v_cmp_eq_u32_e32 vcc_lo, 0, v77
	v_cmp_ne_u32_e64 s11, 0, v74
	v_cmp_ne_u32_e64 s10, 0, v73
	;; [unrolled: 1-line block ×4, first 2 shown]
	v_cndmask_b32_e64 v4, 1, 2, vcc_lo
	v_cmp_eq_u32_e32 vcc_lo, 0, v76
	v_cmp_ne_u32_e64 s9, 0, v70
	v_cmp_ne_u32_e64 s7, 0, v68
	;; [unrolled: 1-line block ×3, first 2 shown]
	v_and_b32_e32 v2, v4, v2
	v_cndmask_b32_e64 v25, 1, 2, vcc_lo
	v_cmp_eq_u32_e32 vcc_lo, 0, v75
	v_cmp_ne_u32_e64 s4, 0, v66
	v_cmp_ne_u32_e64 s3, 0, v65
	;; [unrolled: 1-line block ×3, first 2 shown]
	v_and_b32_e32 v2, v2, v25
	v_cndmask_b32_e64 v4, 1, 2, vcc_lo
	v_cmp_eq_u32_e32 vcc_lo, 0, v74
	v_cmp_ne_u32_e64 s0, 0, v69
	s_delay_alu instid0(VALU_DEP_3) | instskip(SKIP_2) | instid1(VALU_DEP_2)
	v_and_b32_e32 v2, v2, v4
	v_cndmask_b32_e64 v25, 1, 2, vcc_lo
	v_cmp_eq_u32_e32 vcc_lo, 0, v73
	v_and_b32_e32 v2, v2, v25
	v_cndmask_b32_e64 v4, 1, 2, vcc_lo
	v_cmp_eq_u32_e32 vcc_lo, 0, v72
	s_waitcnt vmcnt(0)
	v_lshlrev_b64 v[25:26], 2, v[23:24]
	s_delay_alu instid0(VALU_DEP_3) | instskip(SKIP_2) | instid1(VALU_DEP_2)
	v_and_b32_e32 v2, v2, v4
	v_cndmask_b32_e64 v27, 1, 2, vcc_lo
	v_cmp_eq_u32_e32 vcc_lo, 0, v71
	v_and_b32_e32 v2, v2, v27
	v_cndmask_b32_e64 v28, 1, 2, vcc_lo
	v_cmp_eq_u32_e32 vcc_lo, 0, v70
	s_delay_alu instid0(VALU_DEP_2) | instskip(SKIP_2) | instid1(VALU_DEP_2)
	v_and_b32_e32 v2, v2, v28
	v_cndmask_b32_e64 v27, 1, 2, vcc_lo
	v_cmp_eq_u32_e32 vcc_lo, 0, v68
	v_and_b32_e32 v2, v2, v27
	v_cndmask_b32_e64 v28, 1, 2, vcc_lo
	v_cmp_eq_u32_e32 vcc_lo, 0, v67
	s_delay_alu instid0(VALU_DEP_2) | instskip(SKIP_2) | instid1(VALU_DEP_2)
	;; [unrolled: 7-line block ×3, first 2 shown]
	v_and_b32_e32 v2, v2, v29
	v_cndmask_b32_e64 v30, 1, 2, vcc_lo
	v_cmp_eq_u32_e32 vcc_lo, 0, v64
	v_and_b32_e32 v30, v2, v30
	v_cndmask_b32_e64 v31, 1, 2, vcc_lo
	v_mov_b32_e32 v4, 0
	s_delay_alu instid0(VALU_DEP_1) | instskip(SKIP_3) | instid1(VALU_DEP_2)
	v_lshlrev_b64 v[27:28], 2, v[3:4]
	v_add_co_u32 v4, vcc_lo, s18, v25
	v_add_co_ci_u32_e32 v29, vcc_lo, s19, v26, vcc_lo
	s_mov_b32 s18, -1
	v_add_co_u32 v2, vcc_lo, v4, v27
	s_delay_alu instid0(VALU_DEP_2) | instskip(SKIP_4) | instid1(VALU_DEP_2)
	v_add_co_ci_u32_e32 v4, vcc_lo, v29, v28, vcc_lo
	v_and_b32_e32 v29, v30, v31
	v_cmp_eq_u32_e32 vcc_lo, 0, v69
	v_cndmask_b32_e64 v30, 1, 2, vcc_lo
	v_cmp_gt_u32_e32 vcc_lo, 0x100, v1
	v_and_b32_e32 v29, v29, v30
	s_delay_alu instid0(VALU_DEP_1)
	v_cmp_gt_i16_e64 s16, 2, v29
	s_cbranch_vccz .LBB839_136
; %bb.130:
	s_delay_alu instid0(VALU_DEP_1)
	s_and_saveexec_b32 s18, s16
	s_cbranch_execz .LBB839_135
; %bb.131:
	s_mov_b32 s19, 0
	s_mov_b32 s16, exec_lo
	v_cmpx_ne_u16_e32 1, v29
	s_xor_b32 s16, exec_lo, s16
	s_cbranch_execnz .LBB839_168
; %bb.132:
	s_and_not1_saveexec_b32 s16, s16
	s_cbranch_execnz .LBB839_184
.LBB839_133:
	s_or_b32 exec_lo, exec_lo, s16
	s_delay_alu instid0(SALU_CYCLE_1)
	s_and_b32 exec_lo, exec_lo, s19
	s_cbranch_execz .LBB839_135
.LBB839_134:
	v_sub_nc_u32_e32 v30, v49, v3
	v_mov_b32_e32 v31, 0
	s_delay_alu instid0(VALU_DEP_1) | instskip(NEXT) | instid1(VALU_DEP_1)
	v_lshlrev_b64 v[30:31], 2, v[30:31]
	v_add_co_u32 v30, vcc_lo, v2, v30
	s_delay_alu instid0(VALU_DEP_2)
	v_add_co_ci_u32_e32 v31, vcc_lo, v4, v31, vcc_lo
	global_store_b32 v[30:31], v63, off
.LBB839_135:
	s_or_b32 exec_lo, exec_lo, s18
	s_mov_b32 s18, 0
.LBB839_136:
	s_delay_alu instid0(SALU_CYCLE_1)
	s_and_b32 vcc_lo, exec_lo, s18
	s_cbranch_vccz .LBB839_146
; %bb.137:
	s_mov_b32 s16, exec_lo
	v_cmpx_gt_i16_e32 2, v29
	s_cbranch_execz .LBB839_142
; %bb.138:
	s_mov_b32 s19, 0
	s_mov_b32 s18, exec_lo
	v_cmpx_ne_u16_e32 1, v29
	s_xor_b32 s18, exec_lo, s18
	s_cbranch_execnz .LBB839_185
; %bb.139:
	s_and_not1_saveexec_b32 s0, s18
	s_cbranch_execnz .LBB839_201
.LBB839_140:
	s_or_b32 exec_lo, exec_lo, s0
	s_delay_alu instid0(SALU_CYCLE_1)
	s_and_b32 exec_lo, exec_lo, s19
	s_cbranch_execz .LBB839_142
.LBB839_141:
	v_sub_nc_u32_e32 v9, v49, v3
	s_delay_alu instid0(VALU_DEP_1)
	v_lshlrev_b32_e32 v9, 2, v9
	ds_store_b32 v9, v63
.LBB839_142:
	s_or_b32 exec_lo, exec_lo, s16
	s_delay_alu instid0(SALU_CYCLE_1)
	s_mov_b32 s1, exec_lo
	s_waitcnt lgkmcnt(0)
	s_waitcnt_vscnt null, 0x0
	s_barrier
	buffer_gl0_inv
	v_cmpx_lt_u32_e64 v0, v1
	s_cbranch_execz .LBB839_145
; %bb.143:
	v_dual_mov_b32 v10, 0 :: v_dual_lshlrev_b32 v11, 2, v0
	v_mov_b32_e32 v9, v0
	s_mov_b32 s3, 0
	.p2align	6
.LBB839_144:                            ; =>This Inner Loop Header: Depth=1
	ds_load_b32 v14, v11
	v_lshlrev_b64 v[12:13], 2, v[9:10]
	v_add_nc_u32_e32 v9, 0x100, v9
	v_add_nc_u32_e32 v11, 0x400, v11
	s_delay_alu instid0(VALU_DEP_2) | instskip(NEXT) | instid1(VALU_DEP_4)
	v_cmp_ge_u32_e32 vcc_lo, v9, v1
	v_add_co_u32 v12, s0, v2, v12
	s_delay_alu instid0(VALU_DEP_1)
	v_add_co_ci_u32_e64 v13, s0, v4, v13, s0
	s_or_b32 s3, vcc_lo, s3
	s_waitcnt lgkmcnt(0)
	global_store_b32 v[12:13], v14, off
	s_and_not1_b32 exec_lo, exec_lo, s3
	s_cbranch_execnz .LBB839_144
.LBB839_145:
	s_or_b32 exec_lo, exec_lo, s1
.LBB839_146:
	s_cmpk_lg_i32 s26, 0xf00
	v_cndmask_b32_e64 v4, 0, 1, s27
	s_cselect_b32 s0, -1, 0
	v_mad_i32_i24 v10, v0, -15, s26
	s_and_b32 s0, s0, s17
	s_and_b32 s1, s2, s27
	v_cndmask_b32_e64 v9, 0, 1, s0
	s_mul_hi_u32 s0, s26, 0x88888889
	v_sub_nc_u32_e32 v2, v1, v4
	s_lshr_b32 s0, s0, 3
	v_cndmask_b32_e64 v11, v78, 0, s1
	v_cmp_eq_u32_e32 vcc_lo, s0, v0
	v_cmp_ne_u32_e64 s0, 0, v10
	s_mov_b32 s16, -1
	s_waitcnt_vscnt null, 0x0
	s_barrier
	s_and_b32 vcc_lo, vcc_lo, s17
	v_add_nc_u32_e32 v2, v2, v9
	v_cndmask_b32_e64 v9, 1, v11, s0
	v_cmp_ne_u32_e64 s0, 1, v10
	buffer_gl0_inv
	v_cndmask_b32_e64 v12, 1, v77, s0
	v_cmp_ne_u32_e64 s0, 14, v10
	s_delay_alu instid0(VALU_DEP_2) | instskip(NEXT) | instid1(VALU_DEP_2)
	v_cndmask_b32_e32 v17, v77, v12, vcc_lo
	v_cndmask_b32_e64 v13, 1, v69, s0
	v_cmp_ne_u32_e64 s0, 2, v10
	s_delay_alu instid0(VALU_DEP_3) | instskip(NEXT) | instid1(VALU_DEP_2)
	v_cmp_ne_u32_e64 s13, 0, v17
	v_cndmask_b32_e64 v14, 1, v76, s0
	v_cmp_ne_u32_e64 s0, 3, v10
	s_delay_alu instid0(VALU_DEP_2) | instskip(NEXT) | instid1(VALU_DEP_2)
	v_cndmask_b32_e32 v14, v76, v14, vcc_lo
	v_cndmask_b32_e64 v15, 1, v75, s0
	v_cmp_ne_u32_e64 s0, 4, v10
	v_cndmask_b32_e32 v16, v69, v13, vcc_lo
	v_cndmask_b32_e32 v13, v11, v9, vcc_lo
	v_cmp_ne_u32_e64 s12, 0, v14
	v_cndmask_b32_e32 v15, v75, v15, vcc_lo
	v_cndmask_b32_e64 v9, 1, v74, s0
	v_cmp_ne_u32_e64 s0, 5, v10
	v_cmp_ne_u32_e64 s14, 0, v13
	s_delay_alu instid0(VALU_DEP_4) | instskip(NEXT) | instid1(VALU_DEP_3)
	v_cmp_ne_u32_e64 s11, 0, v15
	v_cndmask_b32_e64 v11, 1, v73, s0
	v_cmp_eq_u32_e64 s0, 0, v13
	s_delay_alu instid0(VALU_DEP_2) | instskip(NEXT) | instid1(VALU_DEP_2)
	v_cndmask_b32_e32 v29, v73, v11, vcc_lo
	v_cndmask_b32_e64 v12, 1, 2, s0
	v_cmp_eq_u32_e64 s0, 0, v17
	s_delay_alu instid0(VALU_DEP_3) | instskip(NEXT) | instid1(VALU_DEP_2)
	v_cmp_ne_u32_e64 s9, 0, v29
	v_cndmask_b32_e64 v18, 1, 2, s0
	v_cmp_ne_u32_e64 s0, 6, v10
	s_delay_alu instid0(VALU_DEP_2) | instskip(NEXT) | instid1(VALU_DEP_2)
	v_and_b32_e32 v12, v18, v12
	v_cndmask_b32_e64 v19, 1, v72, s0
	v_cmp_eq_u32_e64 s0, 0, v14
	s_delay_alu instid0(VALU_DEP_1) | instskip(SKIP_1) | instid1(VALU_DEP_1)
	v_cndmask_b32_e64 v18, 1, 2, s0
	v_cmp_ne_u32_e64 s0, 7, v10
	v_cndmask_b32_e64 v20, 1, v71, s0
	v_cmp_ne_u32_e64 s0, 8, v10
	s_delay_alu instid0(VALU_DEP_2) | instskip(NEXT) | instid1(VALU_DEP_2)
	v_dual_cndmask_b32 v19, v72, v19 :: v_dual_cndmask_b32 v20, v71, v20
	v_cndmask_b32_e64 v21, 1, v70, s0
	v_cmp_eq_u32_e64 s0, 0, v15
	v_and_b32_e32 v12, v12, v18
	s_delay_alu instid0(VALU_DEP_4)
	v_cmp_ne_u32_e64 s8, 0, v19
	v_cmp_ne_u32_e64 s7, 0, v20
	v_cndmask_b32_e32 v21, v70, v21, vcc_lo
	v_cndmask_b32_e64 v18, 1, 2, s0
	v_cndmask_b32_e32 v22, v74, v9, vcc_lo
	v_cmp_ne_u32_e64 s0, 9, v10
	s_delay_alu instid0(VALU_DEP_4) | instskip(NEXT) | instid1(VALU_DEP_4)
	v_cmp_ne_u32_e64 s6, 0, v21
	v_and_b32_e32 v11, v12, v18
	s_delay_alu instid0(VALU_DEP_4) | instskip(NEXT) | instid1(VALU_DEP_4)
	v_cmp_ne_u32_e64 s10, 0, v22
	v_cndmask_b32_e64 v9, 1, v68, s0
	v_cmp_eq_u32_e64 s0, 0, v22
	s_delay_alu instid0(VALU_DEP_2) | instskip(NEXT) | instid1(VALU_DEP_2)
	v_cndmask_b32_e32 v33, v68, v9, vcc_lo
	v_cndmask_b32_e64 v12, 1, 2, s0
	v_cmp_ne_u32_e64 s0, 10, v10
	s_delay_alu instid0(VALU_DEP_1) | instskip(SKIP_1) | instid1(VALU_DEP_2)
	v_cndmask_b32_e64 v18, 1, v67, s0
	v_cmp_ne_u32_e64 s0, 12, v10
	v_cndmask_b32_e32 v18, v67, v18, vcc_lo
	s_delay_alu instid0(VALU_DEP_2) | instskip(SKIP_2) | instid1(VALU_DEP_4)
	v_cndmask_b32_e64 v30, 1, v65, s0
	v_cmp_eq_u32_e64 s0, 0, v29
	v_and_b32_e32 v11, v11, v12
	v_cmp_ne_u32_e64 s4, 0, v18
	s_delay_alu instid0(VALU_DEP_4) | instskip(NEXT) | instid1(VALU_DEP_4)
	v_cndmask_b32_e32 v30, v65, v30, vcc_lo
	v_cndmask_b32_e64 v12, 1, 2, s0
	v_cmp_ne_u32_e64 s0, 13, v10
	s_delay_alu instid0(VALU_DEP_3) | instskip(NEXT) | instid1(VALU_DEP_3)
	v_cmp_ne_u32_e64 s2, 0, v30
	v_and_b32_e32 v11, v11, v12
	s_delay_alu instid0(VALU_DEP_3) | instskip(SKIP_1) | instid1(VALU_DEP_2)
	v_cndmask_b32_e64 v31, 1, v64, s0
	v_cmp_eq_u32_e64 s0, 0, v19
	v_cndmask_b32_e32 v31, v64, v31, vcc_lo
	s_delay_alu instid0(VALU_DEP_2) | instskip(SKIP_1) | instid1(VALU_DEP_3)
	v_cndmask_b32_e64 v12, 1, 2, s0
	v_cmp_ne_u32_e64 s0, 11, v10
	v_cmp_ne_u32_e64 s1, 0, v31
	s_delay_alu instid0(VALU_DEP_2) | instskip(SKIP_1) | instid1(VALU_DEP_2)
	v_cndmask_b32_e64 v10, 1, v66, s0
	v_cmp_eq_u32_e64 s0, 0, v20
	v_dual_cndmask_b32 v32, v66, v10 :: v_dual_and_b32 v11, v11, v12
	s_delay_alu instid0(VALU_DEP_2) | instskip(SKIP_2) | instid1(VALU_DEP_4)
	v_cndmask_b32_e64 v12, 1, 2, s0
	v_cmp_eq_u32_e32 vcc_lo, 0, v21
	v_cmp_ne_u32_e64 s0, 0, v16
	v_cmp_ne_u32_e64 s3, 0, v32
	s_delay_alu instid0(VALU_DEP_4) | instskip(SKIP_4) | instid1(VALU_DEP_4)
	v_and_b32_e32 v9, v11, v12
	v_cndmask_b32_e64 v10, 1, 2, vcc_lo
	v_add_co_u32 v11, vcc_lo, s28, v25
	v_add_co_ci_u32_e32 v12, vcc_lo, s29, v26, vcc_lo
	v_cmp_eq_u32_e32 vcc_lo, 0, v33
	v_and_b32_e32 v25, v9, v10
	v_cndmask_b32_e64 v26, 1, 2, vcc_lo
	v_add_co_u32 v9, vcc_lo, v11, v27
	v_add_co_ci_u32_e32 v10, vcc_lo, v12, v28, vcc_lo
	v_lshlrev_b32_e32 v11, 2, v4
	v_cmp_eq_u32_e32 vcc_lo, 0, v18
	v_and_b32_e32 v12, v25, v26
	v_add_nc_u32_e32 v4, v3, v4
	v_cmp_ne_u32_e64 s5, 0, v33
	v_cndmask_b32_e64 v25, 1, 2, vcc_lo
	v_add_co_u32 v11, vcc_lo, v11, v9
	v_add_co_ci_u32_e32 v26, vcc_lo, 0, v10, vcc_lo
	v_cmp_eq_u32_e32 vcc_lo, 0, v32
	s_delay_alu instid0(VALU_DEP_4) | instskip(SKIP_4) | instid1(VALU_DEP_4)
	v_and_b32_e32 v25, v12, v25
	v_cndmask_b32_e64 v27, 1, 2, vcc_lo
	v_add_co_u32 v11, vcc_lo, v11, -4
	v_add_co_ci_u32_e32 v12, vcc_lo, -1, v26, vcc_lo
	v_cmp_eq_u32_e32 vcc_lo, 0, v30
	v_and_b32_e32 v25, v25, v27
	v_cndmask_b32_e64 v26, 1, 2, vcc_lo
	v_cmp_eq_u32_e32 vcc_lo, 0, v31
	s_delay_alu instid0(VALU_DEP_2) | instskip(SKIP_2) | instid1(VALU_DEP_2)
	v_and_b32_e32 v13, v25, v26
	v_cndmask_b32_e64 v14, 1, 2, vcc_lo
	v_cmp_eq_u32_e32 vcc_lo, 0, v16
	v_and_b32_e32 v13, v13, v14
	v_cndmask_b32_e64 v14, 1, 2, vcc_lo
	v_cmp_gt_u32_e32 vcc_lo, 0x100, v2
	s_delay_alu instid0(VALU_DEP_2) | instskip(NEXT) | instid1(VALU_DEP_1)
	v_and_b32_e32 v13, v13, v14
	v_cmp_gt_i16_e64 s15, 2, v13
	s_cbranch_vccnz .LBB839_150
; %bb.147:
	s_and_b32 vcc_lo, exec_lo, s16
	s_cbranch_vccnz .LBB839_156
.LBB839_148:
	v_cmp_eq_u32_e32 vcc_lo, 0xff, v0
	s_and_b32 s0, vcc_lo, s17
	s_delay_alu instid0(SALU_CYCLE_1)
	s_and_saveexec_b32 s1, s0
	s_cbranch_execnz .LBB839_165
.LBB839_149:
	s_nop 0
	s_sendmsg sendmsg(MSG_DEALLOC_VGPRS)
	s_endpgm
.LBB839_150:
	s_delay_alu instid0(VALU_DEP_1)
	s_and_saveexec_b32 s16, s15
	s_cbranch_execz .LBB839_155
; %bb.151:
	s_mov_b32 s18, 0
	s_mov_b32 s15, exec_lo
	v_cmpx_ne_u16_e32 1, v13
	s_xor_b32 s15, exec_lo, s15
	s_cbranch_execnz .LBB839_202
; %bb.152:
	s_and_not1_saveexec_b32 s15, s15
	s_cbranch_execnz .LBB839_218
.LBB839_153:
	s_or_b32 exec_lo, exec_lo, s15
	s_delay_alu instid0(SALU_CYCLE_1)
	s_and_b32 exec_lo, exec_lo, s18
	s_cbranch_execz .LBB839_155
.LBB839_154:
	v_sub_nc_u32_e32 v14, v49, v4
	v_mov_b32_e32 v15, 0
	s_delay_alu instid0(VALU_DEP_1) | instskip(NEXT) | instid1(VALU_DEP_1)
	v_lshlrev_b64 v[14:15], 2, v[14:15]
	v_add_co_u32 v14, vcc_lo, v11, v14
	s_delay_alu instid0(VALU_DEP_2)
	v_add_co_ci_u32_e32 v15, vcc_lo, v12, v15, vcc_lo
	global_store_b32 v[14:15], v50, off
.LBB839_155:
	s_or_b32 exec_lo, exec_lo, s16
	s_branch .LBB839_148
.LBB839_156:
	s_mov_b32 s15, exec_lo
	v_cmpx_gt_i16_e32 2, v13
	s_cbranch_execz .LBB839_161
; %bb.157:
	s_mov_b32 s18, 0
	s_mov_b32 s16, exec_lo
	v_cmpx_ne_u16_e32 1, v13
	s_xor_b32 s16, exec_lo, s16
	s_cbranch_execnz .LBB839_219
; %bb.158:
	s_and_not1_saveexec_b32 s0, s16
	s_cbranch_execnz .LBB839_235
.LBB839_159:
	s_or_b32 exec_lo, exec_lo, s0
	s_delay_alu instid0(SALU_CYCLE_1)
	s_and_b32 exec_lo, exec_lo, s18
	s_cbranch_execz .LBB839_161
.LBB839_160:
	v_sub_nc_u32_e32 v4, v49, v4
	s_delay_alu instid0(VALU_DEP_1)
	v_lshlrev_b32_e32 v4, 2, v4
	ds_store_b32 v4, v50
.LBB839_161:
	s_or_b32 exec_lo, exec_lo, s15
	s_delay_alu instid0(SALU_CYCLE_1)
	s_mov_b32 s1, exec_lo
	s_waitcnt lgkmcnt(0)
	s_waitcnt_vscnt null, 0x0
	s_barrier
	buffer_gl0_inv
	v_cmpx_lt_u32_e64 v0, v2
	s_cbranch_execz .LBB839_164
; %bb.162:
	v_dual_mov_b32 v5, 0 :: v_dual_lshlrev_b32 v6, 2, v0
	v_mov_b32_e32 v4, v0
	s_mov_b32 s2, 0
	.p2align	6
.LBB839_163:                            ; =>This Inner Loop Header: Depth=1
	ds_load_b32 v13, v6
	v_lshlrev_b64 v[7:8], 2, v[4:5]
	v_add_nc_u32_e32 v4, 0x100, v4
	v_add_nc_u32_e32 v6, 0x400, v6
	s_delay_alu instid0(VALU_DEP_2) | instskip(NEXT) | instid1(VALU_DEP_4)
	v_cmp_ge_u32_e32 vcc_lo, v4, v2
	v_add_co_u32 v7, s0, v11, v7
	s_delay_alu instid0(VALU_DEP_1)
	v_add_co_ci_u32_e64 v8, s0, v12, v8, s0
	s_or_b32 s2, vcc_lo, s2
	s_waitcnt lgkmcnt(0)
	global_store_b32 v[7:8], v13, off
	s_and_not1_b32 exec_lo, exec_lo, s2
	s_cbranch_execnz .LBB839_163
.LBB839_164:
	s_or_b32 exec_lo, exec_lo, s1
	v_cmp_eq_u32_e32 vcc_lo, 0xff, v0
	s_and_b32 s0, vcc_lo, s17
	s_delay_alu instid0(SALU_CYCLE_1)
	s_and_saveexec_b32 s1, s0
	s_cbranch_execz .LBB839_149
.LBB839_165:
	v_add_co_u32 v0, s0, v1, v3
	s_delay_alu instid0(VALU_DEP_1) | instskip(SKIP_1) | instid1(VALU_DEP_3)
	v_add_co_ci_u32_e64 v4, null, 0, 0, s0
	v_mov_b32_e32 v2, 0
	v_add_co_u32 v3, vcc_lo, v0, v23
	s_delay_alu instid0(VALU_DEP_3)
	v_add_co_ci_u32_e32 v4, vcc_lo, v4, v24, vcc_lo
	s_cmpk_lg_i32 s26, 0xf00
	global_store_b64 v2, v[3:4], s[30:31]
	s_cbranch_scc1 .LBB839_149
; %bb.166:
	v_lshlrev_b64 v[0:1], 2, v[1:2]
	s_delay_alu instid0(VALU_DEP_1) | instskip(NEXT) | instid1(VALU_DEP_2)
	v_add_co_u32 v0, vcc_lo, v9, v0
	v_add_co_ci_u32_e32 v1, vcc_lo, v10, v1, vcc_lo
	global_store_b32 v[0:1], v79, off offset:-4
	s_nop 0
	s_sendmsg sendmsg(MSG_DEALLOC_VGPRS)
	s_endpgm
.LBB839_167:
	s_or_b32 exec_lo, exec_lo, s4
	v_mov_b32_e32 v78, s1
	s_and_saveexec_b32 s1, s40
	s_cbranch_execnz .LBB839_88
	s_branch .LBB839_89
.LBB839_168:
	s_and_saveexec_b32 s19, s15
	s_cbranch_execnz .LBB839_236
; %bb.169:
	s_or_b32 exec_lo, exec_lo, s19
	s_and_saveexec_b32 s19, s14
	s_cbranch_execnz .LBB839_237
.LBB839_170:
	s_or_b32 exec_lo, exec_lo, s19
	s_and_saveexec_b32 s19, s13
	s_cbranch_execnz .LBB839_238
.LBB839_171:
	s_or_b32 exec_lo, exec_lo, s19
	s_and_saveexec_b32 s19, s12
	s_cbranch_execnz .LBB839_239
.LBB839_172:
	s_or_b32 exec_lo, exec_lo, s19
	s_and_saveexec_b32 s19, s11
	s_cbranch_execnz .LBB839_240
.LBB839_173:
	s_or_b32 exec_lo, exec_lo, s19
	s_and_saveexec_b32 s19, s10
	s_cbranch_execnz .LBB839_241
.LBB839_174:
	s_or_b32 exec_lo, exec_lo, s19
	s_and_saveexec_b32 s19, s8
	s_cbranch_execnz .LBB839_242
.LBB839_175:
	s_or_b32 exec_lo, exec_lo, s19
	s_and_saveexec_b32 s19, s6
	s_cbranch_execnz .LBB839_243
.LBB839_176:
	s_or_b32 exec_lo, exec_lo, s19
	s_and_saveexec_b32 s19, s9
	s_cbranch_execnz .LBB839_244
.LBB839_177:
	s_or_b32 exec_lo, exec_lo, s19
	s_and_saveexec_b32 s19, s7
	s_cbranch_execnz .LBB839_245
.LBB839_178:
	s_or_b32 exec_lo, exec_lo, s19
	s_and_saveexec_b32 s19, s5
	s_cbranch_execnz .LBB839_246
.LBB839_179:
	s_or_b32 exec_lo, exec_lo, s19
	s_and_saveexec_b32 s19, s4
	s_cbranch_execnz .LBB839_247
.LBB839_180:
	s_or_b32 exec_lo, exec_lo, s19
	s_and_saveexec_b32 s19, s3
	s_cbranch_execnz .LBB839_248
.LBB839_181:
	s_or_b32 exec_lo, exec_lo, s19
	s_and_saveexec_b32 s19, s1
	s_cbranch_execz .LBB839_183
.LBB839_182:
	v_sub_nc_u32_e32 v30, v57, v3
	v_mov_b32_e32 v31, 0
	s_delay_alu instid0(VALU_DEP_1) | instskip(NEXT) | instid1(VALU_DEP_1)
	v_lshlrev_b64 v[30:31], 2, v[30:31]
	v_add_co_u32 v30, vcc_lo, v2, v30
	s_delay_alu instid0(VALU_DEP_2)
	v_add_co_ci_u32_e32 v31, vcc_lo, v4, v31, vcc_lo
	global_store_b32 v[30:31], v10, off
.LBB839_183:
	s_or_b32 exec_lo, exec_lo, s19
	s_delay_alu instid0(SALU_CYCLE_1)
	s_and_b32 s19, s0, exec_lo
	s_and_not1_saveexec_b32 s16, s16
	s_cbranch_execz .LBB839_133
.LBB839_184:
	v_sub_nc_u32_e32 v30, v53, v3
	v_mov_b32_e32 v31, 0
	s_or_b32 s19, s19, exec_lo
	s_delay_alu instid0(VALU_DEP_1) | instskip(SKIP_1) | instid1(VALU_DEP_1)
	v_lshlrev_b64 v[32:33], 2, v[30:31]
	v_sub_nc_u32_e32 v30, v59, v3
	v_lshlrev_b64 v[34:35], 2, v[30:31]
	v_sub_nc_u32_e32 v30, v55, v3
	s_delay_alu instid0(VALU_DEP_4) | instskip(SKIP_1) | instid1(VALU_DEP_3)
	v_add_co_u32 v32, vcc_lo, v2, v32
	v_add_co_ci_u32_e32 v33, vcc_lo, v4, v33, vcc_lo
	v_lshlrev_b64 v[80:81], 2, v[30:31]
	v_sub_nc_u32_e32 v30, v51, v3
	v_add_co_u32 v34, vcc_lo, v2, v34
	v_add_co_ci_u32_e32 v35, vcc_lo, v4, v35, vcc_lo
	global_store_b32 v[32:33], v21, off
	v_lshlrev_b64 v[32:33], 2, v[30:31]
	v_sub_nc_u32_e32 v30, v45, v3
	global_store_b32 v[34:35], v22, off
	v_add_co_u32 v34, vcc_lo, v2, v80
	v_add_co_ci_u32_e32 v35, vcc_lo, v4, v81, vcc_lo
	v_lshlrev_b64 v[80:81], 2, v[30:31]
	v_sub_nc_u32_e32 v30, v41, v3
	v_add_co_u32 v32, vcc_lo, v2, v32
	v_add_co_ci_u32_e32 v33, vcc_lo, v4, v33, vcc_lo
	s_delay_alu instid0(VALU_DEP_3) | instskip(SKIP_3) | instid1(VALU_DEP_3)
	v_lshlrev_b64 v[82:83], 2, v[30:31]
	v_sub_nc_u32_e32 v30, v39, v3
	v_add_co_u32 v80, vcc_lo, v2, v80
	v_add_co_ci_u32_e32 v81, vcc_lo, v4, v81, vcc_lo
	v_lshlrev_b64 v[84:85], 2, v[30:31]
	v_sub_nc_u32_e32 v30, v43, v3
	v_add_co_u32 v82, vcc_lo, v2, v82
	v_add_co_ci_u32_e32 v83, vcc_lo, v4, v83, vcc_lo
	s_clause 0x3
	global_store_b32 v[34:35], v19, off
	global_store_b32 v[32:33], v20, off
	;; [unrolled: 1-line block ×4, first 2 shown]
	v_lshlrev_b64 v[32:33], 2, v[30:31]
	v_sub_nc_u32_e32 v30, v47, v3
	v_add_co_u32 v34, vcc_lo, v2, v84
	v_add_co_ci_u32_e32 v35, vcc_lo, v4, v85, vcc_lo
	s_delay_alu instid0(VALU_DEP_3) | instskip(SKIP_3) | instid1(VALU_DEP_3)
	v_lshlrev_b64 v[80:81], 2, v[30:31]
	v_sub_nc_u32_e32 v30, v5, v3
	v_add_co_u32 v32, vcc_lo, v2, v32
	v_add_co_ci_u32_e32 v33, vcc_lo, v4, v33, vcc_lo
	v_lshlrev_b64 v[82:83], 2, v[30:31]
	v_sub_nc_u32_e32 v30, v7, v3
	v_add_co_u32 v80, vcc_lo, v2, v80
	v_add_co_ci_u32_e32 v81, vcc_lo, v4, v81, vcc_lo
	s_delay_alu instid0(VALU_DEP_3)
	v_lshlrev_b64 v[84:85], 2, v[30:31]
	v_sub_nc_u32_e32 v30, v37, v3
	v_add_co_u32 v82, vcc_lo, v2, v82
	v_add_co_ci_u32_e32 v83, vcc_lo, v4, v83, vcc_lo
	s_clause 0x3
	global_store_b32 v[34:35], v15, off
	global_store_b32 v[32:33], v16, off
	;; [unrolled: 1-line block ×4, first 2 shown]
	v_lshlrev_b64 v[32:33], 2, v[30:31]
	v_sub_nc_u32_e32 v30, v61, v3
	v_add_co_u32 v34, vcc_lo, v2, v84
	v_add_co_ci_u32_e32 v35, vcc_lo, v4, v85, vcc_lo
	s_delay_alu instid0(VALU_DEP_3) | instskip(SKIP_3) | instid1(VALU_DEP_3)
	v_lshlrev_b64 v[80:81], 2, v[30:31]
	v_sub_nc_u32_e32 v30, v57, v3
	v_add_co_u32 v32, vcc_lo, v2, v32
	v_add_co_ci_u32_e32 v33, vcc_lo, v4, v33, vcc_lo
	v_lshlrev_b64 v[30:31], 2, v[30:31]
	v_add_co_u32 v80, vcc_lo, v2, v80
	v_add_co_ci_u32_e32 v81, vcc_lo, v4, v81, vcc_lo
	s_clause 0x2
	global_store_b32 v[34:35], v11, off
	global_store_b32 v[32:33], v12, off
	;; [unrolled: 1-line block ×3, first 2 shown]
	v_add_co_u32 v30, vcc_lo, v2, v30
	v_add_co_ci_u32_e32 v31, vcc_lo, v4, v31, vcc_lo
	global_store_b32 v[30:31], v10, off
	s_or_b32 exec_lo, exec_lo, s16
	s_delay_alu instid0(SALU_CYCLE_1)
	s_and_b32 exec_lo, exec_lo, s19
	s_cbranch_execnz .LBB839_134
	s_branch .LBB839_135
.LBB839_185:
	s_and_saveexec_b32 s19, s15
	s_cbranch_execnz .LBB839_249
; %bb.186:
	s_or_b32 exec_lo, exec_lo, s19
	s_and_saveexec_b32 s15, s14
	s_cbranch_execnz .LBB839_250
.LBB839_187:
	s_or_b32 exec_lo, exec_lo, s15
	s_and_saveexec_b32 s14, s13
	s_cbranch_execnz .LBB839_251
.LBB839_188:
	s_or_b32 exec_lo, exec_lo, s14
	s_and_saveexec_b32 s13, s12
	s_cbranch_execnz .LBB839_252
.LBB839_189:
	s_or_b32 exec_lo, exec_lo, s13
	s_and_saveexec_b32 s12, s11
	s_cbranch_execnz .LBB839_253
.LBB839_190:
	s_or_b32 exec_lo, exec_lo, s12
	s_and_saveexec_b32 s11, s10
	s_cbranch_execnz .LBB839_254
.LBB839_191:
	s_or_b32 exec_lo, exec_lo, s11
	s_and_saveexec_b32 s10, s8
	s_cbranch_execnz .LBB839_255
.LBB839_192:
	s_or_b32 exec_lo, exec_lo, s10
	s_and_saveexec_b32 s8, s6
	s_cbranch_execnz .LBB839_256
.LBB839_193:
	s_or_b32 exec_lo, exec_lo, s8
	s_and_saveexec_b32 s6, s9
	s_cbranch_execnz .LBB839_257
.LBB839_194:
	s_or_b32 exec_lo, exec_lo, s6
	s_and_saveexec_b32 s6, s7
	s_cbranch_execnz .LBB839_258
.LBB839_195:
	s_or_b32 exec_lo, exec_lo, s6
	s_and_saveexec_b32 s6, s5
	s_cbranch_execnz .LBB839_259
.LBB839_196:
	s_or_b32 exec_lo, exec_lo, s6
	s_and_saveexec_b32 s5, s4
	s_cbranch_execnz .LBB839_260
.LBB839_197:
	s_or_b32 exec_lo, exec_lo, s5
	s_and_saveexec_b32 s4, s3
	s_cbranch_execnz .LBB839_261
.LBB839_198:
	s_or_b32 exec_lo, exec_lo, s4
	s_and_saveexec_b32 s3, s1
	s_cbranch_execz .LBB839_200
.LBB839_199:
	v_sub_nc_u32_e32 v9, v57, v3
	s_delay_alu instid0(VALU_DEP_1)
	v_lshlrev_b32_e32 v9, 2, v9
	ds_store_b32 v9, v10
.LBB839_200:
	s_or_b32 exec_lo, exec_lo, s3
	s_delay_alu instid0(SALU_CYCLE_1)
	s_and_b32 s19, s0, exec_lo
                                        ; implicit-def: $vgpr21
                                        ; implicit-def: $vgpr19
                                        ; implicit-def: $vgpr17
                                        ; implicit-def: $vgpr15
                                        ; implicit-def: $vgpr13
                                        ; implicit-def: $vgpr11
                                        ; implicit-def: $vgpr9
	s_and_not1_saveexec_b32 s0, s18
	s_cbranch_execz .LBB839_140
.LBB839_201:
	v_sub_nc_u32_e32 v29, v53, v3
	v_sub_nc_u32_e32 v32, v51, v3
	;; [unrolled: 1-line block ×4, first 2 shown]
	s_or_b32 s19, s19, exec_lo
	v_lshlrev_b32_e32 v29, 2, v29
	v_lshlrev_b32_e32 v32, 2, v32
	;; [unrolled: 1-line block ×4, first 2 shown]
	ds_store_b32 v29, v21
	ds_store_b32 v30, v22
	;; [unrolled: 1-line block ×3, first 2 shown]
	v_sub_nc_u32_e32 v19, v45, v3
	ds_store_b32 v32, v20
	v_sub_nc_u32_e32 v20, v41, v3
	v_sub_nc_u32_e32 v21, v39, v3
	;; [unrolled: 1-line block ×3, first 2 shown]
	v_lshlrev_b32_e32 v19, 2, v19
	v_sub_nc_u32_e32 v29, v47, v3
	v_lshlrev_b32_e32 v20, 2, v20
	v_lshlrev_b32_e32 v21, 2, v21
	;; [unrolled: 1-line block ×3, first 2 shown]
	ds_store_b32 v19, v17
	v_lshlrev_b32_e32 v17, 2, v29
	ds_store_b32 v20, v18
	ds_store_b32 v21, v15
	ds_store_b32 v22, v16
	v_sub_nc_u32_e32 v15, v5, v3
	v_sub_nc_u32_e32 v18, v57, v3
	;; [unrolled: 1-line block ×3, first 2 shown]
	ds_store_b32 v17, v13
	v_sub_nc_u32_e32 v13, v7, v3
	v_lshlrev_b32_e32 v15, 2, v15
	v_sub_nc_u32_e32 v17, v61, v3
	v_lshlrev_b32_e32 v16, 2, v16
	s_delay_alu instid0(VALU_DEP_4)
	v_lshlrev_b32_e32 v13, 2, v13
	ds_store_b32 v15, v14
	v_lshlrev_b32_e32 v14, 2, v18
	v_lshlrev_b32_e32 v17, 2, v17
	ds_store_b32 v13, v11
	ds_store_b32 v16, v12
	;; [unrolled: 1-line block ×4, first 2 shown]
	s_or_b32 exec_lo, exec_lo, s0
	s_delay_alu instid0(SALU_CYCLE_1)
	s_and_b32 exec_lo, exec_lo, s19
	s_cbranch_execnz .LBB839_141
	s_branch .LBB839_142
.LBB839_202:
	s_and_saveexec_b32 s18, s14
	s_cbranch_execnz .LBB839_262
; %bb.203:
	s_or_b32 exec_lo, exec_lo, s18
	s_and_saveexec_b32 s18, s13
	s_cbranch_execnz .LBB839_263
.LBB839_204:
	s_or_b32 exec_lo, exec_lo, s18
	s_and_saveexec_b32 s18, s12
	s_cbranch_execnz .LBB839_264
.LBB839_205:
	s_or_b32 exec_lo, exec_lo, s18
	s_and_saveexec_b32 s18, s11
	s_cbranch_execnz .LBB839_265
.LBB839_206:
	s_or_b32 exec_lo, exec_lo, s18
	s_and_saveexec_b32 s18, s10
	s_cbranch_execnz .LBB839_266
.LBB839_207:
	s_or_b32 exec_lo, exec_lo, s18
	s_and_saveexec_b32 s18, s9
	s_cbranch_execnz .LBB839_267
.LBB839_208:
	s_or_b32 exec_lo, exec_lo, s18
	s_and_saveexec_b32 s18, s8
	s_cbranch_execnz .LBB839_268
.LBB839_209:
	s_or_b32 exec_lo, exec_lo, s18
	s_and_saveexec_b32 s18, s7
	s_cbranch_execnz .LBB839_269
.LBB839_210:
	s_or_b32 exec_lo, exec_lo, s18
	s_and_saveexec_b32 s18, s6
	s_cbranch_execnz .LBB839_270
.LBB839_211:
	s_or_b32 exec_lo, exec_lo, s18
	s_and_saveexec_b32 s18, s5
	s_cbranch_execnz .LBB839_271
.LBB839_212:
	s_or_b32 exec_lo, exec_lo, s18
	s_and_saveexec_b32 s18, s4
	s_cbranch_execnz .LBB839_272
.LBB839_213:
	s_or_b32 exec_lo, exec_lo, s18
	s_and_saveexec_b32 s18, s3
	s_cbranch_execnz .LBB839_273
.LBB839_214:
	s_or_b32 exec_lo, exec_lo, s18
	s_and_saveexec_b32 s18, s2
	s_cbranch_execnz .LBB839_274
.LBB839_215:
	s_or_b32 exec_lo, exec_lo, s18
	s_and_saveexec_b32 s18, s1
	s_cbranch_execz .LBB839_217
.LBB839_216:
	v_sub_nc_u32_e32 v14, v57, v4
	v_mov_b32_e32 v15, 0
	s_delay_alu instid0(VALU_DEP_1) | instskip(NEXT) | instid1(VALU_DEP_1)
	v_lshlrev_b64 v[14:15], 2, v[14:15]
	v_add_co_u32 v14, vcc_lo, v11, v14
	s_delay_alu instid0(VALU_DEP_2)
	v_add_co_ci_u32_e32 v15, vcc_lo, v12, v15, vcc_lo
	global_store_b32 v[14:15], v58, off
.LBB839_217:
	s_or_b32 exec_lo, exec_lo, s18
	s_delay_alu instid0(SALU_CYCLE_1)
	s_and_b32 s18, s0, exec_lo
	s_and_not1_saveexec_b32 s15, s15
	s_cbranch_execz .LBB839_153
.LBB839_218:
	v_sub_nc_u32_e32 v14, v53, v4
	v_mov_b32_e32 v15, 0
	s_or_b32 s18, s18, exec_lo
	s_delay_alu instid0(VALU_DEP_1) | instskip(SKIP_1) | instid1(VALU_DEP_1)
	v_lshlrev_b64 v[16:17], 2, v[14:15]
	v_sub_nc_u32_e32 v14, v59, v4
	v_lshlrev_b64 v[18:19], 2, v[14:15]
	v_sub_nc_u32_e32 v14, v55, v4
	s_delay_alu instid0(VALU_DEP_4) | instskip(SKIP_1) | instid1(VALU_DEP_3)
	v_add_co_u32 v16, vcc_lo, v11, v16
	v_add_co_ci_u32_e32 v17, vcc_lo, v12, v17, vcc_lo
	v_lshlrev_b64 v[20:21], 2, v[14:15]
	v_sub_nc_u32_e32 v14, v51, v4
	v_add_co_u32 v18, vcc_lo, v11, v18
	v_add_co_ci_u32_e32 v19, vcc_lo, v12, v19, vcc_lo
	global_store_b32 v[16:17], v54, off
	v_lshlrev_b64 v[16:17], 2, v[14:15]
	v_sub_nc_u32_e32 v14, v45, v4
	global_store_b32 v[18:19], v60, off
	v_add_co_u32 v18, vcc_lo, v11, v20
	v_add_co_ci_u32_e32 v19, vcc_lo, v12, v21, vcc_lo
	v_lshlrev_b64 v[20:21], 2, v[14:15]
	v_sub_nc_u32_e32 v14, v41, v4
	v_add_co_u32 v16, vcc_lo, v11, v16
	v_add_co_ci_u32_e32 v17, vcc_lo, v12, v17, vcc_lo
	s_delay_alu instid0(VALU_DEP_3) | instskip(SKIP_3) | instid1(VALU_DEP_3)
	v_lshlrev_b64 v[25:26], 2, v[14:15]
	v_sub_nc_u32_e32 v14, v39, v4
	v_add_co_u32 v20, vcc_lo, v11, v20
	v_add_co_ci_u32_e32 v21, vcc_lo, v12, v21, vcc_lo
	v_lshlrev_b64 v[27:28], 2, v[14:15]
	v_sub_nc_u32_e32 v14, v43, v4
	v_add_co_u32 v25, vcc_lo, v11, v25
	v_add_co_ci_u32_e32 v26, vcc_lo, v12, v26, vcc_lo
	s_clause 0x3
	global_store_b32 v[18:19], v56, off
	global_store_b32 v[16:17], v52, off
	;; [unrolled: 1-line block ×4, first 2 shown]
	v_lshlrev_b64 v[16:17], 2, v[14:15]
	v_sub_nc_u32_e32 v14, v47, v4
	v_add_co_u32 v18, vcc_lo, v11, v27
	v_add_co_ci_u32_e32 v19, vcc_lo, v12, v28, vcc_lo
	s_delay_alu instid0(VALU_DEP_3) | instskip(SKIP_3) | instid1(VALU_DEP_3)
	v_lshlrev_b64 v[20:21], 2, v[14:15]
	v_sub_nc_u32_e32 v14, v5, v4
	v_add_co_u32 v16, vcc_lo, v11, v16
	v_add_co_ci_u32_e32 v17, vcc_lo, v12, v17, vcc_lo
	v_lshlrev_b64 v[25:26], 2, v[14:15]
	v_sub_nc_u32_e32 v14, v7, v4
	v_add_co_u32 v20, vcc_lo, v11, v20
	v_add_co_ci_u32_e32 v21, vcc_lo, v12, v21, vcc_lo
	s_delay_alu instid0(VALU_DEP_3)
	v_lshlrev_b64 v[27:28], 2, v[14:15]
	v_sub_nc_u32_e32 v14, v37, v4
	v_add_co_u32 v25, vcc_lo, v11, v25
	v_add_co_ci_u32_e32 v26, vcc_lo, v12, v26, vcc_lo
	s_clause 0x3
	global_store_b32 v[18:19], v40, off
	global_store_b32 v[16:17], v44, off
	;; [unrolled: 1-line block ×4, first 2 shown]
	v_lshlrev_b64 v[16:17], 2, v[14:15]
	v_sub_nc_u32_e32 v14, v61, v4
	v_add_co_u32 v18, vcc_lo, v11, v27
	v_add_co_ci_u32_e32 v19, vcc_lo, v12, v28, vcc_lo
	s_delay_alu instid0(VALU_DEP_3) | instskip(SKIP_3) | instid1(VALU_DEP_3)
	v_lshlrev_b64 v[20:21], 2, v[14:15]
	v_sub_nc_u32_e32 v14, v57, v4
	v_add_co_u32 v16, vcc_lo, v11, v16
	v_add_co_ci_u32_e32 v17, vcc_lo, v12, v17, vcc_lo
	v_lshlrev_b64 v[14:15], 2, v[14:15]
	v_add_co_u32 v20, vcc_lo, v11, v20
	v_add_co_ci_u32_e32 v21, vcc_lo, v12, v21, vcc_lo
	s_clause 0x2
	global_store_b32 v[18:19], v8, off
	global_store_b32 v[16:17], v38, off
	;; [unrolled: 1-line block ×3, first 2 shown]
	v_add_co_u32 v14, vcc_lo, v11, v14
	v_add_co_ci_u32_e32 v15, vcc_lo, v12, v15, vcc_lo
	global_store_b32 v[14:15], v58, off
	s_or_b32 exec_lo, exec_lo, s15
	s_delay_alu instid0(SALU_CYCLE_1)
	s_and_b32 exec_lo, exec_lo, s18
	s_cbranch_execnz .LBB839_154
	s_branch .LBB839_155
.LBB839_219:
	s_and_saveexec_b32 s18, s14
	s_cbranch_execnz .LBB839_275
; %bb.220:
	s_or_b32 exec_lo, exec_lo, s18
	s_and_saveexec_b32 s14, s13
	s_cbranch_execnz .LBB839_276
.LBB839_221:
	s_or_b32 exec_lo, exec_lo, s14
	s_and_saveexec_b32 s13, s12
	s_cbranch_execnz .LBB839_277
.LBB839_222:
	s_or_b32 exec_lo, exec_lo, s13
	s_and_saveexec_b32 s12, s11
	s_cbranch_execnz .LBB839_278
.LBB839_223:
	s_or_b32 exec_lo, exec_lo, s12
	s_and_saveexec_b32 s11, s10
	s_cbranch_execnz .LBB839_279
.LBB839_224:
	s_or_b32 exec_lo, exec_lo, s11
	s_and_saveexec_b32 s10, s9
	s_cbranch_execnz .LBB839_280
.LBB839_225:
	s_or_b32 exec_lo, exec_lo, s10
	s_and_saveexec_b32 s9, s8
	s_cbranch_execnz .LBB839_281
.LBB839_226:
	s_or_b32 exec_lo, exec_lo, s9
	s_and_saveexec_b32 s8, s7
	s_cbranch_execnz .LBB839_282
.LBB839_227:
	s_or_b32 exec_lo, exec_lo, s8
	s_and_saveexec_b32 s7, s6
	s_cbranch_execnz .LBB839_283
.LBB839_228:
	s_or_b32 exec_lo, exec_lo, s7
	s_and_saveexec_b32 s6, s5
	s_cbranch_execnz .LBB839_284
.LBB839_229:
	s_or_b32 exec_lo, exec_lo, s6
	s_and_saveexec_b32 s5, s4
	s_cbranch_execnz .LBB839_285
.LBB839_230:
	s_or_b32 exec_lo, exec_lo, s5
	s_and_saveexec_b32 s4, s3
	s_cbranch_execnz .LBB839_286
.LBB839_231:
	s_or_b32 exec_lo, exec_lo, s4
	s_and_saveexec_b32 s3, s2
	s_cbranch_execnz .LBB839_287
.LBB839_232:
	s_or_b32 exec_lo, exec_lo, s3
	s_and_saveexec_b32 s2, s1
	s_cbranch_execz .LBB839_234
.LBB839_233:
	v_sub_nc_u32_e32 v5, v57, v4
	s_delay_alu instid0(VALU_DEP_1)
	v_lshlrev_b32_e32 v5, 2, v5
	ds_store_b32 v5, v58
.LBB839_234:
	s_or_b32 exec_lo, exec_lo, s2
	s_delay_alu instid0(SALU_CYCLE_1)
	s_and_b32 s18, s0, exec_lo
                                        ; implicit-def: $vgpr53_vgpr54
                                        ; implicit-def: $vgpr59_vgpr60
                                        ; implicit-def: $vgpr55_vgpr56
                                        ; implicit-def: $vgpr51_vgpr52
                                        ; implicit-def: $vgpr45_vgpr46
                                        ; implicit-def: $vgpr41_vgpr42
                                        ; implicit-def: $vgpr39_vgpr40
                                        ; implicit-def: $vgpr43_vgpr44
                                        ; implicit-def: $vgpr47_vgpr48
                                        ; implicit-def: $vgpr5_vgpr6
                                        ; implicit-def: $vgpr7_vgpr8
                                        ; implicit-def: $vgpr37_vgpr38
                                        ; implicit-def: $vgpr61_vgpr62
                                        ; implicit-def: $vgpr57_vgpr58
	s_and_not1_saveexec_b32 s0, s16
	s_cbranch_execz .LBB839_159
.LBB839_235:
	v_sub_nc_u32_e32 v13, v53, v4
	v_sub_nc_u32_e32 v14, v59, v4
	;; [unrolled: 1-line block ×5, first 2 shown]
	v_lshlrev_b32_e32 v13, 2, v13
	v_lshlrev_b32_e32 v14, 2, v14
	;; [unrolled: 1-line block ×4, first 2 shown]
	v_sub_nc_u32_e32 v5, v5, v4
	ds_store_b32 v13, v54
	ds_store_b32 v14, v60
	;; [unrolled: 1-line block ×3, first 2 shown]
	v_sub_nc_u32_e32 v13, v45, v4
	v_sub_nc_u32_e32 v14, v41, v4
	;; [unrolled: 1-line block ×3, first 2 shown]
	ds_store_b32 v16, v52
	v_sub_nc_u32_e32 v16, v43, v4
	v_lshlrev_b32_e32 v13, 2, v13
	v_lshlrev_b32_e32 v14, 2, v14
	;; [unrolled: 1-line block ×3, first 2 shown]
	v_sub_nc_u32_e32 v7, v7, v4
	v_lshlrev_b32_e32 v16, 2, v16
	ds_store_b32 v13, v46
	v_lshlrev_b32_e32 v13, 2, v17
	ds_store_b32 v14, v42
	ds_store_b32 v15, v40
	;; [unrolled: 1-line block ×3, first 2 shown]
	v_lshlrev_b32_e32 v5, 2, v5
	v_sub_nc_u32_e32 v15, v57, v4
	v_sub_nc_u32_e32 v14, v61, v4
	ds_store_b32 v13, v48
	v_sub_nc_u32_e32 v13, v37, v4
	v_lshlrev_b32_e32 v7, 2, v7
	ds_store_b32 v5, v6
	v_lshlrev_b32_e32 v5, 2, v15
	v_lshlrev_b32_e32 v14, 2, v14
	;; [unrolled: 1-line block ×3, first 2 shown]
	s_or_b32 s18, s18, exec_lo
	ds_store_b32 v7, v8
	ds_store_b32 v13, v38
	;; [unrolled: 1-line block ×4, first 2 shown]
	s_or_b32 exec_lo, exec_lo, s0
	s_delay_alu instid0(SALU_CYCLE_1)
	s_and_b32 exec_lo, exec_lo, s18
	s_cbranch_execnz .LBB839_160
	s_branch .LBB839_161
.LBB839_236:
	v_sub_nc_u32_e32 v30, v53, v3
	v_mov_b32_e32 v31, 0
	s_delay_alu instid0(VALU_DEP_1) | instskip(NEXT) | instid1(VALU_DEP_1)
	v_lshlrev_b64 v[30:31], 2, v[30:31]
	v_add_co_u32 v30, vcc_lo, v2, v30
	s_delay_alu instid0(VALU_DEP_2)
	v_add_co_ci_u32_e32 v31, vcc_lo, v4, v31, vcc_lo
	global_store_b32 v[30:31], v21, off
	s_or_b32 exec_lo, exec_lo, s19
	s_and_saveexec_b32 s19, s14
	s_cbranch_execz .LBB839_170
.LBB839_237:
	v_sub_nc_u32_e32 v30, v59, v3
	v_mov_b32_e32 v31, 0
	s_delay_alu instid0(VALU_DEP_1) | instskip(NEXT) | instid1(VALU_DEP_1)
	v_lshlrev_b64 v[30:31], 2, v[30:31]
	v_add_co_u32 v30, vcc_lo, v2, v30
	s_delay_alu instid0(VALU_DEP_2)
	v_add_co_ci_u32_e32 v31, vcc_lo, v4, v31, vcc_lo
	global_store_b32 v[30:31], v22, off
	s_or_b32 exec_lo, exec_lo, s19
	s_and_saveexec_b32 s19, s13
	s_cbranch_execz .LBB839_171
.LBB839_238:
	v_sub_nc_u32_e32 v30, v55, v3
	v_mov_b32_e32 v31, 0
	s_delay_alu instid0(VALU_DEP_1) | instskip(NEXT) | instid1(VALU_DEP_1)
	v_lshlrev_b64 v[30:31], 2, v[30:31]
	v_add_co_u32 v30, vcc_lo, v2, v30
	s_delay_alu instid0(VALU_DEP_2)
	v_add_co_ci_u32_e32 v31, vcc_lo, v4, v31, vcc_lo
	global_store_b32 v[30:31], v19, off
	s_or_b32 exec_lo, exec_lo, s19
	s_and_saveexec_b32 s19, s12
	s_cbranch_execz .LBB839_172
.LBB839_239:
	v_sub_nc_u32_e32 v30, v51, v3
	v_mov_b32_e32 v31, 0
	s_delay_alu instid0(VALU_DEP_1) | instskip(NEXT) | instid1(VALU_DEP_1)
	v_lshlrev_b64 v[30:31], 2, v[30:31]
	v_add_co_u32 v30, vcc_lo, v2, v30
	s_delay_alu instid0(VALU_DEP_2)
	v_add_co_ci_u32_e32 v31, vcc_lo, v4, v31, vcc_lo
	global_store_b32 v[30:31], v20, off
	s_or_b32 exec_lo, exec_lo, s19
	s_and_saveexec_b32 s19, s11
	s_cbranch_execz .LBB839_173
.LBB839_240:
	v_sub_nc_u32_e32 v30, v45, v3
	v_mov_b32_e32 v31, 0
	s_delay_alu instid0(VALU_DEP_1) | instskip(NEXT) | instid1(VALU_DEP_1)
	v_lshlrev_b64 v[30:31], 2, v[30:31]
	v_add_co_u32 v30, vcc_lo, v2, v30
	s_delay_alu instid0(VALU_DEP_2)
	v_add_co_ci_u32_e32 v31, vcc_lo, v4, v31, vcc_lo
	global_store_b32 v[30:31], v17, off
	s_or_b32 exec_lo, exec_lo, s19
	s_and_saveexec_b32 s19, s10
	s_cbranch_execz .LBB839_174
.LBB839_241:
	v_sub_nc_u32_e32 v30, v41, v3
	v_mov_b32_e32 v31, 0
	s_delay_alu instid0(VALU_DEP_1) | instskip(NEXT) | instid1(VALU_DEP_1)
	v_lshlrev_b64 v[30:31], 2, v[30:31]
	v_add_co_u32 v30, vcc_lo, v2, v30
	s_delay_alu instid0(VALU_DEP_2)
	v_add_co_ci_u32_e32 v31, vcc_lo, v4, v31, vcc_lo
	global_store_b32 v[30:31], v18, off
	s_or_b32 exec_lo, exec_lo, s19
	s_and_saveexec_b32 s19, s8
	s_cbranch_execz .LBB839_175
.LBB839_242:
	v_sub_nc_u32_e32 v30, v39, v3
	v_mov_b32_e32 v31, 0
	s_delay_alu instid0(VALU_DEP_1) | instskip(NEXT) | instid1(VALU_DEP_1)
	v_lshlrev_b64 v[30:31], 2, v[30:31]
	v_add_co_u32 v30, vcc_lo, v2, v30
	s_delay_alu instid0(VALU_DEP_2)
	v_add_co_ci_u32_e32 v31, vcc_lo, v4, v31, vcc_lo
	global_store_b32 v[30:31], v15, off
	s_or_b32 exec_lo, exec_lo, s19
	s_and_saveexec_b32 s19, s6
	s_cbranch_execz .LBB839_176
.LBB839_243:
	v_sub_nc_u32_e32 v30, v43, v3
	v_mov_b32_e32 v31, 0
	s_delay_alu instid0(VALU_DEP_1) | instskip(NEXT) | instid1(VALU_DEP_1)
	v_lshlrev_b64 v[30:31], 2, v[30:31]
	v_add_co_u32 v30, vcc_lo, v2, v30
	s_delay_alu instid0(VALU_DEP_2)
	v_add_co_ci_u32_e32 v31, vcc_lo, v4, v31, vcc_lo
	global_store_b32 v[30:31], v16, off
	s_or_b32 exec_lo, exec_lo, s19
	s_and_saveexec_b32 s19, s9
	s_cbranch_execz .LBB839_177
.LBB839_244:
	v_sub_nc_u32_e32 v30, v47, v3
	v_mov_b32_e32 v31, 0
	s_delay_alu instid0(VALU_DEP_1) | instskip(NEXT) | instid1(VALU_DEP_1)
	v_lshlrev_b64 v[30:31], 2, v[30:31]
	v_add_co_u32 v30, vcc_lo, v2, v30
	s_delay_alu instid0(VALU_DEP_2)
	v_add_co_ci_u32_e32 v31, vcc_lo, v4, v31, vcc_lo
	global_store_b32 v[30:31], v13, off
	s_or_b32 exec_lo, exec_lo, s19
	s_and_saveexec_b32 s19, s7
	s_cbranch_execz .LBB839_178
.LBB839_245:
	v_sub_nc_u32_e32 v30, v5, v3
	v_mov_b32_e32 v31, 0
	s_delay_alu instid0(VALU_DEP_1) | instskip(NEXT) | instid1(VALU_DEP_1)
	v_lshlrev_b64 v[30:31], 2, v[30:31]
	v_add_co_u32 v30, vcc_lo, v2, v30
	s_delay_alu instid0(VALU_DEP_2)
	v_add_co_ci_u32_e32 v31, vcc_lo, v4, v31, vcc_lo
	global_store_b32 v[30:31], v14, off
	s_or_b32 exec_lo, exec_lo, s19
	s_and_saveexec_b32 s19, s5
	s_cbranch_execz .LBB839_179
.LBB839_246:
	v_sub_nc_u32_e32 v30, v7, v3
	v_mov_b32_e32 v31, 0
	s_delay_alu instid0(VALU_DEP_1) | instskip(NEXT) | instid1(VALU_DEP_1)
	v_lshlrev_b64 v[30:31], 2, v[30:31]
	v_add_co_u32 v30, vcc_lo, v2, v30
	s_delay_alu instid0(VALU_DEP_2)
	v_add_co_ci_u32_e32 v31, vcc_lo, v4, v31, vcc_lo
	global_store_b32 v[30:31], v11, off
	s_or_b32 exec_lo, exec_lo, s19
	s_and_saveexec_b32 s19, s4
	s_cbranch_execz .LBB839_180
.LBB839_247:
	v_sub_nc_u32_e32 v30, v37, v3
	v_mov_b32_e32 v31, 0
	s_delay_alu instid0(VALU_DEP_1) | instskip(NEXT) | instid1(VALU_DEP_1)
	v_lshlrev_b64 v[30:31], 2, v[30:31]
	v_add_co_u32 v30, vcc_lo, v2, v30
	s_delay_alu instid0(VALU_DEP_2)
	v_add_co_ci_u32_e32 v31, vcc_lo, v4, v31, vcc_lo
	global_store_b32 v[30:31], v12, off
	s_or_b32 exec_lo, exec_lo, s19
	s_and_saveexec_b32 s19, s3
	s_cbranch_execz .LBB839_181
.LBB839_248:
	v_sub_nc_u32_e32 v30, v61, v3
	v_mov_b32_e32 v31, 0
	s_delay_alu instid0(VALU_DEP_1) | instskip(NEXT) | instid1(VALU_DEP_1)
	v_lshlrev_b64 v[30:31], 2, v[30:31]
	v_add_co_u32 v30, vcc_lo, v2, v30
	s_delay_alu instid0(VALU_DEP_2)
	v_add_co_ci_u32_e32 v31, vcc_lo, v4, v31, vcc_lo
	global_store_b32 v[30:31], v9, off
	s_or_b32 exec_lo, exec_lo, s19
	s_and_saveexec_b32 s19, s1
	s_cbranch_execnz .LBB839_182
	s_branch .LBB839_183
.LBB839_249:
	v_sub_nc_u32_e32 v29, v53, v3
	s_delay_alu instid0(VALU_DEP_1)
	v_lshlrev_b32_e32 v29, 2, v29
	ds_store_b32 v29, v21
	s_or_b32 exec_lo, exec_lo, s19
	s_and_saveexec_b32 s15, s14
	s_cbranch_execz .LBB839_187
.LBB839_250:
	v_sub_nc_u32_e32 v21, v59, v3
	s_delay_alu instid0(VALU_DEP_1)
	v_lshlrev_b32_e32 v21, 2, v21
	ds_store_b32 v21, v22
	s_or_b32 exec_lo, exec_lo, s15
	s_and_saveexec_b32 s14, s13
	s_cbranch_execz .LBB839_188
.LBB839_251:
	v_sub_nc_u32_e32 v21, v55, v3
	s_delay_alu instid0(VALU_DEP_1)
	v_lshlrev_b32_e32 v21, 2, v21
	ds_store_b32 v21, v19
	s_or_b32 exec_lo, exec_lo, s14
	s_and_saveexec_b32 s13, s12
	s_cbranch_execz .LBB839_189
.LBB839_252:
	v_sub_nc_u32_e32 v19, v51, v3
	s_delay_alu instid0(VALU_DEP_1)
	v_lshlrev_b32_e32 v19, 2, v19
	ds_store_b32 v19, v20
	s_or_b32 exec_lo, exec_lo, s13
	s_and_saveexec_b32 s12, s11
	s_cbranch_execz .LBB839_190
.LBB839_253:
	v_sub_nc_u32_e32 v19, v45, v3
	s_delay_alu instid0(VALU_DEP_1)
	v_lshlrev_b32_e32 v19, 2, v19
	ds_store_b32 v19, v17
	s_or_b32 exec_lo, exec_lo, s12
	s_and_saveexec_b32 s11, s10
	s_cbranch_execz .LBB839_191
.LBB839_254:
	v_sub_nc_u32_e32 v17, v41, v3
	s_delay_alu instid0(VALU_DEP_1)
	v_lshlrev_b32_e32 v17, 2, v17
	ds_store_b32 v17, v18
	s_or_b32 exec_lo, exec_lo, s11
	s_and_saveexec_b32 s10, s8
	s_cbranch_execz .LBB839_192
.LBB839_255:
	v_sub_nc_u32_e32 v17, v39, v3
	s_delay_alu instid0(VALU_DEP_1)
	v_lshlrev_b32_e32 v17, 2, v17
	ds_store_b32 v17, v15
	s_or_b32 exec_lo, exec_lo, s10
	s_and_saveexec_b32 s8, s6
	s_cbranch_execz .LBB839_193
.LBB839_256:
	v_sub_nc_u32_e32 v15, v43, v3
	s_delay_alu instid0(VALU_DEP_1)
	v_lshlrev_b32_e32 v15, 2, v15
	ds_store_b32 v15, v16
	s_or_b32 exec_lo, exec_lo, s8
	s_and_saveexec_b32 s6, s9
	s_cbranch_execz .LBB839_194
.LBB839_257:
	v_sub_nc_u32_e32 v15, v47, v3
	s_delay_alu instid0(VALU_DEP_1)
	v_lshlrev_b32_e32 v15, 2, v15
	ds_store_b32 v15, v13
	s_or_b32 exec_lo, exec_lo, s6
	s_and_saveexec_b32 s6, s7
	s_cbranch_execz .LBB839_195
.LBB839_258:
	v_sub_nc_u32_e32 v13, v5, v3
	s_delay_alu instid0(VALU_DEP_1)
	v_lshlrev_b32_e32 v13, 2, v13
	ds_store_b32 v13, v14
	s_or_b32 exec_lo, exec_lo, s6
	s_and_saveexec_b32 s6, s5
	s_cbranch_execz .LBB839_196
.LBB839_259:
	v_sub_nc_u32_e32 v13, v7, v3
	s_delay_alu instid0(VALU_DEP_1)
	v_lshlrev_b32_e32 v13, 2, v13
	ds_store_b32 v13, v11
	s_or_b32 exec_lo, exec_lo, s6
	s_and_saveexec_b32 s5, s4
	s_cbranch_execz .LBB839_197
.LBB839_260:
	v_sub_nc_u32_e32 v11, v37, v3
	s_delay_alu instid0(VALU_DEP_1)
	v_lshlrev_b32_e32 v11, 2, v11
	ds_store_b32 v11, v12
	s_or_b32 exec_lo, exec_lo, s5
	s_and_saveexec_b32 s4, s3
	s_cbranch_execz .LBB839_198
.LBB839_261:
	v_sub_nc_u32_e32 v11, v61, v3
	s_delay_alu instid0(VALU_DEP_1)
	v_lshlrev_b32_e32 v11, 2, v11
	ds_store_b32 v11, v9
	s_or_b32 exec_lo, exec_lo, s4
	s_and_saveexec_b32 s3, s1
	s_cbranch_execnz .LBB839_199
	s_branch .LBB839_200
.LBB839_262:
	v_sub_nc_u32_e32 v14, v53, v4
	v_mov_b32_e32 v15, 0
	s_delay_alu instid0(VALU_DEP_1) | instskip(NEXT) | instid1(VALU_DEP_1)
	v_lshlrev_b64 v[14:15], 2, v[14:15]
	v_add_co_u32 v14, vcc_lo, v11, v14
	s_delay_alu instid0(VALU_DEP_2)
	v_add_co_ci_u32_e32 v15, vcc_lo, v12, v15, vcc_lo
	global_store_b32 v[14:15], v54, off
	s_or_b32 exec_lo, exec_lo, s18
	s_and_saveexec_b32 s18, s13
	s_cbranch_execz .LBB839_204
.LBB839_263:
	v_sub_nc_u32_e32 v14, v59, v4
	v_mov_b32_e32 v15, 0
	s_delay_alu instid0(VALU_DEP_1) | instskip(NEXT) | instid1(VALU_DEP_1)
	v_lshlrev_b64 v[14:15], 2, v[14:15]
	v_add_co_u32 v14, vcc_lo, v11, v14
	s_delay_alu instid0(VALU_DEP_2)
	v_add_co_ci_u32_e32 v15, vcc_lo, v12, v15, vcc_lo
	global_store_b32 v[14:15], v60, off
	s_or_b32 exec_lo, exec_lo, s18
	s_and_saveexec_b32 s18, s12
	s_cbranch_execz .LBB839_205
.LBB839_264:
	v_sub_nc_u32_e32 v14, v55, v4
	v_mov_b32_e32 v15, 0
	s_delay_alu instid0(VALU_DEP_1) | instskip(NEXT) | instid1(VALU_DEP_1)
	v_lshlrev_b64 v[14:15], 2, v[14:15]
	v_add_co_u32 v14, vcc_lo, v11, v14
	s_delay_alu instid0(VALU_DEP_2)
	v_add_co_ci_u32_e32 v15, vcc_lo, v12, v15, vcc_lo
	global_store_b32 v[14:15], v56, off
	s_or_b32 exec_lo, exec_lo, s18
	s_and_saveexec_b32 s18, s11
	s_cbranch_execz .LBB839_206
.LBB839_265:
	v_sub_nc_u32_e32 v14, v51, v4
	v_mov_b32_e32 v15, 0
	s_delay_alu instid0(VALU_DEP_1) | instskip(NEXT) | instid1(VALU_DEP_1)
	v_lshlrev_b64 v[14:15], 2, v[14:15]
	v_add_co_u32 v14, vcc_lo, v11, v14
	s_delay_alu instid0(VALU_DEP_2)
	v_add_co_ci_u32_e32 v15, vcc_lo, v12, v15, vcc_lo
	global_store_b32 v[14:15], v52, off
	s_or_b32 exec_lo, exec_lo, s18
	s_and_saveexec_b32 s18, s10
	s_cbranch_execz .LBB839_207
.LBB839_266:
	v_sub_nc_u32_e32 v14, v45, v4
	v_mov_b32_e32 v15, 0
	s_delay_alu instid0(VALU_DEP_1) | instskip(NEXT) | instid1(VALU_DEP_1)
	v_lshlrev_b64 v[14:15], 2, v[14:15]
	v_add_co_u32 v14, vcc_lo, v11, v14
	s_delay_alu instid0(VALU_DEP_2)
	v_add_co_ci_u32_e32 v15, vcc_lo, v12, v15, vcc_lo
	global_store_b32 v[14:15], v46, off
	s_or_b32 exec_lo, exec_lo, s18
	s_and_saveexec_b32 s18, s9
	s_cbranch_execz .LBB839_208
.LBB839_267:
	v_sub_nc_u32_e32 v14, v41, v4
	v_mov_b32_e32 v15, 0
	s_delay_alu instid0(VALU_DEP_1) | instskip(NEXT) | instid1(VALU_DEP_1)
	v_lshlrev_b64 v[14:15], 2, v[14:15]
	v_add_co_u32 v14, vcc_lo, v11, v14
	s_delay_alu instid0(VALU_DEP_2)
	v_add_co_ci_u32_e32 v15, vcc_lo, v12, v15, vcc_lo
	global_store_b32 v[14:15], v42, off
	s_or_b32 exec_lo, exec_lo, s18
	s_and_saveexec_b32 s18, s8
	s_cbranch_execz .LBB839_209
.LBB839_268:
	v_sub_nc_u32_e32 v14, v39, v4
	v_mov_b32_e32 v15, 0
	s_delay_alu instid0(VALU_DEP_1) | instskip(NEXT) | instid1(VALU_DEP_1)
	v_lshlrev_b64 v[14:15], 2, v[14:15]
	v_add_co_u32 v14, vcc_lo, v11, v14
	s_delay_alu instid0(VALU_DEP_2)
	v_add_co_ci_u32_e32 v15, vcc_lo, v12, v15, vcc_lo
	global_store_b32 v[14:15], v40, off
	s_or_b32 exec_lo, exec_lo, s18
	s_and_saveexec_b32 s18, s7
	s_cbranch_execz .LBB839_210
.LBB839_269:
	v_sub_nc_u32_e32 v14, v43, v4
	v_mov_b32_e32 v15, 0
	s_delay_alu instid0(VALU_DEP_1) | instskip(NEXT) | instid1(VALU_DEP_1)
	v_lshlrev_b64 v[14:15], 2, v[14:15]
	v_add_co_u32 v14, vcc_lo, v11, v14
	s_delay_alu instid0(VALU_DEP_2)
	v_add_co_ci_u32_e32 v15, vcc_lo, v12, v15, vcc_lo
	global_store_b32 v[14:15], v44, off
	s_or_b32 exec_lo, exec_lo, s18
	s_and_saveexec_b32 s18, s6
	s_cbranch_execz .LBB839_211
.LBB839_270:
	v_sub_nc_u32_e32 v14, v47, v4
	v_mov_b32_e32 v15, 0
	s_delay_alu instid0(VALU_DEP_1) | instskip(NEXT) | instid1(VALU_DEP_1)
	v_lshlrev_b64 v[14:15], 2, v[14:15]
	v_add_co_u32 v14, vcc_lo, v11, v14
	s_delay_alu instid0(VALU_DEP_2)
	v_add_co_ci_u32_e32 v15, vcc_lo, v12, v15, vcc_lo
	global_store_b32 v[14:15], v48, off
	s_or_b32 exec_lo, exec_lo, s18
	s_and_saveexec_b32 s18, s5
	s_cbranch_execz .LBB839_212
.LBB839_271:
	v_sub_nc_u32_e32 v14, v5, v4
	v_mov_b32_e32 v15, 0
	s_delay_alu instid0(VALU_DEP_1) | instskip(NEXT) | instid1(VALU_DEP_1)
	v_lshlrev_b64 v[14:15], 2, v[14:15]
	v_add_co_u32 v14, vcc_lo, v11, v14
	s_delay_alu instid0(VALU_DEP_2)
	v_add_co_ci_u32_e32 v15, vcc_lo, v12, v15, vcc_lo
	global_store_b32 v[14:15], v6, off
	s_or_b32 exec_lo, exec_lo, s18
	s_and_saveexec_b32 s18, s4
	s_cbranch_execz .LBB839_213
.LBB839_272:
	v_sub_nc_u32_e32 v14, v7, v4
	v_mov_b32_e32 v15, 0
	s_delay_alu instid0(VALU_DEP_1) | instskip(NEXT) | instid1(VALU_DEP_1)
	v_lshlrev_b64 v[14:15], 2, v[14:15]
	v_add_co_u32 v14, vcc_lo, v11, v14
	s_delay_alu instid0(VALU_DEP_2)
	v_add_co_ci_u32_e32 v15, vcc_lo, v12, v15, vcc_lo
	global_store_b32 v[14:15], v8, off
	s_or_b32 exec_lo, exec_lo, s18
	s_and_saveexec_b32 s18, s3
	s_cbranch_execz .LBB839_214
.LBB839_273:
	v_sub_nc_u32_e32 v14, v37, v4
	v_mov_b32_e32 v15, 0
	s_delay_alu instid0(VALU_DEP_1) | instskip(NEXT) | instid1(VALU_DEP_1)
	v_lshlrev_b64 v[14:15], 2, v[14:15]
	v_add_co_u32 v14, vcc_lo, v11, v14
	s_delay_alu instid0(VALU_DEP_2)
	v_add_co_ci_u32_e32 v15, vcc_lo, v12, v15, vcc_lo
	global_store_b32 v[14:15], v38, off
	s_or_b32 exec_lo, exec_lo, s18
	s_and_saveexec_b32 s18, s2
	s_cbranch_execz .LBB839_215
.LBB839_274:
	v_sub_nc_u32_e32 v14, v61, v4
	v_mov_b32_e32 v15, 0
	s_delay_alu instid0(VALU_DEP_1) | instskip(NEXT) | instid1(VALU_DEP_1)
	v_lshlrev_b64 v[14:15], 2, v[14:15]
	v_add_co_u32 v14, vcc_lo, v11, v14
	s_delay_alu instid0(VALU_DEP_2)
	v_add_co_ci_u32_e32 v15, vcc_lo, v12, v15, vcc_lo
	global_store_b32 v[14:15], v62, off
	s_or_b32 exec_lo, exec_lo, s18
	s_and_saveexec_b32 s18, s1
	s_cbranch_execnz .LBB839_216
	s_branch .LBB839_217
.LBB839_275:
	v_sub_nc_u32_e32 v13, v53, v4
	s_delay_alu instid0(VALU_DEP_1)
	v_lshlrev_b32_e32 v13, 2, v13
	ds_store_b32 v13, v54
	s_or_b32 exec_lo, exec_lo, s18
	s_and_saveexec_b32 s14, s13
	s_cbranch_execz .LBB839_221
.LBB839_276:
	v_sub_nc_u32_e32 v13, v59, v4
	s_delay_alu instid0(VALU_DEP_1)
	v_lshlrev_b32_e32 v13, 2, v13
	ds_store_b32 v13, v60
	s_or_b32 exec_lo, exec_lo, s14
	s_and_saveexec_b32 s13, s12
	s_cbranch_execz .LBB839_222
.LBB839_277:
	v_sub_nc_u32_e32 v13, v55, v4
	s_delay_alu instid0(VALU_DEP_1)
	v_lshlrev_b32_e32 v13, 2, v13
	ds_store_b32 v13, v56
	s_or_b32 exec_lo, exec_lo, s13
	s_and_saveexec_b32 s12, s11
	s_cbranch_execz .LBB839_223
.LBB839_278:
	v_sub_nc_u32_e32 v13, v51, v4
	s_delay_alu instid0(VALU_DEP_1)
	v_lshlrev_b32_e32 v13, 2, v13
	ds_store_b32 v13, v52
	s_or_b32 exec_lo, exec_lo, s12
	s_and_saveexec_b32 s11, s10
	s_cbranch_execz .LBB839_224
.LBB839_279:
	v_sub_nc_u32_e32 v13, v45, v4
	s_delay_alu instid0(VALU_DEP_1)
	v_lshlrev_b32_e32 v13, 2, v13
	ds_store_b32 v13, v46
	s_or_b32 exec_lo, exec_lo, s11
	s_and_saveexec_b32 s10, s9
	s_cbranch_execz .LBB839_225
.LBB839_280:
	v_sub_nc_u32_e32 v13, v41, v4
	s_delay_alu instid0(VALU_DEP_1)
	v_lshlrev_b32_e32 v13, 2, v13
	ds_store_b32 v13, v42
	s_or_b32 exec_lo, exec_lo, s10
	s_and_saveexec_b32 s9, s8
	s_cbranch_execz .LBB839_226
.LBB839_281:
	v_sub_nc_u32_e32 v13, v39, v4
	s_delay_alu instid0(VALU_DEP_1)
	v_lshlrev_b32_e32 v13, 2, v13
	ds_store_b32 v13, v40
	s_or_b32 exec_lo, exec_lo, s9
	s_and_saveexec_b32 s8, s7
	s_cbranch_execz .LBB839_227
.LBB839_282:
	v_sub_nc_u32_e32 v13, v43, v4
	s_delay_alu instid0(VALU_DEP_1)
	v_lshlrev_b32_e32 v13, 2, v13
	ds_store_b32 v13, v44
	s_or_b32 exec_lo, exec_lo, s8
	s_and_saveexec_b32 s7, s6
	s_cbranch_execz .LBB839_228
.LBB839_283:
	v_sub_nc_u32_e32 v13, v47, v4
	s_delay_alu instid0(VALU_DEP_1)
	v_lshlrev_b32_e32 v13, 2, v13
	ds_store_b32 v13, v48
	s_or_b32 exec_lo, exec_lo, s7
	s_and_saveexec_b32 s6, s5
	s_cbranch_execz .LBB839_229
.LBB839_284:
	v_sub_nc_u32_e32 v5, v5, v4
	s_delay_alu instid0(VALU_DEP_1)
	v_lshlrev_b32_e32 v5, 2, v5
	ds_store_b32 v5, v6
	s_or_b32 exec_lo, exec_lo, s6
	s_and_saveexec_b32 s5, s4
	s_cbranch_execz .LBB839_230
.LBB839_285:
	v_sub_nc_u32_e32 v5, v7, v4
	s_delay_alu instid0(VALU_DEP_1)
	v_lshlrev_b32_e32 v5, 2, v5
	ds_store_b32 v5, v8
	s_or_b32 exec_lo, exec_lo, s5
	s_and_saveexec_b32 s4, s3
	s_cbranch_execz .LBB839_231
.LBB839_286:
	v_sub_nc_u32_e32 v5, v37, v4
	s_delay_alu instid0(VALU_DEP_1)
	v_lshlrev_b32_e32 v5, 2, v5
	ds_store_b32 v5, v38
	s_or_b32 exec_lo, exec_lo, s4
	s_and_saveexec_b32 s3, s2
	s_cbranch_execz .LBB839_232
.LBB839_287:
	v_sub_nc_u32_e32 v5, v61, v4
	s_delay_alu instid0(VALU_DEP_1)
	v_lshlrev_b32_e32 v5, 2, v5
	ds_store_b32 v5, v62
	s_or_b32 exec_lo, exec_lo, s3
	s_and_saveexec_b32 s2, s1
	s_cbranch_execnz .LBB839_233
	s_branch .LBB839_234
	.section	.rodata,"a",@progbits
	.p2align	6, 0x0
	.amdhsa_kernel _ZN7rocprim17ROCPRIM_400000_NS6detail17trampoline_kernelINS0_14default_configENS1_29reduce_by_key_config_selectorIijN6thrust23THRUST_200600_302600_NS4plusIjEEEEZZNS1_33reduce_by_key_impl_wrapped_configILNS1_25lookback_scan_determinismE0ES3_S9_NS6_6detail15normal_iteratorINS6_10device_ptrIiEEEENSD_INSE_IjEEEESG_SI_PmS8_NS6_8equal_toIiEEEE10hipError_tPvRmT2_T3_mT4_T5_T6_T7_T8_P12ihipStream_tbENKUlT_T0_E_clISt17integral_constantIbLb0EES12_IbLb1EEEEDaSY_SZ_EUlSY_E_NS1_11comp_targetILNS1_3genE9ELNS1_11target_archE1100ELNS1_3gpuE3ELNS1_3repE0EEENS1_30default_config_static_selectorELNS0_4arch9wavefront6targetE0EEEvT1_
		.amdhsa_group_segment_fixed_size 15360
		.amdhsa_private_segment_fixed_size 0
		.amdhsa_kernarg_size 120
		.amdhsa_user_sgpr_count 15
		.amdhsa_user_sgpr_dispatch_ptr 0
		.amdhsa_user_sgpr_queue_ptr 0
		.amdhsa_user_sgpr_kernarg_segment_ptr 1
		.amdhsa_user_sgpr_dispatch_id 0
		.amdhsa_user_sgpr_private_segment_size 0
		.amdhsa_wavefront_size32 1
		.amdhsa_uses_dynamic_stack 0
		.amdhsa_enable_private_segment 0
		.amdhsa_system_sgpr_workgroup_id_x 1
		.amdhsa_system_sgpr_workgroup_id_y 0
		.amdhsa_system_sgpr_workgroup_id_z 0
		.amdhsa_system_sgpr_workgroup_info 0
		.amdhsa_system_vgpr_workitem_id 0
		.amdhsa_next_free_vgpr 86
		.amdhsa_next_free_sgpr 44
		.amdhsa_reserve_vcc 1
		.amdhsa_float_round_mode_32 0
		.amdhsa_float_round_mode_16_64 0
		.amdhsa_float_denorm_mode_32 3
		.amdhsa_float_denorm_mode_16_64 3
		.amdhsa_dx10_clamp 1
		.amdhsa_ieee_mode 1
		.amdhsa_fp16_overflow 0
		.amdhsa_workgroup_processor_mode 1
		.amdhsa_memory_ordered 1
		.amdhsa_forward_progress 0
		.amdhsa_shared_vgpr_count 0
		.amdhsa_exception_fp_ieee_invalid_op 0
		.amdhsa_exception_fp_denorm_src 0
		.amdhsa_exception_fp_ieee_div_zero 0
		.amdhsa_exception_fp_ieee_overflow 0
		.amdhsa_exception_fp_ieee_underflow 0
		.amdhsa_exception_fp_ieee_inexact 0
		.amdhsa_exception_int_div_zero 0
	.end_amdhsa_kernel
	.section	.text._ZN7rocprim17ROCPRIM_400000_NS6detail17trampoline_kernelINS0_14default_configENS1_29reduce_by_key_config_selectorIijN6thrust23THRUST_200600_302600_NS4plusIjEEEEZZNS1_33reduce_by_key_impl_wrapped_configILNS1_25lookback_scan_determinismE0ES3_S9_NS6_6detail15normal_iteratorINS6_10device_ptrIiEEEENSD_INSE_IjEEEESG_SI_PmS8_NS6_8equal_toIiEEEE10hipError_tPvRmT2_T3_mT4_T5_T6_T7_T8_P12ihipStream_tbENKUlT_T0_E_clISt17integral_constantIbLb0EES12_IbLb1EEEEDaSY_SZ_EUlSY_E_NS1_11comp_targetILNS1_3genE9ELNS1_11target_archE1100ELNS1_3gpuE3ELNS1_3repE0EEENS1_30default_config_static_selectorELNS0_4arch9wavefront6targetE0EEEvT1_,"axG",@progbits,_ZN7rocprim17ROCPRIM_400000_NS6detail17trampoline_kernelINS0_14default_configENS1_29reduce_by_key_config_selectorIijN6thrust23THRUST_200600_302600_NS4plusIjEEEEZZNS1_33reduce_by_key_impl_wrapped_configILNS1_25lookback_scan_determinismE0ES3_S9_NS6_6detail15normal_iteratorINS6_10device_ptrIiEEEENSD_INSE_IjEEEESG_SI_PmS8_NS6_8equal_toIiEEEE10hipError_tPvRmT2_T3_mT4_T5_T6_T7_T8_P12ihipStream_tbENKUlT_T0_E_clISt17integral_constantIbLb0EES12_IbLb1EEEEDaSY_SZ_EUlSY_E_NS1_11comp_targetILNS1_3genE9ELNS1_11target_archE1100ELNS1_3gpuE3ELNS1_3repE0EEENS1_30default_config_static_selectorELNS0_4arch9wavefront6targetE0EEEvT1_,comdat
.Lfunc_end839:
	.size	_ZN7rocprim17ROCPRIM_400000_NS6detail17trampoline_kernelINS0_14default_configENS1_29reduce_by_key_config_selectorIijN6thrust23THRUST_200600_302600_NS4plusIjEEEEZZNS1_33reduce_by_key_impl_wrapped_configILNS1_25lookback_scan_determinismE0ES3_S9_NS6_6detail15normal_iteratorINS6_10device_ptrIiEEEENSD_INSE_IjEEEESG_SI_PmS8_NS6_8equal_toIiEEEE10hipError_tPvRmT2_T3_mT4_T5_T6_T7_T8_P12ihipStream_tbENKUlT_T0_E_clISt17integral_constantIbLb0EES12_IbLb1EEEEDaSY_SZ_EUlSY_E_NS1_11comp_targetILNS1_3genE9ELNS1_11target_archE1100ELNS1_3gpuE3ELNS1_3repE0EEENS1_30default_config_static_selectorELNS0_4arch9wavefront6targetE0EEEvT1_, .Lfunc_end839-_ZN7rocprim17ROCPRIM_400000_NS6detail17trampoline_kernelINS0_14default_configENS1_29reduce_by_key_config_selectorIijN6thrust23THRUST_200600_302600_NS4plusIjEEEEZZNS1_33reduce_by_key_impl_wrapped_configILNS1_25lookback_scan_determinismE0ES3_S9_NS6_6detail15normal_iteratorINS6_10device_ptrIiEEEENSD_INSE_IjEEEESG_SI_PmS8_NS6_8equal_toIiEEEE10hipError_tPvRmT2_T3_mT4_T5_T6_T7_T8_P12ihipStream_tbENKUlT_T0_E_clISt17integral_constantIbLb0EES12_IbLb1EEEEDaSY_SZ_EUlSY_E_NS1_11comp_targetILNS1_3genE9ELNS1_11target_archE1100ELNS1_3gpuE3ELNS1_3repE0EEENS1_30default_config_static_selectorELNS0_4arch9wavefront6targetE0EEEvT1_
                                        ; -- End function
	.section	.AMDGPU.csdata,"",@progbits
; Kernel info:
; codeLenInByte = 17132
; NumSgprs: 46
; NumVgprs: 86
; ScratchSize: 0
; MemoryBound: 0
; FloatMode: 240
; IeeeMode: 1
; LDSByteSize: 15360 bytes/workgroup (compile time only)
; SGPRBlocks: 5
; VGPRBlocks: 10
; NumSGPRsForWavesPerEU: 46
; NumVGPRsForWavesPerEU: 86
; Occupancy: 16
; WaveLimiterHint : 1
; COMPUTE_PGM_RSRC2:SCRATCH_EN: 0
; COMPUTE_PGM_RSRC2:USER_SGPR: 15
; COMPUTE_PGM_RSRC2:TRAP_HANDLER: 0
; COMPUTE_PGM_RSRC2:TGID_X_EN: 1
; COMPUTE_PGM_RSRC2:TGID_Y_EN: 0
; COMPUTE_PGM_RSRC2:TGID_Z_EN: 0
; COMPUTE_PGM_RSRC2:TIDIG_COMP_CNT: 0
	.section	.text._ZN7rocprim17ROCPRIM_400000_NS6detail17trampoline_kernelINS0_14default_configENS1_29reduce_by_key_config_selectorIijN6thrust23THRUST_200600_302600_NS4plusIjEEEEZZNS1_33reduce_by_key_impl_wrapped_configILNS1_25lookback_scan_determinismE0ES3_S9_NS6_6detail15normal_iteratorINS6_10device_ptrIiEEEENSD_INSE_IjEEEESG_SI_PmS8_NS6_8equal_toIiEEEE10hipError_tPvRmT2_T3_mT4_T5_T6_T7_T8_P12ihipStream_tbENKUlT_T0_E_clISt17integral_constantIbLb0EES12_IbLb1EEEEDaSY_SZ_EUlSY_E_NS1_11comp_targetILNS1_3genE8ELNS1_11target_archE1030ELNS1_3gpuE2ELNS1_3repE0EEENS1_30default_config_static_selectorELNS0_4arch9wavefront6targetE0EEEvT1_,"axG",@progbits,_ZN7rocprim17ROCPRIM_400000_NS6detail17trampoline_kernelINS0_14default_configENS1_29reduce_by_key_config_selectorIijN6thrust23THRUST_200600_302600_NS4plusIjEEEEZZNS1_33reduce_by_key_impl_wrapped_configILNS1_25lookback_scan_determinismE0ES3_S9_NS6_6detail15normal_iteratorINS6_10device_ptrIiEEEENSD_INSE_IjEEEESG_SI_PmS8_NS6_8equal_toIiEEEE10hipError_tPvRmT2_T3_mT4_T5_T6_T7_T8_P12ihipStream_tbENKUlT_T0_E_clISt17integral_constantIbLb0EES12_IbLb1EEEEDaSY_SZ_EUlSY_E_NS1_11comp_targetILNS1_3genE8ELNS1_11target_archE1030ELNS1_3gpuE2ELNS1_3repE0EEENS1_30default_config_static_selectorELNS0_4arch9wavefront6targetE0EEEvT1_,comdat
	.protected	_ZN7rocprim17ROCPRIM_400000_NS6detail17trampoline_kernelINS0_14default_configENS1_29reduce_by_key_config_selectorIijN6thrust23THRUST_200600_302600_NS4plusIjEEEEZZNS1_33reduce_by_key_impl_wrapped_configILNS1_25lookback_scan_determinismE0ES3_S9_NS6_6detail15normal_iteratorINS6_10device_ptrIiEEEENSD_INSE_IjEEEESG_SI_PmS8_NS6_8equal_toIiEEEE10hipError_tPvRmT2_T3_mT4_T5_T6_T7_T8_P12ihipStream_tbENKUlT_T0_E_clISt17integral_constantIbLb0EES12_IbLb1EEEEDaSY_SZ_EUlSY_E_NS1_11comp_targetILNS1_3genE8ELNS1_11target_archE1030ELNS1_3gpuE2ELNS1_3repE0EEENS1_30default_config_static_selectorELNS0_4arch9wavefront6targetE0EEEvT1_ ; -- Begin function _ZN7rocprim17ROCPRIM_400000_NS6detail17trampoline_kernelINS0_14default_configENS1_29reduce_by_key_config_selectorIijN6thrust23THRUST_200600_302600_NS4plusIjEEEEZZNS1_33reduce_by_key_impl_wrapped_configILNS1_25lookback_scan_determinismE0ES3_S9_NS6_6detail15normal_iteratorINS6_10device_ptrIiEEEENSD_INSE_IjEEEESG_SI_PmS8_NS6_8equal_toIiEEEE10hipError_tPvRmT2_T3_mT4_T5_T6_T7_T8_P12ihipStream_tbENKUlT_T0_E_clISt17integral_constantIbLb0EES12_IbLb1EEEEDaSY_SZ_EUlSY_E_NS1_11comp_targetILNS1_3genE8ELNS1_11target_archE1030ELNS1_3gpuE2ELNS1_3repE0EEENS1_30default_config_static_selectorELNS0_4arch9wavefront6targetE0EEEvT1_
	.globl	_ZN7rocprim17ROCPRIM_400000_NS6detail17trampoline_kernelINS0_14default_configENS1_29reduce_by_key_config_selectorIijN6thrust23THRUST_200600_302600_NS4plusIjEEEEZZNS1_33reduce_by_key_impl_wrapped_configILNS1_25lookback_scan_determinismE0ES3_S9_NS6_6detail15normal_iteratorINS6_10device_ptrIiEEEENSD_INSE_IjEEEESG_SI_PmS8_NS6_8equal_toIiEEEE10hipError_tPvRmT2_T3_mT4_T5_T6_T7_T8_P12ihipStream_tbENKUlT_T0_E_clISt17integral_constantIbLb0EES12_IbLb1EEEEDaSY_SZ_EUlSY_E_NS1_11comp_targetILNS1_3genE8ELNS1_11target_archE1030ELNS1_3gpuE2ELNS1_3repE0EEENS1_30default_config_static_selectorELNS0_4arch9wavefront6targetE0EEEvT1_
	.p2align	8
	.type	_ZN7rocprim17ROCPRIM_400000_NS6detail17trampoline_kernelINS0_14default_configENS1_29reduce_by_key_config_selectorIijN6thrust23THRUST_200600_302600_NS4plusIjEEEEZZNS1_33reduce_by_key_impl_wrapped_configILNS1_25lookback_scan_determinismE0ES3_S9_NS6_6detail15normal_iteratorINS6_10device_ptrIiEEEENSD_INSE_IjEEEESG_SI_PmS8_NS6_8equal_toIiEEEE10hipError_tPvRmT2_T3_mT4_T5_T6_T7_T8_P12ihipStream_tbENKUlT_T0_E_clISt17integral_constantIbLb0EES12_IbLb1EEEEDaSY_SZ_EUlSY_E_NS1_11comp_targetILNS1_3genE8ELNS1_11target_archE1030ELNS1_3gpuE2ELNS1_3repE0EEENS1_30default_config_static_selectorELNS0_4arch9wavefront6targetE0EEEvT1_,@function
_ZN7rocprim17ROCPRIM_400000_NS6detail17trampoline_kernelINS0_14default_configENS1_29reduce_by_key_config_selectorIijN6thrust23THRUST_200600_302600_NS4plusIjEEEEZZNS1_33reduce_by_key_impl_wrapped_configILNS1_25lookback_scan_determinismE0ES3_S9_NS6_6detail15normal_iteratorINS6_10device_ptrIiEEEENSD_INSE_IjEEEESG_SI_PmS8_NS6_8equal_toIiEEEE10hipError_tPvRmT2_T3_mT4_T5_T6_T7_T8_P12ihipStream_tbENKUlT_T0_E_clISt17integral_constantIbLb0EES12_IbLb1EEEEDaSY_SZ_EUlSY_E_NS1_11comp_targetILNS1_3genE8ELNS1_11target_archE1030ELNS1_3gpuE2ELNS1_3repE0EEENS1_30default_config_static_selectorELNS0_4arch9wavefront6targetE0EEEvT1_: ; @_ZN7rocprim17ROCPRIM_400000_NS6detail17trampoline_kernelINS0_14default_configENS1_29reduce_by_key_config_selectorIijN6thrust23THRUST_200600_302600_NS4plusIjEEEEZZNS1_33reduce_by_key_impl_wrapped_configILNS1_25lookback_scan_determinismE0ES3_S9_NS6_6detail15normal_iteratorINS6_10device_ptrIiEEEENSD_INSE_IjEEEESG_SI_PmS8_NS6_8equal_toIiEEEE10hipError_tPvRmT2_T3_mT4_T5_T6_T7_T8_P12ihipStream_tbENKUlT_T0_E_clISt17integral_constantIbLb0EES12_IbLb1EEEEDaSY_SZ_EUlSY_E_NS1_11comp_targetILNS1_3genE8ELNS1_11target_archE1030ELNS1_3gpuE2ELNS1_3repE0EEENS1_30default_config_static_selectorELNS0_4arch9wavefront6targetE0EEEvT1_
; %bb.0:
	.section	.rodata,"a",@progbits
	.p2align	6, 0x0
	.amdhsa_kernel _ZN7rocprim17ROCPRIM_400000_NS6detail17trampoline_kernelINS0_14default_configENS1_29reduce_by_key_config_selectorIijN6thrust23THRUST_200600_302600_NS4plusIjEEEEZZNS1_33reduce_by_key_impl_wrapped_configILNS1_25lookback_scan_determinismE0ES3_S9_NS6_6detail15normal_iteratorINS6_10device_ptrIiEEEENSD_INSE_IjEEEESG_SI_PmS8_NS6_8equal_toIiEEEE10hipError_tPvRmT2_T3_mT4_T5_T6_T7_T8_P12ihipStream_tbENKUlT_T0_E_clISt17integral_constantIbLb0EES12_IbLb1EEEEDaSY_SZ_EUlSY_E_NS1_11comp_targetILNS1_3genE8ELNS1_11target_archE1030ELNS1_3gpuE2ELNS1_3repE0EEENS1_30default_config_static_selectorELNS0_4arch9wavefront6targetE0EEEvT1_
		.amdhsa_group_segment_fixed_size 0
		.amdhsa_private_segment_fixed_size 0
		.amdhsa_kernarg_size 120
		.amdhsa_user_sgpr_count 15
		.amdhsa_user_sgpr_dispatch_ptr 0
		.amdhsa_user_sgpr_queue_ptr 0
		.amdhsa_user_sgpr_kernarg_segment_ptr 1
		.amdhsa_user_sgpr_dispatch_id 0
		.amdhsa_user_sgpr_private_segment_size 0
		.amdhsa_wavefront_size32 1
		.amdhsa_uses_dynamic_stack 0
		.amdhsa_enable_private_segment 0
		.amdhsa_system_sgpr_workgroup_id_x 1
		.amdhsa_system_sgpr_workgroup_id_y 0
		.amdhsa_system_sgpr_workgroup_id_z 0
		.amdhsa_system_sgpr_workgroup_info 0
		.amdhsa_system_vgpr_workitem_id 0
		.amdhsa_next_free_vgpr 1
		.amdhsa_next_free_sgpr 1
		.amdhsa_reserve_vcc 0
		.amdhsa_float_round_mode_32 0
		.amdhsa_float_round_mode_16_64 0
		.amdhsa_float_denorm_mode_32 3
		.amdhsa_float_denorm_mode_16_64 3
		.amdhsa_dx10_clamp 1
		.amdhsa_ieee_mode 1
		.amdhsa_fp16_overflow 0
		.amdhsa_workgroup_processor_mode 1
		.amdhsa_memory_ordered 1
		.amdhsa_forward_progress 0
		.amdhsa_shared_vgpr_count 0
		.amdhsa_exception_fp_ieee_invalid_op 0
		.amdhsa_exception_fp_denorm_src 0
		.amdhsa_exception_fp_ieee_div_zero 0
		.amdhsa_exception_fp_ieee_overflow 0
		.amdhsa_exception_fp_ieee_underflow 0
		.amdhsa_exception_fp_ieee_inexact 0
		.amdhsa_exception_int_div_zero 0
	.end_amdhsa_kernel
	.section	.text._ZN7rocprim17ROCPRIM_400000_NS6detail17trampoline_kernelINS0_14default_configENS1_29reduce_by_key_config_selectorIijN6thrust23THRUST_200600_302600_NS4plusIjEEEEZZNS1_33reduce_by_key_impl_wrapped_configILNS1_25lookback_scan_determinismE0ES3_S9_NS6_6detail15normal_iteratorINS6_10device_ptrIiEEEENSD_INSE_IjEEEESG_SI_PmS8_NS6_8equal_toIiEEEE10hipError_tPvRmT2_T3_mT4_T5_T6_T7_T8_P12ihipStream_tbENKUlT_T0_E_clISt17integral_constantIbLb0EES12_IbLb1EEEEDaSY_SZ_EUlSY_E_NS1_11comp_targetILNS1_3genE8ELNS1_11target_archE1030ELNS1_3gpuE2ELNS1_3repE0EEENS1_30default_config_static_selectorELNS0_4arch9wavefront6targetE0EEEvT1_,"axG",@progbits,_ZN7rocprim17ROCPRIM_400000_NS6detail17trampoline_kernelINS0_14default_configENS1_29reduce_by_key_config_selectorIijN6thrust23THRUST_200600_302600_NS4plusIjEEEEZZNS1_33reduce_by_key_impl_wrapped_configILNS1_25lookback_scan_determinismE0ES3_S9_NS6_6detail15normal_iteratorINS6_10device_ptrIiEEEENSD_INSE_IjEEEESG_SI_PmS8_NS6_8equal_toIiEEEE10hipError_tPvRmT2_T3_mT4_T5_T6_T7_T8_P12ihipStream_tbENKUlT_T0_E_clISt17integral_constantIbLb0EES12_IbLb1EEEEDaSY_SZ_EUlSY_E_NS1_11comp_targetILNS1_3genE8ELNS1_11target_archE1030ELNS1_3gpuE2ELNS1_3repE0EEENS1_30default_config_static_selectorELNS0_4arch9wavefront6targetE0EEEvT1_,comdat
.Lfunc_end840:
	.size	_ZN7rocprim17ROCPRIM_400000_NS6detail17trampoline_kernelINS0_14default_configENS1_29reduce_by_key_config_selectorIijN6thrust23THRUST_200600_302600_NS4plusIjEEEEZZNS1_33reduce_by_key_impl_wrapped_configILNS1_25lookback_scan_determinismE0ES3_S9_NS6_6detail15normal_iteratorINS6_10device_ptrIiEEEENSD_INSE_IjEEEESG_SI_PmS8_NS6_8equal_toIiEEEE10hipError_tPvRmT2_T3_mT4_T5_T6_T7_T8_P12ihipStream_tbENKUlT_T0_E_clISt17integral_constantIbLb0EES12_IbLb1EEEEDaSY_SZ_EUlSY_E_NS1_11comp_targetILNS1_3genE8ELNS1_11target_archE1030ELNS1_3gpuE2ELNS1_3repE0EEENS1_30default_config_static_selectorELNS0_4arch9wavefront6targetE0EEEvT1_, .Lfunc_end840-_ZN7rocprim17ROCPRIM_400000_NS6detail17trampoline_kernelINS0_14default_configENS1_29reduce_by_key_config_selectorIijN6thrust23THRUST_200600_302600_NS4plusIjEEEEZZNS1_33reduce_by_key_impl_wrapped_configILNS1_25lookback_scan_determinismE0ES3_S9_NS6_6detail15normal_iteratorINS6_10device_ptrIiEEEENSD_INSE_IjEEEESG_SI_PmS8_NS6_8equal_toIiEEEE10hipError_tPvRmT2_T3_mT4_T5_T6_T7_T8_P12ihipStream_tbENKUlT_T0_E_clISt17integral_constantIbLb0EES12_IbLb1EEEEDaSY_SZ_EUlSY_E_NS1_11comp_targetILNS1_3genE8ELNS1_11target_archE1030ELNS1_3gpuE2ELNS1_3repE0EEENS1_30default_config_static_selectorELNS0_4arch9wavefront6targetE0EEEvT1_
                                        ; -- End function
	.section	.AMDGPU.csdata,"",@progbits
; Kernel info:
; codeLenInByte = 0
; NumSgprs: 0
; NumVgprs: 0
; ScratchSize: 0
; MemoryBound: 0
; FloatMode: 240
; IeeeMode: 1
; LDSByteSize: 0 bytes/workgroup (compile time only)
; SGPRBlocks: 0
; VGPRBlocks: 0
; NumSGPRsForWavesPerEU: 1
; NumVGPRsForWavesPerEU: 1
; Occupancy: 16
; WaveLimiterHint : 0
; COMPUTE_PGM_RSRC2:SCRATCH_EN: 0
; COMPUTE_PGM_RSRC2:USER_SGPR: 15
; COMPUTE_PGM_RSRC2:TRAP_HANDLER: 0
; COMPUTE_PGM_RSRC2:TGID_X_EN: 1
; COMPUTE_PGM_RSRC2:TGID_Y_EN: 0
; COMPUTE_PGM_RSRC2:TGID_Z_EN: 0
; COMPUTE_PGM_RSRC2:TIDIG_COMP_CNT: 0
	.section	.text._ZN7rocprim17ROCPRIM_400000_NS6detail17trampoline_kernelINS0_14default_configENS1_29reduce_by_key_config_selectorIsjN6thrust23THRUST_200600_302600_NS4plusIjEEEEZZNS1_33reduce_by_key_impl_wrapped_configILNS1_25lookback_scan_determinismE0ES3_S9_NS6_6detail15normal_iteratorINS6_10device_ptrIsEEEENSD_INSE_IjEEEESG_SI_PmS8_NS6_8equal_toIsEEEE10hipError_tPvRmT2_T3_mT4_T5_T6_T7_T8_P12ihipStream_tbENKUlT_T0_E_clISt17integral_constantIbLb0EES13_EEDaSY_SZ_EUlSY_E_NS1_11comp_targetILNS1_3genE0ELNS1_11target_archE4294967295ELNS1_3gpuE0ELNS1_3repE0EEENS1_30default_config_static_selectorELNS0_4arch9wavefront6targetE0EEEvT1_,"axG",@progbits,_ZN7rocprim17ROCPRIM_400000_NS6detail17trampoline_kernelINS0_14default_configENS1_29reduce_by_key_config_selectorIsjN6thrust23THRUST_200600_302600_NS4plusIjEEEEZZNS1_33reduce_by_key_impl_wrapped_configILNS1_25lookback_scan_determinismE0ES3_S9_NS6_6detail15normal_iteratorINS6_10device_ptrIsEEEENSD_INSE_IjEEEESG_SI_PmS8_NS6_8equal_toIsEEEE10hipError_tPvRmT2_T3_mT4_T5_T6_T7_T8_P12ihipStream_tbENKUlT_T0_E_clISt17integral_constantIbLb0EES13_EEDaSY_SZ_EUlSY_E_NS1_11comp_targetILNS1_3genE0ELNS1_11target_archE4294967295ELNS1_3gpuE0ELNS1_3repE0EEENS1_30default_config_static_selectorELNS0_4arch9wavefront6targetE0EEEvT1_,comdat
	.protected	_ZN7rocprim17ROCPRIM_400000_NS6detail17trampoline_kernelINS0_14default_configENS1_29reduce_by_key_config_selectorIsjN6thrust23THRUST_200600_302600_NS4plusIjEEEEZZNS1_33reduce_by_key_impl_wrapped_configILNS1_25lookback_scan_determinismE0ES3_S9_NS6_6detail15normal_iteratorINS6_10device_ptrIsEEEENSD_INSE_IjEEEESG_SI_PmS8_NS6_8equal_toIsEEEE10hipError_tPvRmT2_T3_mT4_T5_T6_T7_T8_P12ihipStream_tbENKUlT_T0_E_clISt17integral_constantIbLb0EES13_EEDaSY_SZ_EUlSY_E_NS1_11comp_targetILNS1_3genE0ELNS1_11target_archE4294967295ELNS1_3gpuE0ELNS1_3repE0EEENS1_30default_config_static_selectorELNS0_4arch9wavefront6targetE0EEEvT1_ ; -- Begin function _ZN7rocprim17ROCPRIM_400000_NS6detail17trampoline_kernelINS0_14default_configENS1_29reduce_by_key_config_selectorIsjN6thrust23THRUST_200600_302600_NS4plusIjEEEEZZNS1_33reduce_by_key_impl_wrapped_configILNS1_25lookback_scan_determinismE0ES3_S9_NS6_6detail15normal_iteratorINS6_10device_ptrIsEEEENSD_INSE_IjEEEESG_SI_PmS8_NS6_8equal_toIsEEEE10hipError_tPvRmT2_T3_mT4_T5_T6_T7_T8_P12ihipStream_tbENKUlT_T0_E_clISt17integral_constantIbLb0EES13_EEDaSY_SZ_EUlSY_E_NS1_11comp_targetILNS1_3genE0ELNS1_11target_archE4294967295ELNS1_3gpuE0ELNS1_3repE0EEENS1_30default_config_static_selectorELNS0_4arch9wavefront6targetE0EEEvT1_
	.globl	_ZN7rocprim17ROCPRIM_400000_NS6detail17trampoline_kernelINS0_14default_configENS1_29reduce_by_key_config_selectorIsjN6thrust23THRUST_200600_302600_NS4plusIjEEEEZZNS1_33reduce_by_key_impl_wrapped_configILNS1_25lookback_scan_determinismE0ES3_S9_NS6_6detail15normal_iteratorINS6_10device_ptrIsEEEENSD_INSE_IjEEEESG_SI_PmS8_NS6_8equal_toIsEEEE10hipError_tPvRmT2_T3_mT4_T5_T6_T7_T8_P12ihipStream_tbENKUlT_T0_E_clISt17integral_constantIbLb0EES13_EEDaSY_SZ_EUlSY_E_NS1_11comp_targetILNS1_3genE0ELNS1_11target_archE4294967295ELNS1_3gpuE0ELNS1_3repE0EEENS1_30default_config_static_selectorELNS0_4arch9wavefront6targetE0EEEvT1_
	.p2align	8
	.type	_ZN7rocprim17ROCPRIM_400000_NS6detail17trampoline_kernelINS0_14default_configENS1_29reduce_by_key_config_selectorIsjN6thrust23THRUST_200600_302600_NS4plusIjEEEEZZNS1_33reduce_by_key_impl_wrapped_configILNS1_25lookback_scan_determinismE0ES3_S9_NS6_6detail15normal_iteratorINS6_10device_ptrIsEEEENSD_INSE_IjEEEESG_SI_PmS8_NS6_8equal_toIsEEEE10hipError_tPvRmT2_T3_mT4_T5_T6_T7_T8_P12ihipStream_tbENKUlT_T0_E_clISt17integral_constantIbLb0EES13_EEDaSY_SZ_EUlSY_E_NS1_11comp_targetILNS1_3genE0ELNS1_11target_archE4294967295ELNS1_3gpuE0ELNS1_3repE0EEENS1_30default_config_static_selectorELNS0_4arch9wavefront6targetE0EEEvT1_,@function
_ZN7rocprim17ROCPRIM_400000_NS6detail17trampoline_kernelINS0_14default_configENS1_29reduce_by_key_config_selectorIsjN6thrust23THRUST_200600_302600_NS4plusIjEEEEZZNS1_33reduce_by_key_impl_wrapped_configILNS1_25lookback_scan_determinismE0ES3_S9_NS6_6detail15normal_iteratorINS6_10device_ptrIsEEEENSD_INSE_IjEEEESG_SI_PmS8_NS6_8equal_toIsEEEE10hipError_tPvRmT2_T3_mT4_T5_T6_T7_T8_P12ihipStream_tbENKUlT_T0_E_clISt17integral_constantIbLb0EES13_EEDaSY_SZ_EUlSY_E_NS1_11comp_targetILNS1_3genE0ELNS1_11target_archE4294967295ELNS1_3gpuE0ELNS1_3repE0EEENS1_30default_config_static_selectorELNS0_4arch9wavefront6targetE0EEEvT1_: ; @_ZN7rocprim17ROCPRIM_400000_NS6detail17trampoline_kernelINS0_14default_configENS1_29reduce_by_key_config_selectorIsjN6thrust23THRUST_200600_302600_NS4plusIjEEEEZZNS1_33reduce_by_key_impl_wrapped_configILNS1_25lookback_scan_determinismE0ES3_S9_NS6_6detail15normal_iteratorINS6_10device_ptrIsEEEENSD_INSE_IjEEEESG_SI_PmS8_NS6_8equal_toIsEEEE10hipError_tPvRmT2_T3_mT4_T5_T6_T7_T8_P12ihipStream_tbENKUlT_T0_E_clISt17integral_constantIbLb0EES13_EEDaSY_SZ_EUlSY_E_NS1_11comp_targetILNS1_3genE0ELNS1_11target_archE4294967295ELNS1_3gpuE0ELNS1_3repE0EEENS1_30default_config_static_selectorELNS0_4arch9wavefront6targetE0EEEvT1_
; %bb.0:
	.section	.rodata,"a",@progbits
	.p2align	6, 0x0
	.amdhsa_kernel _ZN7rocprim17ROCPRIM_400000_NS6detail17trampoline_kernelINS0_14default_configENS1_29reduce_by_key_config_selectorIsjN6thrust23THRUST_200600_302600_NS4plusIjEEEEZZNS1_33reduce_by_key_impl_wrapped_configILNS1_25lookback_scan_determinismE0ES3_S9_NS6_6detail15normal_iteratorINS6_10device_ptrIsEEEENSD_INSE_IjEEEESG_SI_PmS8_NS6_8equal_toIsEEEE10hipError_tPvRmT2_T3_mT4_T5_T6_T7_T8_P12ihipStream_tbENKUlT_T0_E_clISt17integral_constantIbLb0EES13_EEDaSY_SZ_EUlSY_E_NS1_11comp_targetILNS1_3genE0ELNS1_11target_archE4294967295ELNS1_3gpuE0ELNS1_3repE0EEENS1_30default_config_static_selectorELNS0_4arch9wavefront6targetE0EEEvT1_
		.amdhsa_group_segment_fixed_size 0
		.amdhsa_private_segment_fixed_size 0
		.amdhsa_kernarg_size 120
		.amdhsa_user_sgpr_count 15
		.amdhsa_user_sgpr_dispatch_ptr 0
		.amdhsa_user_sgpr_queue_ptr 0
		.amdhsa_user_sgpr_kernarg_segment_ptr 1
		.amdhsa_user_sgpr_dispatch_id 0
		.amdhsa_user_sgpr_private_segment_size 0
		.amdhsa_wavefront_size32 1
		.amdhsa_uses_dynamic_stack 0
		.amdhsa_enable_private_segment 0
		.amdhsa_system_sgpr_workgroup_id_x 1
		.amdhsa_system_sgpr_workgroup_id_y 0
		.amdhsa_system_sgpr_workgroup_id_z 0
		.amdhsa_system_sgpr_workgroup_info 0
		.amdhsa_system_vgpr_workitem_id 0
		.amdhsa_next_free_vgpr 1
		.amdhsa_next_free_sgpr 1
		.amdhsa_reserve_vcc 0
		.amdhsa_float_round_mode_32 0
		.amdhsa_float_round_mode_16_64 0
		.amdhsa_float_denorm_mode_32 3
		.amdhsa_float_denorm_mode_16_64 3
		.amdhsa_dx10_clamp 1
		.amdhsa_ieee_mode 1
		.amdhsa_fp16_overflow 0
		.amdhsa_workgroup_processor_mode 1
		.amdhsa_memory_ordered 1
		.amdhsa_forward_progress 0
		.amdhsa_shared_vgpr_count 0
		.amdhsa_exception_fp_ieee_invalid_op 0
		.amdhsa_exception_fp_denorm_src 0
		.amdhsa_exception_fp_ieee_div_zero 0
		.amdhsa_exception_fp_ieee_overflow 0
		.amdhsa_exception_fp_ieee_underflow 0
		.amdhsa_exception_fp_ieee_inexact 0
		.amdhsa_exception_int_div_zero 0
	.end_amdhsa_kernel
	.section	.text._ZN7rocprim17ROCPRIM_400000_NS6detail17trampoline_kernelINS0_14default_configENS1_29reduce_by_key_config_selectorIsjN6thrust23THRUST_200600_302600_NS4plusIjEEEEZZNS1_33reduce_by_key_impl_wrapped_configILNS1_25lookback_scan_determinismE0ES3_S9_NS6_6detail15normal_iteratorINS6_10device_ptrIsEEEENSD_INSE_IjEEEESG_SI_PmS8_NS6_8equal_toIsEEEE10hipError_tPvRmT2_T3_mT4_T5_T6_T7_T8_P12ihipStream_tbENKUlT_T0_E_clISt17integral_constantIbLb0EES13_EEDaSY_SZ_EUlSY_E_NS1_11comp_targetILNS1_3genE0ELNS1_11target_archE4294967295ELNS1_3gpuE0ELNS1_3repE0EEENS1_30default_config_static_selectorELNS0_4arch9wavefront6targetE0EEEvT1_,"axG",@progbits,_ZN7rocprim17ROCPRIM_400000_NS6detail17trampoline_kernelINS0_14default_configENS1_29reduce_by_key_config_selectorIsjN6thrust23THRUST_200600_302600_NS4plusIjEEEEZZNS1_33reduce_by_key_impl_wrapped_configILNS1_25lookback_scan_determinismE0ES3_S9_NS6_6detail15normal_iteratorINS6_10device_ptrIsEEEENSD_INSE_IjEEEESG_SI_PmS8_NS6_8equal_toIsEEEE10hipError_tPvRmT2_T3_mT4_T5_T6_T7_T8_P12ihipStream_tbENKUlT_T0_E_clISt17integral_constantIbLb0EES13_EEDaSY_SZ_EUlSY_E_NS1_11comp_targetILNS1_3genE0ELNS1_11target_archE4294967295ELNS1_3gpuE0ELNS1_3repE0EEENS1_30default_config_static_selectorELNS0_4arch9wavefront6targetE0EEEvT1_,comdat
.Lfunc_end841:
	.size	_ZN7rocprim17ROCPRIM_400000_NS6detail17trampoline_kernelINS0_14default_configENS1_29reduce_by_key_config_selectorIsjN6thrust23THRUST_200600_302600_NS4plusIjEEEEZZNS1_33reduce_by_key_impl_wrapped_configILNS1_25lookback_scan_determinismE0ES3_S9_NS6_6detail15normal_iteratorINS6_10device_ptrIsEEEENSD_INSE_IjEEEESG_SI_PmS8_NS6_8equal_toIsEEEE10hipError_tPvRmT2_T3_mT4_T5_T6_T7_T8_P12ihipStream_tbENKUlT_T0_E_clISt17integral_constantIbLb0EES13_EEDaSY_SZ_EUlSY_E_NS1_11comp_targetILNS1_3genE0ELNS1_11target_archE4294967295ELNS1_3gpuE0ELNS1_3repE0EEENS1_30default_config_static_selectorELNS0_4arch9wavefront6targetE0EEEvT1_, .Lfunc_end841-_ZN7rocprim17ROCPRIM_400000_NS6detail17trampoline_kernelINS0_14default_configENS1_29reduce_by_key_config_selectorIsjN6thrust23THRUST_200600_302600_NS4plusIjEEEEZZNS1_33reduce_by_key_impl_wrapped_configILNS1_25lookback_scan_determinismE0ES3_S9_NS6_6detail15normal_iteratorINS6_10device_ptrIsEEEENSD_INSE_IjEEEESG_SI_PmS8_NS6_8equal_toIsEEEE10hipError_tPvRmT2_T3_mT4_T5_T6_T7_T8_P12ihipStream_tbENKUlT_T0_E_clISt17integral_constantIbLb0EES13_EEDaSY_SZ_EUlSY_E_NS1_11comp_targetILNS1_3genE0ELNS1_11target_archE4294967295ELNS1_3gpuE0ELNS1_3repE0EEENS1_30default_config_static_selectorELNS0_4arch9wavefront6targetE0EEEvT1_
                                        ; -- End function
	.section	.AMDGPU.csdata,"",@progbits
; Kernel info:
; codeLenInByte = 0
; NumSgprs: 0
; NumVgprs: 0
; ScratchSize: 0
; MemoryBound: 0
; FloatMode: 240
; IeeeMode: 1
; LDSByteSize: 0 bytes/workgroup (compile time only)
; SGPRBlocks: 0
; VGPRBlocks: 0
; NumSGPRsForWavesPerEU: 1
; NumVGPRsForWavesPerEU: 1
; Occupancy: 16
; WaveLimiterHint : 0
; COMPUTE_PGM_RSRC2:SCRATCH_EN: 0
; COMPUTE_PGM_RSRC2:USER_SGPR: 15
; COMPUTE_PGM_RSRC2:TRAP_HANDLER: 0
; COMPUTE_PGM_RSRC2:TGID_X_EN: 1
; COMPUTE_PGM_RSRC2:TGID_Y_EN: 0
; COMPUTE_PGM_RSRC2:TGID_Z_EN: 0
; COMPUTE_PGM_RSRC2:TIDIG_COMP_CNT: 0
	.section	.text._ZN7rocprim17ROCPRIM_400000_NS6detail17trampoline_kernelINS0_14default_configENS1_29reduce_by_key_config_selectorIsjN6thrust23THRUST_200600_302600_NS4plusIjEEEEZZNS1_33reduce_by_key_impl_wrapped_configILNS1_25lookback_scan_determinismE0ES3_S9_NS6_6detail15normal_iteratorINS6_10device_ptrIsEEEENSD_INSE_IjEEEESG_SI_PmS8_NS6_8equal_toIsEEEE10hipError_tPvRmT2_T3_mT4_T5_T6_T7_T8_P12ihipStream_tbENKUlT_T0_E_clISt17integral_constantIbLb0EES13_EEDaSY_SZ_EUlSY_E_NS1_11comp_targetILNS1_3genE5ELNS1_11target_archE942ELNS1_3gpuE9ELNS1_3repE0EEENS1_30default_config_static_selectorELNS0_4arch9wavefront6targetE0EEEvT1_,"axG",@progbits,_ZN7rocprim17ROCPRIM_400000_NS6detail17trampoline_kernelINS0_14default_configENS1_29reduce_by_key_config_selectorIsjN6thrust23THRUST_200600_302600_NS4plusIjEEEEZZNS1_33reduce_by_key_impl_wrapped_configILNS1_25lookback_scan_determinismE0ES3_S9_NS6_6detail15normal_iteratorINS6_10device_ptrIsEEEENSD_INSE_IjEEEESG_SI_PmS8_NS6_8equal_toIsEEEE10hipError_tPvRmT2_T3_mT4_T5_T6_T7_T8_P12ihipStream_tbENKUlT_T0_E_clISt17integral_constantIbLb0EES13_EEDaSY_SZ_EUlSY_E_NS1_11comp_targetILNS1_3genE5ELNS1_11target_archE942ELNS1_3gpuE9ELNS1_3repE0EEENS1_30default_config_static_selectorELNS0_4arch9wavefront6targetE0EEEvT1_,comdat
	.protected	_ZN7rocprim17ROCPRIM_400000_NS6detail17trampoline_kernelINS0_14default_configENS1_29reduce_by_key_config_selectorIsjN6thrust23THRUST_200600_302600_NS4plusIjEEEEZZNS1_33reduce_by_key_impl_wrapped_configILNS1_25lookback_scan_determinismE0ES3_S9_NS6_6detail15normal_iteratorINS6_10device_ptrIsEEEENSD_INSE_IjEEEESG_SI_PmS8_NS6_8equal_toIsEEEE10hipError_tPvRmT2_T3_mT4_T5_T6_T7_T8_P12ihipStream_tbENKUlT_T0_E_clISt17integral_constantIbLb0EES13_EEDaSY_SZ_EUlSY_E_NS1_11comp_targetILNS1_3genE5ELNS1_11target_archE942ELNS1_3gpuE9ELNS1_3repE0EEENS1_30default_config_static_selectorELNS0_4arch9wavefront6targetE0EEEvT1_ ; -- Begin function _ZN7rocprim17ROCPRIM_400000_NS6detail17trampoline_kernelINS0_14default_configENS1_29reduce_by_key_config_selectorIsjN6thrust23THRUST_200600_302600_NS4plusIjEEEEZZNS1_33reduce_by_key_impl_wrapped_configILNS1_25lookback_scan_determinismE0ES3_S9_NS6_6detail15normal_iteratorINS6_10device_ptrIsEEEENSD_INSE_IjEEEESG_SI_PmS8_NS6_8equal_toIsEEEE10hipError_tPvRmT2_T3_mT4_T5_T6_T7_T8_P12ihipStream_tbENKUlT_T0_E_clISt17integral_constantIbLb0EES13_EEDaSY_SZ_EUlSY_E_NS1_11comp_targetILNS1_3genE5ELNS1_11target_archE942ELNS1_3gpuE9ELNS1_3repE0EEENS1_30default_config_static_selectorELNS0_4arch9wavefront6targetE0EEEvT1_
	.globl	_ZN7rocprim17ROCPRIM_400000_NS6detail17trampoline_kernelINS0_14default_configENS1_29reduce_by_key_config_selectorIsjN6thrust23THRUST_200600_302600_NS4plusIjEEEEZZNS1_33reduce_by_key_impl_wrapped_configILNS1_25lookback_scan_determinismE0ES3_S9_NS6_6detail15normal_iteratorINS6_10device_ptrIsEEEENSD_INSE_IjEEEESG_SI_PmS8_NS6_8equal_toIsEEEE10hipError_tPvRmT2_T3_mT4_T5_T6_T7_T8_P12ihipStream_tbENKUlT_T0_E_clISt17integral_constantIbLb0EES13_EEDaSY_SZ_EUlSY_E_NS1_11comp_targetILNS1_3genE5ELNS1_11target_archE942ELNS1_3gpuE9ELNS1_3repE0EEENS1_30default_config_static_selectorELNS0_4arch9wavefront6targetE0EEEvT1_
	.p2align	8
	.type	_ZN7rocprim17ROCPRIM_400000_NS6detail17trampoline_kernelINS0_14default_configENS1_29reduce_by_key_config_selectorIsjN6thrust23THRUST_200600_302600_NS4plusIjEEEEZZNS1_33reduce_by_key_impl_wrapped_configILNS1_25lookback_scan_determinismE0ES3_S9_NS6_6detail15normal_iteratorINS6_10device_ptrIsEEEENSD_INSE_IjEEEESG_SI_PmS8_NS6_8equal_toIsEEEE10hipError_tPvRmT2_T3_mT4_T5_T6_T7_T8_P12ihipStream_tbENKUlT_T0_E_clISt17integral_constantIbLb0EES13_EEDaSY_SZ_EUlSY_E_NS1_11comp_targetILNS1_3genE5ELNS1_11target_archE942ELNS1_3gpuE9ELNS1_3repE0EEENS1_30default_config_static_selectorELNS0_4arch9wavefront6targetE0EEEvT1_,@function
_ZN7rocprim17ROCPRIM_400000_NS6detail17trampoline_kernelINS0_14default_configENS1_29reduce_by_key_config_selectorIsjN6thrust23THRUST_200600_302600_NS4plusIjEEEEZZNS1_33reduce_by_key_impl_wrapped_configILNS1_25lookback_scan_determinismE0ES3_S9_NS6_6detail15normal_iteratorINS6_10device_ptrIsEEEENSD_INSE_IjEEEESG_SI_PmS8_NS6_8equal_toIsEEEE10hipError_tPvRmT2_T3_mT4_T5_T6_T7_T8_P12ihipStream_tbENKUlT_T0_E_clISt17integral_constantIbLb0EES13_EEDaSY_SZ_EUlSY_E_NS1_11comp_targetILNS1_3genE5ELNS1_11target_archE942ELNS1_3gpuE9ELNS1_3repE0EEENS1_30default_config_static_selectorELNS0_4arch9wavefront6targetE0EEEvT1_: ; @_ZN7rocprim17ROCPRIM_400000_NS6detail17trampoline_kernelINS0_14default_configENS1_29reduce_by_key_config_selectorIsjN6thrust23THRUST_200600_302600_NS4plusIjEEEEZZNS1_33reduce_by_key_impl_wrapped_configILNS1_25lookback_scan_determinismE0ES3_S9_NS6_6detail15normal_iteratorINS6_10device_ptrIsEEEENSD_INSE_IjEEEESG_SI_PmS8_NS6_8equal_toIsEEEE10hipError_tPvRmT2_T3_mT4_T5_T6_T7_T8_P12ihipStream_tbENKUlT_T0_E_clISt17integral_constantIbLb0EES13_EEDaSY_SZ_EUlSY_E_NS1_11comp_targetILNS1_3genE5ELNS1_11target_archE942ELNS1_3gpuE9ELNS1_3repE0EEENS1_30default_config_static_selectorELNS0_4arch9wavefront6targetE0EEEvT1_
; %bb.0:
	.section	.rodata,"a",@progbits
	.p2align	6, 0x0
	.amdhsa_kernel _ZN7rocprim17ROCPRIM_400000_NS6detail17trampoline_kernelINS0_14default_configENS1_29reduce_by_key_config_selectorIsjN6thrust23THRUST_200600_302600_NS4plusIjEEEEZZNS1_33reduce_by_key_impl_wrapped_configILNS1_25lookback_scan_determinismE0ES3_S9_NS6_6detail15normal_iteratorINS6_10device_ptrIsEEEENSD_INSE_IjEEEESG_SI_PmS8_NS6_8equal_toIsEEEE10hipError_tPvRmT2_T3_mT4_T5_T6_T7_T8_P12ihipStream_tbENKUlT_T0_E_clISt17integral_constantIbLb0EES13_EEDaSY_SZ_EUlSY_E_NS1_11comp_targetILNS1_3genE5ELNS1_11target_archE942ELNS1_3gpuE9ELNS1_3repE0EEENS1_30default_config_static_selectorELNS0_4arch9wavefront6targetE0EEEvT1_
		.amdhsa_group_segment_fixed_size 0
		.amdhsa_private_segment_fixed_size 0
		.amdhsa_kernarg_size 120
		.amdhsa_user_sgpr_count 15
		.amdhsa_user_sgpr_dispatch_ptr 0
		.amdhsa_user_sgpr_queue_ptr 0
		.amdhsa_user_sgpr_kernarg_segment_ptr 1
		.amdhsa_user_sgpr_dispatch_id 0
		.amdhsa_user_sgpr_private_segment_size 0
		.amdhsa_wavefront_size32 1
		.amdhsa_uses_dynamic_stack 0
		.amdhsa_enable_private_segment 0
		.amdhsa_system_sgpr_workgroup_id_x 1
		.amdhsa_system_sgpr_workgroup_id_y 0
		.amdhsa_system_sgpr_workgroup_id_z 0
		.amdhsa_system_sgpr_workgroup_info 0
		.amdhsa_system_vgpr_workitem_id 0
		.amdhsa_next_free_vgpr 1
		.amdhsa_next_free_sgpr 1
		.amdhsa_reserve_vcc 0
		.amdhsa_float_round_mode_32 0
		.amdhsa_float_round_mode_16_64 0
		.amdhsa_float_denorm_mode_32 3
		.amdhsa_float_denorm_mode_16_64 3
		.amdhsa_dx10_clamp 1
		.amdhsa_ieee_mode 1
		.amdhsa_fp16_overflow 0
		.amdhsa_workgroup_processor_mode 1
		.amdhsa_memory_ordered 1
		.amdhsa_forward_progress 0
		.amdhsa_shared_vgpr_count 0
		.amdhsa_exception_fp_ieee_invalid_op 0
		.amdhsa_exception_fp_denorm_src 0
		.amdhsa_exception_fp_ieee_div_zero 0
		.amdhsa_exception_fp_ieee_overflow 0
		.amdhsa_exception_fp_ieee_underflow 0
		.amdhsa_exception_fp_ieee_inexact 0
		.amdhsa_exception_int_div_zero 0
	.end_amdhsa_kernel
	.section	.text._ZN7rocprim17ROCPRIM_400000_NS6detail17trampoline_kernelINS0_14default_configENS1_29reduce_by_key_config_selectorIsjN6thrust23THRUST_200600_302600_NS4plusIjEEEEZZNS1_33reduce_by_key_impl_wrapped_configILNS1_25lookback_scan_determinismE0ES3_S9_NS6_6detail15normal_iteratorINS6_10device_ptrIsEEEENSD_INSE_IjEEEESG_SI_PmS8_NS6_8equal_toIsEEEE10hipError_tPvRmT2_T3_mT4_T5_T6_T7_T8_P12ihipStream_tbENKUlT_T0_E_clISt17integral_constantIbLb0EES13_EEDaSY_SZ_EUlSY_E_NS1_11comp_targetILNS1_3genE5ELNS1_11target_archE942ELNS1_3gpuE9ELNS1_3repE0EEENS1_30default_config_static_selectorELNS0_4arch9wavefront6targetE0EEEvT1_,"axG",@progbits,_ZN7rocprim17ROCPRIM_400000_NS6detail17trampoline_kernelINS0_14default_configENS1_29reduce_by_key_config_selectorIsjN6thrust23THRUST_200600_302600_NS4plusIjEEEEZZNS1_33reduce_by_key_impl_wrapped_configILNS1_25lookback_scan_determinismE0ES3_S9_NS6_6detail15normal_iteratorINS6_10device_ptrIsEEEENSD_INSE_IjEEEESG_SI_PmS8_NS6_8equal_toIsEEEE10hipError_tPvRmT2_T3_mT4_T5_T6_T7_T8_P12ihipStream_tbENKUlT_T0_E_clISt17integral_constantIbLb0EES13_EEDaSY_SZ_EUlSY_E_NS1_11comp_targetILNS1_3genE5ELNS1_11target_archE942ELNS1_3gpuE9ELNS1_3repE0EEENS1_30default_config_static_selectorELNS0_4arch9wavefront6targetE0EEEvT1_,comdat
.Lfunc_end842:
	.size	_ZN7rocprim17ROCPRIM_400000_NS6detail17trampoline_kernelINS0_14default_configENS1_29reduce_by_key_config_selectorIsjN6thrust23THRUST_200600_302600_NS4plusIjEEEEZZNS1_33reduce_by_key_impl_wrapped_configILNS1_25lookback_scan_determinismE0ES3_S9_NS6_6detail15normal_iteratorINS6_10device_ptrIsEEEENSD_INSE_IjEEEESG_SI_PmS8_NS6_8equal_toIsEEEE10hipError_tPvRmT2_T3_mT4_T5_T6_T7_T8_P12ihipStream_tbENKUlT_T0_E_clISt17integral_constantIbLb0EES13_EEDaSY_SZ_EUlSY_E_NS1_11comp_targetILNS1_3genE5ELNS1_11target_archE942ELNS1_3gpuE9ELNS1_3repE0EEENS1_30default_config_static_selectorELNS0_4arch9wavefront6targetE0EEEvT1_, .Lfunc_end842-_ZN7rocprim17ROCPRIM_400000_NS6detail17trampoline_kernelINS0_14default_configENS1_29reduce_by_key_config_selectorIsjN6thrust23THRUST_200600_302600_NS4plusIjEEEEZZNS1_33reduce_by_key_impl_wrapped_configILNS1_25lookback_scan_determinismE0ES3_S9_NS6_6detail15normal_iteratorINS6_10device_ptrIsEEEENSD_INSE_IjEEEESG_SI_PmS8_NS6_8equal_toIsEEEE10hipError_tPvRmT2_T3_mT4_T5_T6_T7_T8_P12ihipStream_tbENKUlT_T0_E_clISt17integral_constantIbLb0EES13_EEDaSY_SZ_EUlSY_E_NS1_11comp_targetILNS1_3genE5ELNS1_11target_archE942ELNS1_3gpuE9ELNS1_3repE0EEENS1_30default_config_static_selectorELNS0_4arch9wavefront6targetE0EEEvT1_
                                        ; -- End function
	.section	.AMDGPU.csdata,"",@progbits
; Kernel info:
; codeLenInByte = 0
; NumSgprs: 0
; NumVgprs: 0
; ScratchSize: 0
; MemoryBound: 0
; FloatMode: 240
; IeeeMode: 1
; LDSByteSize: 0 bytes/workgroup (compile time only)
; SGPRBlocks: 0
; VGPRBlocks: 0
; NumSGPRsForWavesPerEU: 1
; NumVGPRsForWavesPerEU: 1
; Occupancy: 16
; WaveLimiterHint : 0
; COMPUTE_PGM_RSRC2:SCRATCH_EN: 0
; COMPUTE_PGM_RSRC2:USER_SGPR: 15
; COMPUTE_PGM_RSRC2:TRAP_HANDLER: 0
; COMPUTE_PGM_RSRC2:TGID_X_EN: 1
; COMPUTE_PGM_RSRC2:TGID_Y_EN: 0
; COMPUTE_PGM_RSRC2:TGID_Z_EN: 0
; COMPUTE_PGM_RSRC2:TIDIG_COMP_CNT: 0
	.section	.text._ZN7rocprim17ROCPRIM_400000_NS6detail17trampoline_kernelINS0_14default_configENS1_29reduce_by_key_config_selectorIsjN6thrust23THRUST_200600_302600_NS4plusIjEEEEZZNS1_33reduce_by_key_impl_wrapped_configILNS1_25lookback_scan_determinismE0ES3_S9_NS6_6detail15normal_iteratorINS6_10device_ptrIsEEEENSD_INSE_IjEEEESG_SI_PmS8_NS6_8equal_toIsEEEE10hipError_tPvRmT2_T3_mT4_T5_T6_T7_T8_P12ihipStream_tbENKUlT_T0_E_clISt17integral_constantIbLb0EES13_EEDaSY_SZ_EUlSY_E_NS1_11comp_targetILNS1_3genE4ELNS1_11target_archE910ELNS1_3gpuE8ELNS1_3repE0EEENS1_30default_config_static_selectorELNS0_4arch9wavefront6targetE0EEEvT1_,"axG",@progbits,_ZN7rocprim17ROCPRIM_400000_NS6detail17trampoline_kernelINS0_14default_configENS1_29reduce_by_key_config_selectorIsjN6thrust23THRUST_200600_302600_NS4plusIjEEEEZZNS1_33reduce_by_key_impl_wrapped_configILNS1_25lookback_scan_determinismE0ES3_S9_NS6_6detail15normal_iteratorINS6_10device_ptrIsEEEENSD_INSE_IjEEEESG_SI_PmS8_NS6_8equal_toIsEEEE10hipError_tPvRmT2_T3_mT4_T5_T6_T7_T8_P12ihipStream_tbENKUlT_T0_E_clISt17integral_constantIbLb0EES13_EEDaSY_SZ_EUlSY_E_NS1_11comp_targetILNS1_3genE4ELNS1_11target_archE910ELNS1_3gpuE8ELNS1_3repE0EEENS1_30default_config_static_selectorELNS0_4arch9wavefront6targetE0EEEvT1_,comdat
	.protected	_ZN7rocprim17ROCPRIM_400000_NS6detail17trampoline_kernelINS0_14default_configENS1_29reduce_by_key_config_selectorIsjN6thrust23THRUST_200600_302600_NS4plusIjEEEEZZNS1_33reduce_by_key_impl_wrapped_configILNS1_25lookback_scan_determinismE0ES3_S9_NS6_6detail15normal_iteratorINS6_10device_ptrIsEEEENSD_INSE_IjEEEESG_SI_PmS8_NS6_8equal_toIsEEEE10hipError_tPvRmT2_T3_mT4_T5_T6_T7_T8_P12ihipStream_tbENKUlT_T0_E_clISt17integral_constantIbLb0EES13_EEDaSY_SZ_EUlSY_E_NS1_11comp_targetILNS1_3genE4ELNS1_11target_archE910ELNS1_3gpuE8ELNS1_3repE0EEENS1_30default_config_static_selectorELNS0_4arch9wavefront6targetE0EEEvT1_ ; -- Begin function _ZN7rocprim17ROCPRIM_400000_NS6detail17trampoline_kernelINS0_14default_configENS1_29reduce_by_key_config_selectorIsjN6thrust23THRUST_200600_302600_NS4plusIjEEEEZZNS1_33reduce_by_key_impl_wrapped_configILNS1_25lookback_scan_determinismE0ES3_S9_NS6_6detail15normal_iteratorINS6_10device_ptrIsEEEENSD_INSE_IjEEEESG_SI_PmS8_NS6_8equal_toIsEEEE10hipError_tPvRmT2_T3_mT4_T5_T6_T7_T8_P12ihipStream_tbENKUlT_T0_E_clISt17integral_constantIbLb0EES13_EEDaSY_SZ_EUlSY_E_NS1_11comp_targetILNS1_3genE4ELNS1_11target_archE910ELNS1_3gpuE8ELNS1_3repE0EEENS1_30default_config_static_selectorELNS0_4arch9wavefront6targetE0EEEvT1_
	.globl	_ZN7rocprim17ROCPRIM_400000_NS6detail17trampoline_kernelINS0_14default_configENS1_29reduce_by_key_config_selectorIsjN6thrust23THRUST_200600_302600_NS4plusIjEEEEZZNS1_33reduce_by_key_impl_wrapped_configILNS1_25lookback_scan_determinismE0ES3_S9_NS6_6detail15normal_iteratorINS6_10device_ptrIsEEEENSD_INSE_IjEEEESG_SI_PmS8_NS6_8equal_toIsEEEE10hipError_tPvRmT2_T3_mT4_T5_T6_T7_T8_P12ihipStream_tbENKUlT_T0_E_clISt17integral_constantIbLb0EES13_EEDaSY_SZ_EUlSY_E_NS1_11comp_targetILNS1_3genE4ELNS1_11target_archE910ELNS1_3gpuE8ELNS1_3repE0EEENS1_30default_config_static_selectorELNS0_4arch9wavefront6targetE0EEEvT1_
	.p2align	8
	.type	_ZN7rocprim17ROCPRIM_400000_NS6detail17trampoline_kernelINS0_14default_configENS1_29reduce_by_key_config_selectorIsjN6thrust23THRUST_200600_302600_NS4plusIjEEEEZZNS1_33reduce_by_key_impl_wrapped_configILNS1_25lookback_scan_determinismE0ES3_S9_NS6_6detail15normal_iteratorINS6_10device_ptrIsEEEENSD_INSE_IjEEEESG_SI_PmS8_NS6_8equal_toIsEEEE10hipError_tPvRmT2_T3_mT4_T5_T6_T7_T8_P12ihipStream_tbENKUlT_T0_E_clISt17integral_constantIbLb0EES13_EEDaSY_SZ_EUlSY_E_NS1_11comp_targetILNS1_3genE4ELNS1_11target_archE910ELNS1_3gpuE8ELNS1_3repE0EEENS1_30default_config_static_selectorELNS0_4arch9wavefront6targetE0EEEvT1_,@function
_ZN7rocprim17ROCPRIM_400000_NS6detail17trampoline_kernelINS0_14default_configENS1_29reduce_by_key_config_selectorIsjN6thrust23THRUST_200600_302600_NS4plusIjEEEEZZNS1_33reduce_by_key_impl_wrapped_configILNS1_25lookback_scan_determinismE0ES3_S9_NS6_6detail15normal_iteratorINS6_10device_ptrIsEEEENSD_INSE_IjEEEESG_SI_PmS8_NS6_8equal_toIsEEEE10hipError_tPvRmT2_T3_mT4_T5_T6_T7_T8_P12ihipStream_tbENKUlT_T0_E_clISt17integral_constantIbLb0EES13_EEDaSY_SZ_EUlSY_E_NS1_11comp_targetILNS1_3genE4ELNS1_11target_archE910ELNS1_3gpuE8ELNS1_3repE0EEENS1_30default_config_static_selectorELNS0_4arch9wavefront6targetE0EEEvT1_: ; @_ZN7rocprim17ROCPRIM_400000_NS6detail17trampoline_kernelINS0_14default_configENS1_29reduce_by_key_config_selectorIsjN6thrust23THRUST_200600_302600_NS4plusIjEEEEZZNS1_33reduce_by_key_impl_wrapped_configILNS1_25lookback_scan_determinismE0ES3_S9_NS6_6detail15normal_iteratorINS6_10device_ptrIsEEEENSD_INSE_IjEEEESG_SI_PmS8_NS6_8equal_toIsEEEE10hipError_tPvRmT2_T3_mT4_T5_T6_T7_T8_P12ihipStream_tbENKUlT_T0_E_clISt17integral_constantIbLb0EES13_EEDaSY_SZ_EUlSY_E_NS1_11comp_targetILNS1_3genE4ELNS1_11target_archE910ELNS1_3gpuE8ELNS1_3repE0EEENS1_30default_config_static_selectorELNS0_4arch9wavefront6targetE0EEEvT1_
; %bb.0:
	.section	.rodata,"a",@progbits
	.p2align	6, 0x0
	.amdhsa_kernel _ZN7rocprim17ROCPRIM_400000_NS6detail17trampoline_kernelINS0_14default_configENS1_29reduce_by_key_config_selectorIsjN6thrust23THRUST_200600_302600_NS4plusIjEEEEZZNS1_33reduce_by_key_impl_wrapped_configILNS1_25lookback_scan_determinismE0ES3_S9_NS6_6detail15normal_iteratorINS6_10device_ptrIsEEEENSD_INSE_IjEEEESG_SI_PmS8_NS6_8equal_toIsEEEE10hipError_tPvRmT2_T3_mT4_T5_T6_T7_T8_P12ihipStream_tbENKUlT_T0_E_clISt17integral_constantIbLb0EES13_EEDaSY_SZ_EUlSY_E_NS1_11comp_targetILNS1_3genE4ELNS1_11target_archE910ELNS1_3gpuE8ELNS1_3repE0EEENS1_30default_config_static_selectorELNS0_4arch9wavefront6targetE0EEEvT1_
		.amdhsa_group_segment_fixed_size 0
		.amdhsa_private_segment_fixed_size 0
		.amdhsa_kernarg_size 120
		.amdhsa_user_sgpr_count 15
		.amdhsa_user_sgpr_dispatch_ptr 0
		.amdhsa_user_sgpr_queue_ptr 0
		.amdhsa_user_sgpr_kernarg_segment_ptr 1
		.amdhsa_user_sgpr_dispatch_id 0
		.amdhsa_user_sgpr_private_segment_size 0
		.amdhsa_wavefront_size32 1
		.amdhsa_uses_dynamic_stack 0
		.amdhsa_enable_private_segment 0
		.amdhsa_system_sgpr_workgroup_id_x 1
		.amdhsa_system_sgpr_workgroup_id_y 0
		.amdhsa_system_sgpr_workgroup_id_z 0
		.amdhsa_system_sgpr_workgroup_info 0
		.amdhsa_system_vgpr_workitem_id 0
		.amdhsa_next_free_vgpr 1
		.amdhsa_next_free_sgpr 1
		.amdhsa_reserve_vcc 0
		.amdhsa_float_round_mode_32 0
		.amdhsa_float_round_mode_16_64 0
		.amdhsa_float_denorm_mode_32 3
		.amdhsa_float_denorm_mode_16_64 3
		.amdhsa_dx10_clamp 1
		.amdhsa_ieee_mode 1
		.amdhsa_fp16_overflow 0
		.amdhsa_workgroup_processor_mode 1
		.amdhsa_memory_ordered 1
		.amdhsa_forward_progress 0
		.amdhsa_shared_vgpr_count 0
		.amdhsa_exception_fp_ieee_invalid_op 0
		.amdhsa_exception_fp_denorm_src 0
		.amdhsa_exception_fp_ieee_div_zero 0
		.amdhsa_exception_fp_ieee_overflow 0
		.amdhsa_exception_fp_ieee_underflow 0
		.amdhsa_exception_fp_ieee_inexact 0
		.amdhsa_exception_int_div_zero 0
	.end_amdhsa_kernel
	.section	.text._ZN7rocprim17ROCPRIM_400000_NS6detail17trampoline_kernelINS0_14default_configENS1_29reduce_by_key_config_selectorIsjN6thrust23THRUST_200600_302600_NS4plusIjEEEEZZNS1_33reduce_by_key_impl_wrapped_configILNS1_25lookback_scan_determinismE0ES3_S9_NS6_6detail15normal_iteratorINS6_10device_ptrIsEEEENSD_INSE_IjEEEESG_SI_PmS8_NS6_8equal_toIsEEEE10hipError_tPvRmT2_T3_mT4_T5_T6_T7_T8_P12ihipStream_tbENKUlT_T0_E_clISt17integral_constantIbLb0EES13_EEDaSY_SZ_EUlSY_E_NS1_11comp_targetILNS1_3genE4ELNS1_11target_archE910ELNS1_3gpuE8ELNS1_3repE0EEENS1_30default_config_static_selectorELNS0_4arch9wavefront6targetE0EEEvT1_,"axG",@progbits,_ZN7rocprim17ROCPRIM_400000_NS6detail17trampoline_kernelINS0_14default_configENS1_29reduce_by_key_config_selectorIsjN6thrust23THRUST_200600_302600_NS4plusIjEEEEZZNS1_33reduce_by_key_impl_wrapped_configILNS1_25lookback_scan_determinismE0ES3_S9_NS6_6detail15normal_iteratorINS6_10device_ptrIsEEEENSD_INSE_IjEEEESG_SI_PmS8_NS6_8equal_toIsEEEE10hipError_tPvRmT2_T3_mT4_T5_T6_T7_T8_P12ihipStream_tbENKUlT_T0_E_clISt17integral_constantIbLb0EES13_EEDaSY_SZ_EUlSY_E_NS1_11comp_targetILNS1_3genE4ELNS1_11target_archE910ELNS1_3gpuE8ELNS1_3repE0EEENS1_30default_config_static_selectorELNS0_4arch9wavefront6targetE0EEEvT1_,comdat
.Lfunc_end843:
	.size	_ZN7rocprim17ROCPRIM_400000_NS6detail17trampoline_kernelINS0_14default_configENS1_29reduce_by_key_config_selectorIsjN6thrust23THRUST_200600_302600_NS4plusIjEEEEZZNS1_33reduce_by_key_impl_wrapped_configILNS1_25lookback_scan_determinismE0ES3_S9_NS6_6detail15normal_iteratorINS6_10device_ptrIsEEEENSD_INSE_IjEEEESG_SI_PmS8_NS6_8equal_toIsEEEE10hipError_tPvRmT2_T3_mT4_T5_T6_T7_T8_P12ihipStream_tbENKUlT_T0_E_clISt17integral_constantIbLb0EES13_EEDaSY_SZ_EUlSY_E_NS1_11comp_targetILNS1_3genE4ELNS1_11target_archE910ELNS1_3gpuE8ELNS1_3repE0EEENS1_30default_config_static_selectorELNS0_4arch9wavefront6targetE0EEEvT1_, .Lfunc_end843-_ZN7rocprim17ROCPRIM_400000_NS6detail17trampoline_kernelINS0_14default_configENS1_29reduce_by_key_config_selectorIsjN6thrust23THRUST_200600_302600_NS4plusIjEEEEZZNS1_33reduce_by_key_impl_wrapped_configILNS1_25lookback_scan_determinismE0ES3_S9_NS6_6detail15normal_iteratorINS6_10device_ptrIsEEEENSD_INSE_IjEEEESG_SI_PmS8_NS6_8equal_toIsEEEE10hipError_tPvRmT2_T3_mT4_T5_T6_T7_T8_P12ihipStream_tbENKUlT_T0_E_clISt17integral_constantIbLb0EES13_EEDaSY_SZ_EUlSY_E_NS1_11comp_targetILNS1_3genE4ELNS1_11target_archE910ELNS1_3gpuE8ELNS1_3repE0EEENS1_30default_config_static_selectorELNS0_4arch9wavefront6targetE0EEEvT1_
                                        ; -- End function
	.section	.AMDGPU.csdata,"",@progbits
; Kernel info:
; codeLenInByte = 0
; NumSgprs: 0
; NumVgprs: 0
; ScratchSize: 0
; MemoryBound: 0
; FloatMode: 240
; IeeeMode: 1
; LDSByteSize: 0 bytes/workgroup (compile time only)
; SGPRBlocks: 0
; VGPRBlocks: 0
; NumSGPRsForWavesPerEU: 1
; NumVGPRsForWavesPerEU: 1
; Occupancy: 16
; WaveLimiterHint : 0
; COMPUTE_PGM_RSRC2:SCRATCH_EN: 0
; COMPUTE_PGM_RSRC2:USER_SGPR: 15
; COMPUTE_PGM_RSRC2:TRAP_HANDLER: 0
; COMPUTE_PGM_RSRC2:TGID_X_EN: 1
; COMPUTE_PGM_RSRC2:TGID_Y_EN: 0
; COMPUTE_PGM_RSRC2:TGID_Z_EN: 0
; COMPUTE_PGM_RSRC2:TIDIG_COMP_CNT: 0
	.section	.text._ZN7rocprim17ROCPRIM_400000_NS6detail17trampoline_kernelINS0_14default_configENS1_29reduce_by_key_config_selectorIsjN6thrust23THRUST_200600_302600_NS4plusIjEEEEZZNS1_33reduce_by_key_impl_wrapped_configILNS1_25lookback_scan_determinismE0ES3_S9_NS6_6detail15normal_iteratorINS6_10device_ptrIsEEEENSD_INSE_IjEEEESG_SI_PmS8_NS6_8equal_toIsEEEE10hipError_tPvRmT2_T3_mT4_T5_T6_T7_T8_P12ihipStream_tbENKUlT_T0_E_clISt17integral_constantIbLb0EES13_EEDaSY_SZ_EUlSY_E_NS1_11comp_targetILNS1_3genE3ELNS1_11target_archE908ELNS1_3gpuE7ELNS1_3repE0EEENS1_30default_config_static_selectorELNS0_4arch9wavefront6targetE0EEEvT1_,"axG",@progbits,_ZN7rocprim17ROCPRIM_400000_NS6detail17trampoline_kernelINS0_14default_configENS1_29reduce_by_key_config_selectorIsjN6thrust23THRUST_200600_302600_NS4plusIjEEEEZZNS1_33reduce_by_key_impl_wrapped_configILNS1_25lookback_scan_determinismE0ES3_S9_NS6_6detail15normal_iteratorINS6_10device_ptrIsEEEENSD_INSE_IjEEEESG_SI_PmS8_NS6_8equal_toIsEEEE10hipError_tPvRmT2_T3_mT4_T5_T6_T7_T8_P12ihipStream_tbENKUlT_T0_E_clISt17integral_constantIbLb0EES13_EEDaSY_SZ_EUlSY_E_NS1_11comp_targetILNS1_3genE3ELNS1_11target_archE908ELNS1_3gpuE7ELNS1_3repE0EEENS1_30default_config_static_selectorELNS0_4arch9wavefront6targetE0EEEvT1_,comdat
	.protected	_ZN7rocprim17ROCPRIM_400000_NS6detail17trampoline_kernelINS0_14default_configENS1_29reduce_by_key_config_selectorIsjN6thrust23THRUST_200600_302600_NS4plusIjEEEEZZNS1_33reduce_by_key_impl_wrapped_configILNS1_25lookback_scan_determinismE0ES3_S9_NS6_6detail15normal_iteratorINS6_10device_ptrIsEEEENSD_INSE_IjEEEESG_SI_PmS8_NS6_8equal_toIsEEEE10hipError_tPvRmT2_T3_mT4_T5_T6_T7_T8_P12ihipStream_tbENKUlT_T0_E_clISt17integral_constantIbLb0EES13_EEDaSY_SZ_EUlSY_E_NS1_11comp_targetILNS1_3genE3ELNS1_11target_archE908ELNS1_3gpuE7ELNS1_3repE0EEENS1_30default_config_static_selectorELNS0_4arch9wavefront6targetE0EEEvT1_ ; -- Begin function _ZN7rocprim17ROCPRIM_400000_NS6detail17trampoline_kernelINS0_14default_configENS1_29reduce_by_key_config_selectorIsjN6thrust23THRUST_200600_302600_NS4plusIjEEEEZZNS1_33reduce_by_key_impl_wrapped_configILNS1_25lookback_scan_determinismE0ES3_S9_NS6_6detail15normal_iteratorINS6_10device_ptrIsEEEENSD_INSE_IjEEEESG_SI_PmS8_NS6_8equal_toIsEEEE10hipError_tPvRmT2_T3_mT4_T5_T6_T7_T8_P12ihipStream_tbENKUlT_T0_E_clISt17integral_constantIbLb0EES13_EEDaSY_SZ_EUlSY_E_NS1_11comp_targetILNS1_3genE3ELNS1_11target_archE908ELNS1_3gpuE7ELNS1_3repE0EEENS1_30default_config_static_selectorELNS0_4arch9wavefront6targetE0EEEvT1_
	.globl	_ZN7rocprim17ROCPRIM_400000_NS6detail17trampoline_kernelINS0_14default_configENS1_29reduce_by_key_config_selectorIsjN6thrust23THRUST_200600_302600_NS4plusIjEEEEZZNS1_33reduce_by_key_impl_wrapped_configILNS1_25lookback_scan_determinismE0ES3_S9_NS6_6detail15normal_iteratorINS6_10device_ptrIsEEEENSD_INSE_IjEEEESG_SI_PmS8_NS6_8equal_toIsEEEE10hipError_tPvRmT2_T3_mT4_T5_T6_T7_T8_P12ihipStream_tbENKUlT_T0_E_clISt17integral_constantIbLb0EES13_EEDaSY_SZ_EUlSY_E_NS1_11comp_targetILNS1_3genE3ELNS1_11target_archE908ELNS1_3gpuE7ELNS1_3repE0EEENS1_30default_config_static_selectorELNS0_4arch9wavefront6targetE0EEEvT1_
	.p2align	8
	.type	_ZN7rocprim17ROCPRIM_400000_NS6detail17trampoline_kernelINS0_14default_configENS1_29reduce_by_key_config_selectorIsjN6thrust23THRUST_200600_302600_NS4plusIjEEEEZZNS1_33reduce_by_key_impl_wrapped_configILNS1_25lookback_scan_determinismE0ES3_S9_NS6_6detail15normal_iteratorINS6_10device_ptrIsEEEENSD_INSE_IjEEEESG_SI_PmS8_NS6_8equal_toIsEEEE10hipError_tPvRmT2_T3_mT4_T5_T6_T7_T8_P12ihipStream_tbENKUlT_T0_E_clISt17integral_constantIbLb0EES13_EEDaSY_SZ_EUlSY_E_NS1_11comp_targetILNS1_3genE3ELNS1_11target_archE908ELNS1_3gpuE7ELNS1_3repE0EEENS1_30default_config_static_selectorELNS0_4arch9wavefront6targetE0EEEvT1_,@function
_ZN7rocprim17ROCPRIM_400000_NS6detail17trampoline_kernelINS0_14default_configENS1_29reduce_by_key_config_selectorIsjN6thrust23THRUST_200600_302600_NS4plusIjEEEEZZNS1_33reduce_by_key_impl_wrapped_configILNS1_25lookback_scan_determinismE0ES3_S9_NS6_6detail15normal_iteratorINS6_10device_ptrIsEEEENSD_INSE_IjEEEESG_SI_PmS8_NS6_8equal_toIsEEEE10hipError_tPvRmT2_T3_mT4_T5_T6_T7_T8_P12ihipStream_tbENKUlT_T0_E_clISt17integral_constantIbLb0EES13_EEDaSY_SZ_EUlSY_E_NS1_11comp_targetILNS1_3genE3ELNS1_11target_archE908ELNS1_3gpuE7ELNS1_3repE0EEENS1_30default_config_static_selectorELNS0_4arch9wavefront6targetE0EEEvT1_: ; @_ZN7rocprim17ROCPRIM_400000_NS6detail17trampoline_kernelINS0_14default_configENS1_29reduce_by_key_config_selectorIsjN6thrust23THRUST_200600_302600_NS4plusIjEEEEZZNS1_33reduce_by_key_impl_wrapped_configILNS1_25lookback_scan_determinismE0ES3_S9_NS6_6detail15normal_iteratorINS6_10device_ptrIsEEEENSD_INSE_IjEEEESG_SI_PmS8_NS6_8equal_toIsEEEE10hipError_tPvRmT2_T3_mT4_T5_T6_T7_T8_P12ihipStream_tbENKUlT_T0_E_clISt17integral_constantIbLb0EES13_EEDaSY_SZ_EUlSY_E_NS1_11comp_targetILNS1_3genE3ELNS1_11target_archE908ELNS1_3gpuE7ELNS1_3repE0EEENS1_30default_config_static_selectorELNS0_4arch9wavefront6targetE0EEEvT1_
; %bb.0:
	.section	.rodata,"a",@progbits
	.p2align	6, 0x0
	.amdhsa_kernel _ZN7rocprim17ROCPRIM_400000_NS6detail17trampoline_kernelINS0_14default_configENS1_29reduce_by_key_config_selectorIsjN6thrust23THRUST_200600_302600_NS4plusIjEEEEZZNS1_33reduce_by_key_impl_wrapped_configILNS1_25lookback_scan_determinismE0ES3_S9_NS6_6detail15normal_iteratorINS6_10device_ptrIsEEEENSD_INSE_IjEEEESG_SI_PmS8_NS6_8equal_toIsEEEE10hipError_tPvRmT2_T3_mT4_T5_T6_T7_T8_P12ihipStream_tbENKUlT_T0_E_clISt17integral_constantIbLb0EES13_EEDaSY_SZ_EUlSY_E_NS1_11comp_targetILNS1_3genE3ELNS1_11target_archE908ELNS1_3gpuE7ELNS1_3repE0EEENS1_30default_config_static_selectorELNS0_4arch9wavefront6targetE0EEEvT1_
		.amdhsa_group_segment_fixed_size 0
		.amdhsa_private_segment_fixed_size 0
		.amdhsa_kernarg_size 120
		.amdhsa_user_sgpr_count 15
		.amdhsa_user_sgpr_dispatch_ptr 0
		.amdhsa_user_sgpr_queue_ptr 0
		.amdhsa_user_sgpr_kernarg_segment_ptr 1
		.amdhsa_user_sgpr_dispatch_id 0
		.amdhsa_user_sgpr_private_segment_size 0
		.amdhsa_wavefront_size32 1
		.amdhsa_uses_dynamic_stack 0
		.amdhsa_enable_private_segment 0
		.amdhsa_system_sgpr_workgroup_id_x 1
		.amdhsa_system_sgpr_workgroup_id_y 0
		.amdhsa_system_sgpr_workgroup_id_z 0
		.amdhsa_system_sgpr_workgroup_info 0
		.amdhsa_system_vgpr_workitem_id 0
		.amdhsa_next_free_vgpr 1
		.amdhsa_next_free_sgpr 1
		.amdhsa_reserve_vcc 0
		.amdhsa_float_round_mode_32 0
		.amdhsa_float_round_mode_16_64 0
		.amdhsa_float_denorm_mode_32 3
		.amdhsa_float_denorm_mode_16_64 3
		.amdhsa_dx10_clamp 1
		.amdhsa_ieee_mode 1
		.amdhsa_fp16_overflow 0
		.amdhsa_workgroup_processor_mode 1
		.amdhsa_memory_ordered 1
		.amdhsa_forward_progress 0
		.amdhsa_shared_vgpr_count 0
		.amdhsa_exception_fp_ieee_invalid_op 0
		.amdhsa_exception_fp_denorm_src 0
		.amdhsa_exception_fp_ieee_div_zero 0
		.amdhsa_exception_fp_ieee_overflow 0
		.amdhsa_exception_fp_ieee_underflow 0
		.amdhsa_exception_fp_ieee_inexact 0
		.amdhsa_exception_int_div_zero 0
	.end_amdhsa_kernel
	.section	.text._ZN7rocprim17ROCPRIM_400000_NS6detail17trampoline_kernelINS0_14default_configENS1_29reduce_by_key_config_selectorIsjN6thrust23THRUST_200600_302600_NS4plusIjEEEEZZNS1_33reduce_by_key_impl_wrapped_configILNS1_25lookback_scan_determinismE0ES3_S9_NS6_6detail15normal_iteratorINS6_10device_ptrIsEEEENSD_INSE_IjEEEESG_SI_PmS8_NS6_8equal_toIsEEEE10hipError_tPvRmT2_T3_mT4_T5_T6_T7_T8_P12ihipStream_tbENKUlT_T0_E_clISt17integral_constantIbLb0EES13_EEDaSY_SZ_EUlSY_E_NS1_11comp_targetILNS1_3genE3ELNS1_11target_archE908ELNS1_3gpuE7ELNS1_3repE0EEENS1_30default_config_static_selectorELNS0_4arch9wavefront6targetE0EEEvT1_,"axG",@progbits,_ZN7rocprim17ROCPRIM_400000_NS6detail17trampoline_kernelINS0_14default_configENS1_29reduce_by_key_config_selectorIsjN6thrust23THRUST_200600_302600_NS4plusIjEEEEZZNS1_33reduce_by_key_impl_wrapped_configILNS1_25lookback_scan_determinismE0ES3_S9_NS6_6detail15normal_iteratorINS6_10device_ptrIsEEEENSD_INSE_IjEEEESG_SI_PmS8_NS6_8equal_toIsEEEE10hipError_tPvRmT2_T3_mT4_T5_T6_T7_T8_P12ihipStream_tbENKUlT_T0_E_clISt17integral_constantIbLb0EES13_EEDaSY_SZ_EUlSY_E_NS1_11comp_targetILNS1_3genE3ELNS1_11target_archE908ELNS1_3gpuE7ELNS1_3repE0EEENS1_30default_config_static_selectorELNS0_4arch9wavefront6targetE0EEEvT1_,comdat
.Lfunc_end844:
	.size	_ZN7rocprim17ROCPRIM_400000_NS6detail17trampoline_kernelINS0_14default_configENS1_29reduce_by_key_config_selectorIsjN6thrust23THRUST_200600_302600_NS4plusIjEEEEZZNS1_33reduce_by_key_impl_wrapped_configILNS1_25lookback_scan_determinismE0ES3_S9_NS6_6detail15normal_iteratorINS6_10device_ptrIsEEEENSD_INSE_IjEEEESG_SI_PmS8_NS6_8equal_toIsEEEE10hipError_tPvRmT2_T3_mT4_T5_T6_T7_T8_P12ihipStream_tbENKUlT_T0_E_clISt17integral_constantIbLb0EES13_EEDaSY_SZ_EUlSY_E_NS1_11comp_targetILNS1_3genE3ELNS1_11target_archE908ELNS1_3gpuE7ELNS1_3repE0EEENS1_30default_config_static_selectorELNS0_4arch9wavefront6targetE0EEEvT1_, .Lfunc_end844-_ZN7rocprim17ROCPRIM_400000_NS6detail17trampoline_kernelINS0_14default_configENS1_29reduce_by_key_config_selectorIsjN6thrust23THRUST_200600_302600_NS4plusIjEEEEZZNS1_33reduce_by_key_impl_wrapped_configILNS1_25lookback_scan_determinismE0ES3_S9_NS6_6detail15normal_iteratorINS6_10device_ptrIsEEEENSD_INSE_IjEEEESG_SI_PmS8_NS6_8equal_toIsEEEE10hipError_tPvRmT2_T3_mT4_T5_T6_T7_T8_P12ihipStream_tbENKUlT_T0_E_clISt17integral_constantIbLb0EES13_EEDaSY_SZ_EUlSY_E_NS1_11comp_targetILNS1_3genE3ELNS1_11target_archE908ELNS1_3gpuE7ELNS1_3repE0EEENS1_30default_config_static_selectorELNS0_4arch9wavefront6targetE0EEEvT1_
                                        ; -- End function
	.section	.AMDGPU.csdata,"",@progbits
; Kernel info:
; codeLenInByte = 0
; NumSgprs: 0
; NumVgprs: 0
; ScratchSize: 0
; MemoryBound: 0
; FloatMode: 240
; IeeeMode: 1
; LDSByteSize: 0 bytes/workgroup (compile time only)
; SGPRBlocks: 0
; VGPRBlocks: 0
; NumSGPRsForWavesPerEU: 1
; NumVGPRsForWavesPerEU: 1
; Occupancy: 16
; WaveLimiterHint : 0
; COMPUTE_PGM_RSRC2:SCRATCH_EN: 0
; COMPUTE_PGM_RSRC2:USER_SGPR: 15
; COMPUTE_PGM_RSRC2:TRAP_HANDLER: 0
; COMPUTE_PGM_RSRC2:TGID_X_EN: 1
; COMPUTE_PGM_RSRC2:TGID_Y_EN: 0
; COMPUTE_PGM_RSRC2:TGID_Z_EN: 0
; COMPUTE_PGM_RSRC2:TIDIG_COMP_CNT: 0
	.section	.text._ZN7rocprim17ROCPRIM_400000_NS6detail17trampoline_kernelINS0_14default_configENS1_29reduce_by_key_config_selectorIsjN6thrust23THRUST_200600_302600_NS4plusIjEEEEZZNS1_33reduce_by_key_impl_wrapped_configILNS1_25lookback_scan_determinismE0ES3_S9_NS6_6detail15normal_iteratorINS6_10device_ptrIsEEEENSD_INSE_IjEEEESG_SI_PmS8_NS6_8equal_toIsEEEE10hipError_tPvRmT2_T3_mT4_T5_T6_T7_T8_P12ihipStream_tbENKUlT_T0_E_clISt17integral_constantIbLb0EES13_EEDaSY_SZ_EUlSY_E_NS1_11comp_targetILNS1_3genE2ELNS1_11target_archE906ELNS1_3gpuE6ELNS1_3repE0EEENS1_30default_config_static_selectorELNS0_4arch9wavefront6targetE0EEEvT1_,"axG",@progbits,_ZN7rocprim17ROCPRIM_400000_NS6detail17trampoline_kernelINS0_14default_configENS1_29reduce_by_key_config_selectorIsjN6thrust23THRUST_200600_302600_NS4plusIjEEEEZZNS1_33reduce_by_key_impl_wrapped_configILNS1_25lookback_scan_determinismE0ES3_S9_NS6_6detail15normal_iteratorINS6_10device_ptrIsEEEENSD_INSE_IjEEEESG_SI_PmS8_NS6_8equal_toIsEEEE10hipError_tPvRmT2_T3_mT4_T5_T6_T7_T8_P12ihipStream_tbENKUlT_T0_E_clISt17integral_constantIbLb0EES13_EEDaSY_SZ_EUlSY_E_NS1_11comp_targetILNS1_3genE2ELNS1_11target_archE906ELNS1_3gpuE6ELNS1_3repE0EEENS1_30default_config_static_selectorELNS0_4arch9wavefront6targetE0EEEvT1_,comdat
	.protected	_ZN7rocprim17ROCPRIM_400000_NS6detail17trampoline_kernelINS0_14default_configENS1_29reduce_by_key_config_selectorIsjN6thrust23THRUST_200600_302600_NS4plusIjEEEEZZNS1_33reduce_by_key_impl_wrapped_configILNS1_25lookback_scan_determinismE0ES3_S9_NS6_6detail15normal_iteratorINS6_10device_ptrIsEEEENSD_INSE_IjEEEESG_SI_PmS8_NS6_8equal_toIsEEEE10hipError_tPvRmT2_T3_mT4_T5_T6_T7_T8_P12ihipStream_tbENKUlT_T0_E_clISt17integral_constantIbLb0EES13_EEDaSY_SZ_EUlSY_E_NS1_11comp_targetILNS1_3genE2ELNS1_11target_archE906ELNS1_3gpuE6ELNS1_3repE0EEENS1_30default_config_static_selectorELNS0_4arch9wavefront6targetE0EEEvT1_ ; -- Begin function _ZN7rocprim17ROCPRIM_400000_NS6detail17trampoline_kernelINS0_14default_configENS1_29reduce_by_key_config_selectorIsjN6thrust23THRUST_200600_302600_NS4plusIjEEEEZZNS1_33reduce_by_key_impl_wrapped_configILNS1_25lookback_scan_determinismE0ES3_S9_NS6_6detail15normal_iteratorINS6_10device_ptrIsEEEENSD_INSE_IjEEEESG_SI_PmS8_NS6_8equal_toIsEEEE10hipError_tPvRmT2_T3_mT4_T5_T6_T7_T8_P12ihipStream_tbENKUlT_T0_E_clISt17integral_constantIbLb0EES13_EEDaSY_SZ_EUlSY_E_NS1_11comp_targetILNS1_3genE2ELNS1_11target_archE906ELNS1_3gpuE6ELNS1_3repE0EEENS1_30default_config_static_selectorELNS0_4arch9wavefront6targetE0EEEvT1_
	.globl	_ZN7rocprim17ROCPRIM_400000_NS6detail17trampoline_kernelINS0_14default_configENS1_29reduce_by_key_config_selectorIsjN6thrust23THRUST_200600_302600_NS4plusIjEEEEZZNS1_33reduce_by_key_impl_wrapped_configILNS1_25lookback_scan_determinismE0ES3_S9_NS6_6detail15normal_iteratorINS6_10device_ptrIsEEEENSD_INSE_IjEEEESG_SI_PmS8_NS6_8equal_toIsEEEE10hipError_tPvRmT2_T3_mT4_T5_T6_T7_T8_P12ihipStream_tbENKUlT_T0_E_clISt17integral_constantIbLb0EES13_EEDaSY_SZ_EUlSY_E_NS1_11comp_targetILNS1_3genE2ELNS1_11target_archE906ELNS1_3gpuE6ELNS1_3repE0EEENS1_30default_config_static_selectorELNS0_4arch9wavefront6targetE0EEEvT1_
	.p2align	8
	.type	_ZN7rocprim17ROCPRIM_400000_NS6detail17trampoline_kernelINS0_14default_configENS1_29reduce_by_key_config_selectorIsjN6thrust23THRUST_200600_302600_NS4plusIjEEEEZZNS1_33reduce_by_key_impl_wrapped_configILNS1_25lookback_scan_determinismE0ES3_S9_NS6_6detail15normal_iteratorINS6_10device_ptrIsEEEENSD_INSE_IjEEEESG_SI_PmS8_NS6_8equal_toIsEEEE10hipError_tPvRmT2_T3_mT4_T5_T6_T7_T8_P12ihipStream_tbENKUlT_T0_E_clISt17integral_constantIbLb0EES13_EEDaSY_SZ_EUlSY_E_NS1_11comp_targetILNS1_3genE2ELNS1_11target_archE906ELNS1_3gpuE6ELNS1_3repE0EEENS1_30default_config_static_selectorELNS0_4arch9wavefront6targetE0EEEvT1_,@function
_ZN7rocprim17ROCPRIM_400000_NS6detail17trampoline_kernelINS0_14default_configENS1_29reduce_by_key_config_selectorIsjN6thrust23THRUST_200600_302600_NS4plusIjEEEEZZNS1_33reduce_by_key_impl_wrapped_configILNS1_25lookback_scan_determinismE0ES3_S9_NS6_6detail15normal_iteratorINS6_10device_ptrIsEEEENSD_INSE_IjEEEESG_SI_PmS8_NS6_8equal_toIsEEEE10hipError_tPvRmT2_T3_mT4_T5_T6_T7_T8_P12ihipStream_tbENKUlT_T0_E_clISt17integral_constantIbLb0EES13_EEDaSY_SZ_EUlSY_E_NS1_11comp_targetILNS1_3genE2ELNS1_11target_archE906ELNS1_3gpuE6ELNS1_3repE0EEENS1_30default_config_static_selectorELNS0_4arch9wavefront6targetE0EEEvT1_: ; @_ZN7rocprim17ROCPRIM_400000_NS6detail17trampoline_kernelINS0_14default_configENS1_29reduce_by_key_config_selectorIsjN6thrust23THRUST_200600_302600_NS4plusIjEEEEZZNS1_33reduce_by_key_impl_wrapped_configILNS1_25lookback_scan_determinismE0ES3_S9_NS6_6detail15normal_iteratorINS6_10device_ptrIsEEEENSD_INSE_IjEEEESG_SI_PmS8_NS6_8equal_toIsEEEE10hipError_tPvRmT2_T3_mT4_T5_T6_T7_T8_P12ihipStream_tbENKUlT_T0_E_clISt17integral_constantIbLb0EES13_EEDaSY_SZ_EUlSY_E_NS1_11comp_targetILNS1_3genE2ELNS1_11target_archE906ELNS1_3gpuE6ELNS1_3repE0EEENS1_30default_config_static_selectorELNS0_4arch9wavefront6targetE0EEEvT1_
; %bb.0:
	.section	.rodata,"a",@progbits
	.p2align	6, 0x0
	.amdhsa_kernel _ZN7rocprim17ROCPRIM_400000_NS6detail17trampoline_kernelINS0_14default_configENS1_29reduce_by_key_config_selectorIsjN6thrust23THRUST_200600_302600_NS4plusIjEEEEZZNS1_33reduce_by_key_impl_wrapped_configILNS1_25lookback_scan_determinismE0ES3_S9_NS6_6detail15normal_iteratorINS6_10device_ptrIsEEEENSD_INSE_IjEEEESG_SI_PmS8_NS6_8equal_toIsEEEE10hipError_tPvRmT2_T3_mT4_T5_T6_T7_T8_P12ihipStream_tbENKUlT_T0_E_clISt17integral_constantIbLb0EES13_EEDaSY_SZ_EUlSY_E_NS1_11comp_targetILNS1_3genE2ELNS1_11target_archE906ELNS1_3gpuE6ELNS1_3repE0EEENS1_30default_config_static_selectorELNS0_4arch9wavefront6targetE0EEEvT1_
		.amdhsa_group_segment_fixed_size 0
		.amdhsa_private_segment_fixed_size 0
		.amdhsa_kernarg_size 120
		.amdhsa_user_sgpr_count 15
		.amdhsa_user_sgpr_dispatch_ptr 0
		.amdhsa_user_sgpr_queue_ptr 0
		.amdhsa_user_sgpr_kernarg_segment_ptr 1
		.amdhsa_user_sgpr_dispatch_id 0
		.amdhsa_user_sgpr_private_segment_size 0
		.amdhsa_wavefront_size32 1
		.amdhsa_uses_dynamic_stack 0
		.amdhsa_enable_private_segment 0
		.amdhsa_system_sgpr_workgroup_id_x 1
		.amdhsa_system_sgpr_workgroup_id_y 0
		.amdhsa_system_sgpr_workgroup_id_z 0
		.amdhsa_system_sgpr_workgroup_info 0
		.amdhsa_system_vgpr_workitem_id 0
		.amdhsa_next_free_vgpr 1
		.amdhsa_next_free_sgpr 1
		.amdhsa_reserve_vcc 0
		.amdhsa_float_round_mode_32 0
		.amdhsa_float_round_mode_16_64 0
		.amdhsa_float_denorm_mode_32 3
		.amdhsa_float_denorm_mode_16_64 3
		.amdhsa_dx10_clamp 1
		.amdhsa_ieee_mode 1
		.amdhsa_fp16_overflow 0
		.amdhsa_workgroup_processor_mode 1
		.amdhsa_memory_ordered 1
		.amdhsa_forward_progress 0
		.amdhsa_shared_vgpr_count 0
		.amdhsa_exception_fp_ieee_invalid_op 0
		.amdhsa_exception_fp_denorm_src 0
		.amdhsa_exception_fp_ieee_div_zero 0
		.amdhsa_exception_fp_ieee_overflow 0
		.amdhsa_exception_fp_ieee_underflow 0
		.amdhsa_exception_fp_ieee_inexact 0
		.amdhsa_exception_int_div_zero 0
	.end_amdhsa_kernel
	.section	.text._ZN7rocprim17ROCPRIM_400000_NS6detail17trampoline_kernelINS0_14default_configENS1_29reduce_by_key_config_selectorIsjN6thrust23THRUST_200600_302600_NS4plusIjEEEEZZNS1_33reduce_by_key_impl_wrapped_configILNS1_25lookback_scan_determinismE0ES3_S9_NS6_6detail15normal_iteratorINS6_10device_ptrIsEEEENSD_INSE_IjEEEESG_SI_PmS8_NS6_8equal_toIsEEEE10hipError_tPvRmT2_T3_mT4_T5_T6_T7_T8_P12ihipStream_tbENKUlT_T0_E_clISt17integral_constantIbLb0EES13_EEDaSY_SZ_EUlSY_E_NS1_11comp_targetILNS1_3genE2ELNS1_11target_archE906ELNS1_3gpuE6ELNS1_3repE0EEENS1_30default_config_static_selectorELNS0_4arch9wavefront6targetE0EEEvT1_,"axG",@progbits,_ZN7rocprim17ROCPRIM_400000_NS6detail17trampoline_kernelINS0_14default_configENS1_29reduce_by_key_config_selectorIsjN6thrust23THRUST_200600_302600_NS4plusIjEEEEZZNS1_33reduce_by_key_impl_wrapped_configILNS1_25lookback_scan_determinismE0ES3_S9_NS6_6detail15normal_iteratorINS6_10device_ptrIsEEEENSD_INSE_IjEEEESG_SI_PmS8_NS6_8equal_toIsEEEE10hipError_tPvRmT2_T3_mT4_T5_T6_T7_T8_P12ihipStream_tbENKUlT_T0_E_clISt17integral_constantIbLb0EES13_EEDaSY_SZ_EUlSY_E_NS1_11comp_targetILNS1_3genE2ELNS1_11target_archE906ELNS1_3gpuE6ELNS1_3repE0EEENS1_30default_config_static_selectorELNS0_4arch9wavefront6targetE0EEEvT1_,comdat
.Lfunc_end845:
	.size	_ZN7rocprim17ROCPRIM_400000_NS6detail17trampoline_kernelINS0_14default_configENS1_29reduce_by_key_config_selectorIsjN6thrust23THRUST_200600_302600_NS4plusIjEEEEZZNS1_33reduce_by_key_impl_wrapped_configILNS1_25lookback_scan_determinismE0ES3_S9_NS6_6detail15normal_iteratorINS6_10device_ptrIsEEEENSD_INSE_IjEEEESG_SI_PmS8_NS6_8equal_toIsEEEE10hipError_tPvRmT2_T3_mT4_T5_T6_T7_T8_P12ihipStream_tbENKUlT_T0_E_clISt17integral_constantIbLb0EES13_EEDaSY_SZ_EUlSY_E_NS1_11comp_targetILNS1_3genE2ELNS1_11target_archE906ELNS1_3gpuE6ELNS1_3repE0EEENS1_30default_config_static_selectorELNS0_4arch9wavefront6targetE0EEEvT1_, .Lfunc_end845-_ZN7rocprim17ROCPRIM_400000_NS6detail17trampoline_kernelINS0_14default_configENS1_29reduce_by_key_config_selectorIsjN6thrust23THRUST_200600_302600_NS4plusIjEEEEZZNS1_33reduce_by_key_impl_wrapped_configILNS1_25lookback_scan_determinismE0ES3_S9_NS6_6detail15normal_iteratorINS6_10device_ptrIsEEEENSD_INSE_IjEEEESG_SI_PmS8_NS6_8equal_toIsEEEE10hipError_tPvRmT2_T3_mT4_T5_T6_T7_T8_P12ihipStream_tbENKUlT_T0_E_clISt17integral_constantIbLb0EES13_EEDaSY_SZ_EUlSY_E_NS1_11comp_targetILNS1_3genE2ELNS1_11target_archE906ELNS1_3gpuE6ELNS1_3repE0EEENS1_30default_config_static_selectorELNS0_4arch9wavefront6targetE0EEEvT1_
                                        ; -- End function
	.section	.AMDGPU.csdata,"",@progbits
; Kernel info:
; codeLenInByte = 0
; NumSgprs: 0
; NumVgprs: 0
; ScratchSize: 0
; MemoryBound: 0
; FloatMode: 240
; IeeeMode: 1
; LDSByteSize: 0 bytes/workgroup (compile time only)
; SGPRBlocks: 0
; VGPRBlocks: 0
; NumSGPRsForWavesPerEU: 1
; NumVGPRsForWavesPerEU: 1
; Occupancy: 16
; WaveLimiterHint : 0
; COMPUTE_PGM_RSRC2:SCRATCH_EN: 0
; COMPUTE_PGM_RSRC2:USER_SGPR: 15
; COMPUTE_PGM_RSRC2:TRAP_HANDLER: 0
; COMPUTE_PGM_RSRC2:TGID_X_EN: 1
; COMPUTE_PGM_RSRC2:TGID_Y_EN: 0
; COMPUTE_PGM_RSRC2:TGID_Z_EN: 0
; COMPUTE_PGM_RSRC2:TIDIG_COMP_CNT: 0
	.section	.text._ZN7rocprim17ROCPRIM_400000_NS6detail17trampoline_kernelINS0_14default_configENS1_29reduce_by_key_config_selectorIsjN6thrust23THRUST_200600_302600_NS4plusIjEEEEZZNS1_33reduce_by_key_impl_wrapped_configILNS1_25lookback_scan_determinismE0ES3_S9_NS6_6detail15normal_iteratorINS6_10device_ptrIsEEEENSD_INSE_IjEEEESG_SI_PmS8_NS6_8equal_toIsEEEE10hipError_tPvRmT2_T3_mT4_T5_T6_T7_T8_P12ihipStream_tbENKUlT_T0_E_clISt17integral_constantIbLb0EES13_EEDaSY_SZ_EUlSY_E_NS1_11comp_targetILNS1_3genE10ELNS1_11target_archE1201ELNS1_3gpuE5ELNS1_3repE0EEENS1_30default_config_static_selectorELNS0_4arch9wavefront6targetE0EEEvT1_,"axG",@progbits,_ZN7rocprim17ROCPRIM_400000_NS6detail17trampoline_kernelINS0_14default_configENS1_29reduce_by_key_config_selectorIsjN6thrust23THRUST_200600_302600_NS4plusIjEEEEZZNS1_33reduce_by_key_impl_wrapped_configILNS1_25lookback_scan_determinismE0ES3_S9_NS6_6detail15normal_iteratorINS6_10device_ptrIsEEEENSD_INSE_IjEEEESG_SI_PmS8_NS6_8equal_toIsEEEE10hipError_tPvRmT2_T3_mT4_T5_T6_T7_T8_P12ihipStream_tbENKUlT_T0_E_clISt17integral_constantIbLb0EES13_EEDaSY_SZ_EUlSY_E_NS1_11comp_targetILNS1_3genE10ELNS1_11target_archE1201ELNS1_3gpuE5ELNS1_3repE0EEENS1_30default_config_static_selectorELNS0_4arch9wavefront6targetE0EEEvT1_,comdat
	.protected	_ZN7rocprim17ROCPRIM_400000_NS6detail17trampoline_kernelINS0_14default_configENS1_29reduce_by_key_config_selectorIsjN6thrust23THRUST_200600_302600_NS4plusIjEEEEZZNS1_33reduce_by_key_impl_wrapped_configILNS1_25lookback_scan_determinismE0ES3_S9_NS6_6detail15normal_iteratorINS6_10device_ptrIsEEEENSD_INSE_IjEEEESG_SI_PmS8_NS6_8equal_toIsEEEE10hipError_tPvRmT2_T3_mT4_T5_T6_T7_T8_P12ihipStream_tbENKUlT_T0_E_clISt17integral_constantIbLb0EES13_EEDaSY_SZ_EUlSY_E_NS1_11comp_targetILNS1_3genE10ELNS1_11target_archE1201ELNS1_3gpuE5ELNS1_3repE0EEENS1_30default_config_static_selectorELNS0_4arch9wavefront6targetE0EEEvT1_ ; -- Begin function _ZN7rocprim17ROCPRIM_400000_NS6detail17trampoline_kernelINS0_14default_configENS1_29reduce_by_key_config_selectorIsjN6thrust23THRUST_200600_302600_NS4plusIjEEEEZZNS1_33reduce_by_key_impl_wrapped_configILNS1_25lookback_scan_determinismE0ES3_S9_NS6_6detail15normal_iteratorINS6_10device_ptrIsEEEENSD_INSE_IjEEEESG_SI_PmS8_NS6_8equal_toIsEEEE10hipError_tPvRmT2_T3_mT4_T5_T6_T7_T8_P12ihipStream_tbENKUlT_T0_E_clISt17integral_constantIbLb0EES13_EEDaSY_SZ_EUlSY_E_NS1_11comp_targetILNS1_3genE10ELNS1_11target_archE1201ELNS1_3gpuE5ELNS1_3repE0EEENS1_30default_config_static_selectorELNS0_4arch9wavefront6targetE0EEEvT1_
	.globl	_ZN7rocprim17ROCPRIM_400000_NS6detail17trampoline_kernelINS0_14default_configENS1_29reduce_by_key_config_selectorIsjN6thrust23THRUST_200600_302600_NS4plusIjEEEEZZNS1_33reduce_by_key_impl_wrapped_configILNS1_25lookback_scan_determinismE0ES3_S9_NS6_6detail15normal_iteratorINS6_10device_ptrIsEEEENSD_INSE_IjEEEESG_SI_PmS8_NS6_8equal_toIsEEEE10hipError_tPvRmT2_T3_mT4_T5_T6_T7_T8_P12ihipStream_tbENKUlT_T0_E_clISt17integral_constantIbLb0EES13_EEDaSY_SZ_EUlSY_E_NS1_11comp_targetILNS1_3genE10ELNS1_11target_archE1201ELNS1_3gpuE5ELNS1_3repE0EEENS1_30default_config_static_selectorELNS0_4arch9wavefront6targetE0EEEvT1_
	.p2align	8
	.type	_ZN7rocprim17ROCPRIM_400000_NS6detail17trampoline_kernelINS0_14default_configENS1_29reduce_by_key_config_selectorIsjN6thrust23THRUST_200600_302600_NS4plusIjEEEEZZNS1_33reduce_by_key_impl_wrapped_configILNS1_25lookback_scan_determinismE0ES3_S9_NS6_6detail15normal_iteratorINS6_10device_ptrIsEEEENSD_INSE_IjEEEESG_SI_PmS8_NS6_8equal_toIsEEEE10hipError_tPvRmT2_T3_mT4_T5_T6_T7_T8_P12ihipStream_tbENKUlT_T0_E_clISt17integral_constantIbLb0EES13_EEDaSY_SZ_EUlSY_E_NS1_11comp_targetILNS1_3genE10ELNS1_11target_archE1201ELNS1_3gpuE5ELNS1_3repE0EEENS1_30default_config_static_selectorELNS0_4arch9wavefront6targetE0EEEvT1_,@function
_ZN7rocprim17ROCPRIM_400000_NS6detail17trampoline_kernelINS0_14default_configENS1_29reduce_by_key_config_selectorIsjN6thrust23THRUST_200600_302600_NS4plusIjEEEEZZNS1_33reduce_by_key_impl_wrapped_configILNS1_25lookback_scan_determinismE0ES3_S9_NS6_6detail15normal_iteratorINS6_10device_ptrIsEEEENSD_INSE_IjEEEESG_SI_PmS8_NS6_8equal_toIsEEEE10hipError_tPvRmT2_T3_mT4_T5_T6_T7_T8_P12ihipStream_tbENKUlT_T0_E_clISt17integral_constantIbLb0EES13_EEDaSY_SZ_EUlSY_E_NS1_11comp_targetILNS1_3genE10ELNS1_11target_archE1201ELNS1_3gpuE5ELNS1_3repE0EEENS1_30default_config_static_selectorELNS0_4arch9wavefront6targetE0EEEvT1_: ; @_ZN7rocprim17ROCPRIM_400000_NS6detail17trampoline_kernelINS0_14default_configENS1_29reduce_by_key_config_selectorIsjN6thrust23THRUST_200600_302600_NS4plusIjEEEEZZNS1_33reduce_by_key_impl_wrapped_configILNS1_25lookback_scan_determinismE0ES3_S9_NS6_6detail15normal_iteratorINS6_10device_ptrIsEEEENSD_INSE_IjEEEESG_SI_PmS8_NS6_8equal_toIsEEEE10hipError_tPvRmT2_T3_mT4_T5_T6_T7_T8_P12ihipStream_tbENKUlT_T0_E_clISt17integral_constantIbLb0EES13_EEDaSY_SZ_EUlSY_E_NS1_11comp_targetILNS1_3genE10ELNS1_11target_archE1201ELNS1_3gpuE5ELNS1_3repE0EEENS1_30default_config_static_selectorELNS0_4arch9wavefront6targetE0EEEvT1_
; %bb.0:
	.section	.rodata,"a",@progbits
	.p2align	6, 0x0
	.amdhsa_kernel _ZN7rocprim17ROCPRIM_400000_NS6detail17trampoline_kernelINS0_14default_configENS1_29reduce_by_key_config_selectorIsjN6thrust23THRUST_200600_302600_NS4plusIjEEEEZZNS1_33reduce_by_key_impl_wrapped_configILNS1_25lookback_scan_determinismE0ES3_S9_NS6_6detail15normal_iteratorINS6_10device_ptrIsEEEENSD_INSE_IjEEEESG_SI_PmS8_NS6_8equal_toIsEEEE10hipError_tPvRmT2_T3_mT4_T5_T6_T7_T8_P12ihipStream_tbENKUlT_T0_E_clISt17integral_constantIbLb0EES13_EEDaSY_SZ_EUlSY_E_NS1_11comp_targetILNS1_3genE10ELNS1_11target_archE1201ELNS1_3gpuE5ELNS1_3repE0EEENS1_30default_config_static_selectorELNS0_4arch9wavefront6targetE0EEEvT1_
		.amdhsa_group_segment_fixed_size 0
		.amdhsa_private_segment_fixed_size 0
		.amdhsa_kernarg_size 120
		.amdhsa_user_sgpr_count 15
		.amdhsa_user_sgpr_dispatch_ptr 0
		.amdhsa_user_sgpr_queue_ptr 0
		.amdhsa_user_sgpr_kernarg_segment_ptr 1
		.amdhsa_user_sgpr_dispatch_id 0
		.amdhsa_user_sgpr_private_segment_size 0
		.amdhsa_wavefront_size32 1
		.amdhsa_uses_dynamic_stack 0
		.amdhsa_enable_private_segment 0
		.amdhsa_system_sgpr_workgroup_id_x 1
		.amdhsa_system_sgpr_workgroup_id_y 0
		.amdhsa_system_sgpr_workgroup_id_z 0
		.amdhsa_system_sgpr_workgroup_info 0
		.amdhsa_system_vgpr_workitem_id 0
		.amdhsa_next_free_vgpr 1
		.amdhsa_next_free_sgpr 1
		.amdhsa_reserve_vcc 0
		.amdhsa_float_round_mode_32 0
		.amdhsa_float_round_mode_16_64 0
		.amdhsa_float_denorm_mode_32 3
		.amdhsa_float_denorm_mode_16_64 3
		.amdhsa_dx10_clamp 1
		.amdhsa_ieee_mode 1
		.amdhsa_fp16_overflow 0
		.amdhsa_workgroup_processor_mode 1
		.amdhsa_memory_ordered 1
		.amdhsa_forward_progress 0
		.amdhsa_shared_vgpr_count 0
		.amdhsa_exception_fp_ieee_invalid_op 0
		.amdhsa_exception_fp_denorm_src 0
		.amdhsa_exception_fp_ieee_div_zero 0
		.amdhsa_exception_fp_ieee_overflow 0
		.amdhsa_exception_fp_ieee_underflow 0
		.amdhsa_exception_fp_ieee_inexact 0
		.amdhsa_exception_int_div_zero 0
	.end_amdhsa_kernel
	.section	.text._ZN7rocprim17ROCPRIM_400000_NS6detail17trampoline_kernelINS0_14default_configENS1_29reduce_by_key_config_selectorIsjN6thrust23THRUST_200600_302600_NS4plusIjEEEEZZNS1_33reduce_by_key_impl_wrapped_configILNS1_25lookback_scan_determinismE0ES3_S9_NS6_6detail15normal_iteratorINS6_10device_ptrIsEEEENSD_INSE_IjEEEESG_SI_PmS8_NS6_8equal_toIsEEEE10hipError_tPvRmT2_T3_mT4_T5_T6_T7_T8_P12ihipStream_tbENKUlT_T0_E_clISt17integral_constantIbLb0EES13_EEDaSY_SZ_EUlSY_E_NS1_11comp_targetILNS1_3genE10ELNS1_11target_archE1201ELNS1_3gpuE5ELNS1_3repE0EEENS1_30default_config_static_selectorELNS0_4arch9wavefront6targetE0EEEvT1_,"axG",@progbits,_ZN7rocprim17ROCPRIM_400000_NS6detail17trampoline_kernelINS0_14default_configENS1_29reduce_by_key_config_selectorIsjN6thrust23THRUST_200600_302600_NS4plusIjEEEEZZNS1_33reduce_by_key_impl_wrapped_configILNS1_25lookback_scan_determinismE0ES3_S9_NS6_6detail15normal_iteratorINS6_10device_ptrIsEEEENSD_INSE_IjEEEESG_SI_PmS8_NS6_8equal_toIsEEEE10hipError_tPvRmT2_T3_mT4_T5_T6_T7_T8_P12ihipStream_tbENKUlT_T0_E_clISt17integral_constantIbLb0EES13_EEDaSY_SZ_EUlSY_E_NS1_11comp_targetILNS1_3genE10ELNS1_11target_archE1201ELNS1_3gpuE5ELNS1_3repE0EEENS1_30default_config_static_selectorELNS0_4arch9wavefront6targetE0EEEvT1_,comdat
.Lfunc_end846:
	.size	_ZN7rocprim17ROCPRIM_400000_NS6detail17trampoline_kernelINS0_14default_configENS1_29reduce_by_key_config_selectorIsjN6thrust23THRUST_200600_302600_NS4plusIjEEEEZZNS1_33reduce_by_key_impl_wrapped_configILNS1_25lookback_scan_determinismE0ES3_S9_NS6_6detail15normal_iteratorINS6_10device_ptrIsEEEENSD_INSE_IjEEEESG_SI_PmS8_NS6_8equal_toIsEEEE10hipError_tPvRmT2_T3_mT4_T5_T6_T7_T8_P12ihipStream_tbENKUlT_T0_E_clISt17integral_constantIbLb0EES13_EEDaSY_SZ_EUlSY_E_NS1_11comp_targetILNS1_3genE10ELNS1_11target_archE1201ELNS1_3gpuE5ELNS1_3repE0EEENS1_30default_config_static_selectorELNS0_4arch9wavefront6targetE0EEEvT1_, .Lfunc_end846-_ZN7rocprim17ROCPRIM_400000_NS6detail17trampoline_kernelINS0_14default_configENS1_29reduce_by_key_config_selectorIsjN6thrust23THRUST_200600_302600_NS4plusIjEEEEZZNS1_33reduce_by_key_impl_wrapped_configILNS1_25lookback_scan_determinismE0ES3_S9_NS6_6detail15normal_iteratorINS6_10device_ptrIsEEEENSD_INSE_IjEEEESG_SI_PmS8_NS6_8equal_toIsEEEE10hipError_tPvRmT2_T3_mT4_T5_T6_T7_T8_P12ihipStream_tbENKUlT_T0_E_clISt17integral_constantIbLb0EES13_EEDaSY_SZ_EUlSY_E_NS1_11comp_targetILNS1_3genE10ELNS1_11target_archE1201ELNS1_3gpuE5ELNS1_3repE0EEENS1_30default_config_static_selectorELNS0_4arch9wavefront6targetE0EEEvT1_
                                        ; -- End function
	.section	.AMDGPU.csdata,"",@progbits
; Kernel info:
; codeLenInByte = 0
; NumSgprs: 0
; NumVgprs: 0
; ScratchSize: 0
; MemoryBound: 0
; FloatMode: 240
; IeeeMode: 1
; LDSByteSize: 0 bytes/workgroup (compile time only)
; SGPRBlocks: 0
; VGPRBlocks: 0
; NumSGPRsForWavesPerEU: 1
; NumVGPRsForWavesPerEU: 1
; Occupancy: 16
; WaveLimiterHint : 0
; COMPUTE_PGM_RSRC2:SCRATCH_EN: 0
; COMPUTE_PGM_RSRC2:USER_SGPR: 15
; COMPUTE_PGM_RSRC2:TRAP_HANDLER: 0
; COMPUTE_PGM_RSRC2:TGID_X_EN: 1
; COMPUTE_PGM_RSRC2:TGID_Y_EN: 0
; COMPUTE_PGM_RSRC2:TGID_Z_EN: 0
; COMPUTE_PGM_RSRC2:TIDIG_COMP_CNT: 0
	.section	.text._ZN7rocprim17ROCPRIM_400000_NS6detail17trampoline_kernelINS0_14default_configENS1_29reduce_by_key_config_selectorIsjN6thrust23THRUST_200600_302600_NS4plusIjEEEEZZNS1_33reduce_by_key_impl_wrapped_configILNS1_25lookback_scan_determinismE0ES3_S9_NS6_6detail15normal_iteratorINS6_10device_ptrIsEEEENSD_INSE_IjEEEESG_SI_PmS8_NS6_8equal_toIsEEEE10hipError_tPvRmT2_T3_mT4_T5_T6_T7_T8_P12ihipStream_tbENKUlT_T0_E_clISt17integral_constantIbLb0EES13_EEDaSY_SZ_EUlSY_E_NS1_11comp_targetILNS1_3genE10ELNS1_11target_archE1200ELNS1_3gpuE4ELNS1_3repE0EEENS1_30default_config_static_selectorELNS0_4arch9wavefront6targetE0EEEvT1_,"axG",@progbits,_ZN7rocprim17ROCPRIM_400000_NS6detail17trampoline_kernelINS0_14default_configENS1_29reduce_by_key_config_selectorIsjN6thrust23THRUST_200600_302600_NS4plusIjEEEEZZNS1_33reduce_by_key_impl_wrapped_configILNS1_25lookback_scan_determinismE0ES3_S9_NS6_6detail15normal_iteratorINS6_10device_ptrIsEEEENSD_INSE_IjEEEESG_SI_PmS8_NS6_8equal_toIsEEEE10hipError_tPvRmT2_T3_mT4_T5_T6_T7_T8_P12ihipStream_tbENKUlT_T0_E_clISt17integral_constantIbLb0EES13_EEDaSY_SZ_EUlSY_E_NS1_11comp_targetILNS1_3genE10ELNS1_11target_archE1200ELNS1_3gpuE4ELNS1_3repE0EEENS1_30default_config_static_selectorELNS0_4arch9wavefront6targetE0EEEvT1_,comdat
	.protected	_ZN7rocprim17ROCPRIM_400000_NS6detail17trampoline_kernelINS0_14default_configENS1_29reduce_by_key_config_selectorIsjN6thrust23THRUST_200600_302600_NS4plusIjEEEEZZNS1_33reduce_by_key_impl_wrapped_configILNS1_25lookback_scan_determinismE0ES3_S9_NS6_6detail15normal_iteratorINS6_10device_ptrIsEEEENSD_INSE_IjEEEESG_SI_PmS8_NS6_8equal_toIsEEEE10hipError_tPvRmT2_T3_mT4_T5_T6_T7_T8_P12ihipStream_tbENKUlT_T0_E_clISt17integral_constantIbLb0EES13_EEDaSY_SZ_EUlSY_E_NS1_11comp_targetILNS1_3genE10ELNS1_11target_archE1200ELNS1_3gpuE4ELNS1_3repE0EEENS1_30default_config_static_selectorELNS0_4arch9wavefront6targetE0EEEvT1_ ; -- Begin function _ZN7rocprim17ROCPRIM_400000_NS6detail17trampoline_kernelINS0_14default_configENS1_29reduce_by_key_config_selectorIsjN6thrust23THRUST_200600_302600_NS4plusIjEEEEZZNS1_33reduce_by_key_impl_wrapped_configILNS1_25lookback_scan_determinismE0ES3_S9_NS6_6detail15normal_iteratorINS6_10device_ptrIsEEEENSD_INSE_IjEEEESG_SI_PmS8_NS6_8equal_toIsEEEE10hipError_tPvRmT2_T3_mT4_T5_T6_T7_T8_P12ihipStream_tbENKUlT_T0_E_clISt17integral_constantIbLb0EES13_EEDaSY_SZ_EUlSY_E_NS1_11comp_targetILNS1_3genE10ELNS1_11target_archE1200ELNS1_3gpuE4ELNS1_3repE0EEENS1_30default_config_static_selectorELNS0_4arch9wavefront6targetE0EEEvT1_
	.globl	_ZN7rocprim17ROCPRIM_400000_NS6detail17trampoline_kernelINS0_14default_configENS1_29reduce_by_key_config_selectorIsjN6thrust23THRUST_200600_302600_NS4plusIjEEEEZZNS1_33reduce_by_key_impl_wrapped_configILNS1_25lookback_scan_determinismE0ES3_S9_NS6_6detail15normal_iteratorINS6_10device_ptrIsEEEENSD_INSE_IjEEEESG_SI_PmS8_NS6_8equal_toIsEEEE10hipError_tPvRmT2_T3_mT4_T5_T6_T7_T8_P12ihipStream_tbENKUlT_T0_E_clISt17integral_constantIbLb0EES13_EEDaSY_SZ_EUlSY_E_NS1_11comp_targetILNS1_3genE10ELNS1_11target_archE1200ELNS1_3gpuE4ELNS1_3repE0EEENS1_30default_config_static_selectorELNS0_4arch9wavefront6targetE0EEEvT1_
	.p2align	8
	.type	_ZN7rocprim17ROCPRIM_400000_NS6detail17trampoline_kernelINS0_14default_configENS1_29reduce_by_key_config_selectorIsjN6thrust23THRUST_200600_302600_NS4plusIjEEEEZZNS1_33reduce_by_key_impl_wrapped_configILNS1_25lookback_scan_determinismE0ES3_S9_NS6_6detail15normal_iteratorINS6_10device_ptrIsEEEENSD_INSE_IjEEEESG_SI_PmS8_NS6_8equal_toIsEEEE10hipError_tPvRmT2_T3_mT4_T5_T6_T7_T8_P12ihipStream_tbENKUlT_T0_E_clISt17integral_constantIbLb0EES13_EEDaSY_SZ_EUlSY_E_NS1_11comp_targetILNS1_3genE10ELNS1_11target_archE1200ELNS1_3gpuE4ELNS1_3repE0EEENS1_30default_config_static_selectorELNS0_4arch9wavefront6targetE0EEEvT1_,@function
_ZN7rocprim17ROCPRIM_400000_NS6detail17trampoline_kernelINS0_14default_configENS1_29reduce_by_key_config_selectorIsjN6thrust23THRUST_200600_302600_NS4plusIjEEEEZZNS1_33reduce_by_key_impl_wrapped_configILNS1_25lookback_scan_determinismE0ES3_S9_NS6_6detail15normal_iteratorINS6_10device_ptrIsEEEENSD_INSE_IjEEEESG_SI_PmS8_NS6_8equal_toIsEEEE10hipError_tPvRmT2_T3_mT4_T5_T6_T7_T8_P12ihipStream_tbENKUlT_T0_E_clISt17integral_constantIbLb0EES13_EEDaSY_SZ_EUlSY_E_NS1_11comp_targetILNS1_3genE10ELNS1_11target_archE1200ELNS1_3gpuE4ELNS1_3repE0EEENS1_30default_config_static_selectorELNS0_4arch9wavefront6targetE0EEEvT1_: ; @_ZN7rocprim17ROCPRIM_400000_NS6detail17trampoline_kernelINS0_14default_configENS1_29reduce_by_key_config_selectorIsjN6thrust23THRUST_200600_302600_NS4plusIjEEEEZZNS1_33reduce_by_key_impl_wrapped_configILNS1_25lookback_scan_determinismE0ES3_S9_NS6_6detail15normal_iteratorINS6_10device_ptrIsEEEENSD_INSE_IjEEEESG_SI_PmS8_NS6_8equal_toIsEEEE10hipError_tPvRmT2_T3_mT4_T5_T6_T7_T8_P12ihipStream_tbENKUlT_T0_E_clISt17integral_constantIbLb0EES13_EEDaSY_SZ_EUlSY_E_NS1_11comp_targetILNS1_3genE10ELNS1_11target_archE1200ELNS1_3gpuE4ELNS1_3repE0EEENS1_30default_config_static_selectorELNS0_4arch9wavefront6targetE0EEEvT1_
; %bb.0:
	.section	.rodata,"a",@progbits
	.p2align	6, 0x0
	.amdhsa_kernel _ZN7rocprim17ROCPRIM_400000_NS6detail17trampoline_kernelINS0_14default_configENS1_29reduce_by_key_config_selectorIsjN6thrust23THRUST_200600_302600_NS4plusIjEEEEZZNS1_33reduce_by_key_impl_wrapped_configILNS1_25lookback_scan_determinismE0ES3_S9_NS6_6detail15normal_iteratorINS6_10device_ptrIsEEEENSD_INSE_IjEEEESG_SI_PmS8_NS6_8equal_toIsEEEE10hipError_tPvRmT2_T3_mT4_T5_T6_T7_T8_P12ihipStream_tbENKUlT_T0_E_clISt17integral_constantIbLb0EES13_EEDaSY_SZ_EUlSY_E_NS1_11comp_targetILNS1_3genE10ELNS1_11target_archE1200ELNS1_3gpuE4ELNS1_3repE0EEENS1_30default_config_static_selectorELNS0_4arch9wavefront6targetE0EEEvT1_
		.amdhsa_group_segment_fixed_size 0
		.amdhsa_private_segment_fixed_size 0
		.amdhsa_kernarg_size 120
		.amdhsa_user_sgpr_count 15
		.amdhsa_user_sgpr_dispatch_ptr 0
		.amdhsa_user_sgpr_queue_ptr 0
		.amdhsa_user_sgpr_kernarg_segment_ptr 1
		.amdhsa_user_sgpr_dispatch_id 0
		.amdhsa_user_sgpr_private_segment_size 0
		.amdhsa_wavefront_size32 1
		.amdhsa_uses_dynamic_stack 0
		.amdhsa_enable_private_segment 0
		.amdhsa_system_sgpr_workgroup_id_x 1
		.amdhsa_system_sgpr_workgroup_id_y 0
		.amdhsa_system_sgpr_workgroup_id_z 0
		.amdhsa_system_sgpr_workgroup_info 0
		.amdhsa_system_vgpr_workitem_id 0
		.amdhsa_next_free_vgpr 1
		.amdhsa_next_free_sgpr 1
		.amdhsa_reserve_vcc 0
		.amdhsa_float_round_mode_32 0
		.amdhsa_float_round_mode_16_64 0
		.amdhsa_float_denorm_mode_32 3
		.amdhsa_float_denorm_mode_16_64 3
		.amdhsa_dx10_clamp 1
		.amdhsa_ieee_mode 1
		.amdhsa_fp16_overflow 0
		.amdhsa_workgroup_processor_mode 1
		.amdhsa_memory_ordered 1
		.amdhsa_forward_progress 0
		.amdhsa_shared_vgpr_count 0
		.amdhsa_exception_fp_ieee_invalid_op 0
		.amdhsa_exception_fp_denorm_src 0
		.amdhsa_exception_fp_ieee_div_zero 0
		.amdhsa_exception_fp_ieee_overflow 0
		.amdhsa_exception_fp_ieee_underflow 0
		.amdhsa_exception_fp_ieee_inexact 0
		.amdhsa_exception_int_div_zero 0
	.end_amdhsa_kernel
	.section	.text._ZN7rocprim17ROCPRIM_400000_NS6detail17trampoline_kernelINS0_14default_configENS1_29reduce_by_key_config_selectorIsjN6thrust23THRUST_200600_302600_NS4plusIjEEEEZZNS1_33reduce_by_key_impl_wrapped_configILNS1_25lookback_scan_determinismE0ES3_S9_NS6_6detail15normal_iteratorINS6_10device_ptrIsEEEENSD_INSE_IjEEEESG_SI_PmS8_NS6_8equal_toIsEEEE10hipError_tPvRmT2_T3_mT4_T5_T6_T7_T8_P12ihipStream_tbENKUlT_T0_E_clISt17integral_constantIbLb0EES13_EEDaSY_SZ_EUlSY_E_NS1_11comp_targetILNS1_3genE10ELNS1_11target_archE1200ELNS1_3gpuE4ELNS1_3repE0EEENS1_30default_config_static_selectorELNS0_4arch9wavefront6targetE0EEEvT1_,"axG",@progbits,_ZN7rocprim17ROCPRIM_400000_NS6detail17trampoline_kernelINS0_14default_configENS1_29reduce_by_key_config_selectorIsjN6thrust23THRUST_200600_302600_NS4plusIjEEEEZZNS1_33reduce_by_key_impl_wrapped_configILNS1_25lookback_scan_determinismE0ES3_S9_NS6_6detail15normal_iteratorINS6_10device_ptrIsEEEENSD_INSE_IjEEEESG_SI_PmS8_NS6_8equal_toIsEEEE10hipError_tPvRmT2_T3_mT4_T5_T6_T7_T8_P12ihipStream_tbENKUlT_T0_E_clISt17integral_constantIbLb0EES13_EEDaSY_SZ_EUlSY_E_NS1_11comp_targetILNS1_3genE10ELNS1_11target_archE1200ELNS1_3gpuE4ELNS1_3repE0EEENS1_30default_config_static_selectorELNS0_4arch9wavefront6targetE0EEEvT1_,comdat
.Lfunc_end847:
	.size	_ZN7rocprim17ROCPRIM_400000_NS6detail17trampoline_kernelINS0_14default_configENS1_29reduce_by_key_config_selectorIsjN6thrust23THRUST_200600_302600_NS4plusIjEEEEZZNS1_33reduce_by_key_impl_wrapped_configILNS1_25lookback_scan_determinismE0ES3_S9_NS6_6detail15normal_iteratorINS6_10device_ptrIsEEEENSD_INSE_IjEEEESG_SI_PmS8_NS6_8equal_toIsEEEE10hipError_tPvRmT2_T3_mT4_T5_T6_T7_T8_P12ihipStream_tbENKUlT_T0_E_clISt17integral_constantIbLb0EES13_EEDaSY_SZ_EUlSY_E_NS1_11comp_targetILNS1_3genE10ELNS1_11target_archE1200ELNS1_3gpuE4ELNS1_3repE0EEENS1_30default_config_static_selectorELNS0_4arch9wavefront6targetE0EEEvT1_, .Lfunc_end847-_ZN7rocprim17ROCPRIM_400000_NS6detail17trampoline_kernelINS0_14default_configENS1_29reduce_by_key_config_selectorIsjN6thrust23THRUST_200600_302600_NS4plusIjEEEEZZNS1_33reduce_by_key_impl_wrapped_configILNS1_25lookback_scan_determinismE0ES3_S9_NS6_6detail15normal_iteratorINS6_10device_ptrIsEEEENSD_INSE_IjEEEESG_SI_PmS8_NS6_8equal_toIsEEEE10hipError_tPvRmT2_T3_mT4_T5_T6_T7_T8_P12ihipStream_tbENKUlT_T0_E_clISt17integral_constantIbLb0EES13_EEDaSY_SZ_EUlSY_E_NS1_11comp_targetILNS1_3genE10ELNS1_11target_archE1200ELNS1_3gpuE4ELNS1_3repE0EEENS1_30default_config_static_selectorELNS0_4arch9wavefront6targetE0EEEvT1_
                                        ; -- End function
	.section	.AMDGPU.csdata,"",@progbits
; Kernel info:
; codeLenInByte = 0
; NumSgprs: 0
; NumVgprs: 0
; ScratchSize: 0
; MemoryBound: 0
; FloatMode: 240
; IeeeMode: 1
; LDSByteSize: 0 bytes/workgroup (compile time only)
; SGPRBlocks: 0
; VGPRBlocks: 0
; NumSGPRsForWavesPerEU: 1
; NumVGPRsForWavesPerEU: 1
; Occupancy: 16
; WaveLimiterHint : 0
; COMPUTE_PGM_RSRC2:SCRATCH_EN: 0
; COMPUTE_PGM_RSRC2:USER_SGPR: 15
; COMPUTE_PGM_RSRC2:TRAP_HANDLER: 0
; COMPUTE_PGM_RSRC2:TGID_X_EN: 1
; COMPUTE_PGM_RSRC2:TGID_Y_EN: 0
; COMPUTE_PGM_RSRC2:TGID_Z_EN: 0
; COMPUTE_PGM_RSRC2:TIDIG_COMP_CNT: 0
	.section	.text._ZN7rocprim17ROCPRIM_400000_NS6detail17trampoline_kernelINS0_14default_configENS1_29reduce_by_key_config_selectorIsjN6thrust23THRUST_200600_302600_NS4plusIjEEEEZZNS1_33reduce_by_key_impl_wrapped_configILNS1_25lookback_scan_determinismE0ES3_S9_NS6_6detail15normal_iteratorINS6_10device_ptrIsEEEENSD_INSE_IjEEEESG_SI_PmS8_NS6_8equal_toIsEEEE10hipError_tPvRmT2_T3_mT4_T5_T6_T7_T8_P12ihipStream_tbENKUlT_T0_E_clISt17integral_constantIbLb0EES13_EEDaSY_SZ_EUlSY_E_NS1_11comp_targetILNS1_3genE9ELNS1_11target_archE1100ELNS1_3gpuE3ELNS1_3repE0EEENS1_30default_config_static_selectorELNS0_4arch9wavefront6targetE0EEEvT1_,"axG",@progbits,_ZN7rocprim17ROCPRIM_400000_NS6detail17trampoline_kernelINS0_14default_configENS1_29reduce_by_key_config_selectorIsjN6thrust23THRUST_200600_302600_NS4plusIjEEEEZZNS1_33reduce_by_key_impl_wrapped_configILNS1_25lookback_scan_determinismE0ES3_S9_NS6_6detail15normal_iteratorINS6_10device_ptrIsEEEENSD_INSE_IjEEEESG_SI_PmS8_NS6_8equal_toIsEEEE10hipError_tPvRmT2_T3_mT4_T5_T6_T7_T8_P12ihipStream_tbENKUlT_T0_E_clISt17integral_constantIbLb0EES13_EEDaSY_SZ_EUlSY_E_NS1_11comp_targetILNS1_3genE9ELNS1_11target_archE1100ELNS1_3gpuE3ELNS1_3repE0EEENS1_30default_config_static_selectorELNS0_4arch9wavefront6targetE0EEEvT1_,comdat
	.protected	_ZN7rocprim17ROCPRIM_400000_NS6detail17trampoline_kernelINS0_14default_configENS1_29reduce_by_key_config_selectorIsjN6thrust23THRUST_200600_302600_NS4plusIjEEEEZZNS1_33reduce_by_key_impl_wrapped_configILNS1_25lookback_scan_determinismE0ES3_S9_NS6_6detail15normal_iteratorINS6_10device_ptrIsEEEENSD_INSE_IjEEEESG_SI_PmS8_NS6_8equal_toIsEEEE10hipError_tPvRmT2_T3_mT4_T5_T6_T7_T8_P12ihipStream_tbENKUlT_T0_E_clISt17integral_constantIbLb0EES13_EEDaSY_SZ_EUlSY_E_NS1_11comp_targetILNS1_3genE9ELNS1_11target_archE1100ELNS1_3gpuE3ELNS1_3repE0EEENS1_30default_config_static_selectorELNS0_4arch9wavefront6targetE0EEEvT1_ ; -- Begin function _ZN7rocprim17ROCPRIM_400000_NS6detail17trampoline_kernelINS0_14default_configENS1_29reduce_by_key_config_selectorIsjN6thrust23THRUST_200600_302600_NS4plusIjEEEEZZNS1_33reduce_by_key_impl_wrapped_configILNS1_25lookback_scan_determinismE0ES3_S9_NS6_6detail15normal_iteratorINS6_10device_ptrIsEEEENSD_INSE_IjEEEESG_SI_PmS8_NS6_8equal_toIsEEEE10hipError_tPvRmT2_T3_mT4_T5_T6_T7_T8_P12ihipStream_tbENKUlT_T0_E_clISt17integral_constantIbLb0EES13_EEDaSY_SZ_EUlSY_E_NS1_11comp_targetILNS1_3genE9ELNS1_11target_archE1100ELNS1_3gpuE3ELNS1_3repE0EEENS1_30default_config_static_selectorELNS0_4arch9wavefront6targetE0EEEvT1_
	.globl	_ZN7rocprim17ROCPRIM_400000_NS6detail17trampoline_kernelINS0_14default_configENS1_29reduce_by_key_config_selectorIsjN6thrust23THRUST_200600_302600_NS4plusIjEEEEZZNS1_33reduce_by_key_impl_wrapped_configILNS1_25lookback_scan_determinismE0ES3_S9_NS6_6detail15normal_iteratorINS6_10device_ptrIsEEEENSD_INSE_IjEEEESG_SI_PmS8_NS6_8equal_toIsEEEE10hipError_tPvRmT2_T3_mT4_T5_T6_T7_T8_P12ihipStream_tbENKUlT_T0_E_clISt17integral_constantIbLb0EES13_EEDaSY_SZ_EUlSY_E_NS1_11comp_targetILNS1_3genE9ELNS1_11target_archE1100ELNS1_3gpuE3ELNS1_3repE0EEENS1_30default_config_static_selectorELNS0_4arch9wavefront6targetE0EEEvT1_
	.p2align	8
	.type	_ZN7rocprim17ROCPRIM_400000_NS6detail17trampoline_kernelINS0_14default_configENS1_29reduce_by_key_config_selectorIsjN6thrust23THRUST_200600_302600_NS4plusIjEEEEZZNS1_33reduce_by_key_impl_wrapped_configILNS1_25lookback_scan_determinismE0ES3_S9_NS6_6detail15normal_iteratorINS6_10device_ptrIsEEEENSD_INSE_IjEEEESG_SI_PmS8_NS6_8equal_toIsEEEE10hipError_tPvRmT2_T3_mT4_T5_T6_T7_T8_P12ihipStream_tbENKUlT_T0_E_clISt17integral_constantIbLb0EES13_EEDaSY_SZ_EUlSY_E_NS1_11comp_targetILNS1_3genE9ELNS1_11target_archE1100ELNS1_3gpuE3ELNS1_3repE0EEENS1_30default_config_static_selectorELNS0_4arch9wavefront6targetE0EEEvT1_,@function
_ZN7rocprim17ROCPRIM_400000_NS6detail17trampoline_kernelINS0_14default_configENS1_29reduce_by_key_config_selectorIsjN6thrust23THRUST_200600_302600_NS4plusIjEEEEZZNS1_33reduce_by_key_impl_wrapped_configILNS1_25lookback_scan_determinismE0ES3_S9_NS6_6detail15normal_iteratorINS6_10device_ptrIsEEEENSD_INSE_IjEEEESG_SI_PmS8_NS6_8equal_toIsEEEE10hipError_tPvRmT2_T3_mT4_T5_T6_T7_T8_P12ihipStream_tbENKUlT_T0_E_clISt17integral_constantIbLb0EES13_EEDaSY_SZ_EUlSY_E_NS1_11comp_targetILNS1_3genE9ELNS1_11target_archE1100ELNS1_3gpuE3ELNS1_3repE0EEENS1_30default_config_static_selectorELNS0_4arch9wavefront6targetE0EEEvT1_: ; @_ZN7rocprim17ROCPRIM_400000_NS6detail17trampoline_kernelINS0_14default_configENS1_29reduce_by_key_config_selectorIsjN6thrust23THRUST_200600_302600_NS4plusIjEEEEZZNS1_33reduce_by_key_impl_wrapped_configILNS1_25lookback_scan_determinismE0ES3_S9_NS6_6detail15normal_iteratorINS6_10device_ptrIsEEEENSD_INSE_IjEEEESG_SI_PmS8_NS6_8equal_toIsEEEE10hipError_tPvRmT2_T3_mT4_T5_T6_T7_T8_P12ihipStream_tbENKUlT_T0_E_clISt17integral_constantIbLb0EES13_EEDaSY_SZ_EUlSY_E_NS1_11comp_targetILNS1_3genE9ELNS1_11target_archE1100ELNS1_3gpuE3ELNS1_3repE0EEENS1_30default_config_static_selectorELNS0_4arch9wavefront6targetE0EEEvT1_
; %bb.0:
	s_clause 0x4
	s_load_b256 s[16:23], s[0:1], 0x0
	s_load_b256 s[24:31], s[0:1], 0x38
	s_load_b128 s[36:39], s[0:1], 0x20
	s_load_b64 s[34:35], s[0:1], 0x68
	s_load_b128 s[40:43], s[0:1], 0x58
	s_mov_b32 s3, 0
	s_mul_i32 s2, s15, 0xf00
	v_mad_u32_u24 v5, v0, 15, 1
	v_mad_u32_u24 v7, v0, 15, 3
	;; [unrolled: 1-line block ×7, first 2 shown]
	s_waitcnt lgkmcnt(0)
	s_lshl_b64 s[0:1], s[18:19], 1
	s_mul_i32 s4, s28, s27
	s_add_u32 s6, s16, s0
	s_addc_u32 s7, s17, s1
	s_lshl_b64 s[0:1], s[18:19], 2
	s_mul_hi_u32 s5, s28, s26
	s_add_u32 s9, s20, s0
	s_mul_i32 s8, s29, s26
	s_addc_u32 s10, s21, s1
	s_add_i32 s4, s5, s4
	s_lshl_b64 s[0:1], s[2:3], 1
	s_add_i32 s4, s4, s8
	s_add_u32 s21, s6, s0
	s_addc_u32 s14, s7, s1
	s_lshl_b64 s[0:1], s[2:3], 2
	s_mul_i32 s2, s28, s26
	s_add_u32 s20, s9, s0
	s_addc_u32 s29, s10, s1
	s_add_u32 s16, s2, s15
	s_addc_u32 s17, s4, 0
	s_add_u32 s0, s30, -1
	s_addc_u32 s1, s31, -1
	s_mul_i32 s19, s0, 0xfffff100
	s_cmp_eq_u64 s[16:17], s[0:1]
	s_cselect_b32 s18, -1, 0
	s_cmp_lg_u64 s[16:17], s[0:1]
	s_cselect_b32 s28, -1, 0
	s_and_b32 vcc_lo, exec_lo, s18
	s_cbranch_vccnz .LBB848_2
; %bb.1:
	v_lshlrev_b32_e32 v6, 1, v0
	s_delay_alu instid0(VALU_DEP_1) | instskip(NEXT) | instid1(VALU_DEP_1)
	v_add_co_u32 v1, s0, s21, v6
	v_add_co_ci_u32_e64 v2, null, s14, 0, s0
	v_mad_u32_u24 v33, v0, 28, v6
	s_delay_alu instid0(VALU_DEP_3) | instskip(NEXT) | instid1(VALU_DEP_3)
	v_add_co_u32 v3, vcc_lo, 0x1000, v1
	v_add_co_ci_u32_e32 v4, vcc_lo, 0, v2, vcc_lo
	s_clause 0xe
	flat_load_u16 v8, v[1:2]
	flat_load_u16 v10, v[1:2] offset:512
	flat_load_u16 v12, v[1:2] offset:1024
	;; [unrolled: 1-line block ×7, first 2 shown]
	flat_load_u16 v2, v[3:4]
	flat_load_u16 v21, v[3:4] offset:512
	flat_load_u16 v29, v[3:4] offset:1024
	;; [unrolled: 1-line block ×6, first 2 shown]
	v_lshlrev_b32_e32 v4, 2, v0
	s_waitcnt vmcnt(14) lgkmcnt(14)
	ds_store_b16 v6, v8
	s_waitcnt vmcnt(13) lgkmcnt(14)
	ds_store_b16 v6, v10 offset:512
	s_waitcnt vmcnt(12) lgkmcnt(14)
	ds_store_b16 v6, v12 offset:1024
	;; [unrolled: 2-line block ×14, first 2 shown]
	v_add_co_u32 v16, s0, s20, v4
	s_delay_alu instid0(VALU_DEP_1) | instskip(SKIP_1) | instid1(VALU_DEP_2)
	v_add_co_ci_u32_e64 v17, null, s29, 0, s0
	s_waitcnt lgkmcnt(0)
	v_add_co_u32 v23, vcc_lo, 0x1000, v16
	s_delay_alu instid0(VALU_DEP_2)
	v_add_co_ci_u32_e32 v24, vcc_lo, 0, v17, vcc_lo
	v_add_co_u32 v25, vcc_lo, 0x2000, v16
	v_add_co_ci_u32_e32 v26, vcc_lo, 0, v17, vcc_lo
	v_add_co_u32 v27, vcc_lo, 0x3000, v16
	v_add_co_ci_u32_e32 v28, vcc_lo, 0, v17, vcc_lo
	s_barrier
	buffer_gl0_inv
	ds_load_u16 v56, v33
	ds_load_b128 v[1:4], v33 offset:2
	ds_load_b96 v[13:15], v33 offset:18
	s_waitcnt lgkmcnt(0)
	s_barrier
	buffer_gl0_inv
	s_clause 0xe
	flat_load_b32 v6, v[16:17]
	flat_load_b32 v8, v[16:17] offset:1024
	flat_load_b32 v12, v[16:17] offset:2048
	flat_load_b32 v16, v[16:17] offset:3072
	flat_load_b32 v17, v[23:24]
	flat_load_b32 v19, v[23:24] offset:1024
	flat_load_b32 v21, v[23:24] offset:2048
	flat_load_b32 v23, v[23:24] offset:3072
	;; [unrolled: 4-line block ×3, first 2 shown]
	flat_load_b32 v26, v[27:28]
	flat_load_b32 v31, v[27:28] offset:1024
	flat_load_b32 v27, v[27:28] offset:2048
	v_mad_i32_i24 v28, 0xffffffe6, v0, v33
	v_mul_u32_u24_e32 v10, 15, v0
	s_waitcnt vmcnt(13) lgkmcnt(13)
	ds_store_2addr_stride64_b32 v28, v6, v8 offset1:4
	s_waitcnt vmcnt(11) lgkmcnt(12)
	ds_store_2addr_stride64_b32 v28, v12, v16 offset0:8 offset1:12
	s_waitcnt vmcnt(9) lgkmcnt(11)
	ds_store_2addr_stride64_b32 v28, v17, v19 offset0:16 offset1:20
	s_waitcnt vmcnt(7) lgkmcnt(10)
	ds_store_2addr_stride64_b32 v28, v21, v23 offset0:24 offset1:28
	s_waitcnt vmcnt(5) lgkmcnt(9)
	ds_store_2addr_stride64_b32 v28, v24, v29 offset0:32 offset1:36
	s_waitcnt vmcnt(3) lgkmcnt(8)
	ds_store_2addr_stride64_b32 v28, v30, v25 offset0:40 offset1:44
	s_waitcnt vmcnt(1) lgkmcnt(7)
	ds_store_2addr_stride64_b32 v28, v26, v31 offset0:48 offset1:52
	s_waitcnt vmcnt(0) lgkmcnt(7)
	ds_store_b32 v28, v27 offset:14336
	s_waitcnt lgkmcnt(0)
	s_barrier
	s_branch .LBB848_3
.LBB848_2:
	s_mov_b32 s3, -1
                                        ; implicit-def: $vgpr1
                                        ; implicit-def: $vgpr13
                                        ; implicit-def: $vgpr10
                                        ; implicit-def: $vgpr56
.LBB848_3:
	v_dual_mov_b32 v19, v22 :: v_dual_mov_b32 v26, v20
	v_dual_mov_b32 v35, v18 :: v_dual_mov_b32 v38, v11
	;; [unrolled: 1-line block ×3, first 2 shown]
	v_mov_b32_e32 v23, v5
	s_and_not1_b32 vcc_lo, exec_lo, s3
	s_add_i32 s19, s19, s40
	s_cbranch_vccnz .LBB848_65
; %bb.4:
	v_cmp_gt_u32_e32 vcc_lo, s19, v0
                                        ; implicit-def: $vgpr1
	s_and_saveexec_b32 s0, vcc_lo
	s_cbranch_execz .LBB848_6
; %bb.5:
	v_lshlrev_b32_e32 v1, 1, v0
	s_delay_alu instid0(VALU_DEP_1) | instskip(NEXT) | instid1(VALU_DEP_1)
	v_add_co_u32 v1, s1, s21, v1
	v_add_co_ci_u32_e64 v2, null, s14, 0, s1
	flat_load_u16 v1, v[1:2]
.LBB848_6:
	s_or_b32 exec_lo, exec_lo, s0
	v_or_b32_e32 v2, 0x100, v0
	s_delay_alu instid0(VALU_DEP_1) | instskip(NEXT) | instid1(VALU_DEP_1)
	v_cmp_gt_u32_e64 s0, s19, v2
                                        ; implicit-def: $vgpr2
	s_and_saveexec_b32 s1, s0
	s_cbranch_execz .LBB848_8
; %bb.7:
	v_lshlrev_b32_e32 v2, 1, v0
	s_delay_alu instid0(VALU_DEP_1) | instskip(NEXT) | instid1(VALU_DEP_1)
	v_add_co_u32 v2, s2, s21, v2
	v_add_co_ci_u32_e64 v3, null, s14, 0, s2
	flat_load_u16 v2, v[2:3] offset:512
.LBB848_8:
	s_or_b32 exec_lo, exec_lo, s1
	v_or_b32_e32 v3, 0x200, v0
	s_delay_alu instid0(VALU_DEP_1) | instskip(NEXT) | instid1(VALU_DEP_1)
	v_cmp_gt_u32_e64 s1, s19, v3
                                        ; implicit-def: $vgpr3
	s_and_saveexec_b32 s2, s1
	s_cbranch_execz .LBB848_10
; %bb.9:
	v_lshlrev_b32_e32 v3, 1, v0
	s_delay_alu instid0(VALU_DEP_1) | instskip(NEXT) | instid1(VALU_DEP_1)
	v_add_co_u32 v3, s3, s21, v3
	v_add_co_ci_u32_e64 v4, null, s14, 0, s3
	flat_load_u16 v3, v[3:4] offset:1024
.LBB848_10:
	s_or_b32 exec_lo, exec_lo, s2
	v_or_b32_e32 v4, 0x300, v0
	s_delay_alu instid0(VALU_DEP_1) | instskip(NEXT) | instid1(VALU_DEP_1)
	v_cmp_gt_u32_e64 s2, s19, v4
                                        ; implicit-def: $vgpr4
	s_and_saveexec_b32 s3, s2
	s_cbranch_execz .LBB848_12
; %bb.11:
	v_lshlrev_b32_e32 v4, 1, v0
	s_delay_alu instid0(VALU_DEP_1) | instskip(NEXT) | instid1(VALU_DEP_1)
	v_add_co_u32 v12, s4, s21, v4
	v_add_co_ci_u32_e64 v13, null, s14, 0, s4
	flat_load_u16 v4, v[12:13] offset:1536
.LBB848_12:
	s_or_b32 exec_lo, exec_lo, s3
	v_or_b32_e32 v6, 0x400, v0
                                        ; implicit-def: $vgpr13
	s_delay_alu instid0(VALU_DEP_1) | instskip(NEXT) | instid1(VALU_DEP_1)
	v_cmp_gt_u32_e64 s3, s19, v6
	s_and_saveexec_b32 s4, s3
	s_cbranch_execz .LBB848_14
; %bb.13:
	v_lshlrev_b32_e32 v8, 1, v0
	s_delay_alu instid0(VALU_DEP_1) | instskip(NEXT) | instid1(VALU_DEP_1)
	v_add_co_u32 v12, s5, s21, v8
	v_add_co_ci_u32_e64 v13, null, s14, 0, s5
	flat_load_u16 v13, v[12:13] offset:2048
.LBB848_14:
	s_or_b32 exec_lo, exec_lo, s4
	v_or_b32_e32 v8, 0x500, v0
                                        ; implicit-def: $vgpr14
	s_delay_alu instid0(VALU_DEP_1) | instskip(NEXT) | instid1(VALU_DEP_1)
	v_cmp_gt_u32_e64 s4, s19, v8
	s_and_saveexec_b32 s5, s4
	s_cbranch_execz .LBB848_16
; %bb.15:
	v_lshlrev_b32_e32 v10, 1, v0
	s_delay_alu instid0(VALU_DEP_1) | instskip(NEXT) | instid1(VALU_DEP_1)
	v_add_co_u32 v14, s6, s21, v10
	v_add_co_ci_u32_e64 v15, null, s14, 0, s6
	flat_load_u16 v14, v[14:15] offset:2560
.LBB848_16:
	s_or_b32 exec_lo, exec_lo, s5
	v_or_b32_e32 v10, 0x600, v0
                                        ; implicit-def: $vgpr15
	s_delay_alu instid0(VALU_DEP_1) | instskip(NEXT) | instid1(VALU_DEP_1)
	v_cmp_gt_u32_e64 s5, s19, v10
	s_and_saveexec_b32 s6, s5
	s_cbranch_execz .LBB848_18
; %bb.17:
	v_lshlrev_b32_e32 v12, 1, v0
	s_delay_alu instid0(VALU_DEP_1) | instskip(NEXT) | instid1(VALU_DEP_1)
	v_add_co_u32 v15, s7, s21, v12
	v_add_co_ci_u32_e64 v16, null, s14, 0, s7
	flat_load_u16 v15, v[15:16] offset:3072
.LBB848_18:
	s_or_b32 exec_lo, exec_lo, s6
	v_or_b32_e32 v12, 0x700, v0
                                        ; implicit-def: $vgpr26
	s_delay_alu instid0(VALU_DEP_1) | instskip(NEXT) | instid1(VALU_DEP_1)
	v_cmp_gt_u32_e64 s6, s19, v12
	s_and_saveexec_b32 s7, s6
	s_cbranch_execz .LBB848_20
; %bb.19:
	v_lshlrev_b32_e32 v16, 1, v0
	s_delay_alu instid0(VALU_DEP_1) | instskip(NEXT) | instid1(VALU_DEP_1)
	v_add_co_u32 v16, s8, s21, v16
	v_add_co_ci_u32_e64 v17, null, s14, 0, s8
	flat_load_u16 v26, v[16:17] offset:3584
.LBB848_20:
	s_or_b32 exec_lo, exec_lo, s7
	v_or_b32_e32 v16, 0x800, v0
                                        ; implicit-def: $vgpr27
	s_delay_alu instid0(VALU_DEP_1) | instskip(NEXT) | instid1(VALU_DEP_1)
	v_cmp_gt_u32_e64 s7, s19, v16
	s_and_saveexec_b32 s8, s7
	s_cbranch_execz .LBB848_22
; %bb.21:
	v_lshlrev_b32_e32 v17, 1, v16
	s_delay_alu instid0(VALU_DEP_1) | instskip(NEXT) | instid1(VALU_DEP_1)
	v_add_co_u32 v23, s9, s21, v17
	v_add_co_ci_u32_e64 v24, null, s14, 0, s9
	flat_load_u16 v27, v[23:24]
.LBB848_22:
	s_or_b32 exec_lo, exec_lo, s8
	v_or_b32_e32 v17, 0x900, v0
                                        ; implicit-def: $vgpr28
	s_delay_alu instid0(VALU_DEP_1) | instskip(NEXT) | instid1(VALU_DEP_1)
	v_cmp_gt_u32_e64 s8, s19, v17
	s_and_saveexec_b32 s9, s8
	s_cbranch_execz .LBB848_24
; %bb.23:
	v_lshlrev_b32_e32 v19, 1, v17
	s_delay_alu instid0(VALU_DEP_1) | instskip(NEXT) | instid1(VALU_DEP_1)
	v_add_co_u32 v23, s10, s21, v19
	v_add_co_ci_u32_e64 v24, null, s14, 0, s10
	flat_load_u16 v28, v[23:24]
.LBB848_24:
	s_or_b32 exec_lo, exec_lo, s9
	v_or_b32_e32 v19, 0xa00, v0
                                        ; implicit-def: $vgpr29
	s_delay_alu instid0(VALU_DEP_1) | instskip(NEXT) | instid1(VALU_DEP_1)
	v_cmp_gt_u32_e64 s9, s19, v19
	s_and_saveexec_b32 s10, s9
	s_cbranch_execz .LBB848_26
; %bb.25:
	v_lshlrev_b32_e32 v21, 1, v19
	s_delay_alu instid0(VALU_DEP_1) | instskip(NEXT) | instid1(VALU_DEP_1)
	v_add_co_u32 v23, s11, s21, v21
	v_add_co_ci_u32_e64 v24, null, s14, 0, s11
	flat_load_u16 v29, v[23:24]
.LBB848_26:
	s_or_b32 exec_lo, exec_lo, s10
	v_or_b32_e32 v21, 0xb00, v0
                                        ; implicit-def: $vgpr30
	s_delay_alu instid0(VALU_DEP_1) | instskip(NEXT) | instid1(VALU_DEP_1)
	v_cmp_gt_u32_e64 s10, s19, v21
	s_and_saveexec_b32 s11, s10
	s_cbranch_execz .LBB848_28
; %bb.27:
	v_lshlrev_b32_e32 v23, 1, v21
	s_delay_alu instid0(VALU_DEP_1) | instskip(NEXT) | instid1(VALU_DEP_1)
	v_add_co_u32 v23, s12, s21, v23
	v_add_co_ci_u32_e64 v24, null, s14, 0, s12
	flat_load_u16 v30, v[23:24]
.LBB848_28:
	s_or_b32 exec_lo, exec_lo, s11
	v_or_b32_e32 v23, 0xc00, v0
                                        ; implicit-def: $vgpr31
	s_delay_alu instid0(VALU_DEP_1) | instskip(NEXT) | instid1(VALU_DEP_1)
	v_cmp_gt_u32_e64 s11, s19, v23
	s_and_saveexec_b32 s12, s11
	s_cbranch_execz .LBB848_30
; %bb.29:
	v_lshlrev_b32_e32 v24, 1, v23
	s_delay_alu instid0(VALU_DEP_1) | instskip(NEXT) | instid1(VALU_DEP_1)
	v_add_co_u32 v24, s13, s21, v24
	v_add_co_ci_u32_e64 v25, null, s14, 0, s13
	flat_load_u16 v31, v[24:25]
.LBB848_30:
	s_or_b32 exec_lo, exec_lo, s12
	v_or_b32_e32 v24, 0xd00, v0
                                        ; implicit-def: $vgpr32
	s_delay_alu instid0(VALU_DEP_1) | instskip(NEXT) | instid1(VALU_DEP_1)
	v_cmp_gt_u32_e64 s12, s19, v24
	s_and_saveexec_b32 s13, s12
	s_cbranch_execz .LBB848_32
; %bb.31:
	v_lshlrev_b32_e32 v25, 1, v24
	s_delay_alu instid0(VALU_DEP_1) | instskip(NEXT) | instid1(VALU_DEP_1)
	v_add_co_u32 v32, s30, s21, v25
	v_add_co_ci_u32_e64 v33, null, s14, 0, s30
	flat_load_u16 v32, v[32:33]
.LBB848_32:
	s_or_b32 exec_lo, exec_lo, s13
	v_or_b32_e32 v25, 0xe00, v0
                                        ; implicit-def: $vgpr33
	s_delay_alu instid0(VALU_DEP_1) | instskip(NEXT) | instid1(VALU_DEP_1)
	v_cmp_gt_u32_e64 s13, s19, v25
	s_and_saveexec_b32 s30, s13
	s_cbranch_execz .LBB848_34
; %bb.33:
	v_lshlrev_b32_e32 v33, 1, v25
	s_delay_alu instid0(VALU_DEP_1) | instskip(NEXT) | instid1(VALU_DEP_1)
	v_add_co_u32 v33, s31, s21, v33
	v_add_co_ci_u32_e64 v34, null, s14, 0, s31
	flat_load_u16 v33, v[33:34]
.LBB848_34:
	s_or_b32 exec_lo, exec_lo, s30
	v_lshlrev_b32_e32 v34, 1, v0
	s_waitcnt vmcnt(0) lgkmcnt(0)
	ds_store_b16 v34, v1
	ds_store_b16 v34, v2 offset:512
	ds_store_b16 v34, v3 offset:1024
	;; [unrolled: 1-line block ×7, first 2 shown]
	v_mad_u32_u24 v26, v0, 28, v34
	ds_store_b16 v34, v27 offset:4096
	ds_store_b16 v34, v28 offset:4608
	;; [unrolled: 1-line block ×7, first 2 shown]
	s_waitcnt lgkmcnt(0)
	s_barrier
	buffer_gl0_inv
	ds_load_u16 v56, v26
	ds_load_b128 v[1:4], v26 offset:2
	ds_load_b96 v[13:15], v26 offset:18
	s_waitcnt lgkmcnt(0)
	s_barrier
	buffer_gl0_inv
                                        ; implicit-def: $vgpr27
	s_and_saveexec_b32 s30, vcc_lo
	s_cbranch_execz .LBB848_48
; %bb.35:
	v_lshlrev_b32_e32 v27, 2, v0
	s_delay_alu instid0(VALU_DEP_1) | instskip(NEXT) | instid1(VALU_DEP_1)
	v_add_co_u32 v27, s31, s20, v27
	v_add_co_ci_u32_e64 v28, null, s29, 0, s31
	flat_load_b32 v27, v[27:28]
	s_or_b32 exec_lo, exec_lo, s30
                                        ; implicit-def: $vgpr28
	s_and_saveexec_b32 s30, s0
	s_cbranch_execnz .LBB848_49
.LBB848_36:
	s_or_b32 exec_lo, exec_lo, s30
                                        ; implicit-def: $vgpr29
	s_and_saveexec_b32 s0, s1
	s_cbranch_execz .LBB848_50
.LBB848_37:
	v_lshlrev_b32_e32 v29, 2, v0
	s_delay_alu instid0(VALU_DEP_1) | instskip(NEXT) | instid1(VALU_DEP_1)
	v_add_co_u32 v29, s1, s20, v29
	v_add_co_ci_u32_e64 v30, null, s29, 0, s1
	flat_load_b32 v29, v[29:30] offset:2048
	s_or_b32 exec_lo, exec_lo, s0
                                        ; implicit-def: $vgpr30
	s_and_saveexec_b32 s0, s2
	s_cbranch_execnz .LBB848_51
.LBB848_38:
	s_or_b32 exec_lo, exec_lo, s0
                                        ; implicit-def: $vgpr31
	s_and_saveexec_b32 s0, s3
	s_cbranch_execz .LBB848_52
.LBB848_39:
	v_lshlrev_b32_e32 v6, 2, v6
	s_delay_alu instid0(VALU_DEP_1) | instskip(NEXT) | instid1(VALU_DEP_1)
	v_add_co_u32 v31, s1, s20, v6
	v_add_co_ci_u32_e64 v32, null, s29, 0, s1
	flat_load_b32 v31, v[31:32]
	s_or_b32 exec_lo, exec_lo, s0
                                        ; implicit-def: $vgpr6
	s_and_saveexec_b32 s0, s4
	s_cbranch_execnz .LBB848_53
.LBB848_40:
	s_or_b32 exec_lo, exec_lo, s0
                                        ; implicit-def: $vgpr8
	s_and_saveexec_b32 s0, s5
	s_cbranch_execz .LBB848_54
.LBB848_41:
	v_lshlrev_b32_e32 v8, 2, v10
	s_delay_alu instid0(VALU_DEP_1) | instskip(NEXT) | instid1(VALU_DEP_1)
	v_add_co_u32 v32, s1, s20, v8
	v_add_co_ci_u32_e64 v33, null, s29, 0, s1
	flat_load_b32 v8, v[32:33]
	s_or_b32 exec_lo, exec_lo, s0
                                        ; implicit-def: $vgpr32
	s_and_saveexec_b32 s0, s6
	s_cbranch_execnz .LBB848_55
.LBB848_42:
	s_or_b32 exec_lo, exec_lo, s0
                                        ; implicit-def: $vgpr12
	s_and_saveexec_b32 s0, s7
	s_cbranch_execz .LBB848_56
.LBB848_43:
	v_lshlrev_b32_e32 v10, 2, v16
	s_delay_alu instid0(VALU_DEP_1) | instskip(NEXT) | instid1(VALU_DEP_1)
	v_add_co_u32 v33, s1, s20, v10
	v_add_co_ci_u32_e64 v34, null, s29, 0, s1
	flat_load_b32 v12, v[33:34]
	s_or_b32 exec_lo, exec_lo, s0
                                        ; implicit-def: $vgpr16
	s_and_saveexec_b32 s0, s8
	s_cbranch_execnz .LBB848_57
.LBB848_44:
	s_or_b32 exec_lo, exec_lo, s0
                                        ; implicit-def: $vgpr17
	s_and_saveexec_b32 s0, s9
	s_cbranch_execz .LBB848_58
.LBB848_45:
	v_lshlrev_b32_e32 v10, 2, v19
	s_delay_alu instid0(VALU_DEP_1) | instskip(NEXT) | instid1(VALU_DEP_1)
	v_add_co_u32 v33, s1, s20, v10
	v_add_co_ci_u32_e64 v34, null, s29, 0, s1
	flat_load_b32 v17, v[33:34]
	s_or_b32 exec_lo, exec_lo, s0
                                        ; implicit-def: $vgpr33
	s_and_saveexec_b32 s0, s10
	s_cbranch_execnz .LBB848_59
.LBB848_46:
	s_or_b32 exec_lo, exec_lo, s0
                                        ; implicit-def: $vgpr36
	s_and_saveexec_b32 s0, s11
	s_cbranch_execz .LBB848_60
.LBB848_47:
	v_lshlrev_b32_e32 v10, 2, v23
	s_delay_alu instid0(VALU_DEP_1) | instskip(NEXT) | instid1(VALU_DEP_1)
	v_add_co_u32 v34, s1, s20, v10
	v_add_co_ci_u32_e64 v35, null, s29, 0, s1
	flat_load_b32 v36, v[34:35]
	s_or_b32 exec_lo, exec_lo, s0
                                        ; implicit-def: $vgpr37
	s_and_saveexec_b32 s0, s12
	s_cbranch_execz .LBB848_62
	s_branch .LBB848_61
.LBB848_48:
	s_or_b32 exec_lo, exec_lo, s30
                                        ; implicit-def: $vgpr28
	s_and_saveexec_b32 s30, s0
	s_cbranch_execz .LBB848_36
.LBB848_49:
	v_lshlrev_b32_e32 v28, 2, v0
	s_delay_alu instid0(VALU_DEP_1) | instskip(NEXT) | instid1(VALU_DEP_1)
	v_add_co_u32 v28, s0, s20, v28
	v_add_co_ci_u32_e64 v29, null, s29, 0, s0
	flat_load_b32 v28, v[28:29] offset:1024
	s_or_b32 exec_lo, exec_lo, s30
                                        ; implicit-def: $vgpr29
	s_and_saveexec_b32 s0, s1
	s_cbranch_execnz .LBB848_37
.LBB848_50:
	s_or_b32 exec_lo, exec_lo, s0
                                        ; implicit-def: $vgpr30
	s_and_saveexec_b32 s0, s2
	s_cbranch_execz .LBB848_38
.LBB848_51:
	v_lshlrev_b32_e32 v30, 2, v0
	s_delay_alu instid0(VALU_DEP_1) | instskip(NEXT) | instid1(VALU_DEP_1)
	v_add_co_u32 v30, s1, s20, v30
	v_add_co_ci_u32_e64 v31, null, s29, 0, s1
	flat_load_b32 v30, v[30:31] offset:3072
	s_or_b32 exec_lo, exec_lo, s0
                                        ; implicit-def: $vgpr31
	s_and_saveexec_b32 s0, s3
	s_cbranch_execnz .LBB848_39
.LBB848_52:
	s_or_b32 exec_lo, exec_lo, s0
                                        ; implicit-def: $vgpr6
	s_and_saveexec_b32 s0, s4
	s_cbranch_execz .LBB848_40
.LBB848_53:
	v_lshlrev_b32_e32 v6, 2, v8
	s_delay_alu instid0(VALU_DEP_1) | instskip(NEXT) | instid1(VALU_DEP_1)
	v_add_co_u32 v32, s1, s20, v6
	v_add_co_ci_u32_e64 v33, null, s29, 0, s1
	flat_load_b32 v6, v[32:33]
	s_or_b32 exec_lo, exec_lo, s0
                                        ; implicit-def: $vgpr8
	s_and_saveexec_b32 s0, s5
	s_cbranch_execnz .LBB848_41
.LBB848_54:
	s_or_b32 exec_lo, exec_lo, s0
                                        ; implicit-def: $vgpr32
	s_and_saveexec_b32 s0, s6
	s_cbranch_execz .LBB848_42
.LBB848_55:
	v_lshlrev_b32_e32 v10, 2, v12
	s_delay_alu instid0(VALU_DEP_1) | instskip(NEXT) | instid1(VALU_DEP_1)
	v_add_co_u32 v32, s1, s20, v10
	v_add_co_ci_u32_e64 v33, null, s29, 0, s1
	flat_load_b32 v32, v[32:33]
	s_or_b32 exec_lo, exec_lo, s0
                                        ; implicit-def: $vgpr12
	s_and_saveexec_b32 s0, s7
	s_cbranch_execnz .LBB848_43
.LBB848_56:
	s_or_b32 exec_lo, exec_lo, s0
                                        ; implicit-def: $vgpr16
	s_and_saveexec_b32 s0, s8
	s_cbranch_execz .LBB848_44
.LBB848_57:
	v_lshlrev_b32_e32 v10, 2, v17
	s_delay_alu instid0(VALU_DEP_1) | instskip(NEXT) | instid1(VALU_DEP_1)
	v_add_co_u32 v16, s1, s20, v10
	v_add_co_ci_u32_e64 v17, null, s29, 0, s1
	flat_load_b32 v16, v[16:17]
	s_or_b32 exec_lo, exec_lo, s0
                                        ; implicit-def: $vgpr17
	s_and_saveexec_b32 s0, s9
	s_cbranch_execnz .LBB848_45
.LBB848_58:
	s_or_b32 exec_lo, exec_lo, s0
                                        ; implicit-def: $vgpr33
	s_and_saveexec_b32 s0, s10
	s_cbranch_execz .LBB848_46
.LBB848_59:
	v_lshlrev_b32_e32 v10, 2, v21
	s_delay_alu instid0(VALU_DEP_1) | instskip(NEXT) | instid1(VALU_DEP_1)
	v_add_co_u32 v33, s1, s20, v10
	v_add_co_ci_u32_e64 v34, null, s29, 0, s1
	flat_load_b32 v33, v[33:34]
	s_or_b32 exec_lo, exec_lo, s0
                                        ; implicit-def: $vgpr36
	s_and_saveexec_b32 s0, s11
	s_cbranch_execnz .LBB848_47
.LBB848_60:
	s_or_b32 exec_lo, exec_lo, s0
                                        ; implicit-def: $vgpr37
	s_and_saveexec_b32 s0, s12
	s_cbranch_execz .LBB848_62
.LBB848_61:
	v_lshlrev_b32_e32 v10, 2, v24
	s_delay_alu instid0(VALU_DEP_1) | instskip(NEXT) | instid1(VALU_DEP_1)
	v_add_co_u32 v23, s1, s20, v10
	v_add_co_ci_u32_e64 v24, null, s29, 0, s1
	flat_load_b32 v37, v[23:24]
.LBB848_62:
	s_or_b32 exec_lo, exec_lo, s0
	v_mul_u32_u24_e32 v10, 15, v0
                                        ; implicit-def: $vgpr24
	s_and_saveexec_b32 s0, s13
	s_cbranch_execz .LBB848_64
; %bb.63:
	v_lshlrev_b32_e32 v19, 2, v25
	s_delay_alu instid0(VALU_DEP_1) | instskip(NEXT) | instid1(VALU_DEP_1)
	v_add_co_u32 v23, s1, s20, v19
	v_add_co_ci_u32_e64 v24, null, s29, 0, s1
	flat_load_b32 v24, v[23:24]
.LBB848_64:
	s_or_b32 exec_lo, exec_lo, s0
	s_delay_alu instid0(VALU_DEP_1)
	v_add_nc_u32_e32 v23, 1, v10
	v_add_nc_u32_e32 v34, 3, v10
	;; [unrolled: 1-line block ×3, first 2 shown]
	v_mad_i32_i24 v25, 0xffffffe6, v0, v26
	v_add_nc_u32_e32 v38, 7, v10
	v_add_nc_u32_e32 v35, 9, v10
	;; [unrolled: 1-line block ×4, first 2 shown]
	s_waitcnt vmcnt(0) lgkmcnt(0)
	ds_store_2addr_stride64_b32 v25, v27, v28 offset1:4
	ds_store_2addr_stride64_b32 v25, v29, v30 offset0:8 offset1:12
	ds_store_2addr_stride64_b32 v25, v31, v6 offset0:16 offset1:20
	;; [unrolled: 1-line block ×6, first 2 shown]
	ds_store_b32 v25, v24 offset:14336
	s_waitcnt lgkmcnt(0)
	s_barrier
.LBB848_65:
	v_lshlrev_b32_e32 v6, 2, v10
	buffer_gl0_inv
	v_lshlrev_b32_e32 v8, 2, v34
	v_lshlrev_b32_e32 v10, 2, v21
	;; [unrolled: 1-line block ×3, first 2 shown]
	ds_load_2addr_b32 v[48:49], v6 offset1:2
	ds_load_2addr_b32 v[36:37], v6 offset0:4 offset1:6
	ds_load_2addr_b32 v[24:25], v6 offset0:8 offset1:10
	;; [unrolled: 1-line block ×3, first 2 shown]
	v_lshlrev_b32_e32 v6, 2, v23
	v_lshlrev_b32_e32 v21, 2, v35
	;; [unrolled: 1-line block ×4, first 2 shown]
	ds_load_b32 v73, v6
	ds_load_b32 v72, v8
	ds_load_b32 v71, v10
	ds_load_b32 v70, v12
	ds_load_b32 v69, v21
	ds_load_b32 v68, v23
	ds_load_b32 v67, v19
	s_cmp_eq_u64 s[16:17], 0
	s_waitcnt lgkmcnt(0)
	s_cselect_b32 s20, -1, 0
	s_cmp_lg_u64 s[16:17], 0
	s_barrier
	s_cselect_b32 s29, -1, 0
	s_and_b32 vcc_lo, exec_lo, s28
	buffer_gl0_inv
	s_cbranch_vccz .LBB848_71
; %bb.66:
	s_and_b32 vcc_lo, exec_lo, s29
	s_cbranch_vccz .LBB848_131
; %bb.67:
	v_add_co_u32 v26, s0, -2, s21
	s_delay_alu instid0(VALU_DEP_1)
	v_add_co_ci_u32_e64 v27, null, -1, s14, s0
	v_lshlrev_b32_e32 v8, 1, v0
	v_lshrrev_b32_e32 v10, 16, v15
	v_lshrrev_b32_e32 v12, 16, v14
	flat_load_u16 v6, v[26:27]
	v_lshrrev_b32_e32 v19, 16, v13
	v_cmp_ne_u16_e64 s12, v56, v1
	ds_store_b16 v8, v10
	v_cmp_ne_u16_e32 vcc_lo, v15, v10
	v_lshrrev_b32_e32 v10, 16, v4
	v_cmp_ne_u16_e64 s0, v12, v15
	v_cmp_ne_u16_e64 s1, v14, v12
	;; [unrolled: 1-line block ×4, first 2 shown]
	v_lshrrev_b32_e32 v12, 16, v3
	v_cmp_ne_u16_e64 s4, v10, v13
	v_lshrrev_b32_e32 v19, 16, v2
	v_cmp_ne_u16_e64 s5, v4, v10
	;; [unrolled: 2-line block ×3, first 2 shown]
	v_cmp_ne_u16_e64 s7, v3, v12
	v_cmp_ne_u16_e64 s8, v19, v3
	;; [unrolled: 1-line block ×5, first 2 shown]
	s_mov_b32 s28, -1
	s_mov_b32 s30, 0
	s_mov_b32 s31, exec_lo
	s_waitcnt vmcnt(0) lgkmcnt(0)
	s_barrier
	buffer_gl0_inv
	v_cmpx_ne_u32_e32 0, v0
	s_cbranch_execz .LBB848_69
; %bb.68:
	v_add_nc_u32_e32 v6, -2, v8
	ds_load_u16 v6, v6
.LBB848_69:
	s_or_b32 exec_lo, exec_lo, s31
	v_cndmask_b32_e64 v55, 0, 1, vcc_lo
	v_cndmask_b32_e64 v50, 0, 1, s0
	v_cndmask_b32_e64 v51, 0, 1, s1
	;; [unrolled: 1-line block ×13, first 2 shown]
	s_waitcnt lgkmcnt(0)
	v_cmp_ne_u16_e64 s0, v6, v56
	s_and_b32 vcc_lo, exec_lo, s30
	s_cbranch_vccnz .LBB848_132
.LBB848_70:
                                        ; implicit-def: $sgpr5
	s_branch .LBB848_72
.LBB848_71:
	s_mov_b32 s28, 0
                                        ; implicit-def: $sgpr0
                                        ; implicit-def: $vgpr55
                                        ; implicit-def: $vgpr50
                                        ; implicit-def: $vgpr51
                                        ; implicit-def: $vgpr52
                                        ; implicit-def: $vgpr53
                                        ; implicit-def: $vgpr54
                                        ; implicit-def: $vgpr57
                                        ; implicit-def: $vgpr58
                                        ; implicit-def: $vgpr59
                                        ; implicit-def: $vgpr60
                                        ; implicit-def: $vgpr61
                                        ; implicit-def: $vgpr62
                                        ; implicit-def: $vgpr63
                                        ; implicit-def: $vgpr64
                                        ; implicit-def: $sgpr5
	s_cbranch_execnz .LBB848_135
.LBB848_72:
	v_mov_b32_e32 v65, s5
	s_and_saveexec_b32 s1, s28
.LBB848_73:
	v_cndmask_b32_e64 v65, 0, 1, s0
.LBB848_74:
	s_or_b32 exec_lo, exec_lo, s1
	s_delay_alu instid0(VALU_DEP_1)
	v_add3_u32 v5, v64, v65, v63
	v_cmp_eq_u32_e64 s12, 0, v64
	v_cmp_eq_u32_e64 s11, 0, v63
	;; [unrolled: 1-line block ×4, first 2 shown]
	v_add3_u32 v77, v5, v62, v61
	v_cmp_eq_u32_e64 s8, 0, v60
	v_cmp_eq_u32_e64 s7, 0, v59
	;; [unrolled: 1-line block ×9, first 2 shown]
	v_cmp_eq_u32_e32 vcc_lo, 0, v55
	v_mbcnt_lo_u32_b32 v74, -1, 0
	v_lshrrev_b32_e32 v75, 5, v0
	v_or_b32_e32 v76, 31, v0
	s_cmp_eq_u64 s[26:27], 0
	s_cselect_b32 s16, -1, 0
	s_cmp_lg_u32 s15, 0
	s_cbranch_scc0 .LBB848_100
; %bb.75:
	v_cndmask_b32_e64 v5, 0, v48, s12
	v_add3_u32 v6, v77, v60, v59
	v_and_b32_e32 v8, 15, v74
	s_delay_alu instid0(VALU_DEP_3) | instskip(NEXT) | instid1(VALU_DEP_3)
	v_add_nc_u32_e32 v5, v5, v73
	v_add3_u32 v6, v6, v58, v57
	s_delay_alu instid0(VALU_DEP_3) | instskip(NEXT) | instid1(VALU_DEP_3)
	v_cmp_lt_u32_e64 s13, 1, v8
	v_cndmask_b32_e64 v5, 0, v5, s11
	s_delay_alu instid0(VALU_DEP_3) | instskip(NEXT) | instid1(VALU_DEP_2)
	v_add3_u32 v6, v6, v54, v53
	v_add_nc_u32_e32 v5, v5, v49
	s_delay_alu instid0(VALU_DEP_2) | instskip(NEXT) | instid1(VALU_DEP_2)
	v_add3_u32 v6, v6, v52, v51
	v_cndmask_b32_e64 v5, 0, v5, s10
	s_delay_alu instid0(VALU_DEP_2) | instskip(NEXT) | instid1(VALU_DEP_2)
	v_add3_u32 v6, v6, v50, v55
	v_add_nc_u32_e32 v5, v5, v72
	s_delay_alu instid0(VALU_DEP_2) | instskip(NEXT) | instid1(VALU_DEP_2)
	v_mov_b32_dpp v9, v6 row_shr:1 row_mask:0xf bank_mask:0xf
	v_cndmask_b32_e64 v5, 0, v5, s9
	s_delay_alu instid0(VALU_DEP_1) | instskip(NEXT) | instid1(VALU_DEP_1)
	v_add_nc_u32_e32 v5, v5, v36
	v_cndmask_b32_e64 v5, 0, v5, s8
	s_delay_alu instid0(VALU_DEP_1) | instskip(NEXT) | instid1(VALU_DEP_1)
	v_add_nc_u32_e32 v5, v5, v71
	;; [unrolled: 3-line block ×10, first 2 shown]
	v_cndmask_b32_e32 v5, 0, v5, vcc_lo
	v_cmp_eq_u32_e32 vcc_lo, 0, v6
	s_delay_alu instid0(VALU_DEP_2) | instskip(NEXT) | instid1(VALU_DEP_1)
	v_add_nc_u32_e32 v5, v5, v17
	v_mov_b32_dpp v7, v5 row_shr:1 row_mask:0xf bank_mask:0xf
	s_delay_alu instid0(VALU_DEP_1) | instskip(SKIP_2) | instid1(VALU_DEP_1)
	v_cndmask_b32_e32 v7, 0, v7, vcc_lo
	v_cmp_eq_u32_e32 vcc_lo, 0, v8
	v_cndmask_b32_e64 v9, v9, 0, vcc_lo
	v_add_nc_u32_e32 v6, v9, v6
	s_delay_alu instid0(VALU_DEP_4) | instskip(NEXT) | instid1(VALU_DEP_2)
	v_cndmask_b32_e64 v7, v7, 0, vcc_lo
	v_cmp_eq_u32_e32 vcc_lo, 0, v6
	s_delay_alu instid0(VALU_DEP_2) | instskip(SKIP_2) | instid1(VALU_DEP_2)
	v_add_nc_u32_e32 v5, v7, v5
	v_mov_b32_dpp v7, v6 row_shr:2 row_mask:0xf bank_mask:0xf
	s_and_b32 vcc_lo, s13, vcc_lo
	v_mov_b32_dpp v9, v5 row_shr:2 row_mask:0xf bank_mask:0xf
	s_delay_alu instid0(VALU_DEP_2) | instskip(SKIP_1) | instid1(VALU_DEP_2)
	v_cndmask_b32_e64 v7, 0, v7, s13
	v_cmp_lt_u32_e64 s13, 3, v8
	v_dual_cndmask_b32 v9, 0, v9 :: v_dual_add_nc_u32 v6, v6, v7
	s_delay_alu instid0(VALU_DEP_1) | instskip(NEXT) | instid1(VALU_DEP_2)
	v_add_nc_u32_e32 v5, v9, v5
	v_mov_b32_dpp v7, v6 row_shr:4 row_mask:0xf bank_mask:0xf
	v_cmp_eq_u32_e32 vcc_lo, 0, v6
	s_delay_alu instid0(VALU_DEP_3) | instskip(NEXT) | instid1(VALU_DEP_3)
	v_mov_b32_dpp v9, v5 row_shr:4 row_mask:0xf bank_mask:0xf
	v_cndmask_b32_e64 v7, 0, v7, s13
	s_and_b32 vcc_lo, s13, vcc_lo
	v_cmp_lt_u32_e64 s13, 7, v8
	s_delay_alu instid0(VALU_DEP_2) | instskip(NEXT) | instid1(VALU_DEP_1)
	v_dual_cndmask_b32 v9, 0, v9 :: v_dual_add_nc_u32 v6, v7, v6
	v_add_nc_u32_e32 v5, v5, v9
	s_delay_alu instid0(VALU_DEP_2) | instskip(SKIP_2) | instid1(VALU_DEP_4)
	v_cmp_eq_u32_e32 vcc_lo, 0, v6
	v_mov_b32_dpp v7, v6 row_shr:8 row_mask:0xf bank_mask:0xf
	v_bfe_i32 v9, v74, 4, 1
	v_mov_b32_dpp v8, v5 row_shr:8 row_mask:0xf bank_mask:0xf
	s_and_b32 vcc_lo, s13, vcc_lo
	s_delay_alu instid0(VALU_DEP_3) | instskip(SKIP_1) | instid1(VALU_DEP_2)
	v_cndmask_b32_e64 v7, 0, v7, s13
	s_mov_b32 s13, exec_lo
	v_cndmask_b32_e32 v8, 0, v8, vcc_lo
	s_delay_alu instid0(VALU_DEP_1) | instskip(NEXT) | instid1(VALU_DEP_3)
	v_add_nc_u32_e32 v8, v8, v5
	v_add_nc_u32_e32 v5, v7, v6
	ds_swizzle_b32 v6, v8 offset:swizzle(BROADCAST,32,15)
	ds_swizzle_b32 v7, v5 offset:swizzle(BROADCAST,32,15)
	v_cmp_eq_u32_e32 vcc_lo, 0, v5
	s_waitcnt lgkmcnt(0)
	v_dual_cndmask_b32 v6, 0, v6 :: v_dual_and_b32 v7, v9, v7
	s_delay_alu instid0(VALU_DEP_1) | instskip(NEXT) | instid1(VALU_DEP_2)
	v_and_b32_e32 v6, v9, v6
	v_add_nc_u32_e32 v5, v7, v5
	v_lshlrev_b32_e32 v7, 3, v75
	s_delay_alu instid0(VALU_DEP_3)
	v_add_nc_u32_e32 v6, v6, v8
	v_cmpx_eq_u32_e64 v76, v0
	s_cbranch_execz .LBB848_77
; %bb.76:
	ds_store_b64 v7, v[5:6] offset:1040
.LBB848_77:
	s_or_b32 exec_lo, exec_lo, s13
	s_delay_alu instid0(SALU_CYCLE_1)
	s_mov_b32 s14, exec_lo
	s_waitcnt lgkmcnt(0)
	s_barrier
	buffer_gl0_inv
	v_cmpx_gt_u32_e32 8, v0
	s_cbranch_execz .LBB848_79
; %bb.78:
	v_lshlrev_b32_e32 v10, 3, v0
	v_and_b32_e32 v12, 7, v74
	ds_load_b64 v[8:9], v10 offset:1040
	v_cmp_lt_u32_e64 s13, 1, v12
	s_waitcnt lgkmcnt(0)
	v_mov_b32_dpp v11, v9 row_shr:1 row_mask:0xf bank_mask:0xf
	v_cmp_eq_u32_e32 vcc_lo, 0, v8
	v_mov_b32_dpp v18, v8 row_shr:1 row_mask:0xf bank_mask:0xf
	s_delay_alu instid0(VALU_DEP_3) | instskip(SKIP_1) | instid1(VALU_DEP_3)
	v_cndmask_b32_e32 v11, 0, v11, vcc_lo
	v_cmp_eq_u32_e32 vcc_lo, 0, v12
	v_cndmask_b32_e64 v18, v18, 0, vcc_lo
	s_delay_alu instid0(VALU_DEP_3) | instskip(NEXT) | instid1(VALU_DEP_2)
	v_cndmask_b32_e64 v11, v11, 0, vcc_lo
	v_add_nc_u32_e32 v8, v18, v8
	s_delay_alu instid0(VALU_DEP_1) | instskip(SKIP_1) | instid1(VALU_DEP_3)
	v_cmp_eq_u32_e32 vcc_lo, 0, v8
	s_and_b32 vcc_lo, s13, vcc_lo
	v_add_nc_u32_e32 v9, v11, v9
	v_mov_b32_dpp v11, v8 row_shr:2 row_mask:0xf bank_mask:0xf
	s_delay_alu instid0(VALU_DEP_2) | instskip(NEXT) | instid1(VALU_DEP_2)
	v_mov_b32_dpp v18, v9 row_shr:2 row_mask:0xf bank_mask:0xf
	v_cndmask_b32_e64 v11, 0, v11, s13
	v_cmp_lt_u32_e64 s13, 3, v12
	s_delay_alu instid0(VALU_DEP_3) | instskip(NEXT) | instid1(VALU_DEP_3)
	v_cndmask_b32_e32 v18, 0, v18, vcc_lo
	v_add_nc_u32_e32 v8, v11, v8
	s_delay_alu instid0(VALU_DEP_1) | instskip(SKIP_3) | instid1(VALU_DEP_2)
	v_cmp_eq_u32_e32 vcc_lo, 0, v8
	v_mov_b32_dpp v11, v8 row_shr:4 row_mask:0xf bank_mask:0xf
	s_and_b32 vcc_lo, s13, vcc_lo
	v_add_nc_u32_e32 v9, v18, v9
	v_cndmask_b32_e64 v11, 0, v11, s13
	s_delay_alu instid0(VALU_DEP_2) | instskip(NEXT) | instid1(VALU_DEP_2)
	v_mov_b32_dpp v12, v9 row_shr:4 row_mask:0xf bank_mask:0xf
	v_add_nc_u32_e32 v8, v11, v8
	s_delay_alu instid0(VALU_DEP_2) | instskip(NEXT) | instid1(VALU_DEP_1)
	v_cndmask_b32_e32 v12, 0, v12, vcc_lo
	v_add_nc_u32_e32 v9, v12, v9
	ds_store_b64 v10, v[8:9] offset:1040
.LBB848_79:
	s_or_b32 exec_lo, exec_lo, s14
	v_cmp_gt_u32_e32 vcc_lo, 32, v0
	v_dual_mov_b32 v18, 0 :: v_dual_mov_b32 v19, 0
	s_mov_b32 s14, exec_lo
	s_waitcnt lgkmcnt(0)
	s_barrier
	buffer_gl0_inv
	v_cmpx_lt_u32_e32 31, v0
	s_cbranch_execz .LBB848_81
; %bb.80:
	ds_load_b64 v[18:19], v7 offset:1032
	v_cmp_eq_u32_e64 s13, 0, v5
	s_waitcnt lgkmcnt(0)
	s_delay_alu instid0(VALU_DEP_1) | instskip(SKIP_1) | instid1(VALU_DEP_2)
	v_cndmask_b32_e64 v7, 0, v19, s13
	v_add_nc_u32_e32 v5, v18, v5
	v_add_nc_u32_e32 v6, v7, v6
.LBB848_81:
	s_or_b32 exec_lo, exec_lo, s14
	v_add_nc_u32_e32 v7, -1, v74
	s_delay_alu instid0(VALU_DEP_1) | instskip(NEXT) | instid1(VALU_DEP_1)
	v_cmp_gt_i32_e64 s13, 0, v7
	v_cndmask_b32_e64 v7, v7, v74, s13
	v_cmp_eq_u32_e64 s13, 0, v74
	s_delay_alu instid0(VALU_DEP_2)
	v_lshlrev_b32_e32 v7, 2, v7
	ds_bpermute_b32 v26, v7, v5
	ds_bpermute_b32 v27, v7, v6
	s_and_saveexec_b32 s17, vcc_lo
	s_cbranch_execz .LBB848_99
; %bb.82:
	v_mov_b32_e32 v8, 0
	ds_load_b64 v[5:6], v8 offset:1096
	s_waitcnt lgkmcnt(0)
	v_readfirstlane_b32 s21, v6
	s_and_saveexec_b32 s14, s13
	s_cbranch_execz .LBB848_84
; %bb.83:
	s_add_i32 s26, s15, 32
	s_mov_b32 s27, 0
	v_mov_b32_e32 v7, 1
	s_lshl_b64 s[28:29], s[26:27], 4
	s_mov_b32 s30, s27
	s_add_u32 s28, s24, s28
	s_addc_u32 s29, s25, s29
	s_and_b32 s31, s21, 0xff000000
	s_and_b32 s41, s21, 0xff0000
	s_mov_b32 s40, s27
	v_dual_mov_b32 v9, s28 :: v_dual_mov_b32 v10, s29
	s_or_b64 s[30:31], s[40:41], s[30:31]
	s_and_b32 s41, s21, 0xff00
	s_delay_alu instid0(SALU_CYCLE_1) | instskip(SKIP_1) | instid1(SALU_CYCLE_1)
	s_or_b64 s[30:31], s[30:31], s[40:41]
	s_and_b32 s41, s21, 0xff
	s_or_b64 s[26:27], s[30:31], s[40:41]
	s_delay_alu instid0(SALU_CYCLE_1)
	v_mov_b32_e32 v6, s27
	;;#ASMSTART
	global_store_dwordx4 v[9:10], v[5:8] off	
s_waitcnt vmcnt(0)
	;;#ASMEND
.LBB848_84:
	s_or_b32 exec_lo, exec_lo, s14
	v_xad_u32 v20, v74, -1, s15
	s_mov_b32 s26, 0
	s_mov_b32 s14, exec_lo
	s_delay_alu instid0(VALU_DEP_1) | instskip(NEXT) | instid1(VALU_DEP_1)
	v_add_nc_u32_e32 v7, 32, v20
	v_lshlrev_b64 v[6:7], 4, v[7:8]
	s_delay_alu instid0(VALU_DEP_1) | instskip(NEXT) | instid1(VALU_DEP_2)
	v_add_co_u32 v6, vcc_lo, s24, v6
	v_add_co_ci_u32_e32 v7, vcc_lo, s25, v7, vcc_lo
	;;#ASMSTART
	global_load_dwordx4 v[9:12], v[6:7] off glc	
s_waitcnt vmcnt(0)
	;;#ASMEND
	v_and_b32_e32 v8, 0xff, v10
	v_and_b32_e32 v12, 0xff00, v10
	;; [unrolled: 1-line block ×3, first 2 shown]
	v_or3_b32 v9, v9, 0, 0
	v_and_b32_e32 v10, 0xff000000, v10
	s_delay_alu instid0(VALU_DEP_4) | instskip(SKIP_1) | instid1(VALU_DEP_4)
	v_or3_b32 v8, 0, v8, v12
	v_and_b32_e32 v12, 0xff, v11
	v_or3_b32 v9, v9, 0, 0
	s_delay_alu instid0(VALU_DEP_3) | instskip(NEXT) | instid1(VALU_DEP_3)
	v_or3_b32 v10, v8, v21, v10
	v_cmpx_eq_u16_e32 0, v12
	s_cbranch_execz .LBB848_87
.LBB848_85:                             ; =>This Inner Loop Header: Depth=1
	;;#ASMSTART
	global_load_dwordx4 v[9:12], v[6:7] off glc	
s_waitcnt vmcnt(0)
	;;#ASMEND
	v_and_b32_e32 v8, 0xff, v11
	s_delay_alu instid0(VALU_DEP_1) | instskip(SKIP_1) | instid1(SALU_CYCLE_1)
	v_cmp_ne_u16_e32 vcc_lo, 0, v8
	s_or_b32 s26, vcc_lo, s26
	s_and_not1_b32 exec_lo, exec_lo, s26
	s_cbranch_execnz .LBB848_85
; %bb.86:
	s_or_b32 exec_lo, exec_lo, s26
.LBB848_87:
	s_delay_alu instid0(SALU_CYCLE_1)
	s_or_b32 exec_lo, exec_lo, s14
	v_cmp_ne_u32_e32 vcc_lo, 31, v74
	v_and_b32_e32 v7, 0xff, v11
	v_lshlrev_b32_e64 v28, v74, -1
	v_add_nc_u32_e32 v30, 2, v74
	v_add_nc_u32_e32 v32, 4, v74
	v_add_co_ci_u32_e32 v6, vcc_lo, 0, v74, vcc_lo
	v_cmp_eq_u16_e32 vcc_lo, 2, v7
	v_add_nc_u32_e32 v34, 8, v74
	v_add_nc_u32_e32 v38, 16, v74
	v_and_or_b32 v12, vcc_lo, v28, 0x80000000
	v_cmp_gt_u32_e32 vcc_lo, 30, v74
	s_delay_alu instid0(VALU_DEP_2) | instskip(SKIP_2) | instid1(VALU_DEP_3)
	v_ctz_i32_b32_e32 v12, v12
	v_cndmask_b32_e64 v21, 0, 1, vcc_lo
	v_cmp_eq_u32_e32 vcc_lo, 0, v9
	v_cmp_lt_u32_e64 s14, v74, v12
	s_delay_alu instid0(VALU_DEP_3) | instskip(NEXT) | instid1(VALU_DEP_2)
	v_lshlrev_b32_e32 v21, 1, v21
	s_and_b32 vcc_lo, s14, vcc_lo
	v_lshlrev_b32_e32 v6, 2, v6
	s_delay_alu instid0(VALU_DEP_2)
	v_add_lshl_u32 v29, v21, v74, 2
	ds_bpermute_b32 v7, v6, v10
	s_waitcnt lgkmcnt(0)
	v_cndmask_b32_e32 v7, 0, v7, vcc_lo
	ds_bpermute_b32 v8, v6, v9
	v_cmp_gt_u32_e32 vcc_lo, 28, v74
	v_add_nc_u32_e32 v7, v7, v10
	ds_bpermute_b32 v10, v29, v7
	s_waitcnt lgkmcnt(1)
	v_cndmask_b32_e64 v8, 0, v8, s14
	s_delay_alu instid0(VALU_DEP_1) | instskip(SKIP_1) | instid1(VALU_DEP_2)
	v_add_nc_u32_e32 v8, v8, v9
	v_cndmask_b32_e64 v9, 0, 1, vcc_lo
	v_cmp_eq_u32_e32 vcc_lo, 0, v8
	ds_bpermute_b32 v21, v29, v8
	s_waitcnt lgkmcnt(1)
	v_dual_cndmask_b32 v10, 0, v10 :: v_dual_lshlrev_b32 v9, 2, v9
	v_cmp_gt_u32_e32 vcc_lo, v30, v12
	s_delay_alu instid0(VALU_DEP_2) | instskip(NEXT) | instid1(VALU_DEP_3)
	v_add_lshl_u32 v31, v9, v74, 2
	v_cndmask_b32_e64 v10, v10, 0, vcc_lo
	s_delay_alu instid0(VALU_DEP_1) | instskip(SKIP_4) | instid1(VALU_DEP_2)
	v_add_nc_u32_e32 v7, v10, v7
	ds_bpermute_b32 v9, v31, v7
	s_waitcnt lgkmcnt(1)
	v_cndmask_b32_e64 v10, v21, 0, vcc_lo
	v_cmp_gt_u32_e32 vcc_lo, 24, v74
	v_add_nc_u32_e32 v8, v8, v10
	v_cndmask_b32_e64 v21, 0, 1, vcc_lo
	ds_bpermute_b32 v10, v31, v8
	v_cmp_eq_u32_e32 vcc_lo, 0, v8
	v_lshlrev_b32_e32 v21, 3, v21
	s_delay_alu instid0(VALU_DEP_1) | instskip(SKIP_3) | instid1(VALU_DEP_2)
	v_add_lshl_u32 v33, v21, v74, 2
	s_waitcnt lgkmcnt(1)
	v_cndmask_b32_e32 v9, 0, v9, vcc_lo
	v_cmp_gt_u32_e32 vcc_lo, v32, v12
	v_cndmask_b32_e64 v9, v9, 0, vcc_lo
	s_delay_alu instid0(VALU_DEP_1)
	v_add_nc_u32_e32 v7, v7, v9
	s_waitcnt lgkmcnt(0)
	v_cndmask_b32_e64 v10, v10, 0, vcc_lo
	v_cmp_gt_u32_e32 vcc_lo, 16, v74
	ds_bpermute_b32 v9, v33, v7
	v_add_nc_u32_e32 v8, v8, v10
	v_cndmask_b32_e64 v21, 0, 1, vcc_lo
	ds_bpermute_b32 v10, v33, v8
	v_cmp_eq_u32_e32 vcc_lo, 0, v8
	v_lshlrev_b32_e32 v21, 4, v21
	s_delay_alu instid0(VALU_DEP_1) | instskip(SKIP_4) | instid1(VALU_DEP_2)
	v_add_lshl_u32 v35, v21, v74, 2
	v_mov_b32_e32 v21, 0
	s_waitcnt lgkmcnt(1)
	v_cndmask_b32_e32 v9, 0, v9, vcc_lo
	v_cmp_gt_u32_e32 vcc_lo, v34, v12
	v_cndmask_b32_e64 v9, v9, 0, vcc_lo
	s_delay_alu instid0(VALU_DEP_1)
	v_add_nc_u32_e32 v7, v7, v9
	s_waitcnt lgkmcnt(0)
	v_cndmask_b32_e64 v9, v10, 0, vcc_lo
	ds_bpermute_b32 v10, v35, v7
	v_add_nc_u32_e32 v8, v8, v9
	ds_bpermute_b32 v9, v35, v8
	v_cmp_eq_u32_e32 vcc_lo, 0, v8
	s_waitcnt lgkmcnt(1)
	v_cndmask_b32_e32 v10, 0, v10, vcc_lo
	v_cmp_gt_u32_e32 vcc_lo, v38, v12
	s_delay_alu instid0(VALU_DEP_2) | instskip(SKIP_2) | instid1(VALU_DEP_2)
	v_cndmask_b32_e64 v10, v10, 0, vcc_lo
	s_waitcnt lgkmcnt(0)
	v_cndmask_b32_e64 v9, v9, 0, vcc_lo
	v_add_nc_u32_e32 v10, v10, v7
	s_delay_alu instid0(VALU_DEP_2)
	v_add_nc_u32_e32 v9, v9, v8
	s_branch .LBB848_89
.LBB848_88:                             ;   in Loop: Header=BB848_89 Depth=1
	s_or_b32 exec_lo, exec_lo, s14
	v_and_b32_e32 v12, 0xff, v11
	ds_bpermute_b32 v22, v6, v9
	v_subrev_nc_u32_e32 v20, 32, v20
	v_cmp_eq_u16_e32 vcc_lo, 2, v12
	ds_bpermute_b32 v12, v6, v10
	v_and_or_b32 v23, vcc_lo, v28, 0x80000000
	v_cmp_eq_u32_e32 vcc_lo, 0, v9
	s_delay_alu instid0(VALU_DEP_2) | instskip(NEXT) | instid1(VALU_DEP_1)
	v_ctz_i32_b32_e32 v23, v23
	v_cmp_lt_u32_e64 s14, v74, v23
	s_delay_alu instid0(VALU_DEP_1) | instskip(SKIP_4) | instid1(VALU_DEP_2)
	s_and_b32 vcc_lo, s14, vcc_lo
	s_waitcnt lgkmcnt(1)
	v_cndmask_b32_e64 v22, 0, v22, s14
	s_waitcnt lgkmcnt(0)
	v_cndmask_b32_e32 v12, 0, v12, vcc_lo
	v_add_nc_u32_e32 v9, v22, v9
	s_delay_alu instid0(VALU_DEP_2)
	v_add_nc_u32_e32 v10, v12, v10
	ds_bpermute_b32 v22, v29, v9
	ds_bpermute_b32 v12, v29, v10
	v_cmp_eq_u32_e32 vcc_lo, 0, v9
	s_waitcnt lgkmcnt(0)
	v_cndmask_b32_e32 v12, 0, v12, vcc_lo
	v_cmp_gt_u32_e32 vcc_lo, v30, v23
	v_cndmask_b32_e64 v22, v22, 0, vcc_lo
	s_delay_alu instid0(VALU_DEP_1) | instskip(NEXT) | instid1(VALU_DEP_4)
	v_add_nc_u32_e32 v9, v9, v22
	v_cndmask_b32_e64 v12, v12, 0, vcc_lo
	ds_bpermute_b32 v22, v31, v9
	v_add_nc_u32_e32 v10, v12, v10
	v_cmp_eq_u32_e32 vcc_lo, 0, v9
	ds_bpermute_b32 v12, v31, v10
	s_waitcnt lgkmcnt(0)
	v_cndmask_b32_e32 v12, 0, v12, vcc_lo
	v_cmp_gt_u32_e32 vcc_lo, v32, v23
	v_cndmask_b32_e64 v22, v22, 0, vcc_lo
	s_delay_alu instid0(VALU_DEP_1) | instskip(NEXT) | instid1(VALU_DEP_4)
	v_add_nc_u32_e32 v9, v9, v22
	v_cndmask_b32_e64 v12, v12, 0, vcc_lo
	ds_bpermute_b32 v22, v33, v9
	v_add_nc_u32_e32 v10, v10, v12
	v_cmp_eq_u32_e32 vcc_lo, 0, v9
	ds_bpermute_b32 v12, v33, v10
	;; [unrolled: 11-line block ×3, first 2 shown]
	s_waitcnt lgkmcnt(0)
	v_cndmask_b32_e32 v12, 0, v12, vcc_lo
	v_cmp_gt_u32_e32 vcc_lo, v38, v23
	s_delay_alu instid0(VALU_DEP_2) | instskip(NEXT) | instid1(VALU_DEP_1)
	v_cndmask_b32_e64 v12, v12, 0, vcc_lo
	v_add_nc_u32_e32 v10, v12, v10
	v_cndmask_b32_e64 v12, v22, 0, vcc_lo
	v_cmp_eq_u32_e32 vcc_lo, 0, v7
	s_delay_alu instid0(VALU_DEP_2) | instskip(NEXT) | instid1(VALU_DEP_4)
	v_add3_u32 v9, v9, v7, v12
	v_cndmask_b32_e32 v10, 0, v10, vcc_lo
	s_delay_alu instid0(VALU_DEP_1)
	v_add_nc_u32_e32 v10, v10, v8
.LBB848_89:                             ; =>This Loop Header: Depth=1
                                        ;     Child Loop BB848_92 Depth 2
	s_delay_alu instid0(VALU_DEP_1) | instskip(NEXT) | instid1(VALU_DEP_1)
	v_dual_mov_b32 v8, v10 :: v_dual_and_b32 v7, 0xff, v11
	v_cmp_ne_u16_e32 vcc_lo, 2, v7
	v_cndmask_b32_e64 v7, 0, 1, vcc_lo
	;;#ASMSTART
	;;#ASMEND
	s_delay_alu instid0(VALU_DEP_1)
	v_cmp_ne_u32_e32 vcc_lo, 0, v7
	v_mov_b32_e32 v7, v9
	s_cmp_lg_u32 vcc_lo, exec_lo
	s_cbranch_scc1 .LBB848_94
; %bb.90:                               ;   in Loop: Header=BB848_89 Depth=1
	v_lshlrev_b64 v[9:10], 4, v[20:21]
	s_mov_b32 s14, exec_lo
	s_delay_alu instid0(VALU_DEP_1) | instskip(NEXT) | instid1(VALU_DEP_2)
	v_add_co_u32 v22, vcc_lo, s24, v9
	v_add_co_ci_u32_e32 v23, vcc_lo, s25, v10, vcc_lo
	;;#ASMSTART
	global_load_dwordx4 v[9:12], v[22:23] off glc	
s_waitcnt vmcnt(0)
	;;#ASMEND
	v_and_b32_e32 v12, 0xff, v10
	v_and_b32_e32 v39, 0xff00, v10
	;; [unrolled: 1-line block ×3, first 2 shown]
	v_or3_b32 v9, v9, 0, 0
	v_and_b32_e32 v10, 0xff000000, v10
	s_delay_alu instid0(VALU_DEP_4) | instskip(SKIP_1) | instid1(VALU_DEP_4)
	v_or3_b32 v12, 0, v12, v39
	v_and_b32_e32 v39, 0xff, v11
	v_or3_b32 v9, v9, 0, 0
	s_delay_alu instid0(VALU_DEP_3) | instskip(NEXT) | instid1(VALU_DEP_3)
	v_or3_b32 v10, v12, v40, v10
	v_cmpx_eq_u16_e32 0, v39
	s_cbranch_execz .LBB848_88
; %bb.91:                               ;   in Loop: Header=BB848_89 Depth=1
	s_mov_b32 s26, 0
.LBB848_92:                             ;   Parent Loop BB848_89 Depth=1
                                        ; =>  This Inner Loop Header: Depth=2
	;;#ASMSTART
	global_load_dwordx4 v[9:12], v[22:23] off glc	
s_waitcnt vmcnt(0)
	;;#ASMEND
	v_and_b32_e32 v12, 0xff, v11
	s_delay_alu instid0(VALU_DEP_1) | instskip(SKIP_1) | instid1(SALU_CYCLE_1)
	v_cmp_ne_u16_e32 vcc_lo, 0, v12
	s_or_b32 s26, vcc_lo, s26
	s_and_not1_b32 exec_lo, exec_lo, s26
	s_cbranch_execnz .LBB848_92
; %bb.93:                               ;   in Loop: Header=BB848_89 Depth=1
	s_or_b32 exec_lo, exec_lo, s26
	s_branch .LBB848_88
.LBB848_94:                             ;   in Loop: Header=BB848_89 Depth=1
                                        ; implicit-def: $vgpr10
                                        ; implicit-def: $vgpr9
                                        ; implicit-def: $vgpr11
	s_cbranch_execz .LBB848_89
; %bb.95:
	s_and_saveexec_b32 s14, s13
	s_cbranch_execz .LBB848_97
; %bb.96:
	v_cmp_eq_u32_e32 vcc_lo, 0, v5
	s_mov_b32 s27, 0
	s_add_i32 s26, s15, 32
	v_add_nc_u32_e32 v9, v7, v5
	s_lshl_b64 s[26:27], s[26:27], 4
	v_cndmask_b32_e32 v6, 0, v8, vcc_lo
	s_add_u32 s26, s24, s26
	s_addc_u32 s27, s25, s27
	v_mov_b32_e32 v12, 0
	s_delay_alu instid0(VALU_DEP_2) | instskip(NEXT) | instid1(VALU_DEP_1)
	v_add_nc_u32_e32 v6, s21, v6
	v_and_b32_e32 v10, 0xff000000, v6
	v_and_b32_e32 v11, 0xff0000, v6
	s_delay_alu instid0(VALU_DEP_1) | instskip(SKIP_2) | instid1(VALU_DEP_1)
	v_or_b32_e32 v10, v11, v10
	v_dual_mov_b32 v11, 2 :: v_dual_and_b32 v20, 0xff00, v6
	v_and_b32_e32 v6, 0xff, v6
	v_or3_b32 v10, v10, v20, v6
	v_mov_b32_e32 v6, s21
	v_dual_mov_b32 v20, s26 :: v_dual_mov_b32 v21, s27
	;;#ASMSTART
	global_store_dwordx4 v[20:21], v[9:12] off	
s_waitcnt vmcnt(0)
	;;#ASMEND
	ds_store_b128 v12, v[5:8] offset:1024
.LBB848_97:
	s_or_b32 exec_lo, exec_lo, s14
	v_cmp_eq_u32_e32 vcc_lo, 0, v0
	s_and_b32 exec_lo, exec_lo, vcc_lo
	s_cbranch_execz .LBB848_99
; %bb.98:
	v_mov_b32_e32 v5, 0
	ds_store_b64 v5, v[7:8] offset:1096
.LBB848_99:
	s_or_b32 exec_lo, exec_lo, s17
	s_waitcnt lgkmcnt(1)
	v_cndmask_b32_e64 v8, v26, v18, s13
	s_waitcnt lgkmcnt(0)
	s_barrier
	buffer_gl0_inv
	v_cndmask_b32_e64 v9, v27, v19, s13
	v_cmp_eq_u32_e32 vcc_lo, 0, v8
	v_mov_b32_e32 v7, 0
	v_cmp_eq_u32_e64 s13, 0, v65
	ds_load_b64 v[5:6], v7 offset:1096
	s_waitcnt lgkmcnt(0)
	s_barrier
	buffer_gl0_inv
	v_cndmask_b32_e32 v10, 0, v6, vcc_lo
	v_cmp_eq_u32_e32 vcc_lo, 0, v0
	s_delay_alu instid0(VALU_DEP_2) | instskip(NEXT) | instid1(VALU_DEP_1)
	v_add_nc_u32_e32 v9, v10, v9
	v_cndmask_b32_e32 v39, v9, v6, vcc_lo
	s_delay_alu instid0(VALU_DEP_1) | instskip(NEXT) | instid1(VALU_DEP_1)
	v_cndmask_b32_e64 v6, 0, v39, s13
	v_add_nc_u32_e32 v45, v6, v48
	s_delay_alu instid0(VALU_DEP_1) | instskip(NEXT) | instid1(VALU_DEP_1)
	v_cndmask_b32_e64 v6, 0, v45, s12
	v_add_nc_u32_e32 v41, v6, v73
	;; [unrolled: 3-line block ×6, first 2 shown]
	v_cndmask_b32_e64 v6, v8, 0, vcc_lo
	s_delay_alu instid0(VALU_DEP_2) | instskip(NEXT) | instid1(VALU_DEP_2)
	v_cndmask_b32_e64 v8, 0, v21, s7
	v_add_nc_u32_e32 v38, v5, v6
	s_delay_alu instid0(VALU_DEP_2) | instskip(NEXT) | instid1(VALU_DEP_2)
	v_add_nc_u32_e32 v27, v8, v37
	v_add_nc_u32_e32 v44, v38, v65
	s_delay_alu instid0(VALU_DEP_2) | instskip(NEXT) | instid1(VALU_DEP_2)
	v_cndmask_b32_e64 v5, 0, v27, s6
	v_add_nc_u32_e32 v40, v44, v64
	s_delay_alu instid0(VALU_DEP_2) | instskip(NEXT) | instid1(VALU_DEP_2)
	v_add_nc_u32_e32 v31, v5, v70
	v_add_nc_u32_e32 v34, v40, v63
	;; [unrolled: 6-line block ×4, first 2 shown]
	s_delay_alu instid0(VALU_DEP_2) | instskip(NEXT) | instid1(VALU_DEP_2)
	v_cndmask_b32_e64 v5, 0, v12, s3
	v_add_nc_u32_e32 v30, v26, v58
	s_delay_alu instid0(VALU_DEP_2) | instskip(SKIP_3) | instid1(VALU_DEP_2)
	v_add_nc_u32_e32 v19, v5, v25
	ds_load_b128 v[5:8], v7 offset:1024
	v_add_nc_u32_e32 v9, v30, v57
	v_cndmask_b32_e64 v18, 0, v19, s2
	v_add_nc_u32_e32 v11, v9, v54
	s_delay_alu instid0(VALU_DEP_2) | instskip(NEXT) | instid1(VALU_DEP_2)
	v_add_nc_u32_e32 v47, v18, v68
	v_add_nc_u32_e32 v18, v11, v53
	s_delay_alu instid0(VALU_DEP_2) | instskip(NEXT) | instid1(VALU_DEP_2)
	v_cndmask_b32_e64 v32, 0, v47, s1
	v_add_nc_u32_e32 v46, v18, v52
	s_delay_alu instid0(VALU_DEP_2) | instskip(SKIP_2) | instid1(VALU_DEP_3)
	v_add_nc_u32_e32 v43, v32, v16
	s_waitcnt lgkmcnt(0)
	v_cmp_eq_u32_e32 vcc_lo, 0, v5
	v_add_nc_u32_e32 v42, v46, v51
	s_delay_alu instid0(VALU_DEP_3) | instskip(SKIP_1) | instid1(VALU_DEP_3)
	v_cndmask_b32_e64 v33, 0, v43, s0
	v_cndmask_b32_e32 v8, 0, v8, vcc_lo
	v_add_nc_u32_e32 v32, v42, v50
	s_delay_alu instid0(VALU_DEP_3) | instskip(NEXT) | instid1(VALU_DEP_3)
	v_add_nc_u32_e32 v33, v33, v67
	v_add_nc_u32_e32 v66, v8, v6
	s_branch .LBB848_112
.LBB848_100:
                                        ; implicit-def: $vgpr5
                                        ; implicit-def: $vgpr66
                                        ; implicit-def: $vgpr38_vgpr39
                                        ; implicit-def: $vgpr44_vgpr45
                                        ; implicit-def: $vgpr40_vgpr41
                                        ; implicit-def: $vgpr34_vgpr35
                                        ; implicit-def: $vgpr28_vgpr29
                                        ; implicit-def: $vgpr22_vgpr23
                                        ; implicit-def: $vgpr20_vgpr21
                                        ; implicit-def: $vgpr26_vgpr27
                                        ; implicit-def: $vgpr30_vgpr31
                                        ; implicit-def: $vgpr9_vgpr10
                                        ; implicit-def: $vgpr11_vgpr12
                                        ; implicit-def: $vgpr18_vgpr19
                                        ; implicit-def: $vgpr46_vgpr47
                                        ; implicit-def: $vgpr42_vgpr43
                                        ; implicit-def: $vgpr32_vgpr33
	s_cbranch_execz .LBB848_112
; %bb.101:
	s_and_b32 s0, s16, exec_lo
	v_mov_b32_e32 v32, v48
	s_cselect_b32 s1, 0, s35
	s_cselect_b32 s0, 0, s34
	s_delay_alu instid0(SALU_CYCLE_1)
	s_cmp_eq_u64 s[0:1], 0
	s_cbranch_scc1 .LBB848_103
; %bb.102:
	v_mov_b32_e32 v5, 0
	global_load_b32 v32, v5, s[0:1]
.LBB848_103:
	v_cmp_eq_u32_e64 s6, 0, v64
	v_cmp_eq_u32_e64 s7, 0, v63
	v_cmp_eq_u32_e64 s8, 0, v62
	v_cmp_eq_u32_e64 s9, 0, v61
	v_cmp_eq_u32_e64 s10, 0, v60
	v_cndmask_b32_e64 v5, 0, v48, s6
	v_cmp_eq_u32_e64 s11, 0, v59
	v_cmp_eq_u32_e64 s5, 0, v58
	;; [unrolled: 1-line block ×4, first 2 shown]
	v_add_nc_u32_e32 v5, v5, v73
	v_cmp_eq_u32_e64 s2, 0, v53
	v_cmp_eq_u32_e64 s1, 0, v52
	v_cmp_eq_u32_e32 vcc_lo, 0, v51
	v_add3_u32 v6, v77, v60, v59
	v_cndmask_b32_e64 v5, 0, v5, s7
	v_cmp_eq_u32_e64 s0, 0, v50
	v_cmp_eq_u32_e64 s12, 0, v55
	v_and_b32_e32 v8, 15, v74
	v_add3_u32 v6, v6, v58, v57
	v_add_nc_u32_e32 v5, v5, v49
	s_delay_alu instid0(VALU_DEP_3) | instskip(NEXT) | instid1(VALU_DEP_3)
	v_cmp_lt_u32_e64 s13, 1, v8
	v_add3_u32 v6, v6, v54, v53
	s_delay_alu instid0(VALU_DEP_3) | instskip(NEXT) | instid1(VALU_DEP_2)
	v_cndmask_b32_e64 v5, 0, v5, s8
	v_add3_u32 v6, v6, v52, v51
	s_delay_alu instid0(VALU_DEP_2) | instskip(NEXT) | instid1(VALU_DEP_2)
	v_add_nc_u32_e32 v5, v5, v72
	v_add3_u32 v6, v6, v50, v55
	s_delay_alu instid0(VALU_DEP_2) | instskip(NEXT) | instid1(VALU_DEP_2)
	v_cndmask_b32_e64 v5, 0, v5, s9
	v_mov_b32_dpp v9, v6 row_shr:1 row_mask:0xf bank_mask:0xf
	s_delay_alu instid0(VALU_DEP_2) | instskip(NEXT) | instid1(VALU_DEP_1)
	v_add_nc_u32_e32 v5, v5, v36
	v_cndmask_b32_e64 v5, 0, v5, s10
	s_delay_alu instid0(VALU_DEP_1) | instskip(NEXT) | instid1(VALU_DEP_1)
	v_add_nc_u32_e32 v5, v5, v71
	v_cndmask_b32_e64 v5, 0, v5, s11
	s_delay_alu instid0(VALU_DEP_1) | instskip(NEXT) | instid1(VALU_DEP_1)
	v_add_nc_u32_e32 v5, v5, v37
	v_cndmask_b32_e64 v5, 0, v5, s5
	s_delay_alu instid0(VALU_DEP_1) | instskip(NEXT) | instid1(VALU_DEP_1)
	v_add_nc_u32_e32 v5, v5, v70
	v_cndmask_b32_e64 v5, 0, v5, s4
	s_delay_alu instid0(VALU_DEP_1) | instskip(NEXT) | instid1(VALU_DEP_1)
	v_add_nc_u32_e32 v5, v5, v24
	v_cndmask_b32_e64 v5, 0, v5, s3
	s_delay_alu instid0(VALU_DEP_1) | instskip(NEXT) | instid1(VALU_DEP_1)
	v_add_nc_u32_e32 v5, v5, v69
	v_cndmask_b32_e64 v5, 0, v5, s2
	s_delay_alu instid0(VALU_DEP_1) | instskip(NEXT) | instid1(VALU_DEP_1)
	v_add_nc_u32_e32 v5, v5, v25
	v_cndmask_b32_e64 v5, 0, v5, s1
	s_delay_alu instid0(VALU_DEP_1) | instskip(NEXT) | instid1(VALU_DEP_1)
	v_add_nc_u32_e32 v5, v5, v68
	v_cndmask_b32_e32 v5, 0, v5, vcc_lo
	s_delay_alu instid0(VALU_DEP_1) | instskip(NEXT) | instid1(VALU_DEP_1)
	v_add_nc_u32_e32 v5, v5, v16
	v_cndmask_b32_e64 v5, 0, v5, s0
	s_delay_alu instid0(VALU_DEP_1) | instskip(NEXT) | instid1(VALU_DEP_1)
	v_add_nc_u32_e32 v5, v5, v67
	v_cndmask_b32_e64 v5, 0, v5, s12
	v_cmp_eq_u32_e64 s12, 0, v6
	s_delay_alu instid0(VALU_DEP_2) | instskip(NEXT) | instid1(VALU_DEP_1)
	v_add_nc_u32_e32 v5, v5, v17
	v_mov_b32_dpp v7, v5 row_shr:1 row_mask:0xf bank_mask:0xf
	s_delay_alu instid0(VALU_DEP_1) | instskip(SKIP_1) | instid1(VALU_DEP_1)
	v_cndmask_b32_e64 v7, 0, v7, s12
	v_cmp_eq_u32_e64 s12, 0, v8
	v_cndmask_b32_e64 v9, v9, 0, s12
	s_delay_alu instid0(VALU_DEP_3) | instskip(NEXT) | instid1(VALU_DEP_2)
	v_cndmask_b32_e64 v7, v7, 0, s12
	v_add_nc_u32_e32 v6, v9, v6
	s_delay_alu instid0(VALU_DEP_2) | instskip(NEXT) | instid1(VALU_DEP_2)
	v_add_nc_u32_e32 v5, v7, v5
	v_mov_b32_dpp v7, v6 row_shr:2 row_mask:0xf bank_mask:0xf
	v_cmp_eq_u32_e64 s12, 0, v6
	s_delay_alu instid0(VALU_DEP_3) | instskip(NEXT) | instid1(VALU_DEP_3)
	v_mov_b32_dpp v9, v5 row_shr:2 row_mask:0xf bank_mask:0xf
	v_cndmask_b32_e64 v7, 0, v7, s13
	s_delay_alu instid0(VALU_DEP_3) | instskip(SKIP_1) | instid1(VALU_DEP_3)
	s_and_b32 s12, s13, s12
	v_cmp_lt_u32_e64 s13, 3, v8
	v_cndmask_b32_e64 v9, 0, v9, s12
	s_delay_alu instid0(VALU_DEP_3) | instskip(NEXT) | instid1(VALU_DEP_2)
	v_add_nc_u32_e32 v6, v6, v7
	v_add_nc_u32_e32 v5, v9, v5
	s_delay_alu instid0(VALU_DEP_2) | instskip(SKIP_1) | instid1(VALU_DEP_3)
	v_mov_b32_dpp v7, v6 row_shr:4 row_mask:0xf bank_mask:0xf
	v_cmp_eq_u32_e64 s12, 0, v6
	v_mov_b32_dpp v9, v5 row_shr:4 row_mask:0xf bank_mask:0xf
	s_delay_alu instid0(VALU_DEP_3) | instskip(NEXT) | instid1(VALU_DEP_3)
	v_cndmask_b32_e64 v7, 0, v7, s13
	s_and_b32 s12, s13, s12
	v_cmp_lt_u32_e64 s13, 7, v8
	s_delay_alu instid0(VALU_DEP_3) | instskip(NEXT) | instid1(VALU_DEP_3)
	v_cndmask_b32_e64 v9, 0, v9, s12
	v_add_nc_u32_e32 v6, v7, v6
	s_delay_alu instid0(VALU_DEP_2) | instskip(SKIP_1) | instid1(VALU_DEP_3)
	v_add_nc_u32_e32 v5, v5, v9
	v_bfe_i32 v9, v74, 4, 1
	v_cmp_eq_u32_e64 s12, 0, v6
	v_mov_b32_dpp v7, v6 row_shr:8 row_mask:0xf bank_mask:0xf
	s_delay_alu instid0(VALU_DEP_4) | instskip(NEXT) | instid1(VALU_DEP_3)
	v_mov_b32_dpp v8, v5 row_shr:8 row_mask:0xf bank_mask:0xf
	s_and_b32 s12, s13, s12
	s_delay_alu instid0(VALU_DEP_2) | instskip(SKIP_1) | instid1(VALU_DEP_2)
	v_cndmask_b32_e64 v7, 0, v7, s13
	s_mov_b32 s13, exec_lo
	v_cndmask_b32_e64 v8, 0, v8, s12
	s_delay_alu instid0(VALU_DEP_1) | instskip(NEXT) | instid1(VALU_DEP_3)
	v_add_nc_u32_e32 v8, v8, v5
	v_add_nc_u32_e32 v5, v7, v6
	ds_swizzle_b32 v6, v8 offset:swizzle(BROADCAST,32,15)
	ds_swizzle_b32 v7, v5 offset:swizzle(BROADCAST,32,15)
	v_cmp_eq_u32_e64 s12, 0, v5
	s_waitcnt lgkmcnt(1)
	s_delay_alu instid0(VALU_DEP_1) | instskip(SKIP_2) | instid1(VALU_DEP_2)
	v_cndmask_b32_e64 v6, 0, v6, s12
	s_waitcnt lgkmcnt(0)
	v_and_b32_e32 v7, v9, v7
	v_and_b32_e32 v6, v9, v6
	s_delay_alu instid0(VALU_DEP_2) | instskip(NEXT) | instid1(VALU_DEP_2)
	v_add_nc_u32_e32 v5, v7, v5
	v_add_nc_u32_e32 v6, v6, v8
	v_lshlrev_b32_e32 v8, 3, v75
	v_cmpx_eq_u32_e64 v76, v0
	s_cbranch_execz .LBB848_105
; %bb.104:
	ds_store_b64 v8, v[5:6] offset:1040
.LBB848_105:
	s_or_b32 exec_lo, exec_lo, s13
	s_delay_alu instid0(SALU_CYCLE_1)
	s_mov_b32 s14, exec_lo
	s_waitcnt vmcnt(0) lgkmcnt(0)
	s_barrier
	buffer_gl0_inv
	v_cmpx_gt_u32_e32 8, v0
	s_cbranch_execz .LBB848_107
; %bb.106:
	v_lshlrev_b32_e32 v7, 3, v0
	v_and_b32_e32 v12, 7, v74
	ds_load_b64 v[9:10], v7 offset:1040
	v_cmp_lt_u32_e64 s13, 1, v12
	s_waitcnt lgkmcnt(0)
	v_mov_b32_dpp v11, v10 row_shr:1 row_mask:0xf bank_mask:0xf
	v_cmp_eq_u32_e64 s12, 0, v9
	v_mov_b32_dpp v17, v9 row_shr:1 row_mask:0xf bank_mask:0xf
	s_delay_alu instid0(VALU_DEP_2) | instskip(SKIP_1) | instid1(VALU_DEP_1)
	v_cndmask_b32_e64 v11, 0, v11, s12
	v_cmp_eq_u32_e64 s12, 0, v12
	v_cndmask_b32_e64 v17, v17, 0, s12
	s_delay_alu instid0(VALU_DEP_3) | instskip(NEXT) | instid1(VALU_DEP_2)
	v_cndmask_b32_e64 v11, v11, 0, s12
	v_add_nc_u32_e32 v9, v17, v9
	s_delay_alu instid0(VALU_DEP_2) | instskip(NEXT) | instid1(VALU_DEP_2)
	v_add_nc_u32_e32 v10, v11, v10
	v_mov_b32_dpp v11, v9 row_shr:2 row_mask:0xf bank_mask:0xf
	v_cmp_eq_u32_e64 s12, 0, v9
	s_delay_alu instid0(VALU_DEP_3) | instskip(NEXT) | instid1(VALU_DEP_3)
	v_mov_b32_dpp v17, v10 row_shr:2 row_mask:0xf bank_mask:0xf
	v_cndmask_b32_e64 v11, 0, v11, s13
	s_delay_alu instid0(VALU_DEP_3) | instskip(SKIP_1) | instid1(VALU_DEP_3)
	s_and_b32 s12, s13, s12
	v_cmp_lt_u32_e64 s13, 3, v12
	v_cndmask_b32_e64 v17, 0, v17, s12
	s_delay_alu instid0(VALU_DEP_3) | instskip(NEXT) | instid1(VALU_DEP_2)
	v_add_nc_u32_e32 v9, v11, v9
	v_add_nc_u32_e32 v10, v17, v10
	s_delay_alu instid0(VALU_DEP_2) | instskip(SKIP_1) | instid1(VALU_DEP_3)
	v_cmp_eq_u32_e64 s12, 0, v9
	v_mov_b32_dpp v11, v9 row_shr:4 row_mask:0xf bank_mask:0xf
	v_mov_b32_dpp v12, v10 row_shr:4 row_mask:0xf bank_mask:0xf
	s_delay_alu instid0(VALU_DEP_3) | instskip(NEXT) | instid1(VALU_DEP_2)
	s_and_b32 s12, s13, s12
	v_cndmask_b32_e64 v11, 0, v11, s13
	s_delay_alu instid0(VALU_DEP_2) | instskip(NEXT) | instid1(VALU_DEP_2)
	v_cndmask_b32_e64 v12, 0, v12, s12
	v_add_nc_u32_e32 v9, v11, v9
	s_delay_alu instid0(VALU_DEP_2)
	v_add_nc_u32_e32 v10, v12, v10
	ds_store_b64 v7, v[9:10] offset:1040
.LBB848_107:
	s_or_b32 exec_lo, exec_lo, s14
	v_mov_b32_e32 v11, 0
	v_mov_b32_e32 v7, 0
	;; [unrolled: 1-line block ×3, first 2 shown]
	s_mov_b32 s13, exec_lo
	s_waitcnt lgkmcnt(0)
	s_barrier
	buffer_gl0_inv
	v_cmpx_lt_u32_e32 31, v0
	s_cbranch_execz .LBB848_109
; %bb.108:
	ds_load_b64 v[7:8], v8 offset:1032
	s_waitcnt lgkmcnt(0)
	v_cmp_eq_u32_e64 s12, 0, v7
	s_delay_alu instid0(VALU_DEP_1) | instskip(NEXT) | instid1(VALU_DEP_1)
	v_cndmask_b32_e64 v9, 0, v32, s12
	v_add_nc_u32_e32 v9, v9, v8
.LBB848_109:
	s_or_b32 exec_lo, exec_lo, s13
	v_add_nc_u32_e32 v8, -1, v74
	v_cmp_eq_u32_e64 s13, 0, v65
	s_delay_alu instid0(VALU_DEP_2) | instskip(NEXT) | instid1(VALU_DEP_1)
	v_cmp_gt_i32_e64 s12, 0, v8
	v_cndmask_b32_e64 v8, v8, v74, s12
	v_cmp_eq_u32_e64 s12, 0, v5
	v_add_nc_u32_e32 v5, v7, v5
	s_delay_alu instid0(VALU_DEP_3) | instskip(NEXT) | instid1(VALU_DEP_3)
	v_lshlrev_b32_e32 v8, 2, v8
	v_cndmask_b32_e64 v10, 0, v9, s12
	v_cmp_eq_u32_e64 s12, 0, v74
	ds_bpermute_b32 v5, v8, v5
	v_add_nc_u32_e32 v6, v10, v6
	ds_bpermute_b32 v6, v8, v6
	s_waitcnt lgkmcnt(1)
	v_cndmask_b32_e64 v5, v5, v7, s12
	s_waitcnt lgkmcnt(0)
	v_cndmask_b32_e64 v6, v6, v9, s12
	v_cmp_eq_u32_e64 s12, 0, v0
	s_delay_alu instid0(VALU_DEP_1) | instskip(SKIP_1) | instid1(VALU_DEP_2)
	v_cndmask_b32_e64 v39, v6, v32, s12
	v_cndmask_b32_e64 v38, v5, 0, s12
	;; [unrolled: 1-line block ×3, first 2 shown]
	s_delay_alu instid0(VALU_DEP_2) | instskip(NEXT) | instid1(VALU_DEP_2)
	v_add_nc_u32_e32 v44, v38, v65
	v_add_nc_u32_e32 v45, v6, v48
	s_delay_alu instid0(VALU_DEP_2) | instskip(NEXT) | instid1(VALU_DEP_2)
	v_add_nc_u32_e32 v40, v44, v64
	v_cndmask_b32_e64 v6, 0, v45, s6
	s_delay_alu instid0(VALU_DEP_2) | instskip(NEXT) | instid1(VALU_DEP_2)
	v_add_nc_u32_e32 v34, v40, v63
	v_add_nc_u32_e32 v41, v6, v73
	s_delay_alu instid0(VALU_DEP_2) | instskip(NEXT) | instid1(VALU_DEP_2)
	v_add_nc_u32_e32 v28, v34, v62
	v_cndmask_b32_e64 v6, 0, v41, s7
	;; [unrolled: 6-line block ×4, first 2 shown]
	s_delay_alu instid0(VALU_DEP_2) | instskip(NEXT) | instid1(VALU_DEP_2)
	v_add_nc_u32_e32 v9, v30, v57
	v_add_nc_u32_e32 v23, v6, v36
	s_delay_alu instid0(VALU_DEP_1) | instskip(NEXT) | instid1(VALU_DEP_1)
	v_cndmask_b32_e64 v6, 0, v23, s10
	v_add_nc_u32_e32 v21, v6, v71
	s_delay_alu instid0(VALU_DEP_1) | instskip(NEXT) | instid1(VALU_DEP_1)
	v_cndmask_b32_e64 v6, 0, v21, s11
	;; [unrolled: 3-line block ×6, first 2 shown]
	v_add_nc_u32_e32 v19, v5, v25
	ds_load_b64 v[5:6], v11 offset:1096
	v_add_nc_u32_e32 v11, v9, v54
	v_cndmask_b32_e64 v7, 0, v19, s1
	s_delay_alu instid0(VALU_DEP_2) | instskip(NEXT) | instid1(VALU_DEP_2)
	v_add_nc_u32_e32 v18, v11, v53
	v_add_nc_u32_e32 v47, v7, v68
	s_delay_alu instid0(VALU_DEP_1) | instskip(NEXT) | instid1(VALU_DEP_1)
	v_dual_cndmask_b32 v7, 0, v47 :: v_dual_add_nc_u32 v46, v18, v52
	v_add_nc_u32_e32 v42, v46, v51
	s_delay_alu instid0(VALU_DEP_2) | instskip(SKIP_2) | instid1(VALU_DEP_2)
	v_add_nc_u32_e32 v43, v7, v16
	s_waitcnt lgkmcnt(0)
	v_cmp_eq_u32_e32 vcc_lo, 0, v5
	v_cndmask_b32_e64 v7, 0, v43, s0
	v_cndmask_b32_e32 v8, 0, v32, vcc_lo
	v_add_nc_u32_e32 v32, v42, v50
	s_delay_alu instid0(VALU_DEP_3) | instskip(NEXT) | instid1(VALU_DEP_3)
	v_add_nc_u32_e32 v33, v7, v67
	v_add_nc_u32_e32 v66, v8, v6
	s_and_saveexec_b32 s0, s12
	s_cbranch_execz .LBB848_111
; %bb.110:
	s_delay_alu instid0(VALU_DEP_1)
	v_and_b32_e32 v6, 0xff000000, v66
	v_dual_mov_b32 v8, 0 :: v_dual_and_b32 v7, 0xff0000, v66
	s_add_u32 s2, s24, 0x200
	v_and_b32_e32 v16, 0xff00, v66
	s_addc_u32 s3, s25, 0
	v_and_b32_e32 v17, 0xff, v66
	v_or_b32_e32 v6, v7, v6
	v_mov_b32_e32 v7, 2
	s_delay_alu instid0(VALU_DEP_2)
	v_or3_b32 v6, v6, v16, v17
	v_dual_mov_b32 v17, s3 :: v_dual_mov_b32 v16, s2
	;;#ASMSTART
	global_store_dwordx4 v[16:17], v[5:8] off	
s_waitcnt vmcnt(0)
	;;#ASMEND
.LBB848_111:
	s_or_b32 exec_lo, exec_lo, s0
	v_mov_b32_e32 v7, 0
.LBB848_112:
	v_mov_b32_e32 v16, 0
	s_and_b32 s0, s16, exec_lo
	v_mov_b32_e32 v17, 0
	s_cselect_b32 s1, 0, s43
	s_cselect_b32 s0, 0, s42
	s_delay_alu instid0(SALU_CYCLE_1)
	s_cmp_eq_u64 s[0:1], 0
	s_barrier
	buffer_gl0_inv
	s_cbranch_scc1 .LBB848_114
; %bb.113:
	v_mov_b32_e32 v6, 0
	global_load_b64 v[16:17], v6, s[0:1]
.LBB848_114:
	v_cmp_eq_u32_e32 vcc_lo, 0, v65
	v_cmp_ne_u32_e64 s14, 0, v65
	v_cmp_ne_u32_e64 s13, 0, v64
	;; [unrolled: 1-line block ×4, first 2 shown]
	v_cndmask_b32_e64 v6, 1, 2, vcc_lo
	v_cmp_eq_u32_e32 vcc_lo, 0, v64
	v_cmp_ne_u32_e64 s10, 0, v61
	v_cmp_ne_u32_e64 s9, 0, v60
	;; [unrolled: 1-line block ×4, first 2 shown]
	v_cndmask_b32_e64 v8, 1, 2, vcc_lo
	v_cmp_eq_u32_e32 vcc_lo, 0, v63
	v_cmp_ne_u32_e64 s8, 0, v57
	v_cmp_ne_u32_e64 s6, 0, v54
	;; [unrolled: 1-line block ×3, first 2 shown]
	v_and_b32_e32 v6, v8, v6
	v_cndmask_b32_e64 v24, 1, 2, vcc_lo
	v_cmp_eq_u32_e32 vcc_lo, 0, v62
	v_cmp_ne_u32_e64 s3, 0, v52
	v_cmp_ne_u32_e64 s2, 0, v51
	v_cmp_ne_u32_e64 s1, 0, v50
	v_and_b32_e32 v6, v6, v24
	v_cndmask_b32_e64 v8, 1, 2, vcc_lo
	v_cmp_eq_u32_e32 vcc_lo, 0, v61
	v_cmp_ne_u32_e64 s0, 0, v55
	s_mov_b32 s16, -1
	s_delay_alu instid0(VALU_DEP_3) | instskip(SKIP_2) | instid1(VALU_DEP_2)
	v_and_b32_e32 v6, v6, v8
	v_cndmask_b32_e64 v24, 1, 2, vcc_lo
	v_cmp_eq_u32_e32 vcc_lo, 0, v60
	v_and_b32_e32 v6, v6, v24
	v_cndmask_b32_e64 v8, 1, 2, vcc_lo
	v_cmp_eq_u32_e32 vcc_lo, 0, v59
	s_waitcnt vmcnt(0)
	v_lshlrev_b64 v[24:25], 1, v[16:17]
	s_delay_alu instid0(VALU_DEP_3) | instskip(SKIP_2) | instid1(VALU_DEP_2)
	v_and_b32_e32 v6, v6, v8
	v_cndmask_b32_e64 v36, 1, 2, vcc_lo
	v_cmp_eq_u32_e32 vcc_lo, 0, v58
	v_and_b32_e32 v6, v6, v36
	v_cndmask_b32_e64 v37, 1, 2, vcc_lo
	v_cmp_eq_u32_e32 vcc_lo, 0, v57
	s_delay_alu instid0(VALU_DEP_2) | instskip(SKIP_2) | instid1(VALU_DEP_2)
	v_and_b32_e32 v6, v6, v37
	v_cndmask_b32_e64 v36, 1, 2, vcc_lo
	v_cmp_eq_u32_e32 vcc_lo, 0, v54
	v_and_b32_e32 v6, v6, v36
	v_cndmask_b32_e64 v37, 1, 2, vcc_lo
	v_cmp_eq_u32_e32 vcc_lo, 0, v53
	s_delay_alu instid0(VALU_DEP_2) | instskip(SKIP_2) | instid1(VALU_DEP_2)
	;; [unrolled: 7-line block ×3, first 2 shown]
	v_and_b32_e32 v6, v6, v48
	v_cndmask_b32_e64 v49, 1, 2, vcc_lo
	v_cmp_eq_u32_e32 vcc_lo, 0, v50
	v_and_b32_e32 v48, v6, v49
	v_cndmask_b32_e64 v67, 1, 2, vcc_lo
	v_mov_b32_e32 v8, 0
	v_add_co_u32 v24, vcc_lo, s22, v24
	v_add_co_ci_u32_e32 v25, vcc_lo, s23, v25, vcc_lo
	s_delay_alu instid0(VALU_DEP_3) | instskip(NEXT) | instid1(VALU_DEP_1)
	v_lshlrev_b64 v[36:37], 1, v[7:8]
	v_add_co_u32 v6, vcc_lo, v24, v36
	s_delay_alu instid0(VALU_DEP_2) | instskip(SKIP_4) | instid1(VALU_DEP_2)
	v_add_co_ci_u32_e32 v24, vcc_lo, v25, v37, vcc_lo
	v_and_b32_e32 v25, v48, v67
	v_cmp_eq_u32_e32 vcc_lo, 0, v55
	v_cndmask_b32_e64 v36, 1, 2, vcc_lo
	v_cmp_gt_u32_e32 vcc_lo, 0x100, v5
	v_and_b32_e32 v25, v25, v36
	s_delay_alu instid0(VALU_DEP_1)
	v_cmp_gt_i16_e64 s15, 2, v25
	s_cbranch_vccz .LBB848_163
; %bb.115:
	s_delay_alu instid0(VALU_DEP_1)
	s_and_saveexec_b32 s16, s15
	s_cbranch_execz .LBB848_162
; %bb.116:
	s_mov_b32 s17, 0
	s_mov_b32 s15, exec_lo
	v_cmpx_ne_u16_e32 1, v25
	s_xor_b32 s15, exec_lo, s15
	s_cbranch_execz .LBB848_140
; %bb.117:
	s_and_saveexec_b32 s17, s14
	s_cbranch_execz .LBB848_145
; %bb.118:
	v_sub_nc_u32_e32 v36, v38, v7
	v_mov_b32_e32 v37, 0
	s_delay_alu instid0(VALU_DEP_1) | instskip(NEXT) | instid1(VALU_DEP_1)
	v_lshlrev_b64 v[36:37], 1, v[36:37]
	v_add_co_u32 v36, vcc_lo, v6, v36
	s_delay_alu instid0(VALU_DEP_2)
	v_add_co_ci_u32_e32 v37, vcc_lo, v24, v37, vcc_lo
	global_store_b16 v[36:37], v56, off
	s_or_b32 exec_lo, exec_lo, s17
	s_and_saveexec_b32 s17, s13
	s_cbranch_execnz .LBB848_146
.LBB848_119:
	s_or_b32 exec_lo, exec_lo, s17
	s_and_saveexec_b32 s17, s12
	s_cbranch_execz .LBB848_147
.LBB848_120:
	v_sub_nc_u32_e32 v36, v40, v7
	v_mov_b32_e32 v37, 0
	s_delay_alu instid0(VALU_DEP_1) | instskip(NEXT) | instid1(VALU_DEP_1)
	v_lshlrev_b64 v[36:37], 1, v[36:37]
	v_add_co_u32 v36, vcc_lo, v6, v36
	s_delay_alu instid0(VALU_DEP_2)
	v_add_co_ci_u32_e32 v37, vcc_lo, v24, v37, vcc_lo
	global_store_d16_hi_b16 v[36:37], v1, off
	s_or_b32 exec_lo, exec_lo, s17
	s_and_saveexec_b32 s17, s11
	s_cbranch_execnz .LBB848_148
.LBB848_121:
	s_or_b32 exec_lo, exec_lo, s17
	s_and_saveexec_b32 s17, s10
	s_cbranch_execz .LBB848_149
.LBB848_122:
	v_sub_nc_u32_e32 v36, v28, v7
	v_mov_b32_e32 v37, 0
	s_delay_alu instid0(VALU_DEP_1) | instskip(NEXT) | instid1(VALU_DEP_1)
	v_lshlrev_b64 v[36:37], 1, v[36:37]
	v_add_co_u32 v36, vcc_lo, v6, v36
	s_delay_alu instid0(VALU_DEP_2)
	v_add_co_ci_u32_e32 v37, vcc_lo, v24, v37, vcc_lo
	global_store_d16_hi_b16 v[36:37], v2, off
	s_or_b32 exec_lo, exec_lo, s17
	s_and_saveexec_b32 s17, s9
	s_cbranch_execnz .LBB848_150
.LBB848_123:
	s_or_b32 exec_lo, exec_lo, s17
	s_and_saveexec_b32 s17, s7
	s_cbranch_execz .LBB848_151
.LBB848_124:
	v_sub_nc_u32_e32 v36, v20, v7
	v_mov_b32_e32 v37, 0
	s_delay_alu instid0(VALU_DEP_1) | instskip(NEXT) | instid1(VALU_DEP_1)
	v_lshlrev_b64 v[36:37], 1, v[36:37]
	v_add_co_u32 v36, vcc_lo, v6, v36
	s_delay_alu instid0(VALU_DEP_2)
	v_add_co_ci_u32_e32 v37, vcc_lo, v24, v37, vcc_lo
	global_store_d16_hi_b16 v[36:37], v3, off
	s_or_b32 exec_lo, exec_lo, s17
	s_and_saveexec_b32 s17, s5
	s_cbranch_execnz .LBB848_152
.LBB848_125:
	s_or_b32 exec_lo, exec_lo, s17
	s_and_saveexec_b32 s17, s8
	s_cbranch_execz .LBB848_153
.LBB848_126:
	v_sub_nc_u32_e32 v36, v30, v7
	v_mov_b32_e32 v37, 0
	s_delay_alu instid0(VALU_DEP_1) | instskip(NEXT) | instid1(VALU_DEP_1)
	v_lshlrev_b64 v[36:37], 1, v[36:37]
	v_add_co_u32 v36, vcc_lo, v6, v36
	s_delay_alu instid0(VALU_DEP_2)
	v_add_co_ci_u32_e32 v37, vcc_lo, v24, v37, vcc_lo
	global_store_d16_hi_b16 v[36:37], v4, off
	s_or_b32 exec_lo, exec_lo, s17
	s_and_saveexec_b32 s17, s6
	s_cbranch_execnz .LBB848_154
.LBB848_127:
	s_or_b32 exec_lo, exec_lo, s17
	s_and_saveexec_b32 s17, s4
	s_cbranch_execz .LBB848_155
.LBB848_128:
	v_sub_nc_u32_e32 v36, v11, v7
	v_mov_b32_e32 v37, 0
	s_delay_alu instid0(VALU_DEP_1) | instskip(NEXT) | instid1(VALU_DEP_1)
	v_lshlrev_b64 v[36:37], 1, v[36:37]
	v_add_co_u32 v36, vcc_lo, v6, v36
	s_delay_alu instid0(VALU_DEP_2)
	v_add_co_ci_u32_e32 v37, vcc_lo, v24, v37, vcc_lo
	global_store_d16_hi_b16 v[36:37], v13, off
	s_or_b32 exec_lo, exec_lo, s17
	s_and_saveexec_b32 s17, s3
	s_cbranch_execnz .LBB848_156
.LBB848_129:
	s_or_b32 exec_lo, exec_lo, s17
	s_and_saveexec_b32 s17, s2
	s_cbranch_execz .LBB848_157
.LBB848_130:
	v_sub_nc_u32_e32 v36, v46, v7
	v_mov_b32_e32 v37, 0
	s_delay_alu instid0(VALU_DEP_1) | instskip(NEXT) | instid1(VALU_DEP_1)
	v_lshlrev_b64 v[36:37], 1, v[36:37]
	v_add_co_u32 v36, vcc_lo, v6, v36
	s_delay_alu instid0(VALU_DEP_2)
	v_add_co_ci_u32_e32 v37, vcc_lo, v24, v37, vcc_lo
	global_store_d16_hi_b16 v[36:37], v14, off
	s_or_b32 exec_lo, exec_lo, s17
	s_and_saveexec_b32 s17, s1
	s_cbranch_execnz .LBB848_158
	s_branch .LBB848_159
.LBB848_131:
	s_mov_b32 s28, 0
                                        ; implicit-def: $sgpr0
                                        ; implicit-def: $vgpr55
                                        ; implicit-def: $vgpr50
                                        ; implicit-def: $vgpr51
                                        ; implicit-def: $vgpr52
                                        ; implicit-def: $vgpr53
                                        ; implicit-def: $vgpr54
                                        ; implicit-def: $vgpr57
                                        ; implicit-def: $vgpr58
                                        ; implicit-def: $vgpr59
                                        ; implicit-def: $vgpr60
                                        ; implicit-def: $vgpr61
                                        ; implicit-def: $vgpr62
                                        ; implicit-def: $vgpr63
                                        ; implicit-def: $vgpr64
	s_cbranch_execz .LBB848_70
.LBB848_132:
	v_lshrrev_b32_e32 v8, 16, v15
	v_lshrrev_b32_e32 v10, 16, v14
	v_lshrrev_b32_e32 v12, 16, v13
	v_lshlrev_b32_e32 v6, 1, v0
	s_mov_b32 s5, 1
	v_cmp_ne_u16_e32 vcc_lo, v15, v8
	s_mov_b32 s1, exec_lo
                                        ; implicit-def: $sgpr0
	ds_store_b16 v6, v8
	s_waitcnt lgkmcnt(0)
	v_cndmask_b32_e64 v55, 0, 1, vcc_lo
	v_cmp_ne_u16_e32 vcc_lo, v10, v15
	s_barrier
	buffer_gl0_inv
	v_cndmask_b32_e64 v50, 0, 1, vcc_lo
	v_cmp_ne_u16_e32 vcc_lo, v14, v10
	v_lshrrev_b32_e32 v10, 16, v4
	v_cndmask_b32_e64 v51, 0, 1, vcc_lo
	v_cmp_ne_u16_e32 vcc_lo, v12, v14
	v_cndmask_b32_e64 v52, 0, 1, vcc_lo
	v_cmp_ne_u16_e32 vcc_lo, v13, v12
	v_lshrrev_b32_e32 v12, 16, v3
	v_cndmask_b32_e64 v53, 0, 1, vcc_lo
	v_cmp_ne_u16_e32 vcc_lo, v10, v13
	v_cndmask_b32_e64 v54, 0, 1, vcc_lo
	v_cmp_ne_u16_e32 vcc_lo, v4, v10
	v_lshrrev_b32_e32 v10, 16, v2
	v_cndmask_b32_e64 v57, 0, 1, vcc_lo
	v_cmp_ne_u16_e32 vcc_lo, v12, v4
	v_cndmask_b32_e64 v58, 0, 1, vcc_lo
	v_cmp_ne_u16_e32 vcc_lo, v3, v12
	v_lshrrev_b32_e32 v12, 16, v1
	v_cndmask_b32_e64 v59, 0, 1, vcc_lo
	v_cmp_ne_u16_e32 vcc_lo, v10, v3
	v_cndmask_b32_e64 v60, 0, 1, vcc_lo
	v_cmp_ne_u16_e32 vcc_lo, v2, v10
	v_cndmask_b32_e64 v61, 0, 1, vcc_lo
	v_cmp_ne_u16_e32 vcc_lo, v12, v2
	;; [unrolled: 2-line block ×4, first 2 shown]
	v_cndmask_b32_e64 v64, 0, 1, vcc_lo
	v_cmpx_ne_u32_e32 0, v0
	s_xor_b32 s1, exec_lo, s1
	s_cbranch_execz .LBB848_134
; %bb.133:
	v_add_nc_u32_e32 v6, -2, v6
	s_or_b32 s28, s28, exec_lo
	ds_load_u16 v6, v6
	s_waitcnt lgkmcnt(0)
	v_cmp_ne_u16_e32 vcc_lo, v6, v56
	s_and_b32 s0, vcc_lo, exec_lo
.LBB848_134:
	s_or_b32 exec_lo, exec_lo, s1
	s_branch .LBB848_72
.LBB848_135:
	s_mul_hi_u32 s0, s16, 0xfffff100
	s_mul_i32 s1, s17, 0xfffff100
	s_sub_i32 s0, s0, s16
	s_mul_i32 s2, s16, 0xfffff100
	s_add_i32 s0, s0, s1
	s_add_u32 s12, s2, s40
	s_addc_u32 s13, s0, s41
	v_lshrrev_b32_e32 v44, 16, v15
	v_mad_u32_u24 v26, v0, 15, 14
	v_lshrrev_b32_e32 v74, 16, v14
	v_mad_u32_u24 v40, v0, 15, 12
	;; [unrolled: 2-line block ×7, first 2 shown]
	v_cmp_ne_u16_e64 s1, v56, v1
	v_cmp_ne_u32_e64 s0, 0, v0
	s_and_b32 vcc_lo, exec_lo, s29
	s_cbranch_vccz .LBB848_142
; %bb.136:
	v_add_co_u32 v41, s2, -2, s21
	s_delay_alu instid0(VALU_DEP_1)
	v_add_co_ci_u32_e64 v42, null, -1, s14, s2
	v_mov_b32_e32 v27, 0
	v_cmp_ne_u16_e64 s2, v15, v44
	v_cmp_ne_u16_e64 s4, v74, v15
	flat_load_u16 v63, v[41:42]
	v_dual_mov_b32 v12, v27 :: v_dual_lshlrev_b32 v43, 1, v0
	v_mov_b32_e32 v23, v27
	v_cmp_gt_u64_e32 vcc_lo, s[12:13], v[26:27]
	v_mov_b32_e32 v41, v27
	v_mov_b32_e32 v21, v27
	;; [unrolled: 1-line block ×3, first 2 shown]
	v_cmp_gt_u64_e64 s3, s[12:13], v[22:23]
	v_cmp_ne_u16_e64 s6, v13, v66
	s_and_b32 s16, vcc_lo, s2
	v_cmp_gt_u64_e32 vcc_lo, s[12:13], v[40:41]
	v_cmp_gt_u64_e64 s5, s[12:13], v[38:39]
	v_cmp_ne_u16_e64 s2, v14, v74
	s_and_b32 s17, s3, s4
	v_cmp_gt_u64_e64 s3, s[12:13], v[20:21]
	v_cmp_ne_u16_e64 s4, v66, v14
	v_mov_b32_e32 v19, v27
	v_mov_b32_e32 v35, v27
	s_and_b32 s21, vcc_lo, s2
	s_and_b32 s30, s5, s6
	s_and_b32 s29, s3, s4
	v_cmp_gt_u64_e32 vcc_lo, s[12:13], v[18:19]
	v_cmp_gt_u64_e64 s3, s[12:13], v[34:35]
	v_cmp_gt_u64_e64 s5, s[12:13], v[11:12]
	v_cmp_ne_u16_e64 s2, v65, v13
	v_cmp_ne_u16_e64 s4, v4, v65
	;; [unrolled: 1-line block ×3, first 2 shown]
	v_mov_b32_e32 v33, v27
	v_mov_b32_e32 v10, v27
	;; [unrolled: 1-line block ×6, first 2 shown]
	s_and_b32 s31, vcc_lo, s2
	s_and_b32 s33, s3, s4
	s_and_b32 s40, s5, s6
	v_cmp_gt_u64_e32 vcc_lo, s[12:13], v[32:33]
	v_cmp_gt_u64_e64 s3, s[12:13], v[9:10]
	v_cmp_gt_u64_e64 s5, s[12:13], v[30:31]
	;; [unrolled: 1-line block ×5, first 2 shown]
	v_cmp_ne_u16_e64 s2, v3, v47
	v_cmp_ne_u16_e64 s4, v46, v3
	;; [unrolled: 1-line block ×5, first 2 shown]
	v_mul_u32_u24_e32 v42, 15, v0
	s_mov_b32 s28, -1
	s_mov_b32 s14, 0
	s_and_b32 s41, vcc_lo, s2
	s_and_b32 s3, s3, s4
	s_and_b32 s4, s5, s6
	;; [unrolled: 1-line block ×5, first 2 shown]
	ds_store_b16 v43, v44
	s_waitcnt vmcnt(0) lgkmcnt(0)
	s_barrier
	buffer_gl0_inv
	s_and_saveexec_b32 s6, s0
	s_cbranch_execz .LBB848_138
; %bb.137:
	v_add_nc_u32_e32 v6, -2, v43
	ds_load_u16 v63, v6
.LBB848_138:
	s_or_b32 exec_lo, exec_lo, s6
	v_mov_b32_e32 v43, v27
	s_waitcnt lgkmcnt(0)
	v_cmp_ne_u16_e64 s0, v63, v56
	v_cndmask_b32_e64 v55, 0, 1, s16
	v_cndmask_b32_e64 v50, 0, 1, s17
	;; [unrolled: 1-line block ×3, first 2 shown]
	v_cmp_gt_u64_e32 vcc_lo, s[12:13], v[42:43]
	v_cndmask_b32_e64 v52, 0, 1, s29
	v_cndmask_b32_e64 v53, 0, 1, s30
	;; [unrolled: 1-line block ×11, first 2 shown]
	s_and_b32 s0, vcc_lo, s0
	s_and_b32 vcc_lo, exec_lo, s14
	s_cbranch_vccnz .LBB848_143
.LBB848_139:
                                        ; implicit-def: $sgpr5
	v_mov_b32_e32 v65, s5
	s_and_saveexec_b32 s1, s28
	s_cbranch_execnz .LBB848_73
	s_branch .LBB848_74
.LBB848_140:
	s_and_not1_saveexec_b32 s15, s15
	s_cbranch_execz .LBB848_160
.LBB848_141:
	v_sub_nc_u32_e32 v36, v38, v7
	v_mov_b32_e32 v37, 0
	s_or_b32 s17, s17, exec_lo
	s_delay_alu instid0(VALU_DEP_1) | instskip(SKIP_1) | instid1(VALU_DEP_1)
	v_lshlrev_b64 v[48:49], 1, v[36:37]
	v_sub_nc_u32_e32 v36, v44, v7
	v_lshlrev_b64 v[67:68], 1, v[36:37]
	v_sub_nc_u32_e32 v36, v40, v7
	s_delay_alu instid0(VALU_DEP_4) | instskip(SKIP_1) | instid1(VALU_DEP_3)
	v_add_co_u32 v48, vcc_lo, v6, v48
	v_add_co_ci_u32_e32 v49, vcc_lo, v24, v49, vcc_lo
	v_lshlrev_b64 v[69:70], 1, v[36:37]
	v_sub_nc_u32_e32 v36, v34, v7
	v_add_co_u32 v67, vcc_lo, v6, v67
	v_add_co_ci_u32_e32 v68, vcc_lo, v24, v68, vcc_lo
	global_store_b16 v[48:49], v56, off
	v_lshlrev_b64 v[48:49], 1, v[36:37]
	v_sub_nc_u32_e32 v36, v28, v7
	global_store_b16 v[67:68], v1, off
	v_add_co_u32 v67, vcc_lo, v6, v69
	v_add_co_ci_u32_e32 v68, vcc_lo, v24, v70, vcc_lo
	v_lshlrev_b64 v[69:70], 1, v[36:37]
	v_sub_nc_u32_e32 v36, v22, v7
	v_add_co_u32 v48, vcc_lo, v6, v48
	v_add_co_ci_u32_e32 v49, vcc_lo, v24, v49, vcc_lo
	s_delay_alu instid0(VALU_DEP_3) | instskip(SKIP_3) | instid1(VALU_DEP_3)
	v_lshlrev_b64 v[71:72], 1, v[36:37]
	v_sub_nc_u32_e32 v36, v20, v7
	v_add_co_u32 v69, vcc_lo, v6, v69
	v_add_co_ci_u32_e32 v70, vcc_lo, v24, v70, vcc_lo
	v_lshlrev_b64 v[73:74], 1, v[36:37]
	v_sub_nc_u32_e32 v36, v26, v7
	v_add_co_u32 v71, vcc_lo, v6, v71
	v_add_co_ci_u32_e32 v72, vcc_lo, v24, v72, vcc_lo
	s_clause 0x3
	global_store_d16_hi_b16 v[67:68], v1, off
	global_store_b16 v[48:49], v2, off
	global_store_d16_hi_b16 v[69:70], v2, off
	global_store_b16 v[71:72], v3, off
	v_lshlrev_b64 v[48:49], 1, v[36:37]
	v_sub_nc_u32_e32 v36, v30, v7
	v_add_co_u32 v67, vcc_lo, v6, v73
	v_add_co_ci_u32_e32 v68, vcc_lo, v24, v74, vcc_lo
	s_delay_alu instid0(VALU_DEP_3) | instskip(SKIP_3) | instid1(VALU_DEP_3)
	v_lshlrev_b64 v[69:70], 1, v[36:37]
	v_sub_nc_u32_e32 v36, v9, v7
	v_add_co_u32 v48, vcc_lo, v6, v48
	v_add_co_ci_u32_e32 v49, vcc_lo, v24, v49, vcc_lo
	v_lshlrev_b64 v[71:72], 1, v[36:37]
	v_sub_nc_u32_e32 v36, v11, v7
	v_add_co_u32 v69, vcc_lo, v6, v69
	v_add_co_ci_u32_e32 v70, vcc_lo, v24, v70, vcc_lo
	s_delay_alu instid0(VALU_DEP_3)
	v_lshlrev_b64 v[73:74], 1, v[36:37]
	v_sub_nc_u32_e32 v36, v18, v7
	v_add_co_u32 v71, vcc_lo, v6, v71
	v_add_co_ci_u32_e32 v72, vcc_lo, v24, v72, vcc_lo
	s_clause 0x3
	global_store_d16_hi_b16 v[67:68], v3, off
	global_store_b16 v[48:49], v4, off
	global_store_d16_hi_b16 v[69:70], v4, off
	global_store_b16 v[71:72], v13, off
	v_lshlrev_b64 v[48:49], 1, v[36:37]
	v_sub_nc_u32_e32 v36, v46, v7
	v_add_co_u32 v67, vcc_lo, v6, v73
	v_add_co_ci_u32_e32 v68, vcc_lo, v24, v74, vcc_lo
	s_delay_alu instid0(VALU_DEP_3) | instskip(SKIP_3) | instid1(VALU_DEP_3)
	v_lshlrev_b64 v[69:70], 1, v[36:37]
	v_sub_nc_u32_e32 v36, v42, v7
	v_add_co_u32 v48, vcc_lo, v6, v48
	v_add_co_ci_u32_e32 v49, vcc_lo, v24, v49, vcc_lo
	v_lshlrev_b64 v[36:37], 1, v[36:37]
	v_add_co_u32 v69, vcc_lo, v6, v69
	v_add_co_ci_u32_e32 v70, vcc_lo, v24, v70, vcc_lo
	s_clause 0x2
	global_store_d16_hi_b16 v[67:68], v13, off
	global_store_b16 v[48:49], v14, off
	global_store_d16_hi_b16 v[69:70], v14, off
	v_add_co_u32 v36, vcc_lo, v6, v36
	v_add_co_ci_u32_e32 v37, vcc_lo, v24, v37, vcc_lo
	global_store_b16 v[36:37], v15, off
	s_or_b32 exec_lo, exec_lo, s15
	s_delay_alu instid0(SALU_CYCLE_1)
	s_and_b32 exec_lo, exec_lo, s17
	s_cbranch_execnz .LBB848_161
	s_branch .LBB848_162
.LBB848_142:
                                        ; implicit-def: $sgpr0
                                        ; implicit-def: $vgpr55
                                        ; implicit-def: $vgpr50
                                        ; implicit-def: $vgpr51
                                        ; implicit-def: $vgpr52
                                        ; implicit-def: $vgpr53
                                        ; implicit-def: $vgpr54
                                        ; implicit-def: $vgpr57
                                        ; implicit-def: $vgpr58
                                        ; implicit-def: $vgpr59
                                        ; implicit-def: $vgpr60
                                        ; implicit-def: $vgpr61
                                        ; implicit-def: $vgpr62
                                        ; implicit-def: $vgpr63
                                        ; implicit-def: $vgpr64
	s_cbranch_execz .LBB848_139
.LBB848_143:
	v_dual_mov_b32 v27, 0 :: v_dual_lshlrev_b32 v42, 1, v0
	v_cmp_ne_u16_e32 vcc_lo, v15, v44
	v_cmp_ne_u16_e64 s2, v14, v74
	v_cmp_ne_u16_e64 s0, v74, v15
	s_delay_alu instid0(VALU_DEP_4)
	v_mov_b32_e32 v41, v27
	v_mov_b32_e32 v23, v27
	v_cmp_gt_u64_e64 s1, s[12:13], v[26:27]
	v_mov_b32_e32 v39, v27
	v_mov_b32_e32 v21, v27
	v_cmp_gt_u64_e64 s4, s[12:13], v[40:41]
	v_cmp_gt_u64_e64 s3, s[12:13], v[22:23]
	v_mov_b32_e32 v19, v27
	s_and_b32 s1, s1, vcc_lo
	v_cmp_gt_u64_e32 vcc_lo, s[12:13], v[20:21]
	v_cndmask_b32_e64 v55, 0, 1, s1
	s_and_b32 s1, s4, s2
	s_and_b32 s0, s3, s0
	v_cndmask_b32_e64 v51, 0, 1, s1
	v_cmp_gt_u64_e64 s1, s[12:13], v[38:39]
	v_cmp_ne_u16_e64 s2, v13, v66
	v_cndmask_b32_e64 v50, 0, 1, s0
	v_cmp_ne_u16_e64 s0, v66, v14
	v_mov_b32_e32 v35, v27
	v_mov_b32_e32 v12, v27
	s_and_b32 s1, s1, s2
	v_cmp_ne_u16_e64 s2, v4, v65
	s_and_b32 s0, vcc_lo, s0
	v_cmp_gt_u64_e32 vcc_lo, s[12:13], v[18:19]
	v_cndmask_b32_e64 v53, 0, 1, s1
	v_cmp_gt_u64_e64 s1, s[12:13], v[34:35]
	v_cndmask_b32_e64 v52, 0, 1, s0
	v_cmp_ne_u16_e64 s0, v65, v13
	v_mov_b32_e32 v33, v27
	v_mov_b32_e32 v10, v27
	v_mov_b32_e32 v31, v27
	s_and_b32 s1, s1, s2
	s_and_b32 s0, vcc_lo, s0
	v_cmp_gt_u64_e32 vcc_lo, s[12:13], v[11:12]
	v_cndmask_b32_e64 v54, 0, 1, s0
	v_cmp_ne_u16_e64 s0, v47, v4
	v_cndmask_b32_e64 v57, 0, 1, s1
	v_cmp_gt_u64_e64 s1, s[12:13], v[32:33]
	v_cmp_ne_u16_e64 s2, v3, v47
	v_mov_b32_e32 v8, v27
	s_and_b32 s0, vcc_lo, s0
	v_cmp_gt_u64_e32 vcc_lo, s[12:13], v[9:10]
	v_cndmask_b32_e64 v58, 0, 1, s0
	s_and_b32 s1, s1, s2
	v_cmp_ne_u16_e64 s0, v46, v3
	v_cndmask_b32_e64 v59, 0, 1, s1
	v_cmp_gt_u64_e64 s1, s[12:13], v[30:31]
	v_cmp_ne_u16_e64 s2, v2, v46
	v_mov_b32_e32 v29, v27
	s_and_b32 s0, vcc_lo, s0
	v_mov_b32_e32 v6, v27
	v_cndmask_b32_e64 v60, 0, 1, s0
	s_and_b32 s0, s1, s2
	v_cmp_gt_u64_e32 vcc_lo, s[12:13], v[7:8]
	v_cndmask_b32_e64 v61, 0, 1, s0
	v_cmp_ne_u16_e64 s0, v45, v2
	v_cmp_gt_u64_e64 s1, s[12:13], v[28:29]
	v_cmp_ne_u16_e64 s2, v1, v45
	v_cmp_gt_u64_e64 s3, s[12:13], v[5:6]
	v_cmp_ne_u16_e64 s4, v56, v1
	s_and_b32 s0, vcc_lo, s0
	s_mov_b32 s5, 1
	v_cndmask_b32_e64 v62, 0, 1, s0
	s_and_b32 s0, s1, s2
	s_mov_b32 s1, exec_lo
	v_cndmask_b32_e64 v63, 0, 1, s0
	s_and_b32 s0, s3, s4
	ds_store_b16 v42, v44
	v_cndmask_b32_e64 v64, 0, 1, s0
	s_waitcnt lgkmcnt(0)
	s_barrier
	buffer_gl0_inv
                                        ; implicit-def: $sgpr0
	v_cmpx_ne_u32_e32 0, v0
	s_cbranch_execz .LBB848_182
; %bb.144:
	v_add_nc_u32_e32 v5, -2, v42
	v_mul_u32_u24_e32 v26, 15, v0
	s_or_b32 s28, s28, exec_lo
	ds_load_u16 v5, v5
	v_cmp_gt_u64_e32 vcc_lo, s[12:13], v[26:27]
	s_waitcnt lgkmcnt(0)
	v_cmp_ne_u16_e64 s0, v5, v56
	s_delay_alu instid0(VALU_DEP_1) | instskip(NEXT) | instid1(SALU_CYCLE_1)
	s_and_b32 s0, vcc_lo, s0
	s_and_b32 s0, s0, exec_lo
	s_or_b32 exec_lo, exec_lo, s1
	v_mov_b32_e32 v65, s5
	s_and_saveexec_b32 s1, s28
	s_cbranch_execz .LBB848_74
	s_branch .LBB848_73
.LBB848_145:
	s_or_b32 exec_lo, exec_lo, s17
	s_and_saveexec_b32 s17, s13
	s_cbranch_execz .LBB848_119
.LBB848_146:
	v_sub_nc_u32_e32 v36, v44, v7
	v_mov_b32_e32 v37, 0
	s_delay_alu instid0(VALU_DEP_1) | instskip(NEXT) | instid1(VALU_DEP_1)
	v_lshlrev_b64 v[36:37], 1, v[36:37]
	v_add_co_u32 v36, vcc_lo, v6, v36
	s_delay_alu instid0(VALU_DEP_2)
	v_add_co_ci_u32_e32 v37, vcc_lo, v24, v37, vcc_lo
	global_store_b16 v[36:37], v1, off
	s_or_b32 exec_lo, exec_lo, s17
	s_and_saveexec_b32 s17, s12
	s_cbranch_execnz .LBB848_120
.LBB848_147:
	s_or_b32 exec_lo, exec_lo, s17
	s_and_saveexec_b32 s17, s11
	s_cbranch_execz .LBB848_121
.LBB848_148:
	v_sub_nc_u32_e32 v36, v34, v7
	v_mov_b32_e32 v37, 0
	s_delay_alu instid0(VALU_DEP_1) | instskip(NEXT) | instid1(VALU_DEP_1)
	v_lshlrev_b64 v[36:37], 1, v[36:37]
	v_add_co_u32 v36, vcc_lo, v6, v36
	s_delay_alu instid0(VALU_DEP_2)
	v_add_co_ci_u32_e32 v37, vcc_lo, v24, v37, vcc_lo
	global_store_b16 v[36:37], v2, off
	s_or_b32 exec_lo, exec_lo, s17
	s_and_saveexec_b32 s17, s10
	s_cbranch_execnz .LBB848_122
.LBB848_149:
	s_or_b32 exec_lo, exec_lo, s17
	s_and_saveexec_b32 s17, s9
	s_cbranch_execz .LBB848_123
.LBB848_150:
	v_sub_nc_u32_e32 v36, v22, v7
	v_mov_b32_e32 v37, 0
	s_delay_alu instid0(VALU_DEP_1) | instskip(NEXT) | instid1(VALU_DEP_1)
	v_lshlrev_b64 v[36:37], 1, v[36:37]
	v_add_co_u32 v36, vcc_lo, v6, v36
	s_delay_alu instid0(VALU_DEP_2)
	v_add_co_ci_u32_e32 v37, vcc_lo, v24, v37, vcc_lo
	global_store_b16 v[36:37], v3, off
	s_or_b32 exec_lo, exec_lo, s17
	s_and_saveexec_b32 s17, s7
	s_cbranch_execnz .LBB848_124
.LBB848_151:
	s_or_b32 exec_lo, exec_lo, s17
	s_and_saveexec_b32 s17, s5
	s_cbranch_execz .LBB848_125
.LBB848_152:
	v_sub_nc_u32_e32 v36, v26, v7
	v_mov_b32_e32 v37, 0
	s_delay_alu instid0(VALU_DEP_1) | instskip(NEXT) | instid1(VALU_DEP_1)
	v_lshlrev_b64 v[36:37], 1, v[36:37]
	v_add_co_u32 v36, vcc_lo, v6, v36
	s_delay_alu instid0(VALU_DEP_2)
	v_add_co_ci_u32_e32 v37, vcc_lo, v24, v37, vcc_lo
	global_store_b16 v[36:37], v4, off
	s_or_b32 exec_lo, exec_lo, s17
	s_and_saveexec_b32 s17, s8
	s_cbranch_execnz .LBB848_126
.LBB848_153:
	s_or_b32 exec_lo, exec_lo, s17
	s_and_saveexec_b32 s17, s6
	s_cbranch_execz .LBB848_127
.LBB848_154:
	v_sub_nc_u32_e32 v36, v9, v7
	v_mov_b32_e32 v37, 0
	s_delay_alu instid0(VALU_DEP_1) | instskip(NEXT) | instid1(VALU_DEP_1)
	v_lshlrev_b64 v[36:37], 1, v[36:37]
	v_add_co_u32 v36, vcc_lo, v6, v36
	s_delay_alu instid0(VALU_DEP_2)
	v_add_co_ci_u32_e32 v37, vcc_lo, v24, v37, vcc_lo
	global_store_b16 v[36:37], v13, off
	s_or_b32 exec_lo, exec_lo, s17
	s_and_saveexec_b32 s17, s4
	s_cbranch_execnz .LBB848_128
.LBB848_155:
	s_or_b32 exec_lo, exec_lo, s17
	s_and_saveexec_b32 s17, s3
	s_cbranch_execz .LBB848_129
.LBB848_156:
	v_sub_nc_u32_e32 v36, v18, v7
	v_mov_b32_e32 v37, 0
	s_delay_alu instid0(VALU_DEP_1) | instskip(NEXT) | instid1(VALU_DEP_1)
	v_lshlrev_b64 v[36:37], 1, v[36:37]
	v_add_co_u32 v36, vcc_lo, v6, v36
	s_delay_alu instid0(VALU_DEP_2)
	v_add_co_ci_u32_e32 v37, vcc_lo, v24, v37, vcc_lo
	global_store_b16 v[36:37], v14, off
	s_or_b32 exec_lo, exec_lo, s17
	s_and_saveexec_b32 s17, s2
	s_cbranch_execnz .LBB848_130
.LBB848_157:
	s_or_b32 exec_lo, exec_lo, s17
	s_and_saveexec_b32 s17, s1
	s_cbranch_execz .LBB848_159
.LBB848_158:
	v_sub_nc_u32_e32 v36, v42, v7
	v_mov_b32_e32 v37, 0
	s_delay_alu instid0(VALU_DEP_1) | instskip(NEXT) | instid1(VALU_DEP_1)
	v_lshlrev_b64 v[36:37], 1, v[36:37]
	v_add_co_u32 v36, vcc_lo, v6, v36
	s_delay_alu instid0(VALU_DEP_2)
	v_add_co_ci_u32_e32 v37, vcc_lo, v24, v37, vcc_lo
	global_store_b16 v[36:37], v15, off
.LBB848_159:
	s_or_b32 exec_lo, exec_lo, s17
	s_delay_alu instid0(SALU_CYCLE_1)
	s_and_b32 s17, s0, exec_lo
	s_and_not1_saveexec_b32 s15, s15
	s_cbranch_execnz .LBB848_141
.LBB848_160:
	s_or_b32 exec_lo, exec_lo, s15
	s_delay_alu instid0(SALU_CYCLE_1)
	s_and_b32 exec_lo, exec_lo, s17
	s_cbranch_execz .LBB848_162
.LBB848_161:
	v_sub_nc_u32_e32 v36, v32, v7
	v_mov_b32_e32 v37, 0
	s_delay_alu instid0(VALU_DEP_1) | instskip(NEXT) | instid1(VALU_DEP_1)
	v_lshlrev_b64 v[36:37], 1, v[36:37]
	v_add_co_u32 v36, vcc_lo, v6, v36
	s_delay_alu instid0(VALU_DEP_2)
	v_add_co_ci_u32_e32 v37, vcc_lo, v24, v37, vcc_lo
	global_store_d16_hi_b16 v[36:37], v15, off
.LBB848_162:
	s_or_b32 exec_lo, exec_lo, s16
	s_mov_b32 s16, 0
.LBB848_163:
	s_delay_alu instid0(SALU_CYCLE_1)
	s_and_b32 vcc_lo, exec_lo, s16
	s_cbranch_vccz .LBB848_216
; %bb.164:
	s_mov_b32 s15, exec_lo
	v_cmpx_gt_i16_e32 2, v25
	s_cbranch_execz .LBB848_200
; %bb.165:
	s_mov_b32 s17, 0
	s_mov_b32 s16, exec_lo
	v_cmpx_ne_u16_e32 1, v25
	s_xor_b32 s16, exec_lo, s16
	s_cbranch_execz .LBB848_180
; %bb.166:
	s_and_saveexec_b32 s17, s14
	s_cbranch_execz .LBB848_183
; %bb.167:
	v_sub_nc_u32_e32 v25, v38, v7
	s_delay_alu instid0(VALU_DEP_1)
	v_lshlrev_b32_e32 v25, 1, v25
	ds_store_b16 v25, v56
	s_or_b32 exec_lo, exec_lo, s17
	s_and_saveexec_b32 s14, s13
	s_cbranch_execnz .LBB848_184
.LBB848_168:
	s_or_b32 exec_lo, exec_lo, s14
	s_and_saveexec_b32 s13, s12
	s_cbranch_execz .LBB848_185
.LBB848_169:
	v_sub_nc_u32_e32 v25, v40, v7
	s_delay_alu instid0(VALU_DEP_1)
	v_lshlrev_b32_e32 v25, 1, v25
	ds_store_b16_d16_hi v25, v1
	s_or_b32 exec_lo, exec_lo, s13
	s_and_saveexec_b32 s12, s11
	s_cbranch_execnz .LBB848_186
.LBB848_170:
	s_or_b32 exec_lo, exec_lo, s12
	s_and_saveexec_b32 s11, s10
	s_cbranch_execz .LBB848_187
.LBB848_171:
	v_sub_nc_u32_e32 v1, v28, v7
	s_delay_alu instid0(VALU_DEP_1)
	v_lshlrev_b32_e32 v1, 1, v1
	ds_store_b16_d16_hi v1, v2
	s_or_b32 exec_lo, exec_lo, s11
	s_and_saveexec_b32 s10, s9
	s_cbranch_execnz .LBB848_188
.LBB848_172:
	s_or_b32 exec_lo, exec_lo, s10
	s_and_saveexec_b32 s9, s7
	s_cbranch_execz .LBB848_189
.LBB848_173:
	v_sub_nc_u32_e32 v1, v20, v7
	s_delay_alu instid0(VALU_DEP_1)
	v_lshlrev_b32_e32 v1, 1, v1
	ds_store_b16_d16_hi v1, v3
	s_or_b32 exec_lo, exec_lo, s9
	s_and_saveexec_b32 s7, s5
	s_cbranch_execnz .LBB848_190
.LBB848_174:
	s_or_b32 exec_lo, exec_lo, s7
	s_and_saveexec_b32 s5, s8
	s_cbranch_execz .LBB848_191
.LBB848_175:
	v_sub_nc_u32_e32 v1, v30, v7
	s_delay_alu instid0(VALU_DEP_1)
	v_lshlrev_b32_e32 v1, 1, v1
	ds_store_b16_d16_hi v1, v4
	s_or_b32 exec_lo, exec_lo, s5
	s_and_saveexec_b32 s5, s6
	s_cbranch_execnz .LBB848_192
.LBB848_176:
	s_or_b32 exec_lo, exec_lo, s5
	s_and_saveexec_b32 s5, s4
	s_cbranch_execz .LBB848_193
.LBB848_177:
	v_sub_nc_u32_e32 v1, v11, v7
	s_delay_alu instid0(VALU_DEP_1)
	v_lshlrev_b32_e32 v1, 1, v1
	ds_store_b16_d16_hi v1, v13
	s_or_b32 exec_lo, exec_lo, s5
	s_and_saveexec_b32 s4, s3
	s_cbranch_execnz .LBB848_194
.LBB848_178:
	s_or_b32 exec_lo, exec_lo, s4
	s_and_saveexec_b32 s3, s2
	s_cbranch_execz .LBB848_195
.LBB848_179:
	v_sub_nc_u32_e32 v1, v46, v7
	s_delay_alu instid0(VALU_DEP_1)
	v_lshlrev_b32_e32 v1, 1, v1
	ds_store_b16_d16_hi v1, v14
	s_or_b32 exec_lo, exec_lo, s3
	s_and_saveexec_b32 s2, s1
	s_cbranch_execnz .LBB848_196
	s_branch .LBB848_197
.LBB848_180:
	s_and_not1_saveexec_b32 s0, s16
	s_cbranch_execz .LBB848_198
.LBB848_181:
	v_sub_nc_u32_e32 v25, v38, v7
	v_sub_nc_u32_e32 v36, v44, v7
	;; [unrolled: 1-line block ×4, first 2 shown]
	s_or_b32 s17, s17, exec_lo
	v_lshlrev_b32_e32 v25, 1, v25
	v_lshlrev_b32_e32 v36, 1, v36
	;; [unrolled: 1-line block ×4, first 2 shown]
	ds_store_b16 v25, v56
	ds_store_b16 v36, v1
	ds_store_b16_d16_hi v37, v1
	v_sub_nc_u32_e32 v1, v28, v7
	v_sub_nc_u32_e32 v25, v22, v7
	ds_store_b16 v48, v2
	v_sub_nc_u32_e32 v48, v30, v7
	v_sub_nc_u32_e32 v36, v20, v7
	v_lshlrev_b32_e32 v1, 1, v1
	v_sub_nc_u32_e32 v37, v26, v7
	v_lshlrev_b32_e32 v25, 1, v25
	s_delay_alu instid0(VALU_DEP_4)
	v_lshlrev_b32_e32 v36, 1, v36
	ds_store_b16_d16_hi v1, v2
	v_lshlrev_b32_e32 v1, 1, v48
	v_sub_nc_u32_e32 v2, v9, v7
	v_lshlrev_b32_e32 v37, 1, v37
	ds_store_b16 v25, v3
	ds_store_b16_d16_hi v36, v3
	ds_store_b16 v37, v4
	ds_store_b16_d16_hi v1, v4
	v_sub_nc_u32_e32 v1, v11, v7
	v_lshlrev_b32_e32 v2, 1, v2
	v_sub_nc_u32_e32 v25, v42, v7
	v_sub_nc_u32_e32 v3, v18, v7
	;; [unrolled: 1-line block ×3, first 2 shown]
	v_lshlrev_b32_e32 v1, 1, v1
	ds_store_b16 v2, v13
	v_lshlrev_b32_e32 v2, 1, v25
	v_lshlrev_b32_e32 v3, 1, v3
	;; [unrolled: 1-line block ×3, first 2 shown]
	ds_store_b16_d16_hi v1, v13
	ds_store_b16 v3, v14
	ds_store_b16_d16_hi v4, v14
	ds_store_b16 v2, v15
	s_or_b32 exec_lo, exec_lo, s0
	s_delay_alu instid0(SALU_CYCLE_1)
	s_and_b32 exec_lo, exec_lo, s17
	s_cbranch_execnz .LBB848_199
	s_branch .LBB848_200
.LBB848_182:
	s_or_b32 exec_lo, exec_lo, s1
	v_mov_b32_e32 v65, s5
	s_and_saveexec_b32 s1, s28
	s_cbranch_execnz .LBB848_73
	s_branch .LBB848_74
.LBB848_183:
	s_or_b32 exec_lo, exec_lo, s17
	s_and_saveexec_b32 s14, s13
	s_cbranch_execz .LBB848_168
.LBB848_184:
	v_sub_nc_u32_e32 v25, v44, v7
	s_delay_alu instid0(VALU_DEP_1)
	v_lshlrev_b32_e32 v25, 1, v25
	ds_store_b16 v25, v1
	s_or_b32 exec_lo, exec_lo, s14
	s_and_saveexec_b32 s13, s12
	s_cbranch_execnz .LBB848_169
.LBB848_185:
	s_or_b32 exec_lo, exec_lo, s13
	s_and_saveexec_b32 s12, s11
	s_cbranch_execz .LBB848_170
.LBB848_186:
	v_sub_nc_u32_e32 v1, v34, v7
	s_delay_alu instid0(VALU_DEP_1)
	v_lshlrev_b32_e32 v1, 1, v1
	ds_store_b16 v1, v2
	s_or_b32 exec_lo, exec_lo, s12
	s_and_saveexec_b32 s11, s10
	s_cbranch_execnz .LBB848_171
.LBB848_187:
	s_or_b32 exec_lo, exec_lo, s11
	s_and_saveexec_b32 s10, s9
	s_cbranch_execz .LBB848_172
.LBB848_188:
	v_sub_nc_u32_e32 v1, v22, v7
	s_delay_alu instid0(VALU_DEP_1)
	v_lshlrev_b32_e32 v1, 1, v1
	ds_store_b16 v1, v3
	s_or_b32 exec_lo, exec_lo, s10
	s_and_saveexec_b32 s9, s7
	s_cbranch_execnz .LBB848_173
.LBB848_189:
	s_or_b32 exec_lo, exec_lo, s9
	s_and_saveexec_b32 s7, s5
	s_cbranch_execz .LBB848_174
.LBB848_190:
	v_sub_nc_u32_e32 v1, v26, v7
	s_delay_alu instid0(VALU_DEP_1)
	v_lshlrev_b32_e32 v1, 1, v1
	ds_store_b16 v1, v4
	s_or_b32 exec_lo, exec_lo, s7
	s_and_saveexec_b32 s5, s8
	s_cbranch_execnz .LBB848_175
.LBB848_191:
	s_or_b32 exec_lo, exec_lo, s5
	s_and_saveexec_b32 s5, s6
	s_cbranch_execz .LBB848_176
.LBB848_192:
	v_sub_nc_u32_e32 v1, v9, v7
	s_delay_alu instid0(VALU_DEP_1)
	v_lshlrev_b32_e32 v1, 1, v1
	ds_store_b16 v1, v13
	s_or_b32 exec_lo, exec_lo, s5
	s_and_saveexec_b32 s5, s4
	s_cbranch_execnz .LBB848_177
.LBB848_193:
	s_or_b32 exec_lo, exec_lo, s5
	s_and_saveexec_b32 s4, s3
	s_cbranch_execz .LBB848_178
.LBB848_194:
	v_sub_nc_u32_e32 v1, v18, v7
	s_delay_alu instid0(VALU_DEP_1)
	v_lshlrev_b32_e32 v1, 1, v1
	ds_store_b16 v1, v14
	s_or_b32 exec_lo, exec_lo, s4
	s_and_saveexec_b32 s3, s2
	s_cbranch_execnz .LBB848_179
.LBB848_195:
	s_or_b32 exec_lo, exec_lo, s3
	s_and_saveexec_b32 s2, s1
	s_cbranch_execz .LBB848_197
.LBB848_196:
	v_sub_nc_u32_e32 v1, v42, v7
	s_delay_alu instid0(VALU_DEP_1)
	v_lshlrev_b32_e32 v1, 1, v1
	ds_store_b16 v1, v15
.LBB848_197:
	s_or_b32 exec_lo, exec_lo, s2
	s_delay_alu instid0(SALU_CYCLE_1)
	s_and_b32 s17, s0, exec_lo
                                        ; implicit-def: $vgpr56
                                        ; implicit-def: $vgpr1
	s_and_not1_saveexec_b32 s0, s16
	s_cbranch_execnz .LBB848_181
.LBB848_198:
	s_or_b32 exec_lo, exec_lo, s0
	s_delay_alu instid0(SALU_CYCLE_1)
	s_and_b32 exec_lo, exec_lo, s17
	s_cbranch_execz .LBB848_200
.LBB848_199:
	v_sub_nc_u32_e32 v1, v32, v7
	s_delay_alu instid0(VALU_DEP_1)
	v_lshlrev_b32_e32 v1, 1, v1
	ds_store_b16_d16_hi v1, v15
.LBB848_200:
	s_or_b32 exec_lo, exec_lo, s15
	s_delay_alu instid0(SALU_CYCLE_1)
	s_mov_b32 s1, exec_lo
	s_waitcnt lgkmcnt(0)
	s_waitcnt_vscnt null, 0x0
	s_barrier
	buffer_gl0_inv
	v_cmpx_lt_u32_e64 v0, v5
	s_cbranch_execz .LBB848_215
; %bb.201:
	v_xad_u32 v2, v0, -1, v5
	v_mov_b32_e32 v1, v0
	s_mov_b32 s0, -1
	s_mov_b32 s3, exec_lo
	s_delay_alu instid0(VALU_DEP_2)
	v_cmp_gt_u32_e64 s2, 0x1900, v2
	v_cmpx_lt_u32_e32 0x18ff, v2
	s_cbranch_execz .LBB848_212
; %bb.202:
	v_sub_nc_u32_e32 v1, v0, v5
	s_delay_alu instid0(VALU_DEP_1) | instskip(NEXT) | instid1(VALU_DEP_1)
	v_or_b32_e32 v1, 0xff, v1
	v_cmp_ge_u32_e32 vcc_lo, v1, v0
	v_mov_b32_e32 v1, v0
	s_and_saveexec_b32 s4, vcc_lo
	s_cbranch_execz .LBB848_211
; %bb.203:
	v_lshrrev_b32_e32 v4, 8, v2
	v_or_b32_e32 v1, 0x100, v0
	v_dual_mov_b32 v48, 0 :: v_dual_lshlrev_b32 v15, 1, v0
	s_delay_alu instid0(VALU_DEP_3) | instskip(NEXT) | instid1(VALU_DEP_1)
	v_add_nc_u32_e32 v2, -1, v4
	v_lshrrev_b32_e32 v3, 1, v2
	v_cmp_lt_u32_e32 vcc_lo, 13, v2
	s_delay_alu instid0(VALU_DEP_2)
	v_add_nc_u32_e32 v25, 1, v3
	v_dual_mov_b32 v3, v1 :: v_dual_mov_b32 v2, v0
	s_and_saveexec_b32 s0, vcc_lo
	s_cbranch_execz .LBB848_207
; %bb.204:
	v_dual_mov_b32 v14, 0 :: v_dual_mov_b32 v3, v1
	v_dual_mov_b32 v37, v15 :: v_dual_and_b32 v36, -8, v25
	v_mov_b32_e32 v2, v0
	s_mov_b32 s5, 0
	s_mov_b32 s6, 0
.LBB848_205:                            ; =>This Inner Loop Header: Depth=1
	s_delay_alu instid0(VALU_DEP_1) | instskip(SKIP_2) | instid1(VALU_DEP_3)
	v_dual_mov_b32 v13, v2 :: v_dual_add_nc_u32 v36, -8, v36
	v_dual_mov_b32 v68, v14 :: v_dual_add_nc_u32 v67, 0x200, v3
	v_dual_mov_b32 v70, v14 :: v_dual_add_nc_u32 v69, 0x400, v3
	v_lshlrev_b64 v[81:82], 1, v[13:14]
	s_delay_alu instid0(VALU_DEP_4) | instskip(NEXT) | instid1(VALU_DEP_4)
	v_cmp_eq_u32_e32 vcc_lo, 0, v36
	v_lshlrev_b64 v[67:68], 1, v[67:68]
	v_dual_mov_b32 v72, v14 :: v_dual_add_nc_u32 v71, 0x600, v3
	s_add_i32 s6, s6, 16
	v_lshlrev_b64 v[69:70], 1, v[69:70]
	s_or_b32 s5, vcc_lo, s5
	v_add_co_u32 v81, vcc_lo, v6, v81
	v_dual_mov_b32 v74, v14 :: v_dual_add_nc_u32 v73, 0x800, v3
	v_add_co_ci_u32_e32 v82, vcc_lo, v24, v82, vcc_lo
	v_lshlrev_b64 v[71:72], 1, v[71:72]
	v_add_co_u32 v67, vcc_lo, v6, v67
	v_dual_mov_b32 v76, v14 :: v_dual_add_nc_u32 v75, 0xa00, v3
	v_add_co_ci_u32_e32 v68, vcc_lo, v24, v68, vcc_lo
	v_lshlrev_b64 v[73:74], 1, v[73:74]
	;; [unrolled: 4-line block ×3, first 2 shown]
	v_add_co_u32 v71, vcc_lo, v6, v71
	v_dual_mov_b32 v80, v14 :: v_dual_add_nc_u32 v79, 0xe00, v3
	v_mov_b32_e32 v13, v3
	v_add_co_ci_u32_e32 v72, vcc_lo, v24, v72, vcc_lo
	v_lshlrev_b64 v[77:78], 1, v[77:78]
	v_add_co_u32 v73, vcc_lo, v6, v73
	ds_load_u16 v1, v37
	ds_load_u16 v49, v37 offset:512
	ds_load_u16 v56, v37 offset:1024
	;; [unrolled: 1-line block ×7, first 2 shown]
	v_add_co_ci_u32_e32 v74, vcc_lo, v24, v74, vcc_lo
	v_lshlrev_b64 v[79:80], 1, v[79:80]
	v_add_co_u32 v75, vcc_lo, v6, v75
	v_lshlrev_b64 v[83:84], 1, v[13:14]
	v_add_nc_u32_e32 v13, 0x200, v2
	v_add_co_ci_u32_e32 v76, vcc_lo, v24, v76, vcc_lo
	v_add_co_u32 v77, vcc_lo, v6, v77
	v_add_co_ci_u32_e32 v78, vcc_lo, v24, v78, vcc_lo
	v_add_co_u32 v79, vcc_lo, v6, v79
	v_lshlrev_b64 v[85:86], 1, v[13:14]
	v_add_nc_u32_e32 v13, 0x400, v2
	v_add_co_ci_u32_e32 v80, vcc_lo, v24, v80, vcc_lo
	v_add_co_u32 v83, vcc_lo, v6, v83
	ds_load_u16 v92, v37 offset:4096
	ds_load_u16 v93, v37 offset:4608
	;; [unrolled: 1-line block ×8, first 2 shown]
	v_add_co_ci_u32_e32 v84, vcc_lo, v24, v84, vcc_lo
	s_waitcnt lgkmcnt(15)
	global_store_b16 v[81:82], v1, off
	v_lshlrev_b64 v[81:82], 1, v[13:14]
	v_add_nc_u32_e32 v13, 0x600, v2
	v_add_co_u32 v85, vcc_lo, v6, v85
	v_add_co_ci_u32_e32 v86, vcc_lo, v24, v86, vcc_lo
	s_waitcnt lgkmcnt(14)
	global_store_b16 v[83:84], v49, off
	v_lshlrev_b64 v[83:84], 1, v[13:14]
	v_add_nc_u32_e32 v13, 0x800, v2
	s_waitcnt lgkmcnt(13)
	global_store_b16 v[85:86], v56, off
	s_waitcnt lgkmcnt(12)
	global_store_b16 v[67:68], v87, off
	v_add_co_u32 v67, vcc_lo, v6, v81
	v_add_co_ci_u32_e32 v68, vcc_lo, v24, v82, vcc_lo
	v_lshlrev_b64 v[81:82], 1, v[13:14]
	v_add_nc_u32_e32 v13, 0xa00, v2
	v_add_co_u32 v83, vcc_lo, v6, v83
	v_add_co_ci_u32_e32 v84, vcc_lo, v24, v84, vcc_lo
	s_waitcnt lgkmcnt(11)
	global_store_b16 v[67:68], v88, off
	s_waitcnt lgkmcnt(10)
	global_store_b16 v[69:70], v89, off
	v_lshlrev_b64 v[67:68], 1, v[13:14]
	v_add_nc_u32_e32 v13, 0xc00, v2
	v_add_co_u32 v69, vcc_lo, v6, v81
	s_waitcnt lgkmcnt(9)
	global_store_b16 v[83:84], v90, off
	s_waitcnt lgkmcnt(8)
	global_store_b16 v[71:72], v91, off
	v_add_co_ci_u32_e32 v70, vcc_lo, v24, v82, vcc_lo
	v_lshlrev_b64 v[71:72], 1, v[13:14]
	v_add_nc_u32_e32 v13, 0xe00, v2
	v_add_nc_u32_e32 v2, 0x1000, v2
	v_add_co_u32 v67, vcc_lo, v6, v67
	v_add_co_ci_u32_e32 v68, vcc_lo, v24, v68, vcc_lo
	s_waitcnt lgkmcnt(7)
	global_store_b16 v[69:70], v92, off
	s_waitcnt lgkmcnt(6)
	global_store_b16 v[73:74], v93, off
	v_lshlrev_b64 v[69:70], 1, v[13:14]
	v_dual_mov_b32 v48, s6 :: v_dual_add_nc_u32 v37, 0x2000, v37
	s_waitcnt lgkmcnt(5)
	global_store_b16 v[67:68], v94, off
	v_add_co_u32 v67, vcc_lo, v6, v71
	v_add_nc_u32_e32 v3, 0x1000, v3
	v_add_co_ci_u32_e32 v68, vcc_lo, v24, v72, vcc_lo
	v_add_co_u32 v69, vcc_lo, v6, v69
	v_add_co_ci_u32_e32 v70, vcc_lo, v24, v70, vcc_lo
	s_waitcnt lgkmcnt(4)
	global_store_b16 v[75:76], v95, off
	s_waitcnt lgkmcnt(3)
	global_store_b16 v[67:68], v96, off
	;; [unrolled: 2-line block ×5, first 2 shown]
	s_and_not1_b32 exec_lo, exec_lo, s5
	s_cbranch_execnz .LBB848_205
; %bb.206:
	s_or_b32 exec_lo, exec_lo, s5
.LBB848_207:
	s_delay_alu instid0(SALU_CYCLE_1) | instskip(SKIP_3) | instid1(VALU_DEP_1)
	s_or_b32 exec_lo, exec_lo, s0
	v_and_b32_e32 v1, 7, v25
	s_mov_b32 s6, 0
	s_mov_b32 s5, exec_lo
	v_cmpx_ne_u32_e32 0, v1
	s_cbranch_execz .LBB848_210
; %bb.208:
	v_lshl_or_b32 v15, v48, 9, v15
	v_mov_b32_e32 v14, 0
	s_set_inst_prefetch_distance 0x1
	.p2align	6
.LBB848_209:                            ; =>This Inner Loop Header: Depth=1
	v_dual_mov_b32 v13, v2 :: v_dual_add_nc_u32 v2, 0x200, v2
	ds_load_u16 v25, v15
	ds_load_u16 v56, v15 offset:512
	v_add_nc_u32_e32 v1, -1, v1
	v_add_nc_u32_e32 v15, 0x400, v15
	v_lshlrev_b64 v[36:37], 1, v[13:14]
	v_mov_b32_e32 v13, v3
	v_add_nc_u32_e32 v3, 0x200, v3
	v_cmp_eq_u32_e32 vcc_lo, 0, v1
	s_delay_alu instid0(VALU_DEP_3) | instskip(SKIP_1) | instid1(VALU_DEP_1)
	v_lshlrev_b64 v[48:49], 1, v[13:14]
	v_add_co_u32 v36, s0, v6, v36
	v_add_co_ci_u32_e64 v37, s0, v24, v37, s0
	s_or_b32 s6, vcc_lo, s6
	s_delay_alu instid0(VALU_DEP_3) | instskip(NEXT) | instid1(VALU_DEP_1)
	v_add_co_u32 v48, s0, v6, v48
	v_add_co_ci_u32_e64 v49, s0, v24, v49, s0
	s_waitcnt lgkmcnt(1)
	global_store_b16 v[36:37], v25, off
	s_waitcnt lgkmcnt(0)
	global_store_b16 v[48:49], v56, off
	s_and_not1_b32 exec_lo, exec_lo, s6
	s_cbranch_execnz .LBB848_209
.LBB848_210:
	s_set_inst_prefetch_distance 0x2
	s_or_b32 exec_lo, exec_lo, s5
	v_add_nc_u32_e32 v1, 1, v4
	s_delay_alu instid0(VALU_DEP_1) | instskip(NEXT) | instid1(VALU_DEP_1)
	v_and_b32_e32 v2, 0x1fffffe, v1
	v_cmp_ne_u32_e32 vcc_lo, v1, v2
	v_lshl_or_b32 v1, v2, 8, v0
	s_or_not1_b32 s0, vcc_lo, exec_lo
.LBB848_211:
	s_or_b32 exec_lo, exec_lo, s4
	s_delay_alu instid0(SALU_CYCLE_1) | instskip(SKIP_1) | instid1(SALU_CYCLE_1)
	s_and_not1_b32 s2, s2, exec_lo
	s_and_b32 s0, s0, exec_lo
	s_or_b32 s2, s2, s0
.LBB848_212:
	s_or_b32 exec_lo, exec_lo, s3
	s_delay_alu instid0(VALU_DEP_2) | instid1(SALU_CYCLE_1)
	s_and_b32 exec_lo, exec_lo, s2
	s_cbranch_execz .LBB848_215
; %bb.213:
	v_dual_mov_b32 v2, 0 :: v_dual_lshlrev_b32 v3, 1, v1
	s_mov_b32 s2, 0
	.p2align	6
.LBB848_214:                            ; =>This Inner Loop Header: Depth=1
	ds_load_u16 v4, v3
	v_lshlrev_b64 v[13:14], 1, v[1:2]
	v_add_nc_u32_e32 v1, 0x100, v1
	v_add_nc_u32_e32 v3, 0x200, v3
	s_delay_alu instid0(VALU_DEP_2) | instskip(NEXT) | instid1(VALU_DEP_4)
	v_cmp_ge_u32_e32 vcc_lo, v1, v5
	v_add_co_u32 v13, s0, v6, v13
	s_delay_alu instid0(VALU_DEP_1)
	v_add_co_ci_u32_e64 v14, s0, v24, v14, s0
	s_or_b32 s2, vcc_lo, s2
	s_waitcnt lgkmcnt(0)
	global_store_b16 v[13:14], v4, off
	s_and_not1_b32 exec_lo, exec_lo, s2
	s_cbranch_execnz .LBB848_214
.LBB848_215:
	s_or_b32 exec_lo, exec_lo, s1
.LBB848_216:
	s_cmpk_lg_i32 s19, 0xf00
	v_cmp_eq_u32_e32 vcc_lo, 0, v0
	s_cselect_b32 s0, -1, 0
	v_cndmask_b32_e64 v15, 0, 1, s20
	s_and_b32 s0, s18, s0
	v_mad_i32_i24 v4, v0, -15, s19
	v_cndmask_b32_e64 v2, 0, 1, s0
	s_mul_hi_u32 s0, s19, 0x88888889
	s_and_b32 s1, vcc_lo, s20
	s_lshr_b32 s0, s0, 3
	v_sub_nc_u32_e32 v1, v5, v15
	v_cndmask_b32_e64 v6, v65, 0, s1
	v_cmp_eq_u32_e32 vcc_lo, s0, v0
	v_cmp_ne_u32_e64 s0, 0, v4
	s_mov_b32 s16, -1
	s_waitcnt_vscnt null, 0x0
	s_barrier
	s_and_b32 vcc_lo, s18, vcc_lo
	v_add_nc_u32_e32 v3, v1, v2
	v_cndmask_b32_e64 v1, 1, v6, s0
	v_cmp_ne_u32_e64 s0, 1, v4
	buffer_gl0_inv
	v_cndmask_b32_e32 v37, v6, v1, vcc_lo
	v_cndmask_b32_e64 v2, 1, v64, s0
	v_cmp_ne_u32_e64 s0, 2, v4
	s_delay_alu instid0(VALU_DEP_3) | instskip(NEXT) | instid1(VALU_DEP_2)
	v_cmp_ne_u32_e64 s14, 0, v37
	v_cndmask_b32_e64 v13, 1, v63, s0
	v_cmp_ne_u32_e64 s0, 14, v4
	s_delay_alu instid0(VALU_DEP_2) | instskip(NEXT) | instid1(VALU_DEP_2)
	v_dual_cndmask_b32 v48, v64, v2 :: v_dual_cndmask_b32 v49, v63, v13
	v_cndmask_b32_e64 v14, 1, v55, s0
	v_cmp_ne_u32_e64 s0, 3, v4
	s_delay_alu instid0(VALU_DEP_3) | instskip(NEXT) | instid1(VALU_DEP_4)
	v_cmp_ne_u32_e64 s13, 0, v48
	v_cmp_ne_u32_e64 s12, 0, v49
	s_delay_alu instid0(VALU_DEP_4) | instskip(NEXT) | instid1(VALU_DEP_4)
	v_cndmask_b32_e32 v36, v55, v14, vcc_lo
	v_cndmask_b32_e64 v24, 1, v62, s0
	v_cmp_ne_u32_e64 s0, 4, v4
	s_delay_alu instid0(VALU_DEP_2) | instskip(NEXT) | instid1(VALU_DEP_2)
	v_cndmask_b32_e32 v24, v62, v24, vcc_lo
	v_cndmask_b32_e64 v25, 1, v61, s0
	v_cmp_ne_u32_e64 s0, 5, v4
	s_delay_alu instid0(VALU_DEP_3) | instskip(NEXT) | instid1(VALU_DEP_3)
	v_cmp_ne_u32_e64 s11, 0, v24
	v_cndmask_b32_e32 v25, v61, v25, vcc_lo
	s_delay_alu instid0(VALU_DEP_3) | instskip(SKIP_1) | instid1(VALU_DEP_3)
	v_cndmask_b32_e64 v1, 1, v60, s0
	v_cmp_ne_u32_e64 s0, 6, v4
	v_cmp_ne_u32_e64 s10, 0, v25
	s_delay_alu instid0(VALU_DEP_2) | instskip(SKIP_1) | instid1(VALU_DEP_1)
	v_cndmask_b32_e64 v2, 1, v59, s0
	v_cmp_eq_u32_e64 s0, 0, v37
	v_cndmask_b32_e64 v6, 1, 2, s0
	v_cmp_eq_u32_e64 s0, 0, v48
	s_delay_alu instid0(VALU_DEP_1) | instskip(SKIP_1) | instid1(VALU_DEP_2)
	v_cndmask_b32_e64 v14, 1, 2, s0
	v_cmp_ne_u32_e64 s0, 7, v4
	v_and_b32_e32 v6, v14, v6
	s_delay_alu instid0(VALU_DEP_2) | instskip(SKIP_1) | instid1(VALU_DEP_2)
	v_cndmask_b32_e64 v13, 1, v58, s0
	v_cmp_eq_u32_e64 s0, 0, v49
	v_cndmask_b32_e32 v58, v58, v13, vcc_lo
	s_delay_alu instid0(VALU_DEP_2) | instskip(SKIP_1) | instid1(VALU_DEP_3)
	v_cndmask_b32_e64 v14, 1, 2, s0
	v_cmp_ne_u32_e64 s0, 8, v4
	v_cmp_ne_u32_e64 s7, 0, v58
	s_delay_alu instid0(VALU_DEP_3) | instskip(NEXT) | instid1(VALU_DEP_3)
	v_and_b32_e32 v6, v6, v14
	v_cndmask_b32_e64 v55, 1, v57, s0
	v_cmp_ne_u32_e64 s0, 9, v4
	s_delay_alu instid0(VALU_DEP_2) | instskip(NEXT) | instid1(VALU_DEP_2)
	v_cndmask_b32_e32 v55, v57, v55, vcc_lo
	v_cndmask_b32_e64 v56, 1, v54, s0
	v_cmp_eq_u32_e64 s0, 0, v24
	s_delay_alu instid0(VALU_DEP_3) | instskip(NEXT) | instid1(VALU_DEP_3)
	v_cmp_ne_u32_e64 s6, 0, v55
	v_cndmask_b32_e32 v54, v54, v56, vcc_lo
	s_delay_alu instid0(VALU_DEP_3) | instskip(SKIP_1) | instid1(VALU_DEP_3)
	v_cndmask_b32_e64 v14, 1, 2, s0
	v_cmp_ne_u32_e64 s0, 10, v4
	v_cmp_ne_u32_e64 s5, 0, v54
	s_delay_alu instid0(VALU_DEP_2) | instskip(SKIP_1) | instid1(VALU_DEP_2)
	v_cndmask_b32_e64 v61, 1, v53, s0
	v_cmp_eq_u32_e64 s0, 0, v25
	v_cndmask_b32_e32 v53, v53, v61, vcc_lo
	v_dual_cndmask_b32 v60, v60, v1 :: v_dual_and_b32 v1, v6, v14
	s_delay_alu instid0(VALU_DEP_3) | instskip(SKIP_1) | instid1(VALU_DEP_4)
	v_cndmask_b32_e64 v6, 1, 2, s0
	v_cmp_ne_u32_e64 s0, 11, v4
	v_cmp_ne_u32_e64 s4, 0, v53
	s_delay_alu instid0(VALU_DEP_4) | instskip(NEXT) | instid1(VALU_DEP_4)
	v_cmp_ne_u32_e64 s9, 0, v60
	v_and_b32_e32 v1, v1, v6
	s_delay_alu instid0(VALU_DEP_4) | instskip(SKIP_1) | instid1(VALU_DEP_2)
	v_cndmask_b32_e64 v14, 1, v52, s0
	v_cmp_ne_u32_e64 s0, 13, v4
	v_cndmask_b32_e32 v52, v52, v14, vcc_lo
	s_delay_alu instid0(VALU_DEP_2) | instskip(SKIP_2) | instid1(VALU_DEP_3)
	v_cndmask_b32_e64 v62, 1, v50, s0
	v_cmp_eq_u32_e64 s0, 0, v60
	v_lshlrev_b64 v[13:14], 2, v[7:8]
	v_cndmask_b32_e32 v50, v50, v62, vcc_lo
	s_delay_alu instid0(VALU_DEP_3) | instskip(SKIP_1) | instid1(VALU_DEP_3)
	v_cndmask_b32_e64 v6, 1, 2, s0
	v_cmp_ne_u32_e64 s0, 12, v4
	v_cmp_ne_u32_e64 s1, 0, v50
	s_delay_alu instid0(VALU_DEP_3) | instskip(SKIP_1) | instid1(VALU_DEP_4)
	v_and_b32_e32 v1, v1, v6
	v_cndmask_b32_e32 v59, v59, v2, vcc_lo
	v_cndmask_b32_e64 v2, 1, v51, s0
	s_delay_alu instid0(VALU_DEP_2) | instskip(NEXT) | instid1(VALU_DEP_2)
	v_cmp_eq_u32_e64 s0, 0, v59
	v_cndmask_b32_e32 v51, v51, v2, vcc_lo
	v_cmp_eq_u32_e32 vcc_lo, 0, v55
	s_delay_alu instid0(VALU_DEP_3) | instskip(SKIP_1) | instid1(VALU_DEP_2)
	v_cndmask_b32_e64 v4, 1, 2, s0
	v_cmp_eq_u32_e64 s0, 0, v58
	v_and_b32_e32 v4, v1, v4
	v_lshlrev_b64 v[1:2], 2, v[16:17]
	s_delay_alu instid0(VALU_DEP_3) | instskip(SKIP_2) | instid1(VALU_DEP_3)
	v_cndmask_b32_e64 v6, 1, 2, s0
	v_cmp_ne_u32_e64 s8, 0, v59
	v_cmp_ne_u32_e64 s0, 0, v36
	v_and_b32_e32 v4, v4, v6
	v_cndmask_b32_e64 v6, 1, 2, vcc_lo
	v_add_co_u32 v1, vcc_lo, s36, v1
	v_add_co_ci_u32_e32 v2, vcc_lo, s37, v2, vcc_lo
	v_cmp_eq_u32_e32 vcc_lo, 0, v54
	s_delay_alu instid0(VALU_DEP_4) | instskip(SKIP_3) | instid1(VALU_DEP_3)
	v_and_b32_e32 v6, v4, v6
	v_cndmask_b32_e64 v56, 1, 2, vcc_lo
	v_add_co_u32 v4, vcc_lo, v1, v13
	v_add_co_ci_u32_e32 v8, vcc_lo, v2, v14, vcc_lo
	v_and_b32_e32 v2, v6, v56
	v_lshlrev_b32_e32 v1, 2, v15
	v_cmp_eq_u32_e32 vcc_lo, 0, v53
	v_cmp_ne_u32_e64 s3, 0, v52
	v_cmp_ne_u32_e64 s2, 0, v51
	v_cndmask_b32_e64 v6, 1, 2, vcc_lo
	v_add_co_u32 v1, vcc_lo, v1, v4
	v_add_co_ci_u32_e32 v13, vcc_lo, 0, v8, vcc_lo
	v_cmp_eq_u32_e32 vcc_lo, 0, v52
	s_delay_alu instid0(VALU_DEP_4) | instskip(SKIP_4) | instid1(VALU_DEP_4)
	v_and_b32_e32 v2, v2, v6
	v_cndmask_b32_e64 v14, 1, 2, vcc_lo
	v_add_co_u32 v6, vcc_lo, v1, -4
	v_add_co_ci_u32_e32 v13, vcc_lo, -1, v13, vcc_lo
	v_cmp_eq_u32_e32 vcc_lo, 0, v51
	v_and_b32_e32 v2, v2, v14
	v_add_nc_u32_e32 v1, v7, v15
	v_cndmask_b32_e64 v14, 1, 2, vcc_lo
	v_cmp_eq_u32_e32 vcc_lo, 0, v50
	s_delay_alu instid0(VALU_DEP_2) | instskip(SKIP_2) | instid1(VALU_DEP_2)
	v_and_b32_e32 v2, v2, v14
	v_cndmask_b32_e64 v14, 1, 2, vcc_lo
	v_cmp_eq_u32_e32 vcc_lo, 0, v36
	v_and_b32_e32 v2, v2, v14
	v_cndmask_b32_e64 v14, 1, 2, vcc_lo
	v_cmp_gt_u32_e32 vcc_lo, 0x100, v3
	s_delay_alu instid0(VALU_DEP_2) | instskip(NEXT) | instid1(VALU_DEP_1)
	v_and_b32_e32 v2, v2, v14
	v_cmp_gt_i16_e64 s15, 2, v2
	s_cbranch_vccz .LBB848_233
; %bb.217:
	s_delay_alu instid0(VALU_DEP_1)
	s_and_saveexec_b32 s16, s15
	s_cbranch_execz .LBB848_271
; %bb.218:
	s_mov_b32 s17, 0
	s_mov_b32 s15, exec_lo
	v_cmpx_ne_u16_e32 1, v2
	s_xor_b32 s15, exec_lo, s15
	s_cbranch_execz .LBB848_250
; %bb.219:
	s_and_saveexec_b32 s17, s14
	s_cbranch_execz .LBB848_254
; %bb.220:
	v_sub_nc_u32_e32 v14, v38, v1
	v_mov_b32_e32 v15, 0
	s_delay_alu instid0(VALU_DEP_1) | instskip(NEXT) | instid1(VALU_DEP_1)
	v_lshlrev_b64 v[14:15], 2, v[14:15]
	v_add_co_u32 v14, vcc_lo, v6, v14
	s_delay_alu instid0(VALU_DEP_2)
	v_add_co_ci_u32_e32 v15, vcc_lo, v13, v15, vcc_lo
	global_store_b32 v[14:15], v39, off
	s_or_b32 exec_lo, exec_lo, s17
	s_and_saveexec_b32 s17, s13
	s_cbranch_execnz .LBB848_255
.LBB848_221:
	s_or_b32 exec_lo, exec_lo, s17
	s_and_saveexec_b32 s17, s12
	s_cbranch_execz .LBB848_256
.LBB848_222:
	v_sub_nc_u32_e32 v14, v40, v1
	v_mov_b32_e32 v15, 0
	s_delay_alu instid0(VALU_DEP_1) | instskip(NEXT) | instid1(VALU_DEP_1)
	v_lshlrev_b64 v[14:15], 2, v[14:15]
	v_add_co_u32 v14, vcc_lo, v6, v14
	s_delay_alu instid0(VALU_DEP_2)
	v_add_co_ci_u32_e32 v15, vcc_lo, v13, v15, vcc_lo
	global_store_b32 v[14:15], v41, off
	s_or_b32 exec_lo, exec_lo, s17
	s_and_saveexec_b32 s17, s11
	s_cbranch_execnz .LBB848_257
.LBB848_223:
	s_or_b32 exec_lo, exec_lo, s17
	s_and_saveexec_b32 s17, s10
	s_cbranch_execz .LBB848_258
.LBB848_224:
	v_sub_nc_u32_e32 v14, v28, v1
	v_mov_b32_e32 v15, 0
	s_delay_alu instid0(VALU_DEP_1) | instskip(NEXT) | instid1(VALU_DEP_1)
	v_lshlrev_b64 v[14:15], 2, v[14:15]
	v_add_co_u32 v14, vcc_lo, v6, v14
	s_delay_alu instid0(VALU_DEP_2)
	v_add_co_ci_u32_e32 v15, vcc_lo, v13, v15, vcc_lo
	global_store_b32 v[14:15], v29, off
	s_or_b32 exec_lo, exec_lo, s17
	s_and_saveexec_b32 s17, s9
	s_cbranch_execnz .LBB848_259
.LBB848_225:
	s_or_b32 exec_lo, exec_lo, s17
	s_and_saveexec_b32 s17, s8
	s_cbranch_execz .LBB848_260
.LBB848_226:
	v_sub_nc_u32_e32 v14, v20, v1
	v_mov_b32_e32 v15, 0
	s_delay_alu instid0(VALU_DEP_1) | instskip(NEXT) | instid1(VALU_DEP_1)
	v_lshlrev_b64 v[14:15], 2, v[14:15]
	v_add_co_u32 v14, vcc_lo, v6, v14
	s_delay_alu instid0(VALU_DEP_2)
	v_add_co_ci_u32_e32 v15, vcc_lo, v13, v15, vcc_lo
	global_store_b32 v[14:15], v21, off
	s_or_b32 exec_lo, exec_lo, s17
	s_and_saveexec_b32 s17, s7
	s_cbranch_execnz .LBB848_261
.LBB848_227:
	s_or_b32 exec_lo, exec_lo, s17
	s_and_saveexec_b32 s17, s6
	s_cbranch_execz .LBB848_262
.LBB848_228:
	v_sub_nc_u32_e32 v14, v30, v1
	v_mov_b32_e32 v15, 0
	s_delay_alu instid0(VALU_DEP_1) | instskip(NEXT) | instid1(VALU_DEP_1)
	v_lshlrev_b64 v[14:15], 2, v[14:15]
	v_add_co_u32 v14, vcc_lo, v6, v14
	s_delay_alu instid0(VALU_DEP_2)
	v_add_co_ci_u32_e32 v15, vcc_lo, v13, v15, vcc_lo
	global_store_b32 v[14:15], v31, off
	s_or_b32 exec_lo, exec_lo, s17
	s_and_saveexec_b32 s17, s5
	s_cbranch_execnz .LBB848_263
.LBB848_229:
	s_or_b32 exec_lo, exec_lo, s17
	s_and_saveexec_b32 s17, s4
	s_cbranch_execz .LBB848_264
.LBB848_230:
	v_sub_nc_u32_e32 v14, v11, v1
	v_mov_b32_e32 v15, 0
	s_delay_alu instid0(VALU_DEP_1) | instskip(NEXT) | instid1(VALU_DEP_1)
	v_lshlrev_b64 v[14:15], 2, v[14:15]
	v_add_co_u32 v14, vcc_lo, v6, v14
	s_delay_alu instid0(VALU_DEP_2)
	v_add_co_ci_u32_e32 v15, vcc_lo, v13, v15, vcc_lo
	global_store_b32 v[14:15], v12, off
	s_or_b32 exec_lo, exec_lo, s17
	s_and_saveexec_b32 s17, s3
	s_cbranch_execnz .LBB848_265
.LBB848_231:
	s_or_b32 exec_lo, exec_lo, s17
	s_and_saveexec_b32 s17, s2
	s_cbranch_execz .LBB848_266
.LBB848_232:
	v_sub_nc_u32_e32 v14, v46, v1
	v_mov_b32_e32 v15, 0
	s_delay_alu instid0(VALU_DEP_1) | instskip(NEXT) | instid1(VALU_DEP_1)
	v_lshlrev_b64 v[14:15], 2, v[14:15]
	v_add_co_u32 v14, vcc_lo, v6, v14
	s_delay_alu instid0(VALU_DEP_2)
	v_add_co_ci_u32_e32 v15, vcc_lo, v13, v15, vcc_lo
	global_store_b32 v[14:15], v47, off
	s_or_b32 exec_lo, exec_lo, s17
	s_and_saveexec_b32 s17, s1
	s_cbranch_execnz .LBB848_267
	s_branch .LBB848_268
.LBB848_233:
	s_and_b32 vcc_lo, exec_lo, s16
	s_cbranch_vccz .LBB848_272
; %bb.234:
	s_mov_b32 s15, exec_lo
	v_cmpx_gt_i16_e32 2, v2
	s_cbranch_execz .LBB848_290
; %bb.235:
	s_mov_b32 s17, 0
	s_mov_b32 s16, exec_lo
	v_cmpx_ne_u16_e32 1, v2
	s_xor_b32 s16, exec_lo, s16
	s_cbranch_execz .LBB848_252
; %bb.236:
	s_and_saveexec_b32 s17, s14
	s_cbranch_execz .LBB848_273
; %bb.237:
	v_sub_nc_u32_e32 v2, v38, v1
	s_delay_alu instid0(VALU_DEP_1)
	v_lshlrev_b32_e32 v2, 2, v2
	ds_store_b32 v2, v39
	s_or_b32 exec_lo, exec_lo, s17
	s_and_saveexec_b32 s14, s13
	s_cbranch_execnz .LBB848_274
.LBB848_238:
	s_or_b32 exec_lo, exec_lo, s14
	s_and_saveexec_b32 s13, s12
	s_cbranch_execz .LBB848_275
.LBB848_239:
	v_sub_nc_u32_e32 v2, v40, v1
	s_delay_alu instid0(VALU_DEP_1)
	v_lshlrev_b32_e32 v2, 2, v2
	ds_store_b32 v2, v41
	s_or_b32 exec_lo, exec_lo, s13
	s_and_saveexec_b32 s12, s11
	s_cbranch_execnz .LBB848_276
.LBB848_240:
	s_or_b32 exec_lo, exec_lo, s12
	s_and_saveexec_b32 s11, s10
	s_cbranch_execz .LBB848_277
.LBB848_241:
	v_sub_nc_u32_e32 v2, v28, v1
	s_delay_alu instid0(VALU_DEP_1)
	v_lshlrev_b32_e32 v2, 2, v2
	ds_store_b32 v2, v29
	s_or_b32 exec_lo, exec_lo, s11
	s_and_saveexec_b32 s10, s9
	s_cbranch_execnz .LBB848_278
.LBB848_242:
	s_or_b32 exec_lo, exec_lo, s10
	s_and_saveexec_b32 s9, s8
	s_cbranch_execz .LBB848_279
.LBB848_243:
	v_sub_nc_u32_e32 v2, v20, v1
	s_delay_alu instid0(VALU_DEP_1)
	v_lshlrev_b32_e32 v2, 2, v2
	ds_store_b32 v2, v21
	s_or_b32 exec_lo, exec_lo, s9
	s_and_saveexec_b32 s8, s7
	s_cbranch_execnz .LBB848_280
.LBB848_244:
	s_or_b32 exec_lo, exec_lo, s8
	s_and_saveexec_b32 s7, s6
	s_cbranch_execz .LBB848_281
.LBB848_245:
	v_sub_nc_u32_e32 v2, v30, v1
	s_delay_alu instid0(VALU_DEP_1)
	v_lshlrev_b32_e32 v2, 2, v2
	ds_store_b32 v2, v31
	s_or_b32 exec_lo, exec_lo, s7
	s_and_saveexec_b32 s6, s5
	s_cbranch_execnz .LBB848_282
.LBB848_246:
	s_or_b32 exec_lo, exec_lo, s6
	s_and_saveexec_b32 s5, s4
	s_cbranch_execz .LBB848_283
.LBB848_247:
	v_sub_nc_u32_e32 v2, v11, v1
	s_delay_alu instid0(VALU_DEP_1)
	v_lshlrev_b32_e32 v2, 2, v2
	ds_store_b32 v2, v12
	s_or_b32 exec_lo, exec_lo, s5
	s_and_saveexec_b32 s4, s3
	s_cbranch_execnz .LBB848_284
.LBB848_248:
	s_or_b32 exec_lo, exec_lo, s4
	s_and_saveexec_b32 s3, s2
	s_cbranch_execz .LBB848_285
.LBB848_249:
	v_sub_nc_u32_e32 v2, v46, v1
	s_delay_alu instid0(VALU_DEP_1)
	v_lshlrev_b32_e32 v2, 2, v2
	ds_store_b32 v2, v47
	s_or_b32 exec_lo, exec_lo, s3
	s_and_saveexec_b32 s2, s1
	s_cbranch_execnz .LBB848_286
	s_branch .LBB848_287
.LBB848_250:
	s_and_not1_saveexec_b32 s15, s15
	s_cbranch_execz .LBB848_269
.LBB848_251:
	v_sub_nc_u32_e32 v14, v38, v1
	v_mov_b32_e32 v15, 0
	s_or_b32 s17, s17, exec_lo
	s_delay_alu instid0(VALU_DEP_1) | instskip(SKIP_1) | instid1(VALU_DEP_1)
	v_lshlrev_b64 v[24:25], 2, v[14:15]
	v_sub_nc_u32_e32 v14, v44, v1
	v_lshlrev_b64 v[36:37], 2, v[14:15]
	v_sub_nc_u32_e32 v14, v40, v1
	s_delay_alu instid0(VALU_DEP_4) | instskip(SKIP_1) | instid1(VALU_DEP_3)
	v_add_co_u32 v24, vcc_lo, v6, v24
	v_add_co_ci_u32_e32 v25, vcc_lo, v13, v25, vcc_lo
	v_lshlrev_b64 v[48:49], 2, v[14:15]
	v_sub_nc_u32_e32 v14, v34, v1
	v_add_co_u32 v36, vcc_lo, v6, v36
	v_add_co_ci_u32_e32 v37, vcc_lo, v13, v37, vcc_lo
	global_store_b32 v[24:25], v39, off
	v_lshlrev_b64 v[24:25], 2, v[14:15]
	v_sub_nc_u32_e32 v14, v28, v1
	global_store_b32 v[36:37], v45, off
	v_add_co_u32 v36, vcc_lo, v6, v48
	v_add_co_ci_u32_e32 v37, vcc_lo, v13, v49, vcc_lo
	v_lshlrev_b64 v[48:49], 2, v[14:15]
	v_sub_nc_u32_e32 v14, v22, v1
	v_add_co_u32 v24, vcc_lo, v6, v24
	v_add_co_ci_u32_e32 v25, vcc_lo, v13, v25, vcc_lo
	s_delay_alu instid0(VALU_DEP_3) | instskip(SKIP_3) | instid1(VALU_DEP_3)
	v_lshlrev_b64 v[50:51], 2, v[14:15]
	v_sub_nc_u32_e32 v14, v20, v1
	v_add_co_u32 v48, vcc_lo, v6, v48
	v_add_co_ci_u32_e32 v49, vcc_lo, v13, v49, vcc_lo
	v_lshlrev_b64 v[52:53], 2, v[14:15]
	v_sub_nc_u32_e32 v14, v26, v1
	v_add_co_u32 v50, vcc_lo, v6, v50
	v_add_co_ci_u32_e32 v51, vcc_lo, v13, v51, vcc_lo
	s_clause 0x3
	global_store_b32 v[36:37], v41, off
	global_store_b32 v[24:25], v35, off
	;; [unrolled: 1-line block ×4, first 2 shown]
	v_lshlrev_b64 v[24:25], 2, v[14:15]
	v_sub_nc_u32_e32 v14, v30, v1
	v_add_co_u32 v36, vcc_lo, v6, v52
	v_add_co_ci_u32_e32 v37, vcc_lo, v13, v53, vcc_lo
	s_delay_alu instid0(VALU_DEP_3) | instskip(SKIP_3) | instid1(VALU_DEP_3)
	v_lshlrev_b64 v[48:49], 2, v[14:15]
	v_sub_nc_u32_e32 v14, v9, v1
	v_add_co_u32 v24, vcc_lo, v6, v24
	v_add_co_ci_u32_e32 v25, vcc_lo, v13, v25, vcc_lo
	v_lshlrev_b64 v[50:51], 2, v[14:15]
	v_sub_nc_u32_e32 v14, v11, v1
	v_add_co_u32 v48, vcc_lo, v6, v48
	v_add_co_ci_u32_e32 v49, vcc_lo, v13, v49, vcc_lo
	s_delay_alu instid0(VALU_DEP_3)
	v_lshlrev_b64 v[52:53], 2, v[14:15]
	v_sub_nc_u32_e32 v14, v18, v1
	v_add_co_u32 v50, vcc_lo, v6, v50
	v_add_co_ci_u32_e32 v51, vcc_lo, v13, v51, vcc_lo
	s_clause 0x3
	global_store_b32 v[36:37], v21, off
	global_store_b32 v[24:25], v27, off
	;; [unrolled: 1-line block ×4, first 2 shown]
	v_lshlrev_b64 v[24:25], 2, v[14:15]
	v_sub_nc_u32_e32 v14, v46, v1
	v_add_co_u32 v36, vcc_lo, v6, v52
	v_add_co_ci_u32_e32 v37, vcc_lo, v13, v53, vcc_lo
	s_delay_alu instid0(VALU_DEP_3) | instskip(SKIP_3) | instid1(VALU_DEP_3)
	v_lshlrev_b64 v[48:49], 2, v[14:15]
	v_sub_nc_u32_e32 v14, v42, v1
	v_add_co_u32 v24, vcc_lo, v6, v24
	v_add_co_ci_u32_e32 v25, vcc_lo, v13, v25, vcc_lo
	v_lshlrev_b64 v[14:15], 2, v[14:15]
	v_add_co_u32 v48, vcc_lo, v6, v48
	v_add_co_ci_u32_e32 v49, vcc_lo, v13, v49, vcc_lo
	s_clause 0x2
	global_store_b32 v[36:37], v12, off
	global_store_b32 v[24:25], v19, off
	;; [unrolled: 1-line block ×3, first 2 shown]
	v_add_co_u32 v14, vcc_lo, v6, v14
	v_add_co_ci_u32_e32 v15, vcc_lo, v13, v15, vcc_lo
	global_store_b32 v[14:15], v43, off
	s_or_b32 exec_lo, exec_lo, s15
	s_delay_alu instid0(SALU_CYCLE_1)
	s_and_b32 exec_lo, exec_lo, s17
	s_cbranch_execnz .LBB848_270
	s_branch .LBB848_271
.LBB848_252:
	s_and_not1_saveexec_b32 s0, s16
	s_cbranch_execz .LBB848_288
.LBB848_253:
	v_sub_nc_u32_e32 v2, v38, v1
	v_sub_nc_u32_e32 v14, v44, v1
	;; [unrolled: 1-line block ×5, first 2 shown]
	v_lshlrev_b32_e32 v2, 2, v2
	v_lshlrev_b32_e32 v14, 2, v14
	;; [unrolled: 1-line block ×5, first 2 shown]
	ds_store_b32 v2, v39
	ds_store_b32 v14, v45
	;; [unrolled: 1-line block ×3, first 2 shown]
	v_sub_nc_u32_e32 v2, v28, v1
	v_sub_nc_u32_e32 v14, v22, v1
	;; [unrolled: 1-line block ×5, first 2 shown]
	v_lshlrev_b32_e32 v2, 2, v2
	ds_store_b32 v24, v35
	v_lshlrev_b32_e32 v14, 2, v14
	v_lshlrev_b32_e32 v15, 2, v15
	;; [unrolled: 1-line block ×3, first 2 shown]
	ds_store_b32 v2, v29
	v_lshlrev_b32_e32 v2, 2, v22
	ds_store_b32 v14, v23
	ds_store_b32 v15, v21
	;; [unrolled: 1-line block ×3, first 2 shown]
	v_sub_nc_u32_e32 v15, v42, v1
	v_sub_nc_u32_e32 v14, v46, v1
	s_or_b32 s17, s17, exec_lo
	ds_store_b32 v2, v31
	v_sub_nc_u32_e32 v2, v11, v1
	v_sub_nc_u32_e32 v11, v18, v1
	ds_store_b32 v9, v10
	v_lshlrev_b32_e32 v9, 2, v15
	v_lshlrev_b32_e32 v14, 2, v14
	;; [unrolled: 1-line block ×4, first 2 shown]
	ds_store_b32 v2, v12
	ds_store_b32 v11, v19
	;; [unrolled: 1-line block ×4, first 2 shown]
	s_or_b32 exec_lo, exec_lo, s0
	s_delay_alu instid0(SALU_CYCLE_1)
	s_and_b32 exec_lo, exec_lo, s17
	s_cbranch_execnz .LBB848_289
	s_branch .LBB848_290
.LBB848_254:
	s_or_b32 exec_lo, exec_lo, s17
	s_and_saveexec_b32 s17, s13
	s_cbranch_execz .LBB848_221
.LBB848_255:
	v_sub_nc_u32_e32 v14, v44, v1
	v_mov_b32_e32 v15, 0
	s_delay_alu instid0(VALU_DEP_1) | instskip(NEXT) | instid1(VALU_DEP_1)
	v_lshlrev_b64 v[14:15], 2, v[14:15]
	v_add_co_u32 v14, vcc_lo, v6, v14
	s_delay_alu instid0(VALU_DEP_2)
	v_add_co_ci_u32_e32 v15, vcc_lo, v13, v15, vcc_lo
	global_store_b32 v[14:15], v45, off
	s_or_b32 exec_lo, exec_lo, s17
	s_and_saveexec_b32 s17, s12
	s_cbranch_execnz .LBB848_222
.LBB848_256:
	s_or_b32 exec_lo, exec_lo, s17
	s_and_saveexec_b32 s17, s11
	s_cbranch_execz .LBB848_223
.LBB848_257:
	v_sub_nc_u32_e32 v14, v34, v1
	v_mov_b32_e32 v15, 0
	s_delay_alu instid0(VALU_DEP_1) | instskip(NEXT) | instid1(VALU_DEP_1)
	v_lshlrev_b64 v[14:15], 2, v[14:15]
	v_add_co_u32 v14, vcc_lo, v6, v14
	s_delay_alu instid0(VALU_DEP_2)
	v_add_co_ci_u32_e32 v15, vcc_lo, v13, v15, vcc_lo
	global_store_b32 v[14:15], v35, off
	s_or_b32 exec_lo, exec_lo, s17
	s_and_saveexec_b32 s17, s10
	s_cbranch_execnz .LBB848_224
.LBB848_258:
	s_or_b32 exec_lo, exec_lo, s17
	s_and_saveexec_b32 s17, s9
	s_cbranch_execz .LBB848_225
.LBB848_259:
	v_sub_nc_u32_e32 v14, v22, v1
	v_mov_b32_e32 v15, 0
	s_delay_alu instid0(VALU_DEP_1) | instskip(NEXT) | instid1(VALU_DEP_1)
	v_lshlrev_b64 v[14:15], 2, v[14:15]
	v_add_co_u32 v14, vcc_lo, v6, v14
	s_delay_alu instid0(VALU_DEP_2)
	v_add_co_ci_u32_e32 v15, vcc_lo, v13, v15, vcc_lo
	global_store_b32 v[14:15], v23, off
	s_or_b32 exec_lo, exec_lo, s17
	s_and_saveexec_b32 s17, s8
	s_cbranch_execnz .LBB848_226
.LBB848_260:
	s_or_b32 exec_lo, exec_lo, s17
	s_and_saveexec_b32 s17, s7
	s_cbranch_execz .LBB848_227
.LBB848_261:
	v_sub_nc_u32_e32 v14, v26, v1
	v_mov_b32_e32 v15, 0
	s_delay_alu instid0(VALU_DEP_1) | instskip(NEXT) | instid1(VALU_DEP_1)
	v_lshlrev_b64 v[14:15], 2, v[14:15]
	v_add_co_u32 v14, vcc_lo, v6, v14
	s_delay_alu instid0(VALU_DEP_2)
	v_add_co_ci_u32_e32 v15, vcc_lo, v13, v15, vcc_lo
	global_store_b32 v[14:15], v27, off
	s_or_b32 exec_lo, exec_lo, s17
	s_and_saveexec_b32 s17, s6
	s_cbranch_execnz .LBB848_228
.LBB848_262:
	s_or_b32 exec_lo, exec_lo, s17
	s_and_saveexec_b32 s17, s5
	s_cbranch_execz .LBB848_229
.LBB848_263:
	v_sub_nc_u32_e32 v14, v9, v1
	v_mov_b32_e32 v15, 0
	s_delay_alu instid0(VALU_DEP_1) | instskip(NEXT) | instid1(VALU_DEP_1)
	v_lshlrev_b64 v[14:15], 2, v[14:15]
	v_add_co_u32 v14, vcc_lo, v6, v14
	s_delay_alu instid0(VALU_DEP_2)
	v_add_co_ci_u32_e32 v15, vcc_lo, v13, v15, vcc_lo
	global_store_b32 v[14:15], v10, off
	s_or_b32 exec_lo, exec_lo, s17
	s_and_saveexec_b32 s17, s4
	s_cbranch_execnz .LBB848_230
.LBB848_264:
	s_or_b32 exec_lo, exec_lo, s17
	s_and_saveexec_b32 s17, s3
	s_cbranch_execz .LBB848_231
.LBB848_265:
	v_sub_nc_u32_e32 v14, v18, v1
	v_mov_b32_e32 v15, 0
	s_delay_alu instid0(VALU_DEP_1) | instskip(NEXT) | instid1(VALU_DEP_1)
	v_lshlrev_b64 v[14:15], 2, v[14:15]
	v_add_co_u32 v14, vcc_lo, v6, v14
	s_delay_alu instid0(VALU_DEP_2)
	v_add_co_ci_u32_e32 v15, vcc_lo, v13, v15, vcc_lo
	global_store_b32 v[14:15], v19, off
	s_or_b32 exec_lo, exec_lo, s17
	s_and_saveexec_b32 s17, s2
	s_cbranch_execnz .LBB848_232
.LBB848_266:
	s_or_b32 exec_lo, exec_lo, s17
	s_and_saveexec_b32 s17, s1
	s_cbranch_execz .LBB848_268
.LBB848_267:
	v_sub_nc_u32_e32 v14, v42, v1
	v_mov_b32_e32 v15, 0
	s_delay_alu instid0(VALU_DEP_1) | instskip(NEXT) | instid1(VALU_DEP_1)
	v_lshlrev_b64 v[14:15], 2, v[14:15]
	v_add_co_u32 v14, vcc_lo, v6, v14
	s_delay_alu instid0(VALU_DEP_2)
	v_add_co_ci_u32_e32 v15, vcc_lo, v13, v15, vcc_lo
	global_store_b32 v[14:15], v43, off
.LBB848_268:
	s_or_b32 exec_lo, exec_lo, s17
	s_delay_alu instid0(SALU_CYCLE_1)
	s_and_b32 s17, s0, exec_lo
	s_and_not1_saveexec_b32 s15, s15
	s_cbranch_execnz .LBB848_251
.LBB848_269:
	s_or_b32 exec_lo, exec_lo, s15
	s_delay_alu instid0(SALU_CYCLE_1)
	s_and_b32 exec_lo, exec_lo, s17
	s_cbranch_execz .LBB848_271
.LBB848_270:
	v_sub_nc_u32_e32 v14, v32, v1
	v_mov_b32_e32 v15, 0
	s_delay_alu instid0(VALU_DEP_1) | instskip(NEXT) | instid1(VALU_DEP_1)
	v_lshlrev_b64 v[14:15], 2, v[14:15]
	v_add_co_u32 v14, vcc_lo, v6, v14
	s_delay_alu instid0(VALU_DEP_2)
	v_add_co_ci_u32_e32 v15, vcc_lo, v13, v15, vcc_lo
	global_store_b32 v[14:15], v33, off
.LBB848_271:
	s_or_b32 exec_lo, exec_lo, s16
.LBB848_272:
	v_cmp_eq_u32_e32 vcc_lo, 0xff, v0
	s_and_b32 s0, vcc_lo, s18
	s_delay_alu instid0(SALU_CYCLE_1)
	s_and_saveexec_b32 s1, s0
	s_cbranch_execnz .LBB848_294
	s_branch .LBB848_296
.LBB848_273:
	s_or_b32 exec_lo, exec_lo, s17
	s_and_saveexec_b32 s14, s13
	s_cbranch_execz .LBB848_238
.LBB848_274:
	v_sub_nc_u32_e32 v2, v44, v1
	s_delay_alu instid0(VALU_DEP_1)
	v_lshlrev_b32_e32 v2, 2, v2
	ds_store_b32 v2, v45
	s_or_b32 exec_lo, exec_lo, s14
	s_and_saveexec_b32 s13, s12
	s_cbranch_execnz .LBB848_239
.LBB848_275:
	s_or_b32 exec_lo, exec_lo, s13
	s_and_saveexec_b32 s12, s11
	s_cbranch_execz .LBB848_240
.LBB848_276:
	v_sub_nc_u32_e32 v2, v34, v1
	s_delay_alu instid0(VALU_DEP_1)
	v_lshlrev_b32_e32 v2, 2, v2
	ds_store_b32 v2, v35
	s_or_b32 exec_lo, exec_lo, s12
	s_and_saveexec_b32 s11, s10
	s_cbranch_execnz .LBB848_241
.LBB848_277:
	s_or_b32 exec_lo, exec_lo, s11
	s_and_saveexec_b32 s10, s9
	s_cbranch_execz .LBB848_242
.LBB848_278:
	v_sub_nc_u32_e32 v2, v22, v1
	s_delay_alu instid0(VALU_DEP_1)
	v_lshlrev_b32_e32 v2, 2, v2
	ds_store_b32 v2, v23
	s_or_b32 exec_lo, exec_lo, s10
	s_and_saveexec_b32 s9, s8
	s_cbranch_execnz .LBB848_243
.LBB848_279:
	s_or_b32 exec_lo, exec_lo, s9
	s_and_saveexec_b32 s8, s7
	s_cbranch_execz .LBB848_244
.LBB848_280:
	v_sub_nc_u32_e32 v2, v26, v1
	s_delay_alu instid0(VALU_DEP_1)
	v_lshlrev_b32_e32 v2, 2, v2
	ds_store_b32 v2, v27
	s_or_b32 exec_lo, exec_lo, s8
	s_and_saveexec_b32 s7, s6
	s_cbranch_execnz .LBB848_245
.LBB848_281:
	s_or_b32 exec_lo, exec_lo, s7
	s_and_saveexec_b32 s6, s5
	s_cbranch_execz .LBB848_246
.LBB848_282:
	v_sub_nc_u32_e32 v2, v9, v1
	s_delay_alu instid0(VALU_DEP_1)
	v_lshlrev_b32_e32 v2, 2, v2
	ds_store_b32 v2, v10
	s_or_b32 exec_lo, exec_lo, s6
	s_and_saveexec_b32 s5, s4
	s_cbranch_execnz .LBB848_247
.LBB848_283:
	s_or_b32 exec_lo, exec_lo, s5
	s_and_saveexec_b32 s4, s3
	s_cbranch_execz .LBB848_248
.LBB848_284:
	v_sub_nc_u32_e32 v2, v18, v1
	s_delay_alu instid0(VALU_DEP_1)
	v_lshlrev_b32_e32 v2, 2, v2
	ds_store_b32 v2, v19
	s_or_b32 exec_lo, exec_lo, s4
	s_and_saveexec_b32 s3, s2
	s_cbranch_execnz .LBB848_249
.LBB848_285:
	s_or_b32 exec_lo, exec_lo, s3
	s_and_saveexec_b32 s2, s1
	s_cbranch_execz .LBB848_287
.LBB848_286:
	v_sub_nc_u32_e32 v2, v42, v1
	s_delay_alu instid0(VALU_DEP_1)
	v_lshlrev_b32_e32 v2, 2, v2
	ds_store_b32 v2, v43
.LBB848_287:
	s_or_b32 exec_lo, exec_lo, s2
	s_delay_alu instid0(SALU_CYCLE_1)
	s_and_b32 s17, s0, exec_lo
                                        ; implicit-def: $vgpr38_vgpr39
                                        ; implicit-def: $vgpr44_vgpr45
                                        ; implicit-def: $vgpr40_vgpr41
                                        ; implicit-def: $vgpr34_vgpr35
                                        ; implicit-def: $vgpr28_vgpr29
                                        ; implicit-def: $vgpr22_vgpr23
                                        ; implicit-def: $vgpr20_vgpr21
                                        ; implicit-def: $vgpr26_vgpr27
                                        ; implicit-def: $vgpr30_vgpr31
                                        ; implicit-def: $vgpr9_vgpr10
                                        ; implicit-def: $vgpr11_vgpr12
                                        ; implicit-def: $vgpr18_vgpr19
                                        ; implicit-def: $vgpr46_vgpr47
                                        ; implicit-def: $vgpr42_vgpr43
	s_and_not1_saveexec_b32 s0, s16
	s_cbranch_execnz .LBB848_253
.LBB848_288:
	s_or_b32 exec_lo, exec_lo, s0
	s_delay_alu instid0(SALU_CYCLE_1)
	s_and_b32 exec_lo, exec_lo, s17
	s_cbranch_execz .LBB848_290
.LBB848_289:
	v_sub_nc_u32_e32 v1, v32, v1
	s_delay_alu instid0(VALU_DEP_1)
	v_lshlrev_b32_e32 v1, 2, v1
	ds_store_b32 v1, v33
.LBB848_290:
	s_or_b32 exec_lo, exec_lo, s15
	s_delay_alu instid0(SALU_CYCLE_1)
	s_mov_b32 s1, exec_lo
	s_waitcnt lgkmcnt(0)
	s_waitcnt_vscnt null, 0x0
	s_barrier
	buffer_gl0_inv
	v_cmpx_lt_u32_e64 v0, v3
	s_cbranch_execz .LBB848_293
; %bb.291:
	v_dual_mov_b32 v2, 0 :: v_dual_lshlrev_b32 v9, 2, v0
	v_mov_b32_e32 v1, v0
	s_mov_b32 s2, 0
	.p2align	6
.LBB848_292:                            ; =>This Inner Loop Header: Depth=1
	ds_load_b32 v12, v9
	v_lshlrev_b64 v[10:11], 2, v[1:2]
	v_add_nc_u32_e32 v1, 0x100, v1
	v_add_nc_u32_e32 v9, 0x400, v9
	s_delay_alu instid0(VALU_DEP_2) | instskip(NEXT) | instid1(VALU_DEP_4)
	v_cmp_ge_u32_e32 vcc_lo, v1, v3
	v_add_co_u32 v10, s0, v6, v10
	s_delay_alu instid0(VALU_DEP_1)
	v_add_co_ci_u32_e64 v11, s0, v13, v11, s0
	s_or_b32 s2, vcc_lo, s2
	s_waitcnt lgkmcnt(0)
	global_store_b32 v[10:11], v12, off
	s_and_not1_b32 exec_lo, exec_lo, s2
	s_cbranch_execnz .LBB848_292
.LBB848_293:
	s_or_b32 exec_lo, exec_lo, s1
	v_cmp_eq_u32_e32 vcc_lo, 0xff, v0
	s_and_b32 s0, vcc_lo, s18
	s_delay_alu instid0(SALU_CYCLE_1)
	s_and_saveexec_b32 s1, s0
	s_cbranch_execz .LBB848_296
.LBB848_294:
	v_add_co_u32 v0, s0, v5, v7
	s_delay_alu instid0(VALU_DEP_1) | instskip(SKIP_1) | instid1(VALU_DEP_3)
	v_add_co_ci_u32_e64 v1, null, 0, 0, s0
	v_mov_b32_e32 v6, 0
	v_add_co_u32 v0, vcc_lo, v0, v16
	s_delay_alu instid0(VALU_DEP_3)
	v_add_co_ci_u32_e32 v1, vcc_lo, v1, v17, vcc_lo
	s_cmpk_lg_i32 s19, 0xf00
	global_store_b64 v6, v[0:1], s[38:39]
	s_cbranch_scc1 .LBB848_296
; %bb.295:
	v_lshlrev_b64 v[0:1], 2, v[5:6]
	s_delay_alu instid0(VALU_DEP_1) | instskip(NEXT) | instid1(VALU_DEP_2)
	v_add_co_u32 v0, vcc_lo, v4, v0
	v_add_co_ci_u32_e32 v1, vcc_lo, v8, v1, vcc_lo
	global_store_b32 v[0:1], v66, off offset:-4
	s_nop 0
	s_sendmsg sendmsg(MSG_DEALLOC_VGPRS)
	s_endpgm
.LBB848_296:
	s_nop 0
	s_sendmsg sendmsg(MSG_DEALLOC_VGPRS)
	s_endpgm
	.section	.rodata,"a",@progbits
	.p2align	6, 0x0
	.amdhsa_kernel _ZN7rocprim17ROCPRIM_400000_NS6detail17trampoline_kernelINS0_14default_configENS1_29reduce_by_key_config_selectorIsjN6thrust23THRUST_200600_302600_NS4plusIjEEEEZZNS1_33reduce_by_key_impl_wrapped_configILNS1_25lookback_scan_determinismE0ES3_S9_NS6_6detail15normal_iteratorINS6_10device_ptrIsEEEENSD_INSE_IjEEEESG_SI_PmS8_NS6_8equal_toIsEEEE10hipError_tPvRmT2_T3_mT4_T5_T6_T7_T8_P12ihipStream_tbENKUlT_T0_E_clISt17integral_constantIbLb0EES13_EEDaSY_SZ_EUlSY_E_NS1_11comp_targetILNS1_3genE9ELNS1_11target_archE1100ELNS1_3gpuE3ELNS1_3repE0EEENS1_30default_config_static_selectorELNS0_4arch9wavefront6targetE0EEEvT1_
		.amdhsa_group_segment_fixed_size 15360
		.amdhsa_private_segment_fixed_size 0
		.amdhsa_kernarg_size 120
		.amdhsa_user_sgpr_count 15
		.amdhsa_user_sgpr_dispatch_ptr 0
		.amdhsa_user_sgpr_queue_ptr 0
		.amdhsa_user_sgpr_kernarg_segment_ptr 1
		.amdhsa_user_sgpr_dispatch_id 0
		.amdhsa_user_sgpr_private_segment_size 0
		.amdhsa_wavefront_size32 1
		.amdhsa_uses_dynamic_stack 0
		.amdhsa_enable_private_segment 0
		.amdhsa_system_sgpr_workgroup_id_x 1
		.amdhsa_system_sgpr_workgroup_id_y 0
		.amdhsa_system_sgpr_workgroup_id_z 0
		.amdhsa_system_sgpr_workgroup_info 0
		.amdhsa_system_vgpr_workitem_id 0
		.amdhsa_next_free_vgpr 100
		.amdhsa_next_free_sgpr 44
		.amdhsa_reserve_vcc 1
		.amdhsa_float_round_mode_32 0
		.amdhsa_float_round_mode_16_64 0
		.amdhsa_float_denorm_mode_32 3
		.amdhsa_float_denorm_mode_16_64 3
		.amdhsa_dx10_clamp 1
		.amdhsa_ieee_mode 1
		.amdhsa_fp16_overflow 0
		.amdhsa_workgroup_processor_mode 1
		.amdhsa_memory_ordered 1
		.amdhsa_forward_progress 0
		.amdhsa_shared_vgpr_count 0
		.amdhsa_exception_fp_ieee_invalid_op 0
		.amdhsa_exception_fp_denorm_src 0
		.amdhsa_exception_fp_ieee_div_zero 0
		.amdhsa_exception_fp_ieee_overflow 0
		.amdhsa_exception_fp_ieee_underflow 0
		.amdhsa_exception_fp_ieee_inexact 0
		.amdhsa_exception_int_div_zero 0
	.end_amdhsa_kernel
	.section	.text._ZN7rocprim17ROCPRIM_400000_NS6detail17trampoline_kernelINS0_14default_configENS1_29reduce_by_key_config_selectorIsjN6thrust23THRUST_200600_302600_NS4plusIjEEEEZZNS1_33reduce_by_key_impl_wrapped_configILNS1_25lookback_scan_determinismE0ES3_S9_NS6_6detail15normal_iteratorINS6_10device_ptrIsEEEENSD_INSE_IjEEEESG_SI_PmS8_NS6_8equal_toIsEEEE10hipError_tPvRmT2_T3_mT4_T5_T6_T7_T8_P12ihipStream_tbENKUlT_T0_E_clISt17integral_constantIbLb0EES13_EEDaSY_SZ_EUlSY_E_NS1_11comp_targetILNS1_3genE9ELNS1_11target_archE1100ELNS1_3gpuE3ELNS1_3repE0EEENS1_30default_config_static_selectorELNS0_4arch9wavefront6targetE0EEEvT1_,"axG",@progbits,_ZN7rocprim17ROCPRIM_400000_NS6detail17trampoline_kernelINS0_14default_configENS1_29reduce_by_key_config_selectorIsjN6thrust23THRUST_200600_302600_NS4plusIjEEEEZZNS1_33reduce_by_key_impl_wrapped_configILNS1_25lookback_scan_determinismE0ES3_S9_NS6_6detail15normal_iteratorINS6_10device_ptrIsEEEENSD_INSE_IjEEEESG_SI_PmS8_NS6_8equal_toIsEEEE10hipError_tPvRmT2_T3_mT4_T5_T6_T7_T8_P12ihipStream_tbENKUlT_T0_E_clISt17integral_constantIbLb0EES13_EEDaSY_SZ_EUlSY_E_NS1_11comp_targetILNS1_3genE9ELNS1_11target_archE1100ELNS1_3gpuE3ELNS1_3repE0EEENS1_30default_config_static_selectorELNS0_4arch9wavefront6targetE0EEEvT1_,comdat
.Lfunc_end848:
	.size	_ZN7rocprim17ROCPRIM_400000_NS6detail17trampoline_kernelINS0_14default_configENS1_29reduce_by_key_config_selectorIsjN6thrust23THRUST_200600_302600_NS4plusIjEEEEZZNS1_33reduce_by_key_impl_wrapped_configILNS1_25lookback_scan_determinismE0ES3_S9_NS6_6detail15normal_iteratorINS6_10device_ptrIsEEEENSD_INSE_IjEEEESG_SI_PmS8_NS6_8equal_toIsEEEE10hipError_tPvRmT2_T3_mT4_T5_T6_T7_T8_P12ihipStream_tbENKUlT_T0_E_clISt17integral_constantIbLb0EES13_EEDaSY_SZ_EUlSY_E_NS1_11comp_targetILNS1_3genE9ELNS1_11target_archE1100ELNS1_3gpuE3ELNS1_3repE0EEENS1_30default_config_static_selectorELNS0_4arch9wavefront6targetE0EEEvT1_, .Lfunc_end848-_ZN7rocprim17ROCPRIM_400000_NS6detail17trampoline_kernelINS0_14default_configENS1_29reduce_by_key_config_selectorIsjN6thrust23THRUST_200600_302600_NS4plusIjEEEEZZNS1_33reduce_by_key_impl_wrapped_configILNS1_25lookback_scan_determinismE0ES3_S9_NS6_6detail15normal_iteratorINS6_10device_ptrIsEEEENSD_INSE_IjEEEESG_SI_PmS8_NS6_8equal_toIsEEEE10hipError_tPvRmT2_T3_mT4_T5_T6_T7_T8_P12ihipStream_tbENKUlT_T0_E_clISt17integral_constantIbLb0EES13_EEDaSY_SZ_EUlSY_E_NS1_11comp_targetILNS1_3genE9ELNS1_11target_archE1100ELNS1_3gpuE3ELNS1_3repE0EEENS1_30default_config_static_selectorELNS0_4arch9wavefront6targetE0EEEvT1_
                                        ; -- End function
	.section	.AMDGPU.csdata,"",@progbits
; Kernel info:
; codeLenInByte = 18760
; NumSgprs: 46
; NumVgprs: 100
; ScratchSize: 0
; MemoryBound: 0
; FloatMode: 240
; IeeeMode: 1
; LDSByteSize: 15360 bytes/workgroup (compile time only)
; SGPRBlocks: 5
; VGPRBlocks: 12
; NumSGPRsForWavesPerEU: 46
; NumVGPRsForWavesPerEU: 100
; Occupancy: 12
; WaveLimiterHint : 1
; COMPUTE_PGM_RSRC2:SCRATCH_EN: 0
; COMPUTE_PGM_RSRC2:USER_SGPR: 15
; COMPUTE_PGM_RSRC2:TRAP_HANDLER: 0
; COMPUTE_PGM_RSRC2:TGID_X_EN: 1
; COMPUTE_PGM_RSRC2:TGID_Y_EN: 0
; COMPUTE_PGM_RSRC2:TGID_Z_EN: 0
; COMPUTE_PGM_RSRC2:TIDIG_COMP_CNT: 0
	.section	.text._ZN7rocprim17ROCPRIM_400000_NS6detail17trampoline_kernelINS0_14default_configENS1_29reduce_by_key_config_selectorIsjN6thrust23THRUST_200600_302600_NS4plusIjEEEEZZNS1_33reduce_by_key_impl_wrapped_configILNS1_25lookback_scan_determinismE0ES3_S9_NS6_6detail15normal_iteratorINS6_10device_ptrIsEEEENSD_INSE_IjEEEESG_SI_PmS8_NS6_8equal_toIsEEEE10hipError_tPvRmT2_T3_mT4_T5_T6_T7_T8_P12ihipStream_tbENKUlT_T0_E_clISt17integral_constantIbLb0EES13_EEDaSY_SZ_EUlSY_E_NS1_11comp_targetILNS1_3genE8ELNS1_11target_archE1030ELNS1_3gpuE2ELNS1_3repE0EEENS1_30default_config_static_selectorELNS0_4arch9wavefront6targetE0EEEvT1_,"axG",@progbits,_ZN7rocprim17ROCPRIM_400000_NS6detail17trampoline_kernelINS0_14default_configENS1_29reduce_by_key_config_selectorIsjN6thrust23THRUST_200600_302600_NS4plusIjEEEEZZNS1_33reduce_by_key_impl_wrapped_configILNS1_25lookback_scan_determinismE0ES3_S9_NS6_6detail15normal_iteratorINS6_10device_ptrIsEEEENSD_INSE_IjEEEESG_SI_PmS8_NS6_8equal_toIsEEEE10hipError_tPvRmT2_T3_mT4_T5_T6_T7_T8_P12ihipStream_tbENKUlT_T0_E_clISt17integral_constantIbLb0EES13_EEDaSY_SZ_EUlSY_E_NS1_11comp_targetILNS1_3genE8ELNS1_11target_archE1030ELNS1_3gpuE2ELNS1_3repE0EEENS1_30default_config_static_selectorELNS0_4arch9wavefront6targetE0EEEvT1_,comdat
	.protected	_ZN7rocprim17ROCPRIM_400000_NS6detail17trampoline_kernelINS0_14default_configENS1_29reduce_by_key_config_selectorIsjN6thrust23THRUST_200600_302600_NS4plusIjEEEEZZNS1_33reduce_by_key_impl_wrapped_configILNS1_25lookback_scan_determinismE0ES3_S9_NS6_6detail15normal_iteratorINS6_10device_ptrIsEEEENSD_INSE_IjEEEESG_SI_PmS8_NS6_8equal_toIsEEEE10hipError_tPvRmT2_T3_mT4_T5_T6_T7_T8_P12ihipStream_tbENKUlT_T0_E_clISt17integral_constantIbLb0EES13_EEDaSY_SZ_EUlSY_E_NS1_11comp_targetILNS1_3genE8ELNS1_11target_archE1030ELNS1_3gpuE2ELNS1_3repE0EEENS1_30default_config_static_selectorELNS0_4arch9wavefront6targetE0EEEvT1_ ; -- Begin function _ZN7rocprim17ROCPRIM_400000_NS6detail17trampoline_kernelINS0_14default_configENS1_29reduce_by_key_config_selectorIsjN6thrust23THRUST_200600_302600_NS4plusIjEEEEZZNS1_33reduce_by_key_impl_wrapped_configILNS1_25lookback_scan_determinismE0ES3_S9_NS6_6detail15normal_iteratorINS6_10device_ptrIsEEEENSD_INSE_IjEEEESG_SI_PmS8_NS6_8equal_toIsEEEE10hipError_tPvRmT2_T3_mT4_T5_T6_T7_T8_P12ihipStream_tbENKUlT_T0_E_clISt17integral_constantIbLb0EES13_EEDaSY_SZ_EUlSY_E_NS1_11comp_targetILNS1_3genE8ELNS1_11target_archE1030ELNS1_3gpuE2ELNS1_3repE0EEENS1_30default_config_static_selectorELNS0_4arch9wavefront6targetE0EEEvT1_
	.globl	_ZN7rocprim17ROCPRIM_400000_NS6detail17trampoline_kernelINS0_14default_configENS1_29reduce_by_key_config_selectorIsjN6thrust23THRUST_200600_302600_NS4plusIjEEEEZZNS1_33reduce_by_key_impl_wrapped_configILNS1_25lookback_scan_determinismE0ES3_S9_NS6_6detail15normal_iteratorINS6_10device_ptrIsEEEENSD_INSE_IjEEEESG_SI_PmS8_NS6_8equal_toIsEEEE10hipError_tPvRmT2_T3_mT4_T5_T6_T7_T8_P12ihipStream_tbENKUlT_T0_E_clISt17integral_constantIbLb0EES13_EEDaSY_SZ_EUlSY_E_NS1_11comp_targetILNS1_3genE8ELNS1_11target_archE1030ELNS1_3gpuE2ELNS1_3repE0EEENS1_30default_config_static_selectorELNS0_4arch9wavefront6targetE0EEEvT1_
	.p2align	8
	.type	_ZN7rocprim17ROCPRIM_400000_NS6detail17trampoline_kernelINS0_14default_configENS1_29reduce_by_key_config_selectorIsjN6thrust23THRUST_200600_302600_NS4plusIjEEEEZZNS1_33reduce_by_key_impl_wrapped_configILNS1_25lookback_scan_determinismE0ES3_S9_NS6_6detail15normal_iteratorINS6_10device_ptrIsEEEENSD_INSE_IjEEEESG_SI_PmS8_NS6_8equal_toIsEEEE10hipError_tPvRmT2_T3_mT4_T5_T6_T7_T8_P12ihipStream_tbENKUlT_T0_E_clISt17integral_constantIbLb0EES13_EEDaSY_SZ_EUlSY_E_NS1_11comp_targetILNS1_3genE8ELNS1_11target_archE1030ELNS1_3gpuE2ELNS1_3repE0EEENS1_30default_config_static_selectorELNS0_4arch9wavefront6targetE0EEEvT1_,@function
_ZN7rocprim17ROCPRIM_400000_NS6detail17trampoline_kernelINS0_14default_configENS1_29reduce_by_key_config_selectorIsjN6thrust23THRUST_200600_302600_NS4plusIjEEEEZZNS1_33reduce_by_key_impl_wrapped_configILNS1_25lookback_scan_determinismE0ES3_S9_NS6_6detail15normal_iteratorINS6_10device_ptrIsEEEENSD_INSE_IjEEEESG_SI_PmS8_NS6_8equal_toIsEEEE10hipError_tPvRmT2_T3_mT4_T5_T6_T7_T8_P12ihipStream_tbENKUlT_T0_E_clISt17integral_constantIbLb0EES13_EEDaSY_SZ_EUlSY_E_NS1_11comp_targetILNS1_3genE8ELNS1_11target_archE1030ELNS1_3gpuE2ELNS1_3repE0EEENS1_30default_config_static_selectorELNS0_4arch9wavefront6targetE0EEEvT1_: ; @_ZN7rocprim17ROCPRIM_400000_NS6detail17trampoline_kernelINS0_14default_configENS1_29reduce_by_key_config_selectorIsjN6thrust23THRUST_200600_302600_NS4plusIjEEEEZZNS1_33reduce_by_key_impl_wrapped_configILNS1_25lookback_scan_determinismE0ES3_S9_NS6_6detail15normal_iteratorINS6_10device_ptrIsEEEENSD_INSE_IjEEEESG_SI_PmS8_NS6_8equal_toIsEEEE10hipError_tPvRmT2_T3_mT4_T5_T6_T7_T8_P12ihipStream_tbENKUlT_T0_E_clISt17integral_constantIbLb0EES13_EEDaSY_SZ_EUlSY_E_NS1_11comp_targetILNS1_3genE8ELNS1_11target_archE1030ELNS1_3gpuE2ELNS1_3repE0EEENS1_30default_config_static_selectorELNS0_4arch9wavefront6targetE0EEEvT1_
; %bb.0:
	.section	.rodata,"a",@progbits
	.p2align	6, 0x0
	.amdhsa_kernel _ZN7rocprim17ROCPRIM_400000_NS6detail17trampoline_kernelINS0_14default_configENS1_29reduce_by_key_config_selectorIsjN6thrust23THRUST_200600_302600_NS4plusIjEEEEZZNS1_33reduce_by_key_impl_wrapped_configILNS1_25lookback_scan_determinismE0ES3_S9_NS6_6detail15normal_iteratorINS6_10device_ptrIsEEEENSD_INSE_IjEEEESG_SI_PmS8_NS6_8equal_toIsEEEE10hipError_tPvRmT2_T3_mT4_T5_T6_T7_T8_P12ihipStream_tbENKUlT_T0_E_clISt17integral_constantIbLb0EES13_EEDaSY_SZ_EUlSY_E_NS1_11comp_targetILNS1_3genE8ELNS1_11target_archE1030ELNS1_3gpuE2ELNS1_3repE0EEENS1_30default_config_static_selectorELNS0_4arch9wavefront6targetE0EEEvT1_
		.amdhsa_group_segment_fixed_size 0
		.amdhsa_private_segment_fixed_size 0
		.amdhsa_kernarg_size 120
		.amdhsa_user_sgpr_count 15
		.amdhsa_user_sgpr_dispatch_ptr 0
		.amdhsa_user_sgpr_queue_ptr 0
		.amdhsa_user_sgpr_kernarg_segment_ptr 1
		.amdhsa_user_sgpr_dispatch_id 0
		.amdhsa_user_sgpr_private_segment_size 0
		.amdhsa_wavefront_size32 1
		.amdhsa_uses_dynamic_stack 0
		.amdhsa_enable_private_segment 0
		.amdhsa_system_sgpr_workgroup_id_x 1
		.amdhsa_system_sgpr_workgroup_id_y 0
		.amdhsa_system_sgpr_workgroup_id_z 0
		.amdhsa_system_sgpr_workgroup_info 0
		.amdhsa_system_vgpr_workitem_id 0
		.amdhsa_next_free_vgpr 1
		.amdhsa_next_free_sgpr 1
		.amdhsa_reserve_vcc 0
		.amdhsa_float_round_mode_32 0
		.amdhsa_float_round_mode_16_64 0
		.amdhsa_float_denorm_mode_32 3
		.amdhsa_float_denorm_mode_16_64 3
		.amdhsa_dx10_clamp 1
		.amdhsa_ieee_mode 1
		.amdhsa_fp16_overflow 0
		.amdhsa_workgroup_processor_mode 1
		.amdhsa_memory_ordered 1
		.amdhsa_forward_progress 0
		.amdhsa_shared_vgpr_count 0
		.amdhsa_exception_fp_ieee_invalid_op 0
		.amdhsa_exception_fp_denorm_src 0
		.amdhsa_exception_fp_ieee_div_zero 0
		.amdhsa_exception_fp_ieee_overflow 0
		.amdhsa_exception_fp_ieee_underflow 0
		.amdhsa_exception_fp_ieee_inexact 0
		.amdhsa_exception_int_div_zero 0
	.end_amdhsa_kernel
	.section	.text._ZN7rocprim17ROCPRIM_400000_NS6detail17trampoline_kernelINS0_14default_configENS1_29reduce_by_key_config_selectorIsjN6thrust23THRUST_200600_302600_NS4plusIjEEEEZZNS1_33reduce_by_key_impl_wrapped_configILNS1_25lookback_scan_determinismE0ES3_S9_NS6_6detail15normal_iteratorINS6_10device_ptrIsEEEENSD_INSE_IjEEEESG_SI_PmS8_NS6_8equal_toIsEEEE10hipError_tPvRmT2_T3_mT4_T5_T6_T7_T8_P12ihipStream_tbENKUlT_T0_E_clISt17integral_constantIbLb0EES13_EEDaSY_SZ_EUlSY_E_NS1_11comp_targetILNS1_3genE8ELNS1_11target_archE1030ELNS1_3gpuE2ELNS1_3repE0EEENS1_30default_config_static_selectorELNS0_4arch9wavefront6targetE0EEEvT1_,"axG",@progbits,_ZN7rocprim17ROCPRIM_400000_NS6detail17trampoline_kernelINS0_14default_configENS1_29reduce_by_key_config_selectorIsjN6thrust23THRUST_200600_302600_NS4plusIjEEEEZZNS1_33reduce_by_key_impl_wrapped_configILNS1_25lookback_scan_determinismE0ES3_S9_NS6_6detail15normal_iteratorINS6_10device_ptrIsEEEENSD_INSE_IjEEEESG_SI_PmS8_NS6_8equal_toIsEEEE10hipError_tPvRmT2_T3_mT4_T5_T6_T7_T8_P12ihipStream_tbENKUlT_T0_E_clISt17integral_constantIbLb0EES13_EEDaSY_SZ_EUlSY_E_NS1_11comp_targetILNS1_3genE8ELNS1_11target_archE1030ELNS1_3gpuE2ELNS1_3repE0EEENS1_30default_config_static_selectorELNS0_4arch9wavefront6targetE0EEEvT1_,comdat
.Lfunc_end849:
	.size	_ZN7rocprim17ROCPRIM_400000_NS6detail17trampoline_kernelINS0_14default_configENS1_29reduce_by_key_config_selectorIsjN6thrust23THRUST_200600_302600_NS4plusIjEEEEZZNS1_33reduce_by_key_impl_wrapped_configILNS1_25lookback_scan_determinismE0ES3_S9_NS6_6detail15normal_iteratorINS6_10device_ptrIsEEEENSD_INSE_IjEEEESG_SI_PmS8_NS6_8equal_toIsEEEE10hipError_tPvRmT2_T3_mT4_T5_T6_T7_T8_P12ihipStream_tbENKUlT_T0_E_clISt17integral_constantIbLb0EES13_EEDaSY_SZ_EUlSY_E_NS1_11comp_targetILNS1_3genE8ELNS1_11target_archE1030ELNS1_3gpuE2ELNS1_3repE0EEENS1_30default_config_static_selectorELNS0_4arch9wavefront6targetE0EEEvT1_, .Lfunc_end849-_ZN7rocprim17ROCPRIM_400000_NS6detail17trampoline_kernelINS0_14default_configENS1_29reduce_by_key_config_selectorIsjN6thrust23THRUST_200600_302600_NS4plusIjEEEEZZNS1_33reduce_by_key_impl_wrapped_configILNS1_25lookback_scan_determinismE0ES3_S9_NS6_6detail15normal_iteratorINS6_10device_ptrIsEEEENSD_INSE_IjEEEESG_SI_PmS8_NS6_8equal_toIsEEEE10hipError_tPvRmT2_T3_mT4_T5_T6_T7_T8_P12ihipStream_tbENKUlT_T0_E_clISt17integral_constantIbLb0EES13_EEDaSY_SZ_EUlSY_E_NS1_11comp_targetILNS1_3genE8ELNS1_11target_archE1030ELNS1_3gpuE2ELNS1_3repE0EEENS1_30default_config_static_selectorELNS0_4arch9wavefront6targetE0EEEvT1_
                                        ; -- End function
	.section	.AMDGPU.csdata,"",@progbits
; Kernel info:
; codeLenInByte = 0
; NumSgprs: 0
; NumVgprs: 0
; ScratchSize: 0
; MemoryBound: 0
; FloatMode: 240
; IeeeMode: 1
; LDSByteSize: 0 bytes/workgroup (compile time only)
; SGPRBlocks: 0
; VGPRBlocks: 0
; NumSGPRsForWavesPerEU: 1
; NumVGPRsForWavesPerEU: 1
; Occupancy: 16
; WaveLimiterHint : 0
; COMPUTE_PGM_RSRC2:SCRATCH_EN: 0
; COMPUTE_PGM_RSRC2:USER_SGPR: 15
; COMPUTE_PGM_RSRC2:TRAP_HANDLER: 0
; COMPUTE_PGM_RSRC2:TGID_X_EN: 1
; COMPUTE_PGM_RSRC2:TGID_Y_EN: 0
; COMPUTE_PGM_RSRC2:TGID_Z_EN: 0
; COMPUTE_PGM_RSRC2:TIDIG_COMP_CNT: 0
	.section	.text._ZN7rocprim17ROCPRIM_400000_NS6detail17trampoline_kernelINS0_14default_configENS1_29reduce_by_key_config_selectorIsjN6thrust23THRUST_200600_302600_NS4plusIjEEEEZZNS1_33reduce_by_key_impl_wrapped_configILNS1_25lookback_scan_determinismE0ES3_S9_NS6_6detail15normal_iteratorINS6_10device_ptrIsEEEENSD_INSE_IjEEEESG_SI_PmS8_NS6_8equal_toIsEEEE10hipError_tPvRmT2_T3_mT4_T5_T6_T7_T8_P12ihipStream_tbENKUlT_T0_E_clISt17integral_constantIbLb1EES13_EEDaSY_SZ_EUlSY_E_NS1_11comp_targetILNS1_3genE0ELNS1_11target_archE4294967295ELNS1_3gpuE0ELNS1_3repE0EEENS1_30default_config_static_selectorELNS0_4arch9wavefront6targetE0EEEvT1_,"axG",@progbits,_ZN7rocprim17ROCPRIM_400000_NS6detail17trampoline_kernelINS0_14default_configENS1_29reduce_by_key_config_selectorIsjN6thrust23THRUST_200600_302600_NS4plusIjEEEEZZNS1_33reduce_by_key_impl_wrapped_configILNS1_25lookback_scan_determinismE0ES3_S9_NS6_6detail15normal_iteratorINS6_10device_ptrIsEEEENSD_INSE_IjEEEESG_SI_PmS8_NS6_8equal_toIsEEEE10hipError_tPvRmT2_T3_mT4_T5_T6_T7_T8_P12ihipStream_tbENKUlT_T0_E_clISt17integral_constantIbLb1EES13_EEDaSY_SZ_EUlSY_E_NS1_11comp_targetILNS1_3genE0ELNS1_11target_archE4294967295ELNS1_3gpuE0ELNS1_3repE0EEENS1_30default_config_static_selectorELNS0_4arch9wavefront6targetE0EEEvT1_,comdat
	.protected	_ZN7rocprim17ROCPRIM_400000_NS6detail17trampoline_kernelINS0_14default_configENS1_29reduce_by_key_config_selectorIsjN6thrust23THRUST_200600_302600_NS4plusIjEEEEZZNS1_33reduce_by_key_impl_wrapped_configILNS1_25lookback_scan_determinismE0ES3_S9_NS6_6detail15normal_iteratorINS6_10device_ptrIsEEEENSD_INSE_IjEEEESG_SI_PmS8_NS6_8equal_toIsEEEE10hipError_tPvRmT2_T3_mT4_T5_T6_T7_T8_P12ihipStream_tbENKUlT_T0_E_clISt17integral_constantIbLb1EES13_EEDaSY_SZ_EUlSY_E_NS1_11comp_targetILNS1_3genE0ELNS1_11target_archE4294967295ELNS1_3gpuE0ELNS1_3repE0EEENS1_30default_config_static_selectorELNS0_4arch9wavefront6targetE0EEEvT1_ ; -- Begin function _ZN7rocprim17ROCPRIM_400000_NS6detail17trampoline_kernelINS0_14default_configENS1_29reduce_by_key_config_selectorIsjN6thrust23THRUST_200600_302600_NS4plusIjEEEEZZNS1_33reduce_by_key_impl_wrapped_configILNS1_25lookback_scan_determinismE0ES3_S9_NS6_6detail15normal_iteratorINS6_10device_ptrIsEEEENSD_INSE_IjEEEESG_SI_PmS8_NS6_8equal_toIsEEEE10hipError_tPvRmT2_T3_mT4_T5_T6_T7_T8_P12ihipStream_tbENKUlT_T0_E_clISt17integral_constantIbLb1EES13_EEDaSY_SZ_EUlSY_E_NS1_11comp_targetILNS1_3genE0ELNS1_11target_archE4294967295ELNS1_3gpuE0ELNS1_3repE0EEENS1_30default_config_static_selectorELNS0_4arch9wavefront6targetE0EEEvT1_
	.globl	_ZN7rocprim17ROCPRIM_400000_NS6detail17trampoline_kernelINS0_14default_configENS1_29reduce_by_key_config_selectorIsjN6thrust23THRUST_200600_302600_NS4plusIjEEEEZZNS1_33reduce_by_key_impl_wrapped_configILNS1_25lookback_scan_determinismE0ES3_S9_NS6_6detail15normal_iteratorINS6_10device_ptrIsEEEENSD_INSE_IjEEEESG_SI_PmS8_NS6_8equal_toIsEEEE10hipError_tPvRmT2_T3_mT4_T5_T6_T7_T8_P12ihipStream_tbENKUlT_T0_E_clISt17integral_constantIbLb1EES13_EEDaSY_SZ_EUlSY_E_NS1_11comp_targetILNS1_3genE0ELNS1_11target_archE4294967295ELNS1_3gpuE0ELNS1_3repE0EEENS1_30default_config_static_selectorELNS0_4arch9wavefront6targetE0EEEvT1_
	.p2align	8
	.type	_ZN7rocprim17ROCPRIM_400000_NS6detail17trampoline_kernelINS0_14default_configENS1_29reduce_by_key_config_selectorIsjN6thrust23THRUST_200600_302600_NS4plusIjEEEEZZNS1_33reduce_by_key_impl_wrapped_configILNS1_25lookback_scan_determinismE0ES3_S9_NS6_6detail15normal_iteratorINS6_10device_ptrIsEEEENSD_INSE_IjEEEESG_SI_PmS8_NS6_8equal_toIsEEEE10hipError_tPvRmT2_T3_mT4_T5_T6_T7_T8_P12ihipStream_tbENKUlT_T0_E_clISt17integral_constantIbLb1EES13_EEDaSY_SZ_EUlSY_E_NS1_11comp_targetILNS1_3genE0ELNS1_11target_archE4294967295ELNS1_3gpuE0ELNS1_3repE0EEENS1_30default_config_static_selectorELNS0_4arch9wavefront6targetE0EEEvT1_,@function
_ZN7rocprim17ROCPRIM_400000_NS6detail17trampoline_kernelINS0_14default_configENS1_29reduce_by_key_config_selectorIsjN6thrust23THRUST_200600_302600_NS4plusIjEEEEZZNS1_33reduce_by_key_impl_wrapped_configILNS1_25lookback_scan_determinismE0ES3_S9_NS6_6detail15normal_iteratorINS6_10device_ptrIsEEEENSD_INSE_IjEEEESG_SI_PmS8_NS6_8equal_toIsEEEE10hipError_tPvRmT2_T3_mT4_T5_T6_T7_T8_P12ihipStream_tbENKUlT_T0_E_clISt17integral_constantIbLb1EES13_EEDaSY_SZ_EUlSY_E_NS1_11comp_targetILNS1_3genE0ELNS1_11target_archE4294967295ELNS1_3gpuE0ELNS1_3repE0EEENS1_30default_config_static_selectorELNS0_4arch9wavefront6targetE0EEEvT1_: ; @_ZN7rocprim17ROCPRIM_400000_NS6detail17trampoline_kernelINS0_14default_configENS1_29reduce_by_key_config_selectorIsjN6thrust23THRUST_200600_302600_NS4plusIjEEEEZZNS1_33reduce_by_key_impl_wrapped_configILNS1_25lookback_scan_determinismE0ES3_S9_NS6_6detail15normal_iteratorINS6_10device_ptrIsEEEENSD_INSE_IjEEEESG_SI_PmS8_NS6_8equal_toIsEEEE10hipError_tPvRmT2_T3_mT4_T5_T6_T7_T8_P12ihipStream_tbENKUlT_T0_E_clISt17integral_constantIbLb1EES13_EEDaSY_SZ_EUlSY_E_NS1_11comp_targetILNS1_3genE0ELNS1_11target_archE4294967295ELNS1_3gpuE0ELNS1_3repE0EEENS1_30default_config_static_selectorELNS0_4arch9wavefront6targetE0EEEvT1_
; %bb.0:
	.section	.rodata,"a",@progbits
	.p2align	6, 0x0
	.amdhsa_kernel _ZN7rocprim17ROCPRIM_400000_NS6detail17trampoline_kernelINS0_14default_configENS1_29reduce_by_key_config_selectorIsjN6thrust23THRUST_200600_302600_NS4plusIjEEEEZZNS1_33reduce_by_key_impl_wrapped_configILNS1_25lookback_scan_determinismE0ES3_S9_NS6_6detail15normal_iteratorINS6_10device_ptrIsEEEENSD_INSE_IjEEEESG_SI_PmS8_NS6_8equal_toIsEEEE10hipError_tPvRmT2_T3_mT4_T5_T6_T7_T8_P12ihipStream_tbENKUlT_T0_E_clISt17integral_constantIbLb1EES13_EEDaSY_SZ_EUlSY_E_NS1_11comp_targetILNS1_3genE0ELNS1_11target_archE4294967295ELNS1_3gpuE0ELNS1_3repE0EEENS1_30default_config_static_selectorELNS0_4arch9wavefront6targetE0EEEvT1_
		.amdhsa_group_segment_fixed_size 0
		.amdhsa_private_segment_fixed_size 0
		.amdhsa_kernarg_size 120
		.amdhsa_user_sgpr_count 15
		.amdhsa_user_sgpr_dispatch_ptr 0
		.amdhsa_user_sgpr_queue_ptr 0
		.amdhsa_user_sgpr_kernarg_segment_ptr 1
		.amdhsa_user_sgpr_dispatch_id 0
		.amdhsa_user_sgpr_private_segment_size 0
		.amdhsa_wavefront_size32 1
		.amdhsa_uses_dynamic_stack 0
		.amdhsa_enable_private_segment 0
		.amdhsa_system_sgpr_workgroup_id_x 1
		.amdhsa_system_sgpr_workgroup_id_y 0
		.amdhsa_system_sgpr_workgroup_id_z 0
		.amdhsa_system_sgpr_workgroup_info 0
		.amdhsa_system_vgpr_workitem_id 0
		.amdhsa_next_free_vgpr 1
		.amdhsa_next_free_sgpr 1
		.amdhsa_reserve_vcc 0
		.amdhsa_float_round_mode_32 0
		.amdhsa_float_round_mode_16_64 0
		.amdhsa_float_denorm_mode_32 3
		.amdhsa_float_denorm_mode_16_64 3
		.amdhsa_dx10_clamp 1
		.amdhsa_ieee_mode 1
		.amdhsa_fp16_overflow 0
		.amdhsa_workgroup_processor_mode 1
		.amdhsa_memory_ordered 1
		.amdhsa_forward_progress 0
		.amdhsa_shared_vgpr_count 0
		.amdhsa_exception_fp_ieee_invalid_op 0
		.amdhsa_exception_fp_denorm_src 0
		.amdhsa_exception_fp_ieee_div_zero 0
		.amdhsa_exception_fp_ieee_overflow 0
		.amdhsa_exception_fp_ieee_underflow 0
		.amdhsa_exception_fp_ieee_inexact 0
		.amdhsa_exception_int_div_zero 0
	.end_amdhsa_kernel
	.section	.text._ZN7rocprim17ROCPRIM_400000_NS6detail17trampoline_kernelINS0_14default_configENS1_29reduce_by_key_config_selectorIsjN6thrust23THRUST_200600_302600_NS4plusIjEEEEZZNS1_33reduce_by_key_impl_wrapped_configILNS1_25lookback_scan_determinismE0ES3_S9_NS6_6detail15normal_iteratorINS6_10device_ptrIsEEEENSD_INSE_IjEEEESG_SI_PmS8_NS6_8equal_toIsEEEE10hipError_tPvRmT2_T3_mT4_T5_T6_T7_T8_P12ihipStream_tbENKUlT_T0_E_clISt17integral_constantIbLb1EES13_EEDaSY_SZ_EUlSY_E_NS1_11comp_targetILNS1_3genE0ELNS1_11target_archE4294967295ELNS1_3gpuE0ELNS1_3repE0EEENS1_30default_config_static_selectorELNS0_4arch9wavefront6targetE0EEEvT1_,"axG",@progbits,_ZN7rocprim17ROCPRIM_400000_NS6detail17trampoline_kernelINS0_14default_configENS1_29reduce_by_key_config_selectorIsjN6thrust23THRUST_200600_302600_NS4plusIjEEEEZZNS1_33reduce_by_key_impl_wrapped_configILNS1_25lookback_scan_determinismE0ES3_S9_NS6_6detail15normal_iteratorINS6_10device_ptrIsEEEENSD_INSE_IjEEEESG_SI_PmS8_NS6_8equal_toIsEEEE10hipError_tPvRmT2_T3_mT4_T5_T6_T7_T8_P12ihipStream_tbENKUlT_T0_E_clISt17integral_constantIbLb1EES13_EEDaSY_SZ_EUlSY_E_NS1_11comp_targetILNS1_3genE0ELNS1_11target_archE4294967295ELNS1_3gpuE0ELNS1_3repE0EEENS1_30default_config_static_selectorELNS0_4arch9wavefront6targetE0EEEvT1_,comdat
.Lfunc_end850:
	.size	_ZN7rocprim17ROCPRIM_400000_NS6detail17trampoline_kernelINS0_14default_configENS1_29reduce_by_key_config_selectorIsjN6thrust23THRUST_200600_302600_NS4plusIjEEEEZZNS1_33reduce_by_key_impl_wrapped_configILNS1_25lookback_scan_determinismE0ES3_S9_NS6_6detail15normal_iteratorINS6_10device_ptrIsEEEENSD_INSE_IjEEEESG_SI_PmS8_NS6_8equal_toIsEEEE10hipError_tPvRmT2_T3_mT4_T5_T6_T7_T8_P12ihipStream_tbENKUlT_T0_E_clISt17integral_constantIbLb1EES13_EEDaSY_SZ_EUlSY_E_NS1_11comp_targetILNS1_3genE0ELNS1_11target_archE4294967295ELNS1_3gpuE0ELNS1_3repE0EEENS1_30default_config_static_selectorELNS0_4arch9wavefront6targetE0EEEvT1_, .Lfunc_end850-_ZN7rocprim17ROCPRIM_400000_NS6detail17trampoline_kernelINS0_14default_configENS1_29reduce_by_key_config_selectorIsjN6thrust23THRUST_200600_302600_NS4plusIjEEEEZZNS1_33reduce_by_key_impl_wrapped_configILNS1_25lookback_scan_determinismE0ES3_S9_NS6_6detail15normal_iteratorINS6_10device_ptrIsEEEENSD_INSE_IjEEEESG_SI_PmS8_NS6_8equal_toIsEEEE10hipError_tPvRmT2_T3_mT4_T5_T6_T7_T8_P12ihipStream_tbENKUlT_T0_E_clISt17integral_constantIbLb1EES13_EEDaSY_SZ_EUlSY_E_NS1_11comp_targetILNS1_3genE0ELNS1_11target_archE4294967295ELNS1_3gpuE0ELNS1_3repE0EEENS1_30default_config_static_selectorELNS0_4arch9wavefront6targetE0EEEvT1_
                                        ; -- End function
	.section	.AMDGPU.csdata,"",@progbits
; Kernel info:
; codeLenInByte = 0
; NumSgprs: 0
; NumVgprs: 0
; ScratchSize: 0
; MemoryBound: 0
; FloatMode: 240
; IeeeMode: 1
; LDSByteSize: 0 bytes/workgroup (compile time only)
; SGPRBlocks: 0
; VGPRBlocks: 0
; NumSGPRsForWavesPerEU: 1
; NumVGPRsForWavesPerEU: 1
; Occupancy: 16
; WaveLimiterHint : 0
; COMPUTE_PGM_RSRC2:SCRATCH_EN: 0
; COMPUTE_PGM_RSRC2:USER_SGPR: 15
; COMPUTE_PGM_RSRC2:TRAP_HANDLER: 0
; COMPUTE_PGM_RSRC2:TGID_X_EN: 1
; COMPUTE_PGM_RSRC2:TGID_Y_EN: 0
; COMPUTE_PGM_RSRC2:TGID_Z_EN: 0
; COMPUTE_PGM_RSRC2:TIDIG_COMP_CNT: 0
	.section	.text._ZN7rocprim17ROCPRIM_400000_NS6detail17trampoline_kernelINS0_14default_configENS1_29reduce_by_key_config_selectorIsjN6thrust23THRUST_200600_302600_NS4plusIjEEEEZZNS1_33reduce_by_key_impl_wrapped_configILNS1_25lookback_scan_determinismE0ES3_S9_NS6_6detail15normal_iteratorINS6_10device_ptrIsEEEENSD_INSE_IjEEEESG_SI_PmS8_NS6_8equal_toIsEEEE10hipError_tPvRmT2_T3_mT4_T5_T6_T7_T8_P12ihipStream_tbENKUlT_T0_E_clISt17integral_constantIbLb1EES13_EEDaSY_SZ_EUlSY_E_NS1_11comp_targetILNS1_3genE5ELNS1_11target_archE942ELNS1_3gpuE9ELNS1_3repE0EEENS1_30default_config_static_selectorELNS0_4arch9wavefront6targetE0EEEvT1_,"axG",@progbits,_ZN7rocprim17ROCPRIM_400000_NS6detail17trampoline_kernelINS0_14default_configENS1_29reduce_by_key_config_selectorIsjN6thrust23THRUST_200600_302600_NS4plusIjEEEEZZNS1_33reduce_by_key_impl_wrapped_configILNS1_25lookback_scan_determinismE0ES3_S9_NS6_6detail15normal_iteratorINS6_10device_ptrIsEEEENSD_INSE_IjEEEESG_SI_PmS8_NS6_8equal_toIsEEEE10hipError_tPvRmT2_T3_mT4_T5_T6_T7_T8_P12ihipStream_tbENKUlT_T0_E_clISt17integral_constantIbLb1EES13_EEDaSY_SZ_EUlSY_E_NS1_11comp_targetILNS1_3genE5ELNS1_11target_archE942ELNS1_3gpuE9ELNS1_3repE0EEENS1_30default_config_static_selectorELNS0_4arch9wavefront6targetE0EEEvT1_,comdat
	.protected	_ZN7rocprim17ROCPRIM_400000_NS6detail17trampoline_kernelINS0_14default_configENS1_29reduce_by_key_config_selectorIsjN6thrust23THRUST_200600_302600_NS4plusIjEEEEZZNS1_33reduce_by_key_impl_wrapped_configILNS1_25lookback_scan_determinismE0ES3_S9_NS6_6detail15normal_iteratorINS6_10device_ptrIsEEEENSD_INSE_IjEEEESG_SI_PmS8_NS6_8equal_toIsEEEE10hipError_tPvRmT2_T3_mT4_T5_T6_T7_T8_P12ihipStream_tbENKUlT_T0_E_clISt17integral_constantIbLb1EES13_EEDaSY_SZ_EUlSY_E_NS1_11comp_targetILNS1_3genE5ELNS1_11target_archE942ELNS1_3gpuE9ELNS1_3repE0EEENS1_30default_config_static_selectorELNS0_4arch9wavefront6targetE0EEEvT1_ ; -- Begin function _ZN7rocprim17ROCPRIM_400000_NS6detail17trampoline_kernelINS0_14default_configENS1_29reduce_by_key_config_selectorIsjN6thrust23THRUST_200600_302600_NS4plusIjEEEEZZNS1_33reduce_by_key_impl_wrapped_configILNS1_25lookback_scan_determinismE0ES3_S9_NS6_6detail15normal_iteratorINS6_10device_ptrIsEEEENSD_INSE_IjEEEESG_SI_PmS8_NS6_8equal_toIsEEEE10hipError_tPvRmT2_T3_mT4_T5_T6_T7_T8_P12ihipStream_tbENKUlT_T0_E_clISt17integral_constantIbLb1EES13_EEDaSY_SZ_EUlSY_E_NS1_11comp_targetILNS1_3genE5ELNS1_11target_archE942ELNS1_3gpuE9ELNS1_3repE0EEENS1_30default_config_static_selectorELNS0_4arch9wavefront6targetE0EEEvT1_
	.globl	_ZN7rocprim17ROCPRIM_400000_NS6detail17trampoline_kernelINS0_14default_configENS1_29reduce_by_key_config_selectorIsjN6thrust23THRUST_200600_302600_NS4plusIjEEEEZZNS1_33reduce_by_key_impl_wrapped_configILNS1_25lookback_scan_determinismE0ES3_S9_NS6_6detail15normal_iteratorINS6_10device_ptrIsEEEENSD_INSE_IjEEEESG_SI_PmS8_NS6_8equal_toIsEEEE10hipError_tPvRmT2_T3_mT4_T5_T6_T7_T8_P12ihipStream_tbENKUlT_T0_E_clISt17integral_constantIbLb1EES13_EEDaSY_SZ_EUlSY_E_NS1_11comp_targetILNS1_3genE5ELNS1_11target_archE942ELNS1_3gpuE9ELNS1_3repE0EEENS1_30default_config_static_selectorELNS0_4arch9wavefront6targetE0EEEvT1_
	.p2align	8
	.type	_ZN7rocprim17ROCPRIM_400000_NS6detail17trampoline_kernelINS0_14default_configENS1_29reduce_by_key_config_selectorIsjN6thrust23THRUST_200600_302600_NS4plusIjEEEEZZNS1_33reduce_by_key_impl_wrapped_configILNS1_25lookback_scan_determinismE0ES3_S9_NS6_6detail15normal_iteratorINS6_10device_ptrIsEEEENSD_INSE_IjEEEESG_SI_PmS8_NS6_8equal_toIsEEEE10hipError_tPvRmT2_T3_mT4_T5_T6_T7_T8_P12ihipStream_tbENKUlT_T0_E_clISt17integral_constantIbLb1EES13_EEDaSY_SZ_EUlSY_E_NS1_11comp_targetILNS1_3genE5ELNS1_11target_archE942ELNS1_3gpuE9ELNS1_3repE0EEENS1_30default_config_static_selectorELNS0_4arch9wavefront6targetE0EEEvT1_,@function
_ZN7rocprim17ROCPRIM_400000_NS6detail17trampoline_kernelINS0_14default_configENS1_29reduce_by_key_config_selectorIsjN6thrust23THRUST_200600_302600_NS4plusIjEEEEZZNS1_33reduce_by_key_impl_wrapped_configILNS1_25lookback_scan_determinismE0ES3_S9_NS6_6detail15normal_iteratorINS6_10device_ptrIsEEEENSD_INSE_IjEEEESG_SI_PmS8_NS6_8equal_toIsEEEE10hipError_tPvRmT2_T3_mT4_T5_T6_T7_T8_P12ihipStream_tbENKUlT_T0_E_clISt17integral_constantIbLb1EES13_EEDaSY_SZ_EUlSY_E_NS1_11comp_targetILNS1_3genE5ELNS1_11target_archE942ELNS1_3gpuE9ELNS1_3repE0EEENS1_30default_config_static_selectorELNS0_4arch9wavefront6targetE0EEEvT1_: ; @_ZN7rocprim17ROCPRIM_400000_NS6detail17trampoline_kernelINS0_14default_configENS1_29reduce_by_key_config_selectorIsjN6thrust23THRUST_200600_302600_NS4plusIjEEEEZZNS1_33reduce_by_key_impl_wrapped_configILNS1_25lookback_scan_determinismE0ES3_S9_NS6_6detail15normal_iteratorINS6_10device_ptrIsEEEENSD_INSE_IjEEEESG_SI_PmS8_NS6_8equal_toIsEEEE10hipError_tPvRmT2_T3_mT4_T5_T6_T7_T8_P12ihipStream_tbENKUlT_T0_E_clISt17integral_constantIbLb1EES13_EEDaSY_SZ_EUlSY_E_NS1_11comp_targetILNS1_3genE5ELNS1_11target_archE942ELNS1_3gpuE9ELNS1_3repE0EEENS1_30default_config_static_selectorELNS0_4arch9wavefront6targetE0EEEvT1_
; %bb.0:
	.section	.rodata,"a",@progbits
	.p2align	6, 0x0
	.amdhsa_kernel _ZN7rocprim17ROCPRIM_400000_NS6detail17trampoline_kernelINS0_14default_configENS1_29reduce_by_key_config_selectorIsjN6thrust23THRUST_200600_302600_NS4plusIjEEEEZZNS1_33reduce_by_key_impl_wrapped_configILNS1_25lookback_scan_determinismE0ES3_S9_NS6_6detail15normal_iteratorINS6_10device_ptrIsEEEENSD_INSE_IjEEEESG_SI_PmS8_NS6_8equal_toIsEEEE10hipError_tPvRmT2_T3_mT4_T5_T6_T7_T8_P12ihipStream_tbENKUlT_T0_E_clISt17integral_constantIbLb1EES13_EEDaSY_SZ_EUlSY_E_NS1_11comp_targetILNS1_3genE5ELNS1_11target_archE942ELNS1_3gpuE9ELNS1_3repE0EEENS1_30default_config_static_selectorELNS0_4arch9wavefront6targetE0EEEvT1_
		.amdhsa_group_segment_fixed_size 0
		.amdhsa_private_segment_fixed_size 0
		.amdhsa_kernarg_size 120
		.amdhsa_user_sgpr_count 15
		.amdhsa_user_sgpr_dispatch_ptr 0
		.amdhsa_user_sgpr_queue_ptr 0
		.amdhsa_user_sgpr_kernarg_segment_ptr 1
		.amdhsa_user_sgpr_dispatch_id 0
		.amdhsa_user_sgpr_private_segment_size 0
		.amdhsa_wavefront_size32 1
		.amdhsa_uses_dynamic_stack 0
		.amdhsa_enable_private_segment 0
		.amdhsa_system_sgpr_workgroup_id_x 1
		.amdhsa_system_sgpr_workgroup_id_y 0
		.amdhsa_system_sgpr_workgroup_id_z 0
		.amdhsa_system_sgpr_workgroup_info 0
		.amdhsa_system_vgpr_workitem_id 0
		.amdhsa_next_free_vgpr 1
		.amdhsa_next_free_sgpr 1
		.amdhsa_reserve_vcc 0
		.amdhsa_float_round_mode_32 0
		.amdhsa_float_round_mode_16_64 0
		.amdhsa_float_denorm_mode_32 3
		.amdhsa_float_denorm_mode_16_64 3
		.amdhsa_dx10_clamp 1
		.amdhsa_ieee_mode 1
		.amdhsa_fp16_overflow 0
		.amdhsa_workgroup_processor_mode 1
		.amdhsa_memory_ordered 1
		.amdhsa_forward_progress 0
		.amdhsa_shared_vgpr_count 0
		.amdhsa_exception_fp_ieee_invalid_op 0
		.amdhsa_exception_fp_denorm_src 0
		.amdhsa_exception_fp_ieee_div_zero 0
		.amdhsa_exception_fp_ieee_overflow 0
		.amdhsa_exception_fp_ieee_underflow 0
		.amdhsa_exception_fp_ieee_inexact 0
		.amdhsa_exception_int_div_zero 0
	.end_amdhsa_kernel
	.section	.text._ZN7rocprim17ROCPRIM_400000_NS6detail17trampoline_kernelINS0_14default_configENS1_29reduce_by_key_config_selectorIsjN6thrust23THRUST_200600_302600_NS4plusIjEEEEZZNS1_33reduce_by_key_impl_wrapped_configILNS1_25lookback_scan_determinismE0ES3_S9_NS6_6detail15normal_iteratorINS6_10device_ptrIsEEEENSD_INSE_IjEEEESG_SI_PmS8_NS6_8equal_toIsEEEE10hipError_tPvRmT2_T3_mT4_T5_T6_T7_T8_P12ihipStream_tbENKUlT_T0_E_clISt17integral_constantIbLb1EES13_EEDaSY_SZ_EUlSY_E_NS1_11comp_targetILNS1_3genE5ELNS1_11target_archE942ELNS1_3gpuE9ELNS1_3repE0EEENS1_30default_config_static_selectorELNS0_4arch9wavefront6targetE0EEEvT1_,"axG",@progbits,_ZN7rocprim17ROCPRIM_400000_NS6detail17trampoline_kernelINS0_14default_configENS1_29reduce_by_key_config_selectorIsjN6thrust23THRUST_200600_302600_NS4plusIjEEEEZZNS1_33reduce_by_key_impl_wrapped_configILNS1_25lookback_scan_determinismE0ES3_S9_NS6_6detail15normal_iteratorINS6_10device_ptrIsEEEENSD_INSE_IjEEEESG_SI_PmS8_NS6_8equal_toIsEEEE10hipError_tPvRmT2_T3_mT4_T5_T6_T7_T8_P12ihipStream_tbENKUlT_T0_E_clISt17integral_constantIbLb1EES13_EEDaSY_SZ_EUlSY_E_NS1_11comp_targetILNS1_3genE5ELNS1_11target_archE942ELNS1_3gpuE9ELNS1_3repE0EEENS1_30default_config_static_selectorELNS0_4arch9wavefront6targetE0EEEvT1_,comdat
.Lfunc_end851:
	.size	_ZN7rocprim17ROCPRIM_400000_NS6detail17trampoline_kernelINS0_14default_configENS1_29reduce_by_key_config_selectorIsjN6thrust23THRUST_200600_302600_NS4plusIjEEEEZZNS1_33reduce_by_key_impl_wrapped_configILNS1_25lookback_scan_determinismE0ES3_S9_NS6_6detail15normal_iteratorINS6_10device_ptrIsEEEENSD_INSE_IjEEEESG_SI_PmS8_NS6_8equal_toIsEEEE10hipError_tPvRmT2_T3_mT4_T5_T6_T7_T8_P12ihipStream_tbENKUlT_T0_E_clISt17integral_constantIbLb1EES13_EEDaSY_SZ_EUlSY_E_NS1_11comp_targetILNS1_3genE5ELNS1_11target_archE942ELNS1_3gpuE9ELNS1_3repE0EEENS1_30default_config_static_selectorELNS0_4arch9wavefront6targetE0EEEvT1_, .Lfunc_end851-_ZN7rocprim17ROCPRIM_400000_NS6detail17trampoline_kernelINS0_14default_configENS1_29reduce_by_key_config_selectorIsjN6thrust23THRUST_200600_302600_NS4plusIjEEEEZZNS1_33reduce_by_key_impl_wrapped_configILNS1_25lookback_scan_determinismE0ES3_S9_NS6_6detail15normal_iteratorINS6_10device_ptrIsEEEENSD_INSE_IjEEEESG_SI_PmS8_NS6_8equal_toIsEEEE10hipError_tPvRmT2_T3_mT4_T5_T6_T7_T8_P12ihipStream_tbENKUlT_T0_E_clISt17integral_constantIbLb1EES13_EEDaSY_SZ_EUlSY_E_NS1_11comp_targetILNS1_3genE5ELNS1_11target_archE942ELNS1_3gpuE9ELNS1_3repE0EEENS1_30default_config_static_selectorELNS0_4arch9wavefront6targetE0EEEvT1_
                                        ; -- End function
	.section	.AMDGPU.csdata,"",@progbits
; Kernel info:
; codeLenInByte = 0
; NumSgprs: 0
; NumVgprs: 0
; ScratchSize: 0
; MemoryBound: 0
; FloatMode: 240
; IeeeMode: 1
; LDSByteSize: 0 bytes/workgroup (compile time only)
; SGPRBlocks: 0
; VGPRBlocks: 0
; NumSGPRsForWavesPerEU: 1
; NumVGPRsForWavesPerEU: 1
; Occupancy: 16
; WaveLimiterHint : 0
; COMPUTE_PGM_RSRC2:SCRATCH_EN: 0
; COMPUTE_PGM_RSRC2:USER_SGPR: 15
; COMPUTE_PGM_RSRC2:TRAP_HANDLER: 0
; COMPUTE_PGM_RSRC2:TGID_X_EN: 1
; COMPUTE_PGM_RSRC2:TGID_Y_EN: 0
; COMPUTE_PGM_RSRC2:TGID_Z_EN: 0
; COMPUTE_PGM_RSRC2:TIDIG_COMP_CNT: 0
	.section	.text._ZN7rocprim17ROCPRIM_400000_NS6detail17trampoline_kernelINS0_14default_configENS1_29reduce_by_key_config_selectorIsjN6thrust23THRUST_200600_302600_NS4plusIjEEEEZZNS1_33reduce_by_key_impl_wrapped_configILNS1_25lookback_scan_determinismE0ES3_S9_NS6_6detail15normal_iteratorINS6_10device_ptrIsEEEENSD_INSE_IjEEEESG_SI_PmS8_NS6_8equal_toIsEEEE10hipError_tPvRmT2_T3_mT4_T5_T6_T7_T8_P12ihipStream_tbENKUlT_T0_E_clISt17integral_constantIbLb1EES13_EEDaSY_SZ_EUlSY_E_NS1_11comp_targetILNS1_3genE4ELNS1_11target_archE910ELNS1_3gpuE8ELNS1_3repE0EEENS1_30default_config_static_selectorELNS0_4arch9wavefront6targetE0EEEvT1_,"axG",@progbits,_ZN7rocprim17ROCPRIM_400000_NS6detail17trampoline_kernelINS0_14default_configENS1_29reduce_by_key_config_selectorIsjN6thrust23THRUST_200600_302600_NS4plusIjEEEEZZNS1_33reduce_by_key_impl_wrapped_configILNS1_25lookback_scan_determinismE0ES3_S9_NS6_6detail15normal_iteratorINS6_10device_ptrIsEEEENSD_INSE_IjEEEESG_SI_PmS8_NS6_8equal_toIsEEEE10hipError_tPvRmT2_T3_mT4_T5_T6_T7_T8_P12ihipStream_tbENKUlT_T0_E_clISt17integral_constantIbLb1EES13_EEDaSY_SZ_EUlSY_E_NS1_11comp_targetILNS1_3genE4ELNS1_11target_archE910ELNS1_3gpuE8ELNS1_3repE0EEENS1_30default_config_static_selectorELNS0_4arch9wavefront6targetE0EEEvT1_,comdat
	.protected	_ZN7rocprim17ROCPRIM_400000_NS6detail17trampoline_kernelINS0_14default_configENS1_29reduce_by_key_config_selectorIsjN6thrust23THRUST_200600_302600_NS4plusIjEEEEZZNS1_33reduce_by_key_impl_wrapped_configILNS1_25lookback_scan_determinismE0ES3_S9_NS6_6detail15normal_iteratorINS6_10device_ptrIsEEEENSD_INSE_IjEEEESG_SI_PmS8_NS6_8equal_toIsEEEE10hipError_tPvRmT2_T3_mT4_T5_T6_T7_T8_P12ihipStream_tbENKUlT_T0_E_clISt17integral_constantIbLb1EES13_EEDaSY_SZ_EUlSY_E_NS1_11comp_targetILNS1_3genE4ELNS1_11target_archE910ELNS1_3gpuE8ELNS1_3repE0EEENS1_30default_config_static_selectorELNS0_4arch9wavefront6targetE0EEEvT1_ ; -- Begin function _ZN7rocprim17ROCPRIM_400000_NS6detail17trampoline_kernelINS0_14default_configENS1_29reduce_by_key_config_selectorIsjN6thrust23THRUST_200600_302600_NS4plusIjEEEEZZNS1_33reduce_by_key_impl_wrapped_configILNS1_25lookback_scan_determinismE0ES3_S9_NS6_6detail15normal_iteratorINS6_10device_ptrIsEEEENSD_INSE_IjEEEESG_SI_PmS8_NS6_8equal_toIsEEEE10hipError_tPvRmT2_T3_mT4_T5_T6_T7_T8_P12ihipStream_tbENKUlT_T0_E_clISt17integral_constantIbLb1EES13_EEDaSY_SZ_EUlSY_E_NS1_11comp_targetILNS1_3genE4ELNS1_11target_archE910ELNS1_3gpuE8ELNS1_3repE0EEENS1_30default_config_static_selectorELNS0_4arch9wavefront6targetE0EEEvT1_
	.globl	_ZN7rocprim17ROCPRIM_400000_NS6detail17trampoline_kernelINS0_14default_configENS1_29reduce_by_key_config_selectorIsjN6thrust23THRUST_200600_302600_NS4plusIjEEEEZZNS1_33reduce_by_key_impl_wrapped_configILNS1_25lookback_scan_determinismE0ES3_S9_NS6_6detail15normal_iteratorINS6_10device_ptrIsEEEENSD_INSE_IjEEEESG_SI_PmS8_NS6_8equal_toIsEEEE10hipError_tPvRmT2_T3_mT4_T5_T6_T7_T8_P12ihipStream_tbENKUlT_T0_E_clISt17integral_constantIbLb1EES13_EEDaSY_SZ_EUlSY_E_NS1_11comp_targetILNS1_3genE4ELNS1_11target_archE910ELNS1_3gpuE8ELNS1_3repE0EEENS1_30default_config_static_selectorELNS0_4arch9wavefront6targetE0EEEvT1_
	.p2align	8
	.type	_ZN7rocprim17ROCPRIM_400000_NS6detail17trampoline_kernelINS0_14default_configENS1_29reduce_by_key_config_selectorIsjN6thrust23THRUST_200600_302600_NS4plusIjEEEEZZNS1_33reduce_by_key_impl_wrapped_configILNS1_25lookback_scan_determinismE0ES3_S9_NS6_6detail15normal_iteratorINS6_10device_ptrIsEEEENSD_INSE_IjEEEESG_SI_PmS8_NS6_8equal_toIsEEEE10hipError_tPvRmT2_T3_mT4_T5_T6_T7_T8_P12ihipStream_tbENKUlT_T0_E_clISt17integral_constantIbLb1EES13_EEDaSY_SZ_EUlSY_E_NS1_11comp_targetILNS1_3genE4ELNS1_11target_archE910ELNS1_3gpuE8ELNS1_3repE0EEENS1_30default_config_static_selectorELNS0_4arch9wavefront6targetE0EEEvT1_,@function
_ZN7rocprim17ROCPRIM_400000_NS6detail17trampoline_kernelINS0_14default_configENS1_29reduce_by_key_config_selectorIsjN6thrust23THRUST_200600_302600_NS4plusIjEEEEZZNS1_33reduce_by_key_impl_wrapped_configILNS1_25lookback_scan_determinismE0ES3_S9_NS6_6detail15normal_iteratorINS6_10device_ptrIsEEEENSD_INSE_IjEEEESG_SI_PmS8_NS6_8equal_toIsEEEE10hipError_tPvRmT2_T3_mT4_T5_T6_T7_T8_P12ihipStream_tbENKUlT_T0_E_clISt17integral_constantIbLb1EES13_EEDaSY_SZ_EUlSY_E_NS1_11comp_targetILNS1_3genE4ELNS1_11target_archE910ELNS1_3gpuE8ELNS1_3repE0EEENS1_30default_config_static_selectorELNS0_4arch9wavefront6targetE0EEEvT1_: ; @_ZN7rocprim17ROCPRIM_400000_NS6detail17trampoline_kernelINS0_14default_configENS1_29reduce_by_key_config_selectorIsjN6thrust23THRUST_200600_302600_NS4plusIjEEEEZZNS1_33reduce_by_key_impl_wrapped_configILNS1_25lookback_scan_determinismE0ES3_S9_NS6_6detail15normal_iteratorINS6_10device_ptrIsEEEENSD_INSE_IjEEEESG_SI_PmS8_NS6_8equal_toIsEEEE10hipError_tPvRmT2_T3_mT4_T5_T6_T7_T8_P12ihipStream_tbENKUlT_T0_E_clISt17integral_constantIbLb1EES13_EEDaSY_SZ_EUlSY_E_NS1_11comp_targetILNS1_3genE4ELNS1_11target_archE910ELNS1_3gpuE8ELNS1_3repE0EEENS1_30default_config_static_selectorELNS0_4arch9wavefront6targetE0EEEvT1_
; %bb.0:
	.section	.rodata,"a",@progbits
	.p2align	6, 0x0
	.amdhsa_kernel _ZN7rocprim17ROCPRIM_400000_NS6detail17trampoline_kernelINS0_14default_configENS1_29reduce_by_key_config_selectorIsjN6thrust23THRUST_200600_302600_NS4plusIjEEEEZZNS1_33reduce_by_key_impl_wrapped_configILNS1_25lookback_scan_determinismE0ES3_S9_NS6_6detail15normal_iteratorINS6_10device_ptrIsEEEENSD_INSE_IjEEEESG_SI_PmS8_NS6_8equal_toIsEEEE10hipError_tPvRmT2_T3_mT4_T5_T6_T7_T8_P12ihipStream_tbENKUlT_T0_E_clISt17integral_constantIbLb1EES13_EEDaSY_SZ_EUlSY_E_NS1_11comp_targetILNS1_3genE4ELNS1_11target_archE910ELNS1_3gpuE8ELNS1_3repE0EEENS1_30default_config_static_selectorELNS0_4arch9wavefront6targetE0EEEvT1_
		.amdhsa_group_segment_fixed_size 0
		.amdhsa_private_segment_fixed_size 0
		.amdhsa_kernarg_size 120
		.amdhsa_user_sgpr_count 15
		.amdhsa_user_sgpr_dispatch_ptr 0
		.amdhsa_user_sgpr_queue_ptr 0
		.amdhsa_user_sgpr_kernarg_segment_ptr 1
		.amdhsa_user_sgpr_dispatch_id 0
		.amdhsa_user_sgpr_private_segment_size 0
		.amdhsa_wavefront_size32 1
		.amdhsa_uses_dynamic_stack 0
		.amdhsa_enable_private_segment 0
		.amdhsa_system_sgpr_workgroup_id_x 1
		.amdhsa_system_sgpr_workgroup_id_y 0
		.amdhsa_system_sgpr_workgroup_id_z 0
		.amdhsa_system_sgpr_workgroup_info 0
		.amdhsa_system_vgpr_workitem_id 0
		.amdhsa_next_free_vgpr 1
		.amdhsa_next_free_sgpr 1
		.amdhsa_reserve_vcc 0
		.amdhsa_float_round_mode_32 0
		.amdhsa_float_round_mode_16_64 0
		.amdhsa_float_denorm_mode_32 3
		.amdhsa_float_denorm_mode_16_64 3
		.amdhsa_dx10_clamp 1
		.amdhsa_ieee_mode 1
		.amdhsa_fp16_overflow 0
		.amdhsa_workgroup_processor_mode 1
		.amdhsa_memory_ordered 1
		.amdhsa_forward_progress 0
		.amdhsa_shared_vgpr_count 0
		.amdhsa_exception_fp_ieee_invalid_op 0
		.amdhsa_exception_fp_denorm_src 0
		.amdhsa_exception_fp_ieee_div_zero 0
		.amdhsa_exception_fp_ieee_overflow 0
		.amdhsa_exception_fp_ieee_underflow 0
		.amdhsa_exception_fp_ieee_inexact 0
		.amdhsa_exception_int_div_zero 0
	.end_amdhsa_kernel
	.section	.text._ZN7rocprim17ROCPRIM_400000_NS6detail17trampoline_kernelINS0_14default_configENS1_29reduce_by_key_config_selectorIsjN6thrust23THRUST_200600_302600_NS4plusIjEEEEZZNS1_33reduce_by_key_impl_wrapped_configILNS1_25lookback_scan_determinismE0ES3_S9_NS6_6detail15normal_iteratorINS6_10device_ptrIsEEEENSD_INSE_IjEEEESG_SI_PmS8_NS6_8equal_toIsEEEE10hipError_tPvRmT2_T3_mT4_T5_T6_T7_T8_P12ihipStream_tbENKUlT_T0_E_clISt17integral_constantIbLb1EES13_EEDaSY_SZ_EUlSY_E_NS1_11comp_targetILNS1_3genE4ELNS1_11target_archE910ELNS1_3gpuE8ELNS1_3repE0EEENS1_30default_config_static_selectorELNS0_4arch9wavefront6targetE0EEEvT1_,"axG",@progbits,_ZN7rocprim17ROCPRIM_400000_NS6detail17trampoline_kernelINS0_14default_configENS1_29reduce_by_key_config_selectorIsjN6thrust23THRUST_200600_302600_NS4plusIjEEEEZZNS1_33reduce_by_key_impl_wrapped_configILNS1_25lookback_scan_determinismE0ES3_S9_NS6_6detail15normal_iteratorINS6_10device_ptrIsEEEENSD_INSE_IjEEEESG_SI_PmS8_NS6_8equal_toIsEEEE10hipError_tPvRmT2_T3_mT4_T5_T6_T7_T8_P12ihipStream_tbENKUlT_T0_E_clISt17integral_constantIbLb1EES13_EEDaSY_SZ_EUlSY_E_NS1_11comp_targetILNS1_3genE4ELNS1_11target_archE910ELNS1_3gpuE8ELNS1_3repE0EEENS1_30default_config_static_selectorELNS0_4arch9wavefront6targetE0EEEvT1_,comdat
.Lfunc_end852:
	.size	_ZN7rocprim17ROCPRIM_400000_NS6detail17trampoline_kernelINS0_14default_configENS1_29reduce_by_key_config_selectorIsjN6thrust23THRUST_200600_302600_NS4plusIjEEEEZZNS1_33reduce_by_key_impl_wrapped_configILNS1_25lookback_scan_determinismE0ES3_S9_NS6_6detail15normal_iteratorINS6_10device_ptrIsEEEENSD_INSE_IjEEEESG_SI_PmS8_NS6_8equal_toIsEEEE10hipError_tPvRmT2_T3_mT4_T5_T6_T7_T8_P12ihipStream_tbENKUlT_T0_E_clISt17integral_constantIbLb1EES13_EEDaSY_SZ_EUlSY_E_NS1_11comp_targetILNS1_3genE4ELNS1_11target_archE910ELNS1_3gpuE8ELNS1_3repE0EEENS1_30default_config_static_selectorELNS0_4arch9wavefront6targetE0EEEvT1_, .Lfunc_end852-_ZN7rocprim17ROCPRIM_400000_NS6detail17trampoline_kernelINS0_14default_configENS1_29reduce_by_key_config_selectorIsjN6thrust23THRUST_200600_302600_NS4plusIjEEEEZZNS1_33reduce_by_key_impl_wrapped_configILNS1_25lookback_scan_determinismE0ES3_S9_NS6_6detail15normal_iteratorINS6_10device_ptrIsEEEENSD_INSE_IjEEEESG_SI_PmS8_NS6_8equal_toIsEEEE10hipError_tPvRmT2_T3_mT4_T5_T6_T7_T8_P12ihipStream_tbENKUlT_T0_E_clISt17integral_constantIbLb1EES13_EEDaSY_SZ_EUlSY_E_NS1_11comp_targetILNS1_3genE4ELNS1_11target_archE910ELNS1_3gpuE8ELNS1_3repE0EEENS1_30default_config_static_selectorELNS0_4arch9wavefront6targetE0EEEvT1_
                                        ; -- End function
	.section	.AMDGPU.csdata,"",@progbits
; Kernel info:
; codeLenInByte = 0
; NumSgprs: 0
; NumVgprs: 0
; ScratchSize: 0
; MemoryBound: 0
; FloatMode: 240
; IeeeMode: 1
; LDSByteSize: 0 bytes/workgroup (compile time only)
; SGPRBlocks: 0
; VGPRBlocks: 0
; NumSGPRsForWavesPerEU: 1
; NumVGPRsForWavesPerEU: 1
; Occupancy: 16
; WaveLimiterHint : 0
; COMPUTE_PGM_RSRC2:SCRATCH_EN: 0
; COMPUTE_PGM_RSRC2:USER_SGPR: 15
; COMPUTE_PGM_RSRC2:TRAP_HANDLER: 0
; COMPUTE_PGM_RSRC2:TGID_X_EN: 1
; COMPUTE_PGM_RSRC2:TGID_Y_EN: 0
; COMPUTE_PGM_RSRC2:TGID_Z_EN: 0
; COMPUTE_PGM_RSRC2:TIDIG_COMP_CNT: 0
	.section	.text._ZN7rocprim17ROCPRIM_400000_NS6detail17trampoline_kernelINS0_14default_configENS1_29reduce_by_key_config_selectorIsjN6thrust23THRUST_200600_302600_NS4plusIjEEEEZZNS1_33reduce_by_key_impl_wrapped_configILNS1_25lookback_scan_determinismE0ES3_S9_NS6_6detail15normal_iteratorINS6_10device_ptrIsEEEENSD_INSE_IjEEEESG_SI_PmS8_NS6_8equal_toIsEEEE10hipError_tPvRmT2_T3_mT4_T5_T6_T7_T8_P12ihipStream_tbENKUlT_T0_E_clISt17integral_constantIbLb1EES13_EEDaSY_SZ_EUlSY_E_NS1_11comp_targetILNS1_3genE3ELNS1_11target_archE908ELNS1_3gpuE7ELNS1_3repE0EEENS1_30default_config_static_selectorELNS0_4arch9wavefront6targetE0EEEvT1_,"axG",@progbits,_ZN7rocprim17ROCPRIM_400000_NS6detail17trampoline_kernelINS0_14default_configENS1_29reduce_by_key_config_selectorIsjN6thrust23THRUST_200600_302600_NS4plusIjEEEEZZNS1_33reduce_by_key_impl_wrapped_configILNS1_25lookback_scan_determinismE0ES3_S9_NS6_6detail15normal_iteratorINS6_10device_ptrIsEEEENSD_INSE_IjEEEESG_SI_PmS8_NS6_8equal_toIsEEEE10hipError_tPvRmT2_T3_mT4_T5_T6_T7_T8_P12ihipStream_tbENKUlT_T0_E_clISt17integral_constantIbLb1EES13_EEDaSY_SZ_EUlSY_E_NS1_11comp_targetILNS1_3genE3ELNS1_11target_archE908ELNS1_3gpuE7ELNS1_3repE0EEENS1_30default_config_static_selectorELNS0_4arch9wavefront6targetE0EEEvT1_,comdat
	.protected	_ZN7rocprim17ROCPRIM_400000_NS6detail17trampoline_kernelINS0_14default_configENS1_29reduce_by_key_config_selectorIsjN6thrust23THRUST_200600_302600_NS4plusIjEEEEZZNS1_33reduce_by_key_impl_wrapped_configILNS1_25lookback_scan_determinismE0ES3_S9_NS6_6detail15normal_iteratorINS6_10device_ptrIsEEEENSD_INSE_IjEEEESG_SI_PmS8_NS6_8equal_toIsEEEE10hipError_tPvRmT2_T3_mT4_T5_T6_T7_T8_P12ihipStream_tbENKUlT_T0_E_clISt17integral_constantIbLb1EES13_EEDaSY_SZ_EUlSY_E_NS1_11comp_targetILNS1_3genE3ELNS1_11target_archE908ELNS1_3gpuE7ELNS1_3repE0EEENS1_30default_config_static_selectorELNS0_4arch9wavefront6targetE0EEEvT1_ ; -- Begin function _ZN7rocprim17ROCPRIM_400000_NS6detail17trampoline_kernelINS0_14default_configENS1_29reduce_by_key_config_selectorIsjN6thrust23THRUST_200600_302600_NS4plusIjEEEEZZNS1_33reduce_by_key_impl_wrapped_configILNS1_25lookback_scan_determinismE0ES3_S9_NS6_6detail15normal_iteratorINS6_10device_ptrIsEEEENSD_INSE_IjEEEESG_SI_PmS8_NS6_8equal_toIsEEEE10hipError_tPvRmT2_T3_mT4_T5_T6_T7_T8_P12ihipStream_tbENKUlT_T0_E_clISt17integral_constantIbLb1EES13_EEDaSY_SZ_EUlSY_E_NS1_11comp_targetILNS1_3genE3ELNS1_11target_archE908ELNS1_3gpuE7ELNS1_3repE0EEENS1_30default_config_static_selectorELNS0_4arch9wavefront6targetE0EEEvT1_
	.globl	_ZN7rocprim17ROCPRIM_400000_NS6detail17trampoline_kernelINS0_14default_configENS1_29reduce_by_key_config_selectorIsjN6thrust23THRUST_200600_302600_NS4plusIjEEEEZZNS1_33reduce_by_key_impl_wrapped_configILNS1_25lookback_scan_determinismE0ES3_S9_NS6_6detail15normal_iteratorINS6_10device_ptrIsEEEENSD_INSE_IjEEEESG_SI_PmS8_NS6_8equal_toIsEEEE10hipError_tPvRmT2_T3_mT4_T5_T6_T7_T8_P12ihipStream_tbENKUlT_T0_E_clISt17integral_constantIbLb1EES13_EEDaSY_SZ_EUlSY_E_NS1_11comp_targetILNS1_3genE3ELNS1_11target_archE908ELNS1_3gpuE7ELNS1_3repE0EEENS1_30default_config_static_selectorELNS0_4arch9wavefront6targetE0EEEvT1_
	.p2align	8
	.type	_ZN7rocprim17ROCPRIM_400000_NS6detail17trampoline_kernelINS0_14default_configENS1_29reduce_by_key_config_selectorIsjN6thrust23THRUST_200600_302600_NS4plusIjEEEEZZNS1_33reduce_by_key_impl_wrapped_configILNS1_25lookback_scan_determinismE0ES3_S9_NS6_6detail15normal_iteratorINS6_10device_ptrIsEEEENSD_INSE_IjEEEESG_SI_PmS8_NS6_8equal_toIsEEEE10hipError_tPvRmT2_T3_mT4_T5_T6_T7_T8_P12ihipStream_tbENKUlT_T0_E_clISt17integral_constantIbLb1EES13_EEDaSY_SZ_EUlSY_E_NS1_11comp_targetILNS1_3genE3ELNS1_11target_archE908ELNS1_3gpuE7ELNS1_3repE0EEENS1_30default_config_static_selectorELNS0_4arch9wavefront6targetE0EEEvT1_,@function
_ZN7rocprim17ROCPRIM_400000_NS6detail17trampoline_kernelINS0_14default_configENS1_29reduce_by_key_config_selectorIsjN6thrust23THRUST_200600_302600_NS4plusIjEEEEZZNS1_33reduce_by_key_impl_wrapped_configILNS1_25lookback_scan_determinismE0ES3_S9_NS6_6detail15normal_iteratorINS6_10device_ptrIsEEEENSD_INSE_IjEEEESG_SI_PmS8_NS6_8equal_toIsEEEE10hipError_tPvRmT2_T3_mT4_T5_T6_T7_T8_P12ihipStream_tbENKUlT_T0_E_clISt17integral_constantIbLb1EES13_EEDaSY_SZ_EUlSY_E_NS1_11comp_targetILNS1_3genE3ELNS1_11target_archE908ELNS1_3gpuE7ELNS1_3repE0EEENS1_30default_config_static_selectorELNS0_4arch9wavefront6targetE0EEEvT1_: ; @_ZN7rocprim17ROCPRIM_400000_NS6detail17trampoline_kernelINS0_14default_configENS1_29reduce_by_key_config_selectorIsjN6thrust23THRUST_200600_302600_NS4plusIjEEEEZZNS1_33reduce_by_key_impl_wrapped_configILNS1_25lookback_scan_determinismE0ES3_S9_NS6_6detail15normal_iteratorINS6_10device_ptrIsEEEENSD_INSE_IjEEEESG_SI_PmS8_NS6_8equal_toIsEEEE10hipError_tPvRmT2_T3_mT4_T5_T6_T7_T8_P12ihipStream_tbENKUlT_T0_E_clISt17integral_constantIbLb1EES13_EEDaSY_SZ_EUlSY_E_NS1_11comp_targetILNS1_3genE3ELNS1_11target_archE908ELNS1_3gpuE7ELNS1_3repE0EEENS1_30default_config_static_selectorELNS0_4arch9wavefront6targetE0EEEvT1_
; %bb.0:
	.section	.rodata,"a",@progbits
	.p2align	6, 0x0
	.amdhsa_kernel _ZN7rocprim17ROCPRIM_400000_NS6detail17trampoline_kernelINS0_14default_configENS1_29reduce_by_key_config_selectorIsjN6thrust23THRUST_200600_302600_NS4plusIjEEEEZZNS1_33reduce_by_key_impl_wrapped_configILNS1_25lookback_scan_determinismE0ES3_S9_NS6_6detail15normal_iteratorINS6_10device_ptrIsEEEENSD_INSE_IjEEEESG_SI_PmS8_NS6_8equal_toIsEEEE10hipError_tPvRmT2_T3_mT4_T5_T6_T7_T8_P12ihipStream_tbENKUlT_T0_E_clISt17integral_constantIbLb1EES13_EEDaSY_SZ_EUlSY_E_NS1_11comp_targetILNS1_3genE3ELNS1_11target_archE908ELNS1_3gpuE7ELNS1_3repE0EEENS1_30default_config_static_selectorELNS0_4arch9wavefront6targetE0EEEvT1_
		.amdhsa_group_segment_fixed_size 0
		.amdhsa_private_segment_fixed_size 0
		.amdhsa_kernarg_size 120
		.amdhsa_user_sgpr_count 15
		.amdhsa_user_sgpr_dispatch_ptr 0
		.amdhsa_user_sgpr_queue_ptr 0
		.amdhsa_user_sgpr_kernarg_segment_ptr 1
		.amdhsa_user_sgpr_dispatch_id 0
		.amdhsa_user_sgpr_private_segment_size 0
		.amdhsa_wavefront_size32 1
		.amdhsa_uses_dynamic_stack 0
		.amdhsa_enable_private_segment 0
		.amdhsa_system_sgpr_workgroup_id_x 1
		.amdhsa_system_sgpr_workgroup_id_y 0
		.amdhsa_system_sgpr_workgroup_id_z 0
		.amdhsa_system_sgpr_workgroup_info 0
		.amdhsa_system_vgpr_workitem_id 0
		.amdhsa_next_free_vgpr 1
		.amdhsa_next_free_sgpr 1
		.amdhsa_reserve_vcc 0
		.amdhsa_float_round_mode_32 0
		.amdhsa_float_round_mode_16_64 0
		.amdhsa_float_denorm_mode_32 3
		.amdhsa_float_denorm_mode_16_64 3
		.amdhsa_dx10_clamp 1
		.amdhsa_ieee_mode 1
		.amdhsa_fp16_overflow 0
		.amdhsa_workgroup_processor_mode 1
		.amdhsa_memory_ordered 1
		.amdhsa_forward_progress 0
		.amdhsa_shared_vgpr_count 0
		.amdhsa_exception_fp_ieee_invalid_op 0
		.amdhsa_exception_fp_denorm_src 0
		.amdhsa_exception_fp_ieee_div_zero 0
		.amdhsa_exception_fp_ieee_overflow 0
		.amdhsa_exception_fp_ieee_underflow 0
		.amdhsa_exception_fp_ieee_inexact 0
		.amdhsa_exception_int_div_zero 0
	.end_amdhsa_kernel
	.section	.text._ZN7rocprim17ROCPRIM_400000_NS6detail17trampoline_kernelINS0_14default_configENS1_29reduce_by_key_config_selectorIsjN6thrust23THRUST_200600_302600_NS4plusIjEEEEZZNS1_33reduce_by_key_impl_wrapped_configILNS1_25lookback_scan_determinismE0ES3_S9_NS6_6detail15normal_iteratorINS6_10device_ptrIsEEEENSD_INSE_IjEEEESG_SI_PmS8_NS6_8equal_toIsEEEE10hipError_tPvRmT2_T3_mT4_T5_T6_T7_T8_P12ihipStream_tbENKUlT_T0_E_clISt17integral_constantIbLb1EES13_EEDaSY_SZ_EUlSY_E_NS1_11comp_targetILNS1_3genE3ELNS1_11target_archE908ELNS1_3gpuE7ELNS1_3repE0EEENS1_30default_config_static_selectorELNS0_4arch9wavefront6targetE0EEEvT1_,"axG",@progbits,_ZN7rocprim17ROCPRIM_400000_NS6detail17trampoline_kernelINS0_14default_configENS1_29reduce_by_key_config_selectorIsjN6thrust23THRUST_200600_302600_NS4plusIjEEEEZZNS1_33reduce_by_key_impl_wrapped_configILNS1_25lookback_scan_determinismE0ES3_S9_NS6_6detail15normal_iteratorINS6_10device_ptrIsEEEENSD_INSE_IjEEEESG_SI_PmS8_NS6_8equal_toIsEEEE10hipError_tPvRmT2_T3_mT4_T5_T6_T7_T8_P12ihipStream_tbENKUlT_T0_E_clISt17integral_constantIbLb1EES13_EEDaSY_SZ_EUlSY_E_NS1_11comp_targetILNS1_3genE3ELNS1_11target_archE908ELNS1_3gpuE7ELNS1_3repE0EEENS1_30default_config_static_selectorELNS0_4arch9wavefront6targetE0EEEvT1_,comdat
.Lfunc_end853:
	.size	_ZN7rocprim17ROCPRIM_400000_NS6detail17trampoline_kernelINS0_14default_configENS1_29reduce_by_key_config_selectorIsjN6thrust23THRUST_200600_302600_NS4plusIjEEEEZZNS1_33reduce_by_key_impl_wrapped_configILNS1_25lookback_scan_determinismE0ES3_S9_NS6_6detail15normal_iteratorINS6_10device_ptrIsEEEENSD_INSE_IjEEEESG_SI_PmS8_NS6_8equal_toIsEEEE10hipError_tPvRmT2_T3_mT4_T5_T6_T7_T8_P12ihipStream_tbENKUlT_T0_E_clISt17integral_constantIbLb1EES13_EEDaSY_SZ_EUlSY_E_NS1_11comp_targetILNS1_3genE3ELNS1_11target_archE908ELNS1_3gpuE7ELNS1_3repE0EEENS1_30default_config_static_selectorELNS0_4arch9wavefront6targetE0EEEvT1_, .Lfunc_end853-_ZN7rocprim17ROCPRIM_400000_NS6detail17trampoline_kernelINS0_14default_configENS1_29reduce_by_key_config_selectorIsjN6thrust23THRUST_200600_302600_NS4plusIjEEEEZZNS1_33reduce_by_key_impl_wrapped_configILNS1_25lookback_scan_determinismE0ES3_S9_NS6_6detail15normal_iteratorINS6_10device_ptrIsEEEENSD_INSE_IjEEEESG_SI_PmS8_NS6_8equal_toIsEEEE10hipError_tPvRmT2_T3_mT4_T5_T6_T7_T8_P12ihipStream_tbENKUlT_T0_E_clISt17integral_constantIbLb1EES13_EEDaSY_SZ_EUlSY_E_NS1_11comp_targetILNS1_3genE3ELNS1_11target_archE908ELNS1_3gpuE7ELNS1_3repE0EEENS1_30default_config_static_selectorELNS0_4arch9wavefront6targetE0EEEvT1_
                                        ; -- End function
	.section	.AMDGPU.csdata,"",@progbits
; Kernel info:
; codeLenInByte = 0
; NumSgprs: 0
; NumVgprs: 0
; ScratchSize: 0
; MemoryBound: 0
; FloatMode: 240
; IeeeMode: 1
; LDSByteSize: 0 bytes/workgroup (compile time only)
; SGPRBlocks: 0
; VGPRBlocks: 0
; NumSGPRsForWavesPerEU: 1
; NumVGPRsForWavesPerEU: 1
; Occupancy: 16
; WaveLimiterHint : 0
; COMPUTE_PGM_RSRC2:SCRATCH_EN: 0
; COMPUTE_PGM_RSRC2:USER_SGPR: 15
; COMPUTE_PGM_RSRC2:TRAP_HANDLER: 0
; COMPUTE_PGM_RSRC2:TGID_X_EN: 1
; COMPUTE_PGM_RSRC2:TGID_Y_EN: 0
; COMPUTE_PGM_RSRC2:TGID_Z_EN: 0
; COMPUTE_PGM_RSRC2:TIDIG_COMP_CNT: 0
	.section	.text._ZN7rocprim17ROCPRIM_400000_NS6detail17trampoline_kernelINS0_14default_configENS1_29reduce_by_key_config_selectorIsjN6thrust23THRUST_200600_302600_NS4plusIjEEEEZZNS1_33reduce_by_key_impl_wrapped_configILNS1_25lookback_scan_determinismE0ES3_S9_NS6_6detail15normal_iteratorINS6_10device_ptrIsEEEENSD_INSE_IjEEEESG_SI_PmS8_NS6_8equal_toIsEEEE10hipError_tPvRmT2_T3_mT4_T5_T6_T7_T8_P12ihipStream_tbENKUlT_T0_E_clISt17integral_constantIbLb1EES13_EEDaSY_SZ_EUlSY_E_NS1_11comp_targetILNS1_3genE2ELNS1_11target_archE906ELNS1_3gpuE6ELNS1_3repE0EEENS1_30default_config_static_selectorELNS0_4arch9wavefront6targetE0EEEvT1_,"axG",@progbits,_ZN7rocprim17ROCPRIM_400000_NS6detail17trampoline_kernelINS0_14default_configENS1_29reduce_by_key_config_selectorIsjN6thrust23THRUST_200600_302600_NS4plusIjEEEEZZNS1_33reduce_by_key_impl_wrapped_configILNS1_25lookback_scan_determinismE0ES3_S9_NS6_6detail15normal_iteratorINS6_10device_ptrIsEEEENSD_INSE_IjEEEESG_SI_PmS8_NS6_8equal_toIsEEEE10hipError_tPvRmT2_T3_mT4_T5_T6_T7_T8_P12ihipStream_tbENKUlT_T0_E_clISt17integral_constantIbLb1EES13_EEDaSY_SZ_EUlSY_E_NS1_11comp_targetILNS1_3genE2ELNS1_11target_archE906ELNS1_3gpuE6ELNS1_3repE0EEENS1_30default_config_static_selectorELNS0_4arch9wavefront6targetE0EEEvT1_,comdat
	.protected	_ZN7rocprim17ROCPRIM_400000_NS6detail17trampoline_kernelINS0_14default_configENS1_29reduce_by_key_config_selectorIsjN6thrust23THRUST_200600_302600_NS4plusIjEEEEZZNS1_33reduce_by_key_impl_wrapped_configILNS1_25lookback_scan_determinismE0ES3_S9_NS6_6detail15normal_iteratorINS6_10device_ptrIsEEEENSD_INSE_IjEEEESG_SI_PmS8_NS6_8equal_toIsEEEE10hipError_tPvRmT2_T3_mT4_T5_T6_T7_T8_P12ihipStream_tbENKUlT_T0_E_clISt17integral_constantIbLb1EES13_EEDaSY_SZ_EUlSY_E_NS1_11comp_targetILNS1_3genE2ELNS1_11target_archE906ELNS1_3gpuE6ELNS1_3repE0EEENS1_30default_config_static_selectorELNS0_4arch9wavefront6targetE0EEEvT1_ ; -- Begin function _ZN7rocprim17ROCPRIM_400000_NS6detail17trampoline_kernelINS0_14default_configENS1_29reduce_by_key_config_selectorIsjN6thrust23THRUST_200600_302600_NS4plusIjEEEEZZNS1_33reduce_by_key_impl_wrapped_configILNS1_25lookback_scan_determinismE0ES3_S9_NS6_6detail15normal_iteratorINS6_10device_ptrIsEEEENSD_INSE_IjEEEESG_SI_PmS8_NS6_8equal_toIsEEEE10hipError_tPvRmT2_T3_mT4_T5_T6_T7_T8_P12ihipStream_tbENKUlT_T0_E_clISt17integral_constantIbLb1EES13_EEDaSY_SZ_EUlSY_E_NS1_11comp_targetILNS1_3genE2ELNS1_11target_archE906ELNS1_3gpuE6ELNS1_3repE0EEENS1_30default_config_static_selectorELNS0_4arch9wavefront6targetE0EEEvT1_
	.globl	_ZN7rocprim17ROCPRIM_400000_NS6detail17trampoline_kernelINS0_14default_configENS1_29reduce_by_key_config_selectorIsjN6thrust23THRUST_200600_302600_NS4plusIjEEEEZZNS1_33reduce_by_key_impl_wrapped_configILNS1_25lookback_scan_determinismE0ES3_S9_NS6_6detail15normal_iteratorINS6_10device_ptrIsEEEENSD_INSE_IjEEEESG_SI_PmS8_NS6_8equal_toIsEEEE10hipError_tPvRmT2_T3_mT4_T5_T6_T7_T8_P12ihipStream_tbENKUlT_T0_E_clISt17integral_constantIbLb1EES13_EEDaSY_SZ_EUlSY_E_NS1_11comp_targetILNS1_3genE2ELNS1_11target_archE906ELNS1_3gpuE6ELNS1_3repE0EEENS1_30default_config_static_selectorELNS0_4arch9wavefront6targetE0EEEvT1_
	.p2align	8
	.type	_ZN7rocprim17ROCPRIM_400000_NS6detail17trampoline_kernelINS0_14default_configENS1_29reduce_by_key_config_selectorIsjN6thrust23THRUST_200600_302600_NS4plusIjEEEEZZNS1_33reduce_by_key_impl_wrapped_configILNS1_25lookback_scan_determinismE0ES3_S9_NS6_6detail15normal_iteratorINS6_10device_ptrIsEEEENSD_INSE_IjEEEESG_SI_PmS8_NS6_8equal_toIsEEEE10hipError_tPvRmT2_T3_mT4_T5_T6_T7_T8_P12ihipStream_tbENKUlT_T0_E_clISt17integral_constantIbLb1EES13_EEDaSY_SZ_EUlSY_E_NS1_11comp_targetILNS1_3genE2ELNS1_11target_archE906ELNS1_3gpuE6ELNS1_3repE0EEENS1_30default_config_static_selectorELNS0_4arch9wavefront6targetE0EEEvT1_,@function
_ZN7rocprim17ROCPRIM_400000_NS6detail17trampoline_kernelINS0_14default_configENS1_29reduce_by_key_config_selectorIsjN6thrust23THRUST_200600_302600_NS4plusIjEEEEZZNS1_33reduce_by_key_impl_wrapped_configILNS1_25lookback_scan_determinismE0ES3_S9_NS6_6detail15normal_iteratorINS6_10device_ptrIsEEEENSD_INSE_IjEEEESG_SI_PmS8_NS6_8equal_toIsEEEE10hipError_tPvRmT2_T3_mT4_T5_T6_T7_T8_P12ihipStream_tbENKUlT_T0_E_clISt17integral_constantIbLb1EES13_EEDaSY_SZ_EUlSY_E_NS1_11comp_targetILNS1_3genE2ELNS1_11target_archE906ELNS1_3gpuE6ELNS1_3repE0EEENS1_30default_config_static_selectorELNS0_4arch9wavefront6targetE0EEEvT1_: ; @_ZN7rocprim17ROCPRIM_400000_NS6detail17trampoline_kernelINS0_14default_configENS1_29reduce_by_key_config_selectorIsjN6thrust23THRUST_200600_302600_NS4plusIjEEEEZZNS1_33reduce_by_key_impl_wrapped_configILNS1_25lookback_scan_determinismE0ES3_S9_NS6_6detail15normal_iteratorINS6_10device_ptrIsEEEENSD_INSE_IjEEEESG_SI_PmS8_NS6_8equal_toIsEEEE10hipError_tPvRmT2_T3_mT4_T5_T6_T7_T8_P12ihipStream_tbENKUlT_T0_E_clISt17integral_constantIbLb1EES13_EEDaSY_SZ_EUlSY_E_NS1_11comp_targetILNS1_3genE2ELNS1_11target_archE906ELNS1_3gpuE6ELNS1_3repE0EEENS1_30default_config_static_selectorELNS0_4arch9wavefront6targetE0EEEvT1_
; %bb.0:
	.section	.rodata,"a",@progbits
	.p2align	6, 0x0
	.amdhsa_kernel _ZN7rocprim17ROCPRIM_400000_NS6detail17trampoline_kernelINS0_14default_configENS1_29reduce_by_key_config_selectorIsjN6thrust23THRUST_200600_302600_NS4plusIjEEEEZZNS1_33reduce_by_key_impl_wrapped_configILNS1_25lookback_scan_determinismE0ES3_S9_NS6_6detail15normal_iteratorINS6_10device_ptrIsEEEENSD_INSE_IjEEEESG_SI_PmS8_NS6_8equal_toIsEEEE10hipError_tPvRmT2_T3_mT4_T5_T6_T7_T8_P12ihipStream_tbENKUlT_T0_E_clISt17integral_constantIbLb1EES13_EEDaSY_SZ_EUlSY_E_NS1_11comp_targetILNS1_3genE2ELNS1_11target_archE906ELNS1_3gpuE6ELNS1_3repE0EEENS1_30default_config_static_selectorELNS0_4arch9wavefront6targetE0EEEvT1_
		.amdhsa_group_segment_fixed_size 0
		.amdhsa_private_segment_fixed_size 0
		.amdhsa_kernarg_size 120
		.amdhsa_user_sgpr_count 15
		.amdhsa_user_sgpr_dispatch_ptr 0
		.amdhsa_user_sgpr_queue_ptr 0
		.amdhsa_user_sgpr_kernarg_segment_ptr 1
		.amdhsa_user_sgpr_dispatch_id 0
		.amdhsa_user_sgpr_private_segment_size 0
		.amdhsa_wavefront_size32 1
		.amdhsa_uses_dynamic_stack 0
		.amdhsa_enable_private_segment 0
		.amdhsa_system_sgpr_workgroup_id_x 1
		.amdhsa_system_sgpr_workgroup_id_y 0
		.amdhsa_system_sgpr_workgroup_id_z 0
		.amdhsa_system_sgpr_workgroup_info 0
		.amdhsa_system_vgpr_workitem_id 0
		.amdhsa_next_free_vgpr 1
		.amdhsa_next_free_sgpr 1
		.amdhsa_reserve_vcc 0
		.amdhsa_float_round_mode_32 0
		.amdhsa_float_round_mode_16_64 0
		.amdhsa_float_denorm_mode_32 3
		.amdhsa_float_denorm_mode_16_64 3
		.amdhsa_dx10_clamp 1
		.amdhsa_ieee_mode 1
		.amdhsa_fp16_overflow 0
		.amdhsa_workgroup_processor_mode 1
		.amdhsa_memory_ordered 1
		.amdhsa_forward_progress 0
		.amdhsa_shared_vgpr_count 0
		.amdhsa_exception_fp_ieee_invalid_op 0
		.amdhsa_exception_fp_denorm_src 0
		.amdhsa_exception_fp_ieee_div_zero 0
		.amdhsa_exception_fp_ieee_overflow 0
		.amdhsa_exception_fp_ieee_underflow 0
		.amdhsa_exception_fp_ieee_inexact 0
		.amdhsa_exception_int_div_zero 0
	.end_amdhsa_kernel
	.section	.text._ZN7rocprim17ROCPRIM_400000_NS6detail17trampoline_kernelINS0_14default_configENS1_29reduce_by_key_config_selectorIsjN6thrust23THRUST_200600_302600_NS4plusIjEEEEZZNS1_33reduce_by_key_impl_wrapped_configILNS1_25lookback_scan_determinismE0ES3_S9_NS6_6detail15normal_iteratorINS6_10device_ptrIsEEEENSD_INSE_IjEEEESG_SI_PmS8_NS6_8equal_toIsEEEE10hipError_tPvRmT2_T3_mT4_T5_T6_T7_T8_P12ihipStream_tbENKUlT_T0_E_clISt17integral_constantIbLb1EES13_EEDaSY_SZ_EUlSY_E_NS1_11comp_targetILNS1_3genE2ELNS1_11target_archE906ELNS1_3gpuE6ELNS1_3repE0EEENS1_30default_config_static_selectorELNS0_4arch9wavefront6targetE0EEEvT1_,"axG",@progbits,_ZN7rocprim17ROCPRIM_400000_NS6detail17trampoline_kernelINS0_14default_configENS1_29reduce_by_key_config_selectorIsjN6thrust23THRUST_200600_302600_NS4plusIjEEEEZZNS1_33reduce_by_key_impl_wrapped_configILNS1_25lookback_scan_determinismE0ES3_S9_NS6_6detail15normal_iteratorINS6_10device_ptrIsEEEENSD_INSE_IjEEEESG_SI_PmS8_NS6_8equal_toIsEEEE10hipError_tPvRmT2_T3_mT4_T5_T6_T7_T8_P12ihipStream_tbENKUlT_T0_E_clISt17integral_constantIbLb1EES13_EEDaSY_SZ_EUlSY_E_NS1_11comp_targetILNS1_3genE2ELNS1_11target_archE906ELNS1_3gpuE6ELNS1_3repE0EEENS1_30default_config_static_selectorELNS0_4arch9wavefront6targetE0EEEvT1_,comdat
.Lfunc_end854:
	.size	_ZN7rocprim17ROCPRIM_400000_NS6detail17trampoline_kernelINS0_14default_configENS1_29reduce_by_key_config_selectorIsjN6thrust23THRUST_200600_302600_NS4plusIjEEEEZZNS1_33reduce_by_key_impl_wrapped_configILNS1_25lookback_scan_determinismE0ES3_S9_NS6_6detail15normal_iteratorINS6_10device_ptrIsEEEENSD_INSE_IjEEEESG_SI_PmS8_NS6_8equal_toIsEEEE10hipError_tPvRmT2_T3_mT4_T5_T6_T7_T8_P12ihipStream_tbENKUlT_T0_E_clISt17integral_constantIbLb1EES13_EEDaSY_SZ_EUlSY_E_NS1_11comp_targetILNS1_3genE2ELNS1_11target_archE906ELNS1_3gpuE6ELNS1_3repE0EEENS1_30default_config_static_selectorELNS0_4arch9wavefront6targetE0EEEvT1_, .Lfunc_end854-_ZN7rocprim17ROCPRIM_400000_NS6detail17trampoline_kernelINS0_14default_configENS1_29reduce_by_key_config_selectorIsjN6thrust23THRUST_200600_302600_NS4plusIjEEEEZZNS1_33reduce_by_key_impl_wrapped_configILNS1_25lookback_scan_determinismE0ES3_S9_NS6_6detail15normal_iteratorINS6_10device_ptrIsEEEENSD_INSE_IjEEEESG_SI_PmS8_NS6_8equal_toIsEEEE10hipError_tPvRmT2_T3_mT4_T5_T6_T7_T8_P12ihipStream_tbENKUlT_T0_E_clISt17integral_constantIbLb1EES13_EEDaSY_SZ_EUlSY_E_NS1_11comp_targetILNS1_3genE2ELNS1_11target_archE906ELNS1_3gpuE6ELNS1_3repE0EEENS1_30default_config_static_selectorELNS0_4arch9wavefront6targetE0EEEvT1_
                                        ; -- End function
	.section	.AMDGPU.csdata,"",@progbits
; Kernel info:
; codeLenInByte = 0
; NumSgprs: 0
; NumVgprs: 0
; ScratchSize: 0
; MemoryBound: 0
; FloatMode: 240
; IeeeMode: 1
; LDSByteSize: 0 bytes/workgroup (compile time only)
; SGPRBlocks: 0
; VGPRBlocks: 0
; NumSGPRsForWavesPerEU: 1
; NumVGPRsForWavesPerEU: 1
; Occupancy: 16
; WaveLimiterHint : 0
; COMPUTE_PGM_RSRC2:SCRATCH_EN: 0
; COMPUTE_PGM_RSRC2:USER_SGPR: 15
; COMPUTE_PGM_RSRC2:TRAP_HANDLER: 0
; COMPUTE_PGM_RSRC2:TGID_X_EN: 1
; COMPUTE_PGM_RSRC2:TGID_Y_EN: 0
; COMPUTE_PGM_RSRC2:TGID_Z_EN: 0
; COMPUTE_PGM_RSRC2:TIDIG_COMP_CNT: 0
	.section	.text._ZN7rocprim17ROCPRIM_400000_NS6detail17trampoline_kernelINS0_14default_configENS1_29reduce_by_key_config_selectorIsjN6thrust23THRUST_200600_302600_NS4plusIjEEEEZZNS1_33reduce_by_key_impl_wrapped_configILNS1_25lookback_scan_determinismE0ES3_S9_NS6_6detail15normal_iteratorINS6_10device_ptrIsEEEENSD_INSE_IjEEEESG_SI_PmS8_NS6_8equal_toIsEEEE10hipError_tPvRmT2_T3_mT4_T5_T6_T7_T8_P12ihipStream_tbENKUlT_T0_E_clISt17integral_constantIbLb1EES13_EEDaSY_SZ_EUlSY_E_NS1_11comp_targetILNS1_3genE10ELNS1_11target_archE1201ELNS1_3gpuE5ELNS1_3repE0EEENS1_30default_config_static_selectorELNS0_4arch9wavefront6targetE0EEEvT1_,"axG",@progbits,_ZN7rocprim17ROCPRIM_400000_NS6detail17trampoline_kernelINS0_14default_configENS1_29reduce_by_key_config_selectorIsjN6thrust23THRUST_200600_302600_NS4plusIjEEEEZZNS1_33reduce_by_key_impl_wrapped_configILNS1_25lookback_scan_determinismE0ES3_S9_NS6_6detail15normal_iteratorINS6_10device_ptrIsEEEENSD_INSE_IjEEEESG_SI_PmS8_NS6_8equal_toIsEEEE10hipError_tPvRmT2_T3_mT4_T5_T6_T7_T8_P12ihipStream_tbENKUlT_T0_E_clISt17integral_constantIbLb1EES13_EEDaSY_SZ_EUlSY_E_NS1_11comp_targetILNS1_3genE10ELNS1_11target_archE1201ELNS1_3gpuE5ELNS1_3repE0EEENS1_30default_config_static_selectorELNS0_4arch9wavefront6targetE0EEEvT1_,comdat
	.protected	_ZN7rocprim17ROCPRIM_400000_NS6detail17trampoline_kernelINS0_14default_configENS1_29reduce_by_key_config_selectorIsjN6thrust23THRUST_200600_302600_NS4plusIjEEEEZZNS1_33reduce_by_key_impl_wrapped_configILNS1_25lookback_scan_determinismE0ES3_S9_NS6_6detail15normal_iteratorINS6_10device_ptrIsEEEENSD_INSE_IjEEEESG_SI_PmS8_NS6_8equal_toIsEEEE10hipError_tPvRmT2_T3_mT4_T5_T6_T7_T8_P12ihipStream_tbENKUlT_T0_E_clISt17integral_constantIbLb1EES13_EEDaSY_SZ_EUlSY_E_NS1_11comp_targetILNS1_3genE10ELNS1_11target_archE1201ELNS1_3gpuE5ELNS1_3repE0EEENS1_30default_config_static_selectorELNS0_4arch9wavefront6targetE0EEEvT1_ ; -- Begin function _ZN7rocprim17ROCPRIM_400000_NS6detail17trampoline_kernelINS0_14default_configENS1_29reduce_by_key_config_selectorIsjN6thrust23THRUST_200600_302600_NS4plusIjEEEEZZNS1_33reduce_by_key_impl_wrapped_configILNS1_25lookback_scan_determinismE0ES3_S9_NS6_6detail15normal_iteratorINS6_10device_ptrIsEEEENSD_INSE_IjEEEESG_SI_PmS8_NS6_8equal_toIsEEEE10hipError_tPvRmT2_T3_mT4_T5_T6_T7_T8_P12ihipStream_tbENKUlT_T0_E_clISt17integral_constantIbLb1EES13_EEDaSY_SZ_EUlSY_E_NS1_11comp_targetILNS1_3genE10ELNS1_11target_archE1201ELNS1_3gpuE5ELNS1_3repE0EEENS1_30default_config_static_selectorELNS0_4arch9wavefront6targetE0EEEvT1_
	.globl	_ZN7rocprim17ROCPRIM_400000_NS6detail17trampoline_kernelINS0_14default_configENS1_29reduce_by_key_config_selectorIsjN6thrust23THRUST_200600_302600_NS4plusIjEEEEZZNS1_33reduce_by_key_impl_wrapped_configILNS1_25lookback_scan_determinismE0ES3_S9_NS6_6detail15normal_iteratorINS6_10device_ptrIsEEEENSD_INSE_IjEEEESG_SI_PmS8_NS6_8equal_toIsEEEE10hipError_tPvRmT2_T3_mT4_T5_T6_T7_T8_P12ihipStream_tbENKUlT_T0_E_clISt17integral_constantIbLb1EES13_EEDaSY_SZ_EUlSY_E_NS1_11comp_targetILNS1_3genE10ELNS1_11target_archE1201ELNS1_3gpuE5ELNS1_3repE0EEENS1_30default_config_static_selectorELNS0_4arch9wavefront6targetE0EEEvT1_
	.p2align	8
	.type	_ZN7rocprim17ROCPRIM_400000_NS6detail17trampoline_kernelINS0_14default_configENS1_29reduce_by_key_config_selectorIsjN6thrust23THRUST_200600_302600_NS4plusIjEEEEZZNS1_33reduce_by_key_impl_wrapped_configILNS1_25lookback_scan_determinismE0ES3_S9_NS6_6detail15normal_iteratorINS6_10device_ptrIsEEEENSD_INSE_IjEEEESG_SI_PmS8_NS6_8equal_toIsEEEE10hipError_tPvRmT2_T3_mT4_T5_T6_T7_T8_P12ihipStream_tbENKUlT_T0_E_clISt17integral_constantIbLb1EES13_EEDaSY_SZ_EUlSY_E_NS1_11comp_targetILNS1_3genE10ELNS1_11target_archE1201ELNS1_3gpuE5ELNS1_3repE0EEENS1_30default_config_static_selectorELNS0_4arch9wavefront6targetE0EEEvT1_,@function
_ZN7rocprim17ROCPRIM_400000_NS6detail17trampoline_kernelINS0_14default_configENS1_29reduce_by_key_config_selectorIsjN6thrust23THRUST_200600_302600_NS4plusIjEEEEZZNS1_33reduce_by_key_impl_wrapped_configILNS1_25lookback_scan_determinismE0ES3_S9_NS6_6detail15normal_iteratorINS6_10device_ptrIsEEEENSD_INSE_IjEEEESG_SI_PmS8_NS6_8equal_toIsEEEE10hipError_tPvRmT2_T3_mT4_T5_T6_T7_T8_P12ihipStream_tbENKUlT_T0_E_clISt17integral_constantIbLb1EES13_EEDaSY_SZ_EUlSY_E_NS1_11comp_targetILNS1_3genE10ELNS1_11target_archE1201ELNS1_3gpuE5ELNS1_3repE0EEENS1_30default_config_static_selectorELNS0_4arch9wavefront6targetE0EEEvT1_: ; @_ZN7rocprim17ROCPRIM_400000_NS6detail17trampoline_kernelINS0_14default_configENS1_29reduce_by_key_config_selectorIsjN6thrust23THRUST_200600_302600_NS4plusIjEEEEZZNS1_33reduce_by_key_impl_wrapped_configILNS1_25lookback_scan_determinismE0ES3_S9_NS6_6detail15normal_iteratorINS6_10device_ptrIsEEEENSD_INSE_IjEEEESG_SI_PmS8_NS6_8equal_toIsEEEE10hipError_tPvRmT2_T3_mT4_T5_T6_T7_T8_P12ihipStream_tbENKUlT_T0_E_clISt17integral_constantIbLb1EES13_EEDaSY_SZ_EUlSY_E_NS1_11comp_targetILNS1_3genE10ELNS1_11target_archE1201ELNS1_3gpuE5ELNS1_3repE0EEENS1_30default_config_static_selectorELNS0_4arch9wavefront6targetE0EEEvT1_
; %bb.0:
	.section	.rodata,"a",@progbits
	.p2align	6, 0x0
	.amdhsa_kernel _ZN7rocprim17ROCPRIM_400000_NS6detail17trampoline_kernelINS0_14default_configENS1_29reduce_by_key_config_selectorIsjN6thrust23THRUST_200600_302600_NS4plusIjEEEEZZNS1_33reduce_by_key_impl_wrapped_configILNS1_25lookback_scan_determinismE0ES3_S9_NS6_6detail15normal_iteratorINS6_10device_ptrIsEEEENSD_INSE_IjEEEESG_SI_PmS8_NS6_8equal_toIsEEEE10hipError_tPvRmT2_T3_mT4_T5_T6_T7_T8_P12ihipStream_tbENKUlT_T0_E_clISt17integral_constantIbLb1EES13_EEDaSY_SZ_EUlSY_E_NS1_11comp_targetILNS1_3genE10ELNS1_11target_archE1201ELNS1_3gpuE5ELNS1_3repE0EEENS1_30default_config_static_selectorELNS0_4arch9wavefront6targetE0EEEvT1_
		.amdhsa_group_segment_fixed_size 0
		.amdhsa_private_segment_fixed_size 0
		.amdhsa_kernarg_size 120
		.amdhsa_user_sgpr_count 15
		.amdhsa_user_sgpr_dispatch_ptr 0
		.amdhsa_user_sgpr_queue_ptr 0
		.amdhsa_user_sgpr_kernarg_segment_ptr 1
		.amdhsa_user_sgpr_dispatch_id 0
		.amdhsa_user_sgpr_private_segment_size 0
		.amdhsa_wavefront_size32 1
		.amdhsa_uses_dynamic_stack 0
		.amdhsa_enable_private_segment 0
		.amdhsa_system_sgpr_workgroup_id_x 1
		.amdhsa_system_sgpr_workgroup_id_y 0
		.amdhsa_system_sgpr_workgroup_id_z 0
		.amdhsa_system_sgpr_workgroup_info 0
		.amdhsa_system_vgpr_workitem_id 0
		.amdhsa_next_free_vgpr 1
		.amdhsa_next_free_sgpr 1
		.amdhsa_reserve_vcc 0
		.amdhsa_float_round_mode_32 0
		.amdhsa_float_round_mode_16_64 0
		.amdhsa_float_denorm_mode_32 3
		.amdhsa_float_denorm_mode_16_64 3
		.amdhsa_dx10_clamp 1
		.amdhsa_ieee_mode 1
		.amdhsa_fp16_overflow 0
		.amdhsa_workgroup_processor_mode 1
		.amdhsa_memory_ordered 1
		.amdhsa_forward_progress 0
		.amdhsa_shared_vgpr_count 0
		.amdhsa_exception_fp_ieee_invalid_op 0
		.amdhsa_exception_fp_denorm_src 0
		.amdhsa_exception_fp_ieee_div_zero 0
		.amdhsa_exception_fp_ieee_overflow 0
		.amdhsa_exception_fp_ieee_underflow 0
		.amdhsa_exception_fp_ieee_inexact 0
		.amdhsa_exception_int_div_zero 0
	.end_amdhsa_kernel
	.section	.text._ZN7rocprim17ROCPRIM_400000_NS6detail17trampoline_kernelINS0_14default_configENS1_29reduce_by_key_config_selectorIsjN6thrust23THRUST_200600_302600_NS4plusIjEEEEZZNS1_33reduce_by_key_impl_wrapped_configILNS1_25lookback_scan_determinismE0ES3_S9_NS6_6detail15normal_iteratorINS6_10device_ptrIsEEEENSD_INSE_IjEEEESG_SI_PmS8_NS6_8equal_toIsEEEE10hipError_tPvRmT2_T3_mT4_T5_T6_T7_T8_P12ihipStream_tbENKUlT_T0_E_clISt17integral_constantIbLb1EES13_EEDaSY_SZ_EUlSY_E_NS1_11comp_targetILNS1_3genE10ELNS1_11target_archE1201ELNS1_3gpuE5ELNS1_3repE0EEENS1_30default_config_static_selectorELNS0_4arch9wavefront6targetE0EEEvT1_,"axG",@progbits,_ZN7rocprim17ROCPRIM_400000_NS6detail17trampoline_kernelINS0_14default_configENS1_29reduce_by_key_config_selectorIsjN6thrust23THRUST_200600_302600_NS4plusIjEEEEZZNS1_33reduce_by_key_impl_wrapped_configILNS1_25lookback_scan_determinismE0ES3_S9_NS6_6detail15normal_iteratorINS6_10device_ptrIsEEEENSD_INSE_IjEEEESG_SI_PmS8_NS6_8equal_toIsEEEE10hipError_tPvRmT2_T3_mT4_T5_T6_T7_T8_P12ihipStream_tbENKUlT_T0_E_clISt17integral_constantIbLb1EES13_EEDaSY_SZ_EUlSY_E_NS1_11comp_targetILNS1_3genE10ELNS1_11target_archE1201ELNS1_3gpuE5ELNS1_3repE0EEENS1_30default_config_static_selectorELNS0_4arch9wavefront6targetE0EEEvT1_,comdat
.Lfunc_end855:
	.size	_ZN7rocprim17ROCPRIM_400000_NS6detail17trampoline_kernelINS0_14default_configENS1_29reduce_by_key_config_selectorIsjN6thrust23THRUST_200600_302600_NS4plusIjEEEEZZNS1_33reduce_by_key_impl_wrapped_configILNS1_25lookback_scan_determinismE0ES3_S9_NS6_6detail15normal_iteratorINS6_10device_ptrIsEEEENSD_INSE_IjEEEESG_SI_PmS8_NS6_8equal_toIsEEEE10hipError_tPvRmT2_T3_mT4_T5_T6_T7_T8_P12ihipStream_tbENKUlT_T0_E_clISt17integral_constantIbLb1EES13_EEDaSY_SZ_EUlSY_E_NS1_11comp_targetILNS1_3genE10ELNS1_11target_archE1201ELNS1_3gpuE5ELNS1_3repE0EEENS1_30default_config_static_selectorELNS0_4arch9wavefront6targetE0EEEvT1_, .Lfunc_end855-_ZN7rocprim17ROCPRIM_400000_NS6detail17trampoline_kernelINS0_14default_configENS1_29reduce_by_key_config_selectorIsjN6thrust23THRUST_200600_302600_NS4plusIjEEEEZZNS1_33reduce_by_key_impl_wrapped_configILNS1_25lookback_scan_determinismE0ES3_S9_NS6_6detail15normal_iteratorINS6_10device_ptrIsEEEENSD_INSE_IjEEEESG_SI_PmS8_NS6_8equal_toIsEEEE10hipError_tPvRmT2_T3_mT4_T5_T6_T7_T8_P12ihipStream_tbENKUlT_T0_E_clISt17integral_constantIbLb1EES13_EEDaSY_SZ_EUlSY_E_NS1_11comp_targetILNS1_3genE10ELNS1_11target_archE1201ELNS1_3gpuE5ELNS1_3repE0EEENS1_30default_config_static_selectorELNS0_4arch9wavefront6targetE0EEEvT1_
                                        ; -- End function
	.section	.AMDGPU.csdata,"",@progbits
; Kernel info:
; codeLenInByte = 0
; NumSgprs: 0
; NumVgprs: 0
; ScratchSize: 0
; MemoryBound: 0
; FloatMode: 240
; IeeeMode: 1
; LDSByteSize: 0 bytes/workgroup (compile time only)
; SGPRBlocks: 0
; VGPRBlocks: 0
; NumSGPRsForWavesPerEU: 1
; NumVGPRsForWavesPerEU: 1
; Occupancy: 16
; WaveLimiterHint : 0
; COMPUTE_PGM_RSRC2:SCRATCH_EN: 0
; COMPUTE_PGM_RSRC2:USER_SGPR: 15
; COMPUTE_PGM_RSRC2:TRAP_HANDLER: 0
; COMPUTE_PGM_RSRC2:TGID_X_EN: 1
; COMPUTE_PGM_RSRC2:TGID_Y_EN: 0
; COMPUTE_PGM_RSRC2:TGID_Z_EN: 0
; COMPUTE_PGM_RSRC2:TIDIG_COMP_CNT: 0
	.section	.text._ZN7rocprim17ROCPRIM_400000_NS6detail17trampoline_kernelINS0_14default_configENS1_29reduce_by_key_config_selectorIsjN6thrust23THRUST_200600_302600_NS4plusIjEEEEZZNS1_33reduce_by_key_impl_wrapped_configILNS1_25lookback_scan_determinismE0ES3_S9_NS6_6detail15normal_iteratorINS6_10device_ptrIsEEEENSD_INSE_IjEEEESG_SI_PmS8_NS6_8equal_toIsEEEE10hipError_tPvRmT2_T3_mT4_T5_T6_T7_T8_P12ihipStream_tbENKUlT_T0_E_clISt17integral_constantIbLb1EES13_EEDaSY_SZ_EUlSY_E_NS1_11comp_targetILNS1_3genE10ELNS1_11target_archE1200ELNS1_3gpuE4ELNS1_3repE0EEENS1_30default_config_static_selectorELNS0_4arch9wavefront6targetE0EEEvT1_,"axG",@progbits,_ZN7rocprim17ROCPRIM_400000_NS6detail17trampoline_kernelINS0_14default_configENS1_29reduce_by_key_config_selectorIsjN6thrust23THRUST_200600_302600_NS4plusIjEEEEZZNS1_33reduce_by_key_impl_wrapped_configILNS1_25lookback_scan_determinismE0ES3_S9_NS6_6detail15normal_iteratorINS6_10device_ptrIsEEEENSD_INSE_IjEEEESG_SI_PmS8_NS6_8equal_toIsEEEE10hipError_tPvRmT2_T3_mT4_T5_T6_T7_T8_P12ihipStream_tbENKUlT_T0_E_clISt17integral_constantIbLb1EES13_EEDaSY_SZ_EUlSY_E_NS1_11comp_targetILNS1_3genE10ELNS1_11target_archE1200ELNS1_3gpuE4ELNS1_3repE0EEENS1_30default_config_static_selectorELNS0_4arch9wavefront6targetE0EEEvT1_,comdat
	.protected	_ZN7rocprim17ROCPRIM_400000_NS6detail17trampoline_kernelINS0_14default_configENS1_29reduce_by_key_config_selectorIsjN6thrust23THRUST_200600_302600_NS4plusIjEEEEZZNS1_33reduce_by_key_impl_wrapped_configILNS1_25lookback_scan_determinismE0ES3_S9_NS6_6detail15normal_iteratorINS6_10device_ptrIsEEEENSD_INSE_IjEEEESG_SI_PmS8_NS6_8equal_toIsEEEE10hipError_tPvRmT2_T3_mT4_T5_T6_T7_T8_P12ihipStream_tbENKUlT_T0_E_clISt17integral_constantIbLb1EES13_EEDaSY_SZ_EUlSY_E_NS1_11comp_targetILNS1_3genE10ELNS1_11target_archE1200ELNS1_3gpuE4ELNS1_3repE0EEENS1_30default_config_static_selectorELNS0_4arch9wavefront6targetE0EEEvT1_ ; -- Begin function _ZN7rocprim17ROCPRIM_400000_NS6detail17trampoline_kernelINS0_14default_configENS1_29reduce_by_key_config_selectorIsjN6thrust23THRUST_200600_302600_NS4plusIjEEEEZZNS1_33reduce_by_key_impl_wrapped_configILNS1_25lookback_scan_determinismE0ES3_S9_NS6_6detail15normal_iteratorINS6_10device_ptrIsEEEENSD_INSE_IjEEEESG_SI_PmS8_NS6_8equal_toIsEEEE10hipError_tPvRmT2_T3_mT4_T5_T6_T7_T8_P12ihipStream_tbENKUlT_T0_E_clISt17integral_constantIbLb1EES13_EEDaSY_SZ_EUlSY_E_NS1_11comp_targetILNS1_3genE10ELNS1_11target_archE1200ELNS1_3gpuE4ELNS1_3repE0EEENS1_30default_config_static_selectorELNS0_4arch9wavefront6targetE0EEEvT1_
	.globl	_ZN7rocprim17ROCPRIM_400000_NS6detail17trampoline_kernelINS0_14default_configENS1_29reduce_by_key_config_selectorIsjN6thrust23THRUST_200600_302600_NS4plusIjEEEEZZNS1_33reduce_by_key_impl_wrapped_configILNS1_25lookback_scan_determinismE0ES3_S9_NS6_6detail15normal_iteratorINS6_10device_ptrIsEEEENSD_INSE_IjEEEESG_SI_PmS8_NS6_8equal_toIsEEEE10hipError_tPvRmT2_T3_mT4_T5_T6_T7_T8_P12ihipStream_tbENKUlT_T0_E_clISt17integral_constantIbLb1EES13_EEDaSY_SZ_EUlSY_E_NS1_11comp_targetILNS1_3genE10ELNS1_11target_archE1200ELNS1_3gpuE4ELNS1_3repE0EEENS1_30default_config_static_selectorELNS0_4arch9wavefront6targetE0EEEvT1_
	.p2align	8
	.type	_ZN7rocprim17ROCPRIM_400000_NS6detail17trampoline_kernelINS0_14default_configENS1_29reduce_by_key_config_selectorIsjN6thrust23THRUST_200600_302600_NS4plusIjEEEEZZNS1_33reduce_by_key_impl_wrapped_configILNS1_25lookback_scan_determinismE0ES3_S9_NS6_6detail15normal_iteratorINS6_10device_ptrIsEEEENSD_INSE_IjEEEESG_SI_PmS8_NS6_8equal_toIsEEEE10hipError_tPvRmT2_T3_mT4_T5_T6_T7_T8_P12ihipStream_tbENKUlT_T0_E_clISt17integral_constantIbLb1EES13_EEDaSY_SZ_EUlSY_E_NS1_11comp_targetILNS1_3genE10ELNS1_11target_archE1200ELNS1_3gpuE4ELNS1_3repE0EEENS1_30default_config_static_selectorELNS0_4arch9wavefront6targetE0EEEvT1_,@function
_ZN7rocprim17ROCPRIM_400000_NS6detail17trampoline_kernelINS0_14default_configENS1_29reduce_by_key_config_selectorIsjN6thrust23THRUST_200600_302600_NS4plusIjEEEEZZNS1_33reduce_by_key_impl_wrapped_configILNS1_25lookback_scan_determinismE0ES3_S9_NS6_6detail15normal_iteratorINS6_10device_ptrIsEEEENSD_INSE_IjEEEESG_SI_PmS8_NS6_8equal_toIsEEEE10hipError_tPvRmT2_T3_mT4_T5_T6_T7_T8_P12ihipStream_tbENKUlT_T0_E_clISt17integral_constantIbLb1EES13_EEDaSY_SZ_EUlSY_E_NS1_11comp_targetILNS1_3genE10ELNS1_11target_archE1200ELNS1_3gpuE4ELNS1_3repE0EEENS1_30default_config_static_selectorELNS0_4arch9wavefront6targetE0EEEvT1_: ; @_ZN7rocprim17ROCPRIM_400000_NS6detail17trampoline_kernelINS0_14default_configENS1_29reduce_by_key_config_selectorIsjN6thrust23THRUST_200600_302600_NS4plusIjEEEEZZNS1_33reduce_by_key_impl_wrapped_configILNS1_25lookback_scan_determinismE0ES3_S9_NS6_6detail15normal_iteratorINS6_10device_ptrIsEEEENSD_INSE_IjEEEESG_SI_PmS8_NS6_8equal_toIsEEEE10hipError_tPvRmT2_T3_mT4_T5_T6_T7_T8_P12ihipStream_tbENKUlT_T0_E_clISt17integral_constantIbLb1EES13_EEDaSY_SZ_EUlSY_E_NS1_11comp_targetILNS1_3genE10ELNS1_11target_archE1200ELNS1_3gpuE4ELNS1_3repE0EEENS1_30default_config_static_selectorELNS0_4arch9wavefront6targetE0EEEvT1_
; %bb.0:
	.section	.rodata,"a",@progbits
	.p2align	6, 0x0
	.amdhsa_kernel _ZN7rocprim17ROCPRIM_400000_NS6detail17trampoline_kernelINS0_14default_configENS1_29reduce_by_key_config_selectorIsjN6thrust23THRUST_200600_302600_NS4plusIjEEEEZZNS1_33reduce_by_key_impl_wrapped_configILNS1_25lookback_scan_determinismE0ES3_S9_NS6_6detail15normal_iteratorINS6_10device_ptrIsEEEENSD_INSE_IjEEEESG_SI_PmS8_NS6_8equal_toIsEEEE10hipError_tPvRmT2_T3_mT4_T5_T6_T7_T8_P12ihipStream_tbENKUlT_T0_E_clISt17integral_constantIbLb1EES13_EEDaSY_SZ_EUlSY_E_NS1_11comp_targetILNS1_3genE10ELNS1_11target_archE1200ELNS1_3gpuE4ELNS1_3repE0EEENS1_30default_config_static_selectorELNS0_4arch9wavefront6targetE0EEEvT1_
		.amdhsa_group_segment_fixed_size 0
		.amdhsa_private_segment_fixed_size 0
		.amdhsa_kernarg_size 120
		.amdhsa_user_sgpr_count 15
		.amdhsa_user_sgpr_dispatch_ptr 0
		.amdhsa_user_sgpr_queue_ptr 0
		.amdhsa_user_sgpr_kernarg_segment_ptr 1
		.amdhsa_user_sgpr_dispatch_id 0
		.amdhsa_user_sgpr_private_segment_size 0
		.amdhsa_wavefront_size32 1
		.amdhsa_uses_dynamic_stack 0
		.amdhsa_enable_private_segment 0
		.amdhsa_system_sgpr_workgroup_id_x 1
		.amdhsa_system_sgpr_workgroup_id_y 0
		.amdhsa_system_sgpr_workgroup_id_z 0
		.amdhsa_system_sgpr_workgroup_info 0
		.amdhsa_system_vgpr_workitem_id 0
		.amdhsa_next_free_vgpr 1
		.amdhsa_next_free_sgpr 1
		.amdhsa_reserve_vcc 0
		.amdhsa_float_round_mode_32 0
		.amdhsa_float_round_mode_16_64 0
		.amdhsa_float_denorm_mode_32 3
		.amdhsa_float_denorm_mode_16_64 3
		.amdhsa_dx10_clamp 1
		.amdhsa_ieee_mode 1
		.amdhsa_fp16_overflow 0
		.amdhsa_workgroup_processor_mode 1
		.amdhsa_memory_ordered 1
		.amdhsa_forward_progress 0
		.amdhsa_shared_vgpr_count 0
		.amdhsa_exception_fp_ieee_invalid_op 0
		.amdhsa_exception_fp_denorm_src 0
		.amdhsa_exception_fp_ieee_div_zero 0
		.amdhsa_exception_fp_ieee_overflow 0
		.amdhsa_exception_fp_ieee_underflow 0
		.amdhsa_exception_fp_ieee_inexact 0
		.amdhsa_exception_int_div_zero 0
	.end_amdhsa_kernel
	.section	.text._ZN7rocprim17ROCPRIM_400000_NS6detail17trampoline_kernelINS0_14default_configENS1_29reduce_by_key_config_selectorIsjN6thrust23THRUST_200600_302600_NS4plusIjEEEEZZNS1_33reduce_by_key_impl_wrapped_configILNS1_25lookback_scan_determinismE0ES3_S9_NS6_6detail15normal_iteratorINS6_10device_ptrIsEEEENSD_INSE_IjEEEESG_SI_PmS8_NS6_8equal_toIsEEEE10hipError_tPvRmT2_T3_mT4_T5_T6_T7_T8_P12ihipStream_tbENKUlT_T0_E_clISt17integral_constantIbLb1EES13_EEDaSY_SZ_EUlSY_E_NS1_11comp_targetILNS1_3genE10ELNS1_11target_archE1200ELNS1_3gpuE4ELNS1_3repE0EEENS1_30default_config_static_selectorELNS0_4arch9wavefront6targetE0EEEvT1_,"axG",@progbits,_ZN7rocprim17ROCPRIM_400000_NS6detail17trampoline_kernelINS0_14default_configENS1_29reduce_by_key_config_selectorIsjN6thrust23THRUST_200600_302600_NS4plusIjEEEEZZNS1_33reduce_by_key_impl_wrapped_configILNS1_25lookback_scan_determinismE0ES3_S9_NS6_6detail15normal_iteratorINS6_10device_ptrIsEEEENSD_INSE_IjEEEESG_SI_PmS8_NS6_8equal_toIsEEEE10hipError_tPvRmT2_T3_mT4_T5_T6_T7_T8_P12ihipStream_tbENKUlT_T0_E_clISt17integral_constantIbLb1EES13_EEDaSY_SZ_EUlSY_E_NS1_11comp_targetILNS1_3genE10ELNS1_11target_archE1200ELNS1_3gpuE4ELNS1_3repE0EEENS1_30default_config_static_selectorELNS0_4arch9wavefront6targetE0EEEvT1_,comdat
.Lfunc_end856:
	.size	_ZN7rocprim17ROCPRIM_400000_NS6detail17trampoline_kernelINS0_14default_configENS1_29reduce_by_key_config_selectorIsjN6thrust23THRUST_200600_302600_NS4plusIjEEEEZZNS1_33reduce_by_key_impl_wrapped_configILNS1_25lookback_scan_determinismE0ES3_S9_NS6_6detail15normal_iteratorINS6_10device_ptrIsEEEENSD_INSE_IjEEEESG_SI_PmS8_NS6_8equal_toIsEEEE10hipError_tPvRmT2_T3_mT4_T5_T6_T7_T8_P12ihipStream_tbENKUlT_T0_E_clISt17integral_constantIbLb1EES13_EEDaSY_SZ_EUlSY_E_NS1_11comp_targetILNS1_3genE10ELNS1_11target_archE1200ELNS1_3gpuE4ELNS1_3repE0EEENS1_30default_config_static_selectorELNS0_4arch9wavefront6targetE0EEEvT1_, .Lfunc_end856-_ZN7rocprim17ROCPRIM_400000_NS6detail17trampoline_kernelINS0_14default_configENS1_29reduce_by_key_config_selectorIsjN6thrust23THRUST_200600_302600_NS4plusIjEEEEZZNS1_33reduce_by_key_impl_wrapped_configILNS1_25lookback_scan_determinismE0ES3_S9_NS6_6detail15normal_iteratorINS6_10device_ptrIsEEEENSD_INSE_IjEEEESG_SI_PmS8_NS6_8equal_toIsEEEE10hipError_tPvRmT2_T3_mT4_T5_T6_T7_T8_P12ihipStream_tbENKUlT_T0_E_clISt17integral_constantIbLb1EES13_EEDaSY_SZ_EUlSY_E_NS1_11comp_targetILNS1_3genE10ELNS1_11target_archE1200ELNS1_3gpuE4ELNS1_3repE0EEENS1_30default_config_static_selectorELNS0_4arch9wavefront6targetE0EEEvT1_
                                        ; -- End function
	.section	.AMDGPU.csdata,"",@progbits
; Kernel info:
; codeLenInByte = 0
; NumSgprs: 0
; NumVgprs: 0
; ScratchSize: 0
; MemoryBound: 0
; FloatMode: 240
; IeeeMode: 1
; LDSByteSize: 0 bytes/workgroup (compile time only)
; SGPRBlocks: 0
; VGPRBlocks: 0
; NumSGPRsForWavesPerEU: 1
; NumVGPRsForWavesPerEU: 1
; Occupancy: 16
; WaveLimiterHint : 0
; COMPUTE_PGM_RSRC2:SCRATCH_EN: 0
; COMPUTE_PGM_RSRC2:USER_SGPR: 15
; COMPUTE_PGM_RSRC2:TRAP_HANDLER: 0
; COMPUTE_PGM_RSRC2:TGID_X_EN: 1
; COMPUTE_PGM_RSRC2:TGID_Y_EN: 0
; COMPUTE_PGM_RSRC2:TGID_Z_EN: 0
; COMPUTE_PGM_RSRC2:TIDIG_COMP_CNT: 0
	.section	.text._ZN7rocprim17ROCPRIM_400000_NS6detail17trampoline_kernelINS0_14default_configENS1_29reduce_by_key_config_selectorIsjN6thrust23THRUST_200600_302600_NS4plusIjEEEEZZNS1_33reduce_by_key_impl_wrapped_configILNS1_25lookback_scan_determinismE0ES3_S9_NS6_6detail15normal_iteratorINS6_10device_ptrIsEEEENSD_INSE_IjEEEESG_SI_PmS8_NS6_8equal_toIsEEEE10hipError_tPvRmT2_T3_mT4_T5_T6_T7_T8_P12ihipStream_tbENKUlT_T0_E_clISt17integral_constantIbLb1EES13_EEDaSY_SZ_EUlSY_E_NS1_11comp_targetILNS1_3genE9ELNS1_11target_archE1100ELNS1_3gpuE3ELNS1_3repE0EEENS1_30default_config_static_selectorELNS0_4arch9wavefront6targetE0EEEvT1_,"axG",@progbits,_ZN7rocprim17ROCPRIM_400000_NS6detail17trampoline_kernelINS0_14default_configENS1_29reduce_by_key_config_selectorIsjN6thrust23THRUST_200600_302600_NS4plusIjEEEEZZNS1_33reduce_by_key_impl_wrapped_configILNS1_25lookback_scan_determinismE0ES3_S9_NS6_6detail15normal_iteratorINS6_10device_ptrIsEEEENSD_INSE_IjEEEESG_SI_PmS8_NS6_8equal_toIsEEEE10hipError_tPvRmT2_T3_mT4_T5_T6_T7_T8_P12ihipStream_tbENKUlT_T0_E_clISt17integral_constantIbLb1EES13_EEDaSY_SZ_EUlSY_E_NS1_11comp_targetILNS1_3genE9ELNS1_11target_archE1100ELNS1_3gpuE3ELNS1_3repE0EEENS1_30default_config_static_selectorELNS0_4arch9wavefront6targetE0EEEvT1_,comdat
	.protected	_ZN7rocprim17ROCPRIM_400000_NS6detail17trampoline_kernelINS0_14default_configENS1_29reduce_by_key_config_selectorIsjN6thrust23THRUST_200600_302600_NS4plusIjEEEEZZNS1_33reduce_by_key_impl_wrapped_configILNS1_25lookback_scan_determinismE0ES3_S9_NS6_6detail15normal_iteratorINS6_10device_ptrIsEEEENSD_INSE_IjEEEESG_SI_PmS8_NS6_8equal_toIsEEEE10hipError_tPvRmT2_T3_mT4_T5_T6_T7_T8_P12ihipStream_tbENKUlT_T0_E_clISt17integral_constantIbLb1EES13_EEDaSY_SZ_EUlSY_E_NS1_11comp_targetILNS1_3genE9ELNS1_11target_archE1100ELNS1_3gpuE3ELNS1_3repE0EEENS1_30default_config_static_selectorELNS0_4arch9wavefront6targetE0EEEvT1_ ; -- Begin function _ZN7rocprim17ROCPRIM_400000_NS6detail17trampoline_kernelINS0_14default_configENS1_29reduce_by_key_config_selectorIsjN6thrust23THRUST_200600_302600_NS4plusIjEEEEZZNS1_33reduce_by_key_impl_wrapped_configILNS1_25lookback_scan_determinismE0ES3_S9_NS6_6detail15normal_iteratorINS6_10device_ptrIsEEEENSD_INSE_IjEEEESG_SI_PmS8_NS6_8equal_toIsEEEE10hipError_tPvRmT2_T3_mT4_T5_T6_T7_T8_P12ihipStream_tbENKUlT_T0_E_clISt17integral_constantIbLb1EES13_EEDaSY_SZ_EUlSY_E_NS1_11comp_targetILNS1_3genE9ELNS1_11target_archE1100ELNS1_3gpuE3ELNS1_3repE0EEENS1_30default_config_static_selectorELNS0_4arch9wavefront6targetE0EEEvT1_
	.globl	_ZN7rocprim17ROCPRIM_400000_NS6detail17trampoline_kernelINS0_14default_configENS1_29reduce_by_key_config_selectorIsjN6thrust23THRUST_200600_302600_NS4plusIjEEEEZZNS1_33reduce_by_key_impl_wrapped_configILNS1_25lookback_scan_determinismE0ES3_S9_NS6_6detail15normal_iteratorINS6_10device_ptrIsEEEENSD_INSE_IjEEEESG_SI_PmS8_NS6_8equal_toIsEEEE10hipError_tPvRmT2_T3_mT4_T5_T6_T7_T8_P12ihipStream_tbENKUlT_T0_E_clISt17integral_constantIbLb1EES13_EEDaSY_SZ_EUlSY_E_NS1_11comp_targetILNS1_3genE9ELNS1_11target_archE1100ELNS1_3gpuE3ELNS1_3repE0EEENS1_30default_config_static_selectorELNS0_4arch9wavefront6targetE0EEEvT1_
	.p2align	8
	.type	_ZN7rocprim17ROCPRIM_400000_NS6detail17trampoline_kernelINS0_14default_configENS1_29reduce_by_key_config_selectorIsjN6thrust23THRUST_200600_302600_NS4plusIjEEEEZZNS1_33reduce_by_key_impl_wrapped_configILNS1_25lookback_scan_determinismE0ES3_S9_NS6_6detail15normal_iteratorINS6_10device_ptrIsEEEENSD_INSE_IjEEEESG_SI_PmS8_NS6_8equal_toIsEEEE10hipError_tPvRmT2_T3_mT4_T5_T6_T7_T8_P12ihipStream_tbENKUlT_T0_E_clISt17integral_constantIbLb1EES13_EEDaSY_SZ_EUlSY_E_NS1_11comp_targetILNS1_3genE9ELNS1_11target_archE1100ELNS1_3gpuE3ELNS1_3repE0EEENS1_30default_config_static_selectorELNS0_4arch9wavefront6targetE0EEEvT1_,@function
_ZN7rocprim17ROCPRIM_400000_NS6detail17trampoline_kernelINS0_14default_configENS1_29reduce_by_key_config_selectorIsjN6thrust23THRUST_200600_302600_NS4plusIjEEEEZZNS1_33reduce_by_key_impl_wrapped_configILNS1_25lookback_scan_determinismE0ES3_S9_NS6_6detail15normal_iteratorINS6_10device_ptrIsEEEENSD_INSE_IjEEEESG_SI_PmS8_NS6_8equal_toIsEEEE10hipError_tPvRmT2_T3_mT4_T5_T6_T7_T8_P12ihipStream_tbENKUlT_T0_E_clISt17integral_constantIbLb1EES13_EEDaSY_SZ_EUlSY_E_NS1_11comp_targetILNS1_3genE9ELNS1_11target_archE1100ELNS1_3gpuE3ELNS1_3repE0EEENS1_30default_config_static_selectorELNS0_4arch9wavefront6targetE0EEEvT1_: ; @_ZN7rocprim17ROCPRIM_400000_NS6detail17trampoline_kernelINS0_14default_configENS1_29reduce_by_key_config_selectorIsjN6thrust23THRUST_200600_302600_NS4plusIjEEEEZZNS1_33reduce_by_key_impl_wrapped_configILNS1_25lookback_scan_determinismE0ES3_S9_NS6_6detail15normal_iteratorINS6_10device_ptrIsEEEENSD_INSE_IjEEEESG_SI_PmS8_NS6_8equal_toIsEEEE10hipError_tPvRmT2_T3_mT4_T5_T6_T7_T8_P12ihipStream_tbENKUlT_T0_E_clISt17integral_constantIbLb1EES13_EEDaSY_SZ_EUlSY_E_NS1_11comp_targetILNS1_3genE9ELNS1_11target_archE1100ELNS1_3gpuE3ELNS1_3repE0EEENS1_30default_config_static_selectorELNS0_4arch9wavefront6targetE0EEEvT1_
; %bb.0:
	s_clause 0x4
	s_load_b256 s[12:19], s[0:1], 0x0
	s_load_b128 s[28:31], s[0:1], 0x20
	s_load_b256 s[20:27], s[0:1], 0x38
	s_load_b64 s[34:35], s[0:1], 0x68
	s_load_b128 s[36:39], s[0:1], 0x58
	v_cmp_ne_u32_e64 s3, 0, v0
	v_cmp_eq_u32_e64 s2, 0, v0
	s_delay_alu instid0(VALU_DEP_1)
	s_and_saveexec_b32 s4, s2
	s_cbranch_execz .LBB857_4
; %bb.1:
	s_mov_b32 s6, exec_lo
	s_mov_b32 s5, exec_lo
	v_mbcnt_lo_u32_b32 v1, s6, 0
                                        ; implicit-def: $vgpr2
	s_delay_alu instid0(VALU_DEP_1)
	v_cmpx_eq_u32_e32 0, v1
	s_cbranch_execz .LBB857_3
; %bb.2:
	s_load_b64 s[0:1], s[0:1], 0x70
	s_bcnt1_i32_b32 s6, s6
	s_delay_alu instid0(SALU_CYCLE_1)
	v_dual_mov_b32 v2, 0 :: v_dual_mov_b32 v3, s6
	s_waitcnt lgkmcnt(0)
	global_atomic_add_u32 v2, v2, v3, s[0:1] glc
.LBB857_3:
	s_or_b32 exec_lo, exec_lo, s5
	s_waitcnt vmcnt(0)
	v_readfirstlane_b32 s0, v2
	s_delay_alu instid0(VALU_DEP_1)
	v_dual_mov_b32 v2, 0 :: v_dual_add_nc_u32 v1, s0, v1
	ds_store_b32 v2, v1
.LBB857_4:
	s_or_b32 exec_lo, exec_lo, s4
	v_mov_b32_e32 v2, 0
	s_waitcnt lgkmcnt(0)
	s_barrier
	buffer_gl0_inv
	s_lshl_b64 s[0:1], s[14:15], 1
	ds_load_b32 v1, v2
	s_add_u32 s10, s12, s0
	s_addc_u32 s1, s13, s1
	s_lshl_b64 s[4:5], s[14:15], 2
	s_mul_i32 s6, s24, s23
	s_mul_hi_u32 s7, s24, s22
	s_add_u32 s11, s16, s4
	s_mul_i32 s8, s25, s22
	s_addc_u32 s12, s17, s5
	s_add_i32 s4, s7, s6
	s_mul_i32 s9, s24, s22
	s_add_i32 s4, s4, s8
	s_mov_b32 s0, 0
	s_waitcnt lgkmcnt(0)
	s_barrier
	buffer_gl0_inv
	v_readfirstlane_b32 s40, v1
	v_mul_lo_u32 v1, 0xf00, v1
	s_delay_alu instid0(VALU_DEP_2) | instskip(SKIP_3) | instid1(VALU_DEP_1)
	s_add_u32 s24, s9, s40
	s_addc_u32 s25, s4, 0
	s_add_u32 s4, s26, -1
	s_addc_u32 s5, s27, -1
	v_lshlrev_b64 v[3:4], 1, v[1:2]
	v_lshlrev_b64 v[1:2], 2, v[1:2]
	s_cmp_eq_u64 s[24:25], s[4:5]
	s_mul_i32 s27, s4, 0xfffff100
	s_cselect_b32 s26, -1, 0
	s_cmp_lg_u64 s[24:25], s[4:5]
	v_add_co_u32 v6, vcc_lo, s10, v3
	v_add_co_ci_u32_e32 v5, vcc_lo, s1, v4, vcc_lo
	v_add_co_u32 v7, vcc_lo, s11, v1
	v_add_co_ci_u32_e32 v8, vcc_lo, s12, v2, vcc_lo
	s_cselect_b32 s17, -1, 0
	s_and_b32 vcc_lo, exec_lo, s26
	s_cbranch_vccnz .LBB857_6
; %bb.5:
	v_lshlrev_b32_e32 v13, 1, v0
	v_mad_u32_u24 v30, v0, 15, 3
	v_mad_u32_u24 v35, v0, 15, 7
	v_mad_u32_u24 v34, v0, 15, 9
	v_mad_u32_u24 v33, v0, 15, 11
	v_add_co_u32 v1, vcc_lo, v6, v13
	v_add_co_ci_u32_e32 v2, vcc_lo, 0, v5, vcc_lo
	v_mad_u32_u24 v31, v0, 28, v13
	s_delay_alu instid0(VALU_DEP_3) | instskip(NEXT) | instid1(VALU_DEP_3)
	v_add_co_u32 v3, vcc_lo, 0x1000, v1
	v_add_co_ci_u32_e32 v4, vcc_lo, 0, v2, vcc_lo
	s_clause 0xe
	flat_load_u16 v14, v[1:2]
	flat_load_u16 v15, v[1:2] offset:512
	flat_load_u16 v20, v[1:2] offset:1024
	;; [unrolled: 1-line block ×7, first 2 shown]
	flat_load_u16 v2, v[3:4]
	flat_load_u16 v25, v[3:4] offset:512
	flat_load_u16 v26, v[3:4] offset:1024
	;; [unrolled: 1-line block ×6, first 2 shown]
	v_lshlrev_b32_e32 v4, 2, v0
	v_mad_u32_u24 v32, v0, 15, 13
	s_waitcnt vmcnt(14) lgkmcnt(14)
	ds_store_b16 v13, v14
	s_waitcnt vmcnt(13) lgkmcnt(14)
	ds_store_b16 v13, v15 offset:512
	s_waitcnt vmcnt(12) lgkmcnt(14)
	ds_store_b16 v13, v20 offset:1024
	s_waitcnt vmcnt(11) lgkmcnt(14)
	ds_store_b16 v13, v21 offset:1536
	s_waitcnt vmcnt(10) lgkmcnt(14)
	ds_store_b16 v13, v22 offset:2048
	s_waitcnt vmcnt(9) lgkmcnt(14)
	ds_store_b16 v13, v23 offset:2560
	s_waitcnt vmcnt(8) lgkmcnt(14)
	ds_store_b16 v13, v24 offset:3072
	s_waitcnt vmcnt(7) lgkmcnt(14)
	ds_store_b16 v13, v1 offset:3584
	s_waitcnt vmcnt(6) lgkmcnt(14)
	ds_store_b16 v13, v2 offset:4096
	s_waitcnt vmcnt(5) lgkmcnt(14)
	ds_store_b16 v13, v25 offset:4608
	s_waitcnt vmcnt(4) lgkmcnt(14)
	ds_store_b16 v13, v26 offset:5120
	s_waitcnt vmcnt(3) lgkmcnt(14)
	ds_store_b16 v13, v27 offset:5632
	s_waitcnt vmcnt(2) lgkmcnt(14)
	ds_store_b16 v13, v28 offset:6144
	s_waitcnt vmcnt(1) lgkmcnt(14)
	ds_store_b16 v13, v29 offset:6656
	s_waitcnt vmcnt(0) lgkmcnt(14)
	ds_store_b16 v13, v3 offset:7168
	v_add_co_u32 v9, vcc_lo, v7, v4
	v_add_co_ci_u32_e32 v10, vcc_lo, 0, v8, vcc_lo
	s_waitcnt lgkmcnt(0)
	s_delay_alu instid0(VALU_DEP_2) | instskip(NEXT) | instid1(VALU_DEP_2)
	v_add_co_u32 v11, vcc_lo, 0x1000, v9
	v_add_co_ci_u32_e32 v12, vcc_lo, 0, v10, vcc_lo
	v_add_co_u32 v16, vcc_lo, 0x2000, v9
	v_add_co_ci_u32_e32 v17, vcc_lo, 0, v10, vcc_lo
	;; [unrolled: 2-line block ×3, first 2 shown]
	s_barrier
	buffer_gl0_inv
	ds_load_u16 v50, v31
	ds_load_b128 v[1:4], v31 offset:2
	ds_load_b96 v[13:15], v31 offset:18
	s_waitcnt lgkmcnt(0)
	s_barrier
	buffer_gl0_inv
	s_clause 0xe
	flat_load_b32 v20, v[9:10]
	flat_load_b32 v21, v[9:10] offset:1024
	flat_load_b32 v22, v[9:10] offset:2048
	flat_load_b32 v9, v[9:10] offset:3072
	flat_load_b32 v23, v[11:12]
	flat_load_b32 v24, v[11:12] offset:1024
	flat_load_b32 v25, v[11:12] offset:2048
	flat_load_b32 v26, v[11:12] offset:3072
	;; [unrolled: 4-line block ×3, first 2 shown]
	flat_load_b32 v17, v[18:19]
	flat_load_b32 v36, v[18:19] offset:1024
	flat_load_b32 v18, v[18:19] offset:2048
	v_mul_u32_u24_e32 v10, 15, v0
	v_mad_u32_u24 v11, v0, 15, 1
	v_mad_u32_u24 v12, v0, 15, 5
	v_mad_i32_i24 v19, 0xffffffe6, v0, v31
	s_waitcnt vmcnt(13) lgkmcnt(13)
	ds_store_2addr_stride64_b32 v19, v20, v21 offset1:4
	s_waitcnt vmcnt(11) lgkmcnt(12)
	ds_store_2addr_stride64_b32 v19, v22, v9 offset0:8 offset1:12
	s_waitcnt vmcnt(9) lgkmcnt(11)
	ds_store_2addr_stride64_b32 v19, v23, v24 offset0:16 offset1:20
	;; [unrolled: 2-line block ×6, first 2 shown]
	s_waitcnt vmcnt(0) lgkmcnt(7)
	ds_store_b32 v19, v18 offset:14336
	s_waitcnt lgkmcnt(0)
	s_barrier
	s_and_not1_b32 vcc_lo, exec_lo, s0
	s_add_i32 s27, s27, s36
	s_cbranch_vccz .LBB857_7
	s_branch .LBB857_68
.LBB857_6:
                                        ; implicit-def: $vgpr1
                                        ; implicit-def: $vgpr13
                                        ; implicit-def: $vgpr32
                                        ; implicit-def: $vgpr33
                                        ; implicit-def: $vgpr34
                                        ; implicit-def: $vgpr35
                                        ; implicit-def: $vgpr12
                                        ; implicit-def: $vgpr30
                                        ; implicit-def: $vgpr11
                                        ; implicit-def: $vgpr10
                                        ; implicit-def: $vgpr50
	s_add_i32 s27, s27, s36
.LBB857_7:
	s_delay_alu instid0(SALU_CYCLE_1)
	v_cmp_gt_u32_e32 vcc_lo, s27, v0
                                        ; implicit-def: $vgpr1
	s_and_saveexec_b32 s1, vcc_lo
	s_cbranch_execz .LBB857_9
; %bb.8:
	v_lshlrev_b32_e32 v1, 1, v0
	s_delay_alu instid0(VALU_DEP_1) | instskip(NEXT) | instid1(VALU_DEP_1)
	v_add_co_u32 v1, s0, v6, v1
	v_add_co_ci_u32_e64 v2, s0, 0, v5, s0
	flat_load_u16 v1, v[1:2]
.LBB857_9:
	s_or_b32 exec_lo, exec_lo, s1
	v_or_b32_e32 v2, 0x100, v0
	s_delay_alu instid0(VALU_DEP_1) | instskip(NEXT) | instid1(VALU_DEP_1)
	v_cmp_gt_u32_e64 s0, s27, v2
                                        ; implicit-def: $vgpr2
	s_and_saveexec_b32 s4, s0
	s_cbranch_execz .LBB857_11
; %bb.10:
	v_lshlrev_b32_e32 v2, 1, v0
	s_delay_alu instid0(VALU_DEP_1) | instskip(NEXT) | instid1(VALU_DEP_1)
	v_add_co_u32 v2, s1, v6, v2
	v_add_co_ci_u32_e64 v3, s1, 0, v5, s1
	flat_load_u16 v2, v[2:3] offset:512
.LBB857_11:
	s_or_b32 exec_lo, exec_lo, s4
	v_or_b32_e32 v3, 0x200, v0
	s_delay_alu instid0(VALU_DEP_1) | instskip(NEXT) | instid1(VALU_DEP_1)
	v_cmp_gt_u32_e64 s1, s27, v3
                                        ; implicit-def: $vgpr3
	s_and_saveexec_b32 s5, s1
	s_cbranch_execz .LBB857_13
; %bb.12:
	v_lshlrev_b32_e32 v3, 1, v0
	s_delay_alu instid0(VALU_DEP_1) | instskip(NEXT) | instid1(VALU_DEP_1)
	v_add_co_u32 v3, s4, v6, v3
	v_add_co_ci_u32_e64 v4, s4, 0, v5, s4
	flat_load_u16 v3, v[3:4] offset:1024
.LBB857_13:
	s_or_b32 exec_lo, exec_lo, s5
	v_or_b32_e32 v4, 0x300, v0
	s_delay_alu instid0(VALU_DEP_1) | instskip(NEXT) | instid1(VALU_DEP_1)
	v_cmp_gt_u32_e64 s4, s27, v4
                                        ; implicit-def: $vgpr4
	s_and_saveexec_b32 s6, s4
	s_cbranch_execz .LBB857_15
; %bb.14:
	v_lshlrev_b32_e32 v4, 1, v0
	s_delay_alu instid0(VALU_DEP_1) | instskip(NEXT) | instid1(VALU_DEP_1)
	v_add_co_u32 v9, s5, v6, v4
	v_add_co_ci_u32_e64 v10, s5, 0, v5, s5
	flat_load_u16 v4, v[9:10] offset:1536
.LBB857_15:
	s_or_b32 exec_lo, exec_lo, s6
	v_or_b32_e32 v9, 0x400, v0
                                        ; implicit-def: $vgpr13
	s_delay_alu instid0(VALU_DEP_1) | instskip(NEXT) | instid1(VALU_DEP_1)
	v_cmp_gt_u32_e64 s5, s27, v9
	s_and_saveexec_b32 s7, s5
	s_cbranch_execz .LBB857_17
; %bb.16:
	v_lshlrev_b32_e32 v10, 1, v0
	s_delay_alu instid0(VALU_DEP_1) | instskip(NEXT) | instid1(VALU_DEP_1)
	v_add_co_u32 v10, s6, v6, v10
	v_add_co_ci_u32_e64 v11, s6, 0, v5, s6
	flat_load_u16 v13, v[10:11] offset:2048
.LBB857_17:
	s_or_b32 exec_lo, exec_lo, s7
	v_or_b32_e32 v10, 0x500, v0
                                        ; implicit-def: $vgpr14
	s_delay_alu instid0(VALU_DEP_1) | instskip(NEXT) | instid1(VALU_DEP_1)
	v_cmp_gt_u32_e64 s6, s27, v10
	s_and_saveexec_b32 s8, s6
	s_cbranch_execz .LBB857_19
; %bb.18:
	v_lshlrev_b32_e32 v11, 1, v0
	s_delay_alu instid0(VALU_DEP_1) | instskip(NEXT) | instid1(VALU_DEP_1)
	v_add_co_u32 v11, s7, v6, v11
	v_add_co_ci_u32_e64 v12, s7, 0, v5, s7
	flat_load_u16 v14, v[11:12] offset:2560
.LBB857_19:
	s_or_b32 exec_lo, exec_lo, s8
	v_or_b32_e32 v11, 0x600, v0
                                        ; implicit-def: $vgpr15
	s_delay_alu instid0(VALU_DEP_1) | instskip(NEXT) | instid1(VALU_DEP_1)
	v_cmp_gt_u32_e64 s7, s27, v11
	s_and_saveexec_b32 s9, s7
	s_cbranch_execz .LBB857_21
; %bb.20:
	v_lshlrev_b32_e32 v12, 1, v0
	s_delay_alu instid0(VALU_DEP_1) | instskip(NEXT) | instid1(VALU_DEP_1)
	v_add_co_u32 v15, s8, v6, v12
	v_add_co_ci_u32_e64 v16, s8, 0, v5, s8
	flat_load_u16 v15, v[15:16] offset:3072
.LBB857_21:
	s_or_b32 exec_lo, exec_lo, s9
	v_or_b32_e32 v12, 0x700, v0
                                        ; implicit-def: $vgpr23
	s_delay_alu instid0(VALU_DEP_1) | instskip(NEXT) | instid1(VALU_DEP_1)
	v_cmp_gt_u32_e64 s8, s27, v12
	s_and_saveexec_b32 s10, s8
	s_cbranch_execz .LBB857_23
; %bb.22:
	v_lshlrev_b32_e32 v16, 1, v0
	s_delay_alu instid0(VALU_DEP_1) | instskip(NEXT) | instid1(VALU_DEP_1)
	v_add_co_u32 v16, s9, v6, v16
	v_add_co_ci_u32_e64 v17, s9, 0, v5, s9
	flat_load_u16 v23, v[16:17] offset:3584
.LBB857_23:
	s_or_b32 exec_lo, exec_lo, s10
	v_or_b32_e32 v16, 0x800, v0
                                        ; implicit-def: $vgpr24
	s_delay_alu instid0(VALU_DEP_1) | instskip(NEXT) | instid1(VALU_DEP_1)
	v_cmp_gt_u32_e64 s9, s27, v16
	s_and_saveexec_b32 s11, s9
	s_cbranch_execz .LBB857_25
; %bb.24:
	v_lshlrev_b32_e32 v17, 1, v16
	s_delay_alu instid0(VALU_DEP_1) | instskip(NEXT) | instid1(VALU_DEP_1)
	v_add_co_u32 v17, s10, v6, v17
	v_add_co_ci_u32_e64 v18, s10, 0, v5, s10
	flat_load_u16 v24, v[17:18]
.LBB857_25:
	s_or_b32 exec_lo, exec_lo, s11
	v_or_b32_e32 v17, 0x900, v0
                                        ; implicit-def: $vgpr25
	s_delay_alu instid0(VALU_DEP_1) | instskip(NEXT) | instid1(VALU_DEP_1)
	v_cmp_gt_u32_e64 s10, s27, v17
	s_and_saveexec_b32 s12, s10
	s_cbranch_execz .LBB857_27
; %bb.26:
	v_lshlrev_b32_e32 v18, 1, v17
	s_delay_alu instid0(VALU_DEP_1) | instskip(NEXT) | instid1(VALU_DEP_1)
	v_add_co_u32 v18, s11, v6, v18
	v_add_co_ci_u32_e64 v19, s11, 0, v5, s11
	flat_load_u16 v25, v[18:19]
.LBB857_27:
	s_or_b32 exec_lo, exec_lo, s12
	v_or_b32_e32 v18, 0xa00, v0
                                        ; implicit-def: $vgpr26
	s_delay_alu instid0(VALU_DEP_1) | instskip(NEXT) | instid1(VALU_DEP_1)
	v_cmp_gt_u32_e64 s11, s27, v18
	s_and_saveexec_b32 s13, s11
	s_cbranch_execz .LBB857_29
; %bb.28:
	v_lshlrev_b32_e32 v19, 1, v18
	s_delay_alu instid0(VALU_DEP_1) | instskip(NEXT) | instid1(VALU_DEP_1)
	v_add_co_u32 v19, s12, v6, v19
	v_add_co_ci_u32_e64 v20, s12, 0, v5, s12
	flat_load_u16 v26, v[19:20]
.LBB857_29:
	s_or_b32 exec_lo, exec_lo, s13
	v_or_b32_e32 v19, 0xb00, v0
                                        ; implicit-def: $vgpr27
	s_delay_alu instid0(VALU_DEP_1) | instskip(NEXT) | instid1(VALU_DEP_1)
	v_cmp_gt_u32_e64 s12, s27, v19
	s_and_saveexec_b32 s14, s12
	s_cbranch_execz .LBB857_31
; %bb.30:
	v_lshlrev_b32_e32 v20, 1, v19
	s_delay_alu instid0(VALU_DEP_1) | instskip(NEXT) | instid1(VALU_DEP_1)
	v_add_co_u32 v20, s13, v6, v20
	v_add_co_ci_u32_e64 v21, s13, 0, v5, s13
	flat_load_u16 v27, v[20:21]
.LBB857_31:
	s_or_b32 exec_lo, exec_lo, s14
	v_or_b32_e32 v20, 0xc00, v0
                                        ; implicit-def: $vgpr28
	s_delay_alu instid0(VALU_DEP_1) | instskip(NEXT) | instid1(VALU_DEP_1)
	v_cmp_gt_u32_e64 s13, s27, v20
	s_and_saveexec_b32 s15, s13
	s_cbranch_execz .LBB857_33
; %bb.32:
	v_lshlrev_b32_e32 v21, 1, v20
	s_delay_alu instid0(VALU_DEP_1) | instskip(NEXT) | instid1(VALU_DEP_1)
	v_add_co_u32 v21, s14, v6, v21
	v_add_co_ci_u32_e64 v22, s14, 0, v5, s14
	flat_load_u16 v28, v[21:22]
.LBB857_33:
	s_or_b32 exec_lo, exec_lo, s15
	v_or_b32_e32 v21, 0xd00, v0
                                        ; implicit-def: $vgpr29
	s_delay_alu instid0(VALU_DEP_1) | instskip(NEXT) | instid1(VALU_DEP_1)
	v_cmp_gt_u32_e64 s14, s27, v21
	s_and_saveexec_b32 s16, s14
	s_cbranch_execz .LBB857_35
; %bb.34:
	v_lshlrev_b32_e32 v22, 1, v21
	s_delay_alu instid0(VALU_DEP_1) | instskip(NEXT) | instid1(VALU_DEP_1)
	v_add_co_u32 v29, s15, v6, v22
	v_add_co_ci_u32_e64 v30, s15, 0, v5, s15
	flat_load_u16 v29, v[29:30]
.LBB857_35:
	s_or_b32 exec_lo, exec_lo, s16
	v_or_b32_e32 v22, 0xe00, v0
                                        ; implicit-def: $vgpr30
	s_delay_alu instid0(VALU_DEP_1) | instskip(NEXT) | instid1(VALU_DEP_1)
	v_cmp_gt_u32_e64 s15, s27, v22
	s_and_saveexec_b32 s33, s15
	s_cbranch_execz .LBB857_37
; %bb.36:
	v_lshlrev_b32_e32 v30, 1, v22
	s_delay_alu instid0(VALU_DEP_1) | instskip(NEXT) | instid1(VALU_DEP_1)
	v_add_co_u32 v30, s16, v6, v30
	v_add_co_ci_u32_e64 v31, s16, 0, v5, s16
	flat_load_u16 v30, v[30:31]
.LBB857_37:
	s_or_b32 exec_lo, exec_lo, s33
	v_lshlrev_b32_e32 v31, 1, v0
	s_waitcnt vmcnt(0) lgkmcnt(0)
	ds_store_b16 v31, v1
	ds_store_b16 v31, v2 offset:512
	ds_store_b16 v31, v3 offset:1024
	;; [unrolled: 1-line block ×7, first 2 shown]
	v_mad_u32_u24 v23, v0, 28, v31
	ds_store_b16 v31, v24 offset:4096
	ds_store_b16 v31, v25 offset:4608
	;; [unrolled: 1-line block ×7, first 2 shown]
	s_waitcnt lgkmcnt(0)
	s_barrier
	buffer_gl0_inv
	ds_load_u16 v50, v23
	ds_load_b128 v[1:4], v23 offset:2
	ds_load_b96 v[13:15], v23 offset:18
	s_waitcnt lgkmcnt(0)
	s_barrier
	buffer_gl0_inv
                                        ; implicit-def: $vgpr24
	s_and_saveexec_b32 s16, vcc_lo
	s_cbranch_execz .LBB857_51
; %bb.38:
	v_lshlrev_b32_e32 v24, 2, v0
	s_delay_alu instid0(VALU_DEP_1)
	v_add_co_u32 v24, vcc_lo, v7, v24
	v_add_co_ci_u32_e32 v25, vcc_lo, 0, v8, vcc_lo
	flat_load_b32 v24, v[24:25]
	s_or_b32 exec_lo, exec_lo, s16
                                        ; implicit-def: $vgpr25
	s_and_saveexec_b32 s16, s0
	s_cbranch_execnz .LBB857_52
.LBB857_39:
	s_or_b32 exec_lo, exec_lo, s16
                                        ; implicit-def: $vgpr26
	s_and_saveexec_b32 s0, s1
	s_cbranch_execz .LBB857_53
.LBB857_40:
	v_lshlrev_b32_e32 v26, 2, v0
	s_delay_alu instid0(VALU_DEP_1)
	v_add_co_u32 v26, vcc_lo, v7, v26
	v_add_co_ci_u32_e32 v27, vcc_lo, 0, v8, vcc_lo
	flat_load_b32 v26, v[26:27] offset:2048
	s_or_b32 exec_lo, exec_lo, s0
                                        ; implicit-def: $vgpr27
	s_and_saveexec_b32 s0, s4
	s_cbranch_execnz .LBB857_54
.LBB857_41:
	s_or_b32 exec_lo, exec_lo, s0
                                        ; implicit-def: $vgpr28
	s_and_saveexec_b32 s0, s5
	s_cbranch_execz .LBB857_55
.LBB857_42:
	v_lshlrev_b32_e32 v9, 2, v9
	s_delay_alu instid0(VALU_DEP_1)
	v_add_co_u32 v28, vcc_lo, v7, v9
	v_add_co_ci_u32_e32 v29, vcc_lo, 0, v8, vcc_lo
	flat_load_b32 v28, v[28:29]
	s_or_b32 exec_lo, exec_lo, s0
                                        ; implicit-def: $vgpr9
	s_and_saveexec_b32 s0, s6
	s_cbranch_execnz .LBB857_56
.LBB857_43:
	s_or_b32 exec_lo, exec_lo, s0
                                        ; implicit-def: $vgpr29
	s_and_saveexec_b32 s0, s7
	s_cbranch_execz .LBB857_57
.LBB857_44:
	v_lshlrev_b32_e32 v10, 2, v11
	s_delay_alu instid0(VALU_DEP_1)
	v_add_co_u32 v10, vcc_lo, v7, v10
	v_add_co_ci_u32_e32 v11, vcc_lo, 0, v8, vcc_lo
	flat_load_b32 v29, v[10:11]
	s_or_b32 exec_lo, exec_lo, s0
                                        ; implicit-def: $vgpr31
	s_and_saveexec_b32 s0, s8
	s_cbranch_execnz .LBB857_58
.LBB857_45:
	s_or_b32 exec_lo, exec_lo, s0
                                        ; implicit-def: $vgpr36
	s_and_saveexec_b32 s0, s9
	s_cbranch_execz .LBB857_59
.LBB857_46:
	v_lshlrev_b32_e32 v10, 2, v16
	s_delay_alu instid0(VALU_DEP_1)
	v_add_co_u32 v10, vcc_lo, v7, v10
	v_add_co_ci_u32_e32 v11, vcc_lo, 0, v8, vcc_lo
	flat_load_b32 v36, v[10:11]
	s_or_b32 exec_lo, exec_lo, s0
                                        ; implicit-def: $vgpr16
	s_and_saveexec_b32 s0, s10
	s_cbranch_execnz .LBB857_60
.LBB857_47:
	s_or_b32 exec_lo, exec_lo, s0
                                        ; implicit-def: $vgpr17
	s_and_saveexec_b32 s0, s11
	s_cbranch_execz .LBB857_61
.LBB857_48:
	v_lshlrev_b32_e32 v10, 2, v18
	s_delay_alu instid0(VALU_DEP_1)
	v_add_co_u32 v10, vcc_lo, v7, v10
	v_add_co_ci_u32_e32 v11, vcc_lo, 0, v8, vcc_lo
	flat_load_b32 v17, v[10:11]
	s_or_b32 exec_lo, exec_lo, s0
                                        ; implicit-def: $vgpr18
	s_and_saveexec_b32 s0, s12
	s_cbranch_execnz .LBB857_62
.LBB857_49:
	s_or_b32 exec_lo, exec_lo, s0
                                        ; implicit-def: $vgpr19
	s_and_saveexec_b32 s0, s13
	s_cbranch_execz .LBB857_63
.LBB857_50:
	v_lshlrev_b32_e32 v10, 2, v20
	s_delay_alu instid0(VALU_DEP_1)
	v_add_co_u32 v10, vcc_lo, v7, v10
	v_add_co_ci_u32_e32 v11, vcc_lo, 0, v8, vcc_lo
	flat_load_b32 v19, v[10:11]
	s_or_b32 exec_lo, exec_lo, s0
                                        ; implicit-def: $vgpr20
	s_and_saveexec_b32 s0, s14
	s_cbranch_execz .LBB857_65
	s_branch .LBB857_64
.LBB857_51:
	s_or_b32 exec_lo, exec_lo, s16
                                        ; implicit-def: $vgpr25
	s_and_saveexec_b32 s16, s0
	s_cbranch_execz .LBB857_39
.LBB857_52:
	v_lshlrev_b32_e32 v25, 2, v0
	s_delay_alu instid0(VALU_DEP_1)
	v_add_co_u32 v25, vcc_lo, v7, v25
	v_add_co_ci_u32_e32 v26, vcc_lo, 0, v8, vcc_lo
	flat_load_b32 v25, v[25:26] offset:1024
	s_or_b32 exec_lo, exec_lo, s16
                                        ; implicit-def: $vgpr26
	s_and_saveexec_b32 s0, s1
	s_cbranch_execnz .LBB857_40
.LBB857_53:
	s_or_b32 exec_lo, exec_lo, s0
                                        ; implicit-def: $vgpr27
	s_and_saveexec_b32 s0, s4
	s_cbranch_execz .LBB857_41
.LBB857_54:
	v_lshlrev_b32_e32 v27, 2, v0
	s_delay_alu instid0(VALU_DEP_1)
	v_add_co_u32 v27, vcc_lo, v7, v27
	v_add_co_ci_u32_e32 v28, vcc_lo, 0, v8, vcc_lo
	flat_load_b32 v27, v[27:28] offset:3072
	s_or_b32 exec_lo, exec_lo, s0
                                        ; implicit-def: $vgpr28
	s_and_saveexec_b32 s0, s5
	s_cbranch_execnz .LBB857_42
.LBB857_55:
	s_or_b32 exec_lo, exec_lo, s0
                                        ; implicit-def: $vgpr9
	s_and_saveexec_b32 s0, s6
	s_cbranch_execz .LBB857_43
.LBB857_56:
	v_lshlrev_b32_e32 v9, 2, v10
	s_delay_alu instid0(VALU_DEP_1)
	v_add_co_u32 v9, vcc_lo, v7, v9
	v_add_co_ci_u32_e32 v10, vcc_lo, 0, v8, vcc_lo
	flat_load_b32 v9, v[9:10]
	s_or_b32 exec_lo, exec_lo, s0
                                        ; implicit-def: $vgpr29
	s_and_saveexec_b32 s0, s7
	s_cbranch_execnz .LBB857_44
.LBB857_57:
	s_or_b32 exec_lo, exec_lo, s0
                                        ; implicit-def: $vgpr31
	s_and_saveexec_b32 s0, s8
	s_cbranch_execz .LBB857_45
.LBB857_58:
	v_lshlrev_b32_e32 v10, 2, v12
	s_delay_alu instid0(VALU_DEP_1)
	v_add_co_u32 v10, vcc_lo, v7, v10
	v_add_co_ci_u32_e32 v11, vcc_lo, 0, v8, vcc_lo
	flat_load_b32 v31, v[10:11]
	s_or_b32 exec_lo, exec_lo, s0
                                        ; implicit-def: $vgpr36
	s_and_saveexec_b32 s0, s9
	s_cbranch_execnz .LBB857_46
.LBB857_59:
	s_or_b32 exec_lo, exec_lo, s0
                                        ; implicit-def: $vgpr16
	s_and_saveexec_b32 s0, s10
	s_cbranch_execz .LBB857_47
.LBB857_60:
	v_lshlrev_b32_e32 v10, 2, v17
	s_delay_alu instid0(VALU_DEP_1)
	v_add_co_u32 v10, vcc_lo, v7, v10
	v_add_co_ci_u32_e32 v11, vcc_lo, 0, v8, vcc_lo
	flat_load_b32 v16, v[10:11]
	s_or_b32 exec_lo, exec_lo, s0
                                        ; implicit-def: $vgpr17
	s_and_saveexec_b32 s0, s11
	s_cbranch_execnz .LBB857_48
.LBB857_61:
	s_or_b32 exec_lo, exec_lo, s0
                                        ; implicit-def: $vgpr18
	s_and_saveexec_b32 s0, s12
	s_cbranch_execz .LBB857_49
.LBB857_62:
	v_lshlrev_b32_e32 v10, 2, v19
	s_delay_alu instid0(VALU_DEP_1)
	v_add_co_u32 v10, vcc_lo, v7, v10
	v_add_co_ci_u32_e32 v11, vcc_lo, 0, v8, vcc_lo
	flat_load_b32 v18, v[10:11]
	s_or_b32 exec_lo, exec_lo, s0
                                        ; implicit-def: $vgpr19
	s_and_saveexec_b32 s0, s13
	s_cbranch_execnz .LBB857_50
.LBB857_63:
	s_or_b32 exec_lo, exec_lo, s0
                                        ; implicit-def: $vgpr20
	s_and_saveexec_b32 s0, s14
	s_cbranch_execz .LBB857_65
.LBB857_64:
	v_lshlrev_b32_e32 v10, 2, v21
	s_delay_alu instid0(VALU_DEP_1)
	v_add_co_u32 v10, vcc_lo, v7, v10
	v_add_co_ci_u32_e32 v11, vcc_lo, 0, v8, vcc_lo
	flat_load_b32 v20, v[10:11]
.LBB857_65:
	s_or_b32 exec_lo, exec_lo, s0
	v_mul_u32_u24_e32 v10, 15, v0
                                        ; implicit-def: $vgpr21
	s_and_saveexec_b32 s0, s15
	s_cbranch_execz .LBB857_67
; %bb.66:
	v_lshlrev_b32_e32 v11, 2, v22
	s_delay_alu instid0(VALU_DEP_1)
	v_add_co_u32 v7, vcc_lo, v7, v11
	v_add_co_ci_u32_e32 v8, vcc_lo, 0, v8, vcc_lo
	flat_load_b32 v21, v[7:8]
.LBB857_67:
	s_or_b32 exec_lo, exec_lo, s0
	s_delay_alu instid0(VALU_DEP_1)
	v_add_nc_u32_e32 v11, 1, v10
	v_add_nc_u32_e32 v30, 3, v10
	;; [unrolled: 1-line block ×3, first 2 shown]
	v_mad_i32_i24 v7, 0xffffffe6, v0, v23
	v_add_nc_u32_e32 v35, 7, v10
	v_add_nc_u32_e32 v34, 9, v10
	;; [unrolled: 1-line block ×4, first 2 shown]
	s_waitcnt vmcnt(0) lgkmcnt(0)
	ds_store_2addr_stride64_b32 v7, v24, v25 offset1:4
	ds_store_2addr_stride64_b32 v7, v26, v27 offset0:8 offset1:12
	ds_store_2addr_stride64_b32 v7, v28, v9 offset0:16 offset1:20
	;; [unrolled: 1-line block ×6, first 2 shown]
	ds_store_b32 v7, v21 offset:14336
	s_waitcnt lgkmcnt(0)
	s_barrier
.LBB857_68:
	v_lshlrev_b32_e32 v7, 2, v10
	buffer_gl0_inv
	v_lshlrev_b32_e32 v8, 2, v30
	v_lshlrev_b32_e32 v9, 2, v12
	;; [unrolled: 1-line block ×3, first 2 shown]
	ds_load_2addr_b32 v[22:23], v7 offset1:2
	ds_load_2addr_b32 v[20:21], v7 offset0:4 offset1:6
	ds_load_2addr_b32 v[18:19], v7 offset0:8 offset1:10
	;; [unrolled: 1-line block ×3, first 2 shown]
	v_lshlrev_b32_e32 v7, 2, v11
	v_lshlrev_b32_e32 v11, 2, v34
	;; [unrolled: 1-line block ×4, first 2 shown]
	ds_load_b32 v73, v7
	ds_load_b32 v72, v8
	;; [unrolled: 1-line block ×7, first 2 shown]
	s_cmp_eq_u64 s[24:25], 0
	s_waitcnt lgkmcnt(0)
	s_cselect_b32 s33, -1, 0
	s_cmp_lg_u64 s[24:25], 0
	s_barrier
	s_cselect_b32 s15, -1, 0
	s_and_b32 vcc_lo, exec_lo, s17
	buffer_gl0_inv
	s_cbranch_vccz .LBB857_74
; %bb.69:
	s_and_b32 vcc_lo, exec_lo, s15
	s_cbranch_vccz .LBB857_139
; %bb.70:
	v_add_co_u32 v7, vcc_lo, -2, v6
	v_add_co_ci_u32_e32 v8, vcc_lo, -1, v5, vcc_lo
	v_lshrrev_b32_e32 v10, 16, v14
	v_lshrrev_b32_e32 v11, 16, v13
	;; [unrolled: 1-line block ×3, first 2 shown]
	flat_load_u16 v7, v[7:8]
	v_lshrrev_b32_e32 v9, 16, v15
	v_cmp_ne_u16_e64 s0, v10, v15
	v_cmp_ne_u16_e64 s1, v14, v10
	;; [unrolled: 1-line block ×4, first 2 shown]
	v_lshrrev_b32_e32 v10, 16, v3
	v_cmp_ne_u16_e64 s6, v12, v13
	v_lshrrev_b32_e32 v11, 16, v2
	v_cmp_ne_u16_e64 s7, v4, v12
	v_lshrrev_b32_e32 v12, 16, v1
	v_lshlrev_b32_e32 v8, 1, v0
	v_cmp_ne_u16_e32 vcc_lo, v15, v9
	v_cmp_ne_u16_e64 s8, v10, v4
	v_cmp_ne_u16_e64 s9, v3, v10
	;; [unrolled: 1-line block ×7, first 2 shown]
	s_mov_b32 s41, -1
	ds_store_b16 v8, v9
	s_waitcnt vmcnt(0) lgkmcnt(0)
	s_barrier
	buffer_gl0_inv
	s_and_saveexec_b32 s16, s3
	s_cbranch_execz .LBB857_72
; %bb.71:
	v_add_nc_u32_e32 v7, -2, v8
	ds_load_u16 v7, v7
.LBB857_72:
	s_or_b32 exec_lo, exec_lo, s16
	v_cndmask_b32_e64 v57, 0, 1, vcc_lo
	v_cndmask_b32_e64 v51, 0, 1, s0
	v_cndmask_b32_e64 v52, 0, 1, s1
	;; [unrolled: 1-line block ×13, first 2 shown]
	s_waitcnt lgkmcnt(0)
	v_cmp_ne_u16_e64 s0, v7, v50
.LBB857_73:
                                        ; implicit-def: $sgpr42
	s_branch .LBB857_75
.LBB857_74:
	s_mov_b32 s41, 0
                                        ; implicit-def: $sgpr0
                                        ; implicit-def: $vgpr57
                                        ; implicit-def: $vgpr51
                                        ; implicit-def: $vgpr52
                                        ; implicit-def: $vgpr53
                                        ; implicit-def: $vgpr54
                                        ; implicit-def: $vgpr55
                                        ; implicit-def: $vgpr56
                                        ; implicit-def: $vgpr58
                                        ; implicit-def: $vgpr59
                                        ; implicit-def: $vgpr60
                                        ; implicit-def: $vgpr61
                                        ; implicit-def: $vgpr62
                                        ; implicit-def: $vgpr63
                                        ; implicit-def: $vgpr64
                                        ; implicit-def: $sgpr42
	s_cbranch_execnz .LBB857_143
.LBB857_75:
	v_mov_b32_e32 v65, s42
	s_and_saveexec_b32 s1, s41
.LBB857_76:
	s_delay_alu instid0(VALU_DEP_2)
	v_cndmask_b32_e64 v65, 0, 1, s0
.LBB857_77:
	s_or_b32 exec_lo, exec_lo, s1
	s_delay_alu instid0(VALU_DEP_1)
	v_add3_u32 v5, v64, v65, v63
	v_cmp_eq_u32_e64 s13, 0, v64
	v_cmp_eq_u32_e64 s12, 0, v63
	;; [unrolled: 1-line block ×4, first 2 shown]
	v_add3_u32 v77, v5, v62, v61
	v_cmp_eq_u32_e64 s9, 0, v60
	v_cmp_eq_u32_e64 s8, 0, v59
	;; [unrolled: 1-line block ×9, first 2 shown]
	v_cmp_eq_u32_e32 vcc_lo, 0, v57
	v_mbcnt_lo_u32_b32 v74, -1, 0
	v_lshrrev_b32_e32 v75, 5, v0
	v_or_b32_e32 v76, 31, v0
	s_cmp_eq_u64 s[22:23], 0
	s_cselect_b32 s16, -1, 0
	s_cmp_lg_u32 s40, 0
	s_cbranch_scc0 .LBB857_108
; %bb.78:
	v_cndmask_b32_e64 v5, 0, v22, s13
	v_add3_u32 v6, v77, v60, v59
	v_and_b32_e32 v8, 15, v74
	s_delay_alu instid0(VALU_DEP_3) | instskip(NEXT) | instid1(VALU_DEP_3)
	v_add_nc_u32_e32 v5, v5, v73
	v_add3_u32 v6, v6, v58, v56
	s_delay_alu instid0(VALU_DEP_3) | instskip(NEXT) | instid1(VALU_DEP_3)
	v_cmp_lt_u32_e64 s14, 1, v8
	v_cndmask_b32_e64 v5, 0, v5, s12
	s_delay_alu instid0(VALU_DEP_3) | instskip(NEXT) | instid1(VALU_DEP_2)
	v_add3_u32 v6, v6, v55, v54
	v_add_nc_u32_e32 v5, v5, v23
	s_delay_alu instid0(VALU_DEP_2) | instskip(NEXT) | instid1(VALU_DEP_2)
	v_add3_u32 v6, v6, v53, v52
	v_cndmask_b32_e64 v5, 0, v5, s11
	s_delay_alu instid0(VALU_DEP_2) | instskip(NEXT) | instid1(VALU_DEP_2)
	v_add3_u32 v6, v6, v51, v57
	v_add_nc_u32_e32 v5, v5, v72
	s_delay_alu instid0(VALU_DEP_2) | instskip(NEXT) | instid1(VALU_DEP_2)
	v_mov_b32_dpp v9, v6 row_shr:1 row_mask:0xf bank_mask:0xf
	v_cndmask_b32_e64 v5, 0, v5, s10
	s_delay_alu instid0(VALU_DEP_1) | instskip(NEXT) | instid1(VALU_DEP_1)
	v_add_nc_u32_e32 v5, v5, v20
	v_cndmask_b32_e64 v5, 0, v5, s9
	s_delay_alu instid0(VALU_DEP_1) | instskip(NEXT) | instid1(VALU_DEP_1)
	v_add_nc_u32_e32 v5, v5, v71
	;; [unrolled: 3-line block ×10, first 2 shown]
	v_cndmask_b32_e32 v5, 0, v5, vcc_lo
	v_cmp_eq_u32_e32 vcc_lo, 0, v6
	s_delay_alu instid0(VALU_DEP_2) | instskip(NEXT) | instid1(VALU_DEP_1)
	v_add_nc_u32_e32 v5, v5, v17
	v_mov_b32_dpp v7, v5 row_shr:1 row_mask:0xf bank_mask:0xf
	s_delay_alu instid0(VALU_DEP_1) | instskip(SKIP_2) | instid1(VALU_DEP_1)
	v_cndmask_b32_e32 v7, 0, v7, vcc_lo
	v_cmp_eq_u32_e32 vcc_lo, 0, v8
	v_cndmask_b32_e64 v9, v9, 0, vcc_lo
	v_add_nc_u32_e32 v6, v9, v6
	s_delay_alu instid0(VALU_DEP_4) | instskip(NEXT) | instid1(VALU_DEP_2)
	v_cndmask_b32_e64 v7, v7, 0, vcc_lo
	v_cmp_eq_u32_e32 vcc_lo, 0, v6
	s_delay_alu instid0(VALU_DEP_2) | instskip(SKIP_2) | instid1(VALU_DEP_2)
	v_add_nc_u32_e32 v5, v7, v5
	v_mov_b32_dpp v7, v6 row_shr:2 row_mask:0xf bank_mask:0xf
	s_and_b32 vcc_lo, s14, vcc_lo
	v_mov_b32_dpp v9, v5 row_shr:2 row_mask:0xf bank_mask:0xf
	s_delay_alu instid0(VALU_DEP_2) | instskip(SKIP_1) | instid1(VALU_DEP_2)
	v_cndmask_b32_e64 v7, 0, v7, s14
	v_cmp_lt_u32_e64 s14, 3, v8
	v_dual_cndmask_b32 v9, 0, v9 :: v_dual_add_nc_u32 v6, v6, v7
	s_delay_alu instid0(VALU_DEP_1) | instskip(NEXT) | instid1(VALU_DEP_2)
	v_add_nc_u32_e32 v5, v9, v5
	v_mov_b32_dpp v7, v6 row_shr:4 row_mask:0xf bank_mask:0xf
	v_cmp_eq_u32_e32 vcc_lo, 0, v6
	s_delay_alu instid0(VALU_DEP_3) | instskip(NEXT) | instid1(VALU_DEP_3)
	v_mov_b32_dpp v9, v5 row_shr:4 row_mask:0xf bank_mask:0xf
	v_cndmask_b32_e64 v7, 0, v7, s14
	s_and_b32 vcc_lo, s14, vcc_lo
	v_cmp_lt_u32_e64 s14, 7, v8
	s_delay_alu instid0(VALU_DEP_2) | instskip(NEXT) | instid1(VALU_DEP_1)
	v_dual_cndmask_b32 v9, 0, v9 :: v_dual_add_nc_u32 v6, v7, v6
	v_add_nc_u32_e32 v5, v5, v9
	s_delay_alu instid0(VALU_DEP_2) | instskip(SKIP_2) | instid1(VALU_DEP_4)
	v_cmp_eq_u32_e32 vcc_lo, 0, v6
	v_mov_b32_dpp v7, v6 row_shr:8 row_mask:0xf bank_mask:0xf
	v_bfe_i32 v9, v74, 4, 1
	v_mov_b32_dpp v8, v5 row_shr:8 row_mask:0xf bank_mask:0xf
	s_and_b32 vcc_lo, s14, vcc_lo
	s_delay_alu instid0(VALU_DEP_3) | instskip(SKIP_1) | instid1(VALU_DEP_2)
	v_cndmask_b32_e64 v7, 0, v7, s14
	s_mov_b32 s14, exec_lo
	v_cndmask_b32_e32 v8, 0, v8, vcc_lo
	s_delay_alu instid0(VALU_DEP_1) | instskip(NEXT) | instid1(VALU_DEP_3)
	v_add_nc_u32_e32 v8, v8, v5
	v_add_nc_u32_e32 v5, v7, v6
	ds_swizzle_b32 v6, v8 offset:swizzle(BROADCAST,32,15)
	ds_swizzle_b32 v7, v5 offset:swizzle(BROADCAST,32,15)
	v_cmp_eq_u32_e32 vcc_lo, 0, v5
	s_waitcnt lgkmcnt(0)
	v_dual_cndmask_b32 v6, 0, v6 :: v_dual_and_b32 v7, v9, v7
	s_delay_alu instid0(VALU_DEP_1) | instskip(NEXT) | instid1(VALU_DEP_2)
	v_and_b32_e32 v6, v9, v6
	v_add_nc_u32_e32 v5, v7, v5
	v_lshlrev_b32_e32 v7, 3, v75
	s_delay_alu instid0(VALU_DEP_3)
	v_add_nc_u32_e32 v6, v6, v8
	v_cmpx_eq_u32_e64 v76, v0
	s_cbranch_execz .LBB857_80
; %bb.79:
	ds_store_b64 v7, v[5:6] offset:1040
.LBB857_80:
	s_or_b32 exec_lo, exec_lo, s14
	s_delay_alu instid0(SALU_CYCLE_1)
	s_mov_b32 s15, exec_lo
	s_waitcnt lgkmcnt(0)
	s_barrier
	buffer_gl0_inv
	v_cmpx_gt_u32_e32 8, v0
	s_cbranch_execz .LBB857_82
; %bb.81:
	v_lshlrev_b32_e32 v10, 3, v0
	v_and_b32_e32 v12, 7, v74
	ds_load_b64 v[8:9], v10 offset:1040
	v_cmp_lt_u32_e64 s14, 1, v12
	s_waitcnt lgkmcnt(0)
	v_mov_b32_dpp v11, v9 row_shr:1 row_mask:0xf bank_mask:0xf
	v_cmp_eq_u32_e32 vcc_lo, 0, v8
	v_mov_b32_dpp v24, v8 row_shr:1 row_mask:0xf bank_mask:0xf
	s_delay_alu instid0(VALU_DEP_3) | instskip(SKIP_1) | instid1(VALU_DEP_3)
	v_cndmask_b32_e32 v11, 0, v11, vcc_lo
	v_cmp_eq_u32_e32 vcc_lo, 0, v12
	v_cndmask_b32_e64 v24, v24, 0, vcc_lo
	s_delay_alu instid0(VALU_DEP_3) | instskip(NEXT) | instid1(VALU_DEP_2)
	v_cndmask_b32_e64 v11, v11, 0, vcc_lo
	v_add_nc_u32_e32 v8, v24, v8
	s_delay_alu instid0(VALU_DEP_1) | instskip(SKIP_1) | instid1(VALU_DEP_3)
	v_cmp_eq_u32_e32 vcc_lo, 0, v8
	s_and_b32 vcc_lo, s14, vcc_lo
	v_add_nc_u32_e32 v9, v11, v9
	v_mov_b32_dpp v11, v8 row_shr:2 row_mask:0xf bank_mask:0xf
	s_delay_alu instid0(VALU_DEP_2) | instskip(NEXT) | instid1(VALU_DEP_2)
	v_mov_b32_dpp v24, v9 row_shr:2 row_mask:0xf bank_mask:0xf
	v_cndmask_b32_e64 v11, 0, v11, s14
	v_cmp_lt_u32_e64 s14, 3, v12
	s_delay_alu instid0(VALU_DEP_3) | instskip(NEXT) | instid1(VALU_DEP_3)
	v_cndmask_b32_e32 v24, 0, v24, vcc_lo
	v_add_nc_u32_e32 v8, v11, v8
	s_delay_alu instid0(VALU_DEP_1) | instskip(SKIP_3) | instid1(VALU_DEP_2)
	v_cmp_eq_u32_e32 vcc_lo, 0, v8
	v_mov_b32_dpp v11, v8 row_shr:4 row_mask:0xf bank_mask:0xf
	s_and_b32 vcc_lo, s14, vcc_lo
	v_add_nc_u32_e32 v9, v24, v9
	v_cndmask_b32_e64 v11, 0, v11, s14
	s_delay_alu instid0(VALU_DEP_2) | instskip(NEXT) | instid1(VALU_DEP_2)
	v_mov_b32_dpp v12, v9 row_shr:4 row_mask:0xf bank_mask:0xf
	v_add_nc_u32_e32 v8, v11, v8
	s_delay_alu instid0(VALU_DEP_2) | instskip(NEXT) | instid1(VALU_DEP_1)
	v_cndmask_b32_e32 v12, 0, v12, vcc_lo
	v_add_nc_u32_e32 v9, v12, v9
	ds_store_b64 v10, v[8:9] offset:1040
.LBB857_82:
	s_or_b32 exec_lo, exec_lo, s15
	v_cmp_gt_u32_e32 vcc_lo, 32, v0
	v_dual_mov_b32 v24, 0 :: v_dual_mov_b32 v25, 0
	s_mov_b32 s15, exec_lo
	s_waitcnt lgkmcnt(0)
	s_barrier
	buffer_gl0_inv
	v_cmpx_lt_u32_e32 31, v0
	s_cbranch_execz .LBB857_84
; %bb.83:
	ds_load_b64 v[24:25], v7 offset:1032
	v_cmp_eq_u32_e64 s14, 0, v5
	s_waitcnt lgkmcnt(0)
	s_delay_alu instid0(VALU_DEP_1) | instskip(SKIP_1) | instid1(VALU_DEP_2)
	v_cndmask_b32_e64 v7, 0, v25, s14
	v_add_nc_u32_e32 v5, v24, v5
	v_add_nc_u32_e32 v6, v7, v6
.LBB857_84:
	s_or_b32 exec_lo, exec_lo, s15
	v_add_nc_u32_e32 v7, -1, v74
	s_delay_alu instid0(VALU_DEP_1) | instskip(NEXT) | instid1(VALU_DEP_1)
	v_cmp_gt_i32_e64 s14, 0, v7
	v_cndmask_b32_e64 v7, v7, v74, s14
	v_cmp_eq_u32_e64 s14, 0, v74
	s_delay_alu instid0(VALU_DEP_2)
	v_lshlrev_b32_e32 v7, 2, v7
	ds_bpermute_b32 v30, v7, v5
	ds_bpermute_b32 v31, v7, v6
	s_and_saveexec_b32 s17, vcc_lo
	s_cbranch_execz .LBB857_107
; %bb.85:
	v_mov_b32_e32 v8, 0
	ds_load_b64 v[5:6], v8 offset:1096
	s_waitcnt lgkmcnt(0)
	v_readfirstlane_b32 s22, v6
	s_and_saveexec_b32 s15, s14
	s_cbranch_execz .LBB857_87
; %bb.86:
	s_add_i32 s24, s40, 32
	s_mov_b32 s25, 0
	v_mov_b32_e32 v7, 1
	s_lshl_b64 s[36:37], s[24:25], 4
	s_mov_b32 s42, s25
	s_add_u32 s36, s20, s36
	s_addc_u32 s37, s21, s37
	s_and_b32 s43, s22, 0xff000000
	s_and_b32 s45, s22, 0xff0000
	s_mov_b32 s44, s25
	v_dual_mov_b32 v9, s36 :: v_dual_mov_b32 v10, s37
	s_or_b64 s[42:43], s[44:45], s[42:43]
	s_and_b32 s45, s22, 0xff00
	s_delay_alu instid0(SALU_CYCLE_1) | instskip(SKIP_1) | instid1(SALU_CYCLE_1)
	s_or_b64 s[42:43], s[42:43], s[44:45]
	s_and_b32 s45, s22, 0xff
	s_or_b64 s[24:25], s[42:43], s[44:45]
	s_delay_alu instid0(SALU_CYCLE_1)
	v_mov_b32_e32 v6, s25
	;;#ASMSTART
	global_store_dwordx4 v[9:10], v[5:8] off	
s_waitcnt vmcnt(0)
	;;#ASMEND
.LBB857_87:
	s_or_b32 exec_lo, exec_lo, s15
	v_xad_u32 v26, v74, -1, s40
	s_mov_b32 s23, 0
	s_mov_b32 s15, exec_lo
	s_delay_alu instid0(VALU_DEP_1) | instskip(NEXT) | instid1(VALU_DEP_1)
	v_add_nc_u32_e32 v7, 32, v26
	v_lshlrev_b64 v[6:7], 4, v[7:8]
	s_delay_alu instid0(VALU_DEP_1) | instskip(NEXT) | instid1(VALU_DEP_2)
	v_add_co_u32 v6, vcc_lo, s20, v6
	v_add_co_ci_u32_e32 v7, vcc_lo, s21, v7, vcc_lo
	;;#ASMSTART
	global_load_dwordx4 v[9:12], v[6:7] off glc	
s_waitcnt vmcnt(0)
	;;#ASMEND
	v_and_b32_e32 v8, 0xff, v10
	v_and_b32_e32 v12, 0xff00, v10
	;; [unrolled: 1-line block ×3, first 2 shown]
	v_or3_b32 v9, v9, 0, 0
	v_and_b32_e32 v10, 0xff000000, v10
	s_delay_alu instid0(VALU_DEP_4) | instskip(SKIP_1) | instid1(VALU_DEP_4)
	v_or3_b32 v8, 0, v8, v12
	v_and_b32_e32 v12, 0xff, v11
	v_or3_b32 v9, v9, 0, 0
	s_delay_alu instid0(VALU_DEP_3) | instskip(NEXT) | instid1(VALU_DEP_3)
	v_or3_b32 v10, v8, v27, v10
	v_cmpx_eq_u16_e32 0, v12
	s_cbranch_execz .LBB857_93
; %bb.88:
	s_mov_b32 s24, 1
	.p2align	6
.LBB857_89:                             ; =>This Loop Header: Depth=1
                                        ;     Child Loop BB857_90 Depth 2
	s_delay_alu instid0(SALU_CYCLE_1)
	s_max_u32 s25, s24, 1
.LBB857_90:                             ;   Parent Loop BB857_89 Depth=1
                                        ; =>  This Inner Loop Header: Depth=2
	s_delay_alu instid0(SALU_CYCLE_1)
	s_add_i32 s25, s25, -1
	s_sleep 1
	s_cmp_eq_u32 s25, 0
	s_cbranch_scc0 .LBB857_90
; %bb.91:                               ;   in Loop: Header=BB857_89 Depth=1
	;;#ASMSTART
	global_load_dwordx4 v[9:12], v[6:7] off glc	
s_waitcnt vmcnt(0)
	;;#ASMEND
	v_and_b32_e32 v8, 0xff, v11
	s_cmp_lt_u32 s24, 32
	s_cselect_b32 s25, -1, 0
	s_delay_alu instid0(VALU_DEP_1) | instskip(SKIP_3) | instid1(SALU_CYCLE_1)
	v_cmp_ne_u16_e32 vcc_lo, 0, v8
	s_cmp_lg_u32 s25, 0
	s_addc_u32 s24, s24, 0
	s_or_b32 s23, vcc_lo, s23
	s_and_not1_b32 exec_lo, exec_lo, s23
	s_cbranch_execnz .LBB857_89
; %bb.92:
	s_or_b32 exec_lo, exec_lo, s23
.LBB857_93:
	s_delay_alu instid0(SALU_CYCLE_1)
	s_or_b32 exec_lo, exec_lo, s15
	v_cmp_ne_u32_e32 vcc_lo, 31, v74
	v_and_b32_e32 v7, 0xff, v11
	v_lshlrev_b32_e64 v32, v74, -1
	v_add_nc_u32_e32 v34, 2, v74
	v_add_nc_u32_e32 v36, 4, v74
	v_add_co_ci_u32_e32 v6, vcc_lo, 0, v74, vcc_lo
	v_cmp_eq_u16_e32 vcc_lo, 2, v7
	v_add_nc_u32_e32 v38, 8, v74
	v_add_nc_u32_e32 v40, 16, v74
	v_and_or_b32 v12, vcc_lo, v32, 0x80000000
	v_cmp_gt_u32_e32 vcc_lo, 30, v74
	s_delay_alu instid0(VALU_DEP_2) | instskip(SKIP_2) | instid1(VALU_DEP_3)
	v_ctz_i32_b32_e32 v12, v12
	v_cndmask_b32_e64 v27, 0, 1, vcc_lo
	v_cmp_eq_u32_e32 vcc_lo, 0, v9
	v_cmp_lt_u32_e64 s15, v74, v12
	s_delay_alu instid0(VALU_DEP_3) | instskip(NEXT) | instid1(VALU_DEP_2)
	v_lshlrev_b32_e32 v27, 1, v27
	s_and_b32 vcc_lo, s15, vcc_lo
	v_lshlrev_b32_e32 v6, 2, v6
	s_delay_alu instid0(VALU_DEP_2)
	v_add_lshl_u32 v33, v27, v74, 2
	ds_bpermute_b32 v7, v6, v10
	s_waitcnt lgkmcnt(0)
	v_cndmask_b32_e32 v7, 0, v7, vcc_lo
	ds_bpermute_b32 v8, v6, v9
	v_cmp_gt_u32_e32 vcc_lo, 28, v74
	v_add_nc_u32_e32 v7, v7, v10
	ds_bpermute_b32 v10, v33, v7
	s_waitcnt lgkmcnt(1)
	v_cndmask_b32_e64 v8, 0, v8, s15
	s_delay_alu instid0(VALU_DEP_1) | instskip(SKIP_1) | instid1(VALU_DEP_2)
	v_add_nc_u32_e32 v8, v8, v9
	v_cndmask_b32_e64 v9, 0, 1, vcc_lo
	v_cmp_eq_u32_e32 vcc_lo, 0, v8
	ds_bpermute_b32 v27, v33, v8
	s_waitcnt lgkmcnt(1)
	v_dual_cndmask_b32 v10, 0, v10 :: v_dual_lshlrev_b32 v9, 2, v9
	v_cmp_gt_u32_e32 vcc_lo, v34, v12
	s_delay_alu instid0(VALU_DEP_2) | instskip(NEXT) | instid1(VALU_DEP_3)
	v_add_lshl_u32 v35, v9, v74, 2
	v_cndmask_b32_e64 v10, v10, 0, vcc_lo
	s_delay_alu instid0(VALU_DEP_1) | instskip(SKIP_4) | instid1(VALU_DEP_2)
	v_add_nc_u32_e32 v7, v10, v7
	ds_bpermute_b32 v9, v35, v7
	s_waitcnt lgkmcnt(1)
	v_cndmask_b32_e64 v10, v27, 0, vcc_lo
	v_cmp_gt_u32_e32 vcc_lo, 24, v74
	v_add_nc_u32_e32 v8, v8, v10
	v_cndmask_b32_e64 v27, 0, 1, vcc_lo
	ds_bpermute_b32 v10, v35, v8
	v_cmp_eq_u32_e32 vcc_lo, 0, v8
	v_lshlrev_b32_e32 v27, 3, v27
	s_delay_alu instid0(VALU_DEP_1) | instskip(SKIP_3) | instid1(VALU_DEP_2)
	v_add_lshl_u32 v37, v27, v74, 2
	s_waitcnt lgkmcnt(1)
	v_cndmask_b32_e32 v9, 0, v9, vcc_lo
	v_cmp_gt_u32_e32 vcc_lo, v36, v12
	v_cndmask_b32_e64 v9, v9, 0, vcc_lo
	s_delay_alu instid0(VALU_DEP_1)
	v_add_nc_u32_e32 v7, v7, v9
	s_waitcnt lgkmcnt(0)
	v_cndmask_b32_e64 v10, v10, 0, vcc_lo
	v_cmp_gt_u32_e32 vcc_lo, 16, v74
	ds_bpermute_b32 v9, v37, v7
	v_add_nc_u32_e32 v8, v8, v10
	v_cndmask_b32_e64 v27, 0, 1, vcc_lo
	ds_bpermute_b32 v10, v37, v8
	v_cmp_eq_u32_e32 vcc_lo, 0, v8
	v_lshlrev_b32_e32 v27, 4, v27
	s_delay_alu instid0(VALU_DEP_1) | instskip(SKIP_4) | instid1(VALU_DEP_2)
	v_add_lshl_u32 v39, v27, v74, 2
	v_mov_b32_e32 v27, 0
	s_waitcnt lgkmcnt(1)
	v_cndmask_b32_e32 v9, 0, v9, vcc_lo
	v_cmp_gt_u32_e32 vcc_lo, v38, v12
	v_cndmask_b32_e64 v9, v9, 0, vcc_lo
	s_delay_alu instid0(VALU_DEP_1)
	v_add_nc_u32_e32 v7, v7, v9
	s_waitcnt lgkmcnt(0)
	v_cndmask_b32_e64 v9, v10, 0, vcc_lo
	ds_bpermute_b32 v10, v39, v7
	v_add_nc_u32_e32 v8, v8, v9
	ds_bpermute_b32 v9, v39, v8
	v_cmp_eq_u32_e32 vcc_lo, 0, v8
	s_waitcnt lgkmcnt(1)
	v_cndmask_b32_e32 v10, 0, v10, vcc_lo
	v_cmp_gt_u32_e32 vcc_lo, v40, v12
	s_delay_alu instid0(VALU_DEP_2) | instskip(SKIP_2) | instid1(VALU_DEP_2)
	v_cndmask_b32_e64 v10, v10, 0, vcc_lo
	s_waitcnt lgkmcnt(0)
	v_cndmask_b32_e64 v9, v9, 0, vcc_lo
	v_add_nc_u32_e32 v10, v10, v7
	s_delay_alu instid0(VALU_DEP_2)
	v_add_nc_u32_e32 v9, v9, v8
	s_branch .LBB857_95
.LBB857_94:                             ;   in Loop: Header=BB857_95 Depth=1
	s_or_b32 exec_lo, exec_lo, s15
	v_and_b32_e32 v12, 0xff, v11
	ds_bpermute_b32 v28, v6, v9
	v_subrev_nc_u32_e32 v26, 32, v26
	v_cmp_eq_u16_e32 vcc_lo, 2, v12
	ds_bpermute_b32 v12, v6, v10
	v_and_or_b32 v29, vcc_lo, v32, 0x80000000
	v_cmp_eq_u32_e32 vcc_lo, 0, v9
	s_delay_alu instid0(VALU_DEP_2) | instskip(NEXT) | instid1(VALU_DEP_1)
	v_ctz_i32_b32_e32 v29, v29
	v_cmp_lt_u32_e64 s15, v74, v29
	s_delay_alu instid0(VALU_DEP_1) | instskip(SKIP_4) | instid1(VALU_DEP_2)
	s_and_b32 vcc_lo, s15, vcc_lo
	s_waitcnt lgkmcnt(1)
	v_cndmask_b32_e64 v28, 0, v28, s15
	s_waitcnt lgkmcnt(0)
	v_cndmask_b32_e32 v12, 0, v12, vcc_lo
	v_add_nc_u32_e32 v9, v28, v9
	s_delay_alu instid0(VALU_DEP_2) | instskip(NEXT) | instid1(VALU_DEP_2)
	v_add_nc_u32_e32 v10, v12, v10
	v_cmp_eq_u32_e32 vcc_lo, 0, v9
	ds_bpermute_b32 v12, v33, v10
	ds_bpermute_b32 v28, v33, v9
	s_waitcnt lgkmcnt(1)
	v_cndmask_b32_e32 v12, 0, v12, vcc_lo
	v_cmp_gt_u32_e32 vcc_lo, v34, v29
	s_delay_alu instid0(VALU_DEP_2) | instskip(SKIP_2) | instid1(VALU_DEP_2)
	v_cndmask_b32_e64 v12, v12, 0, vcc_lo
	s_waitcnt lgkmcnt(0)
	v_cndmask_b32_e64 v28, v28, 0, vcc_lo
	v_add_nc_u32_e32 v10, v12, v10
	s_delay_alu instid0(VALU_DEP_2)
	v_add_nc_u32_e32 v9, v9, v28
	ds_bpermute_b32 v12, v35, v10
	v_cmp_eq_u32_e32 vcc_lo, 0, v9
	ds_bpermute_b32 v28, v35, v9
	s_waitcnt lgkmcnt(1)
	v_cndmask_b32_e32 v12, 0, v12, vcc_lo
	v_cmp_gt_u32_e32 vcc_lo, v36, v29
	s_delay_alu instid0(VALU_DEP_2) | instskip(SKIP_2) | instid1(VALU_DEP_2)
	v_cndmask_b32_e64 v12, v12, 0, vcc_lo
	s_waitcnt lgkmcnt(0)
	v_cndmask_b32_e64 v28, v28, 0, vcc_lo
	v_add_nc_u32_e32 v10, v10, v12
	s_delay_alu instid0(VALU_DEP_2)
	v_add_nc_u32_e32 v9, v9, v28
	ds_bpermute_b32 v12, v37, v10
	ds_bpermute_b32 v28, v37, v9
	v_cmp_eq_u32_e32 vcc_lo, 0, v9
	s_waitcnt lgkmcnt(1)
	v_cndmask_b32_e32 v12, 0, v12, vcc_lo
	v_cmp_gt_u32_e32 vcc_lo, v38, v29
	s_delay_alu instid0(VALU_DEP_2) | instskip(SKIP_2) | instid1(VALU_DEP_2)
	v_cndmask_b32_e64 v12, v12, 0, vcc_lo
	s_waitcnt lgkmcnt(0)
	v_cndmask_b32_e64 v28, v28, 0, vcc_lo
	v_add_nc_u32_e32 v10, v10, v12
	s_delay_alu instid0(VALU_DEP_2)
	v_add_nc_u32_e32 v9, v9, v28
	ds_bpermute_b32 v12, v39, v10
	ds_bpermute_b32 v28, v39, v9
	v_cmp_eq_u32_e32 vcc_lo, 0, v9
	s_waitcnt lgkmcnt(1)
	v_cndmask_b32_e32 v12, 0, v12, vcc_lo
	v_cmp_gt_u32_e32 vcc_lo, v40, v29
	s_delay_alu instid0(VALU_DEP_2) | instskip(NEXT) | instid1(VALU_DEP_1)
	v_cndmask_b32_e64 v12, v12, 0, vcc_lo
	v_add_nc_u32_e32 v10, v12, v10
	s_waitcnt lgkmcnt(0)
	v_cndmask_b32_e64 v12, v28, 0, vcc_lo
	v_cmp_eq_u32_e32 vcc_lo, 0, v7
	s_delay_alu instid0(VALU_DEP_2) | instskip(SKIP_1) | instid1(VALU_DEP_1)
	v_add3_u32 v9, v9, v7, v12
	v_cndmask_b32_e32 v10, 0, v10, vcc_lo
	v_add_nc_u32_e32 v10, v10, v8
.LBB857_95:                             ; =>This Loop Header: Depth=1
                                        ;     Child Loop BB857_98 Depth 2
                                        ;       Child Loop BB857_99 Depth 3
	s_delay_alu instid0(VALU_DEP_1) | instskip(NEXT) | instid1(VALU_DEP_1)
	v_dual_mov_b32 v8, v10 :: v_dual_and_b32 v7, 0xff, v11
	v_cmp_ne_u16_e32 vcc_lo, 2, v7
	v_cndmask_b32_e64 v7, 0, 1, vcc_lo
	;;#ASMSTART
	;;#ASMEND
	s_delay_alu instid0(VALU_DEP_1)
	v_cmp_ne_u32_e32 vcc_lo, 0, v7
	v_mov_b32_e32 v7, v9
	s_cmp_lg_u32 vcc_lo, exec_lo
	s_cbranch_scc1 .LBB857_102
; %bb.96:                               ;   in Loop: Header=BB857_95 Depth=1
	v_lshlrev_b64 v[9:10], 4, v[26:27]
	s_mov_b32 s15, exec_lo
	s_delay_alu instid0(VALU_DEP_1) | instskip(NEXT) | instid1(VALU_DEP_2)
	v_add_co_u32 v28, vcc_lo, s20, v9
	v_add_co_ci_u32_e32 v29, vcc_lo, s21, v10, vcc_lo
	;;#ASMSTART
	global_load_dwordx4 v[9:12], v[28:29] off glc	
s_waitcnt vmcnt(0)
	;;#ASMEND
	v_and_b32_e32 v12, 0xff, v10
	v_and_b32_e32 v41, 0xff00, v10
	;; [unrolled: 1-line block ×3, first 2 shown]
	v_or3_b32 v9, v9, 0, 0
	v_and_b32_e32 v10, 0xff000000, v10
	s_delay_alu instid0(VALU_DEP_4) | instskip(SKIP_1) | instid1(VALU_DEP_4)
	v_or3_b32 v12, 0, v12, v41
	v_and_b32_e32 v41, 0xff, v11
	v_or3_b32 v9, v9, 0, 0
	s_delay_alu instid0(VALU_DEP_3) | instskip(NEXT) | instid1(VALU_DEP_3)
	v_or3_b32 v10, v12, v42, v10
	v_cmpx_eq_u16_e32 0, v41
	s_cbranch_execz .LBB857_94
; %bb.97:                               ;   in Loop: Header=BB857_95 Depth=1
	s_mov_b32 s24, 1
	s_mov_b32 s23, 0
	.p2align	6
.LBB857_98:                             ;   Parent Loop BB857_95 Depth=1
                                        ; =>  This Loop Header: Depth=2
                                        ;       Child Loop BB857_99 Depth 3
	s_max_u32 s25, s24, 1
.LBB857_99:                             ;   Parent Loop BB857_95 Depth=1
                                        ;     Parent Loop BB857_98 Depth=2
                                        ; =>    This Inner Loop Header: Depth=3
	s_delay_alu instid0(SALU_CYCLE_1)
	s_add_i32 s25, s25, -1
	s_sleep 1
	s_cmp_eq_u32 s25, 0
	s_cbranch_scc0 .LBB857_99
; %bb.100:                              ;   in Loop: Header=BB857_98 Depth=2
	;;#ASMSTART
	global_load_dwordx4 v[9:12], v[28:29] off glc	
s_waitcnt vmcnt(0)
	;;#ASMEND
	v_and_b32_e32 v12, 0xff, v11
	s_cmp_lt_u32 s24, 32
	s_cselect_b32 s25, -1, 0
	s_delay_alu instid0(SALU_CYCLE_1) | instskip(NEXT) | instid1(VALU_DEP_1)
	s_cmp_lg_u32 s25, 0
	v_cmp_ne_u16_e32 vcc_lo, 0, v12
	s_addc_u32 s24, s24, 0
	s_or_b32 s23, vcc_lo, s23
	s_delay_alu instid0(SALU_CYCLE_1)
	s_and_not1_b32 exec_lo, exec_lo, s23
	s_cbranch_execnz .LBB857_98
; %bb.101:                              ;   in Loop: Header=BB857_95 Depth=1
	s_or_b32 exec_lo, exec_lo, s23
	s_branch .LBB857_94
.LBB857_102:                            ;   in Loop: Header=BB857_95 Depth=1
                                        ; implicit-def: $vgpr10
                                        ; implicit-def: $vgpr9
                                        ; implicit-def: $vgpr11
	s_cbranch_execz .LBB857_95
; %bb.103:
	s_and_saveexec_b32 s15, s14
	s_cbranch_execz .LBB857_105
; %bb.104:
	v_cmp_eq_u32_e32 vcc_lo, 0, v5
	s_mov_b32 s25, 0
	s_add_i32 s24, s40, 32
	v_add_nc_u32_e32 v9, v7, v5
	s_lshl_b64 s[24:25], s[24:25], 4
	v_cndmask_b32_e32 v6, 0, v8, vcc_lo
	s_add_u32 s24, s20, s24
	s_addc_u32 s25, s21, s25
	v_mov_b32_e32 v12, 0
	s_delay_alu instid0(VALU_DEP_2) | instskip(NEXT) | instid1(VALU_DEP_1)
	v_add_nc_u32_e32 v6, s22, v6
	v_and_b32_e32 v10, 0xff000000, v6
	v_and_b32_e32 v11, 0xff0000, v6
	s_delay_alu instid0(VALU_DEP_1) | instskip(SKIP_2) | instid1(VALU_DEP_1)
	v_or_b32_e32 v10, v11, v10
	v_dual_mov_b32 v11, 2 :: v_dual_and_b32 v26, 0xff00, v6
	v_and_b32_e32 v6, 0xff, v6
	v_or3_b32 v10, v10, v26, v6
	v_dual_mov_b32 v6, s22 :: v_dual_mov_b32 v27, s25
	v_mov_b32_e32 v26, s24
	;;#ASMSTART
	global_store_dwordx4 v[26:27], v[9:12] off	
s_waitcnt vmcnt(0)
	;;#ASMEND
	ds_store_b128 v12, v[5:8] offset:1024
.LBB857_105:
	s_or_b32 exec_lo, exec_lo, s15
	s_delay_alu instid0(SALU_CYCLE_1)
	s_and_b32 exec_lo, exec_lo, s2
	s_cbranch_execz .LBB857_107
; %bb.106:
	v_mov_b32_e32 v5, 0
	ds_store_b64 v5, v[7:8] offset:1096
.LBB857_107:
	s_or_b32 exec_lo, exec_lo, s17
	s_waitcnt lgkmcnt(1)
	v_cndmask_b32_e64 v8, v30, v24, s14
	s_waitcnt lgkmcnt(0)
	s_barrier
	buffer_gl0_inv
	v_cndmask_b32_e64 v9, v31, v25, s14
	v_cmp_eq_u32_e32 vcc_lo, 0, v8
	v_mov_b32_e32 v7, 0
	ds_load_b64 v[5:6], v7 offset:1096
	s_waitcnt lgkmcnt(0)
	s_barrier
	buffer_gl0_inv
	v_cndmask_b32_e32 v10, 0, v6, vcc_lo
	v_cmp_eq_u32_e32 vcc_lo, 0, v65
	s_delay_alu instid0(VALU_DEP_2) | instskip(NEXT) | instid1(VALU_DEP_1)
	v_add_nc_u32_e32 v9, v10, v9
	v_cndmask_b32_e64 v41, v9, v6, s2
	s_delay_alu instid0(VALU_DEP_1) | instskip(NEXT) | instid1(VALU_DEP_1)
	v_cndmask_b32_e32 v6, 0, v41, vcc_lo
	v_add_nc_u32_e32 v47, v6, v22
	s_delay_alu instid0(VALU_DEP_1) | instskip(NEXT) | instid1(VALU_DEP_1)
	v_cndmask_b32_e64 v6, 0, v47, s13
	v_add_nc_u32_e32 v43, v6, v73
	s_delay_alu instid0(VALU_DEP_1) | instskip(NEXT) | instid1(VALU_DEP_1)
	v_cndmask_b32_e64 v6, 0, v43, s12
	;; [unrolled: 3-line block ×5, first 2 shown]
	v_add_nc_u32_e32 v27, v6, v71
	v_cndmask_b32_e64 v6, v8, 0, s2
	s_delay_alu instid0(VALU_DEP_2) | instskip(NEXT) | instid1(VALU_DEP_2)
	v_cndmask_b32_e64 v8, 0, v27, s8
	v_add_nc_u32_e32 v40, v5, v6
	s_delay_alu instid0(VALU_DEP_2) | instskip(NEXT) | instid1(VALU_DEP_2)
	v_add_nc_u32_e32 v31, v8, v21
	v_add_nc_u32_e32 v46, v40, v65
	s_delay_alu instid0(VALU_DEP_2) | instskip(NEXT) | instid1(VALU_DEP_2)
	v_cndmask_b32_e64 v5, 0, v31, s7
	v_add_nc_u32_e32 v42, v46, v64
	s_delay_alu instid0(VALU_DEP_2) | instskip(NEXT) | instid1(VALU_DEP_2)
	v_add_nc_u32_e32 v35, v5, v70
	v_add_nc_u32_e32 v38, v42, v63
	;; [unrolled: 6-line block ×4, first 2 shown]
	s_delay_alu instid0(VALU_DEP_2) | instskip(NEXT) | instid1(VALU_DEP_2)
	v_cndmask_b32_e64 v5, 0, v12, s4
	v_add_nc_u32_e32 v34, v30, v58
	s_delay_alu instid0(VALU_DEP_2) | instskip(SKIP_3) | instid1(VALU_DEP_2)
	v_add_nc_u32_e32 v25, v5, v19
	ds_load_b128 v[5:8], v7 offset:1024
	v_add_nc_u32_e32 v9, v34, v56
	v_cndmask_b32_e64 v24, 0, v25, s3
	v_add_nc_u32_e32 v11, v9, v55
	s_delay_alu instid0(VALU_DEP_2) | instskip(NEXT) | instid1(VALU_DEP_2)
	v_add_nc_u32_e32 v49, v24, v68
	v_add_nc_u32_e32 v24, v11, v54
	s_delay_alu instid0(VALU_DEP_2) | instskip(NEXT) | instid1(VALU_DEP_2)
	v_cndmask_b32_e64 v36, 0, v49, s1
	v_add_nc_u32_e32 v48, v24, v53
	s_delay_alu instid0(VALU_DEP_2) | instskip(SKIP_2) | instid1(VALU_DEP_3)
	v_add_nc_u32_e32 v45, v36, v16
	s_waitcnt lgkmcnt(0)
	v_cmp_eq_u32_e32 vcc_lo, 0, v5
	v_add_nc_u32_e32 v44, v48, v52
	s_delay_alu instid0(VALU_DEP_3) | instskip(SKIP_1) | instid1(VALU_DEP_3)
	v_cndmask_b32_e64 v37, 0, v45, s0
	v_cndmask_b32_e32 v8, 0, v8, vcc_lo
	v_add_nc_u32_e32 v36, v44, v51
	s_delay_alu instid0(VALU_DEP_3) | instskip(NEXT) | instid1(VALU_DEP_3)
	v_add_nc_u32_e32 v37, v37, v67
	v_add_nc_u32_e32 v66, v8, v6
	s_branch .LBB857_120
.LBB857_108:
                                        ; implicit-def: $vgpr5
                                        ; implicit-def: $vgpr66
                                        ; implicit-def: $vgpr40_vgpr41
                                        ; implicit-def: $vgpr46_vgpr47
                                        ; implicit-def: $vgpr42_vgpr43
                                        ; implicit-def: $vgpr38_vgpr39
                                        ; implicit-def: $vgpr32_vgpr33
                                        ; implicit-def: $vgpr28_vgpr29
                                        ; implicit-def: $vgpr26_vgpr27
                                        ; implicit-def: $vgpr30_vgpr31
                                        ; implicit-def: $vgpr34_vgpr35
                                        ; implicit-def: $vgpr9_vgpr10
                                        ; implicit-def: $vgpr11_vgpr12
                                        ; implicit-def: $vgpr24_vgpr25
                                        ; implicit-def: $vgpr48_vgpr49
                                        ; implicit-def: $vgpr44_vgpr45
                                        ; implicit-def: $vgpr36_vgpr37
	s_cbranch_execz .LBB857_120
; %bb.109:
	s_and_b32 s0, s16, exec_lo
	v_mov_b32_e32 v36, v22
	s_cselect_b32 s1, 0, s35
	s_cselect_b32 s0, 0, s34
	s_delay_alu instid0(SALU_CYCLE_1)
	s_cmp_eq_u64 s[0:1], 0
	s_cbranch_scc1 .LBB857_111
; %bb.110:
	v_mov_b32_e32 v5, 0
	global_load_b32 v36, v5, s[0:1]
.LBB857_111:
	v_cmp_eq_u32_e64 s7, 0, v64
	v_cmp_eq_u32_e64 s8, 0, v63
	;; [unrolled: 1-line block ×5, first 2 shown]
	v_cndmask_b32_e64 v5, 0, v22, s7
	v_cmp_eq_u32_e64 s12, 0, v59
	v_cmp_eq_u32_e64 s6, 0, v58
	;; [unrolled: 1-line block ×4, first 2 shown]
	v_add_nc_u32_e32 v5, v5, v73
	v_cmp_eq_u32_e64 s3, 0, v54
	v_cmp_eq_u32_e64 s1, 0, v53
	v_cmp_eq_u32_e32 vcc_lo, 0, v52
	v_add3_u32 v6, v77, v60, v59
	v_cndmask_b32_e64 v5, 0, v5, s8
	v_cmp_eq_u32_e64 s0, 0, v51
	v_cmp_eq_u32_e64 s13, 0, v57
	v_and_b32_e32 v8, 15, v74
	v_add3_u32 v6, v6, v58, v56
	v_add_nc_u32_e32 v5, v5, v23
	s_delay_alu instid0(VALU_DEP_3) | instskip(NEXT) | instid1(VALU_DEP_3)
	v_cmp_lt_u32_e64 s14, 1, v8
	v_add3_u32 v6, v6, v55, v54
	s_delay_alu instid0(VALU_DEP_3) | instskip(NEXT) | instid1(VALU_DEP_2)
	v_cndmask_b32_e64 v5, 0, v5, s9
	v_add3_u32 v6, v6, v53, v52
	s_delay_alu instid0(VALU_DEP_2) | instskip(NEXT) | instid1(VALU_DEP_2)
	v_add_nc_u32_e32 v5, v5, v72
	v_add3_u32 v6, v6, v51, v57
	s_delay_alu instid0(VALU_DEP_2) | instskip(NEXT) | instid1(VALU_DEP_2)
	v_cndmask_b32_e64 v5, 0, v5, s10
	v_mov_b32_dpp v9, v6 row_shr:1 row_mask:0xf bank_mask:0xf
	s_delay_alu instid0(VALU_DEP_2) | instskip(NEXT) | instid1(VALU_DEP_1)
	v_add_nc_u32_e32 v5, v5, v20
	v_cndmask_b32_e64 v5, 0, v5, s11
	s_delay_alu instid0(VALU_DEP_1) | instskip(NEXT) | instid1(VALU_DEP_1)
	v_add_nc_u32_e32 v5, v5, v71
	v_cndmask_b32_e64 v5, 0, v5, s12
	s_delay_alu instid0(VALU_DEP_1) | instskip(NEXT) | instid1(VALU_DEP_1)
	;; [unrolled: 3-line block ×7, first 2 shown]
	v_add_nc_u32_e32 v5, v5, v68
	v_cndmask_b32_e32 v5, 0, v5, vcc_lo
	s_delay_alu instid0(VALU_DEP_1) | instskip(NEXT) | instid1(VALU_DEP_1)
	v_add_nc_u32_e32 v5, v5, v16
	v_cndmask_b32_e64 v5, 0, v5, s0
	s_delay_alu instid0(VALU_DEP_1) | instskip(NEXT) | instid1(VALU_DEP_1)
	v_add_nc_u32_e32 v5, v5, v67
	v_cndmask_b32_e64 v5, 0, v5, s13
	v_cmp_eq_u32_e64 s13, 0, v6
	s_delay_alu instid0(VALU_DEP_2) | instskip(NEXT) | instid1(VALU_DEP_1)
	v_add_nc_u32_e32 v5, v5, v17
	v_mov_b32_dpp v7, v5 row_shr:1 row_mask:0xf bank_mask:0xf
	s_delay_alu instid0(VALU_DEP_1) | instskip(SKIP_1) | instid1(VALU_DEP_1)
	v_cndmask_b32_e64 v7, 0, v7, s13
	v_cmp_eq_u32_e64 s13, 0, v8
	v_cndmask_b32_e64 v9, v9, 0, s13
	s_delay_alu instid0(VALU_DEP_3) | instskip(NEXT) | instid1(VALU_DEP_2)
	v_cndmask_b32_e64 v7, v7, 0, s13
	v_add_nc_u32_e32 v6, v9, v6
	s_delay_alu instid0(VALU_DEP_2) | instskip(NEXT) | instid1(VALU_DEP_2)
	v_add_nc_u32_e32 v5, v7, v5
	v_mov_b32_dpp v7, v6 row_shr:2 row_mask:0xf bank_mask:0xf
	v_cmp_eq_u32_e64 s13, 0, v6
	s_delay_alu instid0(VALU_DEP_3) | instskip(NEXT) | instid1(VALU_DEP_3)
	v_mov_b32_dpp v9, v5 row_shr:2 row_mask:0xf bank_mask:0xf
	v_cndmask_b32_e64 v7, 0, v7, s14
	s_delay_alu instid0(VALU_DEP_3) | instskip(SKIP_1) | instid1(VALU_DEP_3)
	s_and_b32 s13, s14, s13
	v_cmp_lt_u32_e64 s14, 3, v8
	v_cndmask_b32_e64 v9, 0, v9, s13
	s_delay_alu instid0(VALU_DEP_3) | instskip(NEXT) | instid1(VALU_DEP_2)
	v_add_nc_u32_e32 v6, v6, v7
	v_add_nc_u32_e32 v5, v9, v5
	s_delay_alu instid0(VALU_DEP_2) | instskip(SKIP_1) | instid1(VALU_DEP_3)
	v_mov_b32_dpp v7, v6 row_shr:4 row_mask:0xf bank_mask:0xf
	v_cmp_eq_u32_e64 s13, 0, v6
	v_mov_b32_dpp v9, v5 row_shr:4 row_mask:0xf bank_mask:0xf
	s_delay_alu instid0(VALU_DEP_3) | instskip(NEXT) | instid1(VALU_DEP_3)
	v_cndmask_b32_e64 v7, 0, v7, s14
	s_and_b32 s13, s14, s13
	v_cmp_lt_u32_e64 s14, 7, v8
	s_delay_alu instid0(VALU_DEP_3) | instskip(NEXT) | instid1(VALU_DEP_3)
	v_cndmask_b32_e64 v9, 0, v9, s13
	v_add_nc_u32_e32 v6, v7, v6
	s_delay_alu instid0(VALU_DEP_2) | instskip(SKIP_1) | instid1(VALU_DEP_3)
	v_add_nc_u32_e32 v5, v5, v9
	v_bfe_i32 v9, v74, 4, 1
	v_cmp_eq_u32_e64 s13, 0, v6
	v_mov_b32_dpp v7, v6 row_shr:8 row_mask:0xf bank_mask:0xf
	s_delay_alu instid0(VALU_DEP_4) | instskip(NEXT) | instid1(VALU_DEP_3)
	v_mov_b32_dpp v8, v5 row_shr:8 row_mask:0xf bank_mask:0xf
	s_and_b32 s13, s14, s13
	s_delay_alu instid0(VALU_DEP_2) | instskip(SKIP_1) | instid1(VALU_DEP_2)
	v_cndmask_b32_e64 v7, 0, v7, s14
	s_mov_b32 s14, exec_lo
	v_cndmask_b32_e64 v8, 0, v8, s13
	s_delay_alu instid0(VALU_DEP_1) | instskip(NEXT) | instid1(VALU_DEP_3)
	v_add_nc_u32_e32 v8, v8, v5
	v_add_nc_u32_e32 v5, v7, v6
	ds_swizzle_b32 v6, v8 offset:swizzle(BROADCAST,32,15)
	ds_swizzle_b32 v7, v5 offset:swizzle(BROADCAST,32,15)
	v_cmp_eq_u32_e64 s13, 0, v5
	s_waitcnt lgkmcnt(1)
	s_delay_alu instid0(VALU_DEP_1) | instskip(SKIP_2) | instid1(VALU_DEP_2)
	v_cndmask_b32_e64 v6, 0, v6, s13
	s_waitcnt lgkmcnt(0)
	v_and_b32_e32 v7, v9, v7
	v_and_b32_e32 v6, v9, v6
	s_delay_alu instid0(VALU_DEP_2) | instskip(NEXT) | instid1(VALU_DEP_2)
	v_add_nc_u32_e32 v5, v7, v5
	v_add_nc_u32_e32 v6, v6, v8
	v_cmpx_eq_u32_e64 v76, v0
	s_cbranch_execz .LBB857_113
; %bb.112:
	v_lshlrev_b32_e32 v7, 3, v75
	ds_store_b64 v7, v[5:6] offset:1040
.LBB857_113:
	s_or_b32 exec_lo, exec_lo, s14
	s_delay_alu instid0(SALU_CYCLE_1)
	s_mov_b32 s15, exec_lo
	s_waitcnt vmcnt(0) lgkmcnt(0)
	s_barrier
	buffer_gl0_inv
	v_cmpx_gt_u32_e32 8, v0
	s_cbranch_execz .LBB857_115
; %bb.114:
	v_lshlrev_b32_e32 v9, 3, v0
	v_and_b32_e32 v11, 7, v74
	ds_load_b64 v[7:8], v9 offset:1040
	v_cmp_lt_u32_e64 s14, 1, v11
	s_waitcnt lgkmcnt(0)
	v_mov_b32_dpp v10, v8 row_shr:1 row_mask:0xf bank_mask:0xf
	v_cmp_eq_u32_e64 s13, 0, v7
	v_mov_b32_dpp v12, v7 row_shr:1 row_mask:0xf bank_mask:0xf
	s_delay_alu instid0(VALU_DEP_2) | instskip(SKIP_1) | instid1(VALU_DEP_1)
	v_cndmask_b32_e64 v10, 0, v10, s13
	v_cmp_eq_u32_e64 s13, 0, v11
	v_cndmask_b32_e64 v12, v12, 0, s13
	s_delay_alu instid0(VALU_DEP_3) | instskip(NEXT) | instid1(VALU_DEP_2)
	v_cndmask_b32_e64 v10, v10, 0, s13
	v_add_nc_u32_e32 v7, v12, v7
	s_delay_alu instid0(VALU_DEP_2) | instskip(NEXT) | instid1(VALU_DEP_2)
	v_add_nc_u32_e32 v8, v10, v8
	v_mov_b32_dpp v10, v7 row_shr:2 row_mask:0xf bank_mask:0xf
	v_cmp_eq_u32_e64 s13, 0, v7
	s_delay_alu instid0(VALU_DEP_3) | instskip(NEXT) | instid1(VALU_DEP_3)
	v_mov_b32_dpp v12, v8 row_shr:2 row_mask:0xf bank_mask:0xf
	v_cndmask_b32_e64 v10, 0, v10, s14
	s_delay_alu instid0(VALU_DEP_3) | instskip(SKIP_1) | instid1(VALU_DEP_3)
	s_and_b32 s13, s14, s13
	v_cmp_lt_u32_e64 s14, 3, v11
	v_cndmask_b32_e64 v12, 0, v12, s13
	s_delay_alu instid0(VALU_DEP_3) | instskip(NEXT) | instid1(VALU_DEP_2)
	v_add_nc_u32_e32 v7, v10, v7
	v_add_nc_u32_e32 v8, v12, v8
	s_delay_alu instid0(VALU_DEP_2) | instskip(SKIP_1) | instid1(VALU_DEP_3)
	v_cmp_eq_u32_e64 s13, 0, v7
	v_mov_b32_dpp v10, v7 row_shr:4 row_mask:0xf bank_mask:0xf
	v_mov_b32_dpp v11, v8 row_shr:4 row_mask:0xf bank_mask:0xf
	s_delay_alu instid0(VALU_DEP_3) | instskip(NEXT) | instid1(VALU_DEP_2)
	s_and_b32 s13, s14, s13
	v_cndmask_b32_e64 v10, 0, v10, s14
	s_delay_alu instid0(VALU_DEP_2) | instskip(NEXT) | instid1(VALU_DEP_2)
	v_cndmask_b32_e64 v11, 0, v11, s13
	v_add_nc_u32_e32 v7, v10, v7
	s_delay_alu instid0(VALU_DEP_2)
	v_add_nc_u32_e32 v8, v11, v8
	ds_store_b64 v9, v[7:8] offset:1040
.LBB857_115:
	s_or_b32 exec_lo, exec_lo, s15
	v_dual_mov_b32 v11, 0 :: v_dual_mov_b32 v8, v36
	v_mov_b32_e32 v7, 0
	s_mov_b32 s14, exec_lo
	s_waitcnt lgkmcnt(0)
	s_barrier
	buffer_gl0_inv
	v_cmpx_lt_u32_e32 31, v0
	s_cbranch_execz .LBB857_117
; %bb.116:
	v_lshlrev_b32_e32 v7, 3, v75
	ds_load_b64 v[7:8], v7 offset:1032
	s_waitcnt lgkmcnt(0)
	v_cmp_eq_u32_e64 s13, 0, v7
	s_delay_alu instid0(VALU_DEP_1) | instskip(NEXT) | instid1(VALU_DEP_1)
	v_cndmask_b32_e64 v9, 0, v36, s13
	v_add_nc_u32_e32 v8, v9, v8
.LBB857_117:
	s_or_b32 exec_lo, exec_lo, s14
	v_add_nc_u32_e32 v9, -1, v74
	s_delay_alu instid0(VALU_DEP_1) | instskip(NEXT) | instid1(VALU_DEP_1)
	v_cmp_gt_i32_e64 s13, 0, v9
	v_cndmask_b32_e64 v9, v9, v74, s13
	v_cmp_eq_u32_e64 s13, 0, v5
	v_add_nc_u32_e32 v5, v7, v5
	s_delay_alu instid0(VALU_DEP_3) | instskip(NEXT) | instid1(VALU_DEP_3)
	v_lshlrev_b32_e32 v9, 2, v9
	v_cndmask_b32_e64 v10, 0, v8, s13
	v_cmp_eq_u32_e64 s13, 0, v74
	ds_bpermute_b32 v5, v9, v5
	v_add_nc_u32_e32 v6, v10, v6
	ds_bpermute_b32 v6, v9, v6
	s_waitcnt lgkmcnt(1)
	v_cndmask_b32_e64 v5, v5, v7, s13
	s_delay_alu instid0(VALU_DEP_1) | instskip(SKIP_3) | instid1(VALU_DEP_3)
	v_cndmask_b32_e64 v40, v5, 0, s2
	s_waitcnt lgkmcnt(0)
	v_cndmask_b32_e64 v6, v6, v8, s13
	v_cmp_eq_u32_e64 s13, 0, v65
	v_add_nc_u32_e32 v46, v40, v65
	s_delay_alu instid0(VALU_DEP_3) | instskip(NEXT) | instid1(VALU_DEP_2)
	v_cndmask_b32_e64 v41, v6, v36, s2
	v_add_nc_u32_e32 v42, v46, v64
	s_delay_alu instid0(VALU_DEP_2) | instskip(NEXT) | instid1(VALU_DEP_2)
	v_cndmask_b32_e64 v6, 0, v41, s13
	v_add_nc_u32_e32 v38, v42, v63
	s_delay_alu instid0(VALU_DEP_2) | instskip(NEXT) | instid1(VALU_DEP_2)
	v_add_nc_u32_e32 v47, v6, v22
	v_add_nc_u32_e32 v32, v38, v62
	s_delay_alu instid0(VALU_DEP_2) | instskip(NEXT) | instid1(VALU_DEP_2)
	v_cndmask_b32_e64 v6, 0, v47, s7
	v_add_nc_u32_e32 v28, v32, v61
	s_delay_alu instid0(VALU_DEP_2) | instskip(NEXT) | instid1(VALU_DEP_2)
	v_add_nc_u32_e32 v43, v6, v73
	;; [unrolled: 6-line block ×3, first 2 shown]
	v_add_nc_u32_e32 v34, v30, v58
	s_delay_alu instid0(VALU_DEP_2) | instskip(NEXT) | instid1(VALU_DEP_2)
	v_cndmask_b32_e64 v6, 0, v39, s9
	v_add_nc_u32_e32 v9, v34, v56
	s_delay_alu instid0(VALU_DEP_2) | instskip(NEXT) | instid1(VALU_DEP_1)
	v_add_nc_u32_e32 v33, v6, v72
	v_cndmask_b32_e64 v6, 0, v33, s10
	s_delay_alu instid0(VALU_DEP_1) | instskip(NEXT) | instid1(VALU_DEP_1)
	v_add_nc_u32_e32 v29, v6, v20
	v_cndmask_b32_e64 v6, 0, v29, s11
	s_delay_alu instid0(VALU_DEP_1) | instskip(NEXT) | instid1(VALU_DEP_1)
	;; [unrolled: 3-line block ×6, first 2 shown]
	v_add_nc_u32_e32 v12, v5, v69
	v_cndmask_b32_e64 v5, 0, v12, s3
	s_delay_alu instid0(VALU_DEP_1) | instskip(SKIP_3) | instid1(VALU_DEP_2)
	v_add_nc_u32_e32 v25, v5, v19
	ds_load_b64 v[5:6], v11 offset:1096
	v_add_nc_u32_e32 v11, v9, v55
	v_cndmask_b32_e64 v7, 0, v25, s1
	v_add_nc_u32_e32 v24, v11, v54
	s_delay_alu instid0(VALU_DEP_2) | instskip(NEXT) | instid1(VALU_DEP_2)
	v_add_nc_u32_e32 v49, v7, v68
	v_add_nc_u32_e32 v48, v24, v53
	s_delay_alu instid0(VALU_DEP_1) | instskip(NEXT) | instid1(VALU_DEP_1)
	v_dual_cndmask_b32 v7, 0, v49 :: v_dual_add_nc_u32 v44, v48, v52
	v_add_nc_u32_e32 v45, v7, v16
	s_waitcnt lgkmcnt(0)
	v_cmp_eq_u32_e32 vcc_lo, 0, v5
	s_delay_alu instid0(VALU_DEP_2) | instskip(SKIP_2) | instid1(VALU_DEP_3)
	v_cndmask_b32_e64 v7, 0, v45, s0
	v_cndmask_b32_e32 v8, 0, v36, vcc_lo
	v_add_nc_u32_e32 v36, v44, v51
	v_add_nc_u32_e32 v37, v7, v67
	s_delay_alu instid0(VALU_DEP_3)
	v_add_nc_u32_e32 v66, v8, v6
	s_and_saveexec_b32 s0, s2
	s_cbranch_execz .LBB857_119
; %bb.118:
	s_delay_alu instid0(VALU_DEP_1)
	v_and_b32_e32 v6, 0xff000000, v66
	v_dual_mov_b32 v8, 0 :: v_dual_and_b32 v7, 0xff0000, v66
	s_add_u32 s4, s20, 0x200
	v_and_b32_e32 v16, 0xff00, v66
	s_addc_u32 s5, s21, 0
	v_and_b32_e32 v17, 0xff, v66
	v_or_b32_e32 v6, v7, v6
	v_mov_b32_e32 v7, 2
	s_delay_alu instid0(VALU_DEP_2)
	v_or3_b32 v6, v6, v16, v17
	v_dual_mov_b32 v17, s5 :: v_dual_mov_b32 v16, s4
	;;#ASMSTART
	global_store_dwordx4 v[16:17], v[5:8] off	
s_waitcnt vmcnt(0)
	;;#ASMEND
.LBB857_119:
	s_or_b32 exec_lo, exec_lo, s0
	v_mov_b32_e32 v7, 0
.LBB857_120:
	v_mov_b32_e32 v16, 0
	s_and_b32 s0, s16, exec_lo
	v_mov_b32_e32 v17, 0
	s_cselect_b32 s1, 0, s39
	s_cselect_b32 s0, 0, s38
	s_delay_alu instid0(SALU_CYCLE_1)
	s_cmp_eq_u64 s[0:1], 0
	s_barrier
	buffer_gl0_inv
	s_cbranch_scc1 .LBB857_122
; %bb.121:
	v_mov_b32_e32 v6, 0
	global_load_b64 v[16:17], v6, s[0:1]
.LBB857_122:
	v_cmp_eq_u32_e32 vcc_lo, 0, v65
	v_cmp_ne_u32_e64 s15, 0, v65
	v_cmp_ne_u32_e64 s14, 0, v64
	;; [unrolled: 1-line block ×4, first 2 shown]
	v_cndmask_b32_e64 v6, 1, 2, vcc_lo
	v_cmp_eq_u32_e32 vcc_lo, 0, v64
	v_cmp_ne_u32_e64 s11, 0, v61
	v_cmp_ne_u32_e64 s10, 0, v60
	v_cmp_ne_u32_e64 s8, 0, v59
	v_cmp_ne_u32_e64 s6, 0, v58
	v_cndmask_b32_e64 v8, 1, 2, vcc_lo
	v_cmp_eq_u32_e32 vcc_lo, 0, v63
	v_cmp_ne_u32_e64 s9, 0, v56
	v_cmp_ne_u32_e64 s7, 0, v55
	;; [unrolled: 1-line block ×3, first 2 shown]
	v_and_b32_e32 v6, v8, v6
	v_cndmask_b32_e64 v18, 1, 2, vcc_lo
	v_cmp_eq_u32_e32 vcc_lo, 0, v62
	v_cmp_ne_u32_e64 s4, 0, v53
	v_cmp_ne_u32_e64 s3, 0, v52
	;; [unrolled: 1-line block ×3, first 2 shown]
	v_and_b32_e32 v6, v6, v18
	v_cndmask_b32_e64 v8, 1, 2, vcc_lo
	v_cmp_eq_u32_e32 vcc_lo, 0, v61
	v_cmp_ne_u32_e64 s0, 0, v57
	s_mov_b32 s17, -1
	s_delay_alu instid0(VALU_DEP_3) | instskip(SKIP_2) | instid1(VALU_DEP_2)
	v_and_b32_e32 v6, v6, v8
	v_cndmask_b32_e64 v18, 1, 2, vcc_lo
	v_cmp_eq_u32_e32 vcc_lo, 0, v60
	v_and_b32_e32 v6, v6, v18
	v_cndmask_b32_e64 v8, 1, 2, vcc_lo
	v_cmp_eq_u32_e32 vcc_lo, 0, v59
	s_waitcnt vmcnt(0)
	v_lshlrev_b64 v[18:19], 1, v[16:17]
	s_delay_alu instid0(VALU_DEP_3) | instskip(SKIP_2) | instid1(VALU_DEP_2)
	v_and_b32_e32 v6, v6, v8
	v_cndmask_b32_e64 v20, 1, 2, vcc_lo
	v_cmp_eq_u32_e32 vcc_lo, 0, v58
	v_and_b32_e32 v6, v6, v20
	v_cndmask_b32_e64 v21, 1, 2, vcc_lo
	v_cmp_eq_u32_e32 vcc_lo, 0, v56
	s_delay_alu instid0(VALU_DEP_2) | instskip(SKIP_2) | instid1(VALU_DEP_2)
	v_and_b32_e32 v6, v6, v21
	v_cndmask_b32_e64 v20, 1, 2, vcc_lo
	v_cmp_eq_u32_e32 vcc_lo, 0, v55
	v_and_b32_e32 v6, v6, v20
	v_cndmask_b32_e64 v21, 1, 2, vcc_lo
	v_cmp_eq_u32_e32 vcc_lo, 0, v54
	s_delay_alu instid0(VALU_DEP_2) | instskip(SKIP_2) | instid1(VALU_DEP_2)
	;; [unrolled: 7-line block ×3, first 2 shown]
	v_and_b32_e32 v6, v6, v22
	v_cndmask_b32_e64 v23, 1, 2, vcc_lo
	v_cmp_eq_u32_e32 vcc_lo, 0, v51
	v_and_b32_e32 v22, v6, v23
	v_cndmask_b32_e64 v67, 1, 2, vcc_lo
	v_mov_b32_e32 v8, 0
	v_add_co_u32 v18, vcc_lo, s18, v18
	v_add_co_ci_u32_e32 v19, vcc_lo, s19, v19, vcc_lo
	s_delay_alu instid0(VALU_DEP_3) | instskip(NEXT) | instid1(VALU_DEP_1)
	v_lshlrev_b64 v[20:21], 1, v[7:8]
	v_add_co_u32 v6, vcc_lo, v18, v20
	s_delay_alu instid0(VALU_DEP_2) | instskip(SKIP_4) | instid1(VALU_DEP_2)
	v_add_co_ci_u32_e32 v18, vcc_lo, v19, v21, vcc_lo
	v_and_b32_e32 v19, v22, v67
	v_cmp_eq_u32_e32 vcc_lo, 0, v57
	v_cndmask_b32_e64 v20, 1, 2, vcc_lo
	v_cmp_gt_u32_e32 vcc_lo, 0x100, v5
	v_and_b32_e32 v19, v19, v20
	s_delay_alu instid0(VALU_DEP_1)
	v_cmp_gt_i16_e64 s16, 2, v19
	s_cbranch_vccz .LBB857_171
; %bb.123:
	s_delay_alu instid0(VALU_DEP_1)
	s_and_saveexec_b32 s17, s16
	s_cbranch_execz .LBB857_170
; %bb.124:
	s_mov_b32 s18, 0
	s_mov_b32 s16, exec_lo
	v_cmpx_ne_u16_e32 1, v19
	s_xor_b32 s16, exec_lo, s16
	s_cbranch_execz .LBB857_148
; %bb.125:
	s_and_saveexec_b32 s18, s15
	s_cbranch_execz .LBB857_153
; %bb.126:
	v_sub_nc_u32_e32 v20, v40, v7
	v_mov_b32_e32 v21, 0
	s_delay_alu instid0(VALU_DEP_1) | instskip(NEXT) | instid1(VALU_DEP_1)
	v_lshlrev_b64 v[20:21], 1, v[20:21]
	v_add_co_u32 v20, vcc_lo, v6, v20
	s_delay_alu instid0(VALU_DEP_2)
	v_add_co_ci_u32_e32 v21, vcc_lo, v18, v21, vcc_lo
	global_store_b16 v[20:21], v50, off
	s_or_b32 exec_lo, exec_lo, s18
	s_and_saveexec_b32 s18, s14
	s_cbranch_execnz .LBB857_154
.LBB857_127:
	s_or_b32 exec_lo, exec_lo, s18
	s_and_saveexec_b32 s18, s13
	s_cbranch_execz .LBB857_155
.LBB857_128:
	v_sub_nc_u32_e32 v20, v42, v7
	v_mov_b32_e32 v21, 0
	s_delay_alu instid0(VALU_DEP_1) | instskip(NEXT) | instid1(VALU_DEP_1)
	v_lshlrev_b64 v[20:21], 1, v[20:21]
	v_add_co_u32 v20, vcc_lo, v6, v20
	s_delay_alu instid0(VALU_DEP_2)
	v_add_co_ci_u32_e32 v21, vcc_lo, v18, v21, vcc_lo
	global_store_d16_hi_b16 v[20:21], v1, off
	s_or_b32 exec_lo, exec_lo, s18
	s_and_saveexec_b32 s18, s12
	s_cbranch_execnz .LBB857_156
.LBB857_129:
	s_or_b32 exec_lo, exec_lo, s18
	s_and_saveexec_b32 s18, s11
	s_cbranch_execz .LBB857_157
.LBB857_130:
	v_sub_nc_u32_e32 v20, v32, v7
	v_mov_b32_e32 v21, 0
	s_delay_alu instid0(VALU_DEP_1) | instskip(NEXT) | instid1(VALU_DEP_1)
	v_lshlrev_b64 v[20:21], 1, v[20:21]
	v_add_co_u32 v20, vcc_lo, v6, v20
	s_delay_alu instid0(VALU_DEP_2)
	v_add_co_ci_u32_e32 v21, vcc_lo, v18, v21, vcc_lo
	global_store_d16_hi_b16 v[20:21], v2, off
	s_or_b32 exec_lo, exec_lo, s18
	s_and_saveexec_b32 s18, s10
	s_cbranch_execnz .LBB857_158
.LBB857_131:
	s_or_b32 exec_lo, exec_lo, s18
	s_and_saveexec_b32 s18, s8
	s_cbranch_execz .LBB857_159
.LBB857_132:
	v_sub_nc_u32_e32 v20, v26, v7
	v_mov_b32_e32 v21, 0
	s_delay_alu instid0(VALU_DEP_1) | instskip(NEXT) | instid1(VALU_DEP_1)
	v_lshlrev_b64 v[20:21], 1, v[20:21]
	v_add_co_u32 v20, vcc_lo, v6, v20
	s_delay_alu instid0(VALU_DEP_2)
	v_add_co_ci_u32_e32 v21, vcc_lo, v18, v21, vcc_lo
	global_store_d16_hi_b16 v[20:21], v3, off
	s_or_b32 exec_lo, exec_lo, s18
	s_and_saveexec_b32 s18, s6
	s_cbranch_execnz .LBB857_160
.LBB857_133:
	s_or_b32 exec_lo, exec_lo, s18
	s_and_saveexec_b32 s18, s9
	s_cbranch_execz .LBB857_161
.LBB857_134:
	v_sub_nc_u32_e32 v20, v34, v7
	v_mov_b32_e32 v21, 0
	s_delay_alu instid0(VALU_DEP_1) | instskip(NEXT) | instid1(VALU_DEP_1)
	v_lshlrev_b64 v[20:21], 1, v[20:21]
	v_add_co_u32 v20, vcc_lo, v6, v20
	s_delay_alu instid0(VALU_DEP_2)
	v_add_co_ci_u32_e32 v21, vcc_lo, v18, v21, vcc_lo
	global_store_d16_hi_b16 v[20:21], v4, off
	s_or_b32 exec_lo, exec_lo, s18
	s_and_saveexec_b32 s18, s7
	s_cbranch_execnz .LBB857_162
.LBB857_135:
	s_or_b32 exec_lo, exec_lo, s18
	s_and_saveexec_b32 s18, s5
	s_cbranch_execz .LBB857_163
.LBB857_136:
	v_sub_nc_u32_e32 v20, v11, v7
	v_mov_b32_e32 v21, 0
	s_delay_alu instid0(VALU_DEP_1) | instskip(NEXT) | instid1(VALU_DEP_1)
	v_lshlrev_b64 v[20:21], 1, v[20:21]
	v_add_co_u32 v20, vcc_lo, v6, v20
	s_delay_alu instid0(VALU_DEP_2)
	v_add_co_ci_u32_e32 v21, vcc_lo, v18, v21, vcc_lo
	global_store_d16_hi_b16 v[20:21], v13, off
	s_or_b32 exec_lo, exec_lo, s18
	s_and_saveexec_b32 s18, s4
	s_cbranch_execnz .LBB857_164
.LBB857_137:
	s_or_b32 exec_lo, exec_lo, s18
	s_and_saveexec_b32 s18, s3
	s_cbranch_execz .LBB857_165
.LBB857_138:
	v_sub_nc_u32_e32 v20, v48, v7
	v_mov_b32_e32 v21, 0
	s_delay_alu instid0(VALU_DEP_1) | instskip(NEXT) | instid1(VALU_DEP_1)
	v_lshlrev_b64 v[20:21], 1, v[20:21]
	v_add_co_u32 v20, vcc_lo, v6, v20
	s_delay_alu instid0(VALU_DEP_2)
	v_add_co_ci_u32_e32 v21, vcc_lo, v18, v21, vcc_lo
	global_store_d16_hi_b16 v[20:21], v14, off
	s_or_b32 exec_lo, exec_lo, s18
	s_and_saveexec_b32 s18, s1
	s_cbranch_execnz .LBB857_166
	s_branch .LBB857_167
.LBB857_139:
	s_mov_b32 s41, 0
                                        ; implicit-def: $sgpr0
                                        ; implicit-def: $vgpr57
                                        ; implicit-def: $vgpr51
                                        ; implicit-def: $vgpr52
                                        ; implicit-def: $vgpr53
                                        ; implicit-def: $vgpr54
                                        ; implicit-def: $vgpr55
                                        ; implicit-def: $vgpr56
                                        ; implicit-def: $vgpr58
                                        ; implicit-def: $vgpr59
                                        ; implicit-def: $vgpr60
                                        ; implicit-def: $vgpr61
                                        ; implicit-def: $vgpr62
                                        ; implicit-def: $vgpr63
                                        ; implicit-def: $vgpr64
	s_cbranch_execz .LBB857_73
; %bb.140:
	v_lshrrev_b32_e32 v8, 16, v15
	v_lshrrev_b32_e32 v9, 16, v14
	;; [unrolled: 1-line block ×3, first 2 shown]
	v_lshlrev_b32_e32 v7, 1, v0
	s_mov_b32 s42, 1
	v_cmp_ne_u16_e32 vcc_lo, v15, v8
                                        ; implicit-def: $sgpr0
	ds_store_b16 v7, v8
	s_waitcnt lgkmcnt(0)
	v_cndmask_b32_e64 v57, 0, 1, vcc_lo
	v_cmp_ne_u16_e32 vcc_lo, v9, v15
	s_barrier
	buffer_gl0_inv
	v_cndmask_b32_e64 v51, 0, 1, vcc_lo
	v_cmp_ne_u16_e32 vcc_lo, v14, v9
	v_lshrrev_b32_e32 v9, 16, v4
	v_cndmask_b32_e64 v52, 0, 1, vcc_lo
	v_cmp_ne_u16_e32 vcc_lo, v10, v14
	v_cndmask_b32_e64 v53, 0, 1, vcc_lo
	v_cmp_ne_u16_e32 vcc_lo, v13, v10
	v_lshrrev_b32_e32 v10, 16, v3
	v_cndmask_b32_e64 v54, 0, 1, vcc_lo
	v_cmp_ne_u16_e32 vcc_lo, v9, v13
	;; [unrolled: 5-line block ×4, first 2 shown]
	v_cndmask_b32_e64 v60, 0, 1, vcc_lo
	v_cmp_ne_u16_e32 vcc_lo, v2, v9
	v_cndmask_b32_e64 v61, 0, 1, vcc_lo
	v_cmp_ne_u16_e32 vcc_lo, v10, v2
	;; [unrolled: 2-line block ×4, first 2 shown]
	v_cndmask_b32_e64 v64, 0, 1, vcc_lo
	s_and_saveexec_b32 s1, s3
	s_delay_alu instid0(SALU_CYCLE_1)
	s_xor_b32 s1, exec_lo, s1
	s_cbranch_execz .LBB857_142
; %bb.141:
	v_add_nc_u32_e32 v7, -2, v7
	s_or_b32 s41, s41, exec_lo
	ds_load_u16 v7, v7
	s_waitcnt lgkmcnt(0)
	v_cmp_ne_u16_e32 vcc_lo, v7, v50
	s_and_b32 s0, vcc_lo, exec_lo
.LBB857_142:
	s_or_b32 exec_lo, exec_lo, s1
	s_branch .LBB857_75
.LBB857_143:
	s_mul_hi_u32 s0, s24, 0xfffff100
	s_mul_i32 s1, s25, 0xfffff100
	s_sub_i32 s0, s0, s24
	s_mul_i32 s4, s24, 0xfffff100
	s_add_i32 s0, s0, s1
	s_add_u32 s24, s4, s36
	s_addc_u32 s25, s0, s37
	s_and_b32 vcc_lo, exec_lo, s15
	s_cbranch_vccz .LBB857_150
; %bb.144:
	v_add_co_u32 v6, vcc_lo, -2, v6
	v_add_co_ci_u32_e32 v7, vcc_lo, -1, v5, vcc_lo
	v_mad_u32_u24 v5, v0, 15, 14
	v_lshlrev_b32_e32 v8, 1, v0
	v_lshrrev_b32_e32 v10, 16, v15
	flat_load_u16 v9, v[6:7]
	v_mov_b32_e32 v6, 0
	v_lshrrev_b32_e32 v11, 16, v14
	v_mul_u32_u24_e32 v7, 15, v0
	ds_store_b16 v8, v10
	v_cmp_ne_u16_e64 s8, v15, v10
	v_cmp_gt_u64_e32 vcc_lo, s[24:25], v[5:6]
	v_mad_u32_u24 v5, v0, 15, 13
	v_cmp_ne_u16_e64 s9, v11, v15
	v_lshrrev_b32_e32 v10, 16, v13
	s_mov_b32 s41, -1
	s_mov_b32 s11, 0
	v_cmp_gt_u64_e64 s0, s[24:25], v[5:6]
	v_mad_u32_u24 v5, v0, 15, 12
	s_and_b32 s12, vcc_lo, s8
	v_cmp_ne_u16_e32 vcc_lo, v14, v11
	v_lshrrev_b32_e32 v11, 16, v3
	s_waitcnt vmcnt(0) lgkmcnt(0)
	v_cmp_gt_u64_e64 s1, s[24:25], v[5:6]
	v_mad_u32_u24 v5, v0, 15, 11
	s_and_b32 s13, s0, s9
	v_cmp_ne_u16_e64 s0, v10, v14
	s_barrier
	buffer_gl0_inv
	v_cmp_gt_u64_e64 s4, s[24:25], v[5:6]
	v_mad_u32_u24 v5, v0, 15, 10
	s_and_b32 s14, s1, vcc_lo
	v_cmp_ne_u16_e32 vcc_lo, v13, v10
	v_lshrrev_b32_e32 v10, 16, v4
	s_delay_alu instid0(VALU_DEP_3) | instskip(SKIP_2) | instid1(VALU_DEP_3)
	v_cmp_gt_u64_e64 s5, s[24:25], v[5:6]
	v_mad_u32_u24 v5, v0, 15, 9
	s_and_b32 s15, s4, s0
	v_cmp_ne_u16_e64 s1, v4, v10
	s_delay_alu instid0(VALU_DEP_2) | instskip(SKIP_4) | instid1(VALU_DEP_3)
	v_cmp_gt_u64_e64 s6, s[24:25], v[5:6]
	v_mad_u32_u24 v5, v0, 15, 8
	s_and_b32 s16, s5, vcc_lo
	v_cmp_ne_u16_e32 vcc_lo, v10, v13
	v_lshrrev_b32_e32 v10, 16, v2
	v_cmp_gt_u64_e64 s7, s[24:25], v[5:6]
	v_mad_u32_u24 v5, v0, 15, 7
	s_and_b32 s17, s6, vcc_lo
	v_cmp_ne_u16_e32 vcc_lo, v11, v4
	v_cmp_ne_u16_e64 s6, v2, v10
	s_delay_alu instid0(VALU_DEP_3) | instskip(SKIP_4) | instid1(VALU_DEP_3)
	v_cmp_gt_u64_e64 s10, s[24:25], v[5:6]
	v_mad_u32_u24 v5, v0, 15, 6
	s_and_b32 s36, s7, s1
	v_cmp_ne_u16_e64 s1, v3, v11
	v_lshrrev_b32_e32 v11, 16, v1
	v_cmp_gt_u64_e64 s8, s[24:25], v[5:6]
	v_mad_u32_u24 v5, v0, 15, 5
	s_and_b32 s42, s10, vcc_lo
	s_delay_alu instid0(VALU_DEP_3) | instskip(SKIP_1) | instid1(VALU_DEP_3)
	v_cmp_ne_u16_e64 s7, v11, v2
	v_cmp_ne_u16_e64 s10, v50, v1
	v_cmp_gt_u64_e64 s0, s[24:25], v[5:6]
	v_mad_u32_u24 v5, v0, 15, 4
	s_and_b32 s37, s8, s1
	v_cmp_ne_u16_e64 s1, v10, v3
	v_cmp_ne_u16_e64 s8, v1, v11
	s_delay_alu instid0(VALU_DEP_3) | instskip(SKIP_1) | instid1(VALU_DEP_4)
	v_cmp_gt_u64_e64 s4, s[24:25], v[5:6]
	v_mad_u32_u24 v5, v0, 15, 3
	s_and_b32 s0, s0, s1
	s_delay_alu instid0(VALU_DEP_1) | instskip(SKIP_1) | instid1(VALU_DEP_4)
	v_cmp_gt_u64_e64 s5, s[24:25], v[5:6]
	v_mad_u32_u24 v5, v0, 15, 2
	s_and_b32 s6, s4, s6
	s_delay_alu instid0(VALU_DEP_1) | instskip(SKIP_1) | instid1(VALU_DEP_4)
	v_cmp_gt_u64_e32 vcc_lo, s[24:25], v[5:6]
	v_mad_u32_u24 v5, v0, 15, 1
	s_and_b32 s5, s5, s7
	s_delay_alu instid0(VALU_DEP_1) | instskip(SKIP_1) | instid1(VALU_DEP_1)
	v_cmp_gt_u64_e64 s9, s[24:25], v[5:6]
	s_and_b32 s1, vcc_lo, s8
	s_and_b32 s4, s9, s10
	s_and_saveexec_b32 s7, s3
	s_cbranch_execz .LBB857_146
; %bb.145:
	v_add_nc_u32_e32 v5, -2, v8
	ds_load_u16 v9, v5
.LBB857_146:
	s_or_b32 exec_lo, exec_lo, s7
	v_mov_b32_e32 v8, v6
	v_cndmask_b32_e64 v60, 0, 1, s0
	s_waitcnt lgkmcnt(0)
	v_cmp_ne_u16_e64 s0, v9, v50
	v_cndmask_b32_e64 v57, 0, 1, s12
	v_cndmask_b32_e64 v51, 0, 1, s13
	v_cmp_gt_u64_e32 vcc_lo, s[24:25], v[7:8]
	v_cndmask_b32_e64 v52, 0, 1, s14
	v_cndmask_b32_e64 v53, 0, 1, s15
	;; [unrolled: 1-line block ×11, first 2 shown]
	s_and_b32 s0, vcc_lo, s0
	s_and_b32 vcc_lo, exec_lo, s11
	s_cbranch_vccnz .LBB857_151
.LBB857_147:
                                        ; implicit-def: $sgpr42
	v_mov_b32_e32 v65, s42
	s_and_saveexec_b32 s1, s41
	s_cbranch_execnz .LBB857_76
	s_branch .LBB857_77
.LBB857_148:
	s_and_not1_saveexec_b32 s16, s16
	s_cbranch_execz .LBB857_168
.LBB857_149:
	v_sub_nc_u32_e32 v20, v40, v7
	v_mov_b32_e32 v21, 0
	s_or_b32 s18, s18, exec_lo
	s_delay_alu instid0(VALU_DEP_1) | instskip(SKIP_1) | instid1(VALU_DEP_1)
	v_lshlrev_b64 v[22:23], 1, v[20:21]
	v_sub_nc_u32_e32 v20, v46, v7
	v_lshlrev_b64 v[67:68], 1, v[20:21]
	v_sub_nc_u32_e32 v20, v42, v7
	s_delay_alu instid0(VALU_DEP_4) | instskip(SKIP_1) | instid1(VALU_DEP_3)
	v_add_co_u32 v22, vcc_lo, v6, v22
	v_add_co_ci_u32_e32 v23, vcc_lo, v18, v23, vcc_lo
	v_lshlrev_b64 v[69:70], 1, v[20:21]
	v_sub_nc_u32_e32 v20, v38, v7
	v_add_co_u32 v67, vcc_lo, v6, v67
	v_add_co_ci_u32_e32 v68, vcc_lo, v18, v68, vcc_lo
	global_store_b16 v[22:23], v50, off
	v_lshlrev_b64 v[22:23], 1, v[20:21]
	v_sub_nc_u32_e32 v20, v32, v7
	global_store_b16 v[67:68], v1, off
	v_add_co_u32 v67, vcc_lo, v6, v69
	v_add_co_ci_u32_e32 v68, vcc_lo, v18, v70, vcc_lo
	v_lshlrev_b64 v[69:70], 1, v[20:21]
	v_sub_nc_u32_e32 v20, v28, v7
	v_add_co_u32 v22, vcc_lo, v6, v22
	v_add_co_ci_u32_e32 v23, vcc_lo, v18, v23, vcc_lo
	s_delay_alu instid0(VALU_DEP_3) | instskip(SKIP_3) | instid1(VALU_DEP_3)
	v_lshlrev_b64 v[71:72], 1, v[20:21]
	v_sub_nc_u32_e32 v20, v26, v7
	v_add_co_u32 v69, vcc_lo, v6, v69
	v_add_co_ci_u32_e32 v70, vcc_lo, v18, v70, vcc_lo
	v_lshlrev_b64 v[73:74], 1, v[20:21]
	v_sub_nc_u32_e32 v20, v30, v7
	v_add_co_u32 v71, vcc_lo, v6, v71
	v_add_co_ci_u32_e32 v72, vcc_lo, v18, v72, vcc_lo
	s_clause 0x3
	global_store_d16_hi_b16 v[67:68], v1, off
	global_store_b16 v[22:23], v2, off
	global_store_d16_hi_b16 v[69:70], v2, off
	global_store_b16 v[71:72], v3, off
	v_lshlrev_b64 v[22:23], 1, v[20:21]
	v_sub_nc_u32_e32 v20, v34, v7
	v_add_co_u32 v67, vcc_lo, v6, v73
	v_add_co_ci_u32_e32 v68, vcc_lo, v18, v74, vcc_lo
	s_delay_alu instid0(VALU_DEP_3) | instskip(SKIP_3) | instid1(VALU_DEP_3)
	v_lshlrev_b64 v[69:70], 1, v[20:21]
	v_sub_nc_u32_e32 v20, v9, v7
	v_add_co_u32 v22, vcc_lo, v6, v22
	v_add_co_ci_u32_e32 v23, vcc_lo, v18, v23, vcc_lo
	v_lshlrev_b64 v[71:72], 1, v[20:21]
	v_sub_nc_u32_e32 v20, v11, v7
	v_add_co_u32 v69, vcc_lo, v6, v69
	v_add_co_ci_u32_e32 v70, vcc_lo, v18, v70, vcc_lo
	s_delay_alu instid0(VALU_DEP_3)
	v_lshlrev_b64 v[73:74], 1, v[20:21]
	v_sub_nc_u32_e32 v20, v24, v7
	v_add_co_u32 v71, vcc_lo, v6, v71
	v_add_co_ci_u32_e32 v72, vcc_lo, v18, v72, vcc_lo
	s_clause 0x3
	global_store_d16_hi_b16 v[67:68], v3, off
	global_store_b16 v[22:23], v4, off
	global_store_d16_hi_b16 v[69:70], v4, off
	global_store_b16 v[71:72], v13, off
	v_lshlrev_b64 v[22:23], 1, v[20:21]
	v_sub_nc_u32_e32 v20, v48, v7
	v_add_co_u32 v67, vcc_lo, v6, v73
	v_add_co_ci_u32_e32 v68, vcc_lo, v18, v74, vcc_lo
	s_delay_alu instid0(VALU_DEP_3) | instskip(SKIP_3) | instid1(VALU_DEP_3)
	v_lshlrev_b64 v[69:70], 1, v[20:21]
	v_sub_nc_u32_e32 v20, v44, v7
	v_add_co_u32 v22, vcc_lo, v6, v22
	v_add_co_ci_u32_e32 v23, vcc_lo, v18, v23, vcc_lo
	v_lshlrev_b64 v[20:21], 1, v[20:21]
	v_add_co_u32 v69, vcc_lo, v6, v69
	v_add_co_ci_u32_e32 v70, vcc_lo, v18, v70, vcc_lo
	s_clause 0x2
	global_store_d16_hi_b16 v[67:68], v13, off
	global_store_b16 v[22:23], v14, off
	global_store_d16_hi_b16 v[69:70], v14, off
	v_add_co_u32 v20, vcc_lo, v6, v20
	v_add_co_ci_u32_e32 v21, vcc_lo, v18, v21, vcc_lo
	global_store_b16 v[20:21], v15, off
	s_or_b32 exec_lo, exec_lo, s16
	s_delay_alu instid0(SALU_CYCLE_1)
	s_and_b32 exec_lo, exec_lo, s18
	s_cbranch_execnz .LBB857_169
	s_branch .LBB857_170
.LBB857_150:
                                        ; implicit-def: $sgpr0
                                        ; implicit-def: $vgpr57
                                        ; implicit-def: $vgpr51
                                        ; implicit-def: $vgpr52
                                        ; implicit-def: $vgpr53
                                        ; implicit-def: $vgpr54
                                        ; implicit-def: $vgpr55
                                        ; implicit-def: $vgpr56
                                        ; implicit-def: $vgpr58
                                        ; implicit-def: $vgpr59
                                        ; implicit-def: $vgpr60
                                        ; implicit-def: $vgpr61
                                        ; implicit-def: $vgpr62
                                        ; implicit-def: $vgpr63
                                        ; implicit-def: $vgpr64
	s_cbranch_execz .LBB857_147
.LBB857_151:
	v_mad_u32_u24 v5, v0, 15, 14
	v_dual_mov_b32 v6, 0 :: v_dual_lshlrev_b32 v7, 1, v0
	v_lshrrev_b32_e32 v8, 16, v15
	v_lshrrev_b32_e32 v9, 16, v14
	;; [unrolled: 1-line block ×3, first 2 shown]
	s_delay_alu instid0(VALU_DEP_4)
	v_cmp_gt_u64_e32 vcc_lo, s[24:25], v[5:6]
	v_mad_u32_u24 v5, v0, 15, 13
	v_cmp_ne_u16_e64 s6, v15, v8
	v_cmp_ne_u16_e64 s7, v9, v15
	;; [unrolled: 1-line block ×3, first 2 shown]
	v_lshrrev_b32_e32 v11, 16, v4
	v_cmp_gt_u64_e64 s0, s[24:25], v[5:6]
	v_mad_u32_u24 v5, v0, 15, 12
	s_and_b32 s6, vcc_lo, s6
	v_cmp_ne_u16_e64 s9, v10, v14
	v_cmp_ne_u16_e64 s11, v13, v10
	v_cmp_ne_u16_e64 s12, v11, v13
	v_cmp_gt_u64_e64 s1, s[24:25], v[5:6]
	v_mad_u32_u24 v5, v0, 15, 11
	s_and_b32 s0, s0, s7
	v_cmp_ne_u16_e64 s13, v4, v11
	v_cndmask_b32_e64 v51, 0, 1, s0
	v_lshrrev_b32_e32 v12, 16, v3
	v_cmp_gt_u64_e64 s4, s[24:25], v[5:6]
	v_mad_u32_u24 v5, v0, 15, 10
	s_and_b32 s0, s1, s8
	v_lshrrev_b32_e32 v24, 16, v2
	v_cndmask_b32_e64 v52, 0, 1, s0
	v_cmp_ne_u16_e64 s14, v12, v4
	v_cmp_gt_u64_e64 s5, s[24:25], v[5:6]
	v_mad_u32_u24 v5, v0, 15, 9
	s_and_b32 s1, s4, s9
	v_cmp_ne_u16_e64 s16, v3, v12
	v_cndmask_b32_e64 v53, 0, 1, s1
	v_cmp_ne_u16_e64 s17, v24, v3
	v_cmp_gt_u64_e64 s10, s[24:25], v[5:6]
	v_mad_u32_u24 v5, v0, 15, 8
	s_and_b32 s1, s5, s11
	v_lshrrev_b32_e32 v9, 16, v1
	v_cndmask_b32_e64 v54, 0, 1, s1
	v_cndmask_b32_e64 v57, 0, 1, s6
	v_cmp_gt_u64_e64 s15, s[24:25], v[5:6]
	v_mad_u32_u24 v5, v0, 15, 7
	s_and_b32 s4, s10, s12
	v_cmp_ne_u16_e64 s6, v50, v1
	v_cndmask_b32_e64 v55, 0, 1, s4
	s_mov_b32 s42, 1
	v_cmp_gt_u64_e32 vcc_lo, s[24:25], v[5:6]
	v_mad_u32_u24 v5, v0, 15, 6
	s_and_b32 s4, s15, s13
	ds_store_b16 v7, v8
	v_cndmask_b32_e64 v56, 0, 1, s4
	s_waitcnt lgkmcnt(0)
	v_cmp_gt_u64_e64 s0, s[24:25], v[5:6]
	v_mad_u32_u24 v5, v0, 15, 5
	s_and_b32 s5, vcc_lo, s14
	s_barrier
	v_cndmask_b32_e64 v58, 0, 1, s5
	v_cmp_ne_u16_e64 s5, v9, v2
	v_cmp_gt_u64_e64 s1, s[24:25], v[5:6]
	v_mad_u32_u24 v5, v0, 15, 4
	s_and_b32 s0, s0, s16
	buffer_gl0_inv
	v_cndmask_b32_e64 v59, 0, 1, s0
	v_cmp_ne_u16_e64 s0, v2, v24
	v_cmp_gt_u64_e64 s4, s[24:25], v[5:6]
	v_mad_u32_u24 v5, v0, 15, 3
	s_and_b32 s1, s1, s17
	s_delay_alu instid0(SALU_CYCLE_1) | instskip(NEXT) | instid1(VALU_DEP_2)
	v_cndmask_b32_e64 v60, 0, 1, s1
	v_cmp_gt_u64_e32 vcc_lo, s[24:25], v[5:6]
	v_mad_u32_u24 v5, v0, 15, 2
	s_and_b32 s0, s4, s0
	s_delay_alu instid0(SALU_CYCLE_1) | instskip(SKIP_1) | instid1(VALU_DEP_3)
	v_cndmask_b32_e64 v61, 0, 1, s0
	v_cmp_ne_u16_e64 s0, v1, v9
	v_cmp_gt_u64_e64 s1, s[24:25], v[5:6]
	v_mad_u32_u24 v5, v0, 15, 1
	s_and_b32 s5, vcc_lo, s5
	s_delay_alu instid0(SALU_CYCLE_1) | instskip(NEXT) | instid1(VALU_DEP_2)
	v_cndmask_b32_e64 v62, 0, 1, s5
	v_cmp_gt_u64_e64 s4, s[24:25], v[5:6]
	s_delay_alu instid0(VALU_DEP_4) | instskip(NEXT) | instid1(SALU_CYCLE_1)
	s_and_b32 s0, s1, s0
	v_cndmask_b32_e64 v63, 0, 1, s0
	s_delay_alu instid0(VALU_DEP_2) | instskip(NEXT) | instid1(SALU_CYCLE_1)
	s_and_b32 s0, s4, s6
	v_cndmask_b32_e64 v64, 0, 1, s0
                                        ; implicit-def: $sgpr0
	s_and_saveexec_b32 s1, s3
	s_cbranch_execz .LBB857_190
; %bb.152:
	v_add_nc_u32_e32 v5, -2, v7
	s_or_b32 s41, s41, exec_lo
	ds_load_u16 v7, v5
	v_mul_u32_u24_e32 v5, 15, v0
	s_delay_alu instid0(VALU_DEP_1) | instskip(SKIP_2) | instid1(VALU_DEP_1)
	v_cmp_gt_u64_e32 vcc_lo, s[24:25], v[5:6]
	s_waitcnt lgkmcnt(0)
	v_cmp_ne_u16_e64 s0, v7, v50
	s_and_b32 s0, vcc_lo, s0
	s_delay_alu instid0(SALU_CYCLE_1)
	s_and_b32 s0, s0, exec_lo
	s_or_b32 exec_lo, exec_lo, s1
	v_mov_b32_e32 v65, s42
	s_and_saveexec_b32 s1, s41
	s_cbranch_execz .LBB857_77
	s_branch .LBB857_76
.LBB857_153:
	s_or_b32 exec_lo, exec_lo, s18
	s_and_saveexec_b32 s18, s14
	s_cbranch_execz .LBB857_127
.LBB857_154:
	v_sub_nc_u32_e32 v20, v46, v7
	v_mov_b32_e32 v21, 0
	s_delay_alu instid0(VALU_DEP_1) | instskip(NEXT) | instid1(VALU_DEP_1)
	v_lshlrev_b64 v[20:21], 1, v[20:21]
	v_add_co_u32 v20, vcc_lo, v6, v20
	s_delay_alu instid0(VALU_DEP_2)
	v_add_co_ci_u32_e32 v21, vcc_lo, v18, v21, vcc_lo
	global_store_b16 v[20:21], v1, off
	s_or_b32 exec_lo, exec_lo, s18
	s_and_saveexec_b32 s18, s13
	s_cbranch_execnz .LBB857_128
.LBB857_155:
	s_or_b32 exec_lo, exec_lo, s18
	s_and_saveexec_b32 s18, s12
	s_cbranch_execz .LBB857_129
.LBB857_156:
	v_sub_nc_u32_e32 v20, v38, v7
	v_mov_b32_e32 v21, 0
	s_delay_alu instid0(VALU_DEP_1) | instskip(NEXT) | instid1(VALU_DEP_1)
	v_lshlrev_b64 v[20:21], 1, v[20:21]
	v_add_co_u32 v20, vcc_lo, v6, v20
	s_delay_alu instid0(VALU_DEP_2)
	v_add_co_ci_u32_e32 v21, vcc_lo, v18, v21, vcc_lo
	global_store_b16 v[20:21], v2, off
	s_or_b32 exec_lo, exec_lo, s18
	s_and_saveexec_b32 s18, s11
	s_cbranch_execnz .LBB857_130
.LBB857_157:
	s_or_b32 exec_lo, exec_lo, s18
	s_and_saveexec_b32 s18, s10
	s_cbranch_execz .LBB857_131
.LBB857_158:
	v_sub_nc_u32_e32 v20, v28, v7
	v_mov_b32_e32 v21, 0
	s_delay_alu instid0(VALU_DEP_1) | instskip(NEXT) | instid1(VALU_DEP_1)
	v_lshlrev_b64 v[20:21], 1, v[20:21]
	v_add_co_u32 v20, vcc_lo, v6, v20
	s_delay_alu instid0(VALU_DEP_2)
	v_add_co_ci_u32_e32 v21, vcc_lo, v18, v21, vcc_lo
	global_store_b16 v[20:21], v3, off
	s_or_b32 exec_lo, exec_lo, s18
	s_and_saveexec_b32 s18, s8
	s_cbranch_execnz .LBB857_132
.LBB857_159:
	s_or_b32 exec_lo, exec_lo, s18
	s_and_saveexec_b32 s18, s6
	s_cbranch_execz .LBB857_133
.LBB857_160:
	v_sub_nc_u32_e32 v20, v30, v7
	v_mov_b32_e32 v21, 0
	s_delay_alu instid0(VALU_DEP_1) | instskip(NEXT) | instid1(VALU_DEP_1)
	v_lshlrev_b64 v[20:21], 1, v[20:21]
	v_add_co_u32 v20, vcc_lo, v6, v20
	s_delay_alu instid0(VALU_DEP_2)
	v_add_co_ci_u32_e32 v21, vcc_lo, v18, v21, vcc_lo
	global_store_b16 v[20:21], v4, off
	s_or_b32 exec_lo, exec_lo, s18
	s_and_saveexec_b32 s18, s9
	s_cbranch_execnz .LBB857_134
.LBB857_161:
	s_or_b32 exec_lo, exec_lo, s18
	s_and_saveexec_b32 s18, s7
	s_cbranch_execz .LBB857_135
.LBB857_162:
	v_sub_nc_u32_e32 v20, v9, v7
	v_mov_b32_e32 v21, 0
	s_delay_alu instid0(VALU_DEP_1) | instskip(NEXT) | instid1(VALU_DEP_1)
	v_lshlrev_b64 v[20:21], 1, v[20:21]
	v_add_co_u32 v20, vcc_lo, v6, v20
	s_delay_alu instid0(VALU_DEP_2)
	v_add_co_ci_u32_e32 v21, vcc_lo, v18, v21, vcc_lo
	global_store_b16 v[20:21], v13, off
	s_or_b32 exec_lo, exec_lo, s18
	s_and_saveexec_b32 s18, s5
	s_cbranch_execnz .LBB857_136
.LBB857_163:
	s_or_b32 exec_lo, exec_lo, s18
	s_and_saveexec_b32 s18, s4
	s_cbranch_execz .LBB857_137
.LBB857_164:
	v_sub_nc_u32_e32 v20, v24, v7
	v_mov_b32_e32 v21, 0
	s_delay_alu instid0(VALU_DEP_1) | instskip(NEXT) | instid1(VALU_DEP_1)
	v_lshlrev_b64 v[20:21], 1, v[20:21]
	v_add_co_u32 v20, vcc_lo, v6, v20
	s_delay_alu instid0(VALU_DEP_2)
	v_add_co_ci_u32_e32 v21, vcc_lo, v18, v21, vcc_lo
	global_store_b16 v[20:21], v14, off
	s_or_b32 exec_lo, exec_lo, s18
	s_and_saveexec_b32 s18, s3
	s_cbranch_execnz .LBB857_138
.LBB857_165:
	s_or_b32 exec_lo, exec_lo, s18
	s_and_saveexec_b32 s18, s1
	s_cbranch_execz .LBB857_167
.LBB857_166:
	v_sub_nc_u32_e32 v20, v44, v7
	v_mov_b32_e32 v21, 0
	s_delay_alu instid0(VALU_DEP_1) | instskip(NEXT) | instid1(VALU_DEP_1)
	v_lshlrev_b64 v[20:21], 1, v[20:21]
	v_add_co_u32 v20, vcc_lo, v6, v20
	s_delay_alu instid0(VALU_DEP_2)
	v_add_co_ci_u32_e32 v21, vcc_lo, v18, v21, vcc_lo
	global_store_b16 v[20:21], v15, off
.LBB857_167:
	s_or_b32 exec_lo, exec_lo, s18
	s_delay_alu instid0(SALU_CYCLE_1)
	s_and_b32 s18, s0, exec_lo
	s_and_not1_saveexec_b32 s16, s16
	s_cbranch_execnz .LBB857_149
.LBB857_168:
	s_or_b32 exec_lo, exec_lo, s16
	s_delay_alu instid0(SALU_CYCLE_1)
	s_and_b32 exec_lo, exec_lo, s18
	s_cbranch_execz .LBB857_170
.LBB857_169:
	v_sub_nc_u32_e32 v20, v36, v7
	v_mov_b32_e32 v21, 0
	s_delay_alu instid0(VALU_DEP_1) | instskip(NEXT) | instid1(VALU_DEP_1)
	v_lshlrev_b64 v[20:21], 1, v[20:21]
	v_add_co_u32 v20, vcc_lo, v6, v20
	s_delay_alu instid0(VALU_DEP_2)
	v_add_co_ci_u32_e32 v21, vcc_lo, v18, v21, vcc_lo
	global_store_d16_hi_b16 v[20:21], v15, off
.LBB857_170:
	s_or_b32 exec_lo, exec_lo, s17
	s_mov_b32 s17, 0
.LBB857_171:
	s_delay_alu instid0(SALU_CYCLE_1)
	s_and_b32 vcc_lo, exec_lo, s17
	s_cbranch_vccz .LBB857_224
; %bb.172:
	s_mov_b32 s16, exec_lo
	v_cmpx_gt_i16_e32 2, v19
	s_cbranch_execz .LBB857_208
; %bb.173:
	s_mov_b32 s18, 0
	s_mov_b32 s17, exec_lo
	v_cmpx_ne_u16_e32 1, v19
	s_xor_b32 s17, exec_lo, s17
	s_cbranch_execz .LBB857_188
; %bb.174:
	s_and_saveexec_b32 s18, s15
	s_cbranch_execz .LBB857_191
; %bb.175:
	v_sub_nc_u32_e32 v19, v40, v7
	s_delay_alu instid0(VALU_DEP_1)
	v_lshlrev_b32_e32 v19, 1, v19
	ds_store_b16 v19, v50
	s_or_b32 exec_lo, exec_lo, s18
	s_and_saveexec_b32 s15, s14
	s_cbranch_execnz .LBB857_192
.LBB857_176:
	s_or_b32 exec_lo, exec_lo, s15
	s_and_saveexec_b32 s14, s13
	s_cbranch_execz .LBB857_193
.LBB857_177:
	v_sub_nc_u32_e32 v19, v42, v7
	s_delay_alu instid0(VALU_DEP_1)
	v_lshlrev_b32_e32 v19, 1, v19
	ds_store_b16_d16_hi v19, v1
	s_or_b32 exec_lo, exec_lo, s14
	s_and_saveexec_b32 s13, s12
	s_cbranch_execnz .LBB857_194
.LBB857_178:
	s_or_b32 exec_lo, exec_lo, s13
	s_and_saveexec_b32 s12, s11
	s_cbranch_execz .LBB857_195
.LBB857_179:
	v_sub_nc_u32_e32 v1, v32, v7
	s_delay_alu instid0(VALU_DEP_1)
	v_lshlrev_b32_e32 v1, 1, v1
	ds_store_b16_d16_hi v1, v2
	s_or_b32 exec_lo, exec_lo, s12
	s_and_saveexec_b32 s11, s10
	s_cbranch_execnz .LBB857_196
.LBB857_180:
	s_or_b32 exec_lo, exec_lo, s11
	s_and_saveexec_b32 s10, s8
	s_cbranch_execz .LBB857_197
.LBB857_181:
	v_sub_nc_u32_e32 v1, v26, v7
	s_delay_alu instid0(VALU_DEP_1)
	v_lshlrev_b32_e32 v1, 1, v1
	ds_store_b16_d16_hi v1, v3
	s_or_b32 exec_lo, exec_lo, s10
	s_and_saveexec_b32 s8, s6
	s_cbranch_execnz .LBB857_198
.LBB857_182:
	s_or_b32 exec_lo, exec_lo, s8
	s_and_saveexec_b32 s6, s9
	s_cbranch_execz .LBB857_199
.LBB857_183:
	v_sub_nc_u32_e32 v1, v34, v7
	s_delay_alu instid0(VALU_DEP_1)
	v_lshlrev_b32_e32 v1, 1, v1
	ds_store_b16_d16_hi v1, v4
	s_or_b32 exec_lo, exec_lo, s6
	s_and_saveexec_b32 s6, s7
	s_cbranch_execnz .LBB857_200
.LBB857_184:
	s_or_b32 exec_lo, exec_lo, s6
	s_and_saveexec_b32 s6, s5
	s_cbranch_execz .LBB857_201
.LBB857_185:
	v_sub_nc_u32_e32 v1, v11, v7
	s_delay_alu instid0(VALU_DEP_1)
	v_lshlrev_b32_e32 v1, 1, v1
	ds_store_b16_d16_hi v1, v13
	s_or_b32 exec_lo, exec_lo, s6
	s_and_saveexec_b32 s5, s4
	s_cbranch_execnz .LBB857_202
.LBB857_186:
	s_or_b32 exec_lo, exec_lo, s5
	s_and_saveexec_b32 s4, s3
	s_cbranch_execz .LBB857_203
.LBB857_187:
	v_sub_nc_u32_e32 v1, v48, v7
	s_delay_alu instid0(VALU_DEP_1)
	v_lshlrev_b32_e32 v1, 1, v1
	ds_store_b16_d16_hi v1, v14
	s_or_b32 exec_lo, exec_lo, s4
	s_and_saveexec_b32 s3, s1
	s_cbranch_execnz .LBB857_204
	s_branch .LBB857_205
.LBB857_188:
	s_and_not1_saveexec_b32 s0, s17
	s_cbranch_execz .LBB857_206
.LBB857_189:
	v_sub_nc_u32_e32 v19, v40, v7
	v_sub_nc_u32_e32 v20, v46, v7
	;; [unrolled: 1-line block ×4, first 2 shown]
	s_or_b32 s18, s18, exec_lo
	v_lshlrev_b32_e32 v19, 1, v19
	v_lshlrev_b32_e32 v20, 1, v20
	;; [unrolled: 1-line block ×4, first 2 shown]
	ds_store_b16 v19, v50
	ds_store_b16 v20, v1
	ds_store_b16_d16_hi v21, v1
	v_sub_nc_u32_e32 v1, v32, v7
	v_sub_nc_u32_e32 v19, v28, v7
	ds_store_b16 v22, v2
	v_sub_nc_u32_e32 v22, v34, v7
	v_sub_nc_u32_e32 v20, v26, v7
	v_lshlrev_b32_e32 v1, 1, v1
	v_sub_nc_u32_e32 v21, v30, v7
	v_lshlrev_b32_e32 v19, 1, v19
	s_delay_alu instid0(VALU_DEP_4)
	v_lshlrev_b32_e32 v20, 1, v20
	ds_store_b16_d16_hi v1, v2
	v_lshlrev_b32_e32 v1, 1, v22
	v_sub_nc_u32_e32 v2, v9, v7
	v_lshlrev_b32_e32 v21, 1, v21
	ds_store_b16 v19, v3
	ds_store_b16_d16_hi v20, v3
	ds_store_b16 v21, v4
	ds_store_b16_d16_hi v1, v4
	v_sub_nc_u32_e32 v1, v11, v7
	v_lshlrev_b32_e32 v2, 1, v2
	v_sub_nc_u32_e32 v19, v44, v7
	v_sub_nc_u32_e32 v3, v24, v7
	;; [unrolled: 1-line block ×3, first 2 shown]
	v_lshlrev_b32_e32 v1, 1, v1
	ds_store_b16 v2, v13
	v_lshlrev_b32_e32 v2, 1, v19
	v_lshlrev_b32_e32 v3, 1, v3
	;; [unrolled: 1-line block ×3, first 2 shown]
	ds_store_b16_d16_hi v1, v13
	ds_store_b16 v3, v14
	ds_store_b16_d16_hi v4, v14
	ds_store_b16 v2, v15
	s_or_b32 exec_lo, exec_lo, s0
	s_delay_alu instid0(SALU_CYCLE_1)
	s_and_b32 exec_lo, exec_lo, s18
	s_cbranch_execnz .LBB857_207
	s_branch .LBB857_208
.LBB857_190:
	s_or_b32 exec_lo, exec_lo, s1
	v_mov_b32_e32 v65, s42
	s_and_saveexec_b32 s1, s41
	s_cbranch_execnz .LBB857_76
	s_branch .LBB857_77
.LBB857_191:
	s_or_b32 exec_lo, exec_lo, s18
	s_and_saveexec_b32 s15, s14
	s_cbranch_execz .LBB857_176
.LBB857_192:
	v_sub_nc_u32_e32 v19, v46, v7
	s_delay_alu instid0(VALU_DEP_1)
	v_lshlrev_b32_e32 v19, 1, v19
	ds_store_b16 v19, v1
	s_or_b32 exec_lo, exec_lo, s15
	s_and_saveexec_b32 s14, s13
	s_cbranch_execnz .LBB857_177
.LBB857_193:
	s_or_b32 exec_lo, exec_lo, s14
	s_and_saveexec_b32 s13, s12
	s_cbranch_execz .LBB857_178
.LBB857_194:
	v_sub_nc_u32_e32 v1, v38, v7
	s_delay_alu instid0(VALU_DEP_1)
	v_lshlrev_b32_e32 v1, 1, v1
	ds_store_b16 v1, v2
	s_or_b32 exec_lo, exec_lo, s13
	s_and_saveexec_b32 s12, s11
	s_cbranch_execnz .LBB857_179
.LBB857_195:
	s_or_b32 exec_lo, exec_lo, s12
	s_and_saveexec_b32 s11, s10
	s_cbranch_execz .LBB857_180
.LBB857_196:
	v_sub_nc_u32_e32 v1, v28, v7
	s_delay_alu instid0(VALU_DEP_1)
	v_lshlrev_b32_e32 v1, 1, v1
	ds_store_b16 v1, v3
	s_or_b32 exec_lo, exec_lo, s11
	s_and_saveexec_b32 s10, s8
	s_cbranch_execnz .LBB857_181
.LBB857_197:
	s_or_b32 exec_lo, exec_lo, s10
	s_and_saveexec_b32 s8, s6
	s_cbranch_execz .LBB857_182
.LBB857_198:
	v_sub_nc_u32_e32 v1, v30, v7
	s_delay_alu instid0(VALU_DEP_1)
	v_lshlrev_b32_e32 v1, 1, v1
	ds_store_b16 v1, v4
	s_or_b32 exec_lo, exec_lo, s8
	s_and_saveexec_b32 s6, s9
	s_cbranch_execnz .LBB857_183
.LBB857_199:
	s_or_b32 exec_lo, exec_lo, s6
	s_and_saveexec_b32 s6, s7
	s_cbranch_execz .LBB857_184
.LBB857_200:
	v_sub_nc_u32_e32 v1, v9, v7
	s_delay_alu instid0(VALU_DEP_1)
	v_lshlrev_b32_e32 v1, 1, v1
	ds_store_b16 v1, v13
	s_or_b32 exec_lo, exec_lo, s6
	s_and_saveexec_b32 s6, s5
	s_cbranch_execnz .LBB857_185
.LBB857_201:
	s_or_b32 exec_lo, exec_lo, s6
	s_and_saveexec_b32 s5, s4
	s_cbranch_execz .LBB857_186
.LBB857_202:
	v_sub_nc_u32_e32 v1, v24, v7
	s_delay_alu instid0(VALU_DEP_1)
	v_lshlrev_b32_e32 v1, 1, v1
	ds_store_b16 v1, v14
	s_or_b32 exec_lo, exec_lo, s5
	s_and_saveexec_b32 s4, s3
	s_cbranch_execnz .LBB857_187
.LBB857_203:
	s_or_b32 exec_lo, exec_lo, s4
	s_and_saveexec_b32 s3, s1
	s_cbranch_execz .LBB857_205
.LBB857_204:
	v_sub_nc_u32_e32 v1, v44, v7
	s_delay_alu instid0(VALU_DEP_1)
	v_lshlrev_b32_e32 v1, 1, v1
	ds_store_b16 v1, v15
.LBB857_205:
	s_or_b32 exec_lo, exec_lo, s3
	s_delay_alu instid0(SALU_CYCLE_1)
	s_and_b32 s18, s0, exec_lo
                                        ; implicit-def: $vgpr50
                                        ; implicit-def: $vgpr1
	s_and_not1_saveexec_b32 s0, s17
	s_cbranch_execnz .LBB857_189
.LBB857_206:
	s_or_b32 exec_lo, exec_lo, s0
	s_delay_alu instid0(SALU_CYCLE_1)
	s_and_b32 exec_lo, exec_lo, s18
	s_cbranch_execz .LBB857_208
.LBB857_207:
	v_sub_nc_u32_e32 v1, v36, v7
	s_delay_alu instid0(VALU_DEP_1)
	v_lshlrev_b32_e32 v1, 1, v1
	ds_store_b16_d16_hi v1, v15
.LBB857_208:
	s_or_b32 exec_lo, exec_lo, s16
	s_delay_alu instid0(SALU_CYCLE_1)
	s_mov_b32 s1, exec_lo
	s_waitcnt lgkmcnt(0)
	s_waitcnt_vscnt null, 0x0
	s_barrier
	buffer_gl0_inv
	v_cmpx_lt_u32_e64 v0, v5
	s_cbranch_execz .LBB857_223
; %bb.209:
	v_xad_u32 v2, v0, -1, v5
	v_mov_b32_e32 v1, v0
	s_mov_b32 s0, -1
	s_mov_b32 s4, exec_lo
	s_delay_alu instid0(VALU_DEP_2)
	v_cmp_gt_u32_e64 s3, 0x1900, v2
	v_cmpx_lt_u32_e32 0x18ff, v2
	s_cbranch_execz .LBB857_220
; %bb.210:
	v_sub_nc_u32_e32 v1, v0, v5
	s_delay_alu instid0(VALU_DEP_1) | instskip(NEXT) | instid1(VALU_DEP_1)
	v_or_b32_e32 v1, 0xff, v1
	v_cmp_ge_u32_e32 vcc_lo, v1, v0
	v_mov_b32_e32 v1, v0
	s_and_saveexec_b32 s5, vcc_lo
	s_cbranch_execz .LBB857_219
; %bb.211:
	v_lshrrev_b32_e32 v4, 8, v2
	v_or_b32_e32 v1, 0x100, v0
	v_dual_mov_b32 v22, 0 :: v_dual_lshlrev_b32 v15, 1, v0
	s_delay_alu instid0(VALU_DEP_3) | instskip(NEXT) | instid1(VALU_DEP_1)
	v_add_nc_u32_e32 v2, -1, v4
	v_lshrrev_b32_e32 v3, 1, v2
	v_cmp_lt_u32_e32 vcc_lo, 13, v2
	s_delay_alu instid0(VALU_DEP_2)
	v_add_nc_u32_e32 v19, 1, v3
	v_dual_mov_b32 v3, v1 :: v_dual_mov_b32 v2, v0
	s_and_saveexec_b32 s0, vcc_lo
	s_cbranch_execz .LBB857_215
; %bb.212:
	v_dual_mov_b32 v14, 0 :: v_dual_mov_b32 v3, v1
	v_dual_mov_b32 v21, v15 :: v_dual_and_b32 v20, -8, v19
	v_mov_b32_e32 v2, v0
	s_mov_b32 s6, 0
	s_mov_b32 s7, 0
.LBB857_213:                            ; =>This Inner Loop Header: Depth=1
	s_delay_alu instid0(VALU_DEP_1) | instskip(SKIP_2) | instid1(VALU_DEP_3)
	v_dual_mov_b32 v13, v2 :: v_dual_add_nc_u32 v20, -8, v20
	v_dual_mov_b32 v68, v14 :: v_dual_add_nc_u32 v67, 0x200, v3
	v_dual_mov_b32 v70, v14 :: v_dual_add_nc_u32 v69, 0x400, v3
	v_lshlrev_b64 v[81:82], 1, v[13:14]
	s_delay_alu instid0(VALU_DEP_4) | instskip(NEXT) | instid1(VALU_DEP_4)
	v_cmp_eq_u32_e32 vcc_lo, 0, v20
	v_lshlrev_b64 v[67:68], 1, v[67:68]
	v_dual_mov_b32 v72, v14 :: v_dual_add_nc_u32 v71, 0x600, v3
	s_add_i32 s7, s7, 16
	v_lshlrev_b64 v[69:70], 1, v[69:70]
	s_or_b32 s6, vcc_lo, s6
	v_add_co_u32 v81, vcc_lo, v6, v81
	v_dual_mov_b32 v74, v14 :: v_dual_add_nc_u32 v73, 0x800, v3
	v_add_co_ci_u32_e32 v82, vcc_lo, v18, v82, vcc_lo
	v_lshlrev_b64 v[71:72], 1, v[71:72]
	v_add_co_u32 v67, vcc_lo, v6, v67
	v_dual_mov_b32 v76, v14 :: v_dual_add_nc_u32 v75, 0xa00, v3
	v_add_co_ci_u32_e32 v68, vcc_lo, v18, v68, vcc_lo
	v_lshlrev_b64 v[73:74], 1, v[73:74]
	;; [unrolled: 4-line block ×3, first 2 shown]
	v_add_co_u32 v71, vcc_lo, v6, v71
	v_dual_mov_b32 v80, v14 :: v_dual_add_nc_u32 v79, 0xe00, v3
	v_mov_b32_e32 v13, v3
	v_add_co_ci_u32_e32 v72, vcc_lo, v18, v72, vcc_lo
	v_lshlrev_b64 v[77:78], 1, v[77:78]
	v_add_co_u32 v73, vcc_lo, v6, v73
	ds_load_u16 v1, v21
	ds_load_u16 v23, v21 offset:512
	ds_load_u16 v50, v21 offset:1024
	;; [unrolled: 1-line block ×7, first 2 shown]
	v_add_co_ci_u32_e32 v74, vcc_lo, v18, v74, vcc_lo
	v_lshlrev_b64 v[79:80], 1, v[79:80]
	v_add_co_u32 v75, vcc_lo, v6, v75
	v_lshlrev_b64 v[83:84], 1, v[13:14]
	v_add_nc_u32_e32 v13, 0x200, v2
	v_add_co_ci_u32_e32 v76, vcc_lo, v18, v76, vcc_lo
	v_add_co_u32 v77, vcc_lo, v6, v77
	v_add_co_ci_u32_e32 v78, vcc_lo, v18, v78, vcc_lo
	v_add_co_u32 v79, vcc_lo, v6, v79
	v_lshlrev_b64 v[85:86], 1, v[13:14]
	v_add_nc_u32_e32 v13, 0x400, v2
	v_add_co_ci_u32_e32 v80, vcc_lo, v18, v80, vcc_lo
	v_add_co_u32 v83, vcc_lo, v6, v83
	ds_load_u16 v92, v21 offset:4096
	ds_load_u16 v93, v21 offset:4608
	;; [unrolled: 1-line block ×8, first 2 shown]
	v_add_co_ci_u32_e32 v84, vcc_lo, v18, v84, vcc_lo
	s_waitcnt lgkmcnt(15)
	global_store_b16 v[81:82], v1, off
	v_lshlrev_b64 v[81:82], 1, v[13:14]
	v_add_nc_u32_e32 v13, 0x600, v2
	v_add_co_u32 v85, vcc_lo, v6, v85
	v_add_co_ci_u32_e32 v86, vcc_lo, v18, v86, vcc_lo
	s_waitcnt lgkmcnt(14)
	global_store_b16 v[83:84], v23, off
	v_lshlrev_b64 v[83:84], 1, v[13:14]
	v_add_nc_u32_e32 v13, 0x800, v2
	s_waitcnt lgkmcnt(13)
	global_store_b16 v[85:86], v50, off
	s_waitcnt lgkmcnt(12)
	global_store_b16 v[67:68], v87, off
	v_add_co_u32 v67, vcc_lo, v6, v81
	v_add_co_ci_u32_e32 v68, vcc_lo, v18, v82, vcc_lo
	v_lshlrev_b64 v[81:82], 1, v[13:14]
	v_add_nc_u32_e32 v13, 0xa00, v2
	v_add_co_u32 v83, vcc_lo, v6, v83
	v_add_co_ci_u32_e32 v84, vcc_lo, v18, v84, vcc_lo
	s_waitcnt lgkmcnt(11)
	global_store_b16 v[67:68], v88, off
	s_waitcnt lgkmcnt(10)
	global_store_b16 v[69:70], v89, off
	v_lshlrev_b64 v[67:68], 1, v[13:14]
	v_add_nc_u32_e32 v13, 0xc00, v2
	v_add_co_u32 v69, vcc_lo, v6, v81
	s_waitcnt lgkmcnt(9)
	global_store_b16 v[83:84], v90, off
	s_waitcnt lgkmcnt(8)
	global_store_b16 v[71:72], v91, off
	v_add_co_ci_u32_e32 v70, vcc_lo, v18, v82, vcc_lo
	v_lshlrev_b64 v[71:72], 1, v[13:14]
	v_add_nc_u32_e32 v13, 0xe00, v2
	v_add_nc_u32_e32 v2, 0x1000, v2
	v_add_co_u32 v67, vcc_lo, v6, v67
	v_add_co_ci_u32_e32 v68, vcc_lo, v18, v68, vcc_lo
	s_waitcnt lgkmcnt(7)
	global_store_b16 v[69:70], v92, off
	s_waitcnt lgkmcnt(6)
	global_store_b16 v[73:74], v93, off
	v_lshlrev_b64 v[69:70], 1, v[13:14]
	v_dual_mov_b32 v22, s7 :: v_dual_add_nc_u32 v21, 0x2000, v21
	s_waitcnt lgkmcnt(5)
	global_store_b16 v[67:68], v94, off
	v_add_co_u32 v67, vcc_lo, v6, v71
	v_add_nc_u32_e32 v3, 0x1000, v3
	v_add_co_ci_u32_e32 v68, vcc_lo, v18, v72, vcc_lo
	v_add_co_u32 v69, vcc_lo, v6, v69
	v_add_co_ci_u32_e32 v70, vcc_lo, v18, v70, vcc_lo
	s_waitcnt lgkmcnt(4)
	global_store_b16 v[75:76], v95, off
	s_waitcnt lgkmcnt(3)
	global_store_b16 v[67:68], v96, off
	;; [unrolled: 2-line block ×5, first 2 shown]
	s_and_not1_b32 exec_lo, exec_lo, s6
	s_cbranch_execnz .LBB857_213
; %bb.214:
	s_or_b32 exec_lo, exec_lo, s6
.LBB857_215:
	s_delay_alu instid0(SALU_CYCLE_1) | instskip(SKIP_3) | instid1(VALU_DEP_1)
	s_or_b32 exec_lo, exec_lo, s0
	v_and_b32_e32 v1, 7, v19
	s_mov_b32 s7, 0
	s_mov_b32 s6, exec_lo
	v_cmpx_ne_u32_e32 0, v1
	s_cbranch_execz .LBB857_218
; %bb.216:
	v_lshl_or_b32 v15, v22, 9, v15
	v_mov_b32_e32 v14, 0
	s_set_inst_prefetch_distance 0x1
	.p2align	6
.LBB857_217:                            ; =>This Inner Loop Header: Depth=1
	v_dual_mov_b32 v13, v2 :: v_dual_add_nc_u32 v2, 0x200, v2
	ds_load_u16 v23, v15
	ds_load_u16 v50, v15 offset:512
	v_add_nc_u32_e32 v1, -1, v1
	v_add_nc_u32_e32 v15, 0x400, v15
	v_lshlrev_b64 v[19:20], 1, v[13:14]
	v_mov_b32_e32 v13, v3
	v_add_nc_u32_e32 v3, 0x200, v3
	v_cmp_eq_u32_e32 vcc_lo, 0, v1
	s_delay_alu instid0(VALU_DEP_3) | instskip(SKIP_1) | instid1(VALU_DEP_1)
	v_lshlrev_b64 v[21:22], 1, v[13:14]
	v_add_co_u32 v19, s0, v6, v19
	v_add_co_ci_u32_e64 v20, s0, v18, v20, s0
	s_or_b32 s7, vcc_lo, s7
	s_delay_alu instid0(VALU_DEP_3) | instskip(NEXT) | instid1(VALU_DEP_1)
	v_add_co_u32 v21, s0, v6, v21
	v_add_co_ci_u32_e64 v22, s0, v18, v22, s0
	s_waitcnt lgkmcnt(1)
	global_store_b16 v[19:20], v23, off
	s_waitcnt lgkmcnt(0)
	global_store_b16 v[21:22], v50, off
	s_and_not1_b32 exec_lo, exec_lo, s7
	s_cbranch_execnz .LBB857_217
.LBB857_218:
	s_set_inst_prefetch_distance 0x2
	s_or_b32 exec_lo, exec_lo, s6
	v_add_nc_u32_e32 v1, 1, v4
	s_delay_alu instid0(VALU_DEP_1) | instskip(NEXT) | instid1(VALU_DEP_1)
	v_and_b32_e32 v2, 0x1fffffe, v1
	v_cmp_ne_u32_e32 vcc_lo, v1, v2
	v_lshl_or_b32 v1, v2, 8, v0
	s_or_not1_b32 s0, vcc_lo, exec_lo
.LBB857_219:
	s_or_b32 exec_lo, exec_lo, s5
	s_delay_alu instid0(SALU_CYCLE_1) | instskip(SKIP_1) | instid1(SALU_CYCLE_1)
	s_and_not1_b32 s3, s3, exec_lo
	s_and_b32 s0, s0, exec_lo
	s_or_b32 s3, s3, s0
.LBB857_220:
	s_or_b32 exec_lo, exec_lo, s4
	s_delay_alu instid0(VALU_DEP_2) | instid1(SALU_CYCLE_1)
	s_and_b32 exec_lo, exec_lo, s3
	s_cbranch_execz .LBB857_223
; %bb.221:
	v_dual_mov_b32 v2, 0 :: v_dual_lshlrev_b32 v3, 1, v1
	s_mov_b32 s3, 0
	.p2align	6
.LBB857_222:                            ; =>This Inner Loop Header: Depth=1
	ds_load_u16 v4, v3
	v_lshlrev_b64 v[13:14], 1, v[1:2]
	v_add_nc_u32_e32 v1, 0x100, v1
	v_add_nc_u32_e32 v3, 0x200, v3
	s_delay_alu instid0(VALU_DEP_2) | instskip(NEXT) | instid1(VALU_DEP_4)
	v_cmp_ge_u32_e32 vcc_lo, v1, v5
	v_add_co_u32 v13, s0, v6, v13
	s_delay_alu instid0(VALU_DEP_1)
	v_add_co_ci_u32_e64 v14, s0, v18, v14, s0
	s_or_b32 s3, vcc_lo, s3
	s_waitcnt lgkmcnt(0)
	global_store_b16 v[13:14], v4, off
	s_and_not1_b32 exec_lo, exec_lo, s3
	s_cbranch_execnz .LBB857_222
.LBB857_223:
	s_or_b32 exec_lo, exec_lo, s1
.LBB857_224:
	s_cmpk_lg_i32 s27, 0xf00
	v_cndmask_b32_e64 v15, 0, 1, s33
	s_cselect_b32 s0, -1, 0
	v_mad_i32_i24 v4, v0, -15, s27
	s_and_b32 s0, s0, s26
	s_and_b32 s1, s2, s33
	v_cndmask_b32_e64 v2, 0, 1, s0
	s_mul_hi_u32 s0, s27, 0x88888889
	v_sub_nc_u32_e32 v1, v5, v15
	s_lshr_b32 s0, s0, 3
	v_cndmask_b32_e64 v6, v65, 0, s1
	v_cmp_eq_u32_e32 vcc_lo, s0, v0
	v_cmp_ne_u32_e64 s0, 0, v4
	s_mov_b32 s16, -1
	s_waitcnt_vscnt null, 0x0
	s_barrier
	s_and_b32 vcc_lo, vcc_lo, s26
	v_add_nc_u32_e32 v3, v1, v2
	v_cndmask_b32_e64 v1, 1, v6, s0
	v_cmp_ne_u32_e64 s0, 1, v4
	buffer_gl0_inv
	v_cndmask_b32_e32 v21, v6, v1, vcc_lo
	v_cndmask_b32_e64 v2, 1, v64, s0
	v_cmp_ne_u32_e64 s0, 2, v4
	s_delay_alu instid0(VALU_DEP_3) | instskip(NEXT) | instid1(VALU_DEP_2)
	v_cmp_ne_u32_e64 s14, 0, v21
	v_cndmask_b32_e64 v13, 1, v63, s0
	v_cmp_ne_u32_e64 s0, 14, v4
	s_delay_alu instid0(VALU_DEP_2) | instskip(NEXT) | instid1(VALU_DEP_2)
	v_dual_cndmask_b32 v22, v64, v2 :: v_dual_cndmask_b32 v23, v63, v13
	v_cndmask_b32_e64 v14, 1, v57, s0
	v_cmp_ne_u32_e64 s0, 3, v4
	s_delay_alu instid0(VALU_DEP_3) | instskip(NEXT) | instid1(VALU_DEP_4)
	v_cmp_ne_u32_e64 s13, 0, v22
	v_cmp_ne_u32_e64 s12, 0, v23
	s_delay_alu instid0(VALU_DEP_4) | instskip(NEXT) | instid1(VALU_DEP_4)
	v_cndmask_b32_e32 v20, v57, v14, vcc_lo
	v_cndmask_b32_e64 v18, 1, v62, s0
	v_cmp_ne_u32_e64 s0, 4, v4
	s_delay_alu instid0(VALU_DEP_1) | instskip(SKIP_1) | instid1(VALU_DEP_2)
	v_cndmask_b32_e64 v19, 1, v61, s0
	v_cmp_ne_u32_e64 s0, 5, v4
	v_dual_cndmask_b32 v18, v62, v18 :: v_dual_cndmask_b32 v19, v61, v19
	s_delay_alu instid0(VALU_DEP_2) | instskip(SKIP_1) | instid1(VALU_DEP_3)
	v_cndmask_b32_e64 v1, 1, v60, s0
	v_cmp_ne_u32_e64 s0, 6, v4
	v_cmp_ne_u32_e64 s11, 0, v18
	s_delay_alu instid0(VALU_DEP_4) | instskip(NEXT) | instid1(VALU_DEP_4)
	v_cmp_ne_u32_e64 s10, 0, v19
	v_cndmask_b32_e32 v60, v60, v1, vcc_lo
	s_delay_alu instid0(VALU_DEP_4) | instskip(SKIP_1) | instid1(VALU_DEP_3)
	v_cndmask_b32_e64 v2, 1, v59, s0
	v_cmp_eq_u32_e64 s0, 0, v21
	v_cmp_ne_u32_e64 s9, 0, v60
	s_delay_alu instid0(VALU_DEP_2) | instskip(SKIP_1) | instid1(VALU_DEP_1)
	v_cndmask_b32_e64 v6, 1, 2, s0
	v_cmp_eq_u32_e64 s0, 0, v22
	v_cndmask_b32_e64 v14, 1, 2, s0
	v_cmp_ne_u32_e64 s0, 7, v4
	s_delay_alu instid0(VALU_DEP_2) | instskip(NEXT) | instid1(VALU_DEP_2)
	v_and_b32_e32 v6, v14, v6
	v_cndmask_b32_e64 v13, 1, v58, s0
	v_cmp_eq_u32_e64 s0, 0, v23
	s_delay_alu instid0(VALU_DEP_2) | instskip(NEXT) | instid1(VALU_DEP_2)
	v_cndmask_b32_e32 v58, v58, v13, vcc_lo
	v_cndmask_b32_e64 v14, 1, 2, s0
	v_cmp_ne_u32_e64 s0, 8, v4
	s_delay_alu instid0(VALU_DEP_3) | instskip(NEXT) | instid1(VALU_DEP_2)
	v_cmp_ne_u32_e64 s7, 0, v58
	v_cndmask_b32_e64 v50, 1, v56, s0
	v_cmp_ne_u32_e64 s0, 9, v4
	s_delay_alu instid0(VALU_DEP_2) | instskip(NEXT) | instid1(VALU_DEP_2)
	v_cndmask_b32_e32 v50, v56, v50, vcc_lo
	v_cndmask_b32_e64 v57, 1, v55, s0
	v_cmp_eq_u32_e64 s0, 0, v18
	s_delay_alu instid0(VALU_DEP_2) | instskip(NEXT) | instid1(VALU_DEP_2)
	v_dual_cndmask_b32 v55, v55, v57 :: v_dual_and_b32 v6, v6, v14
	v_cndmask_b32_e64 v14, 1, 2, s0
	v_cmp_ne_u32_e64 s0, 10, v4
	s_delay_alu instid0(VALU_DEP_3) | instskip(NEXT) | instid1(VALU_DEP_3)
	v_cmp_ne_u32_e64 s5, 0, v55
	v_and_b32_e32 v1, v6, v14
	s_delay_alu instid0(VALU_DEP_3) | instskip(SKIP_1) | instid1(VALU_DEP_2)
	v_cndmask_b32_e64 v61, 1, v54, s0
	v_cmp_eq_u32_e64 s0, 0, v19
	v_dual_cndmask_b32 v59, v59, v2 :: v_dual_cndmask_b32 v54, v54, v61
	s_delay_alu instid0(VALU_DEP_2) | instskip(SKIP_1) | instid1(VALU_DEP_3)
	v_cndmask_b32_e64 v6, 1, 2, s0
	v_cmp_ne_u32_e64 s0, 11, v4
	v_cmp_ne_u32_e64 s8, 0, v59
	s_delay_alu instid0(VALU_DEP_4) | instskip(NEXT) | instid1(VALU_DEP_4)
	v_cmp_ne_u32_e64 s4, 0, v54
	v_and_b32_e32 v1, v1, v6
	s_delay_alu instid0(VALU_DEP_4) | instskip(SKIP_1) | instid1(VALU_DEP_2)
	v_cndmask_b32_e64 v14, 1, v53, s0
	v_cmp_ne_u32_e64 s0, 13, v4
	v_cndmask_b32_e32 v53, v53, v14, vcc_lo
	s_delay_alu instid0(VALU_DEP_2) | instskip(SKIP_2) | instid1(VALU_DEP_2)
	v_cndmask_b32_e64 v62, 1, v51, s0
	v_cmp_eq_u32_e64 s0, 0, v60
	v_lshlrev_b64 v[13:14], 2, v[7:8]
	v_cndmask_b32_e64 v6, 1, 2, s0
	v_cmp_ne_u32_e64 s0, 12, v4
	s_delay_alu instid0(VALU_DEP_2) | instskip(NEXT) | instid1(VALU_DEP_2)
	v_and_b32_e32 v1, v1, v6
	v_cndmask_b32_e64 v2, 1, v52, s0
	v_cmp_eq_u32_e64 s0, 0, v59
	s_delay_alu instid0(VALU_DEP_2) | instskip(NEXT) | instid1(VALU_DEP_2)
	v_cndmask_b32_e32 v52, v52, v2, vcc_lo
	v_cndmask_b32_e64 v4, 1, 2, s0
	v_cmp_eq_u32_e64 s0, 0, v58
	v_cndmask_b32_e32 v51, v51, v62, vcc_lo
	v_cmp_eq_u32_e32 vcc_lo, 0, v50
	s_delay_alu instid0(VALU_DEP_4) | instskip(SKIP_4) | instid1(VALU_DEP_3)
	v_and_b32_e32 v4, v1, v4
	v_lshlrev_b64 v[1:2], 2, v[16:17]
	v_cndmask_b32_e64 v6, 1, 2, s0
	v_cmp_ne_u32_e64 s1, 0, v51
	v_cmp_ne_u32_e64 s0, 0, v20
	v_and_b32_e32 v4, v4, v6
	v_cndmask_b32_e64 v6, 1, 2, vcc_lo
	v_add_co_u32 v1, vcc_lo, s28, v1
	v_add_co_ci_u32_e32 v2, vcc_lo, s29, v2, vcc_lo
	v_cmp_eq_u32_e32 vcc_lo, 0, v55
	s_delay_alu instid0(VALU_DEP_4)
	v_and_b32_e32 v6, v4, v6
	v_cndmask_b32_e64 v56, 1, 2, vcc_lo
	v_add_co_u32 v4, vcc_lo, v1, v13
	v_add_co_ci_u32_e32 v8, vcc_lo, v2, v14, vcc_lo
	v_lshlrev_b32_e32 v1, 2, v15
	v_cmp_eq_u32_e32 vcc_lo, 0, v54
	v_and_b32_e32 v2, v6, v56
	v_cmp_ne_u32_e64 s3, 0, v53
	v_cmp_ne_u32_e64 s2, 0, v52
	v_cndmask_b32_e64 v6, 1, 2, vcc_lo
	v_add_co_u32 v1, vcc_lo, v1, v4
	v_add_co_ci_u32_e32 v13, vcc_lo, 0, v8, vcc_lo
	v_cmp_eq_u32_e32 vcc_lo, 0, v53
	s_delay_alu instid0(VALU_DEP_4) | instskip(SKIP_4) | instid1(VALU_DEP_4)
	v_and_b32_e32 v2, v2, v6
	v_cndmask_b32_e64 v14, 1, 2, vcc_lo
	v_add_co_u32 v6, vcc_lo, v1, -4
	v_add_co_ci_u32_e32 v13, vcc_lo, -1, v13, vcc_lo
	v_cmp_eq_u32_e32 vcc_lo, 0, v52
	v_and_b32_e32 v2, v2, v14
	v_add_nc_u32_e32 v1, v7, v15
	v_cmp_ne_u32_e64 s6, 0, v50
	v_cndmask_b32_e64 v14, 1, 2, vcc_lo
	v_cmp_eq_u32_e32 vcc_lo, 0, v51
	s_delay_alu instid0(VALU_DEP_2) | instskip(SKIP_2) | instid1(VALU_DEP_2)
	v_and_b32_e32 v2, v2, v14
	v_cndmask_b32_e64 v14, 1, 2, vcc_lo
	v_cmp_eq_u32_e32 vcc_lo, 0, v20
	v_and_b32_e32 v2, v2, v14
	v_cndmask_b32_e64 v14, 1, 2, vcc_lo
	v_cmp_gt_u32_e32 vcc_lo, 0x100, v3
	s_delay_alu instid0(VALU_DEP_2) | instskip(NEXT) | instid1(VALU_DEP_1)
	v_and_b32_e32 v2, v2, v14
	v_cmp_gt_i16_e64 s15, 2, v2
	s_cbranch_vccz .LBB857_241
; %bb.225:
	s_delay_alu instid0(VALU_DEP_1)
	s_and_saveexec_b32 s16, s15
	s_cbranch_execz .LBB857_279
; %bb.226:
	s_mov_b32 s17, 0
	s_mov_b32 s15, exec_lo
	v_cmpx_ne_u16_e32 1, v2
	s_xor_b32 s15, exec_lo, s15
	s_cbranch_execz .LBB857_258
; %bb.227:
	s_and_saveexec_b32 s17, s14
	s_cbranch_execz .LBB857_262
; %bb.228:
	v_sub_nc_u32_e32 v14, v40, v1
	v_mov_b32_e32 v15, 0
	s_delay_alu instid0(VALU_DEP_1) | instskip(NEXT) | instid1(VALU_DEP_1)
	v_lshlrev_b64 v[14:15], 2, v[14:15]
	v_add_co_u32 v14, vcc_lo, v6, v14
	s_delay_alu instid0(VALU_DEP_2)
	v_add_co_ci_u32_e32 v15, vcc_lo, v13, v15, vcc_lo
	global_store_b32 v[14:15], v41, off
	s_or_b32 exec_lo, exec_lo, s17
	s_and_saveexec_b32 s17, s13
	s_cbranch_execnz .LBB857_263
.LBB857_229:
	s_or_b32 exec_lo, exec_lo, s17
	s_and_saveexec_b32 s17, s12
	s_cbranch_execz .LBB857_264
.LBB857_230:
	v_sub_nc_u32_e32 v14, v42, v1
	v_mov_b32_e32 v15, 0
	s_delay_alu instid0(VALU_DEP_1) | instskip(NEXT) | instid1(VALU_DEP_1)
	v_lshlrev_b64 v[14:15], 2, v[14:15]
	v_add_co_u32 v14, vcc_lo, v6, v14
	s_delay_alu instid0(VALU_DEP_2)
	v_add_co_ci_u32_e32 v15, vcc_lo, v13, v15, vcc_lo
	global_store_b32 v[14:15], v43, off
	s_or_b32 exec_lo, exec_lo, s17
	s_and_saveexec_b32 s17, s11
	s_cbranch_execnz .LBB857_265
.LBB857_231:
	s_or_b32 exec_lo, exec_lo, s17
	s_and_saveexec_b32 s17, s10
	s_cbranch_execz .LBB857_266
.LBB857_232:
	v_sub_nc_u32_e32 v14, v32, v1
	v_mov_b32_e32 v15, 0
	s_delay_alu instid0(VALU_DEP_1) | instskip(NEXT) | instid1(VALU_DEP_1)
	v_lshlrev_b64 v[14:15], 2, v[14:15]
	v_add_co_u32 v14, vcc_lo, v6, v14
	s_delay_alu instid0(VALU_DEP_2)
	v_add_co_ci_u32_e32 v15, vcc_lo, v13, v15, vcc_lo
	global_store_b32 v[14:15], v33, off
	s_or_b32 exec_lo, exec_lo, s17
	s_and_saveexec_b32 s17, s9
	s_cbranch_execnz .LBB857_267
.LBB857_233:
	s_or_b32 exec_lo, exec_lo, s17
	s_and_saveexec_b32 s17, s8
	s_cbranch_execz .LBB857_268
.LBB857_234:
	v_sub_nc_u32_e32 v14, v26, v1
	v_mov_b32_e32 v15, 0
	s_delay_alu instid0(VALU_DEP_1) | instskip(NEXT) | instid1(VALU_DEP_1)
	v_lshlrev_b64 v[14:15], 2, v[14:15]
	v_add_co_u32 v14, vcc_lo, v6, v14
	s_delay_alu instid0(VALU_DEP_2)
	v_add_co_ci_u32_e32 v15, vcc_lo, v13, v15, vcc_lo
	global_store_b32 v[14:15], v27, off
	s_or_b32 exec_lo, exec_lo, s17
	s_and_saveexec_b32 s17, s7
	s_cbranch_execnz .LBB857_269
.LBB857_235:
	s_or_b32 exec_lo, exec_lo, s17
	s_and_saveexec_b32 s17, s6
	s_cbranch_execz .LBB857_270
.LBB857_236:
	v_sub_nc_u32_e32 v14, v34, v1
	v_mov_b32_e32 v15, 0
	s_delay_alu instid0(VALU_DEP_1) | instskip(NEXT) | instid1(VALU_DEP_1)
	v_lshlrev_b64 v[14:15], 2, v[14:15]
	v_add_co_u32 v14, vcc_lo, v6, v14
	s_delay_alu instid0(VALU_DEP_2)
	v_add_co_ci_u32_e32 v15, vcc_lo, v13, v15, vcc_lo
	global_store_b32 v[14:15], v35, off
	s_or_b32 exec_lo, exec_lo, s17
	s_and_saveexec_b32 s17, s5
	s_cbranch_execnz .LBB857_271
.LBB857_237:
	s_or_b32 exec_lo, exec_lo, s17
	s_and_saveexec_b32 s17, s4
	s_cbranch_execz .LBB857_272
.LBB857_238:
	v_sub_nc_u32_e32 v14, v11, v1
	v_mov_b32_e32 v15, 0
	s_delay_alu instid0(VALU_DEP_1) | instskip(NEXT) | instid1(VALU_DEP_1)
	v_lshlrev_b64 v[14:15], 2, v[14:15]
	v_add_co_u32 v14, vcc_lo, v6, v14
	s_delay_alu instid0(VALU_DEP_2)
	v_add_co_ci_u32_e32 v15, vcc_lo, v13, v15, vcc_lo
	global_store_b32 v[14:15], v12, off
	s_or_b32 exec_lo, exec_lo, s17
	s_and_saveexec_b32 s17, s3
	s_cbranch_execnz .LBB857_273
.LBB857_239:
	s_or_b32 exec_lo, exec_lo, s17
	s_and_saveexec_b32 s17, s2
	s_cbranch_execz .LBB857_274
.LBB857_240:
	v_sub_nc_u32_e32 v14, v48, v1
	v_mov_b32_e32 v15, 0
	s_delay_alu instid0(VALU_DEP_1) | instskip(NEXT) | instid1(VALU_DEP_1)
	v_lshlrev_b64 v[14:15], 2, v[14:15]
	v_add_co_u32 v14, vcc_lo, v6, v14
	s_delay_alu instid0(VALU_DEP_2)
	v_add_co_ci_u32_e32 v15, vcc_lo, v13, v15, vcc_lo
	global_store_b32 v[14:15], v49, off
	s_or_b32 exec_lo, exec_lo, s17
	s_and_saveexec_b32 s17, s1
	s_cbranch_execnz .LBB857_275
	s_branch .LBB857_276
.LBB857_241:
	s_and_b32 vcc_lo, exec_lo, s16
	s_cbranch_vccz .LBB857_280
; %bb.242:
	s_mov_b32 s15, exec_lo
	v_cmpx_gt_i16_e32 2, v2
	s_cbranch_execz .LBB857_298
; %bb.243:
	s_mov_b32 s17, 0
	s_mov_b32 s16, exec_lo
	v_cmpx_ne_u16_e32 1, v2
	s_xor_b32 s16, exec_lo, s16
	s_cbranch_execz .LBB857_260
; %bb.244:
	s_and_saveexec_b32 s17, s14
	s_cbranch_execz .LBB857_281
; %bb.245:
	v_sub_nc_u32_e32 v2, v40, v1
	s_delay_alu instid0(VALU_DEP_1)
	v_lshlrev_b32_e32 v2, 2, v2
	ds_store_b32 v2, v41
	s_or_b32 exec_lo, exec_lo, s17
	s_and_saveexec_b32 s14, s13
	s_cbranch_execnz .LBB857_282
.LBB857_246:
	s_or_b32 exec_lo, exec_lo, s14
	s_and_saveexec_b32 s13, s12
	s_cbranch_execz .LBB857_283
.LBB857_247:
	v_sub_nc_u32_e32 v2, v42, v1
	s_delay_alu instid0(VALU_DEP_1)
	v_lshlrev_b32_e32 v2, 2, v2
	ds_store_b32 v2, v43
	s_or_b32 exec_lo, exec_lo, s13
	s_and_saveexec_b32 s12, s11
	s_cbranch_execnz .LBB857_284
.LBB857_248:
	s_or_b32 exec_lo, exec_lo, s12
	s_and_saveexec_b32 s11, s10
	s_cbranch_execz .LBB857_285
.LBB857_249:
	v_sub_nc_u32_e32 v2, v32, v1
	s_delay_alu instid0(VALU_DEP_1)
	v_lshlrev_b32_e32 v2, 2, v2
	ds_store_b32 v2, v33
	s_or_b32 exec_lo, exec_lo, s11
	s_and_saveexec_b32 s10, s9
	s_cbranch_execnz .LBB857_286
.LBB857_250:
	s_or_b32 exec_lo, exec_lo, s10
	s_and_saveexec_b32 s9, s8
	s_cbranch_execz .LBB857_287
.LBB857_251:
	v_sub_nc_u32_e32 v2, v26, v1
	s_delay_alu instid0(VALU_DEP_1)
	v_lshlrev_b32_e32 v2, 2, v2
	ds_store_b32 v2, v27
	s_or_b32 exec_lo, exec_lo, s9
	s_and_saveexec_b32 s8, s7
	s_cbranch_execnz .LBB857_288
.LBB857_252:
	s_or_b32 exec_lo, exec_lo, s8
	s_and_saveexec_b32 s7, s6
	s_cbranch_execz .LBB857_289
.LBB857_253:
	v_sub_nc_u32_e32 v2, v34, v1
	s_delay_alu instid0(VALU_DEP_1)
	v_lshlrev_b32_e32 v2, 2, v2
	ds_store_b32 v2, v35
	s_or_b32 exec_lo, exec_lo, s7
	s_and_saveexec_b32 s6, s5
	s_cbranch_execnz .LBB857_290
.LBB857_254:
	s_or_b32 exec_lo, exec_lo, s6
	s_and_saveexec_b32 s5, s4
	s_cbranch_execz .LBB857_291
.LBB857_255:
	v_sub_nc_u32_e32 v2, v11, v1
	s_delay_alu instid0(VALU_DEP_1)
	v_lshlrev_b32_e32 v2, 2, v2
	ds_store_b32 v2, v12
	s_or_b32 exec_lo, exec_lo, s5
	s_and_saveexec_b32 s4, s3
	s_cbranch_execnz .LBB857_292
.LBB857_256:
	s_or_b32 exec_lo, exec_lo, s4
	s_and_saveexec_b32 s3, s2
	s_cbranch_execz .LBB857_293
.LBB857_257:
	v_sub_nc_u32_e32 v2, v48, v1
	s_delay_alu instid0(VALU_DEP_1)
	v_lshlrev_b32_e32 v2, 2, v2
	ds_store_b32 v2, v49
	s_or_b32 exec_lo, exec_lo, s3
	s_and_saveexec_b32 s2, s1
	s_cbranch_execnz .LBB857_294
	s_branch .LBB857_295
.LBB857_258:
	s_and_not1_saveexec_b32 s15, s15
	s_cbranch_execz .LBB857_277
.LBB857_259:
	v_sub_nc_u32_e32 v14, v40, v1
	v_mov_b32_e32 v15, 0
	s_or_b32 s17, s17, exec_lo
	s_delay_alu instid0(VALU_DEP_1) | instskip(SKIP_1) | instid1(VALU_DEP_1)
	v_lshlrev_b64 v[18:19], 2, v[14:15]
	v_sub_nc_u32_e32 v14, v46, v1
	v_lshlrev_b64 v[20:21], 2, v[14:15]
	v_sub_nc_u32_e32 v14, v42, v1
	s_delay_alu instid0(VALU_DEP_4) | instskip(SKIP_1) | instid1(VALU_DEP_3)
	v_add_co_u32 v18, vcc_lo, v6, v18
	v_add_co_ci_u32_e32 v19, vcc_lo, v13, v19, vcc_lo
	v_lshlrev_b64 v[22:23], 2, v[14:15]
	v_sub_nc_u32_e32 v14, v38, v1
	v_add_co_u32 v20, vcc_lo, v6, v20
	v_add_co_ci_u32_e32 v21, vcc_lo, v13, v21, vcc_lo
	global_store_b32 v[18:19], v41, off
	v_lshlrev_b64 v[18:19], 2, v[14:15]
	v_sub_nc_u32_e32 v14, v32, v1
	global_store_b32 v[20:21], v47, off
	v_add_co_u32 v20, vcc_lo, v6, v22
	v_add_co_ci_u32_e32 v21, vcc_lo, v13, v23, vcc_lo
	v_lshlrev_b64 v[22:23], 2, v[14:15]
	v_sub_nc_u32_e32 v14, v28, v1
	v_add_co_u32 v18, vcc_lo, v6, v18
	v_add_co_ci_u32_e32 v19, vcc_lo, v13, v19, vcc_lo
	s_delay_alu instid0(VALU_DEP_3) | instskip(SKIP_3) | instid1(VALU_DEP_3)
	v_lshlrev_b64 v[50:51], 2, v[14:15]
	v_sub_nc_u32_e32 v14, v26, v1
	v_add_co_u32 v22, vcc_lo, v6, v22
	v_add_co_ci_u32_e32 v23, vcc_lo, v13, v23, vcc_lo
	v_lshlrev_b64 v[52:53], 2, v[14:15]
	v_sub_nc_u32_e32 v14, v30, v1
	v_add_co_u32 v50, vcc_lo, v6, v50
	v_add_co_ci_u32_e32 v51, vcc_lo, v13, v51, vcc_lo
	s_clause 0x3
	global_store_b32 v[20:21], v43, off
	global_store_b32 v[18:19], v39, off
	global_store_b32 v[22:23], v33, off
	global_store_b32 v[50:51], v29, off
	v_lshlrev_b64 v[18:19], 2, v[14:15]
	v_sub_nc_u32_e32 v14, v34, v1
	v_add_co_u32 v20, vcc_lo, v6, v52
	v_add_co_ci_u32_e32 v21, vcc_lo, v13, v53, vcc_lo
	s_delay_alu instid0(VALU_DEP_3) | instskip(SKIP_3) | instid1(VALU_DEP_3)
	v_lshlrev_b64 v[22:23], 2, v[14:15]
	v_sub_nc_u32_e32 v14, v9, v1
	v_add_co_u32 v18, vcc_lo, v6, v18
	v_add_co_ci_u32_e32 v19, vcc_lo, v13, v19, vcc_lo
	v_lshlrev_b64 v[50:51], 2, v[14:15]
	v_sub_nc_u32_e32 v14, v11, v1
	v_add_co_u32 v22, vcc_lo, v6, v22
	v_add_co_ci_u32_e32 v23, vcc_lo, v13, v23, vcc_lo
	s_delay_alu instid0(VALU_DEP_3)
	v_lshlrev_b64 v[52:53], 2, v[14:15]
	v_sub_nc_u32_e32 v14, v24, v1
	v_add_co_u32 v50, vcc_lo, v6, v50
	v_add_co_ci_u32_e32 v51, vcc_lo, v13, v51, vcc_lo
	s_clause 0x3
	global_store_b32 v[20:21], v27, off
	global_store_b32 v[18:19], v31, off
	;; [unrolled: 1-line block ×4, first 2 shown]
	v_lshlrev_b64 v[18:19], 2, v[14:15]
	v_sub_nc_u32_e32 v14, v48, v1
	v_add_co_u32 v20, vcc_lo, v6, v52
	v_add_co_ci_u32_e32 v21, vcc_lo, v13, v53, vcc_lo
	s_delay_alu instid0(VALU_DEP_3) | instskip(SKIP_3) | instid1(VALU_DEP_3)
	v_lshlrev_b64 v[22:23], 2, v[14:15]
	v_sub_nc_u32_e32 v14, v44, v1
	v_add_co_u32 v18, vcc_lo, v6, v18
	v_add_co_ci_u32_e32 v19, vcc_lo, v13, v19, vcc_lo
	v_lshlrev_b64 v[14:15], 2, v[14:15]
	v_add_co_u32 v22, vcc_lo, v6, v22
	v_add_co_ci_u32_e32 v23, vcc_lo, v13, v23, vcc_lo
	s_clause 0x2
	global_store_b32 v[20:21], v12, off
	global_store_b32 v[18:19], v25, off
	;; [unrolled: 1-line block ×3, first 2 shown]
	v_add_co_u32 v14, vcc_lo, v6, v14
	v_add_co_ci_u32_e32 v15, vcc_lo, v13, v15, vcc_lo
	global_store_b32 v[14:15], v45, off
	s_or_b32 exec_lo, exec_lo, s15
	s_delay_alu instid0(SALU_CYCLE_1)
	s_and_b32 exec_lo, exec_lo, s17
	s_cbranch_execnz .LBB857_278
	s_branch .LBB857_279
.LBB857_260:
	s_and_not1_saveexec_b32 s0, s16
	s_cbranch_execz .LBB857_296
.LBB857_261:
	v_sub_nc_u32_e32 v2, v40, v1
	v_sub_nc_u32_e32 v14, v46, v1
	;; [unrolled: 1-line block ×5, first 2 shown]
	v_lshlrev_b32_e32 v2, 2, v2
	v_lshlrev_b32_e32 v14, 2, v14
	;; [unrolled: 1-line block ×4, first 2 shown]
	v_sub_nc_u32_e32 v9, v9, v1
	ds_store_b32 v2, v41
	ds_store_b32 v14, v47
	;; [unrolled: 1-line block ×3, first 2 shown]
	v_sub_nc_u32_e32 v2, v32, v1
	v_sub_nc_u32_e32 v14, v28, v1
	;; [unrolled: 1-line block ×3, first 2 shown]
	ds_store_b32 v18, v39
	v_sub_nc_u32_e32 v18, v30, v1
	v_lshlrev_b32_e32 v2, 2, v2
	v_lshlrev_b32_e32 v14, 2, v14
	;; [unrolled: 1-line block ×5, first 2 shown]
	ds_store_b32 v2, v33
	v_lshlrev_b32_e32 v2, 2, v19
	ds_store_b32 v14, v29
	ds_store_b32 v15, v27
	;; [unrolled: 1-line block ×3, first 2 shown]
	v_sub_nc_u32_e32 v15, v44, v1
	v_sub_nc_u32_e32 v14, v48, v1
	s_or_b32 s17, s17, exec_lo
	ds_store_b32 v2, v35
	v_sub_nc_u32_e32 v2, v11, v1
	v_sub_nc_u32_e32 v11, v24, v1
	ds_store_b32 v9, v10
	v_lshlrev_b32_e32 v9, 2, v15
	v_lshlrev_b32_e32 v14, 2, v14
	;; [unrolled: 1-line block ×4, first 2 shown]
	ds_store_b32 v2, v12
	ds_store_b32 v11, v25
	;; [unrolled: 1-line block ×4, first 2 shown]
	s_or_b32 exec_lo, exec_lo, s0
	s_delay_alu instid0(SALU_CYCLE_1)
	s_and_b32 exec_lo, exec_lo, s17
	s_cbranch_execnz .LBB857_297
	s_branch .LBB857_298
.LBB857_262:
	s_or_b32 exec_lo, exec_lo, s17
	s_and_saveexec_b32 s17, s13
	s_cbranch_execz .LBB857_229
.LBB857_263:
	v_sub_nc_u32_e32 v14, v46, v1
	v_mov_b32_e32 v15, 0
	s_delay_alu instid0(VALU_DEP_1) | instskip(NEXT) | instid1(VALU_DEP_1)
	v_lshlrev_b64 v[14:15], 2, v[14:15]
	v_add_co_u32 v14, vcc_lo, v6, v14
	s_delay_alu instid0(VALU_DEP_2)
	v_add_co_ci_u32_e32 v15, vcc_lo, v13, v15, vcc_lo
	global_store_b32 v[14:15], v47, off
	s_or_b32 exec_lo, exec_lo, s17
	s_and_saveexec_b32 s17, s12
	s_cbranch_execnz .LBB857_230
.LBB857_264:
	s_or_b32 exec_lo, exec_lo, s17
	s_and_saveexec_b32 s17, s11
	s_cbranch_execz .LBB857_231
.LBB857_265:
	v_sub_nc_u32_e32 v14, v38, v1
	v_mov_b32_e32 v15, 0
	s_delay_alu instid0(VALU_DEP_1) | instskip(NEXT) | instid1(VALU_DEP_1)
	v_lshlrev_b64 v[14:15], 2, v[14:15]
	v_add_co_u32 v14, vcc_lo, v6, v14
	s_delay_alu instid0(VALU_DEP_2)
	v_add_co_ci_u32_e32 v15, vcc_lo, v13, v15, vcc_lo
	global_store_b32 v[14:15], v39, off
	s_or_b32 exec_lo, exec_lo, s17
	s_and_saveexec_b32 s17, s10
	s_cbranch_execnz .LBB857_232
.LBB857_266:
	s_or_b32 exec_lo, exec_lo, s17
	s_and_saveexec_b32 s17, s9
	s_cbranch_execz .LBB857_233
.LBB857_267:
	v_sub_nc_u32_e32 v14, v28, v1
	v_mov_b32_e32 v15, 0
	s_delay_alu instid0(VALU_DEP_1) | instskip(NEXT) | instid1(VALU_DEP_1)
	v_lshlrev_b64 v[14:15], 2, v[14:15]
	v_add_co_u32 v14, vcc_lo, v6, v14
	s_delay_alu instid0(VALU_DEP_2)
	v_add_co_ci_u32_e32 v15, vcc_lo, v13, v15, vcc_lo
	global_store_b32 v[14:15], v29, off
	s_or_b32 exec_lo, exec_lo, s17
	s_and_saveexec_b32 s17, s8
	s_cbranch_execnz .LBB857_234
.LBB857_268:
	s_or_b32 exec_lo, exec_lo, s17
	s_and_saveexec_b32 s17, s7
	s_cbranch_execz .LBB857_235
.LBB857_269:
	v_sub_nc_u32_e32 v14, v30, v1
	v_mov_b32_e32 v15, 0
	s_delay_alu instid0(VALU_DEP_1) | instskip(NEXT) | instid1(VALU_DEP_1)
	v_lshlrev_b64 v[14:15], 2, v[14:15]
	v_add_co_u32 v14, vcc_lo, v6, v14
	s_delay_alu instid0(VALU_DEP_2)
	v_add_co_ci_u32_e32 v15, vcc_lo, v13, v15, vcc_lo
	global_store_b32 v[14:15], v31, off
	s_or_b32 exec_lo, exec_lo, s17
	s_and_saveexec_b32 s17, s6
	s_cbranch_execnz .LBB857_236
.LBB857_270:
	s_or_b32 exec_lo, exec_lo, s17
	s_and_saveexec_b32 s17, s5
	s_cbranch_execz .LBB857_237
.LBB857_271:
	v_sub_nc_u32_e32 v14, v9, v1
	v_mov_b32_e32 v15, 0
	s_delay_alu instid0(VALU_DEP_1) | instskip(NEXT) | instid1(VALU_DEP_1)
	v_lshlrev_b64 v[14:15], 2, v[14:15]
	v_add_co_u32 v14, vcc_lo, v6, v14
	s_delay_alu instid0(VALU_DEP_2)
	v_add_co_ci_u32_e32 v15, vcc_lo, v13, v15, vcc_lo
	global_store_b32 v[14:15], v10, off
	s_or_b32 exec_lo, exec_lo, s17
	s_and_saveexec_b32 s17, s4
	s_cbranch_execnz .LBB857_238
.LBB857_272:
	s_or_b32 exec_lo, exec_lo, s17
	s_and_saveexec_b32 s17, s3
	s_cbranch_execz .LBB857_239
.LBB857_273:
	v_sub_nc_u32_e32 v14, v24, v1
	v_mov_b32_e32 v15, 0
	s_delay_alu instid0(VALU_DEP_1) | instskip(NEXT) | instid1(VALU_DEP_1)
	v_lshlrev_b64 v[14:15], 2, v[14:15]
	v_add_co_u32 v14, vcc_lo, v6, v14
	s_delay_alu instid0(VALU_DEP_2)
	v_add_co_ci_u32_e32 v15, vcc_lo, v13, v15, vcc_lo
	global_store_b32 v[14:15], v25, off
	s_or_b32 exec_lo, exec_lo, s17
	s_and_saveexec_b32 s17, s2
	s_cbranch_execnz .LBB857_240
.LBB857_274:
	s_or_b32 exec_lo, exec_lo, s17
	s_and_saveexec_b32 s17, s1
	s_cbranch_execz .LBB857_276
.LBB857_275:
	v_sub_nc_u32_e32 v14, v44, v1
	v_mov_b32_e32 v15, 0
	s_delay_alu instid0(VALU_DEP_1) | instskip(NEXT) | instid1(VALU_DEP_1)
	v_lshlrev_b64 v[14:15], 2, v[14:15]
	v_add_co_u32 v14, vcc_lo, v6, v14
	s_delay_alu instid0(VALU_DEP_2)
	v_add_co_ci_u32_e32 v15, vcc_lo, v13, v15, vcc_lo
	global_store_b32 v[14:15], v45, off
.LBB857_276:
	s_or_b32 exec_lo, exec_lo, s17
	s_delay_alu instid0(SALU_CYCLE_1)
	s_and_b32 s17, s0, exec_lo
	s_and_not1_saveexec_b32 s15, s15
	s_cbranch_execnz .LBB857_259
.LBB857_277:
	s_or_b32 exec_lo, exec_lo, s15
	s_delay_alu instid0(SALU_CYCLE_1)
	s_and_b32 exec_lo, exec_lo, s17
	s_cbranch_execz .LBB857_279
.LBB857_278:
	v_sub_nc_u32_e32 v14, v36, v1
	v_mov_b32_e32 v15, 0
	s_delay_alu instid0(VALU_DEP_1) | instskip(NEXT) | instid1(VALU_DEP_1)
	v_lshlrev_b64 v[14:15], 2, v[14:15]
	v_add_co_u32 v14, vcc_lo, v6, v14
	s_delay_alu instid0(VALU_DEP_2)
	v_add_co_ci_u32_e32 v15, vcc_lo, v13, v15, vcc_lo
	global_store_b32 v[14:15], v37, off
.LBB857_279:
	s_or_b32 exec_lo, exec_lo, s16
.LBB857_280:
	v_cmp_eq_u32_e32 vcc_lo, 0xff, v0
	s_and_b32 s0, vcc_lo, s26
	s_delay_alu instid0(SALU_CYCLE_1)
	s_and_saveexec_b32 s1, s0
	s_cbranch_execnz .LBB857_302
	s_branch .LBB857_304
.LBB857_281:
	s_or_b32 exec_lo, exec_lo, s17
	s_and_saveexec_b32 s14, s13
	s_cbranch_execz .LBB857_246
.LBB857_282:
	v_sub_nc_u32_e32 v2, v46, v1
	s_delay_alu instid0(VALU_DEP_1)
	v_lshlrev_b32_e32 v2, 2, v2
	ds_store_b32 v2, v47
	s_or_b32 exec_lo, exec_lo, s14
	s_and_saveexec_b32 s13, s12
	s_cbranch_execnz .LBB857_247
.LBB857_283:
	s_or_b32 exec_lo, exec_lo, s13
	s_and_saveexec_b32 s12, s11
	s_cbranch_execz .LBB857_248
.LBB857_284:
	v_sub_nc_u32_e32 v2, v38, v1
	s_delay_alu instid0(VALU_DEP_1)
	v_lshlrev_b32_e32 v2, 2, v2
	ds_store_b32 v2, v39
	s_or_b32 exec_lo, exec_lo, s12
	s_and_saveexec_b32 s11, s10
	s_cbranch_execnz .LBB857_249
.LBB857_285:
	s_or_b32 exec_lo, exec_lo, s11
	s_and_saveexec_b32 s10, s9
	s_cbranch_execz .LBB857_250
.LBB857_286:
	v_sub_nc_u32_e32 v2, v28, v1
	s_delay_alu instid0(VALU_DEP_1)
	v_lshlrev_b32_e32 v2, 2, v2
	ds_store_b32 v2, v29
	s_or_b32 exec_lo, exec_lo, s10
	s_and_saveexec_b32 s9, s8
	s_cbranch_execnz .LBB857_251
.LBB857_287:
	s_or_b32 exec_lo, exec_lo, s9
	s_and_saveexec_b32 s8, s7
	s_cbranch_execz .LBB857_252
.LBB857_288:
	v_sub_nc_u32_e32 v2, v30, v1
	s_delay_alu instid0(VALU_DEP_1)
	v_lshlrev_b32_e32 v2, 2, v2
	ds_store_b32 v2, v31
	s_or_b32 exec_lo, exec_lo, s8
	s_and_saveexec_b32 s7, s6
	s_cbranch_execnz .LBB857_253
.LBB857_289:
	s_or_b32 exec_lo, exec_lo, s7
	s_and_saveexec_b32 s6, s5
	s_cbranch_execz .LBB857_254
.LBB857_290:
	v_sub_nc_u32_e32 v2, v9, v1
	s_delay_alu instid0(VALU_DEP_1)
	v_lshlrev_b32_e32 v2, 2, v2
	ds_store_b32 v2, v10
	s_or_b32 exec_lo, exec_lo, s6
	s_and_saveexec_b32 s5, s4
	s_cbranch_execnz .LBB857_255
.LBB857_291:
	s_or_b32 exec_lo, exec_lo, s5
	s_and_saveexec_b32 s4, s3
	s_cbranch_execz .LBB857_256
.LBB857_292:
	v_sub_nc_u32_e32 v2, v24, v1
	s_delay_alu instid0(VALU_DEP_1)
	v_lshlrev_b32_e32 v2, 2, v2
	ds_store_b32 v2, v25
	s_or_b32 exec_lo, exec_lo, s4
	s_and_saveexec_b32 s3, s2
	s_cbranch_execnz .LBB857_257
.LBB857_293:
	s_or_b32 exec_lo, exec_lo, s3
	s_and_saveexec_b32 s2, s1
	s_cbranch_execz .LBB857_295
.LBB857_294:
	v_sub_nc_u32_e32 v2, v44, v1
	s_delay_alu instid0(VALU_DEP_1)
	v_lshlrev_b32_e32 v2, 2, v2
	ds_store_b32 v2, v45
.LBB857_295:
	s_or_b32 exec_lo, exec_lo, s2
	s_delay_alu instid0(SALU_CYCLE_1)
	s_and_b32 s17, s0, exec_lo
                                        ; implicit-def: $vgpr40_vgpr41
                                        ; implicit-def: $vgpr46_vgpr47
                                        ; implicit-def: $vgpr42_vgpr43
                                        ; implicit-def: $vgpr38_vgpr39
                                        ; implicit-def: $vgpr32_vgpr33
                                        ; implicit-def: $vgpr28_vgpr29
                                        ; implicit-def: $vgpr26_vgpr27
                                        ; implicit-def: $vgpr30_vgpr31
                                        ; implicit-def: $vgpr34_vgpr35
                                        ; implicit-def: $vgpr9_vgpr10
                                        ; implicit-def: $vgpr11_vgpr12
                                        ; implicit-def: $vgpr24_vgpr25
                                        ; implicit-def: $vgpr48_vgpr49
                                        ; implicit-def: $vgpr44_vgpr45
	s_and_not1_saveexec_b32 s0, s16
	s_cbranch_execnz .LBB857_261
.LBB857_296:
	s_or_b32 exec_lo, exec_lo, s0
	s_delay_alu instid0(SALU_CYCLE_1)
	s_and_b32 exec_lo, exec_lo, s17
	s_cbranch_execz .LBB857_298
.LBB857_297:
	v_sub_nc_u32_e32 v1, v36, v1
	s_delay_alu instid0(VALU_DEP_1)
	v_lshlrev_b32_e32 v1, 2, v1
	ds_store_b32 v1, v37
.LBB857_298:
	s_or_b32 exec_lo, exec_lo, s15
	s_delay_alu instid0(SALU_CYCLE_1)
	s_mov_b32 s1, exec_lo
	s_waitcnt lgkmcnt(0)
	s_waitcnt_vscnt null, 0x0
	s_barrier
	buffer_gl0_inv
	v_cmpx_lt_u32_e64 v0, v3
	s_cbranch_execz .LBB857_301
; %bb.299:
	v_dual_mov_b32 v2, 0 :: v_dual_lshlrev_b32 v9, 2, v0
	v_mov_b32_e32 v1, v0
	s_mov_b32 s2, 0
	.p2align	6
.LBB857_300:                            ; =>This Inner Loop Header: Depth=1
	ds_load_b32 v12, v9
	v_lshlrev_b64 v[10:11], 2, v[1:2]
	v_add_nc_u32_e32 v1, 0x100, v1
	v_add_nc_u32_e32 v9, 0x400, v9
	s_delay_alu instid0(VALU_DEP_2) | instskip(NEXT) | instid1(VALU_DEP_4)
	v_cmp_ge_u32_e32 vcc_lo, v1, v3
	v_add_co_u32 v10, s0, v6, v10
	s_delay_alu instid0(VALU_DEP_1)
	v_add_co_ci_u32_e64 v11, s0, v13, v11, s0
	s_or_b32 s2, vcc_lo, s2
	s_waitcnt lgkmcnt(0)
	global_store_b32 v[10:11], v12, off
	s_and_not1_b32 exec_lo, exec_lo, s2
	s_cbranch_execnz .LBB857_300
.LBB857_301:
	s_or_b32 exec_lo, exec_lo, s1
	v_cmp_eq_u32_e32 vcc_lo, 0xff, v0
	s_and_b32 s0, vcc_lo, s26
	s_delay_alu instid0(SALU_CYCLE_1)
	s_and_saveexec_b32 s1, s0
	s_cbranch_execz .LBB857_304
.LBB857_302:
	v_add_co_u32 v0, s0, v5, v7
	s_delay_alu instid0(VALU_DEP_1) | instskip(SKIP_1) | instid1(VALU_DEP_3)
	v_add_co_ci_u32_e64 v1, null, 0, 0, s0
	v_mov_b32_e32 v6, 0
	v_add_co_u32 v0, vcc_lo, v0, v16
	s_delay_alu instid0(VALU_DEP_3)
	v_add_co_ci_u32_e32 v1, vcc_lo, v1, v17, vcc_lo
	s_cmpk_lg_i32 s27, 0xf00
	global_store_b64 v6, v[0:1], s[30:31]
	s_cbranch_scc1 .LBB857_304
; %bb.303:
	v_lshlrev_b64 v[0:1], 2, v[5:6]
	s_delay_alu instid0(VALU_DEP_1) | instskip(NEXT) | instid1(VALU_DEP_2)
	v_add_co_u32 v0, vcc_lo, v4, v0
	v_add_co_ci_u32_e32 v1, vcc_lo, v8, v1, vcc_lo
	global_store_b32 v[0:1], v66, off offset:-4
	s_nop 0
	s_sendmsg sendmsg(MSG_DEALLOC_VGPRS)
	s_endpgm
.LBB857_304:
	s_nop 0
	s_sendmsg sendmsg(MSG_DEALLOC_VGPRS)
	s_endpgm
	.section	.rodata,"a",@progbits
	.p2align	6, 0x0
	.amdhsa_kernel _ZN7rocprim17ROCPRIM_400000_NS6detail17trampoline_kernelINS0_14default_configENS1_29reduce_by_key_config_selectorIsjN6thrust23THRUST_200600_302600_NS4plusIjEEEEZZNS1_33reduce_by_key_impl_wrapped_configILNS1_25lookback_scan_determinismE0ES3_S9_NS6_6detail15normal_iteratorINS6_10device_ptrIsEEEENSD_INSE_IjEEEESG_SI_PmS8_NS6_8equal_toIsEEEE10hipError_tPvRmT2_T3_mT4_T5_T6_T7_T8_P12ihipStream_tbENKUlT_T0_E_clISt17integral_constantIbLb1EES13_EEDaSY_SZ_EUlSY_E_NS1_11comp_targetILNS1_3genE9ELNS1_11target_archE1100ELNS1_3gpuE3ELNS1_3repE0EEENS1_30default_config_static_selectorELNS0_4arch9wavefront6targetE0EEEvT1_
		.amdhsa_group_segment_fixed_size 15360
		.amdhsa_private_segment_fixed_size 0
		.amdhsa_kernarg_size 120
		.amdhsa_user_sgpr_count 15
		.amdhsa_user_sgpr_dispatch_ptr 0
		.amdhsa_user_sgpr_queue_ptr 0
		.amdhsa_user_sgpr_kernarg_segment_ptr 1
		.amdhsa_user_sgpr_dispatch_id 0
		.amdhsa_user_sgpr_private_segment_size 0
		.amdhsa_wavefront_size32 1
		.amdhsa_uses_dynamic_stack 0
		.amdhsa_enable_private_segment 0
		.amdhsa_system_sgpr_workgroup_id_x 1
		.amdhsa_system_sgpr_workgroup_id_y 0
		.amdhsa_system_sgpr_workgroup_id_z 0
		.amdhsa_system_sgpr_workgroup_info 0
		.amdhsa_system_vgpr_workitem_id 0
		.amdhsa_next_free_vgpr 100
		.amdhsa_next_free_sgpr 46
		.amdhsa_reserve_vcc 1
		.amdhsa_float_round_mode_32 0
		.amdhsa_float_round_mode_16_64 0
		.amdhsa_float_denorm_mode_32 3
		.amdhsa_float_denorm_mode_16_64 3
		.amdhsa_dx10_clamp 1
		.amdhsa_ieee_mode 1
		.amdhsa_fp16_overflow 0
		.amdhsa_workgroup_processor_mode 1
		.amdhsa_memory_ordered 1
		.amdhsa_forward_progress 0
		.amdhsa_shared_vgpr_count 0
		.amdhsa_exception_fp_ieee_invalid_op 0
		.amdhsa_exception_fp_denorm_src 0
		.amdhsa_exception_fp_ieee_div_zero 0
		.amdhsa_exception_fp_ieee_overflow 0
		.amdhsa_exception_fp_ieee_underflow 0
		.amdhsa_exception_fp_ieee_inexact 0
		.amdhsa_exception_int_div_zero 0
	.end_amdhsa_kernel
	.section	.text._ZN7rocprim17ROCPRIM_400000_NS6detail17trampoline_kernelINS0_14default_configENS1_29reduce_by_key_config_selectorIsjN6thrust23THRUST_200600_302600_NS4plusIjEEEEZZNS1_33reduce_by_key_impl_wrapped_configILNS1_25lookback_scan_determinismE0ES3_S9_NS6_6detail15normal_iteratorINS6_10device_ptrIsEEEENSD_INSE_IjEEEESG_SI_PmS8_NS6_8equal_toIsEEEE10hipError_tPvRmT2_T3_mT4_T5_T6_T7_T8_P12ihipStream_tbENKUlT_T0_E_clISt17integral_constantIbLb1EES13_EEDaSY_SZ_EUlSY_E_NS1_11comp_targetILNS1_3genE9ELNS1_11target_archE1100ELNS1_3gpuE3ELNS1_3repE0EEENS1_30default_config_static_selectorELNS0_4arch9wavefront6targetE0EEEvT1_,"axG",@progbits,_ZN7rocprim17ROCPRIM_400000_NS6detail17trampoline_kernelINS0_14default_configENS1_29reduce_by_key_config_selectorIsjN6thrust23THRUST_200600_302600_NS4plusIjEEEEZZNS1_33reduce_by_key_impl_wrapped_configILNS1_25lookback_scan_determinismE0ES3_S9_NS6_6detail15normal_iteratorINS6_10device_ptrIsEEEENSD_INSE_IjEEEESG_SI_PmS8_NS6_8equal_toIsEEEE10hipError_tPvRmT2_T3_mT4_T5_T6_T7_T8_P12ihipStream_tbENKUlT_T0_E_clISt17integral_constantIbLb1EES13_EEDaSY_SZ_EUlSY_E_NS1_11comp_targetILNS1_3genE9ELNS1_11target_archE1100ELNS1_3gpuE3ELNS1_3repE0EEENS1_30default_config_static_selectorELNS0_4arch9wavefront6targetE0EEEvT1_,comdat
.Lfunc_end857:
	.size	_ZN7rocprim17ROCPRIM_400000_NS6detail17trampoline_kernelINS0_14default_configENS1_29reduce_by_key_config_selectorIsjN6thrust23THRUST_200600_302600_NS4plusIjEEEEZZNS1_33reduce_by_key_impl_wrapped_configILNS1_25lookback_scan_determinismE0ES3_S9_NS6_6detail15normal_iteratorINS6_10device_ptrIsEEEENSD_INSE_IjEEEESG_SI_PmS8_NS6_8equal_toIsEEEE10hipError_tPvRmT2_T3_mT4_T5_T6_T7_T8_P12ihipStream_tbENKUlT_T0_E_clISt17integral_constantIbLb1EES13_EEDaSY_SZ_EUlSY_E_NS1_11comp_targetILNS1_3genE9ELNS1_11target_archE1100ELNS1_3gpuE3ELNS1_3repE0EEENS1_30default_config_static_selectorELNS0_4arch9wavefront6targetE0EEEvT1_, .Lfunc_end857-_ZN7rocprim17ROCPRIM_400000_NS6detail17trampoline_kernelINS0_14default_configENS1_29reduce_by_key_config_selectorIsjN6thrust23THRUST_200600_302600_NS4plusIjEEEEZZNS1_33reduce_by_key_impl_wrapped_configILNS1_25lookback_scan_determinismE0ES3_S9_NS6_6detail15normal_iteratorINS6_10device_ptrIsEEEENSD_INSE_IjEEEESG_SI_PmS8_NS6_8equal_toIsEEEE10hipError_tPvRmT2_T3_mT4_T5_T6_T7_T8_P12ihipStream_tbENKUlT_T0_E_clISt17integral_constantIbLb1EES13_EEDaSY_SZ_EUlSY_E_NS1_11comp_targetILNS1_3genE9ELNS1_11target_archE1100ELNS1_3gpuE3ELNS1_3repE0EEENS1_30default_config_static_selectorELNS0_4arch9wavefront6targetE0EEEvT1_
                                        ; -- End function
	.section	.AMDGPU.csdata,"",@progbits
; Kernel info:
; codeLenInByte = 19068
; NumSgprs: 48
; NumVgprs: 100
; ScratchSize: 0
; MemoryBound: 0
; FloatMode: 240
; IeeeMode: 1
; LDSByteSize: 15360 bytes/workgroup (compile time only)
; SGPRBlocks: 5
; VGPRBlocks: 12
; NumSGPRsForWavesPerEU: 48
; NumVGPRsForWavesPerEU: 100
; Occupancy: 12
; WaveLimiterHint : 1
; COMPUTE_PGM_RSRC2:SCRATCH_EN: 0
; COMPUTE_PGM_RSRC2:USER_SGPR: 15
; COMPUTE_PGM_RSRC2:TRAP_HANDLER: 0
; COMPUTE_PGM_RSRC2:TGID_X_EN: 1
; COMPUTE_PGM_RSRC2:TGID_Y_EN: 0
; COMPUTE_PGM_RSRC2:TGID_Z_EN: 0
; COMPUTE_PGM_RSRC2:TIDIG_COMP_CNT: 0
	.section	.text._ZN7rocprim17ROCPRIM_400000_NS6detail17trampoline_kernelINS0_14default_configENS1_29reduce_by_key_config_selectorIsjN6thrust23THRUST_200600_302600_NS4plusIjEEEEZZNS1_33reduce_by_key_impl_wrapped_configILNS1_25lookback_scan_determinismE0ES3_S9_NS6_6detail15normal_iteratorINS6_10device_ptrIsEEEENSD_INSE_IjEEEESG_SI_PmS8_NS6_8equal_toIsEEEE10hipError_tPvRmT2_T3_mT4_T5_T6_T7_T8_P12ihipStream_tbENKUlT_T0_E_clISt17integral_constantIbLb1EES13_EEDaSY_SZ_EUlSY_E_NS1_11comp_targetILNS1_3genE8ELNS1_11target_archE1030ELNS1_3gpuE2ELNS1_3repE0EEENS1_30default_config_static_selectorELNS0_4arch9wavefront6targetE0EEEvT1_,"axG",@progbits,_ZN7rocprim17ROCPRIM_400000_NS6detail17trampoline_kernelINS0_14default_configENS1_29reduce_by_key_config_selectorIsjN6thrust23THRUST_200600_302600_NS4plusIjEEEEZZNS1_33reduce_by_key_impl_wrapped_configILNS1_25lookback_scan_determinismE0ES3_S9_NS6_6detail15normal_iteratorINS6_10device_ptrIsEEEENSD_INSE_IjEEEESG_SI_PmS8_NS6_8equal_toIsEEEE10hipError_tPvRmT2_T3_mT4_T5_T6_T7_T8_P12ihipStream_tbENKUlT_T0_E_clISt17integral_constantIbLb1EES13_EEDaSY_SZ_EUlSY_E_NS1_11comp_targetILNS1_3genE8ELNS1_11target_archE1030ELNS1_3gpuE2ELNS1_3repE0EEENS1_30default_config_static_selectorELNS0_4arch9wavefront6targetE0EEEvT1_,comdat
	.protected	_ZN7rocprim17ROCPRIM_400000_NS6detail17trampoline_kernelINS0_14default_configENS1_29reduce_by_key_config_selectorIsjN6thrust23THRUST_200600_302600_NS4plusIjEEEEZZNS1_33reduce_by_key_impl_wrapped_configILNS1_25lookback_scan_determinismE0ES3_S9_NS6_6detail15normal_iteratorINS6_10device_ptrIsEEEENSD_INSE_IjEEEESG_SI_PmS8_NS6_8equal_toIsEEEE10hipError_tPvRmT2_T3_mT4_T5_T6_T7_T8_P12ihipStream_tbENKUlT_T0_E_clISt17integral_constantIbLb1EES13_EEDaSY_SZ_EUlSY_E_NS1_11comp_targetILNS1_3genE8ELNS1_11target_archE1030ELNS1_3gpuE2ELNS1_3repE0EEENS1_30default_config_static_selectorELNS0_4arch9wavefront6targetE0EEEvT1_ ; -- Begin function _ZN7rocprim17ROCPRIM_400000_NS6detail17trampoline_kernelINS0_14default_configENS1_29reduce_by_key_config_selectorIsjN6thrust23THRUST_200600_302600_NS4plusIjEEEEZZNS1_33reduce_by_key_impl_wrapped_configILNS1_25lookback_scan_determinismE0ES3_S9_NS6_6detail15normal_iteratorINS6_10device_ptrIsEEEENSD_INSE_IjEEEESG_SI_PmS8_NS6_8equal_toIsEEEE10hipError_tPvRmT2_T3_mT4_T5_T6_T7_T8_P12ihipStream_tbENKUlT_T0_E_clISt17integral_constantIbLb1EES13_EEDaSY_SZ_EUlSY_E_NS1_11comp_targetILNS1_3genE8ELNS1_11target_archE1030ELNS1_3gpuE2ELNS1_3repE0EEENS1_30default_config_static_selectorELNS0_4arch9wavefront6targetE0EEEvT1_
	.globl	_ZN7rocprim17ROCPRIM_400000_NS6detail17trampoline_kernelINS0_14default_configENS1_29reduce_by_key_config_selectorIsjN6thrust23THRUST_200600_302600_NS4plusIjEEEEZZNS1_33reduce_by_key_impl_wrapped_configILNS1_25lookback_scan_determinismE0ES3_S9_NS6_6detail15normal_iteratorINS6_10device_ptrIsEEEENSD_INSE_IjEEEESG_SI_PmS8_NS6_8equal_toIsEEEE10hipError_tPvRmT2_T3_mT4_T5_T6_T7_T8_P12ihipStream_tbENKUlT_T0_E_clISt17integral_constantIbLb1EES13_EEDaSY_SZ_EUlSY_E_NS1_11comp_targetILNS1_3genE8ELNS1_11target_archE1030ELNS1_3gpuE2ELNS1_3repE0EEENS1_30default_config_static_selectorELNS0_4arch9wavefront6targetE0EEEvT1_
	.p2align	8
	.type	_ZN7rocprim17ROCPRIM_400000_NS6detail17trampoline_kernelINS0_14default_configENS1_29reduce_by_key_config_selectorIsjN6thrust23THRUST_200600_302600_NS4plusIjEEEEZZNS1_33reduce_by_key_impl_wrapped_configILNS1_25lookback_scan_determinismE0ES3_S9_NS6_6detail15normal_iteratorINS6_10device_ptrIsEEEENSD_INSE_IjEEEESG_SI_PmS8_NS6_8equal_toIsEEEE10hipError_tPvRmT2_T3_mT4_T5_T6_T7_T8_P12ihipStream_tbENKUlT_T0_E_clISt17integral_constantIbLb1EES13_EEDaSY_SZ_EUlSY_E_NS1_11comp_targetILNS1_3genE8ELNS1_11target_archE1030ELNS1_3gpuE2ELNS1_3repE0EEENS1_30default_config_static_selectorELNS0_4arch9wavefront6targetE0EEEvT1_,@function
_ZN7rocprim17ROCPRIM_400000_NS6detail17trampoline_kernelINS0_14default_configENS1_29reduce_by_key_config_selectorIsjN6thrust23THRUST_200600_302600_NS4plusIjEEEEZZNS1_33reduce_by_key_impl_wrapped_configILNS1_25lookback_scan_determinismE0ES3_S9_NS6_6detail15normal_iteratorINS6_10device_ptrIsEEEENSD_INSE_IjEEEESG_SI_PmS8_NS6_8equal_toIsEEEE10hipError_tPvRmT2_T3_mT4_T5_T6_T7_T8_P12ihipStream_tbENKUlT_T0_E_clISt17integral_constantIbLb1EES13_EEDaSY_SZ_EUlSY_E_NS1_11comp_targetILNS1_3genE8ELNS1_11target_archE1030ELNS1_3gpuE2ELNS1_3repE0EEENS1_30default_config_static_selectorELNS0_4arch9wavefront6targetE0EEEvT1_: ; @_ZN7rocprim17ROCPRIM_400000_NS6detail17trampoline_kernelINS0_14default_configENS1_29reduce_by_key_config_selectorIsjN6thrust23THRUST_200600_302600_NS4plusIjEEEEZZNS1_33reduce_by_key_impl_wrapped_configILNS1_25lookback_scan_determinismE0ES3_S9_NS6_6detail15normal_iteratorINS6_10device_ptrIsEEEENSD_INSE_IjEEEESG_SI_PmS8_NS6_8equal_toIsEEEE10hipError_tPvRmT2_T3_mT4_T5_T6_T7_T8_P12ihipStream_tbENKUlT_T0_E_clISt17integral_constantIbLb1EES13_EEDaSY_SZ_EUlSY_E_NS1_11comp_targetILNS1_3genE8ELNS1_11target_archE1030ELNS1_3gpuE2ELNS1_3repE0EEENS1_30default_config_static_selectorELNS0_4arch9wavefront6targetE0EEEvT1_
; %bb.0:
	.section	.rodata,"a",@progbits
	.p2align	6, 0x0
	.amdhsa_kernel _ZN7rocprim17ROCPRIM_400000_NS6detail17trampoline_kernelINS0_14default_configENS1_29reduce_by_key_config_selectorIsjN6thrust23THRUST_200600_302600_NS4plusIjEEEEZZNS1_33reduce_by_key_impl_wrapped_configILNS1_25lookback_scan_determinismE0ES3_S9_NS6_6detail15normal_iteratorINS6_10device_ptrIsEEEENSD_INSE_IjEEEESG_SI_PmS8_NS6_8equal_toIsEEEE10hipError_tPvRmT2_T3_mT4_T5_T6_T7_T8_P12ihipStream_tbENKUlT_T0_E_clISt17integral_constantIbLb1EES13_EEDaSY_SZ_EUlSY_E_NS1_11comp_targetILNS1_3genE8ELNS1_11target_archE1030ELNS1_3gpuE2ELNS1_3repE0EEENS1_30default_config_static_selectorELNS0_4arch9wavefront6targetE0EEEvT1_
		.amdhsa_group_segment_fixed_size 0
		.amdhsa_private_segment_fixed_size 0
		.amdhsa_kernarg_size 120
		.amdhsa_user_sgpr_count 15
		.amdhsa_user_sgpr_dispatch_ptr 0
		.amdhsa_user_sgpr_queue_ptr 0
		.amdhsa_user_sgpr_kernarg_segment_ptr 1
		.amdhsa_user_sgpr_dispatch_id 0
		.amdhsa_user_sgpr_private_segment_size 0
		.amdhsa_wavefront_size32 1
		.amdhsa_uses_dynamic_stack 0
		.amdhsa_enable_private_segment 0
		.amdhsa_system_sgpr_workgroup_id_x 1
		.amdhsa_system_sgpr_workgroup_id_y 0
		.amdhsa_system_sgpr_workgroup_id_z 0
		.amdhsa_system_sgpr_workgroup_info 0
		.amdhsa_system_vgpr_workitem_id 0
		.amdhsa_next_free_vgpr 1
		.amdhsa_next_free_sgpr 1
		.amdhsa_reserve_vcc 0
		.amdhsa_float_round_mode_32 0
		.amdhsa_float_round_mode_16_64 0
		.amdhsa_float_denorm_mode_32 3
		.amdhsa_float_denorm_mode_16_64 3
		.amdhsa_dx10_clamp 1
		.amdhsa_ieee_mode 1
		.amdhsa_fp16_overflow 0
		.amdhsa_workgroup_processor_mode 1
		.amdhsa_memory_ordered 1
		.amdhsa_forward_progress 0
		.amdhsa_shared_vgpr_count 0
		.amdhsa_exception_fp_ieee_invalid_op 0
		.amdhsa_exception_fp_denorm_src 0
		.amdhsa_exception_fp_ieee_div_zero 0
		.amdhsa_exception_fp_ieee_overflow 0
		.amdhsa_exception_fp_ieee_underflow 0
		.amdhsa_exception_fp_ieee_inexact 0
		.amdhsa_exception_int_div_zero 0
	.end_amdhsa_kernel
	.section	.text._ZN7rocprim17ROCPRIM_400000_NS6detail17trampoline_kernelINS0_14default_configENS1_29reduce_by_key_config_selectorIsjN6thrust23THRUST_200600_302600_NS4plusIjEEEEZZNS1_33reduce_by_key_impl_wrapped_configILNS1_25lookback_scan_determinismE0ES3_S9_NS6_6detail15normal_iteratorINS6_10device_ptrIsEEEENSD_INSE_IjEEEESG_SI_PmS8_NS6_8equal_toIsEEEE10hipError_tPvRmT2_T3_mT4_T5_T6_T7_T8_P12ihipStream_tbENKUlT_T0_E_clISt17integral_constantIbLb1EES13_EEDaSY_SZ_EUlSY_E_NS1_11comp_targetILNS1_3genE8ELNS1_11target_archE1030ELNS1_3gpuE2ELNS1_3repE0EEENS1_30default_config_static_selectorELNS0_4arch9wavefront6targetE0EEEvT1_,"axG",@progbits,_ZN7rocprim17ROCPRIM_400000_NS6detail17trampoline_kernelINS0_14default_configENS1_29reduce_by_key_config_selectorIsjN6thrust23THRUST_200600_302600_NS4plusIjEEEEZZNS1_33reduce_by_key_impl_wrapped_configILNS1_25lookback_scan_determinismE0ES3_S9_NS6_6detail15normal_iteratorINS6_10device_ptrIsEEEENSD_INSE_IjEEEESG_SI_PmS8_NS6_8equal_toIsEEEE10hipError_tPvRmT2_T3_mT4_T5_T6_T7_T8_P12ihipStream_tbENKUlT_T0_E_clISt17integral_constantIbLb1EES13_EEDaSY_SZ_EUlSY_E_NS1_11comp_targetILNS1_3genE8ELNS1_11target_archE1030ELNS1_3gpuE2ELNS1_3repE0EEENS1_30default_config_static_selectorELNS0_4arch9wavefront6targetE0EEEvT1_,comdat
.Lfunc_end858:
	.size	_ZN7rocprim17ROCPRIM_400000_NS6detail17trampoline_kernelINS0_14default_configENS1_29reduce_by_key_config_selectorIsjN6thrust23THRUST_200600_302600_NS4plusIjEEEEZZNS1_33reduce_by_key_impl_wrapped_configILNS1_25lookback_scan_determinismE0ES3_S9_NS6_6detail15normal_iteratorINS6_10device_ptrIsEEEENSD_INSE_IjEEEESG_SI_PmS8_NS6_8equal_toIsEEEE10hipError_tPvRmT2_T3_mT4_T5_T6_T7_T8_P12ihipStream_tbENKUlT_T0_E_clISt17integral_constantIbLb1EES13_EEDaSY_SZ_EUlSY_E_NS1_11comp_targetILNS1_3genE8ELNS1_11target_archE1030ELNS1_3gpuE2ELNS1_3repE0EEENS1_30default_config_static_selectorELNS0_4arch9wavefront6targetE0EEEvT1_, .Lfunc_end858-_ZN7rocprim17ROCPRIM_400000_NS6detail17trampoline_kernelINS0_14default_configENS1_29reduce_by_key_config_selectorIsjN6thrust23THRUST_200600_302600_NS4plusIjEEEEZZNS1_33reduce_by_key_impl_wrapped_configILNS1_25lookback_scan_determinismE0ES3_S9_NS6_6detail15normal_iteratorINS6_10device_ptrIsEEEENSD_INSE_IjEEEESG_SI_PmS8_NS6_8equal_toIsEEEE10hipError_tPvRmT2_T3_mT4_T5_T6_T7_T8_P12ihipStream_tbENKUlT_T0_E_clISt17integral_constantIbLb1EES13_EEDaSY_SZ_EUlSY_E_NS1_11comp_targetILNS1_3genE8ELNS1_11target_archE1030ELNS1_3gpuE2ELNS1_3repE0EEENS1_30default_config_static_selectorELNS0_4arch9wavefront6targetE0EEEvT1_
                                        ; -- End function
	.section	.AMDGPU.csdata,"",@progbits
; Kernel info:
; codeLenInByte = 0
; NumSgprs: 0
; NumVgprs: 0
; ScratchSize: 0
; MemoryBound: 0
; FloatMode: 240
; IeeeMode: 1
; LDSByteSize: 0 bytes/workgroup (compile time only)
; SGPRBlocks: 0
; VGPRBlocks: 0
; NumSGPRsForWavesPerEU: 1
; NumVGPRsForWavesPerEU: 1
; Occupancy: 16
; WaveLimiterHint : 0
; COMPUTE_PGM_RSRC2:SCRATCH_EN: 0
; COMPUTE_PGM_RSRC2:USER_SGPR: 15
; COMPUTE_PGM_RSRC2:TRAP_HANDLER: 0
; COMPUTE_PGM_RSRC2:TGID_X_EN: 1
; COMPUTE_PGM_RSRC2:TGID_Y_EN: 0
; COMPUTE_PGM_RSRC2:TGID_Z_EN: 0
; COMPUTE_PGM_RSRC2:TIDIG_COMP_CNT: 0
	.section	.text._ZN7rocprim17ROCPRIM_400000_NS6detail17trampoline_kernelINS0_14default_configENS1_29reduce_by_key_config_selectorIsjN6thrust23THRUST_200600_302600_NS4plusIjEEEEZZNS1_33reduce_by_key_impl_wrapped_configILNS1_25lookback_scan_determinismE0ES3_S9_NS6_6detail15normal_iteratorINS6_10device_ptrIsEEEENSD_INSE_IjEEEESG_SI_PmS8_NS6_8equal_toIsEEEE10hipError_tPvRmT2_T3_mT4_T5_T6_T7_T8_P12ihipStream_tbENKUlT_T0_E_clISt17integral_constantIbLb1EES12_IbLb0EEEEDaSY_SZ_EUlSY_E_NS1_11comp_targetILNS1_3genE0ELNS1_11target_archE4294967295ELNS1_3gpuE0ELNS1_3repE0EEENS1_30default_config_static_selectorELNS0_4arch9wavefront6targetE0EEEvT1_,"axG",@progbits,_ZN7rocprim17ROCPRIM_400000_NS6detail17trampoline_kernelINS0_14default_configENS1_29reduce_by_key_config_selectorIsjN6thrust23THRUST_200600_302600_NS4plusIjEEEEZZNS1_33reduce_by_key_impl_wrapped_configILNS1_25lookback_scan_determinismE0ES3_S9_NS6_6detail15normal_iteratorINS6_10device_ptrIsEEEENSD_INSE_IjEEEESG_SI_PmS8_NS6_8equal_toIsEEEE10hipError_tPvRmT2_T3_mT4_T5_T6_T7_T8_P12ihipStream_tbENKUlT_T0_E_clISt17integral_constantIbLb1EES12_IbLb0EEEEDaSY_SZ_EUlSY_E_NS1_11comp_targetILNS1_3genE0ELNS1_11target_archE4294967295ELNS1_3gpuE0ELNS1_3repE0EEENS1_30default_config_static_selectorELNS0_4arch9wavefront6targetE0EEEvT1_,comdat
	.protected	_ZN7rocprim17ROCPRIM_400000_NS6detail17trampoline_kernelINS0_14default_configENS1_29reduce_by_key_config_selectorIsjN6thrust23THRUST_200600_302600_NS4plusIjEEEEZZNS1_33reduce_by_key_impl_wrapped_configILNS1_25lookback_scan_determinismE0ES3_S9_NS6_6detail15normal_iteratorINS6_10device_ptrIsEEEENSD_INSE_IjEEEESG_SI_PmS8_NS6_8equal_toIsEEEE10hipError_tPvRmT2_T3_mT4_T5_T6_T7_T8_P12ihipStream_tbENKUlT_T0_E_clISt17integral_constantIbLb1EES12_IbLb0EEEEDaSY_SZ_EUlSY_E_NS1_11comp_targetILNS1_3genE0ELNS1_11target_archE4294967295ELNS1_3gpuE0ELNS1_3repE0EEENS1_30default_config_static_selectorELNS0_4arch9wavefront6targetE0EEEvT1_ ; -- Begin function _ZN7rocprim17ROCPRIM_400000_NS6detail17trampoline_kernelINS0_14default_configENS1_29reduce_by_key_config_selectorIsjN6thrust23THRUST_200600_302600_NS4plusIjEEEEZZNS1_33reduce_by_key_impl_wrapped_configILNS1_25lookback_scan_determinismE0ES3_S9_NS6_6detail15normal_iteratorINS6_10device_ptrIsEEEENSD_INSE_IjEEEESG_SI_PmS8_NS6_8equal_toIsEEEE10hipError_tPvRmT2_T3_mT4_T5_T6_T7_T8_P12ihipStream_tbENKUlT_T0_E_clISt17integral_constantIbLb1EES12_IbLb0EEEEDaSY_SZ_EUlSY_E_NS1_11comp_targetILNS1_3genE0ELNS1_11target_archE4294967295ELNS1_3gpuE0ELNS1_3repE0EEENS1_30default_config_static_selectorELNS0_4arch9wavefront6targetE0EEEvT1_
	.globl	_ZN7rocprim17ROCPRIM_400000_NS6detail17trampoline_kernelINS0_14default_configENS1_29reduce_by_key_config_selectorIsjN6thrust23THRUST_200600_302600_NS4plusIjEEEEZZNS1_33reduce_by_key_impl_wrapped_configILNS1_25lookback_scan_determinismE0ES3_S9_NS6_6detail15normal_iteratorINS6_10device_ptrIsEEEENSD_INSE_IjEEEESG_SI_PmS8_NS6_8equal_toIsEEEE10hipError_tPvRmT2_T3_mT4_T5_T6_T7_T8_P12ihipStream_tbENKUlT_T0_E_clISt17integral_constantIbLb1EES12_IbLb0EEEEDaSY_SZ_EUlSY_E_NS1_11comp_targetILNS1_3genE0ELNS1_11target_archE4294967295ELNS1_3gpuE0ELNS1_3repE0EEENS1_30default_config_static_selectorELNS0_4arch9wavefront6targetE0EEEvT1_
	.p2align	8
	.type	_ZN7rocprim17ROCPRIM_400000_NS6detail17trampoline_kernelINS0_14default_configENS1_29reduce_by_key_config_selectorIsjN6thrust23THRUST_200600_302600_NS4plusIjEEEEZZNS1_33reduce_by_key_impl_wrapped_configILNS1_25lookback_scan_determinismE0ES3_S9_NS6_6detail15normal_iteratorINS6_10device_ptrIsEEEENSD_INSE_IjEEEESG_SI_PmS8_NS6_8equal_toIsEEEE10hipError_tPvRmT2_T3_mT4_T5_T6_T7_T8_P12ihipStream_tbENKUlT_T0_E_clISt17integral_constantIbLb1EES12_IbLb0EEEEDaSY_SZ_EUlSY_E_NS1_11comp_targetILNS1_3genE0ELNS1_11target_archE4294967295ELNS1_3gpuE0ELNS1_3repE0EEENS1_30default_config_static_selectorELNS0_4arch9wavefront6targetE0EEEvT1_,@function
_ZN7rocprim17ROCPRIM_400000_NS6detail17trampoline_kernelINS0_14default_configENS1_29reduce_by_key_config_selectorIsjN6thrust23THRUST_200600_302600_NS4plusIjEEEEZZNS1_33reduce_by_key_impl_wrapped_configILNS1_25lookback_scan_determinismE0ES3_S9_NS6_6detail15normal_iteratorINS6_10device_ptrIsEEEENSD_INSE_IjEEEESG_SI_PmS8_NS6_8equal_toIsEEEE10hipError_tPvRmT2_T3_mT4_T5_T6_T7_T8_P12ihipStream_tbENKUlT_T0_E_clISt17integral_constantIbLb1EES12_IbLb0EEEEDaSY_SZ_EUlSY_E_NS1_11comp_targetILNS1_3genE0ELNS1_11target_archE4294967295ELNS1_3gpuE0ELNS1_3repE0EEENS1_30default_config_static_selectorELNS0_4arch9wavefront6targetE0EEEvT1_: ; @_ZN7rocprim17ROCPRIM_400000_NS6detail17trampoline_kernelINS0_14default_configENS1_29reduce_by_key_config_selectorIsjN6thrust23THRUST_200600_302600_NS4plusIjEEEEZZNS1_33reduce_by_key_impl_wrapped_configILNS1_25lookback_scan_determinismE0ES3_S9_NS6_6detail15normal_iteratorINS6_10device_ptrIsEEEENSD_INSE_IjEEEESG_SI_PmS8_NS6_8equal_toIsEEEE10hipError_tPvRmT2_T3_mT4_T5_T6_T7_T8_P12ihipStream_tbENKUlT_T0_E_clISt17integral_constantIbLb1EES12_IbLb0EEEEDaSY_SZ_EUlSY_E_NS1_11comp_targetILNS1_3genE0ELNS1_11target_archE4294967295ELNS1_3gpuE0ELNS1_3repE0EEENS1_30default_config_static_selectorELNS0_4arch9wavefront6targetE0EEEvT1_
; %bb.0:
	.section	.rodata,"a",@progbits
	.p2align	6, 0x0
	.amdhsa_kernel _ZN7rocprim17ROCPRIM_400000_NS6detail17trampoline_kernelINS0_14default_configENS1_29reduce_by_key_config_selectorIsjN6thrust23THRUST_200600_302600_NS4plusIjEEEEZZNS1_33reduce_by_key_impl_wrapped_configILNS1_25lookback_scan_determinismE0ES3_S9_NS6_6detail15normal_iteratorINS6_10device_ptrIsEEEENSD_INSE_IjEEEESG_SI_PmS8_NS6_8equal_toIsEEEE10hipError_tPvRmT2_T3_mT4_T5_T6_T7_T8_P12ihipStream_tbENKUlT_T0_E_clISt17integral_constantIbLb1EES12_IbLb0EEEEDaSY_SZ_EUlSY_E_NS1_11comp_targetILNS1_3genE0ELNS1_11target_archE4294967295ELNS1_3gpuE0ELNS1_3repE0EEENS1_30default_config_static_selectorELNS0_4arch9wavefront6targetE0EEEvT1_
		.amdhsa_group_segment_fixed_size 0
		.amdhsa_private_segment_fixed_size 0
		.amdhsa_kernarg_size 120
		.amdhsa_user_sgpr_count 15
		.amdhsa_user_sgpr_dispatch_ptr 0
		.amdhsa_user_sgpr_queue_ptr 0
		.amdhsa_user_sgpr_kernarg_segment_ptr 1
		.amdhsa_user_sgpr_dispatch_id 0
		.amdhsa_user_sgpr_private_segment_size 0
		.amdhsa_wavefront_size32 1
		.amdhsa_uses_dynamic_stack 0
		.amdhsa_enable_private_segment 0
		.amdhsa_system_sgpr_workgroup_id_x 1
		.amdhsa_system_sgpr_workgroup_id_y 0
		.amdhsa_system_sgpr_workgroup_id_z 0
		.amdhsa_system_sgpr_workgroup_info 0
		.amdhsa_system_vgpr_workitem_id 0
		.amdhsa_next_free_vgpr 1
		.amdhsa_next_free_sgpr 1
		.amdhsa_reserve_vcc 0
		.amdhsa_float_round_mode_32 0
		.amdhsa_float_round_mode_16_64 0
		.amdhsa_float_denorm_mode_32 3
		.amdhsa_float_denorm_mode_16_64 3
		.amdhsa_dx10_clamp 1
		.amdhsa_ieee_mode 1
		.amdhsa_fp16_overflow 0
		.amdhsa_workgroup_processor_mode 1
		.amdhsa_memory_ordered 1
		.amdhsa_forward_progress 0
		.amdhsa_shared_vgpr_count 0
		.amdhsa_exception_fp_ieee_invalid_op 0
		.amdhsa_exception_fp_denorm_src 0
		.amdhsa_exception_fp_ieee_div_zero 0
		.amdhsa_exception_fp_ieee_overflow 0
		.amdhsa_exception_fp_ieee_underflow 0
		.amdhsa_exception_fp_ieee_inexact 0
		.amdhsa_exception_int_div_zero 0
	.end_amdhsa_kernel
	.section	.text._ZN7rocprim17ROCPRIM_400000_NS6detail17trampoline_kernelINS0_14default_configENS1_29reduce_by_key_config_selectorIsjN6thrust23THRUST_200600_302600_NS4plusIjEEEEZZNS1_33reduce_by_key_impl_wrapped_configILNS1_25lookback_scan_determinismE0ES3_S9_NS6_6detail15normal_iteratorINS6_10device_ptrIsEEEENSD_INSE_IjEEEESG_SI_PmS8_NS6_8equal_toIsEEEE10hipError_tPvRmT2_T3_mT4_T5_T6_T7_T8_P12ihipStream_tbENKUlT_T0_E_clISt17integral_constantIbLb1EES12_IbLb0EEEEDaSY_SZ_EUlSY_E_NS1_11comp_targetILNS1_3genE0ELNS1_11target_archE4294967295ELNS1_3gpuE0ELNS1_3repE0EEENS1_30default_config_static_selectorELNS0_4arch9wavefront6targetE0EEEvT1_,"axG",@progbits,_ZN7rocprim17ROCPRIM_400000_NS6detail17trampoline_kernelINS0_14default_configENS1_29reduce_by_key_config_selectorIsjN6thrust23THRUST_200600_302600_NS4plusIjEEEEZZNS1_33reduce_by_key_impl_wrapped_configILNS1_25lookback_scan_determinismE0ES3_S9_NS6_6detail15normal_iteratorINS6_10device_ptrIsEEEENSD_INSE_IjEEEESG_SI_PmS8_NS6_8equal_toIsEEEE10hipError_tPvRmT2_T3_mT4_T5_T6_T7_T8_P12ihipStream_tbENKUlT_T0_E_clISt17integral_constantIbLb1EES12_IbLb0EEEEDaSY_SZ_EUlSY_E_NS1_11comp_targetILNS1_3genE0ELNS1_11target_archE4294967295ELNS1_3gpuE0ELNS1_3repE0EEENS1_30default_config_static_selectorELNS0_4arch9wavefront6targetE0EEEvT1_,comdat
.Lfunc_end859:
	.size	_ZN7rocprim17ROCPRIM_400000_NS6detail17trampoline_kernelINS0_14default_configENS1_29reduce_by_key_config_selectorIsjN6thrust23THRUST_200600_302600_NS4plusIjEEEEZZNS1_33reduce_by_key_impl_wrapped_configILNS1_25lookback_scan_determinismE0ES3_S9_NS6_6detail15normal_iteratorINS6_10device_ptrIsEEEENSD_INSE_IjEEEESG_SI_PmS8_NS6_8equal_toIsEEEE10hipError_tPvRmT2_T3_mT4_T5_T6_T7_T8_P12ihipStream_tbENKUlT_T0_E_clISt17integral_constantIbLb1EES12_IbLb0EEEEDaSY_SZ_EUlSY_E_NS1_11comp_targetILNS1_3genE0ELNS1_11target_archE4294967295ELNS1_3gpuE0ELNS1_3repE0EEENS1_30default_config_static_selectorELNS0_4arch9wavefront6targetE0EEEvT1_, .Lfunc_end859-_ZN7rocprim17ROCPRIM_400000_NS6detail17trampoline_kernelINS0_14default_configENS1_29reduce_by_key_config_selectorIsjN6thrust23THRUST_200600_302600_NS4plusIjEEEEZZNS1_33reduce_by_key_impl_wrapped_configILNS1_25lookback_scan_determinismE0ES3_S9_NS6_6detail15normal_iteratorINS6_10device_ptrIsEEEENSD_INSE_IjEEEESG_SI_PmS8_NS6_8equal_toIsEEEE10hipError_tPvRmT2_T3_mT4_T5_T6_T7_T8_P12ihipStream_tbENKUlT_T0_E_clISt17integral_constantIbLb1EES12_IbLb0EEEEDaSY_SZ_EUlSY_E_NS1_11comp_targetILNS1_3genE0ELNS1_11target_archE4294967295ELNS1_3gpuE0ELNS1_3repE0EEENS1_30default_config_static_selectorELNS0_4arch9wavefront6targetE0EEEvT1_
                                        ; -- End function
	.section	.AMDGPU.csdata,"",@progbits
; Kernel info:
; codeLenInByte = 0
; NumSgprs: 0
; NumVgprs: 0
; ScratchSize: 0
; MemoryBound: 0
; FloatMode: 240
; IeeeMode: 1
; LDSByteSize: 0 bytes/workgroup (compile time only)
; SGPRBlocks: 0
; VGPRBlocks: 0
; NumSGPRsForWavesPerEU: 1
; NumVGPRsForWavesPerEU: 1
; Occupancy: 16
; WaveLimiterHint : 0
; COMPUTE_PGM_RSRC2:SCRATCH_EN: 0
; COMPUTE_PGM_RSRC2:USER_SGPR: 15
; COMPUTE_PGM_RSRC2:TRAP_HANDLER: 0
; COMPUTE_PGM_RSRC2:TGID_X_EN: 1
; COMPUTE_PGM_RSRC2:TGID_Y_EN: 0
; COMPUTE_PGM_RSRC2:TGID_Z_EN: 0
; COMPUTE_PGM_RSRC2:TIDIG_COMP_CNT: 0
	.section	.text._ZN7rocprim17ROCPRIM_400000_NS6detail17trampoline_kernelINS0_14default_configENS1_29reduce_by_key_config_selectorIsjN6thrust23THRUST_200600_302600_NS4plusIjEEEEZZNS1_33reduce_by_key_impl_wrapped_configILNS1_25lookback_scan_determinismE0ES3_S9_NS6_6detail15normal_iteratorINS6_10device_ptrIsEEEENSD_INSE_IjEEEESG_SI_PmS8_NS6_8equal_toIsEEEE10hipError_tPvRmT2_T3_mT4_T5_T6_T7_T8_P12ihipStream_tbENKUlT_T0_E_clISt17integral_constantIbLb1EES12_IbLb0EEEEDaSY_SZ_EUlSY_E_NS1_11comp_targetILNS1_3genE5ELNS1_11target_archE942ELNS1_3gpuE9ELNS1_3repE0EEENS1_30default_config_static_selectorELNS0_4arch9wavefront6targetE0EEEvT1_,"axG",@progbits,_ZN7rocprim17ROCPRIM_400000_NS6detail17trampoline_kernelINS0_14default_configENS1_29reduce_by_key_config_selectorIsjN6thrust23THRUST_200600_302600_NS4plusIjEEEEZZNS1_33reduce_by_key_impl_wrapped_configILNS1_25lookback_scan_determinismE0ES3_S9_NS6_6detail15normal_iteratorINS6_10device_ptrIsEEEENSD_INSE_IjEEEESG_SI_PmS8_NS6_8equal_toIsEEEE10hipError_tPvRmT2_T3_mT4_T5_T6_T7_T8_P12ihipStream_tbENKUlT_T0_E_clISt17integral_constantIbLb1EES12_IbLb0EEEEDaSY_SZ_EUlSY_E_NS1_11comp_targetILNS1_3genE5ELNS1_11target_archE942ELNS1_3gpuE9ELNS1_3repE0EEENS1_30default_config_static_selectorELNS0_4arch9wavefront6targetE0EEEvT1_,comdat
	.protected	_ZN7rocprim17ROCPRIM_400000_NS6detail17trampoline_kernelINS0_14default_configENS1_29reduce_by_key_config_selectorIsjN6thrust23THRUST_200600_302600_NS4plusIjEEEEZZNS1_33reduce_by_key_impl_wrapped_configILNS1_25lookback_scan_determinismE0ES3_S9_NS6_6detail15normal_iteratorINS6_10device_ptrIsEEEENSD_INSE_IjEEEESG_SI_PmS8_NS6_8equal_toIsEEEE10hipError_tPvRmT2_T3_mT4_T5_T6_T7_T8_P12ihipStream_tbENKUlT_T0_E_clISt17integral_constantIbLb1EES12_IbLb0EEEEDaSY_SZ_EUlSY_E_NS1_11comp_targetILNS1_3genE5ELNS1_11target_archE942ELNS1_3gpuE9ELNS1_3repE0EEENS1_30default_config_static_selectorELNS0_4arch9wavefront6targetE0EEEvT1_ ; -- Begin function _ZN7rocprim17ROCPRIM_400000_NS6detail17trampoline_kernelINS0_14default_configENS1_29reduce_by_key_config_selectorIsjN6thrust23THRUST_200600_302600_NS4plusIjEEEEZZNS1_33reduce_by_key_impl_wrapped_configILNS1_25lookback_scan_determinismE0ES3_S9_NS6_6detail15normal_iteratorINS6_10device_ptrIsEEEENSD_INSE_IjEEEESG_SI_PmS8_NS6_8equal_toIsEEEE10hipError_tPvRmT2_T3_mT4_T5_T6_T7_T8_P12ihipStream_tbENKUlT_T0_E_clISt17integral_constantIbLb1EES12_IbLb0EEEEDaSY_SZ_EUlSY_E_NS1_11comp_targetILNS1_3genE5ELNS1_11target_archE942ELNS1_3gpuE9ELNS1_3repE0EEENS1_30default_config_static_selectorELNS0_4arch9wavefront6targetE0EEEvT1_
	.globl	_ZN7rocprim17ROCPRIM_400000_NS6detail17trampoline_kernelINS0_14default_configENS1_29reduce_by_key_config_selectorIsjN6thrust23THRUST_200600_302600_NS4plusIjEEEEZZNS1_33reduce_by_key_impl_wrapped_configILNS1_25lookback_scan_determinismE0ES3_S9_NS6_6detail15normal_iteratorINS6_10device_ptrIsEEEENSD_INSE_IjEEEESG_SI_PmS8_NS6_8equal_toIsEEEE10hipError_tPvRmT2_T3_mT4_T5_T6_T7_T8_P12ihipStream_tbENKUlT_T0_E_clISt17integral_constantIbLb1EES12_IbLb0EEEEDaSY_SZ_EUlSY_E_NS1_11comp_targetILNS1_3genE5ELNS1_11target_archE942ELNS1_3gpuE9ELNS1_3repE0EEENS1_30default_config_static_selectorELNS0_4arch9wavefront6targetE0EEEvT1_
	.p2align	8
	.type	_ZN7rocprim17ROCPRIM_400000_NS6detail17trampoline_kernelINS0_14default_configENS1_29reduce_by_key_config_selectorIsjN6thrust23THRUST_200600_302600_NS4plusIjEEEEZZNS1_33reduce_by_key_impl_wrapped_configILNS1_25lookback_scan_determinismE0ES3_S9_NS6_6detail15normal_iteratorINS6_10device_ptrIsEEEENSD_INSE_IjEEEESG_SI_PmS8_NS6_8equal_toIsEEEE10hipError_tPvRmT2_T3_mT4_T5_T6_T7_T8_P12ihipStream_tbENKUlT_T0_E_clISt17integral_constantIbLb1EES12_IbLb0EEEEDaSY_SZ_EUlSY_E_NS1_11comp_targetILNS1_3genE5ELNS1_11target_archE942ELNS1_3gpuE9ELNS1_3repE0EEENS1_30default_config_static_selectorELNS0_4arch9wavefront6targetE0EEEvT1_,@function
_ZN7rocprim17ROCPRIM_400000_NS6detail17trampoline_kernelINS0_14default_configENS1_29reduce_by_key_config_selectorIsjN6thrust23THRUST_200600_302600_NS4plusIjEEEEZZNS1_33reduce_by_key_impl_wrapped_configILNS1_25lookback_scan_determinismE0ES3_S9_NS6_6detail15normal_iteratorINS6_10device_ptrIsEEEENSD_INSE_IjEEEESG_SI_PmS8_NS6_8equal_toIsEEEE10hipError_tPvRmT2_T3_mT4_T5_T6_T7_T8_P12ihipStream_tbENKUlT_T0_E_clISt17integral_constantIbLb1EES12_IbLb0EEEEDaSY_SZ_EUlSY_E_NS1_11comp_targetILNS1_3genE5ELNS1_11target_archE942ELNS1_3gpuE9ELNS1_3repE0EEENS1_30default_config_static_selectorELNS0_4arch9wavefront6targetE0EEEvT1_: ; @_ZN7rocprim17ROCPRIM_400000_NS6detail17trampoline_kernelINS0_14default_configENS1_29reduce_by_key_config_selectorIsjN6thrust23THRUST_200600_302600_NS4plusIjEEEEZZNS1_33reduce_by_key_impl_wrapped_configILNS1_25lookback_scan_determinismE0ES3_S9_NS6_6detail15normal_iteratorINS6_10device_ptrIsEEEENSD_INSE_IjEEEESG_SI_PmS8_NS6_8equal_toIsEEEE10hipError_tPvRmT2_T3_mT4_T5_T6_T7_T8_P12ihipStream_tbENKUlT_T0_E_clISt17integral_constantIbLb1EES12_IbLb0EEEEDaSY_SZ_EUlSY_E_NS1_11comp_targetILNS1_3genE5ELNS1_11target_archE942ELNS1_3gpuE9ELNS1_3repE0EEENS1_30default_config_static_selectorELNS0_4arch9wavefront6targetE0EEEvT1_
; %bb.0:
	.section	.rodata,"a",@progbits
	.p2align	6, 0x0
	.amdhsa_kernel _ZN7rocprim17ROCPRIM_400000_NS6detail17trampoline_kernelINS0_14default_configENS1_29reduce_by_key_config_selectorIsjN6thrust23THRUST_200600_302600_NS4plusIjEEEEZZNS1_33reduce_by_key_impl_wrapped_configILNS1_25lookback_scan_determinismE0ES3_S9_NS6_6detail15normal_iteratorINS6_10device_ptrIsEEEENSD_INSE_IjEEEESG_SI_PmS8_NS6_8equal_toIsEEEE10hipError_tPvRmT2_T3_mT4_T5_T6_T7_T8_P12ihipStream_tbENKUlT_T0_E_clISt17integral_constantIbLb1EES12_IbLb0EEEEDaSY_SZ_EUlSY_E_NS1_11comp_targetILNS1_3genE5ELNS1_11target_archE942ELNS1_3gpuE9ELNS1_3repE0EEENS1_30default_config_static_selectorELNS0_4arch9wavefront6targetE0EEEvT1_
		.amdhsa_group_segment_fixed_size 0
		.amdhsa_private_segment_fixed_size 0
		.amdhsa_kernarg_size 120
		.amdhsa_user_sgpr_count 15
		.amdhsa_user_sgpr_dispatch_ptr 0
		.amdhsa_user_sgpr_queue_ptr 0
		.amdhsa_user_sgpr_kernarg_segment_ptr 1
		.amdhsa_user_sgpr_dispatch_id 0
		.amdhsa_user_sgpr_private_segment_size 0
		.amdhsa_wavefront_size32 1
		.amdhsa_uses_dynamic_stack 0
		.amdhsa_enable_private_segment 0
		.amdhsa_system_sgpr_workgroup_id_x 1
		.amdhsa_system_sgpr_workgroup_id_y 0
		.amdhsa_system_sgpr_workgroup_id_z 0
		.amdhsa_system_sgpr_workgroup_info 0
		.amdhsa_system_vgpr_workitem_id 0
		.amdhsa_next_free_vgpr 1
		.amdhsa_next_free_sgpr 1
		.amdhsa_reserve_vcc 0
		.amdhsa_float_round_mode_32 0
		.amdhsa_float_round_mode_16_64 0
		.amdhsa_float_denorm_mode_32 3
		.amdhsa_float_denorm_mode_16_64 3
		.amdhsa_dx10_clamp 1
		.amdhsa_ieee_mode 1
		.amdhsa_fp16_overflow 0
		.amdhsa_workgroup_processor_mode 1
		.amdhsa_memory_ordered 1
		.amdhsa_forward_progress 0
		.amdhsa_shared_vgpr_count 0
		.amdhsa_exception_fp_ieee_invalid_op 0
		.amdhsa_exception_fp_denorm_src 0
		.amdhsa_exception_fp_ieee_div_zero 0
		.amdhsa_exception_fp_ieee_overflow 0
		.amdhsa_exception_fp_ieee_underflow 0
		.amdhsa_exception_fp_ieee_inexact 0
		.amdhsa_exception_int_div_zero 0
	.end_amdhsa_kernel
	.section	.text._ZN7rocprim17ROCPRIM_400000_NS6detail17trampoline_kernelINS0_14default_configENS1_29reduce_by_key_config_selectorIsjN6thrust23THRUST_200600_302600_NS4plusIjEEEEZZNS1_33reduce_by_key_impl_wrapped_configILNS1_25lookback_scan_determinismE0ES3_S9_NS6_6detail15normal_iteratorINS6_10device_ptrIsEEEENSD_INSE_IjEEEESG_SI_PmS8_NS6_8equal_toIsEEEE10hipError_tPvRmT2_T3_mT4_T5_T6_T7_T8_P12ihipStream_tbENKUlT_T0_E_clISt17integral_constantIbLb1EES12_IbLb0EEEEDaSY_SZ_EUlSY_E_NS1_11comp_targetILNS1_3genE5ELNS1_11target_archE942ELNS1_3gpuE9ELNS1_3repE0EEENS1_30default_config_static_selectorELNS0_4arch9wavefront6targetE0EEEvT1_,"axG",@progbits,_ZN7rocprim17ROCPRIM_400000_NS6detail17trampoline_kernelINS0_14default_configENS1_29reduce_by_key_config_selectorIsjN6thrust23THRUST_200600_302600_NS4plusIjEEEEZZNS1_33reduce_by_key_impl_wrapped_configILNS1_25lookback_scan_determinismE0ES3_S9_NS6_6detail15normal_iteratorINS6_10device_ptrIsEEEENSD_INSE_IjEEEESG_SI_PmS8_NS6_8equal_toIsEEEE10hipError_tPvRmT2_T3_mT4_T5_T6_T7_T8_P12ihipStream_tbENKUlT_T0_E_clISt17integral_constantIbLb1EES12_IbLb0EEEEDaSY_SZ_EUlSY_E_NS1_11comp_targetILNS1_3genE5ELNS1_11target_archE942ELNS1_3gpuE9ELNS1_3repE0EEENS1_30default_config_static_selectorELNS0_4arch9wavefront6targetE0EEEvT1_,comdat
.Lfunc_end860:
	.size	_ZN7rocprim17ROCPRIM_400000_NS6detail17trampoline_kernelINS0_14default_configENS1_29reduce_by_key_config_selectorIsjN6thrust23THRUST_200600_302600_NS4plusIjEEEEZZNS1_33reduce_by_key_impl_wrapped_configILNS1_25lookback_scan_determinismE0ES3_S9_NS6_6detail15normal_iteratorINS6_10device_ptrIsEEEENSD_INSE_IjEEEESG_SI_PmS8_NS6_8equal_toIsEEEE10hipError_tPvRmT2_T3_mT4_T5_T6_T7_T8_P12ihipStream_tbENKUlT_T0_E_clISt17integral_constantIbLb1EES12_IbLb0EEEEDaSY_SZ_EUlSY_E_NS1_11comp_targetILNS1_3genE5ELNS1_11target_archE942ELNS1_3gpuE9ELNS1_3repE0EEENS1_30default_config_static_selectorELNS0_4arch9wavefront6targetE0EEEvT1_, .Lfunc_end860-_ZN7rocprim17ROCPRIM_400000_NS6detail17trampoline_kernelINS0_14default_configENS1_29reduce_by_key_config_selectorIsjN6thrust23THRUST_200600_302600_NS4plusIjEEEEZZNS1_33reduce_by_key_impl_wrapped_configILNS1_25lookback_scan_determinismE0ES3_S9_NS6_6detail15normal_iteratorINS6_10device_ptrIsEEEENSD_INSE_IjEEEESG_SI_PmS8_NS6_8equal_toIsEEEE10hipError_tPvRmT2_T3_mT4_T5_T6_T7_T8_P12ihipStream_tbENKUlT_T0_E_clISt17integral_constantIbLb1EES12_IbLb0EEEEDaSY_SZ_EUlSY_E_NS1_11comp_targetILNS1_3genE5ELNS1_11target_archE942ELNS1_3gpuE9ELNS1_3repE0EEENS1_30default_config_static_selectorELNS0_4arch9wavefront6targetE0EEEvT1_
                                        ; -- End function
	.section	.AMDGPU.csdata,"",@progbits
; Kernel info:
; codeLenInByte = 0
; NumSgprs: 0
; NumVgprs: 0
; ScratchSize: 0
; MemoryBound: 0
; FloatMode: 240
; IeeeMode: 1
; LDSByteSize: 0 bytes/workgroup (compile time only)
; SGPRBlocks: 0
; VGPRBlocks: 0
; NumSGPRsForWavesPerEU: 1
; NumVGPRsForWavesPerEU: 1
; Occupancy: 16
; WaveLimiterHint : 0
; COMPUTE_PGM_RSRC2:SCRATCH_EN: 0
; COMPUTE_PGM_RSRC2:USER_SGPR: 15
; COMPUTE_PGM_RSRC2:TRAP_HANDLER: 0
; COMPUTE_PGM_RSRC2:TGID_X_EN: 1
; COMPUTE_PGM_RSRC2:TGID_Y_EN: 0
; COMPUTE_PGM_RSRC2:TGID_Z_EN: 0
; COMPUTE_PGM_RSRC2:TIDIG_COMP_CNT: 0
	.section	.text._ZN7rocprim17ROCPRIM_400000_NS6detail17trampoline_kernelINS0_14default_configENS1_29reduce_by_key_config_selectorIsjN6thrust23THRUST_200600_302600_NS4plusIjEEEEZZNS1_33reduce_by_key_impl_wrapped_configILNS1_25lookback_scan_determinismE0ES3_S9_NS6_6detail15normal_iteratorINS6_10device_ptrIsEEEENSD_INSE_IjEEEESG_SI_PmS8_NS6_8equal_toIsEEEE10hipError_tPvRmT2_T3_mT4_T5_T6_T7_T8_P12ihipStream_tbENKUlT_T0_E_clISt17integral_constantIbLb1EES12_IbLb0EEEEDaSY_SZ_EUlSY_E_NS1_11comp_targetILNS1_3genE4ELNS1_11target_archE910ELNS1_3gpuE8ELNS1_3repE0EEENS1_30default_config_static_selectorELNS0_4arch9wavefront6targetE0EEEvT1_,"axG",@progbits,_ZN7rocprim17ROCPRIM_400000_NS6detail17trampoline_kernelINS0_14default_configENS1_29reduce_by_key_config_selectorIsjN6thrust23THRUST_200600_302600_NS4plusIjEEEEZZNS1_33reduce_by_key_impl_wrapped_configILNS1_25lookback_scan_determinismE0ES3_S9_NS6_6detail15normal_iteratorINS6_10device_ptrIsEEEENSD_INSE_IjEEEESG_SI_PmS8_NS6_8equal_toIsEEEE10hipError_tPvRmT2_T3_mT4_T5_T6_T7_T8_P12ihipStream_tbENKUlT_T0_E_clISt17integral_constantIbLb1EES12_IbLb0EEEEDaSY_SZ_EUlSY_E_NS1_11comp_targetILNS1_3genE4ELNS1_11target_archE910ELNS1_3gpuE8ELNS1_3repE0EEENS1_30default_config_static_selectorELNS0_4arch9wavefront6targetE0EEEvT1_,comdat
	.protected	_ZN7rocprim17ROCPRIM_400000_NS6detail17trampoline_kernelINS0_14default_configENS1_29reduce_by_key_config_selectorIsjN6thrust23THRUST_200600_302600_NS4plusIjEEEEZZNS1_33reduce_by_key_impl_wrapped_configILNS1_25lookback_scan_determinismE0ES3_S9_NS6_6detail15normal_iteratorINS6_10device_ptrIsEEEENSD_INSE_IjEEEESG_SI_PmS8_NS6_8equal_toIsEEEE10hipError_tPvRmT2_T3_mT4_T5_T6_T7_T8_P12ihipStream_tbENKUlT_T0_E_clISt17integral_constantIbLb1EES12_IbLb0EEEEDaSY_SZ_EUlSY_E_NS1_11comp_targetILNS1_3genE4ELNS1_11target_archE910ELNS1_3gpuE8ELNS1_3repE0EEENS1_30default_config_static_selectorELNS0_4arch9wavefront6targetE0EEEvT1_ ; -- Begin function _ZN7rocprim17ROCPRIM_400000_NS6detail17trampoline_kernelINS0_14default_configENS1_29reduce_by_key_config_selectorIsjN6thrust23THRUST_200600_302600_NS4plusIjEEEEZZNS1_33reduce_by_key_impl_wrapped_configILNS1_25lookback_scan_determinismE0ES3_S9_NS6_6detail15normal_iteratorINS6_10device_ptrIsEEEENSD_INSE_IjEEEESG_SI_PmS8_NS6_8equal_toIsEEEE10hipError_tPvRmT2_T3_mT4_T5_T6_T7_T8_P12ihipStream_tbENKUlT_T0_E_clISt17integral_constantIbLb1EES12_IbLb0EEEEDaSY_SZ_EUlSY_E_NS1_11comp_targetILNS1_3genE4ELNS1_11target_archE910ELNS1_3gpuE8ELNS1_3repE0EEENS1_30default_config_static_selectorELNS0_4arch9wavefront6targetE0EEEvT1_
	.globl	_ZN7rocprim17ROCPRIM_400000_NS6detail17trampoline_kernelINS0_14default_configENS1_29reduce_by_key_config_selectorIsjN6thrust23THRUST_200600_302600_NS4plusIjEEEEZZNS1_33reduce_by_key_impl_wrapped_configILNS1_25lookback_scan_determinismE0ES3_S9_NS6_6detail15normal_iteratorINS6_10device_ptrIsEEEENSD_INSE_IjEEEESG_SI_PmS8_NS6_8equal_toIsEEEE10hipError_tPvRmT2_T3_mT4_T5_T6_T7_T8_P12ihipStream_tbENKUlT_T0_E_clISt17integral_constantIbLb1EES12_IbLb0EEEEDaSY_SZ_EUlSY_E_NS1_11comp_targetILNS1_3genE4ELNS1_11target_archE910ELNS1_3gpuE8ELNS1_3repE0EEENS1_30default_config_static_selectorELNS0_4arch9wavefront6targetE0EEEvT1_
	.p2align	8
	.type	_ZN7rocprim17ROCPRIM_400000_NS6detail17trampoline_kernelINS0_14default_configENS1_29reduce_by_key_config_selectorIsjN6thrust23THRUST_200600_302600_NS4plusIjEEEEZZNS1_33reduce_by_key_impl_wrapped_configILNS1_25lookback_scan_determinismE0ES3_S9_NS6_6detail15normal_iteratorINS6_10device_ptrIsEEEENSD_INSE_IjEEEESG_SI_PmS8_NS6_8equal_toIsEEEE10hipError_tPvRmT2_T3_mT4_T5_T6_T7_T8_P12ihipStream_tbENKUlT_T0_E_clISt17integral_constantIbLb1EES12_IbLb0EEEEDaSY_SZ_EUlSY_E_NS1_11comp_targetILNS1_3genE4ELNS1_11target_archE910ELNS1_3gpuE8ELNS1_3repE0EEENS1_30default_config_static_selectorELNS0_4arch9wavefront6targetE0EEEvT1_,@function
_ZN7rocprim17ROCPRIM_400000_NS6detail17trampoline_kernelINS0_14default_configENS1_29reduce_by_key_config_selectorIsjN6thrust23THRUST_200600_302600_NS4plusIjEEEEZZNS1_33reduce_by_key_impl_wrapped_configILNS1_25lookback_scan_determinismE0ES3_S9_NS6_6detail15normal_iteratorINS6_10device_ptrIsEEEENSD_INSE_IjEEEESG_SI_PmS8_NS6_8equal_toIsEEEE10hipError_tPvRmT2_T3_mT4_T5_T6_T7_T8_P12ihipStream_tbENKUlT_T0_E_clISt17integral_constantIbLb1EES12_IbLb0EEEEDaSY_SZ_EUlSY_E_NS1_11comp_targetILNS1_3genE4ELNS1_11target_archE910ELNS1_3gpuE8ELNS1_3repE0EEENS1_30default_config_static_selectorELNS0_4arch9wavefront6targetE0EEEvT1_: ; @_ZN7rocprim17ROCPRIM_400000_NS6detail17trampoline_kernelINS0_14default_configENS1_29reduce_by_key_config_selectorIsjN6thrust23THRUST_200600_302600_NS4plusIjEEEEZZNS1_33reduce_by_key_impl_wrapped_configILNS1_25lookback_scan_determinismE0ES3_S9_NS6_6detail15normal_iteratorINS6_10device_ptrIsEEEENSD_INSE_IjEEEESG_SI_PmS8_NS6_8equal_toIsEEEE10hipError_tPvRmT2_T3_mT4_T5_T6_T7_T8_P12ihipStream_tbENKUlT_T0_E_clISt17integral_constantIbLb1EES12_IbLb0EEEEDaSY_SZ_EUlSY_E_NS1_11comp_targetILNS1_3genE4ELNS1_11target_archE910ELNS1_3gpuE8ELNS1_3repE0EEENS1_30default_config_static_selectorELNS0_4arch9wavefront6targetE0EEEvT1_
; %bb.0:
	.section	.rodata,"a",@progbits
	.p2align	6, 0x0
	.amdhsa_kernel _ZN7rocprim17ROCPRIM_400000_NS6detail17trampoline_kernelINS0_14default_configENS1_29reduce_by_key_config_selectorIsjN6thrust23THRUST_200600_302600_NS4plusIjEEEEZZNS1_33reduce_by_key_impl_wrapped_configILNS1_25lookback_scan_determinismE0ES3_S9_NS6_6detail15normal_iteratorINS6_10device_ptrIsEEEENSD_INSE_IjEEEESG_SI_PmS8_NS6_8equal_toIsEEEE10hipError_tPvRmT2_T3_mT4_T5_T6_T7_T8_P12ihipStream_tbENKUlT_T0_E_clISt17integral_constantIbLb1EES12_IbLb0EEEEDaSY_SZ_EUlSY_E_NS1_11comp_targetILNS1_3genE4ELNS1_11target_archE910ELNS1_3gpuE8ELNS1_3repE0EEENS1_30default_config_static_selectorELNS0_4arch9wavefront6targetE0EEEvT1_
		.amdhsa_group_segment_fixed_size 0
		.amdhsa_private_segment_fixed_size 0
		.amdhsa_kernarg_size 120
		.amdhsa_user_sgpr_count 15
		.amdhsa_user_sgpr_dispatch_ptr 0
		.amdhsa_user_sgpr_queue_ptr 0
		.amdhsa_user_sgpr_kernarg_segment_ptr 1
		.amdhsa_user_sgpr_dispatch_id 0
		.amdhsa_user_sgpr_private_segment_size 0
		.amdhsa_wavefront_size32 1
		.amdhsa_uses_dynamic_stack 0
		.amdhsa_enable_private_segment 0
		.amdhsa_system_sgpr_workgroup_id_x 1
		.amdhsa_system_sgpr_workgroup_id_y 0
		.amdhsa_system_sgpr_workgroup_id_z 0
		.amdhsa_system_sgpr_workgroup_info 0
		.amdhsa_system_vgpr_workitem_id 0
		.amdhsa_next_free_vgpr 1
		.amdhsa_next_free_sgpr 1
		.amdhsa_reserve_vcc 0
		.amdhsa_float_round_mode_32 0
		.amdhsa_float_round_mode_16_64 0
		.amdhsa_float_denorm_mode_32 3
		.amdhsa_float_denorm_mode_16_64 3
		.amdhsa_dx10_clamp 1
		.amdhsa_ieee_mode 1
		.amdhsa_fp16_overflow 0
		.amdhsa_workgroup_processor_mode 1
		.amdhsa_memory_ordered 1
		.amdhsa_forward_progress 0
		.amdhsa_shared_vgpr_count 0
		.amdhsa_exception_fp_ieee_invalid_op 0
		.amdhsa_exception_fp_denorm_src 0
		.amdhsa_exception_fp_ieee_div_zero 0
		.amdhsa_exception_fp_ieee_overflow 0
		.amdhsa_exception_fp_ieee_underflow 0
		.amdhsa_exception_fp_ieee_inexact 0
		.amdhsa_exception_int_div_zero 0
	.end_amdhsa_kernel
	.section	.text._ZN7rocprim17ROCPRIM_400000_NS6detail17trampoline_kernelINS0_14default_configENS1_29reduce_by_key_config_selectorIsjN6thrust23THRUST_200600_302600_NS4plusIjEEEEZZNS1_33reduce_by_key_impl_wrapped_configILNS1_25lookback_scan_determinismE0ES3_S9_NS6_6detail15normal_iteratorINS6_10device_ptrIsEEEENSD_INSE_IjEEEESG_SI_PmS8_NS6_8equal_toIsEEEE10hipError_tPvRmT2_T3_mT4_T5_T6_T7_T8_P12ihipStream_tbENKUlT_T0_E_clISt17integral_constantIbLb1EES12_IbLb0EEEEDaSY_SZ_EUlSY_E_NS1_11comp_targetILNS1_3genE4ELNS1_11target_archE910ELNS1_3gpuE8ELNS1_3repE0EEENS1_30default_config_static_selectorELNS0_4arch9wavefront6targetE0EEEvT1_,"axG",@progbits,_ZN7rocprim17ROCPRIM_400000_NS6detail17trampoline_kernelINS0_14default_configENS1_29reduce_by_key_config_selectorIsjN6thrust23THRUST_200600_302600_NS4plusIjEEEEZZNS1_33reduce_by_key_impl_wrapped_configILNS1_25lookback_scan_determinismE0ES3_S9_NS6_6detail15normal_iteratorINS6_10device_ptrIsEEEENSD_INSE_IjEEEESG_SI_PmS8_NS6_8equal_toIsEEEE10hipError_tPvRmT2_T3_mT4_T5_T6_T7_T8_P12ihipStream_tbENKUlT_T0_E_clISt17integral_constantIbLb1EES12_IbLb0EEEEDaSY_SZ_EUlSY_E_NS1_11comp_targetILNS1_3genE4ELNS1_11target_archE910ELNS1_3gpuE8ELNS1_3repE0EEENS1_30default_config_static_selectorELNS0_4arch9wavefront6targetE0EEEvT1_,comdat
.Lfunc_end861:
	.size	_ZN7rocprim17ROCPRIM_400000_NS6detail17trampoline_kernelINS0_14default_configENS1_29reduce_by_key_config_selectorIsjN6thrust23THRUST_200600_302600_NS4plusIjEEEEZZNS1_33reduce_by_key_impl_wrapped_configILNS1_25lookback_scan_determinismE0ES3_S9_NS6_6detail15normal_iteratorINS6_10device_ptrIsEEEENSD_INSE_IjEEEESG_SI_PmS8_NS6_8equal_toIsEEEE10hipError_tPvRmT2_T3_mT4_T5_T6_T7_T8_P12ihipStream_tbENKUlT_T0_E_clISt17integral_constantIbLb1EES12_IbLb0EEEEDaSY_SZ_EUlSY_E_NS1_11comp_targetILNS1_3genE4ELNS1_11target_archE910ELNS1_3gpuE8ELNS1_3repE0EEENS1_30default_config_static_selectorELNS0_4arch9wavefront6targetE0EEEvT1_, .Lfunc_end861-_ZN7rocprim17ROCPRIM_400000_NS6detail17trampoline_kernelINS0_14default_configENS1_29reduce_by_key_config_selectorIsjN6thrust23THRUST_200600_302600_NS4plusIjEEEEZZNS1_33reduce_by_key_impl_wrapped_configILNS1_25lookback_scan_determinismE0ES3_S9_NS6_6detail15normal_iteratorINS6_10device_ptrIsEEEENSD_INSE_IjEEEESG_SI_PmS8_NS6_8equal_toIsEEEE10hipError_tPvRmT2_T3_mT4_T5_T6_T7_T8_P12ihipStream_tbENKUlT_T0_E_clISt17integral_constantIbLb1EES12_IbLb0EEEEDaSY_SZ_EUlSY_E_NS1_11comp_targetILNS1_3genE4ELNS1_11target_archE910ELNS1_3gpuE8ELNS1_3repE0EEENS1_30default_config_static_selectorELNS0_4arch9wavefront6targetE0EEEvT1_
                                        ; -- End function
	.section	.AMDGPU.csdata,"",@progbits
; Kernel info:
; codeLenInByte = 0
; NumSgprs: 0
; NumVgprs: 0
; ScratchSize: 0
; MemoryBound: 0
; FloatMode: 240
; IeeeMode: 1
; LDSByteSize: 0 bytes/workgroup (compile time only)
; SGPRBlocks: 0
; VGPRBlocks: 0
; NumSGPRsForWavesPerEU: 1
; NumVGPRsForWavesPerEU: 1
; Occupancy: 16
; WaveLimiterHint : 0
; COMPUTE_PGM_RSRC2:SCRATCH_EN: 0
; COMPUTE_PGM_RSRC2:USER_SGPR: 15
; COMPUTE_PGM_RSRC2:TRAP_HANDLER: 0
; COMPUTE_PGM_RSRC2:TGID_X_EN: 1
; COMPUTE_PGM_RSRC2:TGID_Y_EN: 0
; COMPUTE_PGM_RSRC2:TGID_Z_EN: 0
; COMPUTE_PGM_RSRC2:TIDIG_COMP_CNT: 0
	.section	.text._ZN7rocprim17ROCPRIM_400000_NS6detail17trampoline_kernelINS0_14default_configENS1_29reduce_by_key_config_selectorIsjN6thrust23THRUST_200600_302600_NS4plusIjEEEEZZNS1_33reduce_by_key_impl_wrapped_configILNS1_25lookback_scan_determinismE0ES3_S9_NS6_6detail15normal_iteratorINS6_10device_ptrIsEEEENSD_INSE_IjEEEESG_SI_PmS8_NS6_8equal_toIsEEEE10hipError_tPvRmT2_T3_mT4_T5_T6_T7_T8_P12ihipStream_tbENKUlT_T0_E_clISt17integral_constantIbLb1EES12_IbLb0EEEEDaSY_SZ_EUlSY_E_NS1_11comp_targetILNS1_3genE3ELNS1_11target_archE908ELNS1_3gpuE7ELNS1_3repE0EEENS1_30default_config_static_selectorELNS0_4arch9wavefront6targetE0EEEvT1_,"axG",@progbits,_ZN7rocprim17ROCPRIM_400000_NS6detail17trampoline_kernelINS0_14default_configENS1_29reduce_by_key_config_selectorIsjN6thrust23THRUST_200600_302600_NS4plusIjEEEEZZNS1_33reduce_by_key_impl_wrapped_configILNS1_25lookback_scan_determinismE0ES3_S9_NS6_6detail15normal_iteratorINS6_10device_ptrIsEEEENSD_INSE_IjEEEESG_SI_PmS8_NS6_8equal_toIsEEEE10hipError_tPvRmT2_T3_mT4_T5_T6_T7_T8_P12ihipStream_tbENKUlT_T0_E_clISt17integral_constantIbLb1EES12_IbLb0EEEEDaSY_SZ_EUlSY_E_NS1_11comp_targetILNS1_3genE3ELNS1_11target_archE908ELNS1_3gpuE7ELNS1_3repE0EEENS1_30default_config_static_selectorELNS0_4arch9wavefront6targetE0EEEvT1_,comdat
	.protected	_ZN7rocprim17ROCPRIM_400000_NS6detail17trampoline_kernelINS0_14default_configENS1_29reduce_by_key_config_selectorIsjN6thrust23THRUST_200600_302600_NS4plusIjEEEEZZNS1_33reduce_by_key_impl_wrapped_configILNS1_25lookback_scan_determinismE0ES3_S9_NS6_6detail15normal_iteratorINS6_10device_ptrIsEEEENSD_INSE_IjEEEESG_SI_PmS8_NS6_8equal_toIsEEEE10hipError_tPvRmT2_T3_mT4_T5_T6_T7_T8_P12ihipStream_tbENKUlT_T0_E_clISt17integral_constantIbLb1EES12_IbLb0EEEEDaSY_SZ_EUlSY_E_NS1_11comp_targetILNS1_3genE3ELNS1_11target_archE908ELNS1_3gpuE7ELNS1_3repE0EEENS1_30default_config_static_selectorELNS0_4arch9wavefront6targetE0EEEvT1_ ; -- Begin function _ZN7rocprim17ROCPRIM_400000_NS6detail17trampoline_kernelINS0_14default_configENS1_29reduce_by_key_config_selectorIsjN6thrust23THRUST_200600_302600_NS4plusIjEEEEZZNS1_33reduce_by_key_impl_wrapped_configILNS1_25lookback_scan_determinismE0ES3_S9_NS6_6detail15normal_iteratorINS6_10device_ptrIsEEEENSD_INSE_IjEEEESG_SI_PmS8_NS6_8equal_toIsEEEE10hipError_tPvRmT2_T3_mT4_T5_T6_T7_T8_P12ihipStream_tbENKUlT_T0_E_clISt17integral_constantIbLb1EES12_IbLb0EEEEDaSY_SZ_EUlSY_E_NS1_11comp_targetILNS1_3genE3ELNS1_11target_archE908ELNS1_3gpuE7ELNS1_3repE0EEENS1_30default_config_static_selectorELNS0_4arch9wavefront6targetE0EEEvT1_
	.globl	_ZN7rocprim17ROCPRIM_400000_NS6detail17trampoline_kernelINS0_14default_configENS1_29reduce_by_key_config_selectorIsjN6thrust23THRUST_200600_302600_NS4plusIjEEEEZZNS1_33reduce_by_key_impl_wrapped_configILNS1_25lookback_scan_determinismE0ES3_S9_NS6_6detail15normal_iteratorINS6_10device_ptrIsEEEENSD_INSE_IjEEEESG_SI_PmS8_NS6_8equal_toIsEEEE10hipError_tPvRmT2_T3_mT4_T5_T6_T7_T8_P12ihipStream_tbENKUlT_T0_E_clISt17integral_constantIbLb1EES12_IbLb0EEEEDaSY_SZ_EUlSY_E_NS1_11comp_targetILNS1_3genE3ELNS1_11target_archE908ELNS1_3gpuE7ELNS1_3repE0EEENS1_30default_config_static_selectorELNS0_4arch9wavefront6targetE0EEEvT1_
	.p2align	8
	.type	_ZN7rocprim17ROCPRIM_400000_NS6detail17trampoline_kernelINS0_14default_configENS1_29reduce_by_key_config_selectorIsjN6thrust23THRUST_200600_302600_NS4plusIjEEEEZZNS1_33reduce_by_key_impl_wrapped_configILNS1_25lookback_scan_determinismE0ES3_S9_NS6_6detail15normal_iteratorINS6_10device_ptrIsEEEENSD_INSE_IjEEEESG_SI_PmS8_NS6_8equal_toIsEEEE10hipError_tPvRmT2_T3_mT4_T5_T6_T7_T8_P12ihipStream_tbENKUlT_T0_E_clISt17integral_constantIbLb1EES12_IbLb0EEEEDaSY_SZ_EUlSY_E_NS1_11comp_targetILNS1_3genE3ELNS1_11target_archE908ELNS1_3gpuE7ELNS1_3repE0EEENS1_30default_config_static_selectorELNS0_4arch9wavefront6targetE0EEEvT1_,@function
_ZN7rocprim17ROCPRIM_400000_NS6detail17trampoline_kernelINS0_14default_configENS1_29reduce_by_key_config_selectorIsjN6thrust23THRUST_200600_302600_NS4plusIjEEEEZZNS1_33reduce_by_key_impl_wrapped_configILNS1_25lookback_scan_determinismE0ES3_S9_NS6_6detail15normal_iteratorINS6_10device_ptrIsEEEENSD_INSE_IjEEEESG_SI_PmS8_NS6_8equal_toIsEEEE10hipError_tPvRmT2_T3_mT4_T5_T6_T7_T8_P12ihipStream_tbENKUlT_T0_E_clISt17integral_constantIbLb1EES12_IbLb0EEEEDaSY_SZ_EUlSY_E_NS1_11comp_targetILNS1_3genE3ELNS1_11target_archE908ELNS1_3gpuE7ELNS1_3repE0EEENS1_30default_config_static_selectorELNS0_4arch9wavefront6targetE0EEEvT1_: ; @_ZN7rocprim17ROCPRIM_400000_NS6detail17trampoline_kernelINS0_14default_configENS1_29reduce_by_key_config_selectorIsjN6thrust23THRUST_200600_302600_NS4plusIjEEEEZZNS1_33reduce_by_key_impl_wrapped_configILNS1_25lookback_scan_determinismE0ES3_S9_NS6_6detail15normal_iteratorINS6_10device_ptrIsEEEENSD_INSE_IjEEEESG_SI_PmS8_NS6_8equal_toIsEEEE10hipError_tPvRmT2_T3_mT4_T5_T6_T7_T8_P12ihipStream_tbENKUlT_T0_E_clISt17integral_constantIbLb1EES12_IbLb0EEEEDaSY_SZ_EUlSY_E_NS1_11comp_targetILNS1_3genE3ELNS1_11target_archE908ELNS1_3gpuE7ELNS1_3repE0EEENS1_30default_config_static_selectorELNS0_4arch9wavefront6targetE0EEEvT1_
; %bb.0:
	.section	.rodata,"a",@progbits
	.p2align	6, 0x0
	.amdhsa_kernel _ZN7rocprim17ROCPRIM_400000_NS6detail17trampoline_kernelINS0_14default_configENS1_29reduce_by_key_config_selectorIsjN6thrust23THRUST_200600_302600_NS4plusIjEEEEZZNS1_33reduce_by_key_impl_wrapped_configILNS1_25lookback_scan_determinismE0ES3_S9_NS6_6detail15normal_iteratorINS6_10device_ptrIsEEEENSD_INSE_IjEEEESG_SI_PmS8_NS6_8equal_toIsEEEE10hipError_tPvRmT2_T3_mT4_T5_T6_T7_T8_P12ihipStream_tbENKUlT_T0_E_clISt17integral_constantIbLb1EES12_IbLb0EEEEDaSY_SZ_EUlSY_E_NS1_11comp_targetILNS1_3genE3ELNS1_11target_archE908ELNS1_3gpuE7ELNS1_3repE0EEENS1_30default_config_static_selectorELNS0_4arch9wavefront6targetE0EEEvT1_
		.amdhsa_group_segment_fixed_size 0
		.amdhsa_private_segment_fixed_size 0
		.amdhsa_kernarg_size 120
		.amdhsa_user_sgpr_count 15
		.amdhsa_user_sgpr_dispatch_ptr 0
		.amdhsa_user_sgpr_queue_ptr 0
		.amdhsa_user_sgpr_kernarg_segment_ptr 1
		.amdhsa_user_sgpr_dispatch_id 0
		.amdhsa_user_sgpr_private_segment_size 0
		.amdhsa_wavefront_size32 1
		.amdhsa_uses_dynamic_stack 0
		.amdhsa_enable_private_segment 0
		.amdhsa_system_sgpr_workgroup_id_x 1
		.amdhsa_system_sgpr_workgroup_id_y 0
		.amdhsa_system_sgpr_workgroup_id_z 0
		.amdhsa_system_sgpr_workgroup_info 0
		.amdhsa_system_vgpr_workitem_id 0
		.amdhsa_next_free_vgpr 1
		.amdhsa_next_free_sgpr 1
		.amdhsa_reserve_vcc 0
		.amdhsa_float_round_mode_32 0
		.amdhsa_float_round_mode_16_64 0
		.amdhsa_float_denorm_mode_32 3
		.amdhsa_float_denorm_mode_16_64 3
		.amdhsa_dx10_clamp 1
		.amdhsa_ieee_mode 1
		.amdhsa_fp16_overflow 0
		.amdhsa_workgroup_processor_mode 1
		.amdhsa_memory_ordered 1
		.amdhsa_forward_progress 0
		.amdhsa_shared_vgpr_count 0
		.amdhsa_exception_fp_ieee_invalid_op 0
		.amdhsa_exception_fp_denorm_src 0
		.amdhsa_exception_fp_ieee_div_zero 0
		.amdhsa_exception_fp_ieee_overflow 0
		.amdhsa_exception_fp_ieee_underflow 0
		.amdhsa_exception_fp_ieee_inexact 0
		.amdhsa_exception_int_div_zero 0
	.end_amdhsa_kernel
	.section	.text._ZN7rocprim17ROCPRIM_400000_NS6detail17trampoline_kernelINS0_14default_configENS1_29reduce_by_key_config_selectorIsjN6thrust23THRUST_200600_302600_NS4plusIjEEEEZZNS1_33reduce_by_key_impl_wrapped_configILNS1_25lookback_scan_determinismE0ES3_S9_NS6_6detail15normal_iteratorINS6_10device_ptrIsEEEENSD_INSE_IjEEEESG_SI_PmS8_NS6_8equal_toIsEEEE10hipError_tPvRmT2_T3_mT4_T5_T6_T7_T8_P12ihipStream_tbENKUlT_T0_E_clISt17integral_constantIbLb1EES12_IbLb0EEEEDaSY_SZ_EUlSY_E_NS1_11comp_targetILNS1_3genE3ELNS1_11target_archE908ELNS1_3gpuE7ELNS1_3repE0EEENS1_30default_config_static_selectorELNS0_4arch9wavefront6targetE0EEEvT1_,"axG",@progbits,_ZN7rocprim17ROCPRIM_400000_NS6detail17trampoline_kernelINS0_14default_configENS1_29reduce_by_key_config_selectorIsjN6thrust23THRUST_200600_302600_NS4plusIjEEEEZZNS1_33reduce_by_key_impl_wrapped_configILNS1_25lookback_scan_determinismE0ES3_S9_NS6_6detail15normal_iteratorINS6_10device_ptrIsEEEENSD_INSE_IjEEEESG_SI_PmS8_NS6_8equal_toIsEEEE10hipError_tPvRmT2_T3_mT4_T5_T6_T7_T8_P12ihipStream_tbENKUlT_T0_E_clISt17integral_constantIbLb1EES12_IbLb0EEEEDaSY_SZ_EUlSY_E_NS1_11comp_targetILNS1_3genE3ELNS1_11target_archE908ELNS1_3gpuE7ELNS1_3repE0EEENS1_30default_config_static_selectorELNS0_4arch9wavefront6targetE0EEEvT1_,comdat
.Lfunc_end862:
	.size	_ZN7rocprim17ROCPRIM_400000_NS6detail17trampoline_kernelINS0_14default_configENS1_29reduce_by_key_config_selectorIsjN6thrust23THRUST_200600_302600_NS4plusIjEEEEZZNS1_33reduce_by_key_impl_wrapped_configILNS1_25lookback_scan_determinismE0ES3_S9_NS6_6detail15normal_iteratorINS6_10device_ptrIsEEEENSD_INSE_IjEEEESG_SI_PmS8_NS6_8equal_toIsEEEE10hipError_tPvRmT2_T3_mT4_T5_T6_T7_T8_P12ihipStream_tbENKUlT_T0_E_clISt17integral_constantIbLb1EES12_IbLb0EEEEDaSY_SZ_EUlSY_E_NS1_11comp_targetILNS1_3genE3ELNS1_11target_archE908ELNS1_3gpuE7ELNS1_3repE0EEENS1_30default_config_static_selectorELNS0_4arch9wavefront6targetE0EEEvT1_, .Lfunc_end862-_ZN7rocprim17ROCPRIM_400000_NS6detail17trampoline_kernelINS0_14default_configENS1_29reduce_by_key_config_selectorIsjN6thrust23THRUST_200600_302600_NS4plusIjEEEEZZNS1_33reduce_by_key_impl_wrapped_configILNS1_25lookback_scan_determinismE0ES3_S9_NS6_6detail15normal_iteratorINS6_10device_ptrIsEEEENSD_INSE_IjEEEESG_SI_PmS8_NS6_8equal_toIsEEEE10hipError_tPvRmT2_T3_mT4_T5_T6_T7_T8_P12ihipStream_tbENKUlT_T0_E_clISt17integral_constantIbLb1EES12_IbLb0EEEEDaSY_SZ_EUlSY_E_NS1_11comp_targetILNS1_3genE3ELNS1_11target_archE908ELNS1_3gpuE7ELNS1_3repE0EEENS1_30default_config_static_selectorELNS0_4arch9wavefront6targetE0EEEvT1_
                                        ; -- End function
	.section	.AMDGPU.csdata,"",@progbits
; Kernel info:
; codeLenInByte = 0
; NumSgprs: 0
; NumVgprs: 0
; ScratchSize: 0
; MemoryBound: 0
; FloatMode: 240
; IeeeMode: 1
; LDSByteSize: 0 bytes/workgroup (compile time only)
; SGPRBlocks: 0
; VGPRBlocks: 0
; NumSGPRsForWavesPerEU: 1
; NumVGPRsForWavesPerEU: 1
; Occupancy: 16
; WaveLimiterHint : 0
; COMPUTE_PGM_RSRC2:SCRATCH_EN: 0
; COMPUTE_PGM_RSRC2:USER_SGPR: 15
; COMPUTE_PGM_RSRC2:TRAP_HANDLER: 0
; COMPUTE_PGM_RSRC2:TGID_X_EN: 1
; COMPUTE_PGM_RSRC2:TGID_Y_EN: 0
; COMPUTE_PGM_RSRC2:TGID_Z_EN: 0
; COMPUTE_PGM_RSRC2:TIDIG_COMP_CNT: 0
	.section	.text._ZN7rocprim17ROCPRIM_400000_NS6detail17trampoline_kernelINS0_14default_configENS1_29reduce_by_key_config_selectorIsjN6thrust23THRUST_200600_302600_NS4plusIjEEEEZZNS1_33reduce_by_key_impl_wrapped_configILNS1_25lookback_scan_determinismE0ES3_S9_NS6_6detail15normal_iteratorINS6_10device_ptrIsEEEENSD_INSE_IjEEEESG_SI_PmS8_NS6_8equal_toIsEEEE10hipError_tPvRmT2_T3_mT4_T5_T6_T7_T8_P12ihipStream_tbENKUlT_T0_E_clISt17integral_constantIbLb1EES12_IbLb0EEEEDaSY_SZ_EUlSY_E_NS1_11comp_targetILNS1_3genE2ELNS1_11target_archE906ELNS1_3gpuE6ELNS1_3repE0EEENS1_30default_config_static_selectorELNS0_4arch9wavefront6targetE0EEEvT1_,"axG",@progbits,_ZN7rocprim17ROCPRIM_400000_NS6detail17trampoline_kernelINS0_14default_configENS1_29reduce_by_key_config_selectorIsjN6thrust23THRUST_200600_302600_NS4plusIjEEEEZZNS1_33reduce_by_key_impl_wrapped_configILNS1_25lookback_scan_determinismE0ES3_S9_NS6_6detail15normal_iteratorINS6_10device_ptrIsEEEENSD_INSE_IjEEEESG_SI_PmS8_NS6_8equal_toIsEEEE10hipError_tPvRmT2_T3_mT4_T5_T6_T7_T8_P12ihipStream_tbENKUlT_T0_E_clISt17integral_constantIbLb1EES12_IbLb0EEEEDaSY_SZ_EUlSY_E_NS1_11comp_targetILNS1_3genE2ELNS1_11target_archE906ELNS1_3gpuE6ELNS1_3repE0EEENS1_30default_config_static_selectorELNS0_4arch9wavefront6targetE0EEEvT1_,comdat
	.protected	_ZN7rocprim17ROCPRIM_400000_NS6detail17trampoline_kernelINS0_14default_configENS1_29reduce_by_key_config_selectorIsjN6thrust23THRUST_200600_302600_NS4plusIjEEEEZZNS1_33reduce_by_key_impl_wrapped_configILNS1_25lookback_scan_determinismE0ES3_S9_NS6_6detail15normal_iteratorINS6_10device_ptrIsEEEENSD_INSE_IjEEEESG_SI_PmS8_NS6_8equal_toIsEEEE10hipError_tPvRmT2_T3_mT4_T5_T6_T7_T8_P12ihipStream_tbENKUlT_T0_E_clISt17integral_constantIbLb1EES12_IbLb0EEEEDaSY_SZ_EUlSY_E_NS1_11comp_targetILNS1_3genE2ELNS1_11target_archE906ELNS1_3gpuE6ELNS1_3repE0EEENS1_30default_config_static_selectorELNS0_4arch9wavefront6targetE0EEEvT1_ ; -- Begin function _ZN7rocprim17ROCPRIM_400000_NS6detail17trampoline_kernelINS0_14default_configENS1_29reduce_by_key_config_selectorIsjN6thrust23THRUST_200600_302600_NS4plusIjEEEEZZNS1_33reduce_by_key_impl_wrapped_configILNS1_25lookback_scan_determinismE0ES3_S9_NS6_6detail15normal_iteratorINS6_10device_ptrIsEEEENSD_INSE_IjEEEESG_SI_PmS8_NS6_8equal_toIsEEEE10hipError_tPvRmT2_T3_mT4_T5_T6_T7_T8_P12ihipStream_tbENKUlT_T0_E_clISt17integral_constantIbLb1EES12_IbLb0EEEEDaSY_SZ_EUlSY_E_NS1_11comp_targetILNS1_3genE2ELNS1_11target_archE906ELNS1_3gpuE6ELNS1_3repE0EEENS1_30default_config_static_selectorELNS0_4arch9wavefront6targetE0EEEvT1_
	.globl	_ZN7rocprim17ROCPRIM_400000_NS6detail17trampoline_kernelINS0_14default_configENS1_29reduce_by_key_config_selectorIsjN6thrust23THRUST_200600_302600_NS4plusIjEEEEZZNS1_33reduce_by_key_impl_wrapped_configILNS1_25lookback_scan_determinismE0ES3_S9_NS6_6detail15normal_iteratorINS6_10device_ptrIsEEEENSD_INSE_IjEEEESG_SI_PmS8_NS6_8equal_toIsEEEE10hipError_tPvRmT2_T3_mT4_T5_T6_T7_T8_P12ihipStream_tbENKUlT_T0_E_clISt17integral_constantIbLb1EES12_IbLb0EEEEDaSY_SZ_EUlSY_E_NS1_11comp_targetILNS1_3genE2ELNS1_11target_archE906ELNS1_3gpuE6ELNS1_3repE0EEENS1_30default_config_static_selectorELNS0_4arch9wavefront6targetE0EEEvT1_
	.p2align	8
	.type	_ZN7rocprim17ROCPRIM_400000_NS6detail17trampoline_kernelINS0_14default_configENS1_29reduce_by_key_config_selectorIsjN6thrust23THRUST_200600_302600_NS4plusIjEEEEZZNS1_33reduce_by_key_impl_wrapped_configILNS1_25lookback_scan_determinismE0ES3_S9_NS6_6detail15normal_iteratorINS6_10device_ptrIsEEEENSD_INSE_IjEEEESG_SI_PmS8_NS6_8equal_toIsEEEE10hipError_tPvRmT2_T3_mT4_T5_T6_T7_T8_P12ihipStream_tbENKUlT_T0_E_clISt17integral_constantIbLb1EES12_IbLb0EEEEDaSY_SZ_EUlSY_E_NS1_11comp_targetILNS1_3genE2ELNS1_11target_archE906ELNS1_3gpuE6ELNS1_3repE0EEENS1_30default_config_static_selectorELNS0_4arch9wavefront6targetE0EEEvT1_,@function
_ZN7rocprim17ROCPRIM_400000_NS6detail17trampoline_kernelINS0_14default_configENS1_29reduce_by_key_config_selectorIsjN6thrust23THRUST_200600_302600_NS4plusIjEEEEZZNS1_33reduce_by_key_impl_wrapped_configILNS1_25lookback_scan_determinismE0ES3_S9_NS6_6detail15normal_iteratorINS6_10device_ptrIsEEEENSD_INSE_IjEEEESG_SI_PmS8_NS6_8equal_toIsEEEE10hipError_tPvRmT2_T3_mT4_T5_T6_T7_T8_P12ihipStream_tbENKUlT_T0_E_clISt17integral_constantIbLb1EES12_IbLb0EEEEDaSY_SZ_EUlSY_E_NS1_11comp_targetILNS1_3genE2ELNS1_11target_archE906ELNS1_3gpuE6ELNS1_3repE0EEENS1_30default_config_static_selectorELNS0_4arch9wavefront6targetE0EEEvT1_: ; @_ZN7rocprim17ROCPRIM_400000_NS6detail17trampoline_kernelINS0_14default_configENS1_29reduce_by_key_config_selectorIsjN6thrust23THRUST_200600_302600_NS4plusIjEEEEZZNS1_33reduce_by_key_impl_wrapped_configILNS1_25lookback_scan_determinismE0ES3_S9_NS6_6detail15normal_iteratorINS6_10device_ptrIsEEEENSD_INSE_IjEEEESG_SI_PmS8_NS6_8equal_toIsEEEE10hipError_tPvRmT2_T3_mT4_T5_T6_T7_T8_P12ihipStream_tbENKUlT_T0_E_clISt17integral_constantIbLb1EES12_IbLb0EEEEDaSY_SZ_EUlSY_E_NS1_11comp_targetILNS1_3genE2ELNS1_11target_archE906ELNS1_3gpuE6ELNS1_3repE0EEENS1_30default_config_static_selectorELNS0_4arch9wavefront6targetE0EEEvT1_
; %bb.0:
	.section	.rodata,"a",@progbits
	.p2align	6, 0x0
	.amdhsa_kernel _ZN7rocprim17ROCPRIM_400000_NS6detail17trampoline_kernelINS0_14default_configENS1_29reduce_by_key_config_selectorIsjN6thrust23THRUST_200600_302600_NS4plusIjEEEEZZNS1_33reduce_by_key_impl_wrapped_configILNS1_25lookback_scan_determinismE0ES3_S9_NS6_6detail15normal_iteratorINS6_10device_ptrIsEEEENSD_INSE_IjEEEESG_SI_PmS8_NS6_8equal_toIsEEEE10hipError_tPvRmT2_T3_mT4_T5_T6_T7_T8_P12ihipStream_tbENKUlT_T0_E_clISt17integral_constantIbLb1EES12_IbLb0EEEEDaSY_SZ_EUlSY_E_NS1_11comp_targetILNS1_3genE2ELNS1_11target_archE906ELNS1_3gpuE6ELNS1_3repE0EEENS1_30default_config_static_selectorELNS0_4arch9wavefront6targetE0EEEvT1_
		.amdhsa_group_segment_fixed_size 0
		.amdhsa_private_segment_fixed_size 0
		.amdhsa_kernarg_size 120
		.amdhsa_user_sgpr_count 15
		.amdhsa_user_sgpr_dispatch_ptr 0
		.amdhsa_user_sgpr_queue_ptr 0
		.amdhsa_user_sgpr_kernarg_segment_ptr 1
		.amdhsa_user_sgpr_dispatch_id 0
		.amdhsa_user_sgpr_private_segment_size 0
		.amdhsa_wavefront_size32 1
		.amdhsa_uses_dynamic_stack 0
		.amdhsa_enable_private_segment 0
		.amdhsa_system_sgpr_workgroup_id_x 1
		.amdhsa_system_sgpr_workgroup_id_y 0
		.amdhsa_system_sgpr_workgroup_id_z 0
		.amdhsa_system_sgpr_workgroup_info 0
		.amdhsa_system_vgpr_workitem_id 0
		.amdhsa_next_free_vgpr 1
		.amdhsa_next_free_sgpr 1
		.amdhsa_reserve_vcc 0
		.amdhsa_float_round_mode_32 0
		.amdhsa_float_round_mode_16_64 0
		.amdhsa_float_denorm_mode_32 3
		.amdhsa_float_denorm_mode_16_64 3
		.amdhsa_dx10_clamp 1
		.amdhsa_ieee_mode 1
		.amdhsa_fp16_overflow 0
		.amdhsa_workgroup_processor_mode 1
		.amdhsa_memory_ordered 1
		.amdhsa_forward_progress 0
		.amdhsa_shared_vgpr_count 0
		.amdhsa_exception_fp_ieee_invalid_op 0
		.amdhsa_exception_fp_denorm_src 0
		.amdhsa_exception_fp_ieee_div_zero 0
		.amdhsa_exception_fp_ieee_overflow 0
		.amdhsa_exception_fp_ieee_underflow 0
		.amdhsa_exception_fp_ieee_inexact 0
		.amdhsa_exception_int_div_zero 0
	.end_amdhsa_kernel
	.section	.text._ZN7rocprim17ROCPRIM_400000_NS6detail17trampoline_kernelINS0_14default_configENS1_29reduce_by_key_config_selectorIsjN6thrust23THRUST_200600_302600_NS4plusIjEEEEZZNS1_33reduce_by_key_impl_wrapped_configILNS1_25lookback_scan_determinismE0ES3_S9_NS6_6detail15normal_iteratorINS6_10device_ptrIsEEEENSD_INSE_IjEEEESG_SI_PmS8_NS6_8equal_toIsEEEE10hipError_tPvRmT2_T3_mT4_T5_T6_T7_T8_P12ihipStream_tbENKUlT_T0_E_clISt17integral_constantIbLb1EES12_IbLb0EEEEDaSY_SZ_EUlSY_E_NS1_11comp_targetILNS1_3genE2ELNS1_11target_archE906ELNS1_3gpuE6ELNS1_3repE0EEENS1_30default_config_static_selectorELNS0_4arch9wavefront6targetE0EEEvT1_,"axG",@progbits,_ZN7rocprim17ROCPRIM_400000_NS6detail17trampoline_kernelINS0_14default_configENS1_29reduce_by_key_config_selectorIsjN6thrust23THRUST_200600_302600_NS4plusIjEEEEZZNS1_33reduce_by_key_impl_wrapped_configILNS1_25lookback_scan_determinismE0ES3_S9_NS6_6detail15normal_iteratorINS6_10device_ptrIsEEEENSD_INSE_IjEEEESG_SI_PmS8_NS6_8equal_toIsEEEE10hipError_tPvRmT2_T3_mT4_T5_T6_T7_T8_P12ihipStream_tbENKUlT_T0_E_clISt17integral_constantIbLb1EES12_IbLb0EEEEDaSY_SZ_EUlSY_E_NS1_11comp_targetILNS1_3genE2ELNS1_11target_archE906ELNS1_3gpuE6ELNS1_3repE0EEENS1_30default_config_static_selectorELNS0_4arch9wavefront6targetE0EEEvT1_,comdat
.Lfunc_end863:
	.size	_ZN7rocprim17ROCPRIM_400000_NS6detail17trampoline_kernelINS0_14default_configENS1_29reduce_by_key_config_selectorIsjN6thrust23THRUST_200600_302600_NS4plusIjEEEEZZNS1_33reduce_by_key_impl_wrapped_configILNS1_25lookback_scan_determinismE0ES3_S9_NS6_6detail15normal_iteratorINS6_10device_ptrIsEEEENSD_INSE_IjEEEESG_SI_PmS8_NS6_8equal_toIsEEEE10hipError_tPvRmT2_T3_mT4_T5_T6_T7_T8_P12ihipStream_tbENKUlT_T0_E_clISt17integral_constantIbLb1EES12_IbLb0EEEEDaSY_SZ_EUlSY_E_NS1_11comp_targetILNS1_3genE2ELNS1_11target_archE906ELNS1_3gpuE6ELNS1_3repE0EEENS1_30default_config_static_selectorELNS0_4arch9wavefront6targetE0EEEvT1_, .Lfunc_end863-_ZN7rocprim17ROCPRIM_400000_NS6detail17trampoline_kernelINS0_14default_configENS1_29reduce_by_key_config_selectorIsjN6thrust23THRUST_200600_302600_NS4plusIjEEEEZZNS1_33reduce_by_key_impl_wrapped_configILNS1_25lookback_scan_determinismE0ES3_S9_NS6_6detail15normal_iteratorINS6_10device_ptrIsEEEENSD_INSE_IjEEEESG_SI_PmS8_NS6_8equal_toIsEEEE10hipError_tPvRmT2_T3_mT4_T5_T6_T7_T8_P12ihipStream_tbENKUlT_T0_E_clISt17integral_constantIbLb1EES12_IbLb0EEEEDaSY_SZ_EUlSY_E_NS1_11comp_targetILNS1_3genE2ELNS1_11target_archE906ELNS1_3gpuE6ELNS1_3repE0EEENS1_30default_config_static_selectorELNS0_4arch9wavefront6targetE0EEEvT1_
                                        ; -- End function
	.section	.AMDGPU.csdata,"",@progbits
; Kernel info:
; codeLenInByte = 0
; NumSgprs: 0
; NumVgprs: 0
; ScratchSize: 0
; MemoryBound: 0
; FloatMode: 240
; IeeeMode: 1
; LDSByteSize: 0 bytes/workgroup (compile time only)
; SGPRBlocks: 0
; VGPRBlocks: 0
; NumSGPRsForWavesPerEU: 1
; NumVGPRsForWavesPerEU: 1
; Occupancy: 16
; WaveLimiterHint : 0
; COMPUTE_PGM_RSRC2:SCRATCH_EN: 0
; COMPUTE_PGM_RSRC2:USER_SGPR: 15
; COMPUTE_PGM_RSRC2:TRAP_HANDLER: 0
; COMPUTE_PGM_RSRC2:TGID_X_EN: 1
; COMPUTE_PGM_RSRC2:TGID_Y_EN: 0
; COMPUTE_PGM_RSRC2:TGID_Z_EN: 0
; COMPUTE_PGM_RSRC2:TIDIG_COMP_CNT: 0
	.section	.text._ZN7rocprim17ROCPRIM_400000_NS6detail17trampoline_kernelINS0_14default_configENS1_29reduce_by_key_config_selectorIsjN6thrust23THRUST_200600_302600_NS4plusIjEEEEZZNS1_33reduce_by_key_impl_wrapped_configILNS1_25lookback_scan_determinismE0ES3_S9_NS6_6detail15normal_iteratorINS6_10device_ptrIsEEEENSD_INSE_IjEEEESG_SI_PmS8_NS6_8equal_toIsEEEE10hipError_tPvRmT2_T3_mT4_T5_T6_T7_T8_P12ihipStream_tbENKUlT_T0_E_clISt17integral_constantIbLb1EES12_IbLb0EEEEDaSY_SZ_EUlSY_E_NS1_11comp_targetILNS1_3genE10ELNS1_11target_archE1201ELNS1_3gpuE5ELNS1_3repE0EEENS1_30default_config_static_selectorELNS0_4arch9wavefront6targetE0EEEvT1_,"axG",@progbits,_ZN7rocprim17ROCPRIM_400000_NS6detail17trampoline_kernelINS0_14default_configENS1_29reduce_by_key_config_selectorIsjN6thrust23THRUST_200600_302600_NS4plusIjEEEEZZNS1_33reduce_by_key_impl_wrapped_configILNS1_25lookback_scan_determinismE0ES3_S9_NS6_6detail15normal_iteratorINS6_10device_ptrIsEEEENSD_INSE_IjEEEESG_SI_PmS8_NS6_8equal_toIsEEEE10hipError_tPvRmT2_T3_mT4_T5_T6_T7_T8_P12ihipStream_tbENKUlT_T0_E_clISt17integral_constantIbLb1EES12_IbLb0EEEEDaSY_SZ_EUlSY_E_NS1_11comp_targetILNS1_3genE10ELNS1_11target_archE1201ELNS1_3gpuE5ELNS1_3repE0EEENS1_30default_config_static_selectorELNS0_4arch9wavefront6targetE0EEEvT1_,comdat
	.protected	_ZN7rocprim17ROCPRIM_400000_NS6detail17trampoline_kernelINS0_14default_configENS1_29reduce_by_key_config_selectorIsjN6thrust23THRUST_200600_302600_NS4plusIjEEEEZZNS1_33reduce_by_key_impl_wrapped_configILNS1_25lookback_scan_determinismE0ES3_S9_NS6_6detail15normal_iteratorINS6_10device_ptrIsEEEENSD_INSE_IjEEEESG_SI_PmS8_NS6_8equal_toIsEEEE10hipError_tPvRmT2_T3_mT4_T5_T6_T7_T8_P12ihipStream_tbENKUlT_T0_E_clISt17integral_constantIbLb1EES12_IbLb0EEEEDaSY_SZ_EUlSY_E_NS1_11comp_targetILNS1_3genE10ELNS1_11target_archE1201ELNS1_3gpuE5ELNS1_3repE0EEENS1_30default_config_static_selectorELNS0_4arch9wavefront6targetE0EEEvT1_ ; -- Begin function _ZN7rocprim17ROCPRIM_400000_NS6detail17trampoline_kernelINS0_14default_configENS1_29reduce_by_key_config_selectorIsjN6thrust23THRUST_200600_302600_NS4plusIjEEEEZZNS1_33reduce_by_key_impl_wrapped_configILNS1_25lookback_scan_determinismE0ES3_S9_NS6_6detail15normal_iteratorINS6_10device_ptrIsEEEENSD_INSE_IjEEEESG_SI_PmS8_NS6_8equal_toIsEEEE10hipError_tPvRmT2_T3_mT4_T5_T6_T7_T8_P12ihipStream_tbENKUlT_T0_E_clISt17integral_constantIbLb1EES12_IbLb0EEEEDaSY_SZ_EUlSY_E_NS1_11comp_targetILNS1_3genE10ELNS1_11target_archE1201ELNS1_3gpuE5ELNS1_3repE0EEENS1_30default_config_static_selectorELNS0_4arch9wavefront6targetE0EEEvT1_
	.globl	_ZN7rocprim17ROCPRIM_400000_NS6detail17trampoline_kernelINS0_14default_configENS1_29reduce_by_key_config_selectorIsjN6thrust23THRUST_200600_302600_NS4plusIjEEEEZZNS1_33reduce_by_key_impl_wrapped_configILNS1_25lookback_scan_determinismE0ES3_S9_NS6_6detail15normal_iteratorINS6_10device_ptrIsEEEENSD_INSE_IjEEEESG_SI_PmS8_NS6_8equal_toIsEEEE10hipError_tPvRmT2_T3_mT4_T5_T6_T7_T8_P12ihipStream_tbENKUlT_T0_E_clISt17integral_constantIbLb1EES12_IbLb0EEEEDaSY_SZ_EUlSY_E_NS1_11comp_targetILNS1_3genE10ELNS1_11target_archE1201ELNS1_3gpuE5ELNS1_3repE0EEENS1_30default_config_static_selectorELNS0_4arch9wavefront6targetE0EEEvT1_
	.p2align	8
	.type	_ZN7rocprim17ROCPRIM_400000_NS6detail17trampoline_kernelINS0_14default_configENS1_29reduce_by_key_config_selectorIsjN6thrust23THRUST_200600_302600_NS4plusIjEEEEZZNS1_33reduce_by_key_impl_wrapped_configILNS1_25lookback_scan_determinismE0ES3_S9_NS6_6detail15normal_iteratorINS6_10device_ptrIsEEEENSD_INSE_IjEEEESG_SI_PmS8_NS6_8equal_toIsEEEE10hipError_tPvRmT2_T3_mT4_T5_T6_T7_T8_P12ihipStream_tbENKUlT_T0_E_clISt17integral_constantIbLb1EES12_IbLb0EEEEDaSY_SZ_EUlSY_E_NS1_11comp_targetILNS1_3genE10ELNS1_11target_archE1201ELNS1_3gpuE5ELNS1_3repE0EEENS1_30default_config_static_selectorELNS0_4arch9wavefront6targetE0EEEvT1_,@function
_ZN7rocprim17ROCPRIM_400000_NS6detail17trampoline_kernelINS0_14default_configENS1_29reduce_by_key_config_selectorIsjN6thrust23THRUST_200600_302600_NS4plusIjEEEEZZNS1_33reduce_by_key_impl_wrapped_configILNS1_25lookback_scan_determinismE0ES3_S9_NS6_6detail15normal_iteratorINS6_10device_ptrIsEEEENSD_INSE_IjEEEESG_SI_PmS8_NS6_8equal_toIsEEEE10hipError_tPvRmT2_T3_mT4_T5_T6_T7_T8_P12ihipStream_tbENKUlT_T0_E_clISt17integral_constantIbLb1EES12_IbLb0EEEEDaSY_SZ_EUlSY_E_NS1_11comp_targetILNS1_3genE10ELNS1_11target_archE1201ELNS1_3gpuE5ELNS1_3repE0EEENS1_30default_config_static_selectorELNS0_4arch9wavefront6targetE0EEEvT1_: ; @_ZN7rocprim17ROCPRIM_400000_NS6detail17trampoline_kernelINS0_14default_configENS1_29reduce_by_key_config_selectorIsjN6thrust23THRUST_200600_302600_NS4plusIjEEEEZZNS1_33reduce_by_key_impl_wrapped_configILNS1_25lookback_scan_determinismE0ES3_S9_NS6_6detail15normal_iteratorINS6_10device_ptrIsEEEENSD_INSE_IjEEEESG_SI_PmS8_NS6_8equal_toIsEEEE10hipError_tPvRmT2_T3_mT4_T5_T6_T7_T8_P12ihipStream_tbENKUlT_T0_E_clISt17integral_constantIbLb1EES12_IbLb0EEEEDaSY_SZ_EUlSY_E_NS1_11comp_targetILNS1_3genE10ELNS1_11target_archE1201ELNS1_3gpuE5ELNS1_3repE0EEENS1_30default_config_static_selectorELNS0_4arch9wavefront6targetE0EEEvT1_
; %bb.0:
	.section	.rodata,"a",@progbits
	.p2align	6, 0x0
	.amdhsa_kernel _ZN7rocprim17ROCPRIM_400000_NS6detail17trampoline_kernelINS0_14default_configENS1_29reduce_by_key_config_selectorIsjN6thrust23THRUST_200600_302600_NS4plusIjEEEEZZNS1_33reduce_by_key_impl_wrapped_configILNS1_25lookback_scan_determinismE0ES3_S9_NS6_6detail15normal_iteratorINS6_10device_ptrIsEEEENSD_INSE_IjEEEESG_SI_PmS8_NS6_8equal_toIsEEEE10hipError_tPvRmT2_T3_mT4_T5_T6_T7_T8_P12ihipStream_tbENKUlT_T0_E_clISt17integral_constantIbLb1EES12_IbLb0EEEEDaSY_SZ_EUlSY_E_NS1_11comp_targetILNS1_3genE10ELNS1_11target_archE1201ELNS1_3gpuE5ELNS1_3repE0EEENS1_30default_config_static_selectorELNS0_4arch9wavefront6targetE0EEEvT1_
		.amdhsa_group_segment_fixed_size 0
		.amdhsa_private_segment_fixed_size 0
		.amdhsa_kernarg_size 120
		.amdhsa_user_sgpr_count 15
		.amdhsa_user_sgpr_dispatch_ptr 0
		.amdhsa_user_sgpr_queue_ptr 0
		.amdhsa_user_sgpr_kernarg_segment_ptr 1
		.amdhsa_user_sgpr_dispatch_id 0
		.amdhsa_user_sgpr_private_segment_size 0
		.amdhsa_wavefront_size32 1
		.amdhsa_uses_dynamic_stack 0
		.amdhsa_enable_private_segment 0
		.amdhsa_system_sgpr_workgroup_id_x 1
		.amdhsa_system_sgpr_workgroup_id_y 0
		.amdhsa_system_sgpr_workgroup_id_z 0
		.amdhsa_system_sgpr_workgroup_info 0
		.amdhsa_system_vgpr_workitem_id 0
		.amdhsa_next_free_vgpr 1
		.amdhsa_next_free_sgpr 1
		.amdhsa_reserve_vcc 0
		.amdhsa_float_round_mode_32 0
		.amdhsa_float_round_mode_16_64 0
		.amdhsa_float_denorm_mode_32 3
		.amdhsa_float_denorm_mode_16_64 3
		.amdhsa_dx10_clamp 1
		.amdhsa_ieee_mode 1
		.amdhsa_fp16_overflow 0
		.amdhsa_workgroup_processor_mode 1
		.amdhsa_memory_ordered 1
		.amdhsa_forward_progress 0
		.amdhsa_shared_vgpr_count 0
		.amdhsa_exception_fp_ieee_invalid_op 0
		.amdhsa_exception_fp_denorm_src 0
		.amdhsa_exception_fp_ieee_div_zero 0
		.amdhsa_exception_fp_ieee_overflow 0
		.amdhsa_exception_fp_ieee_underflow 0
		.amdhsa_exception_fp_ieee_inexact 0
		.amdhsa_exception_int_div_zero 0
	.end_amdhsa_kernel
	.section	.text._ZN7rocprim17ROCPRIM_400000_NS6detail17trampoline_kernelINS0_14default_configENS1_29reduce_by_key_config_selectorIsjN6thrust23THRUST_200600_302600_NS4plusIjEEEEZZNS1_33reduce_by_key_impl_wrapped_configILNS1_25lookback_scan_determinismE0ES3_S9_NS6_6detail15normal_iteratorINS6_10device_ptrIsEEEENSD_INSE_IjEEEESG_SI_PmS8_NS6_8equal_toIsEEEE10hipError_tPvRmT2_T3_mT4_T5_T6_T7_T8_P12ihipStream_tbENKUlT_T0_E_clISt17integral_constantIbLb1EES12_IbLb0EEEEDaSY_SZ_EUlSY_E_NS1_11comp_targetILNS1_3genE10ELNS1_11target_archE1201ELNS1_3gpuE5ELNS1_3repE0EEENS1_30default_config_static_selectorELNS0_4arch9wavefront6targetE0EEEvT1_,"axG",@progbits,_ZN7rocprim17ROCPRIM_400000_NS6detail17trampoline_kernelINS0_14default_configENS1_29reduce_by_key_config_selectorIsjN6thrust23THRUST_200600_302600_NS4plusIjEEEEZZNS1_33reduce_by_key_impl_wrapped_configILNS1_25lookback_scan_determinismE0ES3_S9_NS6_6detail15normal_iteratorINS6_10device_ptrIsEEEENSD_INSE_IjEEEESG_SI_PmS8_NS6_8equal_toIsEEEE10hipError_tPvRmT2_T3_mT4_T5_T6_T7_T8_P12ihipStream_tbENKUlT_T0_E_clISt17integral_constantIbLb1EES12_IbLb0EEEEDaSY_SZ_EUlSY_E_NS1_11comp_targetILNS1_3genE10ELNS1_11target_archE1201ELNS1_3gpuE5ELNS1_3repE0EEENS1_30default_config_static_selectorELNS0_4arch9wavefront6targetE0EEEvT1_,comdat
.Lfunc_end864:
	.size	_ZN7rocprim17ROCPRIM_400000_NS6detail17trampoline_kernelINS0_14default_configENS1_29reduce_by_key_config_selectorIsjN6thrust23THRUST_200600_302600_NS4plusIjEEEEZZNS1_33reduce_by_key_impl_wrapped_configILNS1_25lookback_scan_determinismE0ES3_S9_NS6_6detail15normal_iteratorINS6_10device_ptrIsEEEENSD_INSE_IjEEEESG_SI_PmS8_NS6_8equal_toIsEEEE10hipError_tPvRmT2_T3_mT4_T5_T6_T7_T8_P12ihipStream_tbENKUlT_T0_E_clISt17integral_constantIbLb1EES12_IbLb0EEEEDaSY_SZ_EUlSY_E_NS1_11comp_targetILNS1_3genE10ELNS1_11target_archE1201ELNS1_3gpuE5ELNS1_3repE0EEENS1_30default_config_static_selectorELNS0_4arch9wavefront6targetE0EEEvT1_, .Lfunc_end864-_ZN7rocprim17ROCPRIM_400000_NS6detail17trampoline_kernelINS0_14default_configENS1_29reduce_by_key_config_selectorIsjN6thrust23THRUST_200600_302600_NS4plusIjEEEEZZNS1_33reduce_by_key_impl_wrapped_configILNS1_25lookback_scan_determinismE0ES3_S9_NS6_6detail15normal_iteratorINS6_10device_ptrIsEEEENSD_INSE_IjEEEESG_SI_PmS8_NS6_8equal_toIsEEEE10hipError_tPvRmT2_T3_mT4_T5_T6_T7_T8_P12ihipStream_tbENKUlT_T0_E_clISt17integral_constantIbLb1EES12_IbLb0EEEEDaSY_SZ_EUlSY_E_NS1_11comp_targetILNS1_3genE10ELNS1_11target_archE1201ELNS1_3gpuE5ELNS1_3repE0EEENS1_30default_config_static_selectorELNS0_4arch9wavefront6targetE0EEEvT1_
                                        ; -- End function
	.section	.AMDGPU.csdata,"",@progbits
; Kernel info:
; codeLenInByte = 0
; NumSgprs: 0
; NumVgprs: 0
; ScratchSize: 0
; MemoryBound: 0
; FloatMode: 240
; IeeeMode: 1
; LDSByteSize: 0 bytes/workgroup (compile time only)
; SGPRBlocks: 0
; VGPRBlocks: 0
; NumSGPRsForWavesPerEU: 1
; NumVGPRsForWavesPerEU: 1
; Occupancy: 16
; WaveLimiterHint : 0
; COMPUTE_PGM_RSRC2:SCRATCH_EN: 0
; COMPUTE_PGM_RSRC2:USER_SGPR: 15
; COMPUTE_PGM_RSRC2:TRAP_HANDLER: 0
; COMPUTE_PGM_RSRC2:TGID_X_EN: 1
; COMPUTE_PGM_RSRC2:TGID_Y_EN: 0
; COMPUTE_PGM_RSRC2:TGID_Z_EN: 0
; COMPUTE_PGM_RSRC2:TIDIG_COMP_CNT: 0
	.section	.text._ZN7rocprim17ROCPRIM_400000_NS6detail17trampoline_kernelINS0_14default_configENS1_29reduce_by_key_config_selectorIsjN6thrust23THRUST_200600_302600_NS4plusIjEEEEZZNS1_33reduce_by_key_impl_wrapped_configILNS1_25lookback_scan_determinismE0ES3_S9_NS6_6detail15normal_iteratorINS6_10device_ptrIsEEEENSD_INSE_IjEEEESG_SI_PmS8_NS6_8equal_toIsEEEE10hipError_tPvRmT2_T3_mT4_T5_T6_T7_T8_P12ihipStream_tbENKUlT_T0_E_clISt17integral_constantIbLb1EES12_IbLb0EEEEDaSY_SZ_EUlSY_E_NS1_11comp_targetILNS1_3genE10ELNS1_11target_archE1200ELNS1_3gpuE4ELNS1_3repE0EEENS1_30default_config_static_selectorELNS0_4arch9wavefront6targetE0EEEvT1_,"axG",@progbits,_ZN7rocprim17ROCPRIM_400000_NS6detail17trampoline_kernelINS0_14default_configENS1_29reduce_by_key_config_selectorIsjN6thrust23THRUST_200600_302600_NS4plusIjEEEEZZNS1_33reduce_by_key_impl_wrapped_configILNS1_25lookback_scan_determinismE0ES3_S9_NS6_6detail15normal_iteratorINS6_10device_ptrIsEEEENSD_INSE_IjEEEESG_SI_PmS8_NS6_8equal_toIsEEEE10hipError_tPvRmT2_T3_mT4_T5_T6_T7_T8_P12ihipStream_tbENKUlT_T0_E_clISt17integral_constantIbLb1EES12_IbLb0EEEEDaSY_SZ_EUlSY_E_NS1_11comp_targetILNS1_3genE10ELNS1_11target_archE1200ELNS1_3gpuE4ELNS1_3repE0EEENS1_30default_config_static_selectorELNS0_4arch9wavefront6targetE0EEEvT1_,comdat
	.protected	_ZN7rocprim17ROCPRIM_400000_NS6detail17trampoline_kernelINS0_14default_configENS1_29reduce_by_key_config_selectorIsjN6thrust23THRUST_200600_302600_NS4plusIjEEEEZZNS1_33reduce_by_key_impl_wrapped_configILNS1_25lookback_scan_determinismE0ES3_S9_NS6_6detail15normal_iteratorINS6_10device_ptrIsEEEENSD_INSE_IjEEEESG_SI_PmS8_NS6_8equal_toIsEEEE10hipError_tPvRmT2_T3_mT4_T5_T6_T7_T8_P12ihipStream_tbENKUlT_T0_E_clISt17integral_constantIbLb1EES12_IbLb0EEEEDaSY_SZ_EUlSY_E_NS1_11comp_targetILNS1_3genE10ELNS1_11target_archE1200ELNS1_3gpuE4ELNS1_3repE0EEENS1_30default_config_static_selectorELNS0_4arch9wavefront6targetE0EEEvT1_ ; -- Begin function _ZN7rocprim17ROCPRIM_400000_NS6detail17trampoline_kernelINS0_14default_configENS1_29reduce_by_key_config_selectorIsjN6thrust23THRUST_200600_302600_NS4plusIjEEEEZZNS1_33reduce_by_key_impl_wrapped_configILNS1_25lookback_scan_determinismE0ES3_S9_NS6_6detail15normal_iteratorINS6_10device_ptrIsEEEENSD_INSE_IjEEEESG_SI_PmS8_NS6_8equal_toIsEEEE10hipError_tPvRmT2_T3_mT4_T5_T6_T7_T8_P12ihipStream_tbENKUlT_T0_E_clISt17integral_constantIbLb1EES12_IbLb0EEEEDaSY_SZ_EUlSY_E_NS1_11comp_targetILNS1_3genE10ELNS1_11target_archE1200ELNS1_3gpuE4ELNS1_3repE0EEENS1_30default_config_static_selectorELNS0_4arch9wavefront6targetE0EEEvT1_
	.globl	_ZN7rocprim17ROCPRIM_400000_NS6detail17trampoline_kernelINS0_14default_configENS1_29reduce_by_key_config_selectorIsjN6thrust23THRUST_200600_302600_NS4plusIjEEEEZZNS1_33reduce_by_key_impl_wrapped_configILNS1_25lookback_scan_determinismE0ES3_S9_NS6_6detail15normal_iteratorINS6_10device_ptrIsEEEENSD_INSE_IjEEEESG_SI_PmS8_NS6_8equal_toIsEEEE10hipError_tPvRmT2_T3_mT4_T5_T6_T7_T8_P12ihipStream_tbENKUlT_T0_E_clISt17integral_constantIbLb1EES12_IbLb0EEEEDaSY_SZ_EUlSY_E_NS1_11comp_targetILNS1_3genE10ELNS1_11target_archE1200ELNS1_3gpuE4ELNS1_3repE0EEENS1_30default_config_static_selectorELNS0_4arch9wavefront6targetE0EEEvT1_
	.p2align	8
	.type	_ZN7rocprim17ROCPRIM_400000_NS6detail17trampoline_kernelINS0_14default_configENS1_29reduce_by_key_config_selectorIsjN6thrust23THRUST_200600_302600_NS4plusIjEEEEZZNS1_33reduce_by_key_impl_wrapped_configILNS1_25lookback_scan_determinismE0ES3_S9_NS6_6detail15normal_iteratorINS6_10device_ptrIsEEEENSD_INSE_IjEEEESG_SI_PmS8_NS6_8equal_toIsEEEE10hipError_tPvRmT2_T3_mT4_T5_T6_T7_T8_P12ihipStream_tbENKUlT_T0_E_clISt17integral_constantIbLb1EES12_IbLb0EEEEDaSY_SZ_EUlSY_E_NS1_11comp_targetILNS1_3genE10ELNS1_11target_archE1200ELNS1_3gpuE4ELNS1_3repE0EEENS1_30default_config_static_selectorELNS0_4arch9wavefront6targetE0EEEvT1_,@function
_ZN7rocprim17ROCPRIM_400000_NS6detail17trampoline_kernelINS0_14default_configENS1_29reduce_by_key_config_selectorIsjN6thrust23THRUST_200600_302600_NS4plusIjEEEEZZNS1_33reduce_by_key_impl_wrapped_configILNS1_25lookback_scan_determinismE0ES3_S9_NS6_6detail15normal_iteratorINS6_10device_ptrIsEEEENSD_INSE_IjEEEESG_SI_PmS8_NS6_8equal_toIsEEEE10hipError_tPvRmT2_T3_mT4_T5_T6_T7_T8_P12ihipStream_tbENKUlT_T0_E_clISt17integral_constantIbLb1EES12_IbLb0EEEEDaSY_SZ_EUlSY_E_NS1_11comp_targetILNS1_3genE10ELNS1_11target_archE1200ELNS1_3gpuE4ELNS1_3repE0EEENS1_30default_config_static_selectorELNS0_4arch9wavefront6targetE0EEEvT1_: ; @_ZN7rocprim17ROCPRIM_400000_NS6detail17trampoline_kernelINS0_14default_configENS1_29reduce_by_key_config_selectorIsjN6thrust23THRUST_200600_302600_NS4plusIjEEEEZZNS1_33reduce_by_key_impl_wrapped_configILNS1_25lookback_scan_determinismE0ES3_S9_NS6_6detail15normal_iteratorINS6_10device_ptrIsEEEENSD_INSE_IjEEEESG_SI_PmS8_NS6_8equal_toIsEEEE10hipError_tPvRmT2_T3_mT4_T5_T6_T7_T8_P12ihipStream_tbENKUlT_T0_E_clISt17integral_constantIbLb1EES12_IbLb0EEEEDaSY_SZ_EUlSY_E_NS1_11comp_targetILNS1_3genE10ELNS1_11target_archE1200ELNS1_3gpuE4ELNS1_3repE0EEENS1_30default_config_static_selectorELNS0_4arch9wavefront6targetE0EEEvT1_
; %bb.0:
	.section	.rodata,"a",@progbits
	.p2align	6, 0x0
	.amdhsa_kernel _ZN7rocprim17ROCPRIM_400000_NS6detail17trampoline_kernelINS0_14default_configENS1_29reduce_by_key_config_selectorIsjN6thrust23THRUST_200600_302600_NS4plusIjEEEEZZNS1_33reduce_by_key_impl_wrapped_configILNS1_25lookback_scan_determinismE0ES3_S9_NS6_6detail15normal_iteratorINS6_10device_ptrIsEEEENSD_INSE_IjEEEESG_SI_PmS8_NS6_8equal_toIsEEEE10hipError_tPvRmT2_T3_mT4_T5_T6_T7_T8_P12ihipStream_tbENKUlT_T0_E_clISt17integral_constantIbLb1EES12_IbLb0EEEEDaSY_SZ_EUlSY_E_NS1_11comp_targetILNS1_3genE10ELNS1_11target_archE1200ELNS1_3gpuE4ELNS1_3repE0EEENS1_30default_config_static_selectorELNS0_4arch9wavefront6targetE0EEEvT1_
		.amdhsa_group_segment_fixed_size 0
		.amdhsa_private_segment_fixed_size 0
		.amdhsa_kernarg_size 120
		.amdhsa_user_sgpr_count 15
		.amdhsa_user_sgpr_dispatch_ptr 0
		.amdhsa_user_sgpr_queue_ptr 0
		.amdhsa_user_sgpr_kernarg_segment_ptr 1
		.amdhsa_user_sgpr_dispatch_id 0
		.amdhsa_user_sgpr_private_segment_size 0
		.amdhsa_wavefront_size32 1
		.amdhsa_uses_dynamic_stack 0
		.amdhsa_enable_private_segment 0
		.amdhsa_system_sgpr_workgroup_id_x 1
		.amdhsa_system_sgpr_workgroup_id_y 0
		.amdhsa_system_sgpr_workgroup_id_z 0
		.amdhsa_system_sgpr_workgroup_info 0
		.amdhsa_system_vgpr_workitem_id 0
		.amdhsa_next_free_vgpr 1
		.amdhsa_next_free_sgpr 1
		.amdhsa_reserve_vcc 0
		.amdhsa_float_round_mode_32 0
		.amdhsa_float_round_mode_16_64 0
		.amdhsa_float_denorm_mode_32 3
		.amdhsa_float_denorm_mode_16_64 3
		.amdhsa_dx10_clamp 1
		.amdhsa_ieee_mode 1
		.amdhsa_fp16_overflow 0
		.amdhsa_workgroup_processor_mode 1
		.amdhsa_memory_ordered 1
		.amdhsa_forward_progress 0
		.amdhsa_shared_vgpr_count 0
		.amdhsa_exception_fp_ieee_invalid_op 0
		.amdhsa_exception_fp_denorm_src 0
		.amdhsa_exception_fp_ieee_div_zero 0
		.amdhsa_exception_fp_ieee_overflow 0
		.amdhsa_exception_fp_ieee_underflow 0
		.amdhsa_exception_fp_ieee_inexact 0
		.amdhsa_exception_int_div_zero 0
	.end_amdhsa_kernel
	.section	.text._ZN7rocprim17ROCPRIM_400000_NS6detail17trampoline_kernelINS0_14default_configENS1_29reduce_by_key_config_selectorIsjN6thrust23THRUST_200600_302600_NS4plusIjEEEEZZNS1_33reduce_by_key_impl_wrapped_configILNS1_25lookback_scan_determinismE0ES3_S9_NS6_6detail15normal_iteratorINS6_10device_ptrIsEEEENSD_INSE_IjEEEESG_SI_PmS8_NS6_8equal_toIsEEEE10hipError_tPvRmT2_T3_mT4_T5_T6_T7_T8_P12ihipStream_tbENKUlT_T0_E_clISt17integral_constantIbLb1EES12_IbLb0EEEEDaSY_SZ_EUlSY_E_NS1_11comp_targetILNS1_3genE10ELNS1_11target_archE1200ELNS1_3gpuE4ELNS1_3repE0EEENS1_30default_config_static_selectorELNS0_4arch9wavefront6targetE0EEEvT1_,"axG",@progbits,_ZN7rocprim17ROCPRIM_400000_NS6detail17trampoline_kernelINS0_14default_configENS1_29reduce_by_key_config_selectorIsjN6thrust23THRUST_200600_302600_NS4plusIjEEEEZZNS1_33reduce_by_key_impl_wrapped_configILNS1_25lookback_scan_determinismE0ES3_S9_NS6_6detail15normal_iteratorINS6_10device_ptrIsEEEENSD_INSE_IjEEEESG_SI_PmS8_NS6_8equal_toIsEEEE10hipError_tPvRmT2_T3_mT4_T5_T6_T7_T8_P12ihipStream_tbENKUlT_T0_E_clISt17integral_constantIbLb1EES12_IbLb0EEEEDaSY_SZ_EUlSY_E_NS1_11comp_targetILNS1_3genE10ELNS1_11target_archE1200ELNS1_3gpuE4ELNS1_3repE0EEENS1_30default_config_static_selectorELNS0_4arch9wavefront6targetE0EEEvT1_,comdat
.Lfunc_end865:
	.size	_ZN7rocprim17ROCPRIM_400000_NS6detail17trampoline_kernelINS0_14default_configENS1_29reduce_by_key_config_selectorIsjN6thrust23THRUST_200600_302600_NS4plusIjEEEEZZNS1_33reduce_by_key_impl_wrapped_configILNS1_25lookback_scan_determinismE0ES3_S9_NS6_6detail15normal_iteratorINS6_10device_ptrIsEEEENSD_INSE_IjEEEESG_SI_PmS8_NS6_8equal_toIsEEEE10hipError_tPvRmT2_T3_mT4_T5_T6_T7_T8_P12ihipStream_tbENKUlT_T0_E_clISt17integral_constantIbLb1EES12_IbLb0EEEEDaSY_SZ_EUlSY_E_NS1_11comp_targetILNS1_3genE10ELNS1_11target_archE1200ELNS1_3gpuE4ELNS1_3repE0EEENS1_30default_config_static_selectorELNS0_4arch9wavefront6targetE0EEEvT1_, .Lfunc_end865-_ZN7rocprim17ROCPRIM_400000_NS6detail17trampoline_kernelINS0_14default_configENS1_29reduce_by_key_config_selectorIsjN6thrust23THRUST_200600_302600_NS4plusIjEEEEZZNS1_33reduce_by_key_impl_wrapped_configILNS1_25lookback_scan_determinismE0ES3_S9_NS6_6detail15normal_iteratorINS6_10device_ptrIsEEEENSD_INSE_IjEEEESG_SI_PmS8_NS6_8equal_toIsEEEE10hipError_tPvRmT2_T3_mT4_T5_T6_T7_T8_P12ihipStream_tbENKUlT_T0_E_clISt17integral_constantIbLb1EES12_IbLb0EEEEDaSY_SZ_EUlSY_E_NS1_11comp_targetILNS1_3genE10ELNS1_11target_archE1200ELNS1_3gpuE4ELNS1_3repE0EEENS1_30default_config_static_selectorELNS0_4arch9wavefront6targetE0EEEvT1_
                                        ; -- End function
	.section	.AMDGPU.csdata,"",@progbits
; Kernel info:
; codeLenInByte = 0
; NumSgprs: 0
; NumVgprs: 0
; ScratchSize: 0
; MemoryBound: 0
; FloatMode: 240
; IeeeMode: 1
; LDSByteSize: 0 bytes/workgroup (compile time only)
; SGPRBlocks: 0
; VGPRBlocks: 0
; NumSGPRsForWavesPerEU: 1
; NumVGPRsForWavesPerEU: 1
; Occupancy: 16
; WaveLimiterHint : 0
; COMPUTE_PGM_RSRC2:SCRATCH_EN: 0
; COMPUTE_PGM_RSRC2:USER_SGPR: 15
; COMPUTE_PGM_RSRC2:TRAP_HANDLER: 0
; COMPUTE_PGM_RSRC2:TGID_X_EN: 1
; COMPUTE_PGM_RSRC2:TGID_Y_EN: 0
; COMPUTE_PGM_RSRC2:TGID_Z_EN: 0
; COMPUTE_PGM_RSRC2:TIDIG_COMP_CNT: 0
	.section	.text._ZN7rocprim17ROCPRIM_400000_NS6detail17trampoline_kernelINS0_14default_configENS1_29reduce_by_key_config_selectorIsjN6thrust23THRUST_200600_302600_NS4plusIjEEEEZZNS1_33reduce_by_key_impl_wrapped_configILNS1_25lookback_scan_determinismE0ES3_S9_NS6_6detail15normal_iteratorINS6_10device_ptrIsEEEENSD_INSE_IjEEEESG_SI_PmS8_NS6_8equal_toIsEEEE10hipError_tPvRmT2_T3_mT4_T5_T6_T7_T8_P12ihipStream_tbENKUlT_T0_E_clISt17integral_constantIbLb1EES12_IbLb0EEEEDaSY_SZ_EUlSY_E_NS1_11comp_targetILNS1_3genE9ELNS1_11target_archE1100ELNS1_3gpuE3ELNS1_3repE0EEENS1_30default_config_static_selectorELNS0_4arch9wavefront6targetE0EEEvT1_,"axG",@progbits,_ZN7rocprim17ROCPRIM_400000_NS6detail17trampoline_kernelINS0_14default_configENS1_29reduce_by_key_config_selectorIsjN6thrust23THRUST_200600_302600_NS4plusIjEEEEZZNS1_33reduce_by_key_impl_wrapped_configILNS1_25lookback_scan_determinismE0ES3_S9_NS6_6detail15normal_iteratorINS6_10device_ptrIsEEEENSD_INSE_IjEEEESG_SI_PmS8_NS6_8equal_toIsEEEE10hipError_tPvRmT2_T3_mT4_T5_T6_T7_T8_P12ihipStream_tbENKUlT_T0_E_clISt17integral_constantIbLb1EES12_IbLb0EEEEDaSY_SZ_EUlSY_E_NS1_11comp_targetILNS1_3genE9ELNS1_11target_archE1100ELNS1_3gpuE3ELNS1_3repE0EEENS1_30default_config_static_selectorELNS0_4arch9wavefront6targetE0EEEvT1_,comdat
	.protected	_ZN7rocprim17ROCPRIM_400000_NS6detail17trampoline_kernelINS0_14default_configENS1_29reduce_by_key_config_selectorIsjN6thrust23THRUST_200600_302600_NS4plusIjEEEEZZNS1_33reduce_by_key_impl_wrapped_configILNS1_25lookback_scan_determinismE0ES3_S9_NS6_6detail15normal_iteratorINS6_10device_ptrIsEEEENSD_INSE_IjEEEESG_SI_PmS8_NS6_8equal_toIsEEEE10hipError_tPvRmT2_T3_mT4_T5_T6_T7_T8_P12ihipStream_tbENKUlT_T0_E_clISt17integral_constantIbLb1EES12_IbLb0EEEEDaSY_SZ_EUlSY_E_NS1_11comp_targetILNS1_3genE9ELNS1_11target_archE1100ELNS1_3gpuE3ELNS1_3repE0EEENS1_30default_config_static_selectorELNS0_4arch9wavefront6targetE0EEEvT1_ ; -- Begin function _ZN7rocprim17ROCPRIM_400000_NS6detail17trampoline_kernelINS0_14default_configENS1_29reduce_by_key_config_selectorIsjN6thrust23THRUST_200600_302600_NS4plusIjEEEEZZNS1_33reduce_by_key_impl_wrapped_configILNS1_25lookback_scan_determinismE0ES3_S9_NS6_6detail15normal_iteratorINS6_10device_ptrIsEEEENSD_INSE_IjEEEESG_SI_PmS8_NS6_8equal_toIsEEEE10hipError_tPvRmT2_T3_mT4_T5_T6_T7_T8_P12ihipStream_tbENKUlT_T0_E_clISt17integral_constantIbLb1EES12_IbLb0EEEEDaSY_SZ_EUlSY_E_NS1_11comp_targetILNS1_3genE9ELNS1_11target_archE1100ELNS1_3gpuE3ELNS1_3repE0EEENS1_30default_config_static_selectorELNS0_4arch9wavefront6targetE0EEEvT1_
	.globl	_ZN7rocprim17ROCPRIM_400000_NS6detail17trampoline_kernelINS0_14default_configENS1_29reduce_by_key_config_selectorIsjN6thrust23THRUST_200600_302600_NS4plusIjEEEEZZNS1_33reduce_by_key_impl_wrapped_configILNS1_25lookback_scan_determinismE0ES3_S9_NS6_6detail15normal_iteratorINS6_10device_ptrIsEEEENSD_INSE_IjEEEESG_SI_PmS8_NS6_8equal_toIsEEEE10hipError_tPvRmT2_T3_mT4_T5_T6_T7_T8_P12ihipStream_tbENKUlT_T0_E_clISt17integral_constantIbLb1EES12_IbLb0EEEEDaSY_SZ_EUlSY_E_NS1_11comp_targetILNS1_3genE9ELNS1_11target_archE1100ELNS1_3gpuE3ELNS1_3repE0EEENS1_30default_config_static_selectorELNS0_4arch9wavefront6targetE0EEEvT1_
	.p2align	8
	.type	_ZN7rocprim17ROCPRIM_400000_NS6detail17trampoline_kernelINS0_14default_configENS1_29reduce_by_key_config_selectorIsjN6thrust23THRUST_200600_302600_NS4plusIjEEEEZZNS1_33reduce_by_key_impl_wrapped_configILNS1_25lookback_scan_determinismE0ES3_S9_NS6_6detail15normal_iteratorINS6_10device_ptrIsEEEENSD_INSE_IjEEEESG_SI_PmS8_NS6_8equal_toIsEEEE10hipError_tPvRmT2_T3_mT4_T5_T6_T7_T8_P12ihipStream_tbENKUlT_T0_E_clISt17integral_constantIbLb1EES12_IbLb0EEEEDaSY_SZ_EUlSY_E_NS1_11comp_targetILNS1_3genE9ELNS1_11target_archE1100ELNS1_3gpuE3ELNS1_3repE0EEENS1_30default_config_static_selectorELNS0_4arch9wavefront6targetE0EEEvT1_,@function
_ZN7rocprim17ROCPRIM_400000_NS6detail17trampoline_kernelINS0_14default_configENS1_29reduce_by_key_config_selectorIsjN6thrust23THRUST_200600_302600_NS4plusIjEEEEZZNS1_33reduce_by_key_impl_wrapped_configILNS1_25lookback_scan_determinismE0ES3_S9_NS6_6detail15normal_iteratorINS6_10device_ptrIsEEEENSD_INSE_IjEEEESG_SI_PmS8_NS6_8equal_toIsEEEE10hipError_tPvRmT2_T3_mT4_T5_T6_T7_T8_P12ihipStream_tbENKUlT_T0_E_clISt17integral_constantIbLb1EES12_IbLb0EEEEDaSY_SZ_EUlSY_E_NS1_11comp_targetILNS1_3genE9ELNS1_11target_archE1100ELNS1_3gpuE3ELNS1_3repE0EEENS1_30default_config_static_selectorELNS0_4arch9wavefront6targetE0EEEvT1_: ; @_ZN7rocprim17ROCPRIM_400000_NS6detail17trampoline_kernelINS0_14default_configENS1_29reduce_by_key_config_selectorIsjN6thrust23THRUST_200600_302600_NS4plusIjEEEEZZNS1_33reduce_by_key_impl_wrapped_configILNS1_25lookback_scan_determinismE0ES3_S9_NS6_6detail15normal_iteratorINS6_10device_ptrIsEEEENSD_INSE_IjEEEESG_SI_PmS8_NS6_8equal_toIsEEEE10hipError_tPvRmT2_T3_mT4_T5_T6_T7_T8_P12ihipStream_tbENKUlT_T0_E_clISt17integral_constantIbLb1EES12_IbLb0EEEEDaSY_SZ_EUlSY_E_NS1_11comp_targetILNS1_3genE9ELNS1_11target_archE1100ELNS1_3gpuE3ELNS1_3repE0EEENS1_30default_config_static_selectorELNS0_4arch9wavefront6targetE0EEEvT1_
; %bb.0:
	s_clause 0x4
	s_load_b256 s[16:23], s[0:1], 0x0
	s_load_b256 s[24:31], s[0:1], 0x38
	s_load_b128 s[36:39], s[0:1], 0x20
	s_load_b64 s[34:35], s[0:1], 0x68
	s_load_b128 s[40:43], s[0:1], 0x58
	s_mov_b32 s3, 0
	s_mul_i32 s2, s15, 0xf00
	s_waitcnt lgkmcnt(0)
	s_lshl_b64 s[0:1], s[18:19], 1
	s_mul_i32 s4, s28, s27
	s_add_u32 s6, s16, s0
	s_addc_u32 s7, s17, s1
	s_lshl_b64 s[0:1], s[18:19], 2
	s_mul_hi_u32 s5, s28, s26
	s_add_u32 s9, s20, s0
	s_mul_i32 s8, s29, s26
	s_addc_u32 s10, s21, s1
	s_add_i32 s4, s5, s4
	s_lshl_b64 s[0:1], s[2:3], 1
	s_add_i32 s4, s4, s8
	s_add_u32 s29, s6, s0
	s_addc_u32 s14, s7, s1
	s_lshl_b64 s[0:1], s[2:3], 2
	s_mul_i32 s2, s28, s26
	s_add_u32 s19, s9, s0
	s_addc_u32 s28, s10, s1
	s_add_u32 s16, s2, s15
	s_addc_u32 s17, s4, 0
	s_add_u32 s0, s30, -1
	s_addc_u32 s1, s31, -1
	s_mul_i32 s21, s0, 0xfffff100
	s_cmp_eq_u64 s[16:17], s[0:1]
	s_cselect_b32 s20, -1, 0
	s_cmp_lg_u64 s[16:17], s[0:1]
	s_cselect_b32 s18, -1, 0
	s_and_b32 vcc_lo, exec_lo, s20
	s_cbranch_vccnz .LBB866_2
; %bb.1:
	v_lshlrev_b32_e32 v13, 1, v0
	v_mad_u32_u24 v27, v0, 15, 7
	s_delay_alu instid0(VALU_DEP_2) | instskip(NEXT) | instid1(VALU_DEP_1)
	v_add_co_u32 v1, s0, s29, v13
	v_add_co_ci_u32_e64 v2, null, s14, 0, s0
	v_mad_u32_u24 v26, v0, 28, v13
	s_delay_alu instid0(VALU_DEP_3) | instskip(NEXT) | instid1(VALU_DEP_3)
	v_add_co_u32 v3, vcc_lo, 0x1000, v1
	v_add_co_ci_u32_e32 v4, vcc_lo, 0, v2, vcc_lo
	s_clause 0xe
	flat_load_u16 v14, v[1:2]
	flat_load_u16 v15, v[1:2] offset:512
	flat_load_u16 v16, v[1:2] offset:1024
	;; [unrolled: 1-line block ×7, first 2 shown]
	flat_load_u16 v2, v[3:4]
	flat_load_u16 v21, v[3:4] offset:512
	flat_load_u16 v22, v[3:4] offset:1024
	;; [unrolled: 1-line block ×6, first 2 shown]
	v_lshlrev_b32_e32 v4, 2, v0
	s_waitcnt vmcnt(14) lgkmcnt(14)
	ds_store_b16 v13, v14
	s_waitcnt vmcnt(13) lgkmcnt(14)
	ds_store_b16 v13, v15 offset:512
	s_waitcnt vmcnt(12) lgkmcnt(14)
	ds_store_b16 v13, v16 offset:1024
	;; [unrolled: 2-line block ×14, first 2 shown]
	v_add_co_u32 v5, s0, s19, v4
	s_delay_alu instid0(VALU_DEP_1) | instskip(SKIP_1) | instid1(VALU_DEP_2)
	v_add_co_ci_u32_e64 v6, null, s28, 0, s0
	s_waitcnt lgkmcnt(0)
	v_add_co_u32 v7, vcc_lo, 0x1000, v5
	s_delay_alu instid0(VALU_DEP_2)
	v_add_co_ci_u32_e32 v8, vcc_lo, 0, v6, vcc_lo
	v_add_co_u32 v9, vcc_lo, 0x2000, v5
	v_add_co_ci_u32_e32 v10, vcc_lo, 0, v6, vcc_lo
	v_add_co_u32 v11, vcc_lo, 0x3000, v5
	v_add_co_ci_u32_e32 v12, vcc_lo, 0, v6, vcc_lo
	s_barrier
	buffer_gl0_inv
	ds_load_u16 v50, v26
	ds_load_b128 v[1:4], v26 offset:2
	ds_load_b96 v[13:15], v26 offset:18
	s_waitcnt lgkmcnt(0)
	s_barrier
	buffer_gl0_inv
	s_clause 0xe
	flat_load_b32 v16, v[5:6]
	flat_load_b32 v17, v[5:6] offset:1024
	flat_load_b32 v18, v[5:6] offset:2048
	flat_load_b32 v5, v[5:6] offset:3072
	flat_load_b32 v19, v[7:8]
	flat_load_b32 v20, v[7:8] offset:1024
	flat_load_b32 v21, v[7:8] offset:2048
	flat_load_b32 v22, v[7:8] offset:3072
	;; [unrolled: 4-line block ×3, first 2 shown]
	flat_load_b32 v29, v[11:12]
	flat_load_b32 v30, v[11:12] offset:1024
	flat_load_b32 v31, v[11:12] offset:2048
	v_mul_u32_u24_e32 v6, 15, v0
	v_mad_u32_u24 v7, v0, 15, 1
	v_mad_u32_u24 v9, v0, 15, 3
	;; [unrolled: 1-line block ×3, first 2 shown]
	v_mad_i32_i24 v26, 0xffffffe6, v0, v26
	v_mad_u32_u24 v12, v0, 15, 9
	v_mad_u32_u24 v11, v0, 15, 11
	v_mad_u32_u24 v10, v0, 15, 13
	s_waitcnt vmcnt(13) lgkmcnt(13)
	ds_store_2addr_stride64_b32 v26, v16, v17 offset1:4
	s_waitcnt vmcnt(11) lgkmcnt(12)
	ds_store_2addr_stride64_b32 v26, v18, v5 offset0:8 offset1:12
	s_waitcnt vmcnt(9) lgkmcnt(11)
	ds_store_2addr_stride64_b32 v26, v19, v20 offset0:16 offset1:20
	;; [unrolled: 2-line block ×6, first 2 shown]
	s_waitcnt vmcnt(0) lgkmcnt(7)
	ds_store_b32 v26, v31 offset:14336
	s_waitcnt lgkmcnt(0)
	s_barrier
	s_and_not1_b32 vcc_lo, exec_lo, s3
	s_add_i32 s21, s21, s40
	s_cbranch_vccz .LBB866_3
	s_branch .LBB866_64
.LBB866_2:
                                        ; implicit-def: $vgpr1
                                        ; implicit-def: $vgpr13
                                        ; implicit-def: $vgpr10
                                        ; implicit-def: $vgpr11
                                        ; implicit-def: $vgpr12
                                        ; implicit-def: $vgpr27
                                        ; implicit-def: $vgpr8
                                        ; implicit-def: $vgpr9
                                        ; implicit-def: $vgpr7
                                        ; implicit-def: $vgpr6
                                        ; implicit-def: $vgpr50
	s_add_i32 s21, s21, s40
.LBB866_3:
	s_delay_alu instid0(SALU_CYCLE_1)
	v_cmp_gt_u32_e32 vcc_lo, s21, v0
                                        ; implicit-def: $vgpr1
	s_and_saveexec_b32 s0, vcc_lo
	s_cbranch_execz .LBB866_5
; %bb.4:
	v_lshlrev_b32_e32 v1, 1, v0
	s_delay_alu instid0(VALU_DEP_1) | instskip(NEXT) | instid1(VALU_DEP_1)
	v_add_co_u32 v1, s1, s29, v1
	v_add_co_ci_u32_e64 v2, null, s14, 0, s1
	flat_load_u16 v1, v[1:2]
.LBB866_5:
	s_or_b32 exec_lo, exec_lo, s0
	v_or_b32_e32 v2, 0x100, v0
	s_delay_alu instid0(VALU_DEP_1) | instskip(NEXT) | instid1(VALU_DEP_1)
	v_cmp_gt_u32_e64 s0, s21, v2
                                        ; implicit-def: $vgpr2
	s_and_saveexec_b32 s1, s0
	s_cbranch_execz .LBB866_7
; %bb.6:
	v_lshlrev_b32_e32 v2, 1, v0
	s_delay_alu instid0(VALU_DEP_1) | instskip(NEXT) | instid1(VALU_DEP_1)
	v_add_co_u32 v2, s2, s29, v2
	v_add_co_ci_u32_e64 v3, null, s14, 0, s2
	flat_load_u16 v2, v[2:3] offset:512
.LBB866_7:
	s_or_b32 exec_lo, exec_lo, s1
	v_or_b32_e32 v3, 0x200, v0
	s_delay_alu instid0(VALU_DEP_1) | instskip(NEXT) | instid1(VALU_DEP_1)
	v_cmp_gt_u32_e64 s1, s21, v3
                                        ; implicit-def: $vgpr3
	s_and_saveexec_b32 s2, s1
	s_cbranch_execz .LBB866_9
; %bb.8:
	v_lshlrev_b32_e32 v3, 1, v0
	s_delay_alu instid0(VALU_DEP_1) | instskip(NEXT) | instid1(VALU_DEP_1)
	v_add_co_u32 v3, s3, s29, v3
	v_add_co_ci_u32_e64 v4, null, s14, 0, s3
	flat_load_u16 v3, v[3:4] offset:1024
.LBB866_9:
	s_or_b32 exec_lo, exec_lo, s2
	v_or_b32_e32 v4, 0x300, v0
	s_delay_alu instid0(VALU_DEP_1) | instskip(NEXT) | instid1(VALU_DEP_1)
	v_cmp_gt_u32_e64 s2, s21, v4
                                        ; implicit-def: $vgpr4
	s_and_saveexec_b32 s3, s2
	s_cbranch_execz .LBB866_11
; %bb.10:
	v_lshlrev_b32_e32 v4, 1, v0
	s_delay_alu instid0(VALU_DEP_1) | instskip(NEXT) | instid1(VALU_DEP_1)
	v_add_co_u32 v4, s4, s29, v4
	v_add_co_ci_u32_e64 v5, null, s14, 0, s4
	flat_load_u16 v4, v[4:5] offset:1536
.LBB866_11:
	s_or_b32 exec_lo, exec_lo, s3
	v_or_b32_e32 v5, 0x400, v0
                                        ; implicit-def: $vgpr13
	s_delay_alu instid0(VALU_DEP_1) | instskip(NEXT) | instid1(VALU_DEP_1)
	v_cmp_gt_u32_e64 s3, s21, v5
	s_and_saveexec_b32 s4, s3
	s_cbranch_execz .LBB866_13
; %bb.12:
	v_lshlrev_b32_e32 v6, 1, v0
	s_delay_alu instid0(VALU_DEP_1) | instskip(NEXT) | instid1(VALU_DEP_1)
	v_add_co_u32 v6, s5, s29, v6
	v_add_co_ci_u32_e64 v7, null, s14, 0, s5
	flat_load_u16 v13, v[6:7] offset:2048
.LBB866_13:
	s_or_b32 exec_lo, exec_lo, s4
	v_or_b32_e32 v6, 0x500, v0
                                        ; implicit-def: $vgpr14
	s_delay_alu instid0(VALU_DEP_1) | instskip(NEXT) | instid1(VALU_DEP_1)
	v_cmp_gt_u32_e64 s4, s21, v6
	s_and_saveexec_b32 s5, s4
	s_cbranch_execz .LBB866_15
; %bb.14:
	v_lshlrev_b32_e32 v7, 1, v0
	s_delay_alu instid0(VALU_DEP_1) | instskip(NEXT) | instid1(VALU_DEP_1)
	v_add_co_u32 v7, s6, s29, v7
	v_add_co_ci_u32_e64 v8, null, s14, 0, s6
	flat_load_u16 v14, v[7:8] offset:2560
.LBB866_15:
	s_or_b32 exec_lo, exec_lo, s5
	v_or_b32_e32 v7, 0x600, v0
                                        ; implicit-def: $vgpr15
	s_delay_alu instid0(VALU_DEP_1) | instskip(NEXT) | instid1(VALU_DEP_1)
	v_cmp_gt_u32_e64 s5, s21, v7
	s_and_saveexec_b32 s6, s5
	s_cbranch_execz .LBB866_17
; %bb.16:
	v_lshlrev_b32_e32 v8, 1, v0
	s_delay_alu instid0(VALU_DEP_1) | instskip(NEXT) | instid1(VALU_DEP_1)
	v_add_co_u32 v8, s7, s29, v8
	v_add_co_ci_u32_e64 v9, null, s14, 0, s7
	flat_load_u16 v15, v[8:9] offset:3072
.LBB866_17:
	s_or_b32 exec_lo, exec_lo, s6
	v_or_b32_e32 v8, 0x700, v0
                                        ; implicit-def: $vgpr19
	s_delay_alu instid0(VALU_DEP_1) | instskip(NEXT) | instid1(VALU_DEP_1)
	v_cmp_gt_u32_e64 s6, s21, v8
	s_and_saveexec_b32 s7, s6
	s_cbranch_execz .LBB866_19
; %bb.18:
	v_lshlrev_b32_e32 v9, 1, v0
	s_delay_alu instid0(VALU_DEP_1) | instskip(NEXT) | instid1(VALU_DEP_1)
	v_add_co_u32 v9, s8, s29, v9
	v_add_co_ci_u32_e64 v10, null, s14, 0, s8
	flat_load_u16 v19, v[9:10] offset:3584
.LBB866_19:
	s_or_b32 exec_lo, exec_lo, s7
	v_or_b32_e32 v9, 0x800, v0
                                        ; implicit-def: $vgpr20
	s_delay_alu instid0(VALU_DEP_1) | instskip(NEXT) | instid1(VALU_DEP_1)
	v_cmp_gt_u32_e64 s7, s21, v9
	s_and_saveexec_b32 s8, s7
	s_cbranch_execz .LBB866_21
; %bb.20:
	v_lshlrev_b32_e32 v10, 1, v9
	s_delay_alu instid0(VALU_DEP_1) | instskip(NEXT) | instid1(VALU_DEP_1)
	v_add_co_u32 v10, s9, s29, v10
	v_add_co_ci_u32_e64 v11, null, s14, 0, s9
	flat_load_u16 v20, v[10:11]
.LBB866_21:
	s_or_b32 exec_lo, exec_lo, s8
	v_or_b32_e32 v10, 0x900, v0
                                        ; implicit-def: $vgpr21
	s_delay_alu instid0(VALU_DEP_1) | instskip(NEXT) | instid1(VALU_DEP_1)
	v_cmp_gt_u32_e64 s8, s21, v10
	s_and_saveexec_b32 s9, s8
	s_cbranch_execz .LBB866_23
; %bb.22:
	v_lshlrev_b32_e32 v11, 1, v10
	s_delay_alu instid0(VALU_DEP_1) | instskip(NEXT) | instid1(VALU_DEP_1)
	v_add_co_u32 v11, s10, s29, v11
	v_add_co_ci_u32_e64 v12, null, s14, 0, s10
	flat_load_u16 v21, v[11:12]
.LBB866_23:
	s_or_b32 exec_lo, exec_lo, s9
	v_or_b32_e32 v11, 0xa00, v0
                                        ; implicit-def: $vgpr22
	s_delay_alu instid0(VALU_DEP_1) | instskip(NEXT) | instid1(VALU_DEP_1)
	v_cmp_gt_u32_e64 s9, s21, v11
	s_and_saveexec_b32 s10, s9
	s_cbranch_execz .LBB866_25
; %bb.24:
	v_lshlrev_b32_e32 v12, 1, v11
	s_delay_alu instid0(VALU_DEP_1) | instskip(NEXT) | instid1(VALU_DEP_1)
	v_add_co_u32 v16, s11, s29, v12
	v_add_co_ci_u32_e64 v17, null, s14, 0, s11
	flat_load_u16 v22, v[16:17]
.LBB866_25:
	s_or_b32 exec_lo, exec_lo, s10
	v_or_b32_e32 v12, 0xb00, v0
                                        ; implicit-def: $vgpr23
	s_delay_alu instid0(VALU_DEP_1) | instskip(NEXT) | instid1(VALU_DEP_1)
	v_cmp_gt_u32_e64 s10, s21, v12
	s_and_saveexec_b32 s11, s10
	s_cbranch_execz .LBB866_27
; %bb.26:
	v_lshlrev_b32_e32 v16, 1, v12
	s_delay_alu instid0(VALU_DEP_1) | instskip(NEXT) | instid1(VALU_DEP_1)
	v_add_co_u32 v16, s12, s29, v16
	v_add_co_ci_u32_e64 v17, null, s14, 0, s12
	flat_load_u16 v23, v[16:17]
.LBB866_27:
	s_or_b32 exec_lo, exec_lo, s11
	v_or_b32_e32 v16, 0xc00, v0
                                        ; implicit-def: $vgpr24
	s_delay_alu instid0(VALU_DEP_1) | instskip(NEXT) | instid1(VALU_DEP_1)
	v_cmp_gt_u32_e64 s11, s21, v16
	s_and_saveexec_b32 s12, s11
	s_cbranch_execz .LBB866_29
; %bb.28:
	v_lshlrev_b32_e32 v17, 1, v16
	s_delay_alu instid0(VALU_DEP_1) | instskip(NEXT) | instid1(VALU_DEP_1)
	v_add_co_u32 v17, s13, s29, v17
	v_add_co_ci_u32_e64 v18, null, s14, 0, s13
	flat_load_u16 v24, v[17:18]
.LBB866_29:
	s_or_b32 exec_lo, exec_lo, s12
	v_or_b32_e32 v17, 0xd00, v0
                                        ; implicit-def: $vgpr25
	s_delay_alu instid0(VALU_DEP_1) | instskip(NEXT) | instid1(VALU_DEP_1)
	v_cmp_gt_u32_e64 s12, s21, v17
	s_and_saveexec_b32 s13, s12
	s_cbranch_execz .LBB866_31
; %bb.30:
	v_lshlrev_b32_e32 v18, 1, v17
	s_delay_alu instid0(VALU_DEP_1) | instskip(NEXT) | instid1(VALU_DEP_1)
	v_add_co_u32 v25, s30, s29, v18
	v_add_co_ci_u32_e64 v26, null, s14, 0, s30
	flat_load_u16 v25, v[25:26]
.LBB866_31:
	s_or_b32 exec_lo, exec_lo, s13
	v_or_b32_e32 v18, 0xe00, v0
                                        ; implicit-def: $vgpr26
	s_delay_alu instid0(VALU_DEP_1) | instskip(NEXT) | instid1(VALU_DEP_1)
	v_cmp_gt_u32_e64 s13, s21, v18
	s_and_saveexec_b32 s30, s13
	s_cbranch_execz .LBB866_33
; %bb.32:
	v_lshlrev_b32_e32 v26, 1, v18
	s_delay_alu instid0(VALU_DEP_1) | instskip(NEXT) | instid1(VALU_DEP_1)
	v_add_co_u32 v26, s31, s29, v26
	v_add_co_ci_u32_e64 v27, null, s14, 0, s31
	flat_load_u16 v26, v[26:27]
.LBB866_33:
	s_or_b32 exec_lo, exec_lo, s30
	v_lshlrev_b32_e32 v27, 1, v0
	s_waitcnt vmcnt(0) lgkmcnt(0)
	ds_store_b16 v27, v1
	ds_store_b16 v27, v2 offset:512
	ds_store_b16 v27, v3 offset:1024
	;; [unrolled: 1-line block ×7, first 2 shown]
	v_mad_u32_u24 v19, v0, 28, v27
	ds_store_b16 v27, v20 offset:4096
	ds_store_b16 v27, v21 offset:4608
	;; [unrolled: 1-line block ×7, first 2 shown]
	s_waitcnt lgkmcnt(0)
	s_barrier
	buffer_gl0_inv
	ds_load_u16 v50, v19
	ds_load_b128 v[1:4], v19 offset:2
	ds_load_b96 v[13:15], v19 offset:18
	s_waitcnt lgkmcnt(0)
	s_barrier
	buffer_gl0_inv
                                        ; implicit-def: $vgpr20
	s_and_saveexec_b32 s30, vcc_lo
	s_cbranch_execz .LBB866_47
; %bb.34:
	v_lshlrev_b32_e32 v20, 2, v0
	s_delay_alu instid0(VALU_DEP_1) | instskip(NEXT) | instid1(VALU_DEP_1)
	v_add_co_u32 v20, s31, s19, v20
	v_add_co_ci_u32_e64 v21, null, s28, 0, s31
	flat_load_b32 v20, v[20:21]
	s_or_b32 exec_lo, exec_lo, s30
                                        ; implicit-def: $vgpr21
	s_and_saveexec_b32 s30, s0
	s_cbranch_execnz .LBB866_48
.LBB866_35:
	s_or_b32 exec_lo, exec_lo, s30
                                        ; implicit-def: $vgpr22
	s_and_saveexec_b32 s0, s1
	s_cbranch_execz .LBB866_49
.LBB866_36:
	v_lshlrev_b32_e32 v22, 2, v0
	s_delay_alu instid0(VALU_DEP_1) | instskip(NEXT) | instid1(VALU_DEP_1)
	v_add_co_u32 v22, s1, s19, v22
	v_add_co_ci_u32_e64 v23, null, s28, 0, s1
	flat_load_b32 v22, v[22:23] offset:2048
	s_or_b32 exec_lo, exec_lo, s0
                                        ; implicit-def: $vgpr23
	s_and_saveexec_b32 s0, s2
	s_cbranch_execnz .LBB866_50
.LBB866_37:
	s_or_b32 exec_lo, exec_lo, s0
                                        ; implicit-def: $vgpr24
	s_and_saveexec_b32 s0, s3
	s_cbranch_execz .LBB866_51
.LBB866_38:
	v_lshlrev_b32_e32 v5, 2, v5
	s_delay_alu instid0(VALU_DEP_1) | instskip(NEXT) | instid1(VALU_DEP_1)
	v_add_co_u32 v24, s1, s19, v5
	v_add_co_ci_u32_e64 v25, null, s28, 0, s1
	flat_load_b32 v24, v[24:25]
	s_or_b32 exec_lo, exec_lo, s0
                                        ; implicit-def: $vgpr5
	s_and_saveexec_b32 s0, s4
	s_cbranch_execnz .LBB866_52
.LBB866_39:
	s_or_b32 exec_lo, exec_lo, s0
                                        ; implicit-def: $vgpr25
	s_and_saveexec_b32 s0, s5
	s_cbranch_execz .LBB866_53
.LBB866_40:
	v_lshlrev_b32_e32 v6, 2, v7
	s_delay_alu instid0(VALU_DEP_1) | instskip(NEXT) | instid1(VALU_DEP_1)
	v_add_co_u32 v6, s1, s19, v6
	v_add_co_ci_u32_e64 v7, null, s28, 0, s1
	flat_load_b32 v25, v[6:7]
	s_or_b32 exec_lo, exec_lo, s0
                                        ; implicit-def: $vgpr26
	s_and_saveexec_b32 s0, s6
	s_cbranch_execnz .LBB866_54
.LBB866_41:
	s_or_b32 exec_lo, exec_lo, s0
                                        ; implicit-def: $vgpr28
	s_and_saveexec_b32 s0, s7
	s_cbranch_execz .LBB866_55
.LBB866_42:
	v_lshlrev_b32_e32 v6, 2, v9
	s_delay_alu instid0(VALU_DEP_1) | instskip(NEXT) | instid1(VALU_DEP_1)
	v_add_co_u32 v6, s1, s19, v6
	v_add_co_ci_u32_e64 v7, null, s28, 0, s1
	flat_load_b32 v28, v[6:7]
	s_or_b32 exec_lo, exec_lo, s0
                                        ; implicit-def: $vgpr29
	s_and_saveexec_b32 s0, s8
	s_cbranch_execnz .LBB866_56
.LBB866_43:
	s_or_b32 exec_lo, exec_lo, s0
                                        ; implicit-def: $vgpr30
	s_and_saveexec_b32 s0, s9
	s_cbranch_execz .LBB866_57
.LBB866_44:
	v_lshlrev_b32_e32 v6, 2, v11
	s_delay_alu instid0(VALU_DEP_1) | instskip(NEXT) | instid1(VALU_DEP_1)
	v_add_co_u32 v6, s1, s19, v6
	v_add_co_ci_u32_e64 v7, null, s28, 0, s1
	flat_load_b32 v30, v[6:7]
	s_or_b32 exec_lo, exec_lo, s0
                                        ; implicit-def: $vgpr31
	s_and_saveexec_b32 s0, s10
	s_cbranch_execnz .LBB866_58
.LBB866_45:
	s_or_b32 exec_lo, exec_lo, s0
                                        ; implicit-def: $vgpr32
	s_and_saveexec_b32 s0, s11
	s_cbranch_execz .LBB866_59
.LBB866_46:
	v_lshlrev_b32_e32 v6, 2, v16
	s_delay_alu instid0(VALU_DEP_1) | instskip(NEXT) | instid1(VALU_DEP_1)
	v_add_co_u32 v6, s1, s19, v6
	v_add_co_ci_u32_e64 v7, null, s28, 0, s1
	flat_load_b32 v32, v[6:7]
	s_or_b32 exec_lo, exec_lo, s0
                                        ; implicit-def: $vgpr16
	s_and_saveexec_b32 s0, s12
	s_cbranch_execz .LBB866_61
	s_branch .LBB866_60
.LBB866_47:
	s_or_b32 exec_lo, exec_lo, s30
                                        ; implicit-def: $vgpr21
	s_and_saveexec_b32 s30, s0
	s_cbranch_execz .LBB866_35
.LBB866_48:
	v_lshlrev_b32_e32 v21, 2, v0
	s_delay_alu instid0(VALU_DEP_1) | instskip(NEXT) | instid1(VALU_DEP_1)
	v_add_co_u32 v21, s0, s19, v21
	v_add_co_ci_u32_e64 v22, null, s28, 0, s0
	flat_load_b32 v21, v[21:22] offset:1024
	s_or_b32 exec_lo, exec_lo, s30
                                        ; implicit-def: $vgpr22
	s_and_saveexec_b32 s0, s1
	s_cbranch_execnz .LBB866_36
.LBB866_49:
	s_or_b32 exec_lo, exec_lo, s0
                                        ; implicit-def: $vgpr23
	s_and_saveexec_b32 s0, s2
	s_cbranch_execz .LBB866_37
.LBB866_50:
	v_lshlrev_b32_e32 v23, 2, v0
	s_delay_alu instid0(VALU_DEP_1) | instskip(NEXT) | instid1(VALU_DEP_1)
	v_add_co_u32 v23, s1, s19, v23
	v_add_co_ci_u32_e64 v24, null, s28, 0, s1
	flat_load_b32 v23, v[23:24] offset:3072
	s_or_b32 exec_lo, exec_lo, s0
                                        ; implicit-def: $vgpr24
	s_and_saveexec_b32 s0, s3
	s_cbranch_execnz .LBB866_38
.LBB866_51:
	s_or_b32 exec_lo, exec_lo, s0
                                        ; implicit-def: $vgpr5
	s_and_saveexec_b32 s0, s4
	s_cbranch_execz .LBB866_39
.LBB866_52:
	v_lshlrev_b32_e32 v5, 2, v6
	s_delay_alu instid0(VALU_DEP_1) | instskip(NEXT) | instid1(VALU_DEP_1)
	v_add_co_u32 v5, s1, s19, v5
	v_add_co_ci_u32_e64 v6, null, s28, 0, s1
	flat_load_b32 v5, v[5:6]
	s_or_b32 exec_lo, exec_lo, s0
                                        ; implicit-def: $vgpr25
	s_and_saveexec_b32 s0, s5
	s_cbranch_execnz .LBB866_40
.LBB866_53:
	s_or_b32 exec_lo, exec_lo, s0
                                        ; implicit-def: $vgpr26
	s_and_saveexec_b32 s0, s6
	s_cbranch_execz .LBB866_41
.LBB866_54:
	v_lshlrev_b32_e32 v6, 2, v8
	s_delay_alu instid0(VALU_DEP_1) | instskip(NEXT) | instid1(VALU_DEP_1)
	v_add_co_u32 v6, s1, s19, v6
	v_add_co_ci_u32_e64 v7, null, s28, 0, s1
	flat_load_b32 v26, v[6:7]
	s_or_b32 exec_lo, exec_lo, s0
                                        ; implicit-def: $vgpr28
	s_and_saveexec_b32 s0, s7
	s_cbranch_execnz .LBB866_42
.LBB866_55:
	s_or_b32 exec_lo, exec_lo, s0
                                        ; implicit-def: $vgpr29
	s_and_saveexec_b32 s0, s8
	s_cbranch_execz .LBB866_43
.LBB866_56:
	v_lshlrev_b32_e32 v6, 2, v10
	s_delay_alu instid0(VALU_DEP_1) | instskip(NEXT) | instid1(VALU_DEP_1)
	v_add_co_u32 v6, s1, s19, v6
	v_add_co_ci_u32_e64 v7, null, s28, 0, s1
	flat_load_b32 v29, v[6:7]
	s_or_b32 exec_lo, exec_lo, s0
                                        ; implicit-def: $vgpr30
	s_and_saveexec_b32 s0, s9
	s_cbranch_execnz .LBB866_44
.LBB866_57:
	s_or_b32 exec_lo, exec_lo, s0
                                        ; implicit-def: $vgpr31
	s_and_saveexec_b32 s0, s10
	s_cbranch_execz .LBB866_45
.LBB866_58:
	v_lshlrev_b32_e32 v6, 2, v12
	s_delay_alu instid0(VALU_DEP_1) | instskip(NEXT) | instid1(VALU_DEP_1)
	v_add_co_u32 v6, s1, s19, v6
	v_add_co_ci_u32_e64 v7, null, s28, 0, s1
	flat_load_b32 v31, v[6:7]
	s_or_b32 exec_lo, exec_lo, s0
                                        ; implicit-def: $vgpr32
	s_and_saveexec_b32 s0, s11
	s_cbranch_execnz .LBB866_46
.LBB866_59:
	s_or_b32 exec_lo, exec_lo, s0
                                        ; implicit-def: $vgpr16
	s_and_saveexec_b32 s0, s12
	s_cbranch_execz .LBB866_61
.LBB866_60:
	v_lshlrev_b32_e32 v6, 2, v17
	s_delay_alu instid0(VALU_DEP_1) | instskip(NEXT) | instid1(VALU_DEP_1)
	v_add_co_u32 v6, s1, s19, v6
	v_add_co_ci_u32_e64 v7, null, s28, 0, s1
	flat_load_b32 v16, v[6:7]
.LBB866_61:
	s_or_b32 exec_lo, exec_lo, s0
	v_mul_u32_u24_e32 v6, 15, v0
                                        ; implicit-def: $vgpr17
	s_and_saveexec_b32 s0, s13
	s_cbranch_execz .LBB866_63
; %bb.62:
	v_lshlrev_b32_e32 v7, 2, v18
	s_delay_alu instid0(VALU_DEP_1) | instskip(NEXT) | instid1(VALU_DEP_1)
	v_add_co_u32 v7, s1, s19, v7
	v_add_co_ci_u32_e64 v8, null, s28, 0, s1
	flat_load_b32 v17, v[7:8]
.LBB866_63:
	s_or_b32 exec_lo, exec_lo, s0
	s_delay_alu instid0(VALU_DEP_1)
	v_add_nc_u32_e32 v7, 1, v6
	v_add_nc_u32_e32 v9, 3, v6
	;; [unrolled: 1-line block ×3, first 2 shown]
	v_mad_i32_i24 v18, 0xffffffe6, v0, v19
	v_add_nc_u32_e32 v27, 7, v6
	v_add_nc_u32_e32 v12, 9, v6
	v_add_nc_u32_e32 v11, 11, v6
	v_add_nc_u32_e32 v10, 13, v6
	s_waitcnt vmcnt(0) lgkmcnt(0)
	ds_store_2addr_stride64_b32 v18, v20, v21 offset1:4
	ds_store_2addr_stride64_b32 v18, v22, v23 offset0:8 offset1:12
	ds_store_2addr_stride64_b32 v18, v24, v5 offset0:16 offset1:20
	;; [unrolled: 1-line block ×6, first 2 shown]
	ds_store_b32 v18, v17 offset:14336
	s_waitcnt lgkmcnt(0)
	s_barrier
.LBB866_64:
	v_lshlrev_b32_e32 v5, 2, v6
	buffer_gl0_inv
	v_lshlrev_b32_e32 v6, 2, v9
	v_lshlrev_b32_e32 v9, 2, v12
	;; [unrolled: 1-line block ×3, first 2 shown]
	ds_load_2addr_b32 v[22:23], v5 offset1:2
	ds_load_2addr_b32 v[20:21], v5 offset0:4 offset1:6
	ds_load_2addr_b32 v[18:19], v5 offset0:8 offset1:10
	;; [unrolled: 1-line block ×3, first 2 shown]
	v_lshlrev_b32_e32 v5, 2, v7
	v_lshlrev_b32_e32 v7, 2, v8
	;; [unrolled: 1-line block ×4, first 2 shown]
	ds_load_b32 v73, v5
	ds_load_b32 v72, v6
	;; [unrolled: 1-line block ×7, first 2 shown]
	s_cmp_eq_u64 s[16:17], 0
	s_waitcnt lgkmcnt(0)
	s_cselect_b32 s28, -1, 0
	s_cmp_lg_u64 s[16:17], 0
	s_barrier
	s_cselect_b32 s33, -1, 0
	s_and_b32 vcc_lo, exec_lo, s18
	buffer_gl0_inv
	s_cbranch_vccz .LBB866_70
; %bb.65:
	s_and_b32 vcc_lo, exec_lo, s33
	s_cbranch_vccz .LBB866_135
; %bb.66:
	v_add_co_u32 v5, s0, -2, s29
	s_delay_alu instid0(VALU_DEP_1)
	v_add_co_ci_u32_e64 v6, null, -1, s14, s0
	v_lshrrev_b32_e32 v7, 16, v15
	v_lshrrev_b32_e32 v8, 16, v14
	;; [unrolled: 1-line block ×3, first 2 shown]
	flat_load_u16 v5, v[5:6]
	v_lshlrev_b32_e32 v6, 1, v0
	v_cmp_ne_u16_e32 vcc_lo, v15, v7
	v_cmp_ne_u16_e64 s0, v8, v15
	v_cmp_ne_u16_e64 s1, v14, v8
	v_cmp_ne_u16_e64 s2, v9, v14
	ds_store_b16 v6, v7
	v_lshrrev_b32_e32 v7, 16, v4
	v_cmp_ne_u16_e64 s3, v13, v9
	v_lshrrev_b32_e32 v8, 16, v3
	v_lshrrev_b32_e32 v9, 16, v2
	v_cmp_ne_u16_e64 s12, v50, v1
	v_cmp_ne_u16_e64 s4, v7, v13
	;; [unrolled: 1-line block ×3, first 2 shown]
	v_lshrrev_b32_e32 v7, 16, v1
	v_cmp_ne_u16_e64 s6, v8, v4
	v_cmp_ne_u16_e64 s7, v3, v8
	;; [unrolled: 1-line block ×6, first 2 shown]
	s_mov_b32 s30, -1
	s_mov_b32 s18, 0
	s_mov_b32 s19, exec_lo
	s_waitcnt vmcnt(0) lgkmcnt(0)
	s_barrier
	buffer_gl0_inv
	v_cmpx_ne_u32_e32 0, v0
	s_cbranch_execz .LBB866_68
; %bb.67:
	v_add_nc_u32_e32 v5, -2, v6
	ds_load_u16 v5, v5
.LBB866_68:
	s_or_b32 exec_lo, exec_lo, s19
	v_cndmask_b32_e64 v57, 0, 1, vcc_lo
	v_cndmask_b32_e64 v51, 0, 1, s0
	v_cndmask_b32_e64 v52, 0, 1, s1
	;; [unrolled: 1-line block ×13, first 2 shown]
	s_waitcnt lgkmcnt(0)
	v_cmp_ne_u16_e64 s0, v5, v50
	s_and_b32 vcc_lo, exec_lo, s18
	s_cbranch_vccnz .LBB866_136
.LBB866_69:
                                        ; implicit-def: $sgpr31
	s_branch .LBB866_71
.LBB866_70:
	s_mov_b32 s30, 0
                                        ; implicit-def: $sgpr0
                                        ; implicit-def: $vgpr57
                                        ; implicit-def: $vgpr51
                                        ; implicit-def: $vgpr52
                                        ; implicit-def: $vgpr53
                                        ; implicit-def: $vgpr54
                                        ; implicit-def: $vgpr55
                                        ; implicit-def: $vgpr56
                                        ; implicit-def: $vgpr58
                                        ; implicit-def: $vgpr59
                                        ; implicit-def: $vgpr60
                                        ; implicit-def: $vgpr61
                                        ; implicit-def: $vgpr62
                                        ; implicit-def: $vgpr63
                                        ; implicit-def: $vgpr64
                                        ; implicit-def: $sgpr31
	s_cbranch_execnz .LBB866_139
.LBB866_71:
	v_mov_b32_e32 v65, s31
	s_and_saveexec_b32 s1, s30
.LBB866_72:
	v_cndmask_b32_e64 v65, 0, 1, s0
.LBB866_73:
	s_or_b32 exec_lo, exec_lo, s1
	s_delay_alu instid0(VALU_DEP_1)
	v_add3_u32 v5, v64, v65, v63
	v_cmp_eq_u32_e64 s12, 0, v64
	v_cmp_eq_u32_e64 s11, 0, v63
	;; [unrolled: 1-line block ×4, first 2 shown]
	v_add3_u32 v77, v5, v62, v61
	v_cmp_eq_u32_e64 s8, 0, v60
	v_cmp_eq_u32_e64 s7, 0, v59
	;; [unrolled: 1-line block ×9, first 2 shown]
	v_cmp_eq_u32_e32 vcc_lo, 0, v57
	v_mbcnt_lo_u32_b32 v74, -1, 0
	v_lshrrev_b32_e32 v75, 5, v0
	v_or_b32_e32 v76, 31, v0
	s_cmp_eq_u64 s[26:27], 0
	s_cselect_b32 s16, -1, 0
	s_cmp_lg_u32 s15, 0
	s_cbranch_scc0 .LBB866_104
; %bb.74:
	v_cndmask_b32_e64 v5, 0, v22, s12
	v_add3_u32 v6, v77, v60, v59
	v_and_b32_e32 v8, 15, v74
	s_delay_alu instid0(VALU_DEP_3) | instskip(NEXT) | instid1(VALU_DEP_3)
	v_add_nc_u32_e32 v5, v5, v73
	v_add3_u32 v6, v6, v58, v56
	s_delay_alu instid0(VALU_DEP_3) | instskip(NEXT) | instid1(VALU_DEP_3)
	v_cmp_lt_u32_e64 s13, 1, v8
	v_cndmask_b32_e64 v5, 0, v5, s11
	s_delay_alu instid0(VALU_DEP_3) | instskip(NEXT) | instid1(VALU_DEP_2)
	v_add3_u32 v6, v6, v55, v54
	v_add_nc_u32_e32 v5, v5, v23
	s_delay_alu instid0(VALU_DEP_2) | instskip(NEXT) | instid1(VALU_DEP_2)
	v_add3_u32 v6, v6, v53, v52
	v_cndmask_b32_e64 v5, 0, v5, s10
	s_delay_alu instid0(VALU_DEP_2) | instskip(NEXT) | instid1(VALU_DEP_2)
	v_add3_u32 v6, v6, v51, v57
	v_add_nc_u32_e32 v5, v5, v72
	s_delay_alu instid0(VALU_DEP_2) | instskip(NEXT) | instid1(VALU_DEP_2)
	v_mov_b32_dpp v9, v6 row_shr:1 row_mask:0xf bank_mask:0xf
	v_cndmask_b32_e64 v5, 0, v5, s9
	s_delay_alu instid0(VALU_DEP_1) | instskip(NEXT) | instid1(VALU_DEP_1)
	v_add_nc_u32_e32 v5, v5, v20
	v_cndmask_b32_e64 v5, 0, v5, s8
	s_delay_alu instid0(VALU_DEP_1) | instskip(NEXT) | instid1(VALU_DEP_1)
	v_add_nc_u32_e32 v5, v5, v71
	v_cndmask_b32_e64 v5, 0, v5, s7
	s_delay_alu instid0(VALU_DEP_1) | instskip(NEXT) | instid1(VALU_DEP_1)
	v_add_nc_u32_e32 v5, v5, v21
	v_cndmask_b32_e64 v5, 0, v5, s6
	s_delay_alu instid0(VALU_DEP_1) | instskip(NEXT) | instid1(VALU_DEP_1)
	v_add_nc_u32_e32 v5, v5, v70
	v_cndmask_b32_e64 v5, 0, v5, s5
	s_delay_alu instid0(VALU_DEP_1) | instskip(NEXT) | instid1(VALU_DEP_1)
	v_add_nc_u32_e32 v5, v5, v18
	v_cndmask_b32_e64 v5, 0, v5, s4
	s_delay_alu instid0(VALU_DEP_1) | instskip(NEXT) | instid1(VALU_DEP_1)
	v_add_nc_u32_e32 v5, v5, v69
	v_cndmask_b32_e64 v5, 0, v5, s3
	s_delay_alu instid0(VALU_DEP_1) | instskip(NEXT) | instid1(VALU_DEP_1)
	v_add_nc_u32_e32 v5, v5, v19
	v_cndmask_b32_e64 v5, 0, v5, s2
	s_delay_alu instid0(VALU_DEP_1) | instskip(NEXT) | instid1(VALU_DEP_1)
	v_add_nc_u32_e32 v5, v5, v68
	v_cndmask_b32_e64 v5, 0, v5, s1
	s_delay_alu instid0(VALU_DEP_1) | instskip(NEXT) | instid1(VALU_DEP_1)
	v_add_nc_u32_e32 v5, v5, v16
	v_cndmask_b32_e64 v5, 0, v5, s0
	s_delay_alu instid0(VALU_DEP_1) | instskip(NEXT) | instid1(VALU_DEP_1)
	v_add_nc_u32_e32 v5, v5, v67
	v_cndmask_b32_e32 v5, 0, v5, vcc_lo
	v_cmp_eq_u32_e32 vcc_lo, 0, v6
	s_delay_alu instid0(VALU_DEP_2) | instskip(NEXT) | instid1(VALU_DEP_1)
	v_add_nc_u32_e32 v5, v5, v17
	v_mov_b32_dpp v7, v5 row_shr:1 row_mask:0xf bank_mask:0xf
	s_delay_alu instid0(VALU_DEP_1) | instskip(SKIP_2) | instid1(VALU_DEP_1)
	v_cndmask_b32_e32 v7, 0, v7, vcc_lo
	v_cmp_eq_u32_e32 vcc_lo, 0, v8
	v_cndmask_b32_e64 v9, v9, 0, vcc_lo
	v_add_nc_u32_e32 v6, v9, v6
	s_delay_alu instid0(VALU_DEP_4) | instskip(NEXT) | instid1(VALU_DEP_2)
	v_cndmask_b32_e64 v7, v7, 0, vcc_lo
	v_cmp_eq_u32_e32 vcc_lo, 0, v6
	s_delay_alu instid0(VALU_DEP_2) | instskip(SKIP_2) | instid1(VALU_DEP_2)
	v_add_nc_u32_e32 v5, v7, v5
	v_mov_b32_dpp v7, v6 row_shr:2 row_mask:0xf bank_mask:0xf
	s_and_b32 vcc_lo, s13, vcc_lo
	v_mov_b32_dpp v9, v5 row_shr:2 row_mask:0xf bank_mask:0xf
	s_delay_alu instid0(VALU_DEP_2) | instskip(SKIP_1) | instid1(VALU_DEP_2)
	v_cndmask_b32_e64 v7, 0, v7, s13
	v_cmp_lt_u32_e64 s13, 3, v8
	v_dual_cndmask_b32 v9, 0, v9 :: v_dual_add_nc_u32 v6, v6, v7
	s_delay_alu instid0(VALU_DEP_1) | instskip(NEXT) | instid1(VALU_DEP_2)
	v_add_nc_u32_e32 v5, v9, v5
	v_mov_b32_dpp v7, v6 row_shr:4 row_mask:0xf bank_mask:0xf
	v_cmp_eq_u32_e32 vcc_lo, 0, v6
	s_delay_alu instid0(VALU_DEP_3) | instskip(NEXT) | instid1(VALU_DEP_3)
	v_mov_b32_dpp v9, v5 row_shr:4 row_mask:0xf bank_mask:0xf
	v_cndmask_b32_e64 v7, 0, v7, s13
	s_and_b32 vcc_lo, s13, vcc_lo
	v_cmp_lt_u32_e64 s13, 7, v8
	s_delay_alu instid0(VALU_DEP_2) | instskip(NEXT) | instid1(VALU_DEP_1)
	v_dual_cndmask_b32 v9, 0, v9 :: v_dual_add_nc_u32 v6, v7, v6
	v_add_nc_u32_e32 v5, v5, v9
	s_delay_alu instid0(VALU_DEP_2) | instskip(SKIP_2) | instid1(VALU_DEP_4)
	v_cmp_eq_u32_e32 vcc_lo, 0, v6
	v_mov_b32_dpp v7, v6 row_shr:8 row_mask:0xf bank_mask:0xf
	v_bfe_i32 v9, v74, 4, 1
	v_mov_b32_dpp v8, v5 row_shr:8 row_mask:0xf bank_mask:0xf
	s_and_b32 vcc_lo, s13, vcc_lo
	s_delay_alu instid0(VALU_DEP_3) | instskip(SKIP_1) | instid1(VALU_DEP_2)
	v_cndmask_b32_e64 v7, 0, v7, s13
	s_mov_b32 s13, exec_lo
	v_cndmask_b32_e32 v8, 0, v8, vcc_lo
	s_delay_alu instid0(VALU_DEP_1) | instskip(NEXT) | instid1(VALU_DEP_3)
	v_add_nc_u32_e32 v8, v8, v5
	v_add_nc_u32_e32 v5, v7, v6
	ds_swizzle_b32 v6, v8 offset:swizzle(BROADCAST,32,15)
	ds_swizzle_b32 v7, v5 offset:swizzle(BROADCAST,32,15)
	v_cmp_eq_u32_e32 vcc_lo, 0, v5
	s_waitcnt lgkmcnt(0)
	v_dual_cndmask_b32 v6, 0, v6 :: v_dual_and_b32 v7, v9, v7
	s_delay_alu instid0(VALU_DEP_1) | instskip(NEXT) | instid1(VALU_DEP_2)
	v_and_b32_e32 v6, v9, v6
	v_add_nc_u32_e32 v5, v7, v5
	v_lshlrev_b32_e32 v7, 3, v75
	s_delay_alu instid0(VALU_DEP_3)
	v_add_nc_u32_e32 v6, v6, v8
	v_cmpx_eq_u32_e64 v76, v0
	s_cbranch_execz .LBB866_76
; %bb.75:
	ds_store_b64 v7, v[5:6] offset:1040
.LBB866_76:
	s_or_b32 exec_lo, exec_lo, s13
	s_delay_alu instid0(SALU_CYCLE_1)
	s_mov_b32 s14, exec_lo
	s_waitcnt lgkmcnt(0)
	s_barrier
	buffer_gl0_inv
	v_cmpx_gt_u32_e32 8, v0
	s_cbranch_execz .LBB866_78
; %bb.77:
	v_lshlrev_b32_e32 v10, 3, v0
	v_and_b32_e32 v12, 7, v74
	ds_load_b64 v[8:9], v10 offset:1040
	v_cmp_lt_u32_e64 s13, 1, v12
	s_waitcnt lgkmcnt(0)
	v_mov_b32_dpp v11, v9 row_shr:1 row_mask:0xf bank_mask:0xf
	v_cmp_eq_u32_e32 vcc_lo, 0, v8
	v_mov_b32_dpp v24, v8 row_shr:1 row_mask:0xf bank_mask:0xf
	s_delay_alu instid0(VALU_DEP_3) | instskip(SKIP_1) | instid1(VALU_DEP_3)
	v_cndmask_b32_e32 v11, 0, v11, vcc_lo
	v_cmp_eq_u32_e32 vcc_lo, 0, v12
	v_cndmask_b32_e64 v24, v24, 0, vcc_lo
	s_delay_alu instid0(VALU_DEP_3) | instskip(NEXT) | instid1(VALU_DEP_2)
	v_cndmask_b32_e64 v11, v11, 0, vcc_lo
	v_add_nc_u32_e32 v8, v24, v8
	s_delay_alu instid0(VALU_DEP_1) | instskip(SKIP_1) | instid1(VALU_DEP_3)
	v_cmp_eq_u32_e32 vcc_lo, 0, v8
	s_and_b32 vcc_lo, s13, vcc_lo
	v_add_nc_u32_e32 v9, v11, v9
	v_mov_b32_dpp v11, v8 row_shr:2 row_mask:0xf bank_mask:0xf
	s_delay_alu instid0(VALU_DEP_2) | instskip(NEXT) | instid1(VALU_DEP_2)
	v_mov_b32_dpp v24, v9 row_shr:2 row_mask:0xf bank_mask:0xf
	v_cndmask_b32_e64 v11, 0, v11, s13
	v_cmp_lt_u32_e64 s13, 3, v12
	s_delay_alu instid0(VALU_DEP_3) | instskip(NEXT) | instid1(VALU_DEP_3)
	v_cndmask_b32_e32 v24, 0, v24, vcc_lo
	v_add_nc_u32_e32 v8, v11, v8
	s_delay_alu instid0(VALU_DEP_1) | instskip(SKIP_3) | instid1(VALU_DEP_2)
	v_cmp_eq_u32_e32 vcc_lo, 0, v8
	v_mov_b32_dpp v11, v8 row_shr:4 row_mask:0xf bank_mask:0xf
	s_and_b32 vcc_lo, s13, vcc_lo
	v_add_nc_u32_e32 v9, v24, v9
	v_cndmask_b32_e64 v11, 0, v11, s13
	s_delay_alu instid0(VALU_DEP_2) | instskip(NEXT) | instid1(VALU_DEP_2)
	v_mov_b32_dpp v12, v9 row_shr:4 row_mask:0xf bank_mask:0xf
	v_add_nc_u32_e32 v8, v11, v8
	s_delay_alu instid0(VALU_DEP_2) | instskip(NEXT) | instid1(VALU_DEP_1)
	v_cndmask_b32_e32 v12, 0, v12, vcc_lo
	v_add_nc_u32_e32 v9, v12, v9
	ds_store_b64 v10, v[8:9] offset:1040
.LBB866_78:
	s_or_b32 exec_lo, exec_lo, s14
	v_cmp_gt_u32_e32 vcc_lo, 32, v0
	v_dual_mov_b32 v24, 0 :: v_dual_mov_b32 v25, 0
	s_mov_b32 s14, exec_lo
	s_waitcnt lgkmcnt(0)
	s_barrier
	buffer_gl0_inv
	v_cmpx_lt_u32_e32 31, v0
	s_cbranch_execz .LBB866_80
; %bb.79:
	ds_load_b64 v[24:25], v7 offset:1032
	v_cmp_eq_u32_e64 s13, 0, v5
	s_waitcnt lgkmcnt(0)
	s_delay_alu instid0(VALU_DEP_1) | instskip(SKIP_1) | instid1(VALU_DEP_2)
	v_cndmask_b32_e64 v7, 0, v25, s13
	v_add_nc_u32_e32 v5, v24, v5
	v_add_nc_u32_e32 v6, v7, v6
.LBB866_80:
	s_or_b32 exec_lo, exec_lo, s14
	v_add_nc_u32_e32 v7, -1, v74
	s_delay_alu instid0(VALU_DEP_1) | instskip(NEXT) | instid1(VALU_DEP_1)
	v_cmp_gt_i32_e64 s13, 0, v7
	v_cndmask_b32_e64 v7, v7, v74, s13
	v_cmp_eq_u32_e64 s13, 0, v74
	s_delay_alu instid0(VALU_DEP_2)
	v_lshlrev_b32_e32 v7, 2, v7
	ds_bpermute_b32 v30, v7, v5
	ds_bpermute_b32 v31, v7, v6
	s_and_saveexec_b32 s17, vcc_lo
	s_cbranch_execz .LBB866_103
; %bb.81:
	v_mov_b32_e32 v8, 0
	ds_load_b64 v[5:6], v8 offset:1096
	s_waitcnt lgkmcnt(0)
	v_readfirstlane_b32 s18, v6
	s_and_saveexec_b32 s14, s13
	s_cbranch_execz .LBB866_83
; %bb.82:
	s_add_i32 s26, s15, 32
	s_mov_b32 s27, 0
	v_mov_b32_e32 v7, 1
	s_lshl_b64 s[30:31], s[26:27], 4
	s_mov_b32 s40, s27
	s_add_u32 s30, s24, s30
	s_addc_u32 s31, s25, s31
	s_and_b32 s41, s18, 0xff000000
	s_and_b32 s45, s18, 0xff0000
	s_mov_b32 s44, s27
	v_dual_mov_b32 v9, s30 :: v_dual_mov_b32 v10, s31
	s_or_b64 s[40:41], s[44:45], s[40:41]
	s_and_b32 s45, s18, 0xff00
	s_delay_alu instid0(SALU_CYCLE_1) | instskip(SKIP_1) | instid1(SALU_CYCLE_1)
	s_or_b64 s[40:41], s[40:41], s[44:45]
	s_and_b32 s45, s18, 0xff
	s_or_b64 s[26:27], s[40:41], s[44:45]
	s_delay_alu instid0(SALU_CYCLE_1)
	v_mov_b32_e32 v6, s27
	;;#ASMSTART
	global_store_dwordx4 v[9:10], v[5:8] off	
s_waitcnt vmcnt(0)
	;;#ASMEND
.LBB866_83:
	s_or_b32 exec_lo, exec_lo, s14
	v_xad_u32 v26, v74, -1, s15
	s_mov_b32 s19, 0
	s_mov_b32 s14, exec_lo
	s_delay_alu instid0(VALU_DEP_1) | instskip(NEXT) | instid1(VALU_DEP_1)
	v_add_nc_u32_e32 v7, 32, v26
	v_lshlrev_b64 v[6:7], 4, v[7:8]
	s_delay_alu instid0(VALU_DEP_1) | instskip(NEXT) | instid1(VALU_DEP_2)
	v_add_co_u32 v6, vcc_lo, s24, v6
	v_add_co_ci_u32_e32 v7, vcc_lo, s25, v7, vcc_lo
	;;#ASMSTART
	global_load_dwordx4 v[9:12], v[6:7] off glc	
s_waitcnt vmcnt(0)
	;;#ASMEND
	v_and_b32_e32 v8, 0xff, v10
	v_and_b32_e32 v12, 0xff00, v10
	;; [unrolled: 1-line block ×3, first 2 shown]
	v_or3_b32 v9, v9, 0, 0
	v_and_b32_e32 v10, 0xff000000, v10
	s_delay_alu instid0(VALU_DEP_4) | instskip(SKIP_1) | instid1(VALU_DEP_4)
	v_or3_b32 v8, 0, v8, v12
	v_and_b32_e32 v12, 0xff, v11
	v_or3_b32 v9, v9, 0, 0
	s_delay_alu instid0(VALU_DEP_3) | instskip(NEXT) | instid1(VALU_DEP_3)
	v_or3_b32 v10, v8, v27, v10
	v_cmpx_eq_u16_e32 0, v12
	s_cbranch_execz .LBB866_89
; %bb.84:
	s_mov_b32 s26, 1
	.p2align	6
.LBB866_85:                             ; =>This Loop Header: Depth=1
                                        ;     Child Loop BB866_86 Depth 2
	s_delay_alu instid0(SALU_CYCLE_1)
	s_max_u32 s27, s26, 1
.LBB866_86:                             ;   Parent Loop BB866_85 Depth=1
                                        ; =>  This Inner Loop Header: Depth=2
	s_delay_alu instid0(SALU_CYCLE_1)
	s_add_i32 s27, s27, -1
	s_sleep 1
	s_cmp_eq_u32 s27, 0
	s_cbranch_scc0 .LBB866_86
; %bb.87:                               ;   in Loop: Header=BB866_85 Depth=1
	;;#ASMSTART
	global_load_dwordx4 v[9:12], v[6:7] off glc	
s_waitcnt vmcnt(0)
	;;#ASMEND
	v_and_b32_e32 v8, 0xff, v11
	s_cmp_lt_u32 s26, 32
	s_cselect_b32 s27, -1, 0
	s_delay_alu instid0(VALU_DEP_1) | instskip(SKIP_3) | instid1(SALU_CYCLE_1)
	v_cmp_ne_u16_e32 vcc_lo, 0, v8
	s_cmp_lg_u32 s27, 0
	s_addc_u32 s26, s26, 0
	s_or_b32 s19, vcc_lo, s19
	s_and_not1_b32 exec_lo, exec_lo, s19
	s_cbranch_execnz .LBB866_85
; %bb.88:
	s_or_b32 exec_lo, exec_lo, s19
.LBB866_89:
	s_delay_alu instid0(SALU_CYCLE_1)
	s_or_b32 exec_lo, exec_lo, s14
	v_cmp_ne_u32_e32 vcc_lo, 31, v74
	v_and_b32_e32 v7, 0xff, v11
	v_lshlrev_b32_e64 v32, v74, -1
	v_add_nc_u32_e32 v34, 2, v74
	v_add_nc_u32_e32 v36, 4, v74
	v_add_co_ci_u32_e32 v6, vcc_lo, 0, v74, vcc_lo
	v_cmp_eq_u16_e32 vcc_lo, 2, v7
	v_add_nc_u32_e32 v38, 8, v74
	v_add_nc_u32_e32 v40, 16, v74
	v_and_or_b32 v12, vcc_lo, v32, 0x80000000
	v_cmp_gt_u32_e32 vcc_lo, 30, v74
	s_delay_alu instid0(VALU_DEP_2) | instskip(SKIP_2) | instid1(VALU_DEP_3)
	v_ctz_i32_b32_e32 v12, v12
	v_cndmask_b32_e64 v27, 0, 1, vcc_lo
	v_cmp_eq_u32_e32 vcc_lo, 0, v9
	v_cmp_lt_u32_e64 s14, v74, v12
	s_delay_alu instid0(VALU_DEP_3) | instskip(NEXT) | instid1(VALU_DEP_2)
	v_lshlrev_b32_e32 v27, 1, v27
	s_and_b32 vcc_lo, s14, vcc_lo
	v_lshlrev_b32_e32 v6, 2, v6
	s_delay_alu instid0(VALU_DEP_2)
	v_add_lshl_u32 v33, v27, v74, 2
	ds_bpermute_b32 v7, v6, v10
	s_waitcnt lgkmcnt(0)
	v_cndmask_b32_e32 v7, 0, v7, vcc_lo
	ds_bpermute_b32 v8, v6, v9
	v_cmp_gt_u32_e32 vcc_lo, 28, v74
	v_add_nc_u32_e32 v7, v7, v10
	ds_bpermute_b32 v10, v33, v7
	s_waitcnt lgkmcnt(1)
	v_cndmask_b32_e64 v8, 0, v8, s14
	s_delay_alu instid0(VALU_DEP_1) | instskip(SKIP_1) | instid1(VALU_DEP_2)
	v_add_nc_u32_e32 v8, v8, v9
	v_cndmask_b32_e64 v9, 0, 1, vcc_lo
	v_cmp_eq_u32_e32 vcc_lo, 0, v8
	ds_bpermute_b32 v27, v33, v8
	s_waitcnt lgkmcnt(1)
	v_dual_cndmask_b32 v10, 0, v10 :: v_dual_lshlrev_b32 v9, 2, v9
	v_cmp_gt_u32_e32 vcc_lo, v34, v12
	s_delay_alu instid0(VALU_DEP_2) | instskip(NEXT) | instid1(VALU_DEP_3)
	v_add_lshl_u32 v35, v9, v74, 2
	v_cndmask_b32_e64 v10, v10, 0, vcc_lo
	s_delay_alu instid0(VALU_DEP_1) | instskip(SKIP_4) | instid1(VALU_DEP_2)
	v_add_nc_u32_e32 v7, v10, v7
	ds_bpermute_b32 v9, v35, v7
	s_waitcnt lgkmcnt(1)
	v_cndmask_b32_e64 v10, v27, 0, vcc_lo
	v_cmp_gt_u32_e32 vcc_lo, 24, v74
	v_add_nc_u32_e32 v8, v8, v10
	v_cndmask_b32_e64 v27, 0, 1, vcc_lo
	ds_bpermute_b32 v10, v35, v8
	v_cmp_eq_u32_e32 vcc_lo, 0, v8
	v_lshlrev_b32_e32 v27, 3, v27
	s_delay_alu instid0(VALU_DEP_1) | instskip(SKIP_3) | instid1(VALU_DEP_2)
	v_add_lshl_u32 v37, v27, v74, 2
	s_waitcnt lgkmcnt(1)
	v_cndmask_b32_e32 v9, 0, v9, vcc_lo
	v_cmp_gt_u32_e32 vcc_lo, v36, v12
	v_cndmask_b32_e64 v9, v9, 0, vcc_lo
	s_delay_alu instid0(VALU_DEP_1)
	v_add_nc_u32_e32 v7, v7, v9
	s_waitcnt lgkmcnt(0)
	v_cndmask_b32_e64 v10, v10, 0, vcc_lo
	v_cmp_gt_u32_e32 vcc_lo, 16, v74
	ds_bpermute_b32 v9, v37, v7
	v_add_nc_u32_e32 v8, v8, v10
	v_cndmask_b32_e64 v27, 0, 1, vcc_lo
	ds_bpermute_b32 v10, v37, v8
	v_cmp_eq_u32_e32 vcc_lo, 0, v8
	v_lshlrev_b32_e32 v27, 4, v27
	s_delay_alu instid0(VALU_DEP_1) | instskip(SKIP_4) | instid1(VALU_DEP_2)
	v_add_lshl_u32 v39, v27, v74, 2
	v_mov_b32_e32 v27, 0
	s_waitcnt lgkmcnt(1)
	v_cndmask_b32_e32 v9, 0, v9, vcc_lo
	v_cmp_gt_u32_e32 vcc_lo, v38, v12
	v_cndmask_b32_e64 v9, v9, 0, vcc_lo
	s_delay_alu instid0(VALU_DEP_1)
	v_add_nc_u32_e32 v7, v7, v9
	s_waitcnt lgkmcnt(0)
	v_cndmask_b32_e64 v9, v10, 0, vcc_lo
	ds_bpermute_b32 v10, v39, v7
	v_add_nc_u32_e32 v8, v8, v9
	ds_bpermute_b32 v9, v39, v8
	v_cmp_eq_u32_e32 vcc_lo, 0, v8
	s_waitcnt lgkmcnt(1)
	v_cndmask_b32_e32 v10, 0, v10, vcc_lo
	v_cmp_gt_u32_e32 vcc_lo, v40, v12
	s_delay_alu instid0(VALU_DEP_2) | instskip(SKIP_2) | instid1(VALU_DEP_2)
	v_cndmask_b32_e64 v10, v10, 0, vcc_lo
	s_waitcnt lgkmcnt(0)
	v_cndmask_b32_e64 v9, v9, 0, vcc_lo
	v_add_nc_u32_e32 v10, v10, v7
	s_delay_alu instid0(VALU_DEP_2)
	v_add_nc_u32_e32 v9, v9, v8
	s_branch .LBB866_91
.LBB866_90:                             ;   in Loop: Header=BB866_91 Depth=1
	s_or_b32 exec_lo, exec_lo, s14
	v_and_b32_e32 v12, 0xff, v11
	ds_bpermute_b32 v28, v6, v9
	v_subrev_nc_u32_e32 v26, 32, v26
	v_cmp_eq_u16_e32 vcc_lo, 2, v12
	ds_bpermute_b32 v12, v6, v10
	v_and_or_b32 v29, vcc_lo, v32, 0x80000000
	v_cmp_eq_u32_e32 vcc_lo, 0, v9
	s_delay_alu instid0(VALU_DEP_2) | instskip(NEXT) | instid1(VALU_DEP_1)
	v_ctz_i32_b32_e32 v29, v29
	v_cmp_lt_u32_e64 s14, v74, v29
	s_delay_alu instid0(VALU_DEP_1) | instskip(SKIP_4) | instid1(VALU_DEP_2)
	s_and_b32 vcc_lo, s14, vcc_lo
	s_waitcnt lgkmcnt(1)
	v_cndmask_b32_e64 v28, 0, v28, s14
	s_waitcnt lgkmcnt(0)
	v_cndmask_b32_e32 v12, 0, v12, vcc_lo
	v_add_nc_u32_e32 v9, v28, v9
	s_delay_alu instid0(VALU_DEP_2) | instskip(NEXT) | instid1(VALU_DEP_2)
	v_add_nc_u32_e32 v10, v12, v10
	v_cmp_eq_u32_e32 vcc_lo, 0, v9
	ds_bpermute_b32 v12, v33, v10
	ds_bpermute_b32 v28, v33, v9
	s_waitcnt lgkmcnt(1)
	v_cndmask_b32_e32 v12, 0, v12, vcc_lo
	v_cmp_gt_u32_e32 vcc_lo, v34, v29
	s_delay_alu instid0(VALU_DEP_2) | instskip(SKIP_2) | instid1(VALU_DEP_2)
	v_cndmask_b32_e64 v12, v12, 0, vcc_lo
	s_waitcnt lgkmcnt(0)
	v_cndmask_b32_e64 v28, v28, 0, vcc_lo
	v_add_nc_u32_e32 v10, v12, v10
	s_delay_alu instid0(VALU_DEP_2)
	v_add_nc_u32_e32 v9, v9, v28
	ds_bpermute_b32 v12, v35, v10
	v_cmp_eq_u32_e32 vcc_lo, 0, v9
	ds_bpermute_b32 v28, v35, v9
	s_waitcnt lgkmcnt(1)
	v_cndmask_b32_e32 v12, 0, v12, vcc_lo
	v_cmp_gt_u32_e32 vcc_lo, v36, v29
	s_delay_alu instid0(VALU_DEP_2) | instskip(SKIP_2) | instid1(VALU_DEP_2)
	v_cndmask_b32_e64 v12, v12, 0, vcc_lo
	s_waitcnt lgkmcnt(0)
	v_cndmask_b32_e64 v28, v28, 0, vcc_lo
	v_add_nc_u32_e32 v10, v10, v12
	s_delay_alu instid0(VALU_DEP_2)
	v_add_nc_u32_e32 v9, v9, v28
	ds_bpermute_b32 v12, v37, v10
	ds_bpermute_b32 v28, v37, v9
	v_cmp_eq_u32_e32 vcc_lo, 0, v9
	s_waitcnt lgkmcnt(1)
	v_cndmask_b32_e32 v12, 0, v12, vcc_lo
	v_cmp_gt_u32_e32 vcc_lo, v38, v29
	s_delay_alu instid0(VALU_DEP_2) | instskip(SKIP_2) | instid1(VALU_DEP_2)
	v_cndmask_b32_e64 v12, v12, 0, vcc_lo
	s_waitcnt lgkmcnt(0)
	v_cndmask_b32_e64 v28, v28, 0, vcc_lo
	v_add_nc_u32_e32 v10, v10, v12
	s_delay_alu instid0(VALU_DEP_2)
	v_add_nc_u32_e32 v9, v9, v28
	ds_bpermute_b32 v12, v39, v10
	ds_bpermute_b32 v28, v39, v9
	v_cmp_eq_u32_e32 vcc_lo, 0, v9
	s_waitcnt lgkmcnt(1)
	v_cndmask_b32_e32 v12, 0, v12, vcc_lo
	v_cmp_gt_u32_e32 vcc_lo, v40, v29
	s_delay_alu instid0(VALU_DEP_2) | instskip(NEXT) | instid1(VALU_DEP_1)
	v_cndmask_b32_e64 v12, v12, 0, vcc_lo
	v_add_nc_u32_e32 v10, v12, v10
	s_waitcnt lgkmcnt(0)
	v_cndmask_b32_e64 v12, v28, 0, vcc_lo
	v_cmp_eq_u32_e32 vcc_lo, 0, v7
	s_delay_alu instid0(VALU_DEP_2) | instskip(SKIP_1) | instid1(VALU_DEP_1)
	v_add3_u32 v9, v9, v7, v12
	v_cndmask_b32_e32 v10, 0, v10, vcc_lo
	v_add_nc_u32_e32 v10, v10, v8
.LBB866_91:                             ; =>This Loop Header: Depth=1
                                        ;     Child Loop BB866_94 Depth 2
                                        ;       Child Loop BB866_95 Depth 3
	s_delay_alu instid0(VALU_DEP_1) | instskip(NEXT) | instid1(VALU_DEP_1)
	v_dual_mov_b32 v8, v10 :: v_dual_and_b32 v7, 0xff, v11
	v_cmp_ne_u16_e32 vcc_lo, 2, v7
	v_cndmask_b32_e64 v7, 0, 1, vcc_lo
	;;#ASMSTART
	;;#ASMEND
	s_delay_alu instid0(VALU_DEP_1)
	v_cmp_ne_u32_e32 vcc_lo, 0, v7
	v_mov_b32_e32 v7, v9
	s_cmp_lg_u32 vcc_lo, exec_lo
	s_cbranch_scc1 .LBB866_98
; %bb.92:                               ;   in Loop: Header=BB866_91 Depth=1
	v_lshlrev_b64 v[9:10], 4, v[26:27]
	s_mov_b32 s14, exec_lo
	s_delay_alu instid0(VALU_DEP_1) | instskip(NEXT) | instid1(VALU_DEP_2)
	v_add_co_u32 v28, vcc_lo, s24, v9
	v_add_co_ci_u32_e32 v29, vcc_lo, s25, v10, vcc_lo
	;;#ASMSTART
	global_load_dwordx4 v[9:12], v[28:29] off glc	
s_waitcnt vmcnt(0)
	;;#ASMEND
	v_and_b32_e32 v12, 0xff, v10
	v_and_b32_e32 v41, 0xff00, v10
	;; [unrolled: 1-line block ×3, first 2 shown]
	v_or3_b32 v9, v9, 0, 0
	v_and_b32_e32 v10, 0xff000000, v10
	s_delay_alu instid0(VALU_DEP_4) | instskip(SKIP_1) | instid1(VALU_DEP_4)
	v_or3_b32 v12, 0, v12, v41
	v_and_b32_e32 v41, 0xff, v11
	v_or3_b32 v9, v9, 0, 0
	s_delay_alu instid0(VALU_DEP_3) | instskip(NEXT) | instid1(VALU_DEP_3)
	v_or3_b32 v10, v12, v42, v10
	v_cmpx_eq_u16_e32 0, v41
	s_cbranch_execz .LBB866_90
; %bb.93:                               ;   in Loop: Header=BB866_91 Depth=1
	s_mov_b32 s26, 1
	s_mov_b32 s19, 0
	.p2align	6
.LBB866_94:                             ;   Parent Loop BB866_91 Depth=1
                                        ; =>  This Loop Header: Depth=2
                                        ;       Child Loop BB866_95 Depth 3
	s_max_u32 s27, s26, 1
.LBB866_95:                             ;   Parent Loop BB866_91 Depth=1
                                        ;     Parent Loop BB866_94 Depth=2
                                        ; =>    This Inner Loop Header: Depth=3
	s_delay_alu instid0(SALU_CYCLE_1)
	s_add_i32 s27, s27, -1
	s_sleep 1
	s_cmp_eq_u32 s27, 0
	s_cbranch_scc0 .LBB866_95
; %bb.96:                               ;   in Loop: Header=BB866_94 Depth=2
	;;#ASMSTART
	global_load_dwordx4 v[9:12], v[28:29] off glc	
s_waitcnt vmcnt(0)
	;;#ASMEND
	v_and_b32_e32 v12, 0xff, v11
	s_cmp_lt_u32 s26, 32
	s_cselect_b32 s27, -1, 0
	s_delay_alu instid0(SALU_CYCLE_1) | instskip(NEXT) | instid1(VALU_DEP_1)
	s_cmp_lg_u32 s27, 0
	v_cmp_ne_u16_e32 vcc_lo, 0, v12
	s_addc_u32 s26, s26, 0
	s_or_b32 s19, vcc_lo, s19
	s_delay_alu instid0(SALU_CYCLE_1)
	s_and_not1_b32 exec_lo, exec_lo, s19
	s_cbranch_execnz .LBB866_94
; %bb.97:                               ;   in Loop: Header=BB866_91 Depth=1
	s_or_b32 exec_lo, exec_lo, s19
	s_branch .LBB866_90
.LBB866_98:                             ;   in Loop: Header=BB866_91 Depth=1
                                        ; implicit-def: $vgpr10
                                        ; implicit-def: $vgpr9
                                        ; implicit-def: $vgpr11
	s_cbranch_execz .LBB866_91
; %bb.99:
	s_and_saveexec_b32 s14, s13
	s_cbranch_execz .LBB866_101
; %bb.100:
	v_cmp_eq_u32_e32 vcc_lo, 0, v5
	s_mov_b32 s27, 0
	s_add_i32 s26, s15, 32
	v_add_nc_u32_e32 v9, v7, v5
	s_lshl_b64 s[26:27], s[26:27], 4
	v_cndmask_b32_e32 v6, 0, v8, vcc_lo
	s_add_u32 s26, s24, s26
	s_addc_u32 s27, s25, s27
	v_mov_b32_e32 v12, 0
	s_delay_alu instid0(VALU_DEP_2) | instskip(NEXT) | instid1(VALU_DEP_1)
	v_add_nc_u32_e32 v6, s18, v6
	v_and_b32_e32 v10, 0xff000000, v6
	v_and_b32_e32 v11, 0xff0000, v6
	s_delay_alu instid0(VALU_DEP_1) | instskip(SKIP_2) | instid1(VALU_DEP_1)
	v_or_b32_e32 v10, v11, v10
	v_dual_mov_b32 v11, 2 :: v_dual_and_b32 v26, 0xff00, v6
	v_and_b32_e32 v6, 0xff, v6
	v_or3_b32 v10, v10, v26, v6
	v_mov_b32_e32 v6, s18
	v_dual_mov_b32 v26, s26 :: v_dual_mov_b32 v27, s27
	;;#ASMSTART
	global_store_dwordx4 v[26:27], v[9:12] off	
s_waitcnt vmcnt(0)
	;;#ASMEND
	ds_store_b128 v12, v[5:8] offset:1024
.LBB866_101:
	s_or_b32 exec_lo, exec_lo, s14
	v_cmp_eq_u32_e32 vcc_lo, 0, v0
	s_and_b32 exec_lo, exec_lo, vcc_lo
	s_cbranch_execz .LBB866_103
; %bb.102:
	v_mov_b32_e32 v5, 0
	ds_store_b64 v5, v[7:8] offset:1096
.LBB866_103:
	s_or_b32 exec_lo, exec_lo, s17
	s_waitcnt lgkmcnt(1)
	v_cndmask_b32_e64 v8, v30, v24, s13
	s_waitcnt lgkmcnt(0)
	s_barrier
	buffer_gl0_inv
	v_cndmask_b32_e64 v9, v31, v25, s13
	v_cmp_eq_u32_e32 vcc_lo, 0, v8
	v_mov_b32_e32 v7, 0
	v_cmp_eq_u32_e64 s13, 0, v65
	ds_load_b64 v[5:6], v7 offset:1096
	s_waitcnt lgkmcnt(0)
	s_barrier
	buffer_gl0_inv
	v_cndmask_b32_e32 v10, 0, v6, vcc_lo
	v_cmp_eq_u32_e32 vcc_lo, 0, v0
	s_delay_alu instid0(VALU_DEP_2) | instskip(NEXT) | instid1(VALU_DEP_1)
	v_add_nc_u32_e32 v9, v10, v9
	v_cndmask_b32_e32 v41, v9, v6, vcc_lo
	s_delay_alu instid0(VALU_DEP_1) | instskip(NEXT) | instid1(VALU_DEP_1)
	v_cndmask_b32_e64 v6, 0, v41, s13
	v_add_nc_u32_e32 v47, v6, v22
	s_delay_alu instid0(VALU_DEP_1) | instskip(NEXT) | instid1(VALU_DEP_1)
	v_cndmask_b32_e64 v6, 0, v47, s12
	v_add_nc_u32_e32 v43, v6, v73
	;; [unrolled: 3-line block ×6, first 2 shown]
	v_cndmask_b32_e64 v6, v8, 0, vcc_lo
	s_delay_alu instid0(VALU_DEP_2) | instskip(NEXT) | instid1(VALU_DEP_2)
	v_cndmask_b32_e64 v8, 0, v27, s7
	v_add_nc_u32_e32 v40, v5, v6
	s_delay_alu instid0(VALU_DEP_2) | instskip(NEXT) | instid1(VALU_DEP_2)
	v_add_nc_u32_e32 v31, v8, v21
	v_add_nc_u32_e32 v46, v40, v65
	s_delay_alu instid0(VALU_DEP_2) | instskip(NEXT) | instid1(VALU_DEP_2)
	v_cndmask_b32_e64 v5, 0, v31, s6
	v_add_nc_u32_e32 v42, v46, v64
	s_delay_alu instid0(VALU_DEP_2) | instskip(NEXT) | instid1(VALU_DEP_2)
	v_add_nc_u32_e32 v35, v5, v70
	v_add_nc_u32_e32 v38, v42, v63
	;; [unrolled: 6-line block ×4, first 2 shown]
	s_delay_alu instid0(VALU_DEP_2) | instskip(NEXT) | instid1(VALU_DEP_2)
	v_cndmask_b32_e64 v5, 0, v12, s3
	v_add_nc_u32_e32 v34, v30, v58
	s_delay_alu instid0(VALU_DEP_2) | instskip(SKIP_3) | instid1(VALU_DEP_2)
	v_add_nc_u32_e32 v25, v5, v19
	ds_load_b128 v[5:8], v7 offset:1024
	v_add_nc_u32_e32 v9, v34, v56
	v_cndmask_b32_e64 v24, 0, v25, s2
	v_add_nc_u32_e32 v11, v9, v55
	s_delay_alu instid0(VALU_DEP_2) | instskip(NEXT) | instid1(VALU_DEP_2)
	v_add_nc_u32_e32 v49, v24, v68
	v_add_nc_u32_e32 v24, v11, v54
	s_delay_alu instid0(VALU_DEP_2) | instskip(NEXT) | instid1(VALU_DEP_2)
	v_cndmask_b32_e64 v36, 0, v49, s1
	v_add_nc_u32_e32 v48, v24, v53
	s_delay_alu instid0(VALU_DEP_2) | instskip(SKIP_2) | instid1(VALU_DEP_3)
	v_add_nc_u32_e32 v45, v36, v16
	s_waitcnt lgkmcnt(0)
	v_cmp_eq_u32_e32 vcc_lo, 0, v5
	v_add_nc_u32_e32 v44, v48, v52
	s_delay_alu instid0(VALU_DEP_3) | instskip(SKIP_1) | instid1(VALU_DEP_3)
	v_cndmask_b32_e64 v37, 0, v45, s0
	v_cndmask_b32_e32 v8, 0, v8, vcc_lo
	v_add_nc_u32_e32 v36, v44, v51
	s_delay_alu instid0(VALU_DEP_3) | instskip(NEXT) | instid1(VALU_DEP_3)
	v_add_nc_u32_e32 v37, v37, v67
	v_add_nc_u32_e32 v66, v8, v6
	s_branch .LBB866_116
.LBB866_104:
                                        ; implicit-def: $vgpr5
                                        ; implicit-def: $vgpr66
                                        ; implicit-def: $vgpr40_vgpr41
                                        ; implicit-def: $vgpr46_vgpr47
                                        ; implicit-def: $vgpr42_vgpr43
                                        ; implicit-def: $vgpr38_vgpr39
                                        ; implicit-def: $vgpr32_vgpr33
                                        ; implicit-def: $vgpr28_vgpr29
                                        ; implicit-def: $vgpr26_vgpr27
                                        ; implicit-def: $vgpr30_vgpr31
                                        ; implicit-def: $vgpr34_vgpr35
                                        ; implicit-def: $vgpr9_vgpr10
                                        ; implicit-def: $vgpr11_vgpr12
                                        ; implicit-def: $vgpr24_vgpr25
                                        ; implicit-def: $vgpr48_vgpr49
                                        ; implicit-def: $vgpr44_vgpr45
                                        ; implicit-def: $vgpr36_vgpr37
	s_cbranch_execz .LBB866_116
; %bb.105:
	s_and_b32 s0, s16, exec_lo
	v_mov_b32_e32 v36, v22
	s_cselect_b32 s1, 0, s35
	s_cselect_b32 s0, 0, s34
	s_delay_alu instid0(SALU_CYCLE_1)
	s_cmp_eq_u64 s[0:1], 0
	s_cbranch_scc1 .LBB866_107
; %bb.106:
	v_mov_b32_e32 v5, 0
	global_load_b32 v36, v5, s[0:1]
.LBB866_107:
	v_cmp_eq_u32_e64 s6, 0, v64
	v_cmp_eq_u32_e64 s7, 0, v63
	;; [unrolled: 1-line block ×5, first 2 shown]
	v_cndmask_b32_e64 v5, 0, v22, s6
	v_cmp_eq_u32_e64 s11, 0, v59
	v_cmp_eq_u32_e64 s5, 0, v58
	;; [unrolled: 1-line block ×4, first 2 shown]
	v_add_nc_u32_e32 v5, v5, v73
	v_cmp_eq_u32_e64 s2, 0, v54
	v_cmp_eq_u32_e64 s1, 0, v53
	v_cmp_eq_u32_e32 vcc_lo, 0, v52
	v_add3_u32 v6, v77, v60, v59
	v_cndmask_b32_e64 v5, 0, v5, s7
	v_cmp_eq_u32_e64 s0, 0, v51
	v_cmp_eq_u32_e64 s12, 0, v57
	v_and_b32_e32 v8, 15, v74
	v_add3_u32 v6, v6, v58, v56
	v_add_nc_u32_e32 v5, v5, v23
	s_delay_alu instid0(VALU_DEP_3) | instskip(NEXT) | instid1(VALU_DEP_3)
	v_cmp_lt_u32_e64 s13, 1, v8
	v_add3_u32 v6, v6, v55, v54
	s_delay_alu instid0(VALU_DEP_3) | instskip(NEXT) | instid1(VALU_DEP_2)
	v_cndmask_b32_e64 v5, 0, v5, s8
	v_add3_u32 v6, v6, v53, v52
	s_delay_alu instid0(VALU_DEP_2) | instskip(NEXT) | instid1(VALU_DEP_2)
	v_add_nc_u32_e32 v5, v5, v72
	v_add3_u32 v6, v6, v51, v57
	s_delay_alu instid0(VALU_DEP_2) | instskip(NEXT) | instid1(VALU_DEP_2)
	v_cndmask_b32_e64 v5, 0, v5, s9
	v_mov_b32_dpp v9, v6 row_shr:1 row_mask:0xf bank_mask:0xf
	s_delay_alu instid0(VALU_DEP_2) | instskip(NEXT) | instid1(VALU_DEP_1)
	v_add_nc_u32_e32 v5, v5, v20
	v_cndmask_b32_e64 v5, 0, v5, s10
	s_delay_alu instid0(VALU_DEP_1) | instskip(NEXT) | instid1(VALU_DEP_1)
	v_add_nc_u32_e32 v5, v5, v71
	v_cndmask_b32_e64 v5, 0, v5, s11
	s_delay_alu instid0(VALU_DEP_1) | instskip(NEXT) | instid1(VALU_DEP_1)
	;; [unrolled: 3-line block ×7, first 2 shown]
	v_add_nc_u32_e32 v5, v5, v68
	v_cndmask_b32_e32 v5, 0, v5, vcc_lo
	s_delay_alu instid0(VALU_DEP_1) | instskip(NEXT) | instid1(VALU_DEP_1)
	v_add_nc_u32_e32 v5, v5, v16
	v_cndmask_b32_e64 v5, 0, v5, s0
	s_delay_alu instid0(VALU_DEP_1) | instskip(NEXT) | instid1(VALU_DEP_1)
	v_add_nc_u32_e32 v5, v5, v67
	v_cndmask_b32_e64 v5, 0, v5, s12
	v_cmp_eq_u32_e64 s12, 0, v6
	s_delay_alu instid0(VALU_DEP_2) | instskip(NEXT) | instid1(VALU_DEP_1)
	v_add_nc_u32_e32 v5, v5, v17
	v_mov_b32_dpp v7, v5 row_shr:1 row_mask:0xf bank_mask:0xf
	s_delay_alu instid0(VALU_DEP_1) | instskip(SKIP_1) | instid1(VALU_DEP_1)
	v_cndmask_b32_e64 v7, 0, v7, s12
	v_cmp_eq_u32_e64 s12, 0, v8
	v_cndmask_b32_e64 v9, v9, 0, s12
	s_delay_alu instid0(VALU_DEP_3) | instskip(NEXT) | instid1(VALU_DEP_2)
	v_cndmask_b32_e64 v7, v7, 0, s12
	v_add_nc_u32_e32 v6, v9, v6
	s_delay_alu instid0(VALU_DEP_2) | instskip(NEXT) | instid1(VALU_DEP_2)
	v_add_nc_u32_e32 v5, v7, v5
	v_mov_b32_dpp v7, v6 row_shr:2 row_mask:0xf bank_mask:0xf
	v_cmp_eq_u32_e64 s12, 0, v6
	s_delay_alu instid0(VALU_DEP_3) | instskip(NEXT) | instid1(VALU_DEP_3)
	v_mov_b32_dpp v9, v5 row_shr:2 row_mask:0xf bank_mask:0xf
	v_cndmask_b32_e64 v7, 0, v7, s13
	s_delay_alu instid0(VALU_DEP_3) | instskip(SKIP_1) | instid1(VALU_DEP_3)
	s_and_b32 s12, s13, s12
	v_cmp_lt_u32_e64 s13, 3, v8
	v_cndmask_b32_e64 v9, 0, v9, s12
	s_delay_alu instid0(VALU_DEP_3) | instskip(NEXT) | instid1(VALU_DEP_2)
	v_add_nc_u32_e32 v6, v6, v7
	v_add_nc_u32_e32 v5, v9, v5
	s_delay_alu instid0(VALU_DEP_2) | instskip(SKIP_1) | instid1(VALU_DEP_3)
	v_mov_b32_dpp v7, v6 row_shr:4 row_mask:0xf bank_mask:0xf
	v_cmp_eq_u32_e64 s12, 0, v6
	v_mov_b32_dpp v9, v5 row_shr:4 row_mask:0xf bank_mask:0xf
	s_delay_alu instid0(VALU_DEP_3) | instskip(NEXT) | instid1(VALU_DEP_3)
	v_cndmask_b32_e64 v7, 0, v7, s13
	s_and_b32 s12, s13, s12
	v_cmp_lt_u32_e64 s13, 7, v8
	s_delay_alu instid0(VALU_DEP_3) | instskip(NEXT) | instid1(VALU_DEP_3)
	v_cndmask_b32_e64 v9, 0, v9, s12
	v_add_nc_u32_e32 v6, v7, v6
	s_delay_alu instid0(VALU_DEP_2) | instskip(SKIP_1) | instid1(VALU_DEP_3)
	v_add_nc_u32_e32 v5, v5, v9
	v_bfe_i32 v9, v74, 4, 1
	v_cmp_eq_u32_e64 s12, 0, v6
	v_mov_b32_dpp v7, v6 row_shr:8 row_mask:0xf bank_mask:0xf
	s_delay_alu instid0(VALU_DEP_4) | instskip(NEXT) | instid1(VALU_DEP_3)
	v_mov_b32_dpp v8, v5 row_shr:8 row_mask:0xf bank_mask:0xf
	s_and_b32 s12, s13, s12
	s_delay_alu instid0(VALU_DEP_2) | instskip(SKIP_1) | instid1(VALU_DEP_2)
	v_cndmask_b32_e64 v7, 0, v7, s13
	s_mov_b32 s13, exec_lo
	v_cndmask_b32_e64 v8, 0, v8, s12
	s_delay_alu instid0(VALU_DEP_1) | instskip(NEXT) | instid1(VALU_DEP_3)
	v_add_nc_u32_e32 v8, v8, v5
	v_add_nc_u32_e32 v5, v7, v6
	ds_swizzle_b32 v6, v8 offset:swizzle(BROADCAST,32,15)
	ds_swizzle_b32 v7, v5 offset:swizzle(BROADCAST,32,15)
	v_cmp_eq_u32_e64 s12, 0, v5
	s_waitcnt lgkmcnt(1)
	s_delay_alu instid0(VALU_DEP_1) | instskip(SKIP_2) | instid1(VALU_DEP_2)
	v_cndmask_b32_e64 v6, 0, v6, s12
	s_waitcnt lgkmcnt(0)
	v_and_b32_e32 v7, v9, v7
	v_and_b32_e32 v6, v9, v6
	s_delay_alu instid0(VALU_DEP_2) | instskip(NEXT) | instid1(VALU_DEP_2)
	v_add_nc_u32_e32 v5, v7, v5
	v_add_nc_u32_e32 v6, v6, v8
	v_cmpx_eq_u32_e64 v76, v0
	s_cbranch_execz .LBB866_109
; %bb.108:
	v_lshlrev_b32_e32 v7, 3, v75
	ds_store_b64 v7, v[5:6] offset:1040
.LBB866_109:
	s_or_b32 exec_lo, exec_lo, s13
	s_delay_alu instid0(SALU_CYCLE_1)
	s_mov_b32 s14, exec_lo
	s_waitcnt vmcnt(0) lgkmcnt(0)
	s_barrier
	buffer_gl0_inv
	v_cmpx_gt_u32_e32 8, v0
	s_cbranch_execz .LBB866_111
; %bb.110:
	v_lshlrev_b32_e32 v9, 3, v0
	v_and_b32_e32 v11, 7, v74
	ds_load_b64 v[7:8], v9 offset:1040
	v_cmp_lt_u32_e64 s13, 1, v11
	s_waitcnt lgkmcnt(0)
	v_mov_b32_dpp v10, v8 row_shr:1 row_mask:0xf bank_mask:0xf
	v_cmp_eq_u32_e64 s12, 0, v7
	v_mov_b32_dpp v12, v7 row_shr:1 row_mask:0xf bank_mask:0xf
	s_delay_alu instid0(VALU_DEP_2) | instskip(SKIP_1) | instid1(VALU_DEP_1)
	v_cndmask_b32_e64 v10, 0, v10, s12
	v_cmp_eq_u32_e64 s12, 0, v11
	v_cndmask_b32_e64 v12, v12, 0, s12
	s_delay_alu instid0(VALU_DEP_3) | instskip(NEXT) | instid1(VALU_DEP_2)
	v_cndmask_b32_e64 v10, v10, 0, s12
	v_add_nc_u32_e32 v7, v12, v7
	s_delay_alu instid0(VALU_DEP_2) | instskip(NEXT) | instid1(VALU_DEP_2)
	v_add_nc_u32_e32 v8, v10, v8
	v_mov_b32_dpp v10, v7 row_shr:2 row_mask:0xf bank_mask:0xf
	v_cmp_eq_u32_e64 s12, 0, v7
	s_delay_alu instid0(VALU_DEP_3) | instskip(NEXT) | instid1(VALU_DEP_3)
	v_mov_b32_dpp v12, v8 row_shr:2 row_mask:0xf bank_mask:0xf
	v_cndmask_b32_e64 v10, 0, v10, s13
	s_delay_alu instid0(VALU_DEP_3) | instskip(SKIP_1) | instid1(VALU_DEP_3)
	s_and_b32 s12, s13, s12
	v_cmp_lt_u32_e64 s13, 3, v11
	v_cndmask_b32_e64 v12, 0, v12, s12
	s_delay_alu instid0(VALU_DEP_3) | instskip(NEXT) | instid1(VALU_DEP_2)
	v_add_nc_u32_e32 v7, v10, v7
	v_add_nc_u32_e32 v8, v12, v8
	s_delay_alu instid0(VALU_DEP_2) | instskip(SKIP_1) | instid1(VALU_DEP_3)
	v_cmp_eq_u32_e64 s12, 0, v7
	v_mov_b32_dpp v10, v7 row_shr:4 row_mask:0xf bank_mask:0xf
	v_mov_b32_dpp v11, v8 row_shr:4 row_mask:0xf bank_mask:0xf
	s_delay_alu instid0(VALU_DEP_3) | instskip(NEXT) | instid1(VALU_DEP_2)
	s_and_b32 s12, s13, s12
	v_cndmask_b32_e64 v10, 0, v10, s13
	s_delay_alu instid0(VALU_DEP_2) | instskip(NEXT) | instid1(VALU_DEP_2)
	v_cndmask_b32_e64 v11, 0, v11, s12
	v_add_nc_u32_e32 v7, v10, v7
	s_delay_alu instid0(VALU_DEP_2)
	v_add_nc_u32_e32 v8, v11, v8
	ds_store_b64 v9, v[7:8] offset:1040
.LBB866_111:
	s_or_b32 exec_lo, exec_lo, s14
	v_dual_mov_b32 v11, 0 :: v_dual_mov_b32 v8, v36
	v_mov_b32_e32 v7, 0
	s_mov_b32 s13, exec_lo
	s_waitcnt lgkmcnt(0)
	s_barrier
	buffer_gl0_inv
	v_cmpx_lt_u32_e32 31, v0
	s_cbranch_execz .LBB866_113
; %bb.112:
	v_lshlrev_b32_e32 v7, 3, v75
	ds_load_b64 v[7:8], v7 offset:1032
	s_waitcnt lgkmcnt(0)
	v_cmp_eq_u32_e64 s12, 0, v7
	s_delay_alu instid0(VALU_DEP_1) | instskip(NEXT) | instid1(VALU_DEP_1)
	v_cndmask_b32_e64 v9, 0, v36, s12
	v_add_nc_u32_e32 v8, v9, v8
.LBB866_113:
	s_or_b32 exec_lo, exec_lo, s13
	v_add_nc_u32_e32 v9, -1, v74
	v_cmp_eq_u32_e64 s13, 0, v65
	s_delay_alu instid0(VALU_DEP_2) | instskip(NEXT) | instid1(VALU_DEP_1)
	v_cmp_gt_i32_e64 s12, 0, v9
	v_cndmask_b32_e64 v9, v9, v74, s12
	v_cmp_eq_u32_e64 s12, 0, v5
	v_add_nc_u32_e32 v5, v7, v5
	s_delay_alu instid0(VALU_DEP_3) | instskip(NEXT) | instid1(VALU_DEP_3)
	v_lshlrev_b32_e32 v9, 2, v9
	v_cndmask_b32_e64 v10, 0, v8, s12
	v_cmp_eq_u32_e64 s12, 0, v74
	ds_bpermute_b32 v5, v9, v5
	v_add_nc_u32_e32 v6, v10, v6
	ds_bpermute_b32 v6, v9, v6
	s_waitcnt lgkmcnt(1)
	v_cndmask_b32_e64 v5, v5, v7, s12
	s_waitcnt lgkmcnt(0)
	v_cndmask_b32_e64 v6, v6, v8, s12
	v_cmp_eq_u32_e64 s12, 0, v0
	s_delay_alu instid0(VALU_DEP_1) | instskip(SKIP_1) | instid1(VALU_DEP_2)
	v_cndmask_b32_e64 v41, v6, v36, s12
	v_cndmask_b32_e64 v40, v5, 0, s12
	;; [unrolled: 1-line block ×3, first 2 shown]
	s_delay_alu instid0(VALU_DEP_2) | instskip(NEXT) | instid1(VALU_DEP_2)
	v_add_nc_u32_e32 v46, v40, v65
	v_add_nc_u32_e32 v47, v6, v22
	s_delay_alu instid0(VALU_DEP_2) | instskip(NEXT) | instid1(VALU_DEP_2)
	v_add_nc_u32_e32 v42, v46, v64
	v_cndmask_b32_e64 v6, 0, v47, s6
	s_delay_alu instid0(VALU_DEP_2) | instskip(NEXT) | instid1(VALU_DEP_2)
	v_add_nc_u32_e32 v38, v42, v63
	v_add_nc_u32_e32 v43, v6, v73
	s_delay_alu instid0(VALU_DEP_2) | instskip(NEXT) | instid1(VALU_DEP_2)
	v_add_nc_u32_e32 v32, v38, v62
	v_cndmask_b32_e64 v6, 0, v43, s7
	;; [unrolled: 6-line block ×4, first 2 shown]
	s_delay_alu instid0(VALU_DEP_2) | instskip(NEXT) | instid1(VALU_DEP_2)
	v_add_nc_u32_e32 v9, v34, v56
	v_add_nc_u32_e32 v29, v6, v20
	s_delay_alu instid0(VALU_DEP_1) | instskip(NEXT) | instid1(VALU_DEP_1)
	v_cndmask_b32_e64 v6, 0, v29, s10
	v_add_nc_u32_e32 v27, v6, v71
	s_delay_alu instid0(VALU_DEP_1) | instskip(NEXT) | instid1(VALU_DEP_1)
	v_cndmask_b32_e64 v6, 0, v27, s11
	;; [unrolled: 3-line block ×6, first 2 shown]
	v_add_nc_u32_e32 v25, v5, v19
	ds_load_b64 v[5:6], v11 offset:1096
	v_add_nc_u32_e32 v11, v9, v55
	v_cndmask_b32_e64 v7, 0, v25, s1
	s_delay_alu instid0(VALU_DEP_2) | instskip(NEXT) | instid1(VALU_DEP_2)
	v_add_nc_u32_e32 v24, v11, v54
	v_add_nc_u32_e32 v49, v7, v68
	s_delay_alu instid0(VALU_DEP_2) | instskip(NEXT) | instid1(VALU_DEP_1)
	v_add_nc_u32_e32 v48, v24, v53
	v_dual_cndmask_b32 v7, 0, v49 :: v_dual_add_nc_u32 v44, v48, v52
	s_delay_alu instid0(VALU_DEP_1) | instskip(SKIP_2) | instid1(VALU_DEP_2)
	v_add_nc_u32_e32 v45, v7, v16
	s_waitcnt lgkmcnt(0)
	v_cmp_eq_u32_e32 vcc_lo, 0, v5
	v_cndmask_b32_e64 v7, 0, v45, s0
	v_cndmask_b32_e32 v8, 0, v36, vcc_lo
	v_add_nc_u32_e32 v36, v44, v51
	s_delay_alu instid0(VALU_DEP_3) | instskip(NEXT) | instid1(VALU_DEP_3)
	v_add_nc_u32_e32 v37, v7, v67
	v_add_nc_u32_e32 v66, v8, v6
	s_and_saveexec_b32 s0, s12
	s_cbranch_execz .LBB866_115
; %bb.114:
	s_delay_alu instid0(VALU_DEP_1)
	v_and_b32_e32 v6, 0xff000000, v66
	v_dual_mov_b32 v8, 0 :: v_dual_and_b32 v7, 0xff0000, v66
	s_add_u32 s2, s24, 0x200
	v_and_b32_e32 v16, 0xff00, v66
	s_addc_u32 s3, s25, 0
	v_and_b32_e32 v17, 0xff, v66
	v_or_b32_e32 v6, v7, v6
	v_mov_b32_e32 v7, 2
	s_delay_alu instid0(VALU_DEP_2)
	v_or3_b32 v6, v6, v16, v17
	v_dual_mov_b32 v17, s3 :: v_dual_mov_b32 v16, s2
	;;#ASMSTART
	global_store_dwordx4 v[16:17], v[5:8] off	
s_waitcnt vmcnt(0)
	;;#ASMEND
.LBB866_115:
	s_or_b32 exec_lo, exec_lo, s0
	v_mov_b32_e32 v7, 0
.LBB866_116:
	v_mov_b32_e32 v16, 0
	s_and_b32 s0, s16, exec_lo
	v_mov_b32_e32 v17, 0
	s_cselect_b32 s1, 0, s43
	s_cselect_b32 s0, 0, s42
	s_delay_alu instid0(SALU_CYCLE_1)
	s_cmp_eq_u64 s[0:1], 0
	s_barrier
	buffer_gl0_inv
	s_cbranch_scc1 .LBB866_118
; %bb.117:
	v_mov_b32_e32 v6, 0
	global_load_b64 v[16:17], v6, s[0:1]
.LBB866_118:
	v_cmp_eq_u32_e32 vcc_lo, 0, v65
	v_cmp_ne_u32_e64 s14, 0, v65
	v_cmp_ne_u32_e64 s13, 0, v64
	;; [unrolled: 1-line block ×4, first 2 shown]
	v_cndmask_b32_e64 v6, 1, 2, vcc_lo
	v_cmp_eq_u32_e32 vcc_lo, 0, v64
	v_cmp_ne_u32_e64 s10, 0, v61
	v_cmp_ne_u32_e64 s9, 0, v60
	;; [unrolled: 1-line block ×4, first 2 shown]
	v_cndmask_b32_e64 v8, 1, 2, vcc_lo
	v_cmp_eq_u32_e32 vcc_lo, 0, v63
	v_cmp_ne_u32_e64 s8, 0, v56
	v_cmp_ne_u32_e64 s6, 0, v55
	;; [unrolled: 1-line block ×3, first 2 shown]
	v_and_b32_e32 v6, v8, v6
	v_cndmask_b32_e64 v18, 1, 2, vcc_lo
	v_cmp_eq_u32_e32 vcc_lo, 0, v62
	v_cmp_ne_u32_e64 s3, 0, v53
	v_cmp_ne_u32_e64 s2, 0, v52
	;; [unrolled: 1-line block ×3, first 2 shown]
	v_and_b32_e32 v6, v6, v18
	v_cndmask_b32_e64 v8, 1, 2, vcc_lo
	v_cmp_eq_u32_e32 vcc_lo, 0, v61
	v_cmp_ne_u32_e64 s0, 0, v57
	s_mov_b32 s16, -1
	s_delay_alu instid0(VALU_DEP_3) | instskip(SKIP_2) | instid1(VALU_DEP_2)
	v_and_b32_e32 v6, v6, v8
	v_cndmask_b32_e64 v18, 1, 2, vcc_lo
	v_cmp_eq_u32_e32 vcc_lo, 0, v60
	v_and_b32_e32 v6, v6, v18
	v_cndmask_b32_e64 v8, 1, 2, vcc_lo
	v_cmp_eq_u32_e32 vcc_lo, 0, v59
	s_waitcnt vmcnt(0)
	v_lshlrev_b64 v[18:19], 1, v[16:17]
	s_delay_alu instid0(VALU_DEP_3) | instskip(SKIP_2) | instid1(VALU_DEP_2)
	v_and_b32_e32 v6, v6, v8
	v_cndmask_b32_e64 v20, 1, 2, vcc_lo
	v_cmp_eq_u32_e32 vcc_lo, 0, v58
	v_and_b32_e32 v6, v6, v20
	v_cndmask_b32_e64 v21, 1, 2, vcc_lo
	v_cmp_eq_u32_e32 vcc_lo, 0, v56
	s_delay_alu instid0(VALU_DEP_2) | instskip(SKIP_2) | instid1(VALU_DEP_2)
	v_and_b32_e32 v6, v6, v21
	v_cndmask_b32_e64 v20, 1, 2, vcc_lo
	v_cmp_eq_u32_e32 vcc_lo, 0, v55
	v_and_b32_e32 v6, v6, v20
	v_cndmask_b32_e64 v21, 1, 2, vcc_lo
	v_cmp_eq_u32_e32 vcc_lo, 0, v54
	s_delay_alu instid0(VALU_DEP_2) | instskip(SKIP_2) | instid1(VALU_DEP_2)
	;; [unrolled: 7-line block ×3, first 2 shown]
	v_and_b32_e32 v6, v6, v22
	v_cndmask_b32_e64 v23, 1, 2, vcc_lo
	v_cmp_eq_u32_e32 vcc_lo, 0, v51
	v_and_b32_e32 v22, v6, v23
	v_cndmask_b32_e64 v67, 1, 2, vcc_lo
	v_mov_b32_e32 v8, 0
	v_add_co_u32 v18, vcc_lo, s22, v18
	v_add_co_ci_u32_e32 v19, vcc_lo, s23, v19, vcc_lo
	s_delay_alu instid0(VALU_DEP_3) | instskip(NEXT) | instid1(VALU_DEP_1)
	v_lshlrev_b64 v[20:21], 1, v[7:8]
	v_add_co_u32 v6, vcc_lo, v18, v20
	s_delay_alu instid0(VALU_DEP_2) | instskip(SKIP_4) | instid1(VALU_DEP_2)
	v_add_co_ci_u32_e32 v18, vcc_lo, v19, v21, vcc_lo
	v_and_b32_e32 v19, v22, v67
	v_cmp_eq_u32_e32 vcc_lo, 0, v57
	v_cndmask_b32_e64 v20, 1, 2, vcc_lo
	v_cmp_gt_u32_e32 vcc_lo, 0x100, v5
	v_and_b32_e32 v19, v19, v20
	s_delay_alu instid0(VALU_DEP_1)
	v_cmp_gt_i16_e64 s15, 2, v19
	s_cbranch_vccz .LBB866_167
; %bb.119:
	s_delay_alu instid0(VALU_DEP_1)
	s_and_saveexec_b32 s16, s15
	s_cbranch_execz .LBB866_166
; %bb.120:
	s_mov_b32 s17, 0
	s_mov_b32 s15, exec_lo
	v_cmpx_ne_u16_e32 1, v19
	s_xor_b32 s15, exec_lo, s15
	s_cbranch_execz .LBB866_144
; %bb.121:
	s_and_saveexec_b32 s17, s14
	s_cbranch_execz .LBB866_149
; %bb.122:
	v_sub_nc_u32_e32 v20, v40, v7
	v_mov_b32_e32 v21, 0
	s_delay_alu instid0(VALU_DEP_1) | instskip(NEXT) | instid1(VALU_DEP_1)
	v_lshlrev_b64 v[20:21], 1, v[20:21]
	v_add_co_u32 v20, vcc_lo, v6, v20
	s_delay_alu instid0(VALU_DEP_2)
	v_add_co_ci_u32_e32 v21, vcc_lo, v18, v21, vcc_lo
	global_store_b16 v[20:21], v50, off
	s_or_b32 exec_lo, exec_lo, s17
	s_and_saveexec_b32 s17, s13
	s_cbranch_execnz .LBB866_150
.LBB866_123:
	s_or_b32 exec_lo, exec_lo, s17
	s_and_saveexec_b32 s17, s12
	s_cbranch_execz .LBB866_151
.LBB866_124:
	v_sub_nc_u32_e32 v20, v42, v7
	v_mov_b32_e32 v21, 0
	s_delay_alu instid0(VALU_DEP_1) | instskip(NEXT) | instid1(VALU_DEP_1)
	v_lshlrev_b64 v[20:21], 1, v[20:21]
	v_add_co_u32 v20, vcc_lo, v6, v20
	s_delay_alu instid0(VALU_DEP_2)
	v_add_co_ci_u32_e32 v21, vcc_lo, v18, v21, vcc_lo
	global_store_d16_hi_b16 v[20:21], v1, off
	s_or_b32 exec_lo, exec_lo, s17
	s_and_saveexec_b32 s17, s11
	s_cbranch_execnz .LBB866_152
.LBB866_125:
	s_or_b32 exec_lo, exec_lo, s17
	s_and_saveexec_b32 s17, s10
	s_cbranch_execz .LBB866_153
.LBB866_126:
	v_sub_nc_u32_e32 v20, v32, v7
	v_mov_b32_e32 v21, 0
	s_delay_alu instid0(VALU_DEP_1) | instskip(NEXT) | instid1(VALU_DEP_1)
	v_lshlrev_b64 v[20:21], 1, v[20:21]
	v_add_co_u32 v20, vcc_lo, v6, v20
	s_delay_alu instid0(VALU_DEP_2)
	v_add_co_ci_u32_e32 v21, vcc_lo, v18, v21, vcc_lo
	global_store_d16_hi_b16 v[20:21], v2, off
	s_or_b32 exec_lo, exec_lo, s17
	s_and_saveexec_b32 s17, s9
	s_cbranch_execnz .LBB866_154
.LBB866_127:
	s_or_b32 exec_lo, exec_lo, s17
	s_and_saveexec_b32 s17, s7
	s_cbranch_execz .LBB866_155
.LBB866_128:
	v_sub_nc_u32_e32 v20, v26, v7
	v_mov_b32_e32 v21, 0
	s_delay_alu instid0(VALU_DEP_1) | instskip(NEXT) | instid1(VALU_DEP_1)
	v_lshlrev_b64 v[20:21], 1, v[20:21]
	v_add_co_u32 v20, vcc_lo, v6, v20
	s_delay_alu instid0(VALU_DEP_2)
	v_add_co_ci_u32_e32 v21, vcc_lo, v18, v21, vcc_lo
	global_store_d16_hi_b16 v[20:21], v3, off
	s_or_b32 exec_lo, exec_lo, s17
	s_and_saveexec_b32 s17, s5
	s_cbranch_execnz .LBB866_156
.LBB866_129:
	s_or_b32 exec_lo, exec_lo, s17
	s_and_saveexec_b32 s17, s8
	s_cbranch_execz .LBB866_157
.LBB866_130:
	v_sub_nc_u32_e32 v20, v34, v7
	v_mov_b32_e32 v21, 0
	s_delay_alu instid0(VALU_DEP_1) | instskip(NEXT) | instid1(VALU_DEP_1)
	v_lshlrev_b64 v[20:21], 1, v[20:21]
	v_add_co_u32 v20, vcc_lo, v6, v20
	s_delay_alu instid0(VALU_DEP_2)
	v_add_co_ci_u32_e32 v21, vcc_lo, v18, v21, vcc_lo
	global_store_d16_hi_b16 v[20:21], v4, off
	s_or_b32 exec_lo, exec_lo, s17
	s_and_saveexec_b32 s17, s6
	s_cbranch_execnz .LBB866_158
.LBB866_131:
	s_or_b32 exec_lo, exec_lo, s17
	s_and_saveexec_b32 s17, s4
	s_cbranch_execz .LBB866_159
.LBB866_132:
	v_sub_nc_u32_e32 v20, v11, v7
	v_mov_b32_e32 v21, 0
	s_delay_alu instid0(VALU_DEP_1) | instskip(NEXT) | instid1(VALU_DEP_1)
	v_lshlrev_b64 v[20:21], 1, v[20:21]
	v_add_co_u32 v20, vcc_lo, v6, v20
	s_delay_alu instid0(VALU_DEP_2)
	v_add_co_ci_u32_e32 v21, vcc_lo, v18, v21, vcc_lo
	global_store_d16_hi_b16 v[20:21], v13, off
	s_or_b32 exec_lo, exec_lo, s17
	s_and_saveexec_b32 s17, s3
	s_cbranch_execnz .LBB866_160
.LBB866_133:
	s_or_b32 exec_lo, exec_lo, s17
	s_and_saveexec_b32 s17, s2
	s_cbranch_execz .LBB866_161
.LBB866_134:
	v_sub_nc_u32_e32 v20, v48, v7
	v_mov_b32_e32 v21, 0
	s_delay_alu instid0(VALU_DEP_1) | instskip(NEXT) | instid1(VALU_DEP_1)
	v_lshlrev_b64 v[20:21], 1, v[20:21]
	v_add_co_u32 v20, vcc_lo, v6, v20
	s_delay_alu instid0(VALU_DEP_2)
	v_add_co_ci_u32_e32 v21, vcc_lo, v18, v21, vcc_lo
	global_store_d16_hi_b16 v[20:21], v14, off
	s_or_b32 exec_lo, exec_lo, s17
	s_and_saveexec_b32 s17, s1
	s_cbranch_execnz .LBB866_162
	s_branch .LBB866_163
.LBB866_135:
	s_mov_b32 s30, 0
                                        ; implicit-def: $sgpr0
                                        ; implicit-def: $vgpr57
                                        ; implicit-def: $vgpr51
                                        ; implicit-def: $vgpr52
                                        ; implicit-def: $vgpr53
                                        ; implicit-def: $vgpr54
                                        ; implicit-def: $vgpr55
                                        ; implicit-def: $vgpr56
                                        ; implicit-def: $vgpr58
                                        ; implicit-def: $vgpr59
                                        ; implicit-def: $vgpr60
                                        ; implicit-def: $vgpr61
                                        ; implicit-def: $vgpr62
                                        ; implicit-def: $vgpr63
                                        ; implicit-def: $vgpr64
	s_cbranch_execz .LBB866_69
.LBB866_136:
	v_lshrrev_b32_e32 v6, 16, v15
	v_lshrrev_b32_e32 v7, 16, v14
	;; [unrolled: 1-line block ×3, first 2 shown]
	v_lshlrev_b32_e32 v5, 1, v0
	s_mov_b32 s31, 1
	v_cmp_ne_u16_e32 vcc_lo, v15, v6
	s_mov_b32 s1, exec_lo
                                        ; implicit-def: $sgpr0
	ds_store_b16 v5, v6
	s_waitcnt lgkmcnt(0)
	v_cndmask_b32_e64 v57, 0, 1, vcc_lo
	v_cmp_ne_u16_e32 vcc_lo, v7, v15
	s_barrier
	buffer_gl0_inv
	v_cndmask_b32_e64 v51, 0, 1, vcc_lo
	v_cmp_ne_u16_e32 vcc_lo, v14, v7
	v_lshrrev_b32_e32 v7, 16, v4
	v_cndmask_b32_e64 v52, 0, 1, vcc_lo
	v_cmp_ne_u16_e32 vcc_lo, v8, v14
	v_cndmask_b32_e64 v53, 0, 1, vcc_lo
	v_cmp_ne_u16_e32 vcc_lo, v13, v8
	v_lshrrev_b32_e32 v8, 16, v3
	v_cndmask_b32_e64 v54, 0, 1, vcc_lo
	v_cmp_ne_u16_e32 vcc_lo, v7, v13
	;; [unrolled: 5-line block ×4, first 2 shown]
	v_cndmask_b32_e64 v60, 0, 1, vcc_lo
	v_cmp_ne_u16_e32 vcc_lo, v2, v7
	v_cndmask_b32_e64 v61, 0, 1, vcc_lo
	v_cmp_ne_u16_e32 vcc_lo, v8, v2
	;; [unrolled: 2-line block ×4, first 2 shown]
	v_cndmask_b32_e64 v64, 0, 1, vcc_lo
	v_cmpx_ne_u32_e32 0, v0
	s_xor_b32 s1, exec_lo, s1
	s_cbranch_execz .LBB866_138
; %bb.137:
	v_add_nc_u32_e32 v5, -2, v5
	s_or_b32 s30, s30, exec_lo
	ds_load_u16 v5, v5
	s_waitcnt lgkmcnt(0)
	v_cmp_ne_u16_e32 vcc_lo, v5, v50
	s_and_b32 s0, vcc_lo, exec_lo
.LBB866_138:
	s_or_b32 exec_lo, exec_lo, s1
	s_branch .LBB866_71
.LBB866_139:
	s_mul_hi_u32 s0, s16, 0xfffff100
	s_mul_i32 s1, s17, 0xfffff100
	s_sub_i32 s0, s0, s16
	s_mul_i32 s2, s16, 0xfffff100
	s_add_i32 s0, s0, s1
	s_add_u32 s18, s2, s40
	s_addc_u32 s19, s0, s41
	s_and_b32 vcc_lo, exec_lo, s33
	s_cbranch_vccz .LBB866_146
; %bb.140:
	v_add_co_u32 v5, s0, -2, s29
	s_delay_alu instid0(VALU_DEP_1)
	v_add_co_ci_u32_e64 v6, null, -1, s14, s0
	v_lshrrev_b32_e32 v10, 16, v15
	v_lshlrev_b32_e32 v8, 1, v0
	v_lshrrev_b32_e32 v11, 16, v14
	flat_load_u16 v9, v[5:6]
	v_mad_u32_u24 v5, v0, 15, 14
	v_mov_b32_e32 v6, 0
	v_cmp_ne_u16_e64 s5, v15, v10
	ds_store_b16 v8, v10
	v_cmp_ne_u16_e64 s7, v11, v15
	v_lshrrev_b32_e32 v10, 16, v13
	v_cmp_gt_u64_e32 vcc_lo, s[18:19], v[5:6]
	v_mad_u32_u24 v5, v0, 15, 13
	v_mul_u32_u24_e32 v7, 15, v0
	s_mov_b32 s30, -1
	s_mov_b32 s8, 0
	s_waitcnt vmcnt(0) lgkmcnt(0)
	v_cmp_gt_u64_e64 s0, s[18:19], v[5:6]
	v_mad_u32_u24 v5, v0, 15, 12
	s_and_b32 s9, vcc_lo, s5
	v_cmp_ne_u16_e64 s5, v10, v14
	s_barrier
	buffer_gl0_inv
	v_cmp_gt_u64_e64 s1, s[18:19], v[5:6]
	v_mad_u32_u24 v5, v0, 15, 11
	s_and_b32 s10, s0, s7
	v_cmp_ne_u16_e64 s0, v14, v11
	v_lshrrev_b32_e32 v11, 16, v4
	s_delay_alu instid0(VALU_DEP_3) | instskip(SKIP_1) | instid1(VALU_DEP_4)
	v_cmp_gt_u64_e64 s2, s[18:19], v[5:6]
	v_mad_u32_u24 v5, v0, 15, 10
	s_and_b32 s11, s1, s0
	v_cmp_ne_u16_e64 s0, v13, v10
	v_cmp_ne_u16_e64 s1, v11, v13
	v_lshrrev_b32_e32 v10, 16, v3
	v_cmp_gt_u64_e64 s3, s[18:19], v[5:6]
	v_mad_u32_u24 v5, v0, 15, 9
	s_and_b32 s12, s2, s5
	s_delay_alu instid0(VALU_DEP_1) | instskip(SKIP_1) | instid1(VALU_DEP_4)
	v_cmp_gt_u64_e64 s4, s[18:19], v[5:6]
	v_mad_u32_u24 v5, v0, 15, 8
	s_and_b32 s13, s3, s0
	v_cmp_ne_u16_e64 s0, v4, v11
	v_lshrrev_b32_e32 v11, 16, v2
	v_cmp_ne_u16_e64 s3, v3, v10
	v_cmp_gt_u64_e64 s6, s[18:19], v[5:6]
	v_mad_u32_u24 v5, v0, 15, 7
	s_and_b32 s14, s4, s1
	s_delay_alu instid0(VALU_DEP_1) | instskip(SKIP_1) | instid1(VALU_DEP_4)
	v_cmp_gt_u64_e32 vcc_lo, s[18:19], v[5:6]
	v_mad_u32_u24 v5, v0, 15, 6
	s_and_b32 s16, s6, s0
	v_cmp_ne_u16_e64 s0, v10, v4
	v_lshrrev_b32_e32 v10, 16, v1
	v_cmp_ne_u16_e64 s6, v50, v1
	v_cmp_gt_u64_e64 s7, s[18:19], v[5:6]
	v_mad_u32_u24 v5, v0, 15, 5
	s_and_b32 s17, vcc_lo, s0
	v_cmp_ne_u16_e32 vcc_lo, v11, v3
	s_delay_alu instid0(VALU_DEP_2) | instskip(SKIP_3) | instid1(VALU_DEP_2)
	v_cmp_gt_u64_e64 s2, s[18:19], v[5:6]
	v_mad_u32_u24 v5, v0, 15, 4
	s_and_b32 s7, s7, s3
	v_cmp_ne_u16_e64 s3, v1, v10
	v_cmp_gt_u64_e64 s1, s[18:19], v[5:6]
	v_mad_u32_u24 v5, v0, 15, 3
	s_and_b32 s29, s2, vcc_lo
	v_cmp_ne_u16_e32 vcc_lo, v2, v11
	v_cmp_ne_u16_e64 s2, v10, v2
	s_delay_alu instid0(VALU_DEP_3) | instskip(SKIP_2) | instid1(VALU_DEP_1)
	v_cmp_gt_u64_e64 s4, s[18:19], v[5:6]
	v_mad_u32_u24 v5, v0, 15, 2
	s_and_b32 s31, s1, vcc_lo
	v_cmp_gt_u64_e64 s0, s[18:19], v[5:6]
	v_mad_u32_u24 v5, v0, 15, 1
	s_delay_alu instid0(VALU_DEP_4) | instskip(NEXT) | instid1(VALU_DEP_1)
	s_and_b32 s2, s4, s2
	v_cmp_gt_u64_e64 s5, s[18:19], v[5:6]
	s_delay_alu instid0(VALU_DEP_3) | instskip(SKIP_1) | instid1(VALU_DEP_1)
	s_and_b32 s1, s0, s3
	s_mov_b32 s0, exec_lo
	s_and_b32 s3, s5, s6
	v_cmpx_ne_u32_e32 0, v0
	s_cbranch_execz .LBB866_142
; %bb.141:
	v_add_nc_u32_e32 v5, -2, v8
	ds_load_u16 v9, v5
.LBB866_142:
	s_or_b32 exec_lo, exec_lo, s0
	v_mov_b32_e32 v8, v6
	s_waitcnt lgkmcnt(0)
	v_cmp_ne_u16_e64 s0, v9, v50
	v_cndmask_b32_e64 v57, 0, 1, s9
	v_cndmask_b32_e64 v51, 0, 1, s10
	;; [unrolled: 1-line block ×3, first 2 shown]
	v_cmp_gt_u64_e32 vcc_lo, s[18:19], v[7:8]
	v_cndmask_b32_e64 v53, 0, 1, s12
	v_cndmask_b32_e64 v54, 0, 1, s13
	;; [unrolled: 1-line block ×11, first 2 shown]
	s_and_b32 s0, vcc_lo, s0
	s_and_b32 vcc_lo, exec_lo, s8
	s_cbranch_vccnz .LBB866_147
.LBB866_143:
                                        ; implicit-def: $sgpr31
	v_mov_b32_e32 v65, s31
	s_and_saveexec_b32 s1, s30
	s_cbranch_execnz .LBB866_72
	s_branch .LBB866_73
.LBB866_144:
	s_and_not1_saveexec_b32 s15, s15
	s_cbranch_execz .LBB866_164
.LBB866_145:
	v_sub_nc_u32_e32 v20, v40, v7
	v_mov_b32_e32 v21, 0
	s_or_b32 s17, s17, exec_lo
	s_delay_alu instid0(VALU_DEP_1) | instskip(SKIP_1) | instid1(VALU_DEP_1)
	v_lshlrev_b64 v[22:23], 1, v[20:21]
	v_sub_nc_u32_e32 v20, v46, v7
	v_lshlrev_b64 v[67:68], 1, v[20:21]
	v_sub_nc_u32_e32 v20, v42, v7
	s_delay_alu instid0(VALU_DEP_4) | instskip(SKIP_1) | instid1(VALU_DEP_3)
	v_add_co_u32 v22, vcc_lo, v6, v22
	v_add_co_ci_u32_e32 v23, vcc_lo, v18, v23, vcc_lo
	v_lshlrev_b64 v[69:70], 1, v[20:21]
	v_sub_nc_u32_e32 v20, v38, v7
	v_add_co_u32 v67, vcc_lo, v6, v67
	v_add_co_ci_u32_e32 v68, vcc_lo, v18, v68, vcc_lo
	global_store_b16 v[22:23], v50, off
	v_lshlrev_b64 v[22:23], 1, v[20:21]
	v_sub_nc_u32_e32 v20, v32, v7
	global_store_b16 v[67:68], v1, off
	v_add_co_u32 v67, vcc_lo, v6, v69
	v_add_co_ci_u32_e32 v68, vcc_lo, v18, v70, vcc_lo
	v_lshlrev_b64 v[69:70], 1, v[20:21]
	v_sub_nc_u32_e32 v20, v28, v7
	v_add_co_u32 v22, vcc_lo, v6, v22
	v_add_co_ci_u32_e32 v23, vcc_lo, v18, v23, vcc_lo
	s_delay_alu instid0(VALU_DEP_3) | instskip(SKIP_3) | instid1(VALU_DEP_3)
	v_lshlrev_b64 v[71:72], 1, v[20:21]
	v_sub_nc_u32_e32 v20, v26, v7
	v_add_co_u32 v69, vcc_lo, v6, v69
	v_add_co_ci_u32_e32 v70, vcc_lo, v18, v70, vcc_lo
	v_lshlrev_b64 v[73:74], 1, v[20:21]
	v_sub_nc_u32_e32 v20, v30, v7
	v_add_co_u32 v71, vcc_lo, v6, v71
	v_add_co_ci_u32_e32 v72, vcc_lo, v18, v72, vcc_lo
	s_clause 0x3
	global_store_d16_hi_b16 v[67:68], v1, off
	global_store_b16 v[22:23], v2, off
	global_store_d16_hi_b16 v[69:70], v2, off
	global_store_b16 v[71:72], v3, off
	v_lshlrev_b64 v[22:23], 1, v[20:21]
	v_sub_nc_u32_e32 v20, v34, v7
	v_add_co_u32 v67, vcc_lo, v6, v73
	v_add_co_ci_u32_e32 v68, vcc_lo, v18, v74, vcc_lo
	s_delay_alu instid0(VALU_DEP_3) | instskip(SKIP_3) | instid1(VALU_DEP_3)
	v_lshlrev_b64 v[69:70], 1, v[20:21]
	v_sub_nc_u32_e32 v20, v9, v7
	v_add_co_u32 v22, vcc_lo, v6, v22
	v_add_co_ci_u32_e32 v23, vcc_lo, v18, v23, vcc_lo
	v_lshlrev_b64 v[71:72], 1, v[20:21]
	v_sub_nc_u32_e32 v20, v11, v7
	v_add_co_u32 v69, vcc_lo, v6, v69
	v_add_co_ci_u32_e32 v70, vcc_lo, v18, v70, vcc_lo
	s_delay_alu instid0(VALU_DEP_3)
	v_lshlrev_b64 v[73:74], 1, v[20:21]
	v_sub_nc_u32_e32 v20, v24, v7
	v_add_co_u32 v71, vcc_lo, v6, v71
	v_add_co_ci_u32_e32 v72, vcc_lo, v18, v72, vcc_lo
	s_clause 0x3
	global_store_d16_hi_b16 v[67:68], v3, off
	global_store_b16 v[22:23], v4, off
	global_store_d16_hi_b16 v[69:70], v4, off
	global_store_b16 v[71:72], v13, off
	v_lshlrev_b64 v[22:23], 1, v[20:21]
	v_sub_nc_u32_e32 v20, v48, v7
	v_add_co_u32 v67, vcc_lo, v6, v73
	v_add_co_ci_u32_e32 v68, vcc_lo, v18, v74, vcc_lo
	s_delay_alu instid0(VALU_DEP_3) | instskip(SKIP_3) | instid1(VALU_DEP_3)
	v_lshlrev_b64 v[69:70], 1, v[20:21]
	v_sub_nc_u32_e32 v20, v44, v7
	v_add_co_u32 v22, vcc_lo, v6, v22
	v_add_co_ci_u32_e32 v23, vcc_lo, v18, v23, vcc_lo
	v_lshlrev_b64 v[20:21], 1, v[20:21]
	v_add_co_u32 v69, vcc_lo, v6, v69
	v_add_co_ci_u32_e32 v70, vcc_lo, v18, v70, vcc_lo
	s_clause 0x2
	global_store_d16_hi_b16 v[67:68], v13, off
	global_store_b16 v[22:23], v14, off
	global_store_d16_hi_b16 v[69:70], v14, off
	v_add_co_u32 v20, vcc_lo, v6, v20
	v_add_co_ci_u32_e32 v21, vcc_lo, v18, v21, vcc_lo
	global_store_b16 v[20:21], v15, off
	s_or_b32 exec_lo, exec_lo, s15
	s_delay_alu instid0(SALU_CYCLE_1)
	s_and_b32 exec_lo, exec_lo, s17
	s_cbranch_execnz .LBB866_165
	s_branch .LBB866_166
.LBB866_146:
                                        ; implicit-def: $sgpr0
                                        ; implicit-def: $vgpr57
                                        ; implicit-def: $vgpr51
                                        ; implicit-def: $vgpr52
                                        ; implicit-def: $vgpr53
                                        ; implicit-def: $vgpr54
                                        ; implicit-def: $vgpr55
                                        ; implicit-def: $vgpr56
                                        ; implicit-def: $vgpr58
                                        ; implicit-def: $vgpr59
                                        ; implicit-def: $vgpr60
                                        ; implicit-def: $vgpr61
                                        ; implicit-def: $vgpr62
                                        ; implicit-def: $vgpr63
                                        ; implicit-def: $vgpr64
	s_cbranch_execz .LBB866_143
.LBB866_147:
	v_mad_u32_u24 v5, v0, 15, 14
	v_dual_mov_b32 v6, 0 :: v_dual_lshlrev_b32 v7, 1, v0
	v_lshrrev_b32_e32 v8, 16, v15
	v_lshrrev_b32_e32 v9, 16, v14
	;; [unrolled: 1-line block ×3, first 2 shown]
	s_delay_alu instid0(VALU_DEP_4)
	v_cmp_gt_u64_e32 vcc_lo, s[18:19], v[5:6]
	v_mad_u32_u24 v5, v0, 15, 13
	v_cmp_ne_u16_e64 s4, v15, v8
	v_cmp_ne_u16_e64 s5, v9, v15
	;; [unrolled: 1-line block ×3, first 2 shown]
	v_lshrrev_b32_e32 v11, 16, v4
	v_cmp_gt_u64_e64 s0, s[18:19], v[5:6]
	v_mad_u32_u24 v5, v0, 15, 12
	s_and_b32 s4, vcc_lo, s4
	v_cmp_ne_u16_e64 s7, v10, v14
	v_cmp_ne_u16_e64 s9, v13, v10
	v_cmp_ne_u16_e64 s10, v11, v13
	v_cmp_gt_u64_e64 s1, s[18:19], v[5:6]
	v_mad_u32_u24 v5, v0, 15, 11
	s_and_b32 s0, s0, s5
	v_cmp_ne_u16_e64 s11, v4, v11
	v_cndmask_b32_e64 v51, 0, 1, s0
	v_lshrrev_b32_e32 v12, 16, v3
	v_cmp_gt_u64_e64 s2, s[18:19], v[5:6]
	v_mad_u32_u24 v5, v0, 15, 10
	s_and_b32 s0, s1, s6
	v_lshrrev_b32_e32 v24, 16, v2
	v_cndmask_b32_e64 v52, 0, 1, s0
	v_cmp_ne_u16_e64 s12, v12, v4
	v_cmp_gt_u64_e64 s3, s[18:19], v[5:6]
	v_mad_u32_u24 v5, v0, 15, 9
	s_and_b32 s1, s2, s7
	v_cmp_ne_u16_e64 s14, v3, v12
	v_cndmask_b32_e64 v53, 0, 1, s1
	v_cmp_ne_u16_e64 s16, v24, v3
	v_cmp_gt_u64_e64 s8, s[18:19], v[5:6]
	v_mad_u32_u24 v5, v0, 15, 8
	s_and_b32 s1, s3, s9
	v_lshrrev_b32_e32 v9, 16, v1
	v_cndmask_b32_e64 v54, 0, 1, s1
	v_cndmask_b32_e64 v57, 0, 1, s4
	v_cmp_gt_u64_e64 s13, s[18:19], v[5:6]
	v_mad_u32_u24 v5, v0, 15, 7
	s_and_b32 s2, s8, s10
	v_cmp_ne_u16_e64 s4, v50, v1
	v_cndmask_b32_e64 v55, 0, 1, s2
	s_mov_b32 s31, 1
	v_cmp_gt_u64_e32 vcc_lo, s[18:19], v[5:6]
	v_mad_u32_u24 v5, v0, 15, 6
	s_and_b32 s2, s13, s11
	ds_store_b16 v7, v8
	v_cndmask_b32_e64 v56, 0, 1, s2
	s_waitcnt lgkmcnt(0)
	v_cmp_gt_u64_e64 s0, s[18:19], v[5:6]
	v_mad_u32_u24 v5, v0, 15, 5
	s_and_b32 s3, vcc_lo, s12
	s_barrier
	v_cndmask_b32_e64 v58, 0, 1, s3
	v_cmp_ne_u16_e64 s3, v9, v2
	v_cmp_gt_u64_e64 s1, s[18:19], v[5:6]
	v_mad_u32_u24 v5, v0, 15, 4
	s_and_b32 s0, s0, s14
	buffer_gl0_inv
	v_cndmask_b32_e64 v59, 0, 1, s0
	v_cmp_ne_u16_e64 s0, v2, v24
	v_cmp_gt_u64_e64 s2, s[18:19], v[5:6]
	v_mad_u32_u24 v5, v0, 15, 3
	s_and_b32 s1, s1, s16
	s_delay_alu instid0(SALU_CYCLE_1) | instskip(NEXT) | instid1(VALU_DEP_2)
	v_cndmask_b32_e64 v60, 0, 1, s1
	v_cmp_gt_u64_e32 vcc_lo, s[18:19], v[5:6]
	v_mad_u32_u24 v5, v0, 15, 2
	s_and_b32 s0, s2, s0
	s_delay_alu instid0(SALU_CYCLE_1) | instskip(SKIP_1) | instid1(VALU_DEP_3)
	v_cndmask_b32_e64 v61, 0, 1, s0
	v_cmp_ne_u16_e64 s0, v1, v9
	v_cmp_gt_u64_e64 s1, s[18:19], v[5:6]
	v_mad_u32_u24 v5, v0, 15, 1
	s_and_b32 s3, vcc_lo, s3
	s_delay_alu instid0(SALU_CYCLE_1) | instskip(NEXT) | instid1(VALU_DEP_2)
	v_cndmask_b32_e64 v62, 0, 1, s3
	v_cmp_gt_u64_e64 s2, s[18:19], v[5:6]
	s_delay_alu instid0(VALU_DEP_4) | instskip(SKIP_2) | instid1(VALU_DEP_2)
	s_and_b32 s0, s1, s0
	s_mov_b32 s1, exec_lo
	v_cndmask_b32_e64 v63, 0, 1, s0
	s_and_b32 s0, s2, s4
	s_delay_alu instid0(SALU_CYCLE_1)
	v_cndmask_b32_e64 v64, 0, 1, s0
                                        ; implicit-def: $sgpr0
	v_cmpx_ne_u32_e32 0, v0
	s_cbranch_execz .LBB866_186
; %bb.148:
	v_add_nc_u32_e32 v5, -2, v7
	s_or_b32 s30, s30, exec_lo
	ds_load_u16 v7, v5
	v_mul_u32_u24_e32 v5, 15, v0
	s_delay_alu instid0(VALU_DEP_1) | instskip(SKIP_2) | instid1(VALU_DEP_1)
	v_cmp_gt_u64_e32 vcc_lo, s[18:19], v[5:6]
	s_waitcnt lgkmcnt(0)
	v_cmp_ne_u16_e64 s0, v7, v50
	s_and_b32 s0, vcc_lo, s0
	s_delay_alu instid0(SALU_CYCLE_1)
	s_and_b32 s0, s0, exec_lo
	s_or_b32 exec_lo, exec_lo, s1
	v_mov_b32_e32 v65, s31
	s_and_saveexec_b32 s1, s30
	s_cbranch_execz .LBB866_73
	s_branch .LBB866_72
.LBB866_149:
	s_or_b32 exec_lo, exec_lo, s17
	s_and_saveexec_b32 s17, s13
	s_cbranch_execz .LBB866_123
.LBB866_150:
	v_sub_nc_u32_e32 v20, v46, v7
	v_mov_b32_e32 v21, 0
	s_delay_alu instid0(VALU_DEP_1) | instskip(NEXT) | instid1(VALU_DEP_1)
	v_lshlrev_b64 v[20:21], 1, v[20:21]
	v_add_co_u32 v20, vcc_lo, v6, v20
	s_delay_alu instid0(VALU_DEP_2)
	v_add_co_ci_u32_e32 v21, vcc_lo, v18, v21, vcc_lo
	global_store_b16 v[20:21], v1, off
	s_or_b32 exec_lo, exec_lo, s17
	s_and_saveexec_b32 s17, s12
	s_cbranch_execnz .LBB866_124
.LBB866_151:
	s_or_b32 exec_lo, exec_lo, s17
	s_and_saveexec_b32 s17, s11
	s_cbranch_execz .LBB866_125
.LBB866_152:
	v_sub_nc_u32_e32 v20, v38, v7
	v_mov_b32_e32 v21, 0
	s_delay_alu instid0(VALU_DEP_1) | instskip(NEXT) | instid1(VALU_DEP_1)
	v_lshlrev_b64 v[20:21], 1, v[20:21]
	v_add_co_u32 v20, vcc_lo, v6, v20
	s_delay_alu instid0(VALU_DEP_2)
	v_add_co_ci_u32_e32 v21, vcc_lo, v18, v21, vcc_lo
	global_store_b16 v[20:21], v2, off
	s_or_b32 exec_lo, exec_lo, s17
	s_and_saveexec_b32 s17, s10
	s_cbranch_execnz .LBB866_126
.LBB866_153:
	s_or_b32 exec_lo, exec_lo, s17
	s_and_saveexec_b32 s17, s9
	s_cbranch_execz .LBB866_127
.LBB866_154:
	v_sub_nc_u32_e32 v20, v28, v7
	v_mov_b32_e32 v21, 0
	s_delay_alu instid0(VALU_DEP_1) | instskip(NEXT) | instid1(VALU_DEP_1)
	v_lshlrev_b64 v[20:21], 1, v[20:21]
	v_add_co_u32 v20, vcc_lo, v6, v20
	s_delay_alu instid0(VALU_DEP_2)
	v_add_co_ci_u32_e32 v21, vcc_lo, v18, v21, vcc_lo
	global_store_b16 v[20:21], v3, off
	s_or_b32 exec_lo, exec_lo, s17
	s_and_saveexec_b32 s17, s7
	s_cbranch_execnz .LBB866_128
.LBB866_155:
	s_or_b32 exec_lo, exec_lo, s17
	s_and_saveexec_b32 s17, s5
	s_cbranch_execz .LBB866_129
.LBB866_156:
	v_sub_nc_u32_e32 v20, v30, v7
	v_mov_b32_e32 v21, 0
	s_delay_alu instid0(VALU_DEP_1) | instskip(NEXT) | instid1(VALU_DEP_1)
	v_lshlrev_b64 v[20:21], 1, v[20:21]
	v_add_co_u32 v20, vcc_lo, v6, v20
	s_delay_alu instid0(VALU_DEP_2)
	v_add_co_ci_u32_e32 v21, vcc_lo, v18, v21, vcc_lo
	global_store_b16 v[20:21], v4, off
	s_or_b32 exec_lo, exec_lo, s17
	s_and_saveexec_b32 s17, s8
	s_cbranch_execnz .LBB866_130
.LBB866_157:
	s_or_b32 exec_lo, exec_lo, s17
	s_and_saveexec_b32 s17, s6
	s_cbranch_execz .LBB866_131
.LBB866_158:
	v_sub_nc_u32_e32 v20, v9, v7
	v_mov_b32_e32 v21, 0
	s_delay_alu instid0(VALU_DEP_1) | instskip(NEXT) | instid1(VALU_DEP_1)
	v_lshlrev_b64 v[20:21], 1, v[20:21]
	v_add_co_u32 v20, vcc_lo, v6, v20
	s_delay_alu instid0(VALU_DEP_2)
	v_add_co_ci_u32_e32 v21, vcc_lo, v18, v21, vcc_lo
	global_store_b16 v[20:21], v13, off
	s_or_b32 exec_lo, exec_lo, s17
	s_and_saveexec_b32 s17, s4
	s_cbranch_execnz .LBB866_132
.LBB866_159:
	s_or_b32 exec_lo, exec_lo, s17
	s_and_saveexec_b32 s17, s3
	s_cbranch_execz .LBB866_133
.LBB866_160:
	v_sub_nc_u32_e32 v20, v24, v7
	v_mov_b32_e32 v21, 0
	s_delay_alu instid0(VALU_DEP_1) | instskip(NEXT) | instid1(VALU_DEP_1)
	v_lshlrev_b64 v[20:21], 1, v[20:21]
	v_add_co_u32 v20, vcc_lo, v6, v20
	s_delay_alu instid0(VALU_DEP_2)
	v_add_co_ci_u32_e32 v21, vcc_lo, v18, v21, vcc_lo
	global_store_b16 v[20:21], v14, off
	s_or_b32 exec_lo, exec_lo, s17
	s_and_saveexec_b32 s17, s2
	s_cbranch_execnz .LBB866_134
.LBB866_161:
	s_or_b32 exec_lo, exec_lo, s17
	s_and_saveexec_b32 s17, s1
	s_cbranch_execz .LBB866_163
.LBB866_162:
	v_sub_nc_u32_e32 v20, v44, v7
	v_mov_b32_e32 v21, 0
	s_delay_alu instid0(VALU_DEP_1) | instskip(NEXT) | instid1(VALU_DEP_1)
	v_lshlrev_b64 v[20:21], 1, v[20:21]
	v_add_co_u32 v20, vcc_lo, v6, v20
	s_delay_alu instid0(VALU_DEP_2)
	v_add_co_ci_u32_e32 v21, vcc_lo, v18, v21, vcc_lo
	global_store_b16 v[20:21], v15, off
.LBB866_163:
	s_or_b32 exec_lo, exec_lo, s17
	s_delay_alu instid0(SALU_CYCLE_1)
	s_and_b32 s17, s0, exec_lo
	s_and_not1_saveexec_b32 s15, s15
	s_cbranch_execnz .LBB866_145
.LBB866_164:
	s_or_b32 exec_lo, exec_lo, s15
	s_delay_alu instid0(SALU_CYCLE_1)
	s_and_b32 exec_lo, exec_lo, s17
	s_cbranch_execz .LBB866_166
.LBB866_165:
	v_sub_nc_u32_e32 v20, v36, v7
	v_mov_b32_e32 v21, 0
	s_delay_alu instid0(VALU_DEP_1) | instskip(NEXT) | instid1(VALU_DEP_1)
	v_lshlrev_b64 v[20:21], 1, v[20:21]
	v_add_co_u32 v20, vcc_lo, v6, v20
	s_delay_alu instid0(VALU_DEP_2)
	v_add_co_ci_u32_e32 v21, vcc_lo, v18, v21, vcc_lo
	global_store_d16_hi_b16 v[20:21], v15, off
.LBB866_166:
	s_or_b32 exec_lo, exec_lo, s16
	s_mov_b32 s16, 0
.LBB866_167:
	s_delay_alu instid0(SALU_CYCLE_1)
	s_and_b32 vcc_lo, exec_lo, s16
	s_cbranch_vccz .LBB866_220
; %bb.168:
	s_mov_b32 s15, exec_lo
	v_cmpx_gt_i16_e32 2, v19
	s_cbranch_execz .LBB866_204
; %bb.169:
	s_mov_b32 s17, 0
	s_mov_b32 s16, exec_lo
	v_cmpx_ne_u16_e32 1, v19
	s_xor_b32 s16, exec_lo, s16
	s_cbranch_execz .LBB866_184
; %bb.170:
	s_and_saveexec_b32 s17, s14
	s_cbranch_execz .LBB866_187
; %bb.171:
	v_sub_nc_u32_e32 v19, v40, v7
	s_delay_alu instid0(VALU_DEP_1)
	v_lshlrev_b32_e32 v19, 1, v19
	ds_store_b16 v19, v50
	s_or_b32 exec_lo, exec_lo, s17
	s_and_saveexec_b32 s14, s13
	s_cbranch_execnz .LBB866_188
.LBB866_172:
	s_or_b32 exec_lo, exec_lo, s14
	s_and_saveexec_b32 s13, s12
	s_cbranch_execz .LBB866_189
.LBB866_173:
	v_sub_nc_u32_e32 v19, v42, v7
	s_delay_alu instid0(VALU_DEP_1)
	v_lshlrev_b32_e32 v19, 1, v19
	ds_store_b16_d16_hi v19, v1
	s_or_b32 exec_lo, exec_lo, s13
	s_and_saveexec_b32 s12, s11
	s_cbranch_execnz .LBB866_190
.LBB866_174:
	s_or_b32 exec_lo, exec_lo, s12
	s_and_saveexec_b32 s11, s10
	s_cbranch_execz .LBB866_191
.LBB866_175:
	v_sub_nc_u32_e32 v1, v32, v7
	s_delay_alu instid0(VALU_DEP_1)
	v_lshlrev_b32_e32 v1, 1, v1
	ds_store_b16_d16_hi v1, v2
	s_or_b32 exec_lo, exec_lo, s11
	s_and_saveexec_b32 s10, s9
	s_cbranch_execnz .LBB866_192
.LBB866_176:
	s_or_b32 exec_lo, exec_lo, s10
	s_and_saveexec_b32 s9, s7
	s_cbranch_execz .LBB866_193
.LBB866_177:
	v_sub_nc_u32_e32 v1, v26, v7
	s_delay_alu instid0(VALU_DEP_1)
	v_lshlrev_b32_e32 v1, 1, v1
	ds_store_b16_d16_hi v1, v3
	s_or_b32 exec_lo, exec_lo, s9
	s_and_saveexec_b32 s7, s5
	s_cbranch_execnz .LBB866_194
.LBB866_178:
	s_or_b32 exec_lo, exec_lo, s7
	s_and_saveexec_b32 s5, s8
	s_cbranch_execz .LBB866_195
.LBB866_179:
	v_sub_nc_u32_e32 v1, v34, v7
	s_delay_alu instid0(VALU_DEP_1)
	v_lshlrev_b32_e32 v1, 1, v1
	ds_store_b16_d16_hi v1, v4
	s_or_b32 exec_lo, exec_lo, s5
	s_and_saveexec_b32 s5, s6
	s_cbranch_execnz .LBB866_196
.LBB866_180:
	s_or_b32 exec_lo, exec_lo, s5
	s_and_saveexec_b32 s5, s4
	s_cbranch_execz .LBB866_197
.LBB866_181:
	v_sub_nc_u32_e32 v1, v11, v7
	s_delay_alu instid0(VALU_DEP_1)
	v_lshlrev_b32_e32 v1, 1, v1
	ds_store_b16_d16_hi v1, v13
	s_or_b32 exec_lo, exec_lo, s5
	s_and_saveexec_b32 s4, s3
	s_cbranch_execnz .LBB866_198
.LBB866_182:
	s_or_b32 exec_lo, exec_lo, s4
	s_and_saveexec_b32 s3, s2
	s_cbranch_execz .LBB866_199
.LBB866_183:
	v_sub_nc_u32_e32 v1, v48, v7
	s_delay_alu instid0(VALU_DEP_1)
	v_lshlrev_b32_e32 v1, 1, v1
	ds_store_b16_d16_hi v1, v14
	s_or_b32 exec_lo, exec_lo, s3
	s_and_saveexec_b32 s2, s1
	s_cbranch_execnz .LBB866_200
	s_branch .LBB866_201
.LBB866_184:
	s_and_not1_saveexec_b32 s0, s16
	s_cbranch_execz .LBB866_202
.LBB866_185:
	v_sub_nc_u32_e32 v19, v40, v7
	v_sub_nc_u32_e32 v20, v46, v7
	;; [unrolled: 1-line block ×4, first 2 shown]
	s_or_b32 s17, s17, exec_lo
	v_lshlrev_b32_e32 v19, 1, v19
	v_lshlrev_b32_e32 v20, 1, v20
	;; [unrolled: 1-line block ×4, first 2 shown]
	ds_store_b16 v19, v50
	ds_store_b16 v20, v1
	ds_store_b16_d16_hi v21, v1
	v_sub_nc_u32_e32 v1, v32, v7
	v_sub_nc_u32_e32 v19, v28, v7
	ds_store_b16 v22, v2
	v_sub_nc_u32_e32 v22, v34, v7
	v_sub_nc_u32_e32 v20, v26, v7
	v_lshlrev_b32_e32 v1, 1, v1
	v_sub_nc_u32_e32 v21, v30, v7
	v_lshlrev_b32_e32 v19, 1, v19
	s_delay_alu instid0(VALU_DEP_4)
	v_lshlrev_b32_e32 v20, 1, v20
	ds_store_b16_d16_hi v1, v2
	v_lshlrev_b32_e32 v1, 1, v22
	v_sub_nc_u32_e32 v2, v9, v7
	v_lshlrev_b32_e32 v21, 1, v21
	ds_store_b16 v19, v3
	ds_store_b16_d16_hi v20, v3
	ds_store_b16 v21, v4
	ds_store_b16_d16_hi v1, v4
	v_sub_nc_u32_e32 v1, v11, v7
	v_lshlrev_b32_e32 v2, 1, v2
	v_sub_nc_u32_e32 v19, v44, v7
	v_sub_nc_u32_e32 v3, v24, v7
	;; [unrolled: 1-line block ×3, first 2 shown]
	v_lshlrev_b32_e32 v1, 1, v1
	ds_store_b16 v2, v13
	v_lshlrev_b32_e32 v2, 1, v19
	v_lshlrev_b32_e32 v3, 1, v3
	v_lshlrev_b32_e32 v4, 1, v4
	ds_store_b16_d16_hi v1, v13
	ds_store_b16 v3, v14
	ds_store_b16_d16_hi v4, v14
	ds_store_b16 v2, v15
	s_or_b32 exec_lo, exec_lo, s0
	s_delay_alu instid0(SALU_CYCLE_1)
	s_and_b32 exec_lo, exec_lo, s17
	s_cbranch_execnz .LBB866_203
	s_branch .LBB866_204
.LBB866_186:
	s_or_b32 exec_lo, exec_lo, s1
	v_mov_b32_e32 v65, s31
	s_and_saveexec_b32 s1, s30
	s_cbranch_execnz .LBB866_72
	s_branch .LBB866_73
.LBB866_187:
	s_or_b32 exec_lo, exec_lo, s17
	s_and_saveexec_b32 s14, s13
	s_cbranch_execz .LBB866_172
.LBB866_188:
	v_sub_nc_u32_e32 v19, v46, v7
	s_delay_alu instid0(VALU_DEP_1)
	v_lshlrev_b32_e32 v19, 1, v19
	ds_store_b16 v19, v1
	s_or_b32 exec_lo, exec_lo, s14
	s_and_saveexec_b32 s13, s12
	s_cbranch_execnz .LBB866_173
.LBB866_189:
	s_or_b32 exec_lo, exec_lo, s13
	s_and_saveexec_b32 s12, s11
	s_cbranch_execz .LBB866_174
.LBB866_190:
	v_sub_nc_u32_e32 v1, v38, v7
	s_delay_alu instid0(VALU_DEP_1)
	v_lshlrev_b32_e32 v1, 1, v1
	ds_store_b16 v1, v2
	s_or_b32 exec_lo, exec_lo, s12
	s_and_saveexec_b32 s11, s10
	s_cbranch_execnz .LBB866_175
.LBB866_191:
	s_or_b32 exec_lo, exec_lo, s11
	s_and_saveexec_b32 s10, s9
	s_cbranch_execz .LBB866_176
.LBB866_192:
	v_sub_nc_u32_e32 v1, v28, v7
	s_delay_alu instid0(VALU_DEP_1)
	v_lshlrev_b32_e32 v1, 1, v1
	ds_store_b16 v1, v3
	s_or_b32 exec_lo, exec_lo, s10
	s_and_saveexec_b32 s9, s7
	s_cbranch_execnz .LBB866_177
.LBB866_193:
	s_or_b32 exec_lo, exec_lo, s9
	s_and_saveexec_b32 s7, s5
	s_cbranch_execz .LBB866_178
.LBB866_194:
	v_sub_nc_u32_e32 v1, v30, v7
	s_delay_alu instid0(VALU_DEP_1)
	v_lshlrev_b32_e32 v1, 1, v1
	ds_store_b16 v1, v4
	s_or_b32 exec_lo, exec_lo, s7
	s_and_saveexec_b32 s5, s8
	s_cbranch_execnz .LBB866_179
.LBB866_195:
	s_or_b32 exec_lo, exec_lo, s5
	s_and_saveexec_b32 s5, s6
	s_cbranch_execz .LBB866_180
.LBB866_196:
	v_sub_nc_u32_e32 v1, v9, v7
	s_delay_alu instid0(VALU_DEP_1)
	v_lshlrev_b32_e32 v1, 1, v1
	ds_store_b16 v1, v13
	s_or_b32 exec_lo, exec_lo, s5
	s_and_saveexec_b32 s5, s4
	s_cbranch_execnz .LBB866_181
.LBB866_197:
	s_or_b32 exec_lo, exec_lo, s5
	s_and_saveexec_b32 s4, s3
	s_cbranch_execz .LBB866_182
.LBB866_198:
	v_sub_nc_u32_e32 v1, v24, v7
	s_delay_alu instid0(VALU_DEP_1)
	v_lshlrev_b32_e32 v1, 1, v1
	ds_store_b16 v1, v14
	s_or_b32 exec_lo, exec_lo, s4
	s_and_saveexec_b32 s3, s2
	s_cbranch_execnz .LBB866_183
.LBB866_199:
	s_or_b32 exec_lo, exec_lo, s3
	s_and_saveexec_b32 s2, s1
	s_cbranch_execz .LBB866_201
.LBB866_200:
	v_sub_nc_u32_e32 v1, v44, v7
	s_delay_alu instid0(VALU_DEP_1)
	v_lshlrev_b32_e32 v1, 1, v1
	ds_store_b16 v1, v15
.LBB866_201:
	s_or_b32 exec_lo, exec_lo, s2
	s_delay_alu instid0(SALU_CYCLE_1)
	s_and_b32 s17, s0, exec_lo
                                        ; implicit-def: $vgpr50
                                        ; implicit-def: $vgpr1
	s_and_not1_saveexec_b32 s0, s16
	s_cbranch_execnz .LBB866_185
.LBB866_202:
	s_or_b32 exec_lo, exec_lo, s0
	s_delay_alu instid0(SALU_CYCLE_1)
	s_and_b32 exec_lo, exec_lo, s17
	s_cbranch_execz .LBB866_204
.LBB866_203:
	v_sub_nc_u32_e32 v1, v36, v7
	s_delay_alu instid0(VALU_DEP_1)
	v_lshlrev_b32_e32 v1, 1, v1
	ds_store_b16_d16_hi v1, v15
.LBB866_204:
	s_or_b32 exec_lo, exec_lo, s15
	s_delay_alu instid0(SALU_CYCLE_1)
	s_mov_b32 s1, exec_lo
	s_waitcnt lgkmcnt(0)
	s_waitcnt_vscnt null, 0x0
	s_barrier
	buffer_gl0_inv
	v_cmpx_lt_u32_e64 v0, v5
	s_cbranch_execz .LBB866_219
; %bb.205:
	v_xad_u32 v2, v0, -1, v5
	v_mov_b32_e32 v1, v0
	s_mov_b32 s0, -1
	s_mov_b32 s3, exec_lo
	s_delay_alu instid0(VALU_DEP_2)
	v_cmp_gt_u32_e64 s2, 0x1900, v2
	v_cmpx_lt_u32_e32 0x18ff, v2
	s_cbranch_execz .LBB866_216
; %bb.206:
	v_sub_nc_u32_e32 v1, v0, v5
	s_delay_alu instid0(VALU_DEP_1) | instskip(NEXT) | instid1(VALU_DEP_1)
	v_or_b32_e32 v1, 0xff, v1
	v_cmp_ge_u32_e32 vcc_lo, v1, v0
	v_mov_b32_e32 v1, v0
	s_and_saveexec_b32 s4, vcc_lo
	s_cbranch_execz .LBB866_215
; %bb.207:
	v_lshrrev_b32_e32 v4, 8, v2
	v_or_b32_e32 v1, 0x100, v0
	v_dual_mov_b32 v22, 0 :: v_dual_lshlrev_b32 v15, 1, v0
	s_delay_alu instid0(VALU_DEP_3) | instskip(NEXT) | instid1(VALU_DEP_1)
	v_add_nc_u32_e32 v2, -1, v4
	v_lshrrev_b32_e32 v3, 1, v2
	v_cmp_lt_u32_e32 vcc_lo, 13, v2
	s_delay_alu instid0(VALU_DEP_2)
	v_add_nc_u32_e32 v19, 1, v3
	v_dual_mov_b32 v3, v1 :: v_dual_mov_b32 v2, v0
	s_and_saveexec_b32 s0, vcc_lo
	s_cbranch_execz .LBB866_211
; %bb.208:
	v_dual_mov_b32 v14, 0 :: v_dual_mov_b32 v3, v1
	v_dual_mov_b32 v21, v15 :: v_dual_and_b32 v20, -8, v19
	v_mov_b32_e32 v2, v0
	s_mov_b32 s5, 0
	s_mov_b32 s6, 0
.LBB866_209:                            ; =>This Inner Loop Header: Depth=1
	s_delay_alu instid0(VALU_DEP_1) | instskip(SKIP_2) | instid1(VALU_DEP_3)
	v_dual_mov_b32 v13, v2 :: v_dual_add_nc_u32 v20, -8, v20
	v_dual_mov_b32 v68, v14 :: v_dual_add_nc_u32 v67, 0x200, v3
	v_dual_mov_b32 v70, v14 :: v_dual_add_nc_u32 v69, 0x400, v3
	v_lshlrev_b64 v[81:82], 1, v[13:14]
	s_delay_alu instid0(VALU_DEP_4) | instskip(NEXT) | instid1(VALU_DEP_4)
	v_cmp_eq_u32_e32 vcc_lo, 0, v20
	v_lshlrev_b64 v[67:68], 1, v[67:68]
	v_dual_mov_b32 v72, v14 :: v_dual_add_nc_u32 v71, 0x600, v3
	s_add_i32 s6, s6, 16
	v_lshlrev_b64 v[69:70], 1, v[69:70]
	s_or_b32 s5, vcc_lo, s5
	v_add_co_u32 v81, vcc_lo, v6, v81
	v_dual_mov_b32 v74, v14 :: v_dual_add_nc_u32 v73, 0x800, v3
	v_add_co_ci_u32_e32 v82, vcc_lo, v18, v82, vcc_lo
	v_lshlrev_b64 v[71:72], 1, v[71:72]
	v_add_co_u32 v67, vcc_lo, v6, v67
	v_dual_mov_b32 v76, v14 :: v_dual_add_nc_u32 v75, 0xa00, v3
	v_add_co_ci_u32_e32 v68, vcc_lo, v18, v68, vcc_lo
	v_lshlrev_b64 v[73:74], 1, v[73:74]
	;; [unrolled: 4-line block ×3, first 2 shown]
	v_add_co_u32 v71, vcc_lo, v6, v71
	v_dual_mov_b32 v80, v14 :: v_dual_add_nc_u32 v79, 0xe00, v3
	v_mov_b32_e32 v13, v3
	v_add_co_ci_u32_e32 v72, vcc_lo, v18, v72, vcc_lo
	v_lshlrev_b64 v[77:78], 1, v[77:78]
	v_add_co_u32 v73, vcc_lo, v6, v73
	ds_load_u16 v1, v21
	ds_load_u16 v23, v21 offset:512
	ds_load_u16 v50, v21 offset:1024
	;; [unrolled: 1-line block ×7, first 2 shown]
	v_add_co_ci_u32_e32 v74, vcc_lo, v18, v74, vcc_lo
	v_lshlrev_b64 v[79:80], 1, v[79:80]
	v_add_co_u32 v75, vcc_lo, v6, v75
	v_lshlrev_b64 v[83:84], 1, v[13:14]
	v_add_nc_u32_e32 v13, 0x200, v2
	v_add_co_ci_u32_e32 v76, vcc_lo, v18, v76, vcc_lo
	v_add_co_u32 v77, vcc_lo, v6, v77
	v_add_co_ci_u32_e32 v78, vcc_lo, v18, v78, vcc_lo
	v_add_co_u32 v79, vcc_lo, v6, v79
	v_lshlrev_b64 v[85:86], 1, v[13:14]
	v_add_nc_u32_e32 v13, 0x400, v2
	v_add_co_ci_u32_e32 v80, vcc_lo, v18, v80, vcc_lo
	v_add_co_u32 v83, vcc_lo, v6, v83
	ds_load_u16 v92, v21 offset:4096
	ds_load_u16 v93, v21 offset:4608
	;; [unrolled: 1-line block ×8, first 2 shown]
	v_add_co_ci_u32_e32 v84, vcc_lo, v18, v84, vcc_lo
	s_waitcnt lgkmcnt(15)
	global_store_b16 v[81:82], v1, off
	v_lshlrev_b64 v[81:82], 1, v[13:14]
	v_add_nc_u32_e32 v13, 0x600, v2
	v_add_co_u32 v85, vcc_lo, v6, v85
	v_add_co_ci_u32_e32 v86, vcc_lo, v18, v86, vcc_lo
	s_waitcnt lgkmcnt(14)
	global_store_b16 v[83:84], v23, off
	v_lshlrev_b64 v[83:84], 1, v[13:14]
	v_add_nc_u32_e32 v13, 0x800, v2
	s_waitcnt lgkmcnt(13)
	global_store_b16 v[85:86], v50, off
	s_waitcnt lgkmcnt(12)
	global_store_b16 v[67:68], v87, off
	v_add_co_u32 v67, vcc_lo, v6, v81
	v_add_co_ci_u32_e32 v68, vcc_lo, v18, v82, vcc_lo
	v_lshlrev_b64 v[81:82], 1, v[13:14]
	v_add_nc_u32_e32 v13, 0xa00, v2
	v_add_co_u32 v83, vcc_lo, v6, v83
	v_add_co_ci_u32_e32 v84, vcc_lo, v18, v84, vcc_lo
	s_waitcnt lgkmcnt(11)
	global_store_b16 v[67:68], v88, off
	s_waitcnt lgkmcnt(10)
	global_store_b16 v[69:70], v89, off
	v_lshlrev_b64 v[67:68], 1, v[13:14]
	v_add_nc_u32_e32 v13, 0xc00, v2
	v_add_co_u32 v69, vcc_lo, v6, v81
	s_waitcnt lgkmcnt(9)
	global_store_b16 v[83:84], v90, off
	s_waitcnt lgkmcnt(8)
	global_store_b16 v[71:72], v91, off
	v_add_co_ci_u32_e32 v70, vcc_lo, v18, v82, vcc_lo
	v_lshlrev_b64 v[71:72], 1, v[13:14]
	v_add_nc_u32_e32 v13, 0xe00, v2
	v_add_nc_u32_e32 v2, 0x1000, v2
	v_add_co_u32 v67, vcc_lo, v6, v67
	v_add_co_ci_u32_e32 v68, vcc_lo, v18, v68, vcc_lo
	s_waitcnt lgkmcnt(7)
	global_store_b16 v[69:70], v92, off
	s_waitcnt lgkmcnt(6)
	global_store_b16 v[73:74], v93, off
	v_lshlrev_b64 v[69:70], 1, v[13:14]
	v_dual_mov_b32 v22, s6 :: v_dual_add_nc_u32 v21, 0x2000, v21
	s_waitcnt lgkmcnt(5)
	global_store_b16 v[67:68], v94, off
	v_add_co_u32 v67, vcc_lo, v6, v71
	v_add_nc_u32_e32 v3, 0x1000, v3
	v_add_co_ci_u32_e32 v68, vcc_lo, v18, v72, vcc_lo
	v_add_co_u32 v69, vcc_lo, v6, v69
	v_add_co_ci_u32_e32 v70, vcc_lo, v18, v70, vcc_lo
	s_waitcnt lgkmcnt(4)
	global_store_b16 v[75:76], v95, off
	s_waitcnt lgkmcnt(3)
	global_store_b16 v[67:68], v96, off
	;; [unrolled: 2-line block ×5, first 2 shown]
	s_and_not1_b32 exec_lo, exec_lo, s5
	s_cbranch_execnz .LBB866_209
; %bb.210:
	s_or_b32 exec_lo, exec_lo, s5
.LBB866_211:
	s_delay_alu instid0(SALU_CYCLE_1) | instskip(SKIP_3) | instid1(VALU_DEP_1)
	s_or_b32 exec_lo, exec_lo, s0
	v_and_b32_e32 v1, 7, v19
	s_mov_b32 s6, 0
	s_mov_b32 s5, exec_lo
	v_cmpx_ne_u32_e32 0, v1
	s_cbranch_execz .LBB866_214
; %bb.212:
	v_lshl_or_b32 v15, v22, 9, v15
	v_mov_b32_e32 v14, 0
	s_set_inst_prefetch_distance 0x1
	.p2align	6
.LBB866_213:                            ; =>This Inner Loop Header: Depth=1
	v_dual_mov_b32 v13, v2 :: v_dual_add_nc_u32 v2, 0x200, v2
	ds_load_u16 v23, v15
	ds_load_u16 v50, v15 offset:512
	v_add_nc_u32_e32 v1, -1, v1
	v_add_nc_u32_e32 v15, 0x400, v15
	v_lshlrev_b64 v[19:20], 1, v[13:14]
	v_mov_b32_e32 v13, v3
	v_add_nc_u32_e32 v3, 0x200, v3
	v_cmp_eq_u32_e32 vcc_lo, 0, v1
	s_delay_alu instid0(VALU_DEP_3) | instskip(SKIP_1) | instid1(VALU_DEP_1)
	v_lshlrev_b64 v[21:22], 1, v[13:14]
	v_add_co_u32 v19, s0, v6, v19
	v_add_co_ci_u32_e64 v20, s0, v18, v20, s0
	s_or_b32 s6, vcc_lo, s6
	s_delay_alu instid0(VALU_DEP_3) | instskip(NEXT) | instid1(VALU_DEP_1)
	v_add_co_u32 v21, s0, v6, v21
	v_add_co_ci_u32_e64 v22, s0, v18, v22, s0
	s_waitcnt lgkmcnt(1)
	global_store_b16 v[19:20], v23, off
	s_waitcnt lgkmcnt(0)
	global_store_b16 v[21:22], v50, off
	s_and_not1_b32 exec_lo, exec_lo, s6
	s_cbranch_execnz .LBB866_213
.LBB866_214:
	s_set_inst_prefetch_distance 0x2
	s_or_b32 exec_lo, exec_lo, s5
	v_add_nc_u32_e32 v1, 1, v4
	s_delay_alu instid0(VALU_DEP_1) | instskip(NEXT) | instid1(VALU_DEP_1)
	v_and_b32_e32 v2, 0x1fffffe, v1
	v_cmp_ne_u32_e32 vcc_lo, v1, v2
	v_lshl_or_b32 v1, v2, 8, v0
	s_or_not1_b32 s0, vcc_lo, exec_lo
.LBB866_215:
	s_or_b32 exec_lo, exec_lo, s4
	s_delay_alu instid0(SALU_CYCLE_1) | instskip(SKIP_1) | instid1(SALU_CYCLE_1)
	s_and_not1_b32 s2, s2, exec_lo
	s_and_b32 s0, s0, exec_lo
	s_or_b32 s2, s2, s0
.LBB866_216:
	s_or_b32 exec_lo, exec_lo, s3
	s_delay_alu instid0(VALU_DEP_2) | instid1(SALU_CYCLE_1)
	s_and_b32 exec_lo, exec_lo, s2
	s_cbranch_execz .LBB866_219
; %bb.217:
	v_dual_mov_b32 v2, 0 :: v_dual_lshlrev_b32 v3, 1, v1
	s_mov_b32 s2, 0
	.p2align	6
.LBB866_218:                            ; =>This Inner Loop Header: Depth=1
	ds_load_u16 v4, v3
	v_lshlrev_b64 v[13:14], 1, v[1:2]
	v_add_nc_u32_e32 v1, 0x100, v1
	v_add_nc_u32_e32 v3, 0x200, v3
	s_delay_alu instid0(VALU_DEP_2) | instskip(NEXT) | instid1(VALU_DEP_4)
	v_cmp_ge_u32_e32 vcc_lo, v1, v5
	v_add_co_u32 v13, s0, v6, v13
	s_delay_alu instid0(VALU_DEP_1)
	v_add_co_ci_u32_e64 v14, s0, v18, v14, s0
	s_or_b32 s2, vcc_lo, s2
	s_waitcnt lgkmcnt(0)
	global_store_b16 v[13:14], v4, off
	s_and_not1_b32 exec_lo, exec_lo, s2
	s_cbranch_execnz .LBB866_218
.LBB866_219:
	s_or_b32 exec_lo, exec_lo, s1
.LBB866_220:
	s_cmpk_lg_i32 s21, 0xf00
	v_cmp_eq_u32_e32 vcc_lo, 0, v0
	s_cselect_b32 s0, -1, 0
	v_cndmask_b32_e64 v15, 0, 1, s28
	s_and_b32 s0, s20, s0
	v_mad_i32_i24 v4, v0, -15, s21
	v_cndmask_b32_e64 v2, 0, 1, s0
	s_mul_hi_u32 s0, s21, 0x88888889
	s_and_b32 s1, vcc_lo, s28
	s_lshr_b32 s0, s0, 3
	v_sub_nc_u32_e32 v1, v5, v15
	v_cndmask_b32_e64 v6, v65, 0, s1
	v_cmp_eq_u32_e32 vcc_lo, s0, v0
	v_cmp_ne_u32_e64 s0, 0, v4
	s_mov_b32 s16, -1
	s_waitcnt_vscnt null, 0x0
	s_barrier
	s_and_b32 vcc_lo, s20, vcc_lo
	v_add_nc_u32_e32 v3, v1, v2
	v_cndmask_b32_e64 v1, 1, v6, s0
	v_cmp_ne_u32_e64 s0, 1, v4
	buffer_gl0_inv
	v_cndmask_b32_e32 v21, v6, v1, vcc_lo
	v_cndmask_b32_e64 v2, 1, v64, s0
	v_cmp_ne_u32_e64 s0, 2, v4
	s_delay_alu instid0(VALU_DEP_3) | instskip(NEXT) | instid1(VALU_DEP_2)
	v_cmp_ne_u32_e64 s14, 0, v21
	v_cndmask_b32_e64 v13, 1, v63, s0
	v_cmp_ne_u32_e64 s0, 14, v4
	s_delay_alu instid0(VALU_DEP_2) | instskip(NEXT) | instid1(VALU_DEP_2)
	v_dual_cndmask_b32 v22, v64, v2 :: v_dual_cndmask_b32 v23, v63, v13
	v_cndmask_b32_e64 v14, 1, v57, s0
	v_cmp_ne_u32_e64 s0, 3, v4
	s_delay_alu instid0(VALU_DEP_3) | instskip(NEXT) | instid1(VALU_DEP_4)
	v_cmp_ne_u32_e64 s13, 0, v22
	v_cmp_ne_u32_e64 s12, 0, v23
	s_delay_alu instid0(VALU_DEP_4) | instskip(NEXT) | instid1(VALU_DEP_4)
	v_cndmask_b32_e32 v20, v57, v14, vcc_lo
	v_cndmask_b32_e64 v18, 1, v62, s0
	v_cmp_ne_u32_e64 s0, 4, v4
	s_delay_alu instid0(VALU_DEP_1) | instskip(SKIP_1) | instid1(VALU_DEP_2)
	v_cndmask_b32_e64 v19, 1, v61, s0
	v_cmp_ne_u32_e64 s0, 5, v4
	v_dual_cndmask_b32 v18, v62, v18 :: v_dual_cndmask_b32 v19, v61, v19
	s_delay_alu instid0(VALU_DEP_2) | instskip(SKIP_1) | instid1(VALU_DEP_3)
	v_cndmask_b32_e64 v1, 1, v60, s0
	v_cmp_ne_u32_e64 s0, 6, v4
	v_cmp_ne_u32_e64 s11, 0, v18
	s_delay_alu instid0(VALU_DEP_4) | instskip(NEXT) | instid1(VALU_DEP_4)
	v_cmp_ne_u32_e64 s10, 0, v19
	v_cndmask_b32_e32 v60, v60, v1, vcc_lo
	s_delay_alu instid0(VALU_DEP_4) | instskip(SKIP_1) | instid1(VALU_DEP_3)
	v_cndmask_b32_e64 v2, 1, v59, s0
	v_cmp_eq_u32_e64 s0, 0, v21
	v_cmp_ne_u32_e64 s9, 0, v60
	s_delay_alu instid0(VALU_DEP_2) | instskip(SKIP_1) | instid1(VALU_DEP_1)
	v_cndmask_b32_e64 v6, 1, 2, s0
	v_cmp_eq_u32_e64 s0, 0, v22
	v_cndmask_b32_e64 v14, 1, 2, s0
	v_cmp_ne_u32_e64 s0, 7, v4
	s_delay_alu instid0(VALU_DEP_2) | instskip(NEXT) | instid1(VALU_DEP_2)
	v_and_b32_e32 v6, v14, v6
	v_cndmask_b32_e64 v13, 1, v58, s0
	v_cmp_eq_u32_e64 s0, 0, v23
	s_delay_alu instid0(VALU_DEP_2) | instskip(NEXT) | instid1(VALU_DEP_2)
	v_cndmask_b32_e32 v58, v58, v13, vcc_lo
	v_cndmask_b32_e64 v14, 1, 2, s0
	v_cmp_ne_u32_e64 s0, 8, v4
	s_delay_alu instid0(VALU_DEP_3) | instskip(NEXT) | instid1(VALU_DEP_2)
	v_cmp_ne_u32_e64 s7, 0, v58
	v_cndmask_b32_e64 v50, 1, v56, s0
	v_cmp_ne_u32_e64 s0, 9, v4
	s_delay_alu instid0(VALU_DEP_2) | instskip(NEXT) | instid1(VALU_DEP_2)
	v_cndmask_b32_e32 v50, v56, v50, vcc_lo
	v_cndmask_b32_e64 v57, 1, v55, s0
	v_cmp_eq_u32_e64 s0, 0, v18
	s_delay_alu instid0(VALU_DEP_2) | instskip(NEXT) | instid1(VALU_DEP_2)
	v_dual_cndmask_b32 v55, v55, v57 :: v_dual_and_b32 v6, v6, v14
	v_cndmask_b32_e64 v14, 1, 2, s0
	v_cmp_ne_u32_e64 s0, 10, v4
	s_delay_alu instid0(VALU_DEP_3) | instskip(NEXT) | instid1(VALU_DEP_3)
	v_cmp_ne_u32_e64 s5, 0, v55
	v_and_b32_e32 v1, v6, v14
	s_delay_alu instid0(VALU_DEP_3) | instskip(SKIP_1) | instid1(VALU_DEP_2)
	v_cndmask_b32_e64 v61, 1, v54, s0
	v_cmp_eq_u32_e64 s0, 0, v19
	v_dual_cndmask_b32 v59, v59, v2 :: v_dual_cndmask_b32 v54, v54, v61
	s_delay_alu instid0(VALU_DEP_2) | instskip(SKIP_1) | instid1(VALU_DEP_3)
	v_cndmask_b32_e64 v6, 1, 2, s0
	v_cmp_ne_u32_e64 s0, 11, v4
	v_cmp_ne_u32_e64 s8, 0, v59
	s_delay_alu instid0(VALU_DEP_4) | instskip(NEXT) | instid1(VALU_DEP_4)
	v_cmp_ne_u32_e64 s4, 0, v54
	v_and_b32_e32 v1, v1, v6
	s_delay_alu instid0(VALU_DEP_4) | instskip(SKIP_1) | instid1(VALU_DEP_2)
	v_cndmask_b32_e64 v14, 1, v53, s0
	v_cmp_ne_u32_e64 s0, 13, v4
	v_cndmask_b32_e32 v53, v53, v14, vcc_lo
	s_delay_alu instid0(VALU_DEP_2) | instskip(SKIP_2) | instid1(VALU_DEP_2)
	v_cndmask_b32_e64 v62, 1, v51, s0
	v_cmp_eq_u32_e64 s0, 0, v60
	v_lshlrev_b64 v[13:14], 2, v[7:8]
	v_cndmask_b32_e64 v6, 1, 2, s0
	v_cmp_ne_u32_e64 s0, 12, v4
	s_delay_alu instid0(VALU_DEP_2) | instskip(NEXT) | instid1(VALU_DEP_2)
	v_and_b32_e32 v1, v1, v6
	v_cndmask_b32_e64 v2, 1, v52, s0
	v_cmp_eq_u32_e64 s0, 0, v59
	s_delay_alu instid0(VALU_DEP_2) | instskip(NEXT) | instid1(VALU_DEP_2)
	v_cndmask_b32_e32 v52, v52, v2, vcc_lo
	v_cndmask_b32_e64 v4, 1, 2, s0
	v_cmp_eq_u32_e64 s0, 0, v58
	v_cndmask_b32_e32 v51, v51, v62, vcc_lo
	v_cmp_eq_u32_e32 vcc_lo, 0, v50
	s_delay_alu instid0(VALU_DEP_4) | instskip(SKIP_4) | instid1(VALU_DEP_3)
	v_and_b32_e32 v4, v1, v4
	v_lshlrev_b64 v[1:2], 2, v[16:17]
	v_cndmask_b32_e64 v6, 1, 2, s0
	v_cmp_ne_u32_e64 s1, 0, v51
	v_cmp_ne_u32_e64 s0, 0, v20
	v_and_b32_e32 v4, v4, v6
	v_cndmask_b32_e64 v6, 1, 2, vcc_lo
	v_add_co_u32 v1, vcc_lo, s36, v1
	v_add_co_ci_u32_e32 v2, vcc_lo, s37, v2, vcc_lo
	v_cmp_eq_u32_e32 vcc_lo, 0, v55
	s_delay_alu instid0(VALU_DEP_4)
	v_and_b32_e32 v6, v4, v6
	v_cndmask_b32_e64 v56, 1, 2, vcc_lo
	v_add_co_u32 v4, vcc_lo, v1, v13
	v_add_co_ci_u32_e32 v8, vcc_lo, v2, v14, vcc_lo
	v_lshlrev_b32_e32 v1, 2, v15
	v_cmp_eq_u32_e32 vcc_lo, 0, v54
	v_and_b32_e32 v2, v6, v56
	v_cmp_ne_u32_e64 s3, 0, v53
	v_cmp_ne_u32_e64 s2, 0, v52
	v_cndmask_b32_e64 v6, 1, 2, vcc_lo
	v_add_co_u32 v1, vcc_lo, v1, v4
	v_add_co_ci_u32_e32 v13, vcc_lo, 0, v8, vcc_lo
	v_cmp_eq_u32_e32 vcc_lo, 0, v53
	s_delay_alu instid0(VALU_DEP_4) | instskip(SKIP_4) | instid1(VALU_DEP_4)
	v_and_b32_e32 v2, v2, v6
	v_cndmask_b32_e64 v14, 1, 2, vcc_lo
	v_add_co_u32 v6, vcc_lo, v1, -4
	v_add_co_ci_u32_e32 v13, vcc_lo, -1, v13, vcc_lo
	v_cmp_eq_u32_e32 vcc_lo, 0, v52
	v_and_b32_e32 v2, v2, v14
	v_add_nc_u32_e32 v1, v7, v15
	v_cmp_ne_u32_e64 s6, 0, v50
	v_cndmask_b32_e64 v14, 1, 2, vcc_lo
	v_cmp_eq_u32_e32 vcc_lo, 0, v51
	s_delay_alu instid0(VALU_DEP_2) | instskip(SKIP_2) | instid1(VALU_DEP_2)
	v_and_b32_e32 v2, v2, v14
	v_cndmask_b32_e64 v14, 1, 2, vcc_lo
	v_cmp_eq_u32_e32 vcc_lo, 0, v20
	v_and_b32_e32 v2, v2, v14
	v_cndmask_b32_e64 v14, 1, 2, vcc_lo
	v_cmp_gt_u32_e32 vcc_lo, 0x100, v3
	s_delay_alu instid0(VALU_DEP_2) | instskip(NEXT) | instid1(VALU_DEP_1)
	v_and_b32_e32 v2, v2, v14
	v_cmp_gt_i16_e64 s15, 2, v2
	s_cbranch_vccz .LBB866_237
; %bb.221:
	s_delay_alu instid0(VALU_DEP_1)
	s_and_saveexec_b32 s16, s15
	s_cbranch_execz .LBB866_275
; %bb.222:
	s_mov_b32 s17, 0
	s_mov_b32 s15, exec_lo
	v_cmpx_ne_u16_e32 1, v2
	s_xor_b32 s15, exec_lo, s15
	s_cbranch_execz .LBB866_254
; %bb.223:
	s_and_saveexec_b32 s17, s14
	s_cbranch_execz .LBB866_258
; %bb.224:
	v_sub_nc_u32_e32 v14, v40, v1
	v_mov_b32_e32 v15, 0
	s_delay_alu instid0(VALU_DEP_1) | instskip(NEXT) | instid1(VALU_DEP_1)
	v_lshlrev_b64 v[14:15], 2, v[14:15]
	v_add_co_u32 v14, vcc_lo, v6, v14
	s_delay_alu instid0(VALU_DEP_2)
	v_add_co_ci_u32_e32 v15, vcc_lo, v13, v15, vcc_lo
	global_store_b32 v[14:15], v41, off
	s_or_b32 exec_lo, exec_lo, s17
	s_and_saveexec_b32 s17, s13
	s_cbranch_execnz .LBB866_259
.LBB866_225:
	s_or_b32 exec_lo, exec_lo, s17
	s_and_saveexec_b32 s17, s12
	s_cbranch_execz .LBB866_260
.LBB866_226:
	v_sub_nc_u32_e32 v14, v42, v1
	v_mov_b32_e32 v15, 0
	s_delay_alu instid0(VALU_DEP_1) | instskip(NEXT) | instid1(VALU_DEP_1)
	v_lshlrev_b64 v[14:15], 2, v[14:15]
	v_add_co_u32 v14, vcc_lo, v6, v14
	s_delay_alu instid0(VALU_DEP_2)
	v_add_co_ci_u32_e32 v15, vcc_lo, v13, v15, vcc_lo
	global_store_b32 v[14:15], v43, off
	s_or_b32 exec_lo, exec_lo, s17
	s_and_saveexec_b32 s17, s11
	s_cbranch_execnz .LBB866_261
.LBB866_227:
	s_or_b32 exec_lo, exec_lo, s17
	s_and_saveexec_b32 s17, s10
	s_cbranch_execz .LBB866_262
.LBB866_228:
	v_sub_nc_u32_e32 v14, v32, v1
	v_mov_b32_e32 v15, 0
	s_delay_alu instid0(VALU_DEP_1) | instskip(NEXT) | instid1(VALU_DEP_1)
	v_lshlrev_b64 v[14:15], 2, v[14:15]
	v_add_co_u32 v14, vcc_lo, v6, v14
	s_delay_alu instid0(VALU_DEP_2)
	v_add_co_ci_u32_e32 v15, vcc_lo, v13, v15, vcc_lo
	global_store_b32 v[14:15], v33, off
	s_or_b32 exec_lo, exec_lo, s17
	s_and_saveexec_b32 s17, s9
	s_cbranch_execnz .LBB866_263
.LBB866_229:
	s_or_b32 exec_lo, exec_lo, s17
	s_and_saveexec_b32 s17, s8
	s_cbranch_execz .LBB866_264
.LBB866_230:
	v_sub_nc_u32_e32 v14, v26, v1
	v_mov_b32_e32 v15, 0
	s_delay_alu instid0(VALU_DEP_1) | instskip(NEXT) | instid1(VALU_DEP_1)
	v_lshlrev_b64 v[14:15], 2, v[14:15]
	v_add_co_u32 v14, vcc_lo, v6, v14
	s_delay_alu instid0(VALU_DEP_2)
	v_add_co_ci_u32_e32 v15, vcc_lo, v13, v15, vcc_lo
	global_store_b32 v[14:15], v27, off
	s_or_b32 exec_lo, exec_lo, s17
	s_and_saveexec_b32 s17, s7
	s_cbranch_execnz .LBB866_265
.LBB866_231:
	s_or_b32 exec_lo, exec_lo, s17
	s_and_saveexec_b32 s17, s6
	s_cbranch_execz .LBB866_266
.LBB866_232:
	v_sub_nc_u32_e32 v14, v34, v1
	v_mov_b32_e32 v15, 0
	s_delay_alu instid0(VALU_DEP_1) | instskip(NEXT) | instid1(VALU_DEP_1)
	v_lshlrev_b64 v[14:15], 2, v[14:15]
	v_add_co_u32 v14, vcc_lo, v6, v14
	s_delay_alu instid0(VALU_DEP_2)
	v_add_co_ci_u32_e32 v15, vcc_lo, v13, v15, vcc_lo
	global_store_b32 v[14:15], v35, off
	s_or_b32 exec_lo, exec_lo, s17
	s_and_saveexec_b32 s17, s5
	s_cbranch_execnz .LBB866_267
.LBB866_233:
	s_or_b32 exec_lo, exec_lo, s17
	s_and_saveexec_b32 s17, s4
	s_cbranch_execz .LBB866_268
.LBB866_234:
	v_sub_nc_u32_e32 v14, v11, v1
	v_mov_b32_e32 v15, 0
	s_delay_alu instid0(VALU_DEP_1) | instskip(NEXT) | instid1(VALU_DEP_1)
	v_lshlrev_b64 v[14:15], 2, v[14:15]
	v_add_co_u32 v14, vcc_lo, v6, v14
	s_delay_alu instid0(VALU_DEP_2)
	v_add_co_ci_u32_e32 v15, vcc_lo, v13, v15, vcc_lo
	global_store_b32 v[14:15], v12, off
	s_or_b32 exec_lo, exec_lo, s17
	s_and_saveexec_b32 s17, s3
	s_cbranch_execnz .LBB866_269
.LBB866_235:
	s_or_b32 exec_lo, exec_lo, s17
	s_and_saveexec_b32 s17, s2
	s_cbranch_execz .LBB866_270
.LBB866_236:
	v_sub_nc_u32_e32 v14, v48, v1
	v_mov_b32_e32 v15, 0
	s_delay_alu instid0(VALU_DEP_1) | instskip(NEXT) | instid1(VALU_DEP_1)
	v_lshlrev_b64 v[14:15], 2, v[14:15]
	v_add_co_u32 v14, vcc_lo, v6, v14
	s_delay_alu instid0(VALU_DEP_2)
	v_add_co_ci_u32_e32 v15, vcc_lo, v13, v15, vcc_lo
	global_store_b32 v[14:15], v49, off
	s_or_b32 exec_lo, exec_lo, s17
	s_and_saveexec_b32 s17, s1
	s_cbranch_execnz .LBB866_271
	s_branch .LBB866_272
.LBB866_237:
	s_and_b32 vcc_lo, exec_lo, s16
	s_cbranch_vccz .LBB866_276
; %bb.238:
	s_mov_b32 s15, exec_lo
	v_cmpx_gt_i16_e32 2, v2
	s_cbranch_execz .LBB866_294
; %bb.239:
	s_mov_b32 s17, 0
	s_mov_b32 s16, exec_lo
	v_cmpx_ne_u16_e32 1, v2
	s_xor_b32 s16, exec_lo, s16
	s_cbranch_execz .LBB866_256
; %bb.240:
	s_and_saveexec_b32 s17, s14
	s_cbranch_execz .LBB866_277
; %bb.241:
	v_sub_nc_u32_e32 v2, v40, v1
	s_delay_alu instid0(VALU_DEP_1)
	v_lshlrev_b32_e32 v2, 2, v2
	ds_store_b32 v2, v41
	s_or_b32 exec_lo, exec_lo, s17
	s_and_saveexec_b32 s14, s13
	s_cbranch_execnz .LBB866_278
.LBB866_242:
	s_or_b32 exec_lo, exec_lo, s14
	s_and_saveexec_b32 s13, s12
	s_cbranch_execz .LBB866_279
.LBB866_243:
	v_sub_nc_u32_e32 v2, v42, v1
	s_delay_alu instid0(VALU_DEP_1)
	v_lshlrev_b32_e32 v2, 2, v2
	ds_store_b32 v2, v43
	s_or_b32 exec_lo, exec_lo, s13
	s_and_saveexec_b32 s12, s11
	s_cbranch_execnz .LBB866_280
.LBB866_244:
	s_or_b32 exec_lo, exec_lo, s12
	s_and_saveexec_b32 s11, s10
	s_cbranch_execz .LBB866_281
.LBB866_245:
	v_sub_nc_u32_e32 v2, v32, v1
	s_delay_alu instid0(VALU_DEP_1)
	v_lshlrev_b32_e32 v2, 2, v2
	ds_store_b32 v2, v33
	s_or_b32 exec_lo, exec_lo, s11
	s_and_saveexec_b32 s10, s9
	s_cbranch_execnz .LBB866_282
.LBB866_246:
	s_or_b32 exec_lo, exec_lo, s10
	s_and_saveexec_b32 s9, s8
	s_cbranch_execz .LBB866_283
.LBB866_247:
	v_sub_nc_u32_e32 v2, v26, v1
	s_delay_alu instid0(VALU_DEP_1)
	v_lshlrev_b32_e32 v2, 2, v2
	ds_store_b32 v2, v27
	s_or_b32 exec_lo, exec_lo, s9
	s_and_saveexec_b32 s8, s7
	s_cbranch_execnz .LBB866_284
.LBB866_248:
	s_or_b32 exec_lo, exec_lo, s8
	s_and_saveexec_b32 s7, s6
	s_cbranch_execz .LBB866_285
.LBB866_249:
	v_sub_nc_u32_e32 v2, v34, v1
	s_delay_alu instid0(VALU_DEP_1)
	v_lshlrev_b32_e32 v2, 2, v2
	ds_store_b32 v2, v35
	s_or_b32 exec_lo, exec_lo, s7
	s_and_saveexec_b32 s6, s5
	s_cbranch_execnz .LBB866_286
.LBB866_250:
	s_or_b32 exec_lo, exec_lo, s6
	s_and_saveexec_b32 s5, s4
	s_cbranch_execz .LBB866_287
.LBB866_251:
	v_sub_nc_u32_e32 v2, v11, v1
	s_delay_alu instid0(VALU_DEP_1)
	v_lshlrev_b32_e32 v2, 2, v2
	ds_store_b32 v2, v12
	s_or_b32 exec_lo, exec_lo, s5
	s_and_saveexec_b32 s4, s3
	s_cbranch_execnz .LBB866_288
.LBB866_252:
	s_or_b32 exec_lo, exec_lo, s4
	s_and_saveexec_b32 s3, s2
	s_cbranch_execz .LBB866_289
.LBB866_253:
	v_sub_nc_u32_e32 v2, v48, v1
	s_delay_alu instid0(VALU_DEP_1)
	v_lshlrev_b32_e32 v2, 2, v2
	ds_store_b32 v2, v49
	s_or_b32 exec_lo, exec_lo, s3
	s_and_saveexec_b32 s2, s1
	s_cbranch_execnz .LBB866_290
	s_branch .LBB866_291
.LBB866_254:
	s_and_not1_saveexec_b32 s15, s15
	s_cbranch_execz .LBB866_273
.LBB866_255:
	v_sub_nc_u32_e32 v14, v40, v1
	v_mov_b32_e32 v15, 0
	s_or_b32 s17, s17, exec_lo
	s_delay_alu instid0(VALU_DEP_1) | instskip(SKIP_1) | instid1(VALU_DEP_1)
	v_lshlrev_b64 v[18:19], 2, v[14:15]
	v_sub_nc_u32_e32 v14, v46, v1
	v_lshlrev_b64 v[20:21], 2, v[14:15]
	v_sub_nc_u32_e32 v14, v42, v1
	s_delay_alu instid0(VALU_DEP_4) | instskip(SKIP_1) | instid1(VALU_DEP_3)
	v_add_co_u32 v18, vcc_lo, v6, v18
	v_add_co_ci_u32_e32 v19, vcc_lo, v13, v19, vcc_lo
	v_lshlrev_b64 v[22:23], 2, v[14:15]
	v_sub_nc_u32_e32 v14, v38, v1
	v_add_co_u32 v20, vcc_lo, v6, v20
	v_add_co_ci_u32_e32 v21, vcc_lo, v13, v21, vcc_lo
	global_store_b32 v[18:19], v41, off
	v_lshlrev_b64 v[18:19], 2, v[14:15]
	v_sub_nc_u32_e32 v14, v32, v1
	global_store_b32 v[20:21], v47, off
	v_add_co_u32 v20, vcc_lo, v6, v22
	v_add_co_ci_u32_e32 v21, vcc_lo, v13, v23, vcc_lo
	v_lshlrev_b64 v[22:23], 2, v[14:15]
	v_sub_nc_u32_e32 v14, v28, v1
	v_add_co_u32 v18, vcc_lo, v6, v18
	v_add_co_ci_u32_e32 v19, vcc_lo, v13, v19, vcc_lo
	s_delay_alu instid0(VALU_DEP_3) | instskip(SKIP_3) | instid1(VALU_DEP_3)
	v_lshlrev_b64 v[50:51], 2, v[14:15]
	v_sub_nc_u32_e32 v14, v26, v1
	v_add_co_u32 v22, vcc_lo, v6, v22
	v_add_co_ci_u32_e32 v23, vcc_lo, v13, v23, vcc_lo
	v_lshlrev_b64 v[52:53], 2, v[14:15]
	v_sub_nc_u32_e32 v14, v30, v1
	v_add_co_u32 v50, vcc_lo, v6, v50
	v_add_co_ci_u32_e32 v51, vcc_lo, v13, v51, vcc_lo
	s_clause 0x3
	global_store_b32 v[20:21], v43, off
	global_store_b32 v[18:19], v39, off
	;; [unrolled: 1-line block ×4, first 2 shown]
	v_lshlrev_b64 v[18:19], 2, v[14:15]
	v_sub_nc_u32_e32 v14, v34, v1
	v_add_co_u32 v20, vcc_lo, v6, v52
	v_add_co_ci_u32_e32 v21, vcc_lo, v13, v53, vcc_lo
	s_delay_alu instid0(VALU_DEP_3) | instskip(SKIP_3) | instid1(VALU_DEP_3)
	v_lshlrev_b64 v[22:23], 2, v[14:15]
	v_sub_nc_u32_e32 v14, v9, v1
	v_add_co_u32 v18, vcc_lo, v6, v18
	v_add_co_ci_u32_e32 v19, vcc_lo, v13, v19, vcc_lo
	v_lshlrev_b64 v[50:51], 2, v[14:15]
	v_sub_nc_u32_e32 v14, v11, v1
	v_add_co_u32 v22, vcc_lo, v6, v22
	v_add_co_ci_u32_e32 v23, vcc_lo, v13, v23, vcc_lo
	s_delay_alu instid0(VALU_DEP_3)
	v_lshlrev_b64 v[52:53], 2, v[14:15]
	v_sub_nc_u32_e32 v14, v24, v1
	v_add_co_u32 v50, vcc_lo, v6, v50
	v_add_co_ci_u32_e32 v51, vcc_lo, v13, v51, vcc_lo
	s_clause 0x3
	global_store_b32 v[20:21], v27, off
	global_store_b32 v[18:19], v31, off
	global_store_b32 v[22:23], v35, off
	global_store_b32 v[50:51], v10, off
	v_lshlrev_b64 v[18:19], 2, v[14:15]
	v_sub_nc_u32_e32 v14, v48, v1
	v_add_co_u32 v20, vcc_lo, v6, v52
	v_add_co_ci_u32_e32 v21, vcc_lo, v13, v53, vcc_lo
	s_delay_alu instid0(VALU_DEP_3) | instskip(SKIP_3) | instid1(VALU_DEP_3)
	v_lshlrev_b64 v[22:23], 2, v[14:15]
	v_sub_nc_u32_e32 v14, v44, v1
	v_add_co_u32 v18, vcc_lo, v6, v18
	v_add_co_ci_u32_e32 v19, vcc_lo, v13, v19, vcc_lo
	v_lshlrev_b64 v[14:15], 2, v[14:15]
	v_add_co_u32 v22, vcc_lo, v6, v22
	v_add_co_ci_u32_e32 v23, vcc_lo, v13, v23, vcc_lo
	s_clause 0x2
	global_store_b32 v[20:21], v12, off
	global_store_b32 v[18:19], v25, off
	;; [unrolled: 1-line block ×3, first 2 shown]
	v_add_co_u32 v14, vcc_lo, v6, v14
	v_add_co_ci_u32_e32 v15, vcc_lo, v13, v15, vcc_lo
	global_store_b32 v[14:15], v45, off
	s_or_b32 exec_lo, exec_lo, s15
	s_delay_alu instid0(SALU_CYCLE_1)
	s_and_b32 exec_lo, exec_lo, s17
	s_cbranch_execnz .LBB866_274
	s_branch .LBB866_275
.LBB866_256:
	s_and_not1_saveexec_b32 s0, s16
	s_cbranch_execz .LBB866_292
.LBB866_257:
	v_sub_nc_u32_e32 v2, v40, v1
	v_sub_nc_u32_e32 v14, v46, v1
	;; [unrolled: 1-line block ×5, first 2 shown]
	v_lshlrev_b32_e32 v2, 2, v2
	v_lshlrev_b32_e32 v14, 2, v14
	;; [unrolled: 1-line block ×4, first 2 shown]
	v_sub_nc_u32_e32 v9, v9, v1
	ds_store_b32 v2, v41
	ds_store_b32 v14, v47
	;; [unrolled: 1-line block ×3, first 2 shown]
	v_sub_nc_u32_e32 v2, v32, v1
	v_sub_nc_u32_e32 v14, v28, v1
	v_sub_nc_u32_e32 v15, v26, v1
	ds_store_b32 v18, v39
	v_sub_nc_u32_e32 v18, v30, v1
	v_lshlrev_b32_e32 v2, 2, v2
	v_lshlrev_b32_e32 v14, 2, v14
	;; [unrolled: 1-line block ×5, first 2 shown]
	ds_store_b32 v2, v33
	v_lshlrev_b32_e32 v2, 2, v19
	ds_store_b32 v14, v29
	ds_store_b32 v15, v27
	;; [unrolled: 1-line block ×3, first 2 shown]
	v_sub_nc_u32_e32 v15, v44, v1
	v_sub_nc_u32_e32 v14, v48, v1
	s_or_b32 s17, s17, exec_lo
	ds_store_b32 v2, v35
	v_sub_nc_u32_e32 v2, v11, v1
	v_sub_nc_u32_e32 v11, v24, v1
	ds_store_b32 v9, v10
	v_lshlrev_b32_e32 v9, 2, v15
	v_lshlrev_b32_e32 v14, 2, v14
	;; [unrolled: 1-line block ×4, first 2 shown]
	ds_store_b32 v2, v12
	ds_store_b32 v11, v25
	;; [unrolled: 1-line block ×4, first 2 shown]
	s_or_b32 exec_lo, exec_lo, s0
	s_delay_alu instid0(SALU_CYCLE_1)
	s_and_b32 exec_lo, exec_lo, s17
	s_cbranch_execnz .LBB866_293
	s_branch .LBB866_294
.LBB866_258:
	s_or_b32 exec_lo, exec_lo, s17
	s_and_saveexec_b32 s17, s13
	s_cbranch_execz .LBB866_225
.LBB866_259:
	v_sub_nc_u32_e32 v14, v46, v1
	v_mov_b32_e32 v15, 0
	s_delay_alu instid0(VALU_DEP_1) | instskip(NEXT) | instid1(VALU_DEP_1)
	v_lshlrev_b64 v[14:15], 2, v[14:15]
	v_add_co_u32 v14, vcc_lo, v6, v14
	s_delay_alu instid0(VALU_DEP_2)
	v_add_co_ci_u32_e32 v15, vcc_lo, v13, v15, vcc_lo
	global_store_b32 v[14:15], v47, off
	s_or_b32 exec_lo, exec_lo, s17
	s_and_saveexec_b32 s17, s12
	s_cbranch_execnz .LBB866_226
.LBB866_260:
	s_or_b32 exec_lo, exec_lo, s17
	s_and_saveexec_b32 s17, s11
	s_cbranch_execz .LBB866_227
.LBB866_261:
	v_sub_nc_u32_e32 v14, v38, v1
	v_mov_b32_e32 v15, 0
	s_delay_alu instid0(VALU_DEP_1) | instskip(NEXT) | instid1(VALU_DEP_1)
	v_lshlrev_b64 v[14:15], 2, v[14:15]
	v_add_co_u32 v14, vcc_lo, v6, v14
	s_delay_alu instid0(VALU_DEP_2)
	v_add_co_ci_u32_e32 v15, vcc_lo, v13, v15, vcc_lo
	global_store_b32 v[14:15], v39, off
	s_or_b32 exec_lo, exec_lo, s17
	s_and_saveexec_b32 s17, s10
	s_cbranch_execnz .LBB866_228
.LBB866_262:
	s_or_b32 exec_lo, exec_lo, s17
	s_and_saveexec_b32 s17, s9
	s_cbranch_execz .LBB866_229
.LBB866_263:
	v_sub_nc_u32_e32 v14, v28, v1
	v_mov_b32_e32 v15, 0
	s_delay_alu instid0(VALU_DEP_1) | instskip(NEXT) | instid1(VALU_DEP_1)
	v_lshlrev_b64 v[14:15], 2, v[14:15]
	v_add_co_u32 v14, vcc_lo, v6, v14
	s_delay_alu instid0(VALU_DEP_2)
	v_add_co_ci_u32_e32 v15, vcc_lo, v13, v15, vcc_lo
	global_store_b32 v[14:15], v29, off
	s_or_b32 exec_lo, exec_lo, s17
	s_and_saveexec_b32 s17, s8
	s_cbranch_execnz .LBB866_230
.LBB866_264:
	s_or_b32 exec_lo, exec_lo, s17
	s_and_saveexec_b32 s17, s7
	s_cbranch_execz .LBB866_231
.LBB866_265:
	v_sub_nc_u32_e32 v14, v30, v1
	v_mov_b32_e32 v15, 0
	s_delay_alu instid0(VALU_DEP_1) | instskip(NEXT) | instid1(VALU_DEP_1)
	v_lshlrev_b64 v[14:15], 2, v[14:15]
	v_add_co_u32 v14, vcc_lo, v6, v14
	s_delay_alu instid0(VALU_DEP_2)
	v_add_co_ci_u32_e32 v15, vcc_lo, v13, v15, vcc_lo
	global_store_b32 v[14:15], v31, off
	s_or_b32 exec_lo, exec_lo, s17
	s_and_saveexec_b32 s17, s6
	s_cbranch_execnz .LBB866_232
.LBB866_266:
	s_or_b32 exec_lo, exec_lo, s17
	s_and_saveexec_b32 s17, s5
	s_cbranch_execz .LBB866_233
.LBB866_267:
	v_sub_nc_u32_e32 v14, v9, v1
	v_mov_b32_e32 v15, 0
	s_delay_alu instid0(VALU_DEP_1) | instskip(NEXT) | instid1(VALU_DEP_1)
	v_lshlrev_b64 v[14:15], 2, v[14:15]
	v_add_co_u32 v14, vcc_lo, v6, v14
	s_delay_alu instid0(VALU_DEP_2)
	v_add_co_ci_u32_e32 v15, vcc_lo, v13, v15, vcc_lo
	global_store_b32 v[14:15], v10, off
	s_or_b32 exec_lo, exec_lo, s17
	s_and_saveexec_b32 s17, s4
	s_cbranch_execnz .LBB866_234
.LBB866_268:
	s_or_b32 exec_lo, exec_lo, s17
	s_and_saveexec_b32 s17, s3
	s_cbranch_execz .LBB866_235
.LBB866_269:
	v_sub_nc_u32_e32 v14, v24, v1
	v_mov_b32_e32 v15, 0
	s_delay_alu instid0(VALU_DEP_1) | instskip(NEXT) | instid1(VALU_DEP_1)
	v_lshlrev_b64 v[14:15], 2, v[14:15]
	v_add_co_u32 v14, vcc_lo, v6, v14
	s_delay_alu instid0(VALU_DEP_2)
	v_add_co_ci_u32_e32 v15, vcc_lo, v13, v15, vcc_lo
	global_store_b32 v[14:15], v25, off
	s_or_b32 exec_lo, exec_lo, s17
	s_and_saveexec_b32 s17, s2
	s_cbranch_execnz .LBB866_236
.LBB866_270:
	s_or_b32 exec_lo, exec_lo, s17
	s_and_saveexec_b32 s17, s1
	s_cbranch_execz .LBB866_272
.LBB866_271:
	v_sub_nc_u32_e32 v14, v44, v1
	v_mov_b32_e32 v15, 0
	s_delay_alu instid0(VALU_DEP_1) | instskip(NEXT) | instid1(VALU_DEP_1)
	v_lshlrev_b64 v[14:15], 2, v[14:15]
	v_add_co_u32 v14, vcc_lo, v6, v14
	s_delay_alu instid0(VALU_DEP_2)
	v_add_co_ci_u32_e32 v15, vcc_lo, v13, v15, vcc_lo
	global_store_b32 v[14:15], v45, off
.LBB866_272:
	s_or_b32 exec_lo, exec_lo, s17
	s_delay_alu instid0(SALU_CYCLE_1)
	s_and_b32 s17, s0, exec_lo
	s_and_not1_saveexec_b32 s15, s15
	s_cbranch_execnz .LBB866_255
.LBB866_273:
	s_or_b32 exec_lo, exec_lo, s15
	s_delay_alu instid0(SALU_CYCLE_1)
	s_and_b32 exec_lo, exec_lo, s17
	s_cbranch_execz .LBB866_275
.LBB866_274:
	v_sub_nc_u32_e32 v14, v36, v1
	v_mov_b32_e32 v15, 0
	s_delay_alu instid0(VALU_DEP_1) | instskip(NEXT) | instid1(VALU_DEP_1)
	v_lshlrev_b64 v[14:15], 2, v[14:15]
	v_add_co_u32 v14, vcc_lo, v6, v14
	s_delay_alu instid0(VALU_DEP_2)
	v_add_co_ci_u32_e32 v15, vcc_lo, v13, v15, vcc_lo
	global_store_b32 v[14:15], v37, off
.LBB866_275:
	s_or_b32 exec_lo, exec_lo, s16
.LBB866_276:
	v_cmp_eq_u32_e32 vcc_lo, 0xff, v0
	s_and_b32 s0, vcc_lo, s20
	s_delay_alu instid0(SALU_CYCLE_1)
	s_and_saveexec_b32 s1, s0
	s_cbranch_execnz .LBB866_298
	s_branch .LBB866_300
.LBB866_277:
	s_or_b32 exec_lo, exec_lo, s17
	s_and_saveexec_b32 s14, s13
	s_cbranch_execz .LBB866_242
.LBB866_278:
	v_sub_nc_u32_e32 v2, v46, v1
	s_delay_alu instid0(VALU_DEP_1)
	v_lshlrev_b32_e32 v2, 2, v2
	ds_store_b32 v2, v47
	s_or_b32 exec_lo, exec_lo, s14
	s_and_saveexec_b32 s13, s12
	s_cbranch_execnz .LBB866_243
.LBB866_279:
	s_or_b32 exec_lo, exec_lo, s13
	s_and_saveexec_b32 s12, s11
	s_cbranch_execz .LBB866_244
.LBB866_280:
	v_sub_nc_u32_e32 v2, v38, v1
	s_delay_alu instid0(VALU_DEP_1)
	v_lshlrev_b32_e32 v2, 2, v2
	ds_store_b32 v2, v39
	s_or_b32 exec_lo, exec_lo, s12
	s_and_saveexec_b32 s11, s10
	s_cbranch_execnz .LBB866_245
.LBB866_281:
	s_or_b32 exec_lo, exec_lo, s11
	s_and_saveexec_b32 s10, s9
	s_cbranch_execz .LBB866_246
.LBB866_282:
	v_sub_nc_u32_e32 v2, v28, v1
	s_delay_alu instid0(VALU_DEP_1)
	v_lshlrev_b32_e32 v2, 2, v2
	ds_store_b32 v2, v29
	s_or_b32 exec_lo, exec_lo, s10
	s_and_saveexec_b32 s9, s8
	s_cbranch_execnz .LBB866_247
.LBB866_283:
	s_or_b32 exec_lo, exec_lo, s9
	s_and_saveexec_b32 s8, s7
	s_cbranch_execz .LBB866_248
.LBB866_284:
	v_sub_nc_u32_e32 v2, v30, v1
	s_delay_alu instid0(VALU_DEP_1)
	v_lshlrev_b32_e32 v2, 2, v2
	ds_store_b32 v2, v31
	s_or_b32 exec_lo, exec_lo, s8
	s_and_saveexec_b32 s7, s6
	s_cbranch_execnz .LBB866_249
.LBB866_285:
	s_or_b32 exec_lo, exec_lo, s7
	s_and_saveexec_b32 s6, s5
	s_cbranch_execz .LBB866_250
.LBB866_286:
	v_sub_nc_u32_e32 v2, v9, v1
	s_delay_alu instid0(VALU_DEP_1)
	v_lshlrev_b32_e32 v2, 2, v2
	ds_store_b32 v2, v10
	s_or_b32 exec_lo, exec_lo, s6
	s_and_saveexec_b32 s5, s4
	s_cbranch_execnz .LBB866_251
.LBB866_287:
	s_or_b32 exec_lo, exec_lo, s5
	s_and_saveexec_b32 s4, s3
	s_cbranch_execz .LBB866_252
.LBB866_288:
	v_sub_nc_u32_e32 v2, v24, v1
	s_delay_alu instid0(VALU_DEP_1)
	v_lshlrev_b32_e32 v2, 2, v2
	ds_store_b32 v2, v25
	s_or_b32 exec_lo, exec_lo, s4
	s_and_saveexec_b32 s3, s2
	s_cbranch_execnz .LBB866_253
.LBB866_289:
	s_or_b32 exec_lo, exec_lo, s3
	s_and_saveexec_b32 s2, s1
	s_cbranch_execz .LBB866_291
.LBB866_290:
	v_sub_nc_u32_e32 v2, v44, v1
	s_delay_alu instid0(VALU_DEP_1)
	v_lshlrev_b32_e32 v2, 2, v2
	ds_store_b32 v2, v45
.LBB866_291:
	s_or_b32 exec_lo, exec_lo, s2
	s_delay_alu instid0(SALU_CYCLE_1)
	s_and_b32 s17, s0, exec_lo
                                        ; implicit-def: $vgpr40_vgpr41
                                        ; implicit-def: $vgpr46_vgpr47
                                        ; implicit-def: $vgpr42_vgpr43
                                        ; implicit-def: $vgpr38_vgpr39
                                        ; implicit-def: $vgpr32_vgpr33
                                        ; implicit-def: $vgpr28_vgpr29
                                        ; implicit-def: $vgpr26_vgpr27
                                        ; implicit-def: $vgpr30_vgpr31
                                        ; implicit-def: $vgpr34_vgpr35
                                        ; implicit-def: $vgpr9_vgpr10
                                        ; implicit-def: $vgpr11_vgpr12
                                        ; implicit-def: $vgpr24_vgpr25
                                        ; implicit-def: $vgpr48_vgpr49
                                        ; implicit-def: $vgpr44_vgpr45
	s_and_not1_saveexec_b32 s0, s16
	s_cbranch_execnz .LBB866_257
.LBB866_292:
	s_or_b32 exec_lo, exec_lo, s0
	s_delay_alu instid0(SALU_CYCLE_1)
	s_and_b32 exec_lo, exec_lo, s17
	s_cbranch_execz .LBB866_294
.LBB866_293:
	v_sub_nc_u32_e32 v1, v36, v1
	s_delay_alu instid0(VALU_DEP_1)
	v_lshlrev_b32_e32 v1, 2, v1
	ds_store_b32 v1, v37
.LBB866_294:
	s_or_b32 exec_lo, exec_lo, s15
	s_delay_alu instid0(SALU_CYCLE_1)
	s_mov_b32 s1, exec_lo
	s_waitcnt lgkmcnt(0)
	s_waitcnt_vscnt null, 0x0
	s_barrier
	buffer_gl0_inv
	v_cmpx_lt_u32_e64 v0, v3
	s_cbranch_execz .LBB866_297
; %bb.295:
	v_dual_mov_b32 v2, 0 :: v_dual_lshlrev_b32 v9, 2, v0
	v_mov_b32_e32 v1, v0
	s_mov_b32 s2, 0
	.p2align	6
.LBB866_296:                            ; =>This Inner Loop Header: Depth=1
	ds_load_b32 v12, v9
	v_lshlrev_b64 v[10:11], 2, v[1:2]
	v_add_nc_u32_e32 v1, 0x100, v1
	v_add_nc_u32_e32 v9, 0x400, v9
	s_delay_alu instid0(VALU_DEP_2) | instskip(NEXT) | instid1(VALU_DEP_4)
	v_cmp_ge_u32_e32 vcc_lo, v1, v3
	v_add_co_u32 v10, s0, v6, v10
	s_delay_alu instid0(VALU_DEP_1)
	v_add_co_ci_u32_e64 v11, s0, v13, v11, s0
	s_or_b32 s2, vcc_lo, s2
	s_waitcnt lgkmcnt(0)
	global_store_b32 v[10:11], v12, off
	s_and_not1_b32 exec_lo, exec_lo, s2
	s_cbranch_execnz .LBB866_296
.LBB866_297:
	s_or_b32 exec_lo, exec_lo, s1
	v_cmp_eq_u32_e32 vcc_lo, 0xff, v0
	s_and_b32 s0, vcc_lo, s20
	s_delay_alu instid0(SALU_CYCLE_1)
	s_and_saveexec_b32 s1, s0
	s_cbranch_execz .LBB866_300
.LBB866_298:
	v_add_co_u32 v0, s0, v5, v7
	s_delay_alu instid0(VALU_DEP_1) | instskip(SKIP_1) | instid1(VALU_DEP_3)
	v_add_co_ci_u32_e64 v1, null, 0, 0, s0
	v_mov_b32_e32 v6, 0
	v_add_co_u32 v0, vcc_lo, v0, v16
	s_delay_alu instid0(VALU_DEP_3)
	v_add_co_ci_u32_e32 v1, vcc_lo, v1, v17, vcc_lo
	s_cmpk_lg_i32 s21, 0xf00
	global_store_b64 v6, v[0:1], s[38:39]
	s_cbranch_scc1 .LBB866_300
; %bb.299:
	v_lshlrev_b64 v[0:1], 2, v[5:6]
	s_delay_alu instid0(VALU_DEP_1) | instskip(NEXT) | instid1(VALU_DEP_2)
	v_add_co_u32 v0, vcc_lo, v4, v0
	v_add_co_ci_u32_e32 v1, vcc_lo, v8, v1, vcc_lo
	global_store_b32 v[0:1], v66, off offset:-4
	s_nop 0
	s_sendmsg sendmsg(MSG_DEALLOC_VGPRS)
	s_endpgm
.LBB866_300:
	s_nop 0
	s_sendmsg sendmsg(MSG_DEALLOC_VGPRS)
	s_endpgm
	.section	.rodata,"a",@progbits
	.p2align	6, 0x0
	.amdhsa_kernel _ZN7rocprim17ROCPRIM_400000_NS6detail17trampoline_kernelINS0_14default_configENS1_29reduce_by_key_config_selectorIsjN6thrust23THRUST_200600_302600_NS4plusIjEEEEZZNS1_33reduce_by_key_impl_wrapped_configILNS1_25lookback_scan_determinismE0ES3_S9_NS6_6detail15normal_iteratorINS6_10device_ptrIsEEEENSD_INSE_IjEEEESG_SI_PmS8_NS6_8equal_toIsEEEE10hipError_tPvRmT2_T3_mT4_T5_T6_T7_T8_P12ihipStream_tbENKUlT_T0_E_clISt17integral_constantIbLb1EES12_IbLb0EEEEDaSY_SZ_EUlSY_E_NS1_11comp_targetILNS1_3genE9ELNS1_11target_archE1100ELNS1_3gpuE3ELNS1_3repE0EEENS1_30default_config_static_selectorELNS0_4arch9wavefront6targetE0EEEvT1_
		.amdhsa_group_segment_fixed_size 15360
		.amdhsa_private_segment_fixed_size 0
		.amdhsa_kernarg_size 120
		.amdhsa_user_sgpr_count 15
		.amdhsa_user_sgpr_dispatch_ptr 0
		.amdhsa_user_sgpr_queue_ptr 0
		.amdhsa_user_sgpr_kernarg_segment_ptr 1
		.amdhsa_user_sgpr_dispatch_id 0
		.amdhsa_user_sgpr_private_segment_size 0
		.amdhsa_wavefront_size32 1
		.amdhsa_uses_dynamic_stack 0
		.amdhsa_enable_private_segment 0
		.amdhsa_system_sgpr_workgroup_id_x 1
		.amdhsa_system_sgpr_workgroup_id_y 0
		.amdhsa_system_sgpr_workgroup_id_z 0
		.amdhsa_system_sgpr_workgroup_info 0
		.amdhsa_system_vgpr_workitem_id 0
		.amdhsa_next_free_vgpr 100
		.amdhsa_next_free_sgpr 46
		.amdhsa_reserve_vcc 1
		.amdhsa_float_round_mode_32 0
		.amdhsa_float_round_mode_16_64 0
		.amdhsa_float_denorm_mode_32 3
		.amdhsa_float_denorm_mode_16_64 3
		.amdhsa_dx10_clamp 1
		.amdhsa_ieee_mode 1
		.amdhsa_fp16_overflow 0
		.amdhsa_workgroup_processor_mode 1
		.amdhsa_memory_ordered 1
		.amdhsa_forward_progress 0
		.amdhsa_shared_vgpr_count 0
		.amdhsa_exception_fp_ieee_invalid_op 0
		.amdhsa_exception_fp_denorm_src 0
		.amdhsa_exception_fp_ieee_div_zero 0
		.amdhsa_exception_fp_ieee_overflow 0
		.amdhsa_exception_fp_ieee_underflow 0
		.amdhsa_exception_fp_ieee_inexact 0
		.amdhsa_exception_int_div_zero 0
	.end_amdhsa_kernel
	.section	.text._ZN7rocprim17ROCPRIM_400000_NS6detail17trampoline_kernelINS0_14default_configENS1_29reduce_by_key_config_selectorIsjN6thrust23THRUST_200600_302600_NS4plusIjEEEEZZNS1_33reduce_by_key_impl_wrapped_configILNS1_25lookback_scan_determinismE0ES3_S9_NS6_6detail15normal_iteratorINS6_10device_ptrIsEEEENSD_INSE_IjEEEESG_SI_PmS8_NS6_8equal_toIsEEEE10hipError_tPvRmT2_T3_mT4_T5_T6_T7_T8_P12ihipStream_tbENKUlT_T0_E_clISt17integral_constantIbLb1EES12_IbLb0EEEEDaSY_SZ_EUlSY_E_NS1_11comp_targetILNS1_3genE9ELNS1_11target_archE1100ELNS1_3gpuE3ELNS1_3repE0EEENS1_30default_config_static_selectorELNS0_4arch9wavefront6targetE0EEEvT1_,"axG",@progbits,_ZN7rocprim17ROCPRIM_400000_NS6detail17trampoline_kernelINS0_14default_configENS1_29reduce_by_key_config_selectorIsjN6thrust23THRUST_200600_302600_NS4plusIjEEEEZZNS1_33reduce_by_key_impl_wrapped_configILNS1_25lookback_scan_determinismE0ES3_S9_NS6_6detail15normal_iteratorINS6_10device_ptrIsEEEENSD_INSE_IjEEEESG_SI_PmS8_NS6_8equal_toIsEEEE10hipError_tPvRmT2_T3_mT4_T5_T6_T7_T8_P12ihipStream_tbENKUlT_T0_E_clISt17integral_constantIbLb1EES12_IbLb0EEEEDaSY_SZ_EUlSY_E_NS1_11comp_targetILNS1_3genE9ELNS1_11target_archE1100ELNS1_3gpuE3ELNS1_3repE0EEENS1_30default_config_static_selectorELNS0_4arch9wavefront6targetE0EEEvT1_,comdat
.Lfunc_end866:
	.size	_ZN7rocprim17ROCPRIM_400000_NS6detail17trampoline_kernelINS0_14default_configENS1_29reduce_by_key_config_selectorIsjN6thrust23THRUST_200600_302600_NS4plusIjEEEEZZNS1_33reduce_by_key_impl_wrapped_configILNS1_25lookback_scan_determinismE0ES3_S9_NS6_6detail15normal_iteratorINS6_10device_ptrIsEEEENSD_INSE_IjEEEESG_SI_PmS8_NS6_8equal_toIsEEEE10hipError_tPvRmT2_T3_mT4_T5_T6_T7_T8_P12ihipStream_tbENKUlT_T0_E_clISt17integral_constantIbLb1EES12_IbLb0EEEEDaSY_SZ_EUlSY_E_NS1_11comp_targetILNS1_3genE9ELNS1_11target_archE1100ELNS1_3gpuE3ELNS1_3repE0EEENS1_30default_config_static_selectorELNS0_4arch9wavefront6targetE0EEEvT1_, .Lfunc_end866-_ZN7rocprim17ROCPRIM_400000_NS6detail17trampoline_kernelINS0_14default_configENS1_29reduce_by_key_config_selectorIsjN6thrust23THRUST_200600_302600_NS4plusIjEEEEZZNS1_33reduce_by_key_impl_wrapped_configILNS1_25lookback_scan_determinismE0ES3_S9_NS6_6detail15normal_iteratorINS6_10device_ptrIsEEEENSD_INSE_IjEEEESG_SI_PmS8_NS6_8equal_toIsEEEE10hipError_tPvRmT2_T3_mT4_T5_T6_T7_T8_P12ihipStream_tbENKUlT_T0_E_clISt17integral_constantIbLb1EES12_IbLb0EEEEDaSY_SZ_EUlSY_E_NS1_11comp_targetILNS1_3genE9ELNS1_11target_archE1100ELNS1_3gpuE3ELNS1_3repE0EEENS1_30default_config_static_selectorELNS0_4arch9wavefront6targetE0EEEvT1_
                                        ; -- End function
	.section	.AMDGPU.csdata,"",@progbits
; Kernel info:
; codeLenInByte = 19004
; NumSgprs: 48
; NumVgprs: 100
; ScratchSize: 0
; MemoryBound: 0
; FloatMode: 240
; IeeeMode: 1
; LDSByteSize: 15360 bytes/workgroup (compile time only)
; SGPRBlocks: 5
; VGPRBlocks: 12
; NumSGPRsForWavesPerEU: 48
; NumVGPRsForWavesPerEU: 100
; Occupancy: 12
; WaveLimiterHint : 1
; COMPUTE_PGM_RSRC2:SCRATCH_EN: 0
; COMPUTE_PGM_RSRC2:USER_SGPR: 15
; COMPUTE_PGM_RSRC2:TRAP_HANDLER: 0
; COMPUTE_PGM_RSRC2:TGID_X_EN: 1
; COMPUTE_PGM_RSRC2:TGID_Y_EN: 0
; COMPUTE_PGM_RSRC2:TGID_Z_EN: 0
; COMPUTE_PGM_RSRC2:TIDIG_COMP_CNT: 0
	.section	.text._ZN7rocprim17ROCPRIM_400000_NS6detail17trampoline_kernelINS0_14default_configENS1_29reduce_by_key_config_selectorIsjN6thrust23THRUST_200600_302600_NS4plusIjEEEEZZNS1_33reduce_by_key_impl_wrapped_configILNS1_25lookback_scan_determinismE0ES3_S9_NS6_6detail15normal_iteratorINS6_10device_ptrIsEEEENSD_INSE_IjEEEESG_SI_PmS8_NS6_8equal_toIsEEEE10hipError_tPvRmT2_T3_mT4_T5_T6_T7_T8_P12ihipStream_tbENKUlT_T0_E_clISt17integral_constantIbLb1EES12_IbLb0EEEEDaSY_SZ_EUlSY_E_NS1_11comp_targetILNS1_3genE8ELNS1_11target_archE1030ELNS1_3gpuE2ELNS1_3repE0EEENS1_30default_config_static_selectorELNS0_4arch9wavefront6targetE0EEEvT1_,"axG",@progbits,_ZN7rocprim17ROCPRIM_400000_NS6detail17trampoline_kernelINS0_14default_configENS1_29reduce_by_key_config_selectorIsjN6thrust23THRUST_200600_302600_NS4plusIjEEEEZZNS1_33reduce_by_key_impl_wrapped_configILNS1_25lookback_scan_determinismE0ES3_S9_NS6_6detail15normal_iteratorINS6_10device_ptrIsEEEENSD_INSE_IjEEEESG_SI_PmS8_NS6_8equal_toIsEEEE10hipError_tPvRmT2_T3_mT4_T5_T6_T7_T8_P12ihipStream_tbENKUlT_T0_E_clISt17integral_constantIbLb1EES12_IbLb0EEEEDaSY_SZ_EUlSY_E_NS1_11comp_targetILNS1_3genE8ELNS1_11target_archE1030ELNS1_3gpuE2ELNS1_3repE0EEENS1_30default_config_static_selectorELNS0_4arch9wavefront6targetE0EEEvT1_,comdat
	.protected	_ZN7rocprim17ROCPRIM_400000_NS6detail17trampoline_kernelINS0_14default_configENS1_29reduce_by_key_config_selectorIsjN6thrust23THRUST_200600_302600_NS4plusIjEEEEZZNS1_33reduce_by_key_impl_wrapped_configILNS1_25lookback_scan_determinismE0ES3_S9_NS6_6detail15normal_iteratorINS6_10device_ptrIsEEEENSD_INSE_IjEEEESG_SI_PmS8_NS6_8equal_toIsEEEE10hipError_tPvRmT2_T3_mT4_T5_T6_T7_T8_P12ihipStream_tbENKUlT_T0_E_clISt17integral_constantIbLb1EES12_IbLb0EEEEDaSY_SZ_EUlSY_E_NS1_11comp_targetILNS1_3genE8ELNS1_11target_archE1030ELNS1_3gpuE2ELNS1_3repE0EEENS1_30default_config_static_selectorELNS0_4arch9wavefront6targetE0EEEvT1_ ; -- Begin function _ZN7rocprim17ROCPRIM_400000_NS6detail17trampoline_kernelINS0_14default_configENS1_29reduce_by_key_config_selectorIsjN6thrust23THRUST_200600_302600_NS4plusIjEEEEZZNS1_33reduce_by_key_impl_wrapped_configILNS1_25lookback_scan_determinismE0ES3_S9_NS6_6detail15normal_iteratorINS6_10device_ptrIsEEEENSD_INSE_IjEEEESG_SI_PmS8_NS6_8equal_toIsEEEE10hipError_tPvRmT2_T3_mT4_T5_T6_T7_T8_P12ihipStream_tbENKUlT_T0_E_clISt17integral_constantIbLb1EES12_IbLb0EEEEDaSY_SZ_EUlSY_E_NS1_11comp_targetILNS1_3genE8ELNS1_11target_archE1030ELNS1_3gpuE2ELNS1_3repE0EEENS1_30default_config_static_selectorELNS0_4arch9wavefront6targetE0EEEvT1_
	.globl	_ZN7rocprim17ROCPRIM_400000_NS6detail17trampoline_kernelINS0_14default_configENS1_29reduce_by_key_config_selectorIsjN6thrust23THRUST_200600_302600_NS4plusIjEEEEZZNS1_33reduce_by_key_impl_wrapped_configILNS1_25lookback_scan_determinismE0ES3_S9_NS6_6detail15normal_iteratorINS6_10device_ptrIsEEEENSD_INSE_IjEEEESG_SI_PmS8_NS6_8equal_toIsEEEE10hipError_tPvRmT2_T3_mT4_T5_T6_T7_T8_P12ihipStream_tbENKUlT_T0_E_clISt17integral_constantIbLb1EES12_IbLb0EEEEDaSY_SZ_EUlSY_E_NS1_11comp_targetILNS1_3genE8ELNS1_11target_archE1030ELNS1_3gpuE2ELNS1_3repE0EEENS1_30default_config_static_selectorELNS0_4arch9wavefront6targetE0EEEvT1_
	.p2align	8
	.type	_ZN7rocprim17ROCPRIM_400000_NS6detail17trampoline_kernelINS0_14default_configENS1_29reduce_by_key_config_selectorIsjN6thrust23THRUST_200600_302600_NS4plusIjEEEEZZNS1_33reduce_by_key_impl_wrapped_configILNS1_25lookback_scan_determinismE0ES3_S9_NS6_6detail15normal_iteratorINS6_10device_ptrIsEEEENSD_INSE_IjEEEESG_SI_PmS8_NS6_8equal_toIsEEEE10hipError_tPvRmT2_T3_mT4_T5_T6_T7_T8_P12ihipStream_tbENKUlT_T0_E_clISt17integral_constantIbLb1EES12_IbLb0EEEEDaSY_SZ_EUlSY_E_NS1_11comp_targetILNS1_3genE8ELNS1_11target_archE1030ELNS1_3gpuE2ELNS1_3repE0EEENS1_30default_config_static_selectorELNS0_4arch9wavefront6targetE0EEEvT1_,@function
_ZN7rocprim17ROCPRIM_400000_NS6detail17trampoline_kernelINS0_14default_configENS1_29reduce_by_key_config_selectorIsjN6thrust23THRUST_200600_302600_NS4plusIjEEEEZZNS1_33reduce_by_key_impl_wrapped_configILNS1_25lookback_scan_determinismE0ES3_S9_NS6_6detail15normal_iteratorINS6_10device_ptrIsEEEENSD_INSE_IjEEEESG_SI_PmS8_NS6_8equal_toIsEEEE10hipError_tPvRmT2_T3_mT4_T5_T6_T7_T8_P12ihipStream_tbENKUlT_T0_E_clISt17integral_constantIbLb1EES12_IbLb0EEEEDaSY_SZ_EUlSY_E_NS1_11comp_targetILNS1_3genE8ELNS1_11target_archE1030ELNS1_3gpuE2ELNS1_3repE0EEENS1_30default_config_static_selectorELNS0_4arch9wavefront6targetE0EEEvT1_: ; @_ZN7rocprim17ROCPRIM_400000_NS6detail17trampoline_kernelINS0_14default_configENS1_29reduce_by_key_config_selectorIsjN6thrust23THRUST_200600_302600_NS4plusIjEEEEZZNS1_33reduce_by_key_impl_wrapped_configILNS1_25lookback_scan_determinismE0ES3_S9_NS6_6detail15normal_iteratorINS6_10device_ptrIsEEEENSD_INSE_IjEEEESG_SI_PmS8_NS6_8equal_toIsEEEE10hipError_tPvRmT2_T3_mT4_T5_T6_T7_T8_P12ihipStream_tbENKUlT_T0_E_clISt17integral_constantIbLb1EES12_IbLb0EEEEDaSY_SZ_EUlSY_E_NS1_11comp_targetILNS1_3genE8ELNS1_11target_archE1030ELNS1_3gpuE2ELNS1_3repE0EEENS1_30default_config_static_selectorELNS0_4arch9wavefront6targetE0EEEvT1_
; %bb.0:
	.section	.rodata,"a",@progbits
	.p2align	6, 0x0
	.amdhsa_kernel _ZN7rocprim17ROCPRIM_400000_NS6detail17trampoline_kernelINS0_14default_configENS1_29reduce_by_key_config_selectorIsjN6thrust23THRUST_200600_302600_NS4plusIjEEEEZZNS1_33reduce_by_key_impl_wrapped_configILNS1_25lookback_scan_determinismE0ES3_S9_NS6_6detail15normal_iteratorINS6_10device_ptrIsEEEENSD_INSE_IjEEEESG_SI_PmS8_NS6_8equal_toIsEEEE10hipError_tPvRmT2_T3_mT4_T5_T6_T7_T8_P12ihipStream_tbENKUlT_T0_E_clISt17integral_constantIbLb1EES12_IbLb0EEEEDaSY_SZ_EUlSY_E_NS1_11comp_targetILNS1_3genE8ELNS1_11target_archE1030ELNS1_3gpuE2ELNS1_3repE0EEENS1_30default_config_static_selectorELNS0_4arch9wavefront6targetE0EEEvT1_
		.amdhsa_group_segment_fixed_size 0
		.amdhsa_private_segment_fixed_size 0
		.amdhsa_kernarg_size 120
		.amdhsa_user_sgpr_count 15
		.amdhsa_user_sgpr_dispatch_ptr 0
		.amdhsa_user_sgpr_queue_ptr 0
		.amdhsa_user_sgpr_kernarg_segment_ptr 1
		.amdhsa_user_sgpr_dispatch_id 0
		.amdhsa_user_sgpr_private_segment_size 0
		.amdhsa_wavefront_size32 1
		.amdhsa_uses_dynamic_stack 0
		.amdhsa_enable_private_segment 0
		.amdhsa_system_sgpr_workgroup_id_x 1
		.amdhsa_system_sgpr_workgroup_id_y 0
		.amdhsa_system_sgpr_workgroup_id_z 0
		.amdhsa_system_sgpr_workgroup_info 0
		.amdhsa_system_vgpr_workitem_id 0
		.amdhsa_next_free_vgpr 1
		.amdhsa_next_free_sgpr 1
		.amdhsa_reserve_vcc 0
		.amdhsa_float_round_mode_32 0
		.amdhsa_float_round_mode_16_64 0
		.amdhsa_float_denorm_mode_32 3
		.amdhsa_float_denorm_mode_16_64 3
		.amdhsa_dx10_clamp 1
		.amdhsa_ieee_mode 1
		.amdhsa_fp16_overflow 0
		.amdhsa_workgroup_processor_mode 1
		.amdhsa_memory_ordered 1
		.amdhsa_forward_progress 0
		.amdhsa_shared_vgpr_count 0
		.amdhsa_exception_fp_ieee_invalid_op 0
		.amdhsa_exception_fp_denorm_src 0
		.amdhsa_exception_fp_ieee_div_zero 0
		.amdhsa_exception_fp_ieee_overflow 0
		.amdhsa_exception_fp_ieee_underflow 0
		.amdhsa_exception_fp_ieee_inexact 0
		.amdhsa_exception_int_div_zero 0
	.end_amdhsa_kernel
	.section	.text._ZN7rocprim17ROCPRIM_400000_NS6detail17trampoline_kernelINS0_14default_configENS1_29reduce_by_key_config_selectorIsjN6thrust23THRUST_200600_302600_NS4plusIjEEEEZZNS1_33reduce_by_key_impl_wrapped_configILNS1_25lookback_scan_determinismE0ES3_S9_NS6_6detail15normal_iteratorINS6_10device_ptrIsEEEENSD_INSE_IjEEEESG_SI_PmS8_NS6_8equal_toIsEEEE10hipError_tPvRmT2_T3_mT4_T5_T6_T7_T8_P12ihipStream_tbENKUlT_T0_E_clISt17integral_constantIbLb1EES12_IbLb0EEEEDaSY_SZ_EUlSY_E_NS1_11comp_targetILNS1_3genE8ELNS1_11target_archE1030ELNS1_3gpuE2ELNS1_3repE0EEENS1_30default_config_static_selectorELNS0_4arch9wavefront6targetE0EEEvT1_,"axG",@progbits,_ZN7rocprim17ROCPRIM_400000_NS6detail17trampoline_kernelINS0_14default_configENS1_29reduce_by_key_config_selectorIsjN6thrust23THRUST_200600_302600_NS4plusIjEEEEZZNS1_33reduce_by_key_impl_wrapped_configILNS1_25lookback_scan_determinismE0ES3_S9_NS6_6detail15normal_iteratorINS6_10device_ptrIsEEEENSD_INSE_IjEEEESG_SI_PmS8_NS6_8equal_toIsEEEE10hipError_tPvRmT2_T3_mT4_T5_T6_T7_T8_P12ihipStream_tbENKUlT_T0_E_clISt17integral_constantIbLb1EES12_IbLb0EEEEDaSY_SZ_EUlSY_E_NS1_11comp_targetILNS1_3genE8ELNS1_11target_archE1030ELNS1_3gpuE2ELNS1_3repE0EEENS1_30default_config_static_selectorELNS0_4arch9wavefront6targetE0EEEvT1_,comdat
.Lfunc_end867:
	.size	_ZN7rocprim17ROCPRIM_400000_NS6detail17trampoline_kernelINS0_14default_configENS1_29reduce_by_key_config_selectorIsjN6thrust23THRUST_200600_302600_NS4plusIjEEEEZZNS1_33reduce_by_key_impl_wrapped_configILNS1_25lookback_scan_determinismE0ES3_S9_NS6_6detail15normal_iteratorINS6_10device_ptrIsEEEENSD_INSE_IjEEEESG_SI_PmS8_NS6_8equal_toIsEEEE10hipError_tPvRmT2_T3_mT4_T5_T6_T7_T8_P12ihipStream_tbENKUlT_T0_E_clISt17integral_constantIbLb1EES12_IbLb0EEEEDaSY_SZ_EUlSY_E_NS1_11comp_targetILNS1_3genE8ELNS1_11target_archE1030ELNS1_3gpuE2ELNS1_3repE0EEENS1_30default_config_static_selectorELNS0_4arch9wavefront6targetE0EEEvT1_, .Lfunc_end867-_ZN7rocprim17ROCPRIM_400000_NS6detail17trampoline_kernelINS0_14default_configENS1_29reduce_by_key_config_selectorIsjN6thrust23THRUST_200600_302600_NS4plusIjEEEEZZNS1_33reduce_by_key_impl_wrapped_configILNS1_25lookback_scan_determinismE0ES3_S9_NS6_6detail15normal_iteratorINS6_10device_ptrIsEEEENSD_INSE_IjEEEESG_SI_PmS8_NS6_8equal_toIsEEEE10hipError_tPvRmT2_T3_mT4_T5_T6_T7_T8_P12ihipStream_tbENKUlT_T0_E_clISt17integral_constantIbLb1EES12_IbLb0EEEEDaSY_SZ_EUlSY_E_NS1_11comp_targetILNS1_3genE8ELNS1_11target_archE1030ELNS1_3gpuE2ELNS1_3repE0EEENS1_30default_config_static_selectorELNS0_4arch9wavefront6targetE0EEEvT1_
                                        ; -- End function
	.section	.AMDGPU.csdata,"",@progbits
; Kernel info:
; codeLenInByte = 0
; NumSgprs: 0
; NumVgprs: 0
; ScratchSize: 0
; MemoryBound: 0
; FloatMode: 240
; IeeeMode: 1
; LDSByteSize: 0 bytes/workgroup (compile time only)
; SGPRBlocks: 0
; VGPRBlocks: 0
; NumSGPRsForWavesPerEU: 1
; NumVGPRsForWavesPerEU: 1
; Occupancy: 16
; WaveLimiterHint : 0
; COMPUTE_PGM_RSRC2:SCRATCH_EN: 0
; COMPUTE_PGM_RSRC2:USER_SGPR: 15
; COMPUTE_PGM_RSRC2:TRAP_HANDLER: 0
; COMPUTE_PGM_RSRC2:TGID_X_EN: 1
; COMPUTE_PGM_RSRC2:TGID_Y_EN: 0
; COMPUTE_PGM_RSRC2:TGID_Z_EN: 0
; COMPUTE_PGM_RSRC2:TIDIG_COMP_CNT: 0
	.section	.text._ZN7rocprim17ROCPRIM_400000_NS6detail17trampoline_kernelINS0_14default_configENS1_29reduce_by_key_config_selectorIsjN6thrust23THRUST_200600_302600_NS4plusIjEEEEZZNS1_33reduce_by_key_impl_wrapped_configILNS1_25lookback_scan_determinismE0ES3_S9_NS6_6detail15normal_iteratorINS6_10device_ptrIsEEEENSD_INSE_IjEEEESG_SI_PmS8_NS6_8equal_toIsEEEE10hipError_tPvRmT2_T3_mT4_T5_T6_T7_T8_P12ihipStream_tbENKUlT_T0_E_clISt17integral_constantIbLb0EES12_IbLb1EEEEDaSY_SZ_EUlSY_E_NS1_11comp_targetILNS1_3genE0ELNS1_11target_archE4294967295ELNS1_3gpuE0ELNS1_3repE0EEENS1_30default_config_static_selectorELNS0_4arch9wavefront6targetE0EEEvT1_,"axG",@progbits,_ZN7rocprim17ROCPRIM_400000_NS6detail17trampoline_kernelINS0_14default_configENS1_29reduce_by_key_config_selectorIsjN6thrust23THRUST_200600_302600_NS4plusIjEEEEZZNS1_33reduce_by_key_impl_wrapped_configILNS1_25lookback_scan_determinismE0ES3_S9_NS6_6detail15normal_iteratorINS6_10device_ptrIsEEEENSD_INSE_IjEEEESG_SI_PmS8_NS6_8equal_toIsEEEE10hipError_tPvRmT2_T3_mT4_T5_T6_T7_T8_P12ihipStream_tbENKUlT_T0_E_clISt17integral_constantIbLb0EES12_IbLb1EEEEDaSY_SZ_EUlSY_E_NS1_11comp_targetILNS1_3genE0ELNS1_11target_archE4294967295ELNS1_3gpuE0ELNS1_3repE0EEENS1_30default_config_static_selectorELNS0_4arch9wavefront6targetE0EEEvT1_,comdat
	.protected	_ZN7rocprim17ROCPRIM_400000_NS6detail17trampoline_kernelINS0_14default_configENS1_29reduce_by_key_config_selectorIsjN6thrust23THRUST_200600_302600_NS4plusIjEEEEZZNS1_33reduce_by_key_impl_wrapped_configILNS1_25lookback_scan_determinismE0ES3_S9_NS6_6detail15normal_iteratorINS6_10device_ptrIsEEEENSD_INSE_IjEEEESG_SI_PmS8_NS6_8equal_toIsEEEE10hipError_tPvRmT2_T3_mT4_T5_T6_T7_T8_P12ihipStream_tbENKUlT_T0_E_clISt17integral_constantIbLb0EES12_IbLb1EEEEDaSY_SZ_EUlSY_E_NS1_11comp_targetILNS1_3genE0ELNS1_11target_archE4294967295ELNS1_3gpuE0ELNS1_3repE0EEENS1_30default_config_static_selectorELNS0_4arch9wavefront6targetE0EEEvT1_ ; -- Begin function _ZN7rocprim17ROCPRIM_400000_NS6detail17trampoline_kernelINS0_14default_configENS1_29reduce_by_key_config_selectorIsjN6thrust23THRUST_200600_302600_NS4plusIjEEEEZZNS1_33reduce_by_key_impl_wrapped_configILNS1_25lookback_scan_determinismE0ES3_S9_NS6_6detail15normal_iteratorINS6_10device_ptrIsEEEENSD_INSE_IjEEEESG_SI_PmS8_NS6_8equal_toIsEEEE10hipError_tPvRmT2_T3_mT4_T5_T6_T7_T8_P12ihipStream_tbENKUlT_T0_E_clISt17integral_constantIbLb0EES12_IbLb1EEEEDaSY_SZ_EUlSY_E_NS1_11comp_targetILNS1_3genE0ELNS1_11target_archE4294967295ELNS1_3gpuE0ELNS1_3repE0EEENS1_30default_config_static_selectorELNS0_4arch9wavefront6targetE0EEEvT1_
	.globl	_ZN7rocprim17ROCPRIM_400000_NS6detail17trampoline_kernelINS0_14default_configENS1_29reduce_by_key_config_selectorIsjN6thrust23THRUST_200600_302600_NS4plusIjEEEEZZNS1_33reduce_by_key_impl_wrapped_configILNS1_25lookback_scan_determinismE0ES3_S9_NS6_6detail15normal_iteratorINS6_10device_ptrIsEEEENSD_INSE_IjEEEESG_SI_PmS8_NS6_8equal_toIsEEEE10hipError_tPvRmT2_T3_mT4_T5_T6_T7_T8_P12ihipStream_tbENKUlT_T0_E_clISt17integral_constantIbLb0EES12_IbLb1EEEEDaSY_SZ_EUlSY_E_NS1_11comp_targetILNS1_3genE0ELNS1_11target_archE4294967295ELNS1_3gpuE0ELNS1_3repE0EEENS1_30default_config_static_selectorELNS0_4arch9wavefront6targetE0EEEvT1_
	.p2align	8
	.type	_ZN7rocprim17ROCPRIM_400000_NS6detail17trampoline_kernelINS0_14default_configENS1_29reduce_by_key_config_selectorIsjN6thrust23THRUST_200600_302600_NS4plusIjEEEEZZNS1_33reduce_by_key_impl_wrapped_configILNS1_25lookback_scan_determinismE0ES3_S9_NS6_6detail15normal_iteratorINS6_10device_ptrIsEEEENSD_INSE_IjEEEESG_SI_PmS8_NS6_8equal_toIsEEEE10hipError_tPvRmT2_T3_mT4_T5_T6_T7_T8_P12ihipStream_tbENKUlT_T0_E_clISt17integral_constantIbLb0EES12_IbLb1EEEEDaSY_SZ_EUlSY_E_NS1_11comp_targetILNS1_3genE0ELNS1_11target_archE4294967295ELNS1_3gpuE0ELNS1_3repE0EEENS1_30default_config_static_selectorELNS0_4arch9wavefront6targetE0EEEvT1_,@function
_ZN7rocprim17ROCPRIM_400000_NS6detail17trampoline_kernelINS0_14default_configENS1_29reduce_by_key_config_selectorIsjN6thrust23THRUST_200600_302600_NS4plusIjEEEEZZNS1_33reduce_by_key_impl_wrapped_configILNS1_25lookback_scan_determinismE0ES3_S9_NS6_6detail15normal_iteratorINS6_10device_ptrIsEEEENSD_INSE_IjEEEESG_SI_PmS8_NS6_8equal_toIsEEEE10hipError_tPvRmT2_T3_mT4_T5_T6_T7_T8_P12ihipStream_tbENKUlT_T0_E_clISt17integral_constantIbLb0EES12_IbLb1EEEEDaSY_SZ_EUlSY_E_NS1_11comp_targetILNS1_3genE0ELNS1_11target_archE4294967295ELNS1_3gpuE0ELNS1_3repE0EEENS1_30default_config_static_selectorELNS0_4arch9wavefront6targetE0EEEvT1_: ; @_ZN7rocprim17ROCPRIM_400000_NS6detail17trampoline_kernelINS0_14default_configENS1_29reduce_by_key_config_selectorIsjN6thrust23THRUST_200600_302600_NS4plusIjEEEEZZNS1_33reduce_by_key_impl_wrapped_configILNS1_25lookback_scan_determinismE0ES3_S9_NS6_6detail15normal_iteratorINS6_10device_ptrIsEEEENSD_INSE_IjEEEESG_SI_PmS8_NS6_8equal_toIsEEEE10hipError_tPvRmT2_T3_mT4_T5_T6_T7_T8_P12ihipStream_tbENKUlT_T0_E_clISt17integral_constantIbLb0EES12_IbLb1EEEEDaSY_SZ_EUlSY_E_NS1_11comp_targetILNS1_3genE0ELNS1_11target_archE4294967295ELNS1_3gpuE0ELNS1_3repE0EEENS1_30default_config_static_selectorELNS0_4arch9wavefront6targetE0EEEvT1_
; %bb.0:
	.section	.rodata,"a",@progbits
	.p2align	6, 0x0
	.amdhsa_kernel _ZN7rocprim17ROCPRIM_400000_NS6detail17trampoline_kernelINS0_14default_configENS1_29reduce_by_key_config_selectorIsjN6thrust23THRUST_200600_302600_NS4plusIjEEEEZZNS1_33reduce_by_key_impl_wrapped_configILNS1_25lookback_scan_determinismE0ES3_S9_NS6_6detail15normal_iteratorINS6_10device_ptrIsEEEENSD_INSE_IjEEEESG_SI_PmS8_NS6_8equal_toIsEEEE10hipError_tPvRmT2_T3_mT4_T5_T6_T7_T8_P12ihipStream_tbENKUlT_T0_E_clISt17integral_constantIbLb0EES12_IbLb1EEEEDaSY_SZ_EUlSY_E_NS1_11comp_targetILNS1_3genE0ELNS1_11target_archE4294967295ELNS1_3gpuE0ELNS1_3repE0EEENS1_30default_config_static_selectorELNS0_4arch9wavefront6targetE0EEEvT1_
		.amdhsa_group_segment_fixed_size 0
		.amdhsa_private_segment_fixed_size 0
		.amdhsa_kernarg_size 120
		.amdhsa_user_sgpr_count 15
		.amdhsa_user_sgpr_dispatch_ptr 0
		.amdhsa_user_sgpr_queue_ptr 0
		.amdhsa_user_sgpr_kernarg_segment_ptr 1
		.amdhsa_user_sgpr_dispatch_id 0
		.amdhsa_user_sgpr_private_segment_size 0
		.amdhsa_wavefront_size32 1
		.amdhsa_uses_dynamic_stack 0
		.amdhsa_enable_private_segment 0
		.amdhsa_system_sgpr_workgroup_id_x 1
		.amdhsa_system_sgpr_workgroup_id_y 0
		.amdhsa_system_sgpr_workgroup_id_z 0
		.amdhsa_system_sgpr_workgroup_info 0
		.amdhsa_system_vgpr_workitem_id 0
		.amdhsa_next_free_vgpr 1
		.amdhsa_next_free_sgpr 1
		.amdhsa_reserve_vcc 0
		.amdhsa_float_round_mode_32 0
		.amdhsa_float_round_mode_16_64 0
		.amdhsa_float_denorm_mode_32 3
		.amdhsa_float_denorm_mode_16_64 3
		.amdhsa_dx10_clamp 1
		.amdhsa_ieee_mode 1
		.amdhsa_fp16_overflow 0
		.amdhsa_workgroup_processor_mode 1
		.amdhsa_memory_ordered 1
		.amdhsa_forward_progress 0
		.amdhsa_shared_vgpr_count 0
		.amdhsa_exception_fp_ieee_invalid_op 0
		.amdhsa_exception_fp_denorm_src 0
		.amdhsa_exception_fp_ieee_div_zero 0
		.amdhsa_exception_fp_ieee_overflow 0
		.amdhsa_exception_fp_ieee_underflow 0
		.amdhsa_exception_fp_ieee_inexact 0
		.amdhsa_exception_int_div_zero 0
	.end_amdhsa_kernel
	.section	.text._ZN7rocprim17ROCPRIM_400000_NS6detail17trampoline_kernelINS0_14default_configENS1_29reduce_by_key_config_selectorIsjN6thrust23THRUST_200600_302600_NS4plusIjEEEEZZNS1_33reduce_by_key_impl_wrapped_configILNS1_25lookback_scan_determinismE0ES3_S9_NS6_6detail15normal_iteratorINS6_10device_ptrIsEEEENSD_INSE_IjEEEESG_SI_PmS8_NS6_8equal_toIsEEEE10hipError_tPvRmT2_T3_mT4_T5_T6_T7_T8_P12ihipStream_tbENKUlT_T0_E_clISt17integral_constantIbLb0EES12_IbLb1EEEEDaSY_SZ_EUlSY_E_NS1_11comp_targetILNS1_3genE0ELNS1_11target_archE4294967295ELNS1_3gpuE0ELNS1_3repE0EEENS1_30default_config_static_selectorELNS0_4arch9wavefront6targetE0EEEvT1_,"axG",@progbits,_ZN7rocprim17ROCPRIM_400000_NS6detail17trampoline_kernelINS0_14default_configENS1_29reduce_by_key_config_selectorIsjN6thrust23THRUST_200600_302600_NS4plusIjEEEEZZNS1_33reduce_by_key_impl_wrapped_configILNS1_25lookback_scan_determinismE0ES3_S9_NS6_6detail15normal_iteratorINS6_10device_ptrIsEEEENSD_INSE_IjEEEESG_SI_PmS8_NS6_8equal_toIsEEEE10hipError_tPvRmT2_T3_mT4_T5_T6_T7_T8_P12ihipStream_tbENKUlT_T0_E_clISt17integral_constantIbLb0EES12_IbLb1EEEEDaSY_SZ_EUlSY_E_NS1_11comp_targetILNS1_3genE0ELNS1_11target_archE4294967295ELNS1_3gpuE0ELNS1_3repE0EEENS1_30default_config_static_selectorELNS0_4arch9wavefront6targetE0EEEvT1_,comdat
.Lfunc_end868:
	.size	_ZN7rocprim17ROCPRIM_400000_NS6detail17trampoline_kernelINS0_14default_configENS1_29reduce_by_key_config_selectorIsjN6thrust23THRUST_200600_302600_NS4plusIjEEEEZZNS1_33reduce_by_key_impl_wrapped_configILNS1_25lookback_scan_determinismE0ES3_S9_NS6_6detail15normal_iteratorINS6_10device_ptrIsEEEENSD_INSE_IjEEEESG_SI_PmS8_NS6_8equal_toIsEEEE10hipError_tPvRmT2_T3_mT4_T5_T6_T7_T8_P12ihipStream_tbENKUlT_T0_E_clISt17integral_constantIbLb0EES12_IbLb1EEEEDaSY_SZ_EUlSY_E_NS1_11comp_targetILNS1_3genE0ELNS1_11target_archE4294967295ELNS1_3gpuE0ELNS1_3repE0EEENS1_30default_config_static_selectorELNS0_4arch9wavefront6targetE0EEEvT1_, .Lfunc_end868-_ZN7rocprim17ROCPRIM_400000_NS6detail17trampoline_kernelINS0_14default_configENS1_29reduce_by_key_config_selectorIsjN6thrust23THRUST_200600_302600_NS4plusIjEEEEZZNS1_33reduce_by_key_impl_wrapped_configILNS1_25lookback_scan_determinismE0ES3_S9_NS6_6detail15normal_iteratorINS6_10device_ptrIsEEEENSD_INSE_IjEEEESG_SI_PmS8_NS6_8equal_toIsEEEE10hipError_tPvRmT2_T3_mT4_T5_T6_T7_T8_P12ihipStream_tbENKUlT_T0_E_clISt17integral_constantIbLb0EES12_IbLb1EEEEDaSY_SZ_EUlSY_E_NS1_11comp_targetILNS1_3genE0ELNS1_11target_archE4294967295ELNS1_3gpuE0ELNS1_3repE0EEENS1_30default_config_static_selectorELNS0_4arch9wavefront6targetE0EEEvT1_
                                        ; -- End function
	.section	.AMDGPU.csdata,"",@progbits
; Kernel info:
; codeLenInByte = 0
; NumSgprs: 0
; NumVgprs: 0
; ScratchSize: 0
; MemoryBound: 0
; FloatMode: 240
; IeeeMode: 1
; LDSByteSize: 0 bytes/workgroup (compile time only)
; SGPRBlocks: 0
; VGPRBlocks: 0
; NumSGPRsForWavesPerEU: 1
; NumVGPRsForWavesPerEU: 1
; Occupancy: 16
; WaveLimiterHint : 0
; COMPUTE_PGM_RSRC2:SCRATCH_EN: 0
; COMPUTE_PGM_RSRC2:USER_SGPR: 15
; COMPUTE_PGM_RSRC2:TRAP_HANDLER: 0
; COMPUTE_PGM_RSRC2:TGID_X_EN: 1
; COMPUTE_PGM_RSRC2:TGID_Y_EN: 0
; COMPUTE_PGM_RSRC2:TGID_Z_EN: 0
; COMPUTE_PGM_RSRC2:TIDIG_COMP_CNT: 0
	.section	.text._ZN7rocprim17ROCPRIM_400000_NS6detail17trampoline_kernelINS0_14default_configENS1_29reduce_by_key_config_selectorIsjN6thrust23THRUST_200600_302600_NS4plusIjEEEEZZNS1_33reduce_by_key_impl_wrapped_configILNS1_25lookback_scan_determinismE0ES3_S9_NS6_6detail15normal_iteratorINS6_10device_ptrIsEEEENSD_INSE_IjEEEESG_SI_PmS8_NS6_8equal_toIsEEEE10hipError_tPvRmT2_T3_mT4_T5_T6_T7_T8_P12ihipStream_tbENKUlT_T0_E_clISt17integral_constantIbLb0EES12_IbLb1EEEEDaSY_SZ_EUlSY_E_NS1_11comp_targetILNS1_3genE5ELNS1_11target_archE942ELNS1_3gpuE9ELNS1_3repE0EEENS1_30default_config_static_selectorELNS0_4arch9wavefront6targetE0EEEvT1_,"axG",@progbits,_ZN7rocprim17ROCPRIM_400000_NS6detail17trampoline_kernelINS0_14default_configENS1_29reduce_by_key_config_selectorIsjN6thrust23THRUST_200600_302600_NS4plusIjEEEEZZNS1_33reduce_by_key_impl_wrapped_configILNS1_25lookback_scan_determinismE0ES3_S9_NS6_6detail15normal_iteratorINS6_10device_ptrIsEEEENSD_INSE_IjEEEESG_SI_PmS8_NS6_8equal_toIsEEEE10hipError_tPvRmT2_T3_mT4_T5_T6_T7_T8_P12ihipStream_tbENKUlT_T0_E_clISt17integral_constantIbLb0EES12_IbLb1EEEEDaSY_SZ_EUlSY_E_NS1_11comp_targetILNS1_3genE5ELNS1_11target_archE942ELNS1_3gpuE9ELNS1_3repE0EEENS1_30default_config_static_selectorELNS0_4arch9wavefront6targetE0EEEvT1_,comdat
	.protected	_ZN7rocprim17ROCPRIM_400000_NS6detail17trampoline_kernelINS0_14default_configENS1_29reduce_by_key_config_selectorIsjN6thrust23THRUST_200600_302600_NS4plusIjEEEEZZNS1_33reduce_by_key_impl_wrapped_configILNS1_25lookback_scan_determinismE0ES3_S9_NS6_6detail15normal_iteratorINS6_10device_ptrIsEEEENSD_INSE_IjEEEESG_SI_PmS8_NS6_8equal_toIsEEEE10hipError_tPvRmT2_T3_mT4_T5_T6_T7_T8_P12ihipStream_tbENKUlT_T0_E_clISt17integral_constantIbLb0EES12_IbLb1EEEEDaSY_SZ_EUlSY_E_NS1_11comp_targetILNS1_3genE5ELNS1_11target_archE942ELNS1_3gpuE9ELNS1_3repE0EEENS1_30default_config_static_selectorELNS0_4arch9wavefront6targetE0EEEvT1_ ; -- Begin function _ZN7rocprim17ROCPRIM_400000_NS6detail17trampoline_kernelINS0_14default_configENS1_29reduce_by_key_config_selectorIsjN6thrust23THRUST_200600_302600_NS4plusIjEEEEZZNS1_33reduce_by_key_impl_wrapped_configILNS1_25lookback_scan_determinismE0ES3_S9_NS6_6detail15normal_iteratorINS6_10device_ptrIsEEEENSD_INSE_IjEEEESG_SI_PmS8_NS6_8equal_toIsEEEE10hipError_tPvRmT2_T3_mT4_T5_T6_T7_T8_P12ihipStream_tbENKUlT_T0_E_clISt17integral_constantIbLb0EES12_IbLb1EEEEDaSY_SZ_EUlSY_E_NS1_11comp_targetILNS1_3genE5ELNS1_11target_archE942ELNS1_3gpuE9ELNS1_3repE0EEENS1_30default_config_static_selectorELNS0_4arch9wavefront6targetE0EEEvT1_
	.globl	_ZN7rocprim17ROCPRIM_400000_NS6detail17trampoline_kernelINS0_14default_configENS1_29reduce_by_key_config_selectorIsjN6thrust23THRUST_200600_302600_NS4plusIjEEEEZZNS1_33reduce_by_key_impl_wrapped_configILNS1_25lookback_scan_determinismE0ES3_S9_NS6_6detail15normal_iteratorINS6_10device_ptrIsEEEENSD_INSE_IjEEEESG_SI_PmS8_NS6_8equal_toIsEEEE10hipError_tPvRmT2_T3_mT4_T5_T6_T7_T8_P12ihipStream_tbENKUlT_T0_E_clISt17integral_constantIbLb0EES12_IbLb1EEEEDaSY_SZ_EUlSY_E_NS1_11comp_targetILNS1_3genE5ELNS1_11target_archE942ELNS1_3gpuE9ELNS1_3repE0EEENS1_30default_config_static_selectorELNS0_4arch9wavefront6targetE0EEEvT1_
	.p2align	8
	.type	_ZN7rocprim17ROCPRIM_400000_NS6detail17trampoline_kernelINS0_14default_configENS1_29reduce_by_key_config_selectorIsjN6thrust23THRUST_200600_302600_NS4plusIjEEEEZZNS1_33reduce_by_key_impl_wrapped_configILNS1_25lookback_scan_determinismE0ES3_S9_NS6_6detail15normal_iteratorINS6_10device_ptrIsEEEENSD_INSE_IjEEEESG_SI_PmS8_NS6_8equal_toIsEEEE10hipError_tPvRmT2_T3_mT4_T5_T6_T7_T8_P12ihipStream_tbENKUlT_T0_E_clISt17integral_constantIbLb0EES12_IbLb1EEEEDaSY_SZ_EUlSY_E_NS1_11comp_targetILNS1_3genE5ELNS1_11target_archE942ELNS1_3gpuE9ELNS1_3repE0EEENS1_30default_config_static_selectorELNS0_4arch9wavefront6targetE0EEEvT1_,@function
_ZN7rocprim17ROCPRIM_400000_NS6detail17trampoline_kernelINS0_14default_configENS1_29reduce_by_key_config_selectorIsjN6thrust23THRUST_200600_302600_NS4plusIjEEEEZZNS1_33reduce_by_key_impl_wrapped_configILNS1_25lookback_scan_determinismE0ES3_S9_NS6_6detail15normal_iteratorINS6_10device_ptrIsEEEENSD_INSE_IjEEEESG_SI_PmS8_NS6_8equal_toIsEEEE10hipError_tPvRmT2_T3_mT4_T5_T6_T7_T8_P12ihipStream_tbENKUlT_T0_E_clISt17integral_constantIbLb0EES12_IbLb1EEEEDaSY_SZ_EUlSY_E_NS1_11comp_targetILNS1_3genE5ELNS1_11target_archE942ELNS1_3gpuE9ELNS1_3repE0EEENS1_30default_config_static_selectorELNS0_4arch9wavefront6targetE0EEEvT1_: ; @_ZN7rocprim17ROCPRIM_400000_NS6detail17trampoline_kernelINS0_14default_configENS1_29reduce_by_key_config_selectorIsjN6thrust23THRUST_200600_302600_NS4plusIjEEEEZZNS1_33reduce_by_key_impl_wrapped_configILNS1_25lookback_scan_determinismE0ES3_S9_NS6_6detail15normal_iteratorINS6_10device_ptrIsEEEENSD_INSE_IjEEEESG_SI_PmS8_NS6_8equal_toIsEEEE10hipError_tPvRmT2_T3_mT4_T5_T6_T7_T8_P12ihipStream_tbENKUlT_T0_E_clISt17integral_constantIbLb0EES12_IbLb1EEEEDaSY_SZ_EUlSY_E_NS1_11comp_targetILNS1_3genE5ELNS1_11target_archE942ELNS1_3gpuE9ELNS1_3repE0EEENS1_30default_config_static_selectorELNS0_4arch9wavefront6targetE0EEEvT1_
; %bb.0:
	.section	.rodata,"a",@progbits
	.p2align	6, 0x0
	.amdhsa_kernel _ZN7rocprim17ROCPRIM_400000_NS6detail17trampoline_kernelINS0_14default_configENS1_29reduce_by_key_config_selectorIsjN6thrust23THRUST_200600_302600_NS4plusIjEEEEZZNS1_33reduce_by_key_impl_wrapped_configILNS1_25lookback_scan_determinismE0ES3_S9_NS6_6detail15normal_iteratorINS6_10device_ptrIsEEEENSD_INSE_IjEEEESG_SI_PmS8_NS6_8equal_toIsEEEE10hipError_tPvRmT2_T3_mT4_T5_T6_T7_T8_P12ihipStream_tbENKUlT_T0_E_clISt17integral_constantIbLb0EES12_IbLb1EEEEDaSY_SZ_EUlSY_E_NS1_11comp_targetILNS1_3genE5ELNS1_11target_archE942ELNS1_3gpuE9ELNS1_3repE0EEENS1_30default_config_static_selectorELNS0_4arch9wavefront6targetE0EEEvT1_
		.amdhsa_group_segment_fixed_size 0
		.amdhsa_private_segment_fixed_size 0
		.amdhsa_kernarg_size 120
		.amdhsa_user_sgpr_count 15
		.amdhsa_user_sgpr_dispatch_ptr 0
		.amdhsa_user_sgpr_queue_ptr 0
		.amdhsa_user_sgpr_kernarg_segment_ptr 1
		.amdhsa_user_sgpr_dispatch_id 0
		.amdhsa_user_sgpr_private_segment_size 0
		.amdhsa_wavefront_size32 1
		.amdhsa_uses_dynamic_stack 0
		.amdhsa_enable_private_segment 0
		.amdhsa_system_sgpr_workgroup_id_x 1
		.amdhsa_system_sgpr_workgroup_id_y 0
		.amdhsa_system_sgpr_workgroup_id_z 0
		.amdhsa_system_sgpr_workgroup_info 0
		.amdhsa_system_vgpr_workitem_id 0
		.amdhsa_next_free_vgpr 1
		.amdhsa_next_free_sgpr 1
		.amdhsa_reserve_vcc 0
		.amdhsa_float_round_mode_32 0
		.amdhsa_float_round_mode_16_64 0
		.amdhsa_float_denorm_mode_32 3
		.amdhsa_float_denorm_mode_16_64 3
		.amdhsa_dx10_clamp 1
		.amdhsa_ieee_mode 1
		.amdhsa_fp16_overflow 0
		.amdhsa_workgroup_processor_mode 1
		.amdhsa_memory_ordered 1
		.amdhsa_forward_progress 0
		.amdhsa_shared_vgpr_count 0
		.amdhsa_exception_fp_ieee_invalid_op 0
		.amdhsa_exception_fp_denorm_src 0
		.amdhsa_exception_fp_ieee_div_zero 0
		.amdhsa_exception_fp_ieee_overflow 0
		.amdhsa_exception_fp_ieee_underflow 0
		.amdhsa_exception_fp_ieee_inexact 0
		.amdhsa_exception_int_div_zero 0
	.end_amdhsa_kernel
	.section	.text._ZN7rocprim17ROCPRIM_400000_NS6detail17trampoline_kernelINS0_14default_configENS1_29reduce_by_key_config_selectorIsjN6thrust23THRUST_200600_302600_NS4plusIjEEEEZZNS1_33reduce_by_key_impl_wrapped_configILNS1_25lookback_scan_determinismE0ES3_S9_NS6_6detail15normal_iteratorINS6_10device_ptrIsEEEENSD_INSE_IjEEEESG_SI_PmS8_NS6_8equal_toIsEEEE10hipError_tPvRmT2_T3_mT4_T5_T6_T7_T8_P12ihipStream_tbENKUlT_T0_E_clISt17integral_constantIbLb0EES12_IbLb1EEEEDaSY_SZ_EUlSY_E_NS1_11comp_targetILNS1_3genE5ELNS1_11target_archE942ELNS1_3gpuE9ELNS1_3repE0EEENS1_30default_config_static_selectorELNS0_4arch9wavefront6targetE0EEEvT1_,"axG",@progbits,_ZN7rocprim17ROCPRIM_400000_NS6detail17trampoline_kernelINS0_14default_configENS1_29reduce_by_key_config_selectorIsjN6thrust23THRUST_200600_302600_NS4plusIjEEEEZZNS1_33reduce_by_key_impl_wrapped_configILNS1_25lookback_scan_determinismE0ES3_S9_NS6_6detail15normal_iteratorINS6_10device_ptrIsEEEENSD_INSE_IjEEEESG_SI_PmS8_NS6_8equal_toIsEEEE10hipError_tPvRmT2_T3_mT4_T5_T6_T7_T8_P12ihipStream_tbENKUlT_T0_E_clISt17integral_constantIbLb0EES12_IbLb1EEEEDaSY_SZ_EUlSY_E_NS1_11comp_targetILNS1_3genE5ELNS1_11target_archE942ELNS1_3gpuE9ELNS1_3repE0EEENS1_30default_config_static_selectorELNS0_4arch9wavefront6targetE0EEEvT1_,comdat
.Lfunc_end869:
	.size	_ZN7rocprim17ROCPRIM_400000_NS6detail17trampoline_kernelINS0_14default_configENS1_29reduce_by_key_config_selectorIsjN6thrust23THRUST_200600_302600_NS4plusIjEEEEZZNS1_33reduce_by_key_impl_wrapped_configILNS1_25lookback_scan_determinismE0ES3_S9_NS6_6detail15normal_iteratorINS6_10device_ptrIsEEEENSD_INSE_IjEEEESG_SI_PmS8_NS6_8equal_toIsEEEE10hipError_tPvRmT2_T3_mT4_T5_T6_T7_T8_P12ihipStream_tbENKUlT_T0_E_clISt17integral_constantIbLb0EES12_IbLb1EEEEDaSY_SZ_EUlSY_E_NS1_11comp_targetILNS1_3genE5ELNS1_11target_archE942ELNS1_3gpuE9ELNS1_3repE0EEENS1_30default_config_static_selectorELNS0_4arch9wavefront6targetE0EEEvT1_, .Lfunc_end869-_ZN7rocprim17ROCPRIM_400000_NS6detail17trampoline_kernelINS0_14default_configENS1_29reduce_by_key_config_selectorIsjN6thrust23THRUST_200600_302600_NS4plusIjEEEEZZNS1_33reduce_by_key_impl_wrapped_configILNS1_25lookback_scan_determinismE0ES3_S9_NS6_6detail15normal_iteratorINS6_10device_ptrIsEEEENSD_INSE_IjEEEESG_SI_PmS8_NS6_8equal_toIsEEEE10hipError_tPvRmT2_T3_mT4_T5_T6_T7_T8_P12ihipStream_tbENKUlT_T0_E_clISt17integral_constantIbLb0EES12_IbLb1EEEEDaSY_SZ_EUlSY_E_NS1_11comp_targetILNS1_3genE5ELNS1_11target_archE942ELNS1_3gpuE9ELNS1_3repE0EEENS1_30default_config_static_selectorELNS0_4arch9wavefront6targetE0EEEvT1_
                                        ; -- End function
	.section	.AMDGPU.csdata,"",@progbits
; Kernel info:
; codeLenInByte = 0
; NumSgprs: 0
; NumVgprs: 0
; ScratchSize: 0
; MemoryBound: 0
; FloatMode: 240
; IeeeMode: 1
; LDSByteSize: 0 bytes/workgroup (compile time only)
; SGPRBlocks: 0
; VGPRBlocks: 0
; NumSGPRsForWavesPerEU: 1
; NumVGPRsForWavesPerEU: 1
; Occupancy: 16
; WaveLimiterHint : 0
; COMPUTE_PGM_RSRC2:SCRATCH_EN: 0
; COMPUTE_PGM_RSRC2:USER_SGPR: 15
; COMPUTE_PGM_RSRC2:TRAP_HANDLER: 0
; COMPUTE_PGM_RSRC2:TGID_X_EN: 1
; COMPUTE_PGM_RSRC2:TGID_Y_EN: 0
; COMPUTE_PGM_RSRC2:TGID_Z_EN: 0
; COMPUTE_PGM_RSRC2:TIDIG_COMP_CNT: 0
	.section	.text._ZN7rocprim17ROCPRIM_400000_NS6detail17trampoline_kernelINS0_14default_configENS1_29reduce_by_key_config_selectorIsjN6thrust23THRUST_200600_302600_NS4plusIjEEEEZZNS1_33reduce_by_key_impl_wrapped_configILNS1_25lookback_scan_determinismE0ES3_S9_NS6_6detail15normal_iteratorINS6_10device_ptrIsEEEENSD_INSE_IjEEEESG_SI_PmS8_NS6_8equal_toIsEEEE10hipError_tPvRmT2_T3_mT4_T5_T6_T7_T8_P12ihipStream_tbENKUlT_T0_E_clISt17integral_constantIbLb0EES12_IbLb1EEEEDaSY_SZ_EUlSY_E_NS1_11comp_targetILNS1_3genE4ELNS1_11target_archE910ELNS1_3gpuE8ELNS1_3repE0EEENS1_30default_config_static_selectorELNS0_4arch9wavefront6targetE0EEEvT1_,"axG",@progbits,_ZN7rocprim17ROCPRIM_400000_NS6detail17trampoline_kernelINS0_14default_configENS1_29reduce_by_key_config_selectorIsjN6thrust23THRUST_200600_302600_NS4plusIjEEEEZZNS1_33reduce_by_key_impl_wrapped_configILNS1_25lookback_scan_determinismE0ES3_S9_NS6_6detail15normal_iteratorINS6_10device_ptrIsEEEENSD_INSE_IjEEEESG_SI_PmS8_NS6_8equal_toIsEEEE10hipError_tPvRmT2_T3_mT4_T5_T6_T7_T8_P12ihipStream_tbENKUlT_T0_E_clISt17integral_constantIbLb0EES12_IbLb1EEEEDaSY_SZ_EUlSY_E_NS1_11comp_targetILNS1_3genE4ELNS1_11target_archE910ELNS1_3gpuE8ELNS1_3repE0EEENS1_30default_config_static_selectorELNS0_4arch9wavefront6targetE0EEEvT1_,comdat
	.protected	_ZN7rocprim17ROCPRIM_400000_NS6detail17trampoline_kernelINS0_14default_configENS1_29reduce_by_key_config_selectorIsjN6thrust23THRUST_200600_302600_NS4plusIjEEEEZZNS1_33reduce_by_key_impl_wrapped_configILNS1_25lookback_scan_determinismE0ES3_S9_NS6_6detail15normal_iteratorINS6_10device_ptrIsEEEENSD_INSE_IjEEEESG_SI_PmS8_NS6_8equal_toIsEEEE10hipError_tPvRmT2_T3_mT4_T5_T6_T7_T8_P12ihipStream_tbENKUlT_T0_E_clISt17integral_constantIbLb0EES12_IbLb1EEEEDaSY_SZ_EUlSY_E_NS1_11comp_targetILNS1_3genE4ELNS1_11target_archE910ELNS1_3gpuE8ELNS1_3repE0EEENS1_30default_config_static_selectorELNS0_4arch9wavefront6targetE0EEEvT1_ ; -- Begin function _ZN7rocprim17ROCPRIM_400000_NS6detail17trampoline_kernelINS0_14default_configENS1_29reduce_by_key_config_selectorIsjN6thrust23THRUST_200600_302600_NS4plusIjEEEEZZNS1_33reduce_by_key_impl_wrapped_configILNS1_25lookback_scan_determinismE0ES3_S9_NS6_6detail15normal_iteratorINS6_10device_ptrIsEEEENSD_INSE_IjEEEESG_SI_PmS8_NS6_8equal_toIsEEEE10hipError_tPvRmT2_T3_mT4_T5_T6_T7_T8_P12ihipStream_tbENKUlT_T0_E_clISt17integral_constantIbLb0EES12_IbLb1EEEEDaSY_SZ_EUlSY_E_NS1_11comp_targetILNS1_3genE4ELNS1_11target_archE910ELNS1_3gpuE8ELNS1_3repE0EEENS1_30default_config_static_selectorELNS0_4arch9wavefront6targetE0EEEvT1_
	.globl	_ZN7rocprim17ROCPRIM_400000_NS6detail17trampoline_kernelINS0_14default_configENS1_29reduce_by_key_config_selectorIsjN6thrust23THRUST_200600_302600_NS4plusIjEEEEZZNS1_33reduce_by_key_impl_wrapped_configILNS1_25lookback_scan_determinismE0ES3_S9_NS6_6detail15normal_iteratorINS6_10device_ptrIsEEEENSD_INSE_IjEEEESG_SI_PmS8_NS6_8equal_toIsEEEE10hipError_tPvRmT2_T3_mT4_T5_T6_T7_T8_P12ihipStream_tbENKUlT_T0_E_clISt17integral_constantIbLb0EES12_IbLb1EEEEDaSY_SZ_EUlSY_E_NS1_11comp_targetILNS1_3genE4ELNS1_11target_archE910ELNS1_3gpuE8ELNS1_3repE0EEENS1_30default_config_static_selectorELNS0_4arch9wavefront6targetE0EEEvT1_
	.p2align	8
	.type	_ZN7rocprim17ROCPRIM_400000_NS6detail17trampoline_kernelINS0_14default_configENS1_29reduce_by_key_config_selectorIsjN6thrust23THRUST_200600_302600_NS4plusIjEEEEZZNS1_33reduce_by_key_impl_wrapped_configILNS1_25lookback_scan_determinismE0ES3_S9_NS6_6detail15normal_iteratorINS6_10device_ptrIsEEEENSD_INSE_IjEEEESG_SI_PmS8_NS6_8equal_toIsEEEE10hipError_tPvRmT2_T3_mT4_T5_T6_T7_T8_P12ihipStream_tbENKUlT_T0_E_clISt17integral_constantIbLb0EES12_IbLb1EEEEDaSY_SZ_EUlSY_E_NS1_11comp_targetILNS1_3genE4ELNS1_11target_archE910ELNS1_3gpuE8ELNS1_3repE0EEENS1_30default_config_static_selectorELNS0_4arch9wavefront6targetE0EEEvT1_,@function
_ZN7rocprim17ROCPRIM_400000_NS6detail17trampoline_kernelINS0_14default_configENS1_29reduce_by_key_config_selectorIsjN6thrust23THRUST_200600_302600_NS4plusIjEEEEZZNS1_33reduce_by_key_impl_wrapped_configILNS1_25lookback_scan_determinismE0ES3_S9_NS6_6detail15normal_iteratorINS6_10device_ptrIsEEEENSD_INSE_IjEEEESG_SI_PmS8_NS6_8equal_toIsEEEE10hipError_tPvRmT2_T3_mT4_T5_T6_T7_T8_P12ihipStream_tbENKUlT_T0_E_clISt17integral_constantIbLb0EES12_IbLb1EEEEDaSY_SZ_EUlSY_E_NS1_11comp_targetILNS1_3genE4ELNS1_11target_archE910ELNS1_3gpuE8ELNS1_3repE0EEENS1_30default_config_static_selectorELNS0_4arch9wavefront6targetE0EEEvT1_: ; @_ZN7rocprim17ROCPRIM_400000_NS6detail17trampoline_kernelINS0_14default_configENS1_29reduce_by_key_config_selectorIsjN6thrust23THRUST_200600_302600_NS4plusIjEEEEZZNS1_33reduce_by_key_impl_wrapped_configILNS1_25lookback_scan_determinismE0ES3_S9_NS6_6detail15normal_iteratorINS6_10device_ptrIsEEEENSD_INSE_IjEEEESG_SI_PmS8_NS6_8equal_toIsEEEE10hipError_tPvRmT2_T3_mT4_T5_T6_T7_T8_P12ihipStream_tbENKUlT_T0_E_clISt17integral_constantIbLb0EES12_IbLb1EEEEDaSY_SZ_EUlSY_E_NS1_11comp_targetILNS1_3genE4ELNS1_11target_archE910ELNS1_3gpuE8ELNS1_3repE0EEENS1_30default_config_static_selectorELNS0_4arch9wavefront6targetE0EEEvT1_
; %bb.0:
	.section	.rodata,"a",@progbits
	.p2align	6, 0x0
	.amdhsa_kernel _ZN7rocprim17ROCPRIM_400000_NS6detail17trampoline_kernelINS0_14default_configENS1_29reduce_by_key_config_selectorIsjN6thrust23THRUST_200600_302600_NS4plusIjEEEEZZNS1_33reduce_by_key_impl_wrapped_configILNS1_25lookback_scan_determinismE0ES3_S9_NS6_6detail15normal_iteratorINS6_10device_ptrIsEEEENSD_INSE_IjEEEESG_SI_PmS8_NS6_8equal_toIsEEEE10hipError_tPvRmT2_T3_mT4_T5_T6_T7_T8_P12ihipStream_tbENKUlT_T0_E_clISt17integral_constantIbLb0EES12_IbLb1EEEEDaSY_SZ_EUlSY_E_NS1_11comp_targetILNS1_3genE4ELNS1_11target_archE910ELNS1_3gpuE8ELNS1_3repE0EEENS1_30default_config_static_selectorELNS0_4arch9wavefront6targetE0EEEvT1_
		.amdhsa_group_segment_fixed_size 0
		.amdhsa_private_segment_fixed_size 0
		.amdhsa_kernarg_size 120
		.amdhsa_user_sgpr_count 15
		.amdhsa_user_sgpr_dispatch_ptr 0
		.amdhsa_user_sgpr_queue_ptr 0
		.amdhsa_user_sgpr_kernarg_segment_ptr 1
		.amdhsa_user_sgpr_dispatch_id 0
		.amdhsa_user_sgpr_private_segment_size 0
		.amdhsa_wavefront_size32 1
		.amdhsa_uses_dynamic_stack 0
		.amdhsa_enable_private_segment 0
		.amdhsa_system_sgpr_workgroup_id_x 1
		.amdhsa_system_sgpr_workgroup_id_y 0
		.amdhsa_system_sgpr_workgroup_id_z 0
		.amdhsa_system_sgpr_workgroup_info 0
		.amdhsa_system_vgpr_workitem_id 0
		.amdhsa_next_free_vgpr 1
		.amdhsa_next_free_sgpr 1
		.amdhsa_reserve_vcc 0
		.amdhsa_float_round_mode_32 0
		.amdhsa_float_round_mode_16_64 0
		.amdhsa_float_denorm_mode_32 3
		.amdhsa_float_denorm_mode_16_64 3
		.amdhsa_dx10_clamp 1
		.amdhsa_ieee_mode 1
		.amdhsa_fp16_overflow 0
		.amdhsa_workgroup_processor_mode 1
		.amdhsa_memory_ordered 1
		.amdhsa_forward_progress 0
		.amdhsa_shared_vgpr_count 0
		.amdhsa_exception_fp_ieee_invalid_op 0
		.amdhsa_exception_fp_denorm_src 0
		.amdhsa_exception_fp_ieee_div_zero 0
		.amdhsa_exception_fp_ieee_overflow 0
		.amdhsa_exception_fp_ieee_underflow 0
		.amdhsa_exception_fp_ieee_inexact 0
		.amdhsa_exception_int_div_zero 0
	.end_amdhsa_kernel
	.section	.text._ZN7rocprim17ROCPRIM_400000_NS6detail17trampoline_kernelINS0_14default_configENS1_29reduce_by_key_config_selectorIsjN6thrust23THRUST_200600_302600_NS4plusIjEEEEZZNS1_33reduce_by_key_impl_wrapped_configILNS1_25lookback_scan_determinismE0ES3_S9_NS6_6detail15normal_iteratorINS6_10device_ptrIsEEEENSD_INSE_IjEEEESG_SI_PmS8_NS6_8equal_toIsEEEE10hipError_tPvRmT2_T3_mT4_T5_T6_T7_T8_P12ihipStream_tbENKUlT_T0_E_clISt17integral_constantIbLb0EES12_IbLb1EEEEDaSY_SZ_EUlSY_E_NS1_11comp_targetILNS1_3genE4ELNS1_11target_archE910ELNS1_3gpuE8ELNS1_3repE0EEENS1_30default_config_static_selectorELNS0_4arch9wavefront6targetE0EEEvT1_,"axG",@progbits,_ZN7rocprim17ROCPRIM_400000_NS6detail17trampoline_kernelINS0_14default_configENS1_29reduce_by_key_config_selectorIsjN6thrust23THRUST_200600_302600_NS4plusIjEEEEZZNS1_33reduce_by_key_impl_wrapped_configILNS1_25lookback_scan_determinismE0ES3_S9_NS6_6detail15normal_iteratorINS6_10device_ptrIsEEEENSD_INSE_IjEEEESG_SI_PmS8_NS6_8equal_toIsEEEE10hipError_tPvRmT2_T3_mT4_T5_T6_T7_T8_P12ihipStream_tbENKUlT_T0_E_clISt17integral_constantIbLb0EES12_IbLb1EEEEDaSY_SZ_EUlSY_E_NS1_11comp_targetILNS1_3genE4ELNS1_11target_archE910ELNS1_3gpuE8ELNS1_3repE0EEENS1_30default_config_static_selectorELNS0_4arch9wavefront6targetE0EEEvT1_,comdat
.Lfunc_end870:
	.size	_ZN7rocprim17ROCPRIM_400000_NS6detail17trampoline_kernelINS0_14default_configENS1_29reduce_by_key_config_selectorIsjN6thrust23THRUST_200600_302600_NS4plusIjEEEEZZNS1_33reduce_by_key_impl_wrapped_configILNS1_25lookback_scan_determinismE0ES3_S9_NS6_6detail15normal_iteratorINS6_10device_ptrIsEEEENSD_INSE_IjEEEESG_SI_PmS8_NS6_8equal_toIsEEEE10hipError_tPvRmT2_T3_mT4_T5_T6_T7_T8_P12ihipStream_tbENKUlT_T0_E_clISt17integral_constantIbLb0EES12_IbLb1EEEEDaSY_SZ_EUlSY_E_NS1_11comp_targetILNS1_3genE4ELNS1_11target_archE910ELNS1_3gpuE8ELNS1_3repE0EEENS1_30default_config_static_selectorELNS0_4arch9wavefront6targetE0EEEvT1_, .Lfunc_end870-_ZN7rocprim17ROCPRIM_400000_NS6detail17trampoline_kernelINS0_14default_configENS1_29reduce_by_key_config_selectorIsjN6thrust23THRUST_200600_302600_NS4plusIjEEEEZZNS1_33reduce_by_key_impl_wrapped_configILNS1_25lookback_scan_determinismE0ES3_S9_NS6_6detail15normal_iteratorINS6_10device_ptrIsEEEENSD_INSE_IjEEEESG_SI_PmS8_NS6_8equal_toIsEEEE10hipError_tPvRmT2_T3_mT4_T5_T6_T7_T8_P12ihipStream_tbENKUlT_T0_E_clISt17integral_constantIbLb0EES12_IbLb1EEEEDaSY_SZ_EUlSY_E_NS1_11comp_targetILNS1_3genE4ELNS1_11target_archE910ELNS1_3gpuE8ELNS1_3repE0EEENS1_30default_config_static_selectorELNS0_4arch9wavefront6targetE0EEEvT1_
                                        ; -- End function
	.section	.AMDGPU.csdata,"",@progbits
; Kernel info:
; codeLenInByte = 0
; NumSgprs: 0
; NumVgprs: 0
; ScratchSize: 0
; MemoryBound: 0
; FloatMode: 240
; IeeeMode: 1
; LDSByteSize: 0 bytes/workgroup (compile time only)
; SGPRBlocks: 0
; VGPRBlocks: 0
; NumSGPRsForWavesPerEU: 1
; NumVGPRsForWavesPerEU: 1
; Occupancy: 16
; WaveLimiterHint : 0
; COMPUTE_PGM_RSRC2:SCRATCH_EN: 0
; COMPUTE_PGM_RSRC2:USER_SGPR: 15
; COMPUTE_PGM_RSRC2:TRAP_HANDLER: 0
; COMPUTE_PGM_RSRC2:TGID_X_EN: 1
; COMPUTE_PGM_RSRC2:TGID_Y_EN: 0
; COMPUTE_PGM_RSRC2:TGID_Z_EN: 0
; COMPUTE_PGM_RSRC2:TIDIG_COMP_CNT: 0
	.section	.text._ZN7rocprim17ROCPRIM_400000_NS6detail17trampoline_kernelINS0_14default_configENS1_29reduce_by_key_config_selectorIsjN6thrust23THRUST_200600_302600_NS4plusIjEEEEZZNS1_33reduce_by_key_impl_wrapped_configILNS1_25lookback_scan_determinismE0ES3_S9_NS6_6detail15normal_iteratorINS6_10device_ptrIsEEEENSD_INSE_IjEEEESG_SI_PmS8_NS6_8equal_toIsEEEE10hipError_tPvRmT2_T3_mT4_T5_T6_T7_T8_P12ihipStream_tbENKUlT_T0_E_clISt17integral_constantIbLb0EES12_IbLb1EEEEDaSY_SZ_EUlSY_E_NS1_11comp_targetILNS1_3genE3ELNS1_11target_archE908ELNS1_3gpuE7ELNS1_3repE0EEENS1_30default_config_static_selectorELNS0_4arch9wavefront6targetE0EEEvT1_,"axG",@progbits,_ZN7rocprim17ROCPRIM_400000_NS6detail17trampoline_kernelINS0_14default_configENS1_29reduce_by_key_config_selectorIsjN6thrust23THRUST_200600_302600_NS4plusIjEEEEZZNS1_33reduce_by_key_impl_wrapped_configILNS1_25lookback_scan_determinismE0ES3_S9_NS6_6detail15normal_iteratorINS6_10device_ptrIsEEEENSD_INSE_IjEEEESG_SI_PmS8_NS6_8equal_toIsEEEE10hipError_tPvRmT2_T3_mT4_T5_T6_T7_T8_P12ihipStream_tbENKUlT_T0_E_clISt17integral_constantIbLb0EES12_IbLb1EEEEDaSY_SZ_EUlSY_E_NS1_11comp_targetILNS1_3genE3ELNS1_11target_archE908ELNS1_3gpuE7ELNS1_3repE0EEENS1_30default_config_static_selectorELNS0_4arch9wavefront6targetE0EEEvT1_,comdat
	.protected	_ZN7rocprim17ROCPRIM_400000_NS6detail17trampoline_kernelINS0_14default_configENS1_29reduce_by_key_config_selectorIsjN6thrust23THRUST_200600_302600_NS4plusIjEEEEZZNS1_33reduce_by_key_impl_wrapped_configILNS1_25lookback_scan_determinismE0ES3_S9_NS6_6detail15normal_iteratorINS6_10device_ptrIsEEEENSD_INSE_IjEEEESG_SI_PmS8_NS6_8equal_toIsEEEE10hipError_tPvRmT2_T3_mT4_T5_T6_T7_T8_P12ihipStream_tbENKUlT_T0_E_clISt17integral_constantIbLb0EES12_IbLb1EEEEDaSY_SZ_EUlSY_E_NS1_11comp_targetILNS1_3genE3ELNS1_11target_archE908ELNS1_3gpuE7ELNS1_3repE0EEENS1_30default_config_static_selectorELNS0_4arch9wavefront6targetE0EEEvT1_ ; -- Begin function _ZN7rocprim17ROCPRIM_400000_NS6detail17trampoline_kernelINS0_14default_configENS1_29reduce_by_key_config_selectorIsjN6thrust23THRUST_200600_302600_NS4plusIjEEEEZZNS1_33reduce_by_key_impl_wrapped_configILNS1_25lookback_scan_determinismE0ES3_S9_NS6_6detail15normal_iteratorINS6_10device_ptrIsEEEENSD_INSE_IjEEEESG_SI_PmS8_NS6_8equal_toIsEEEE10hipError_tPvRmT2_T3_mT4_T5_T6_T7_T8_P12ihipStream_tbENKUlT_T0_E_clISt17integral_constantIbLb0EES12_IbLb1EEEEDaSY_SZ_EUlSY_E_NS1_11comp_targetILNS1_3genE3ELNS1_11target_archE908ELNS1_3gpuE7ELNS1_3repE0EEENS1_30default_config_static_selectorELNS0_4arch9wavefront6targetE0EEEvT1_
	.globl	_ZN7rocprim17ROCPRIM_400000_NS6detail17trampoline_kernelINS0_14default_configENS1_29reduce_by_key_config_selectorIsjN6thrust23THRUST_200600_302600_NS4plusIjEEEEZZNS1_33reduce_by_key_impl_wrapped_configILNS1_25lookback_scan_determinismE0ES3_S9_NS6_6detail15normal_iteratorINS6_10device_ptrIsEEEENSD_INSE_IjEEEESG_SI_PmS8_NS6_8equal_toIsEEEE10hipError_tPvRmT2_T3_mT4_T5_T6_T7_T8_P12ihipStream_tbENKUlT_T0_E_clISt17integral_constantIbLb0EES12_IbLb1EEEEDaSY_SZ_EUlSY_E_NS1_11comp_targetILNS1_3genE3ELNS1_11target_archE908ELNS1_3gpuE7ELNS1_3repE0EEENS1_30default_config_static_selectorELNS0_4arch9wavefront6targetE0EEEvT1_
	.p2align	8
	.type	_ZN7rocprim17ROCPRIM_400000_NS6detail17trampoline_kernelINS0_14default_configENS1_29reduce_by_key_config_selectorIsjN6thrust23THRUST_200600_302600_NS4plusIjEEEEZZNS1_33reduce_by_key_impl_wrapped_configILNS1_25lookback_scan_determinismE0ES3_S9_NS6_6detail15normal_iteratorINS6_10device_ptrIsEEEENSD_INSE_IjEEEESG_SI_PmS8_NS6_8equal_toIsEEEE10hipError_tPvRmT2_T3_mT4_T5_T6_T7_T8_P12ihipStream_tbENKUlT_T0_E_clISt17integral_constantIbLb0EES12_IbLb1EEEEDaSY_SZ_EUlSY_E_NS1_11comp_targetILNS1_3genE3ELNS1_11target_archE908ELNS1_3gpuE7ELNS1_3repE0EEENS1_30default_config_static_selectorELNS0_4arch9wavefront6targetE0EEEvT1_,@function
_ZN7rocprim17ROCPRIM_400000_NS6detail17trampoline_kernelINS0_14default_configENS1_29reduce_by_key_config_selectorIsjN6thrust23THRUST_200600_302600_NS4plusIjEEEEZZNS1_33reduce_by_key_impl_wrapped_configILNS1_25lookback_scan_determinismE0ES3_S9_NS6_6detail15normal_iteratorINS6_10device_ptrIsEEEENSD_INSE_IjEEEESG_SI_PmS8_NS6_8equal_toIsEEEE10hipError_tPvRmT2_T3_mT4_T5_T6_T7_T8_P12ihipStream_tbENKUlT_T0_E_clISt17integral_constantIbLb0EES12_IbLb1EEEEDaSY_SZ_EUlSY_E_NS1_11comp_targetILNS1_3genE3ELNS1_11target_archE908ELNS1_3gpuE7ELNS1_3repE0EEENS1_30default_config_static_selectorELNS0_4arch9wavefront6targetE0EEEvT1_: ; @_ZN7rocprim17ROCPRIM_400000_NS6detail17trampoline_kernelINS0_14default_configENS1_29reduce_by_key_config_selectorIsjN6thrust23THRUST_200600_302600_NS4plusIjEEEEZZNS1_33reduce_by_key_impl_wrapped_configILNS1_25lookback_scan_determinismE0ES3_S9_NS6_6detail15normal_iteratorINS6_10device_ptrIsEEEENSD_INSE_IjEEEESG_SI_PmS8_NS6_8equal_toIsEEEE10hipError_tPvRmT2_T3_mT4_T5_T6_T7_T8_P12ihipStream_tbENKUlT_T0_E_clISt17integral_constantIbLb0EES12_IbLb1EEEEDaSY_SZ_EUlSY_E_NS1_11comp_targetILNS1_3genE3ELNS1_11target_archE908ELNS1_3gpuE7ELNS1_3repE0EEENS1_30default_config_static_selectorELNS0_4arch9wavefront6targetE0EEEvT1_
; %bb.0:
	.section	.rodata,"a",@progbits
	.p2align	6, 0x0
	.amdhsa_kernel _ZN7rocprim17ROCPRIM_400000_NS6detail17trampoline_kernelINS0_14default_configENS1_29reduce_by_key_config_selectorIsjN6thrust23THRUST_200600_302600_NS4plusIjEEEEZZNS1_33reduce_by_key_impl_wrapped_configILNS1_25lookback_scan_determinismE0ES3_S9_NS6_6detail15normal_iteratorINS6_10device_ptrIsEEEENSD_INSE_IjEEEESG_SI_PmS8_NS6_8equal_toIsEEEE10hipError_tPvRmT2_T3_mT4_T5_T6_T7_T8_P12ihipStream_tbENKUlT_T0_E_clISt17integral_constantIbLb0EES12_IbLb1EEEEDaSY_SZ_EUlSY_E_NS1_11comp_targetILNS1_3genE3ELNS1_11target_archE908ELNS1_3gpuE7ELNS1_3repE0EEENS1_30default_config_static_selectorELNS0_4arch9wavefront6targetE0EEEvT1_
		.amdhsa_group_segment_fixed_size 0
		.amdhsa_private_segment_fixed_size 0
		.amdhsa_kernarg_size 120
		.amdhsa_user_sgpr_count 15
		.amdhsa_user_sgpr_dispatch_ptr 0
		.amdhsa_user_sgpr_queue_ptr 0
		.amdhsa_user_sgpr_kernarg_segment_ptr 1
		.amdhsa_user_sgpr_dispatch_id 0
		.amdhsa_user_sgpr_private_segment_size 0
		.amdhsa_wavefront_size32 1
		.amdhsa_uses_dynamic_stack 0
		.amdhsa_enable_private_segment 0
		.amdhsa_system_sgpr_workgroup_id_x 1
		.amdhsa_system_sgpr_workgroup_id_y 0
		.amdhsa_system_sgpr_workgroup_id_z 0
		.amdhsa_system_sgpr_workgroup_info 0
		.amdhsa_system_vgpr_workitem_id 0
		.amdhsa_next_free_vgpr 1
		.amdhsa_next_free_sgpr 1
		.amdhsa_reserve_vcc 0
		.amdhsa_float_round_mode_32 0
		.amdhsa_float_round_mode_16_64 0
		.amdhsa_float_denorm_mode_32 3
		.amdhsa_float_denorm_mode_16_64 3
		.amdhsa_dx10_clamp 1
		.amdhsa_ieee_mode 1
		.amdhsa_fp16_overflow 0
		.amdhsa_workgroup_processor_mode 1
		.amdhsa_memory_ordered 1
		.amdhsa_forward_progress 0
		.amdhsa_shared_vgpr_count 0
		.amdhsa_exception_fp_ieee_invalid_op 0
		.amdhsa_exception_fp_denorm_src 0
		.amdhsa_exception_fp_ieee_div_zero 0
		.amdhsa_exception_fp_ieee_overflow 0
		.amdhsa_exception_fp_ieee_underflow 0
		.amdhsa_exception_fp_ieee_inexact 0
		.amdhsa_exception_int_div_zero 0
	.end_amdhsa_kernel
	.section	.text._ZN7rocprim17ROCPRIM_400000_NS6detail17trampoline_kernelINS0_14default_configENS1_29reduce_by_key_config_selectorIsjN6thrust23THRUST_200600_302600_NS4plusIjEEEEZZNS1_33reduce_by_key_impl_wrapped_configILNS1_25lookback_scan_determinismE0ES3_S9_NS6_6detail15normal_iteratorINS6_10device_ptrIsEEEENSD_INSE_IjEEEESG_SI_PmS8_NS6_8equal_toIsEEEE10hipError_tPvRmT2_T3_mT4_T5_T6_T7_T8_P12ihipStream_tbENKUlT_T0_E_clISt17integral_constantIbLb0EES12_IbLb1EEEEDaSY_SZ_EUlSY_E_NS1_11comp_targetILNS1_3genE3ELNS1_11target_archE908ELNS1_3gpuE7ELNS1_3repE0EEENS1_30default_config_static_selectorELNS0_4arch9wavefront6targetE0EEEvT1_,"axG",@progbits,_ZN7rocprim17ROCPRIM_400000_NS6detail17trampoline_kernelINS0_14default_configENS1_29reduce_by_key_config_selectorIsjN6thrust23THRUST_200600_302600_NS4plusIjEEEEZZNS1_33reduce_by_key_impl_wrapped_configILNS1_25lookback_scan_determinismE0ES3_S9_NS6_6detail15normal_iteratorINS6_10device_ptrIsEEEENSD_INSE_IjEEEESG_SI_PmS8_NS6_8equal_toIsEEEE10hipError_tPvRmT2_T3_mT4_T5_T6_T7_T8_P12ihipStream_tbENKUlT_T0_E_clISt17integral_constantIbLb0EES12_IbLb1EEEEDaSY_SZ_EUlSY_E_NS1_11comp_targetILNS1_3genE3ELNS1_11target_archE908ELNS1_3gpuE7ELNS1_3repE0EEENS1_30default_config_static_selectorELNS0_4arch9wavefront6targetE0EEEvT1_,comdat
.Lfunc_end871:
	.size	_ZN7rocprim17ROCPRIM_400000_NS6detail17trampoline_kernelINS0_14default_configENS1_29reduce_by_key_config_selectorIsjN6thrust23THRUST_200600_302600_NS4plusIjEEEEZZNS1_33reduce_by_key_impl_wrapped_configILNS1_25lookback_scan_determinismE0ES3_S9_NS6_6detail15normal_iteratorINS6_10device_ptrIsEEEENSD_INSE_IjEEEESG_SI_PmS8_NS6_8equal_toIsEEEE10hipError_tPvRmT2_T3_mT4_T5_T6_T7_T8_P12ihipStream_tbENKUlT_T0_E_clISt17integral_constantIbLb0EES12_IbLb1EEEEDaSY_SZ_EUlSY_E_NS1_11comp_targetILNS1_3genE3ELNS1_11target_archE908ELNS1_3gpuE7ELNS1_3repE0EEENS1_30default_config_static_selectorELNS0_4arch9wavefront6targetE0EEEvT1_, .Lfunc_end871-_ZN7rocprim17ROCPRIM_400000_NS6detail17trampoline_kernelINS0_14default_configENS1_29reduce_by_key_config_selectorIsjN6thrust23THRUST_200600_302600_NS4plusIjEEEEZZNS1_33reduce_by_key_impl_wrapped_configILNS1_25lookback_scan_determinismE0ES3_S9_NS6_6detail15normal_iteratorINS6_10device_ptrIsEEEENSD_INSE_IjEEEESG_SI_PmS8_NS6_8equal_toIsEEEE10hipError_tPvRmT2_T3_mT4_T5_T6_T7_T8_P12ihipStream_tbENKUlT_T0_E_clISt17integral_constantIbLb0EES12_IbLb1EEEEDaSY_SZ_EUlSY_E_NS1_11comp_targetILNS1_3genE3ELNS1_11target_archE908ELNS1_3gpuE7ELNS1_3repE0EEENS1_30default_config_static_selectorELNS0_4arch9wavefront6targetE0EEEvT1_
                                        ; -- End function
	.section	.AMDGPU.csdata,"",@progbits
; Kernel info:
; codeLenInByte = 0
; NumSgprs: 0
; NumVgprs: 0
; ScratchSize: 0
; MemoryBound: 0
; FloatMode: 240
; IeeeMode: 1
; LDSByteSize: 0 bytes/workgroup (compile time only)
; SGPRBlocks: 0
; VGPRBlocks: 0
; NumSGPRsForWavesPerEU: 1
; NumVGPRsForWavesPerEU: 1
; Occupancy: 16
; WaveLimiterHint : 0
; COMPUTE_PGM_RSRC2:SCRATCH_EN: 0
; COMPUTE_PGM_RSRC2:USER_SGPR: 15
; COMPUTE_PGM_RSRC2:TRAP_HANDLER: 0
; COMPUTE_PGM_RSRC2:TGID_X_EN: 1
; COMPUTE_PGM_RSRC2:TGID_Y_EN: 0
; COMPUTE_PGM_RSRC2:TGID_Z_EN: 0
; COMPUTE_PGM_RSRC2:TIDIG_COMP_CNT: 0
	.section	.text._ZN7rocprim17ROCPRIM_400000_NS6detail17trampoline_kernelINS0_14default_configENS1_29reduce_by_key_config_selectorIsjN6thrust23THRUST_200600_302600_NS4plusIjEEEEZZNS1_33reduce_by_key_impl_wrapped_configILNS1_25lookback_scan_determinismE0ES3_S9_NS6_6detail15normal_iteratorINS6_10device_ptrIsEEEENSD_INSE_IjEEEESG_SI_PmS8_NS6_8equal_toIsEEEE10hipError_tPvRmT2_T3_mT4_T5_T6_T7_T8_P12ihipStream_tbENKUlT_T0_E_clISt17integral_constantIbLb0EES12_IbLb1EEEEDaSY_SZ_EUlSY_E_NS1_11comp_targetILNS1_3genE2ELNS1_11target_archE906ELNS1_3gpuE6ELNS1_3repE0EEENS1_30default_config_static_selectorELNS0_4arch9wavefront6targetE0EEEvT1_,"axG",@progbits,_ZN7rocprim17ROCPRIM_400000_NS6detail17trampoline_kernelINS0_14default_configENS1_29reduce_by_key_config_selectorIsjN6thrust23THRUST_200600_302600_NS4plusIjEEEEZZNS1_33reduce_by_key_impl_wrapped_configILNS1_25lookback_scan_determinismE0ES3_S9_NS6_6detail15normal_iteratorINS6_10device_ptrIsEEEENSD_INSE_IjEEEESG_SI_PmS8_NS6_8equal_toIsEEEE10hipError_tPvRmT2_T3_mT4_T5_T6_T7_T8_P12ihipStream_tbENKUlT_T0_E_clISt17integral_constantIbLb0EES12_IbLb1EEEEDaSY_SZ_EUlSY_E_NS1_11comp_targetILNS1_3genE2ELNS1_11target_archE906ELNS1_3gpuE6ELNS1_3repE0EEENS1_30default_config_static_selectorELNS0_4arch9wavefront6targetE0EEEvT1_,comdat
	.protected	_ZN7rocprim17ROCPRIM_400000_NS6detail17trampoline_kernelINS0_14default_configENS1_29reduce_by_key_config_selectorIsjN6thrust23THRUST_200600_302600_NS4plusIjEEEEZZNS1_33reduce_by_key_impl_wrapped_configILNS1_25lookback_scan_determinismE0ES3_S9_NS6_6detail15normal_iteratorINS6_10device_ptrIsEEEENSD_INSE_IjEEEESG_SI_PmS8_NS6_8equal_toIsEEEE10hipError_tPvRmT2_T3_mT4_T5_T6_T7_T8_P12ihipStream_tbENKUlT_T0_E_clISt17integral_constantIbLb0EES12_IbLb1EEEEDaSY_SZ_EUlSY_E_NS1_11comp_targetILNS1_3genE2ELNS1_11target_archE906ELNS1_3gpuE6ELNS1_3repE0EEENS1_30default_config_static_selectorELNS0_4arch9wavefront6targetE0EEEvT1_ ; -- Begin function _ZN7rocprim17ROCPRIM_400000_NS6detail17trampoline_kernelINS0_14default_configENS1_29reduce_by_key_config_selectorIsjN6thrust23THRUST_200600_302600_NS4plusIjEEEEZZNS1_33reduce_by_key_impl_wrapped_configILNS1_25lookback_scan_determinismE0ES3_S9_NS6_6detail15normal_iteratorINS6_10device_ptrIsEEEENSD_INSE_IjEEEESG_SI_PmS8_NS6_8equal_toIsEEEE10hipError_tPvRmT2_T3_mT4_T5_T6_T7_T8_P12ihipStream_tbENKUlT_T0_E_clISt17integral_constantIbLb0EES12_IbLb1EEEEDaSY_SZ_EUlSY_E_NS1_11comp_targetILNS1_3genE2ELNS1_11target_archE906ELNS1_3gpuE6ELNS1_3repE0EEENS1_30default_config_static_selectorELNS0_4arch9wavefront6targetE0EEEvT1_
	.globl	_ZN7rocprim17ROCPRIM_400000_NS6detail17trampoline_kernelINS0_14default_configENS1_29reduce_by_key_config_selectorIsjN6thrust23THRUST_200600_302600_NS4plusIjEEEEZZNS1_33reduce_by_key_impl_wrapped_configILNS1_25lookback_scan_determinismE0ES3_S9_NS6_6detail15normal_iteratorINS6_10device_ptrIsEEEENSD_INSE_IjEEEESG_SI_PmS8_NS6_8equal_toIsEEEE10hipError_tPvRmT2_T3_mT4_T5_T6_T7_T8_P12ihipStream_tbENKUlT_T0_E_clISt17integral_constantIbLb0EES12_IbLb1EEEEDaSY_SZ_EUlSY_E_NS1_11comp_targetILNS1_3genE2ELNS1_11target_archE906ELNS1_3gpuE6ELNS1_3repE0EEENS1_30default_config_static_selectorELNS0_4arch9wavefront6targetE0EEEvT1_
	.p2align	8
	.type	_ZN7rocprim17ROCPRIM_400000_NS6detail17trampoline_kernelINS0_14default_configENS1_29reduce_by_key_config_selectorIsjN6thrust23THRUST_200600_302600_NS4plusIjEEEEZZNS1_33reduce_by_key_impl_wrapped_configILNS1_25lookback_scan_determinismE0ES3_S9_NS6_6detail15normal_iteratorINS6_10device_ptrIsEEEENSD_INSE_IjEEEESG_SI_PmS8_NS6_8equal_toIsEEEE10hipError_tPvRmT2_T3_mT4_T5_T6_T7_T8_P12ihipStream_tbENKUlT_T0_E_clISt17integral_constantIbLb0EES12_IbLb1EEEEDaSY_SZ_EUlSY_E_NS1_11comp_targetILNS1_3genE2ELNS1_11target_archE906ELNS1_3gpuE6ELNS1_3repE0EEENS1_30default_config_static_selectorELNS0_4arch9wavefront6targetE0EEEvT1_,@function
_ZN7rocprim17ROCPRIM_400000_NS6detail17trampoline_kernelINS0_14default_configENS1_29reduce_by_key_config_selectorIsjN6thrust23THRUST_200600_302600_NS4plusIjEEEEZZNS1_33reduce_by_key_impl_wrapped_configILNS1_25lookback_scan_determinismE0ES3_S9_NS6_6detail15normal_iteratorINS6_10device_ptrIsEEEENSD_INSE_IjEEEESG_SI_PmS8_NS6_8equal_toIsEEEE10hipError_tPvRmT2_T3_mT4_T5_T6_T7_T8_P12ihipStream_tbENKUlT_T0_E_clISt17integral_constantIbLb0EES12_IbLb1EEEEDaSY_SZ_EUlSY_E_NS1_11comp_targetILNS1_3genE2ELNS1_11target_archE906ELNS1_3gpuE6ELNS1_3repE0EEENS1_30default_config_static_selectorELNS0_4arch9wavefront6targetE0EEEvT1_: ; @_ZN7rocprim17ROCPRIM_400000_NS6detail17trampoline_kernelINS0_14default_configENS1_29reduce_by_key_config_selectorIsjN6thrust23THRUST_200600_302600_NS4plusIjEEEEZZNS1_33reduce_by_key_impl_wrapped_configILNS1_25lookback_scan_determinismE0ES3_S9_NS6_6detail15normal_iteratorINS6_10device_ptrIsEEEENSD_INSE_IjEEEESG_SI_PmS8_NS6_8equal_toIsEEEE10hipError_tPvRmT2_T3_mT4_T5_T6_T7_T8_P12ihipStream_tbENKUlT_T0_E_clISt17integral_constantIbLb0EES12_IbLb1EEEEDaSY_SZ_EUlSY_E_NS1_11comp_targetILNS1_3genE2ELNS1_11target_archE906ELNS1_3gpuE6ELNS1_3repE0EEENS1_30default_config_static_selectorELNS0_4arch9wavefront6targetE0EEEvT1_
; %bb.0:
	.section	.rodata,"a",@progbits
	.p2align	6, 0x0
	.amdhsa_kernel _ZN7rocprim17ROCPRIM_400000_NS6detail17trampoline_kernelINS0_14default_configENS1_29reduce_by_key_config_selectorIsjN6thrust23THRUST_200600_302600_NS4plusIjEEEEZZNS1_33reduce_by_key_impl_wrapped_configILNS1_25lookback_scan_determinismE0ES3_S9_NS6_6detail15normal_iteratorINS6_10device_ptrIsEEEENSD_INSE_IjEEEESG_SI_PmS8_NS6_8equal_toIsEEEE10hipError_tPvRmT2_T3_mT4_T5_T6_T7_T8_P12ihipStream_tbENKUlT_T0_E_clISt17integral_constantIbLb0EES12_IbLb1EEEEDaSY_SZ_EUlSY_E_NS1_11comp_targetILNS1_3genE2ELNS1_11target_archE906ELNS1_3gpuE6ELNS1_3repE0EEENS1_30default_config_static_selectorELNS0_4arch9wavefront6targetE0EEEvT1_
		.amdhsa_group_segment_fixed_size 0
		.amdhsa_private_segment_fixed_size 0
		.amdhsa_kernarg_size 120
		.amdhsa_user_sgpr_count 15
		.amdhsa_user_sgpr_dispatch_ptr 0
		.amdhsa_user_sgpr_queue_ptr 0
		.amdhsa_user_sgpr_kernarg_segment_ptr 1
		.amdhsa_user_sgpr_dispatch_id 0
		.amdhsa_user_sgpr_private_segment_size 0
		.amdhsa_wavefront_size32 1
		.amdhsa_uses_dynamic_stack 0
		.amdhsa_enable_private_segment 0
		.amdhsa_system_sgpr_workgroup_id_x 1
		.amdhsa_system_sgpr_workgroup_id_y 0
		.amdhsa_system_sgpr_workgroup_id_z 0
		.amdhsa_system_sgpr_workgroup_info 0
		.amdhsa_system_vgpr_workitem_id 0
		.amdhsa_next_free_vgpr 1
		.amdhsa_next_free_sgpr 1
		.amdhsa_reserve_vcc 0
		.amdhsa_float_round_mode_32 0
		.amdhsa_float_round_mode_16_64 0
		.amdhsa_float_denorm_mode_32 3
		.amdhsa_float_denorm_mode_16_64 3
		.amdhsa_dx10_clamp 1
		.amdhsa_ieee_mode 1
		.amdhsa_fp16_overflow 0
		.amdhsa_workgroup_processor_mode 1
		.amdhsa_memory_ordered 1
		.amdhsa_forward_progress 0
		.amdhsa_shared_vgpr_count 0
		.amdhsa_exception_fp_ieee_invalid_op 0
		.amdhsa_exception_fp_denorm_src 0
		.amdhsa_exception_fp_ieee_div_zero 0
		.amdhsa_exception_fp_ieee_overflow 0
		.amdhsa_exception_fp_ieee_underflow 0
		.amdhsa_exception_fp_ieee_inexact 0
		.amdhsa_exception_int_div_zero 0
	.end_amdhsa_kernel
	.section	.text._ZN7rocprim17ROCPRIM_400000_NS6detail17trampoline_kernelINS0_14default_configENS1_29reduce_by_key_config_selectorIsjN6thrust23THRUST_200600_302600_NS4plusIjEEEEZZNS1_33reduce_by_key_impl_wrapped_configILNS1_25lookback_scan_determinismE0ES3_S9_NS6_6detail15normal_iteratorINS6_10device_ptrIsEEEENSD_INSE_IjEEEESG_SI_PmS8_NS6_8equal_toIsEEEE10hipError_tPvRmT2_T3_mT4_T5_T6_T7_T8_P12ihipStream_tbENKUlT_T0_E_clISt17integral_constantIbLb0EES12_IbLb1EEEEDaSY_SZ_EUlSY_E_NS1_11comp_targetILNS1_3genE2ELNS1_11target_archE906ELNS1_3gpuE6ELNS1_3repE0EEENS1_30default_config_static_selectorELNS0_4arch9wavefront6targetE0EEEvT1_,"axG",@progbits,_ZN7rocprim17ROCPRIM_400000_NS6detail17trampoline_kernelINS0_14default_configENS1_29reduce_by_key_config_selectorIsjN6thrust23THRUST_200600_302600_NS4plusIjEEEEZZNS1_33reduce_by_key_impl_wrapped_configILNS1_25lookback_scan_determinismE0ES3_S9_NS6_6detail15normal_iteratorINS6_10device_ptrIsEEEENSD_INSE_IjEEEESG_SI_PmS8_NS6_8equal_toIsEEEE10hipError_tPvRmT2_T3_mT4_T5_T6_T7_T8_P12ihipStream_tbENKUlT_T0_E_clISt17integral_constantIbLb0EES12_IbLb1EEEEDaSY_SZ_EUlSY_E_NS1_11comp_targetILNS1_3genE2ELNS1_11target_archE906ELNS1_3gpuE6ELNS1_3repE0EEENS1_30default_config_static_selectorELNS0_4arch9wavefront6targetE0EEEvT1_,comdat
.Lfunc_end872:
	.size	_ZN7rocprim17ROCPRIM_400000_NS6detail17trampoline_kernelINS0_14default_configENS1_29reduce_by_key_config_selectorIsjN6thrust23THRUST_200600_302600_NS4plusIjEEEEZZNS1_33reduce_by_key_impl_wrapped_configILNS1_25lookback_scan_determinismE0ES3_S9_NS6_6detail15normal_iteratorINS6_10device_ptrIsEEEENSD_INSE_IjEEEESG_SI_PmS8_NS6_8equal_toIsEEEE10hipError_tPvRmT2_T3_mT4_T5_T6_T7_T8_P12ihipStream_tbENKUlT_T0_E_clISt17integral_constantIbLb0EES12_IbLb1EEEEDaSY_SZ_EUlSY_E_NS1_11comp_targetILNS1_3genE2ELNS1_11target_archE906ELNS1_3gpuE6ELNS1_3repE0EEENS1_30default_config_static_selectorELNS0_4arch9wavefront6targetE0EEEvT1_, .Lfunc_end872-_ZN7rocprim17ROCPRIM_400000_NS6detail17trampoline_kernelINS0_14default_configENS1_29reduce_by_key_config_selectorIsjN6thrust23THRUST_200600_302600_NS4plusIjEEEEZZNS1_33reduce_by_key_impl_wrapped_configILNS1_25lookback_scan_determinismE0ES3_S9_NS6_6detail15normal_iteratorINS6_10device_ptrIsEEEENSD_INSE_IjEEEESG_SI_PmS8_NS6_8equal_toIsEEEE10hipError_tPvRmT2_T3_mT4_T5_T6_T7_T8_P12ihipStream_tbENKUlT_T0_E_clISt17integral_constantIbLb0EES12_IbLb1EEEEDaSY_SZ_EUlSY_E_NS1_11comp_targetILNS1_3genE2ELNS1_11target_archE906ELNS1_3gpuE6ELNS1_3repE0EEENS1_30default_config_static_selectorELNS0_4arch9wavefront6targetE0EEEvT1_
                                        ; -- End function
	.section	.AMDGPU.csdata,"",@progbits
; Kernel info:
; codeLenInByte = 0
; NumSgprs: 0
; NumVgprs: 0
; ScratchSize: 0
; MemoryBound: 0
; FloatMode: 240
; IeeeMode: 1
; LDSByteSize: 0 bytes/workgroup (compile time only)
; SGPRBlocks: 0
; VGPRBlocks: 0
; NumSGPRsForWavesPerEU: 1
; NumVGPRsForWavesPerEU: 1
; Occupancy: 16
; WaveLimiterHint : 0
; COMPUTE_PGM_RSRC2:SCRATCH_EN: 0
; COMPUTE_PGM_RSRC2:USER_SGPR: 15
; COMPUTE_PGM_RSRC2:TRAP_HANDLER: 0
; COMPUTE_PGM_RSRC2:TGID_X_EN: 1
; COMPUTE_PGM_RSRC2:TGID_Y_EN: 0
; COMPUTE_PGM_RSRC2:TGID_Z_EN: 0
; COMPUTE_PGM_RSRC2:TIDIG_COMP_CNT: 0
	.section	.text._ZN7rocprim17ROCPRIM_400000_NS6detail17trampoline_kernelINS0_14default_configENS1_29reduce_by_key_config_selectorIsjN6thrust23THRUST_200600_302600_NS4plusIjEEEEZZNS1_33reduce_by_key_impl_wrapped_configILNS1_25lookback_scan_determinismE0ES3_S9_NS6_6detail15normal_iteratorINS6_10device_ptrIsEEEENSD_INSE_IjEEEESG_SI_PmS8_NS6_8equal_toIsEEEE10hipError_tPvRmT2_T3_mT4_T5_T6_T7_T8_P12ihipStream_tbENKUlT_T0_E_clISt17integral_constantIbLb0EES12_IbLb1EEEEDaSY_SZ_EUlSY_E_NS1_11comp_targetILNS1_3genE10ELNS1_11target_archE1201ELNS1_3gpuE5ELNS1_3repE0EEENS1_30default_config_static_selectorELNS0_4arch9wavefront6targetE0EEEvT1_,"axG",@progbits,_ZN7rocprim17ROCPRIM_400000_NS6detail17trampoline_kernelINS0_14default_configENS1_29reduce_by_key_config_selectorIsjN6thrust23THRUST_200600_302600_NS4plusIjEEEEZZNS1_33reduce_by_key_impl_wrapped_configILNS1_25lookback_scan_determinismE0ES3_S9_NS6_6detail15normal_iteratorINS6_10device_ptrIsEEEENSD_INSE_IjEEEESG_SI_PmS8_NS6_8equal_toIsEEEE10hipError_tPvRmT2_T3_mT4_T5_T6_T7_T8_P12ihipStream_tbENKUlT_T0_E_clISt17integral_constantIbLb0EES12_IbLb1EEEEDaSY_SZ_EUlSY_E_NS1_11comp_targetILNS1_3genE10ELNS1_11target_archE1201ELNS1_3gpuE5ELNS1_3repE0EEENS1_30default_config_static_selectorELNS0_4arch9wavefront6targetE0EEEvT1_,comdat
	.protected	_ZN7rocprim17ROCPRIM_400000_NS6detail17trampoline_kernelINS0_14default_configENS1_29reduce_by_key_config_selectorIsjN6thrust23THRUST_200600_302600_NS4plusIjEEEEZZNS1_33reduce_by_key_impl_wrapped_configILNS1_25lookback_scan_determinismE0ES3_S9_NS6_6detail15normal_iteratorINS6_10device_ptrIsEEEENSD_INSE_IjEEEESG_SI_PmS8_NS6_8equal_toIsEEEE10hipError_tPvRmT2_T3_mT4_T5_T6_T7_T8_P12ihipStream_tbENKUlT_T0_E_clISt17integral_constantIbLb0EES12_IbLb1EEEEDaSY_SZ_EUlSY_E_NS1_11comp_targetILNS1_3genE10ELNS1_11target_archE1201ELNS1_3gpuE5ELNS1_3repE0EEENS1_30default_config_static_selectorELNS0_4arch9wavefront6targetE0EEEvT1_ ; -- Begin function _ZN7rocprim17ROCPRIM_400000_NS6detail17trampoline_kernelINS0_14default_configENS1_29reduce_by_key_config_selectorIsjN6thrust23THRUST_200600_302600_NS4plusIjEEEEZZNS1_33reduce_by_key_impl_wrapped_configILNS1_25lookback_scan_determinismE0ES3_S9_NS6_6detail15normal_iteratorINS6_10device_ptrIsEEEENSD_INSE_IjEEEESG_SI_PmS8_NS6_8equal_toIsEEEE10hipError_tPvRmT2_T3_mT4_T5_T6_T7_T8_P12ihipStream_tbENKUlT_T0_E_clISt17integral_constantIbLb0EES12_IbLb1EEEEDaSY_SZ_EUlSY_E_NS1_11comp_targetILNS1_3genE10ELNS1_11target_archE1201ELNS1_3gpuE5ELNS1_3repE0EEENS1_30default_config_static_selectorELNS0_4arch9wavefront6targetE0EEEvT1_
	.globl	_ZN7rocprim17ROCPRIM_400000_NS6detail17trampoline_kernelINS0_14default_configENS1_29reduce_by_key_config_selectorIsjN6thrust23THRUST_200600_302600_NS4plusIjEEEEZZNS1_33reduce_by_key_impl_wrapped_configILNS1_25lookback_scan_determinismE0ES3_S9_NS6_6detail15normal_iteratorINS6_10device_ptrIsEEEENSD_INSE_IjEEEESG_SI_PmS8_NS6_8equal_toIsEEEE10hipError_tPvRmT2_T3_mT4_T5_T6_T7_T8_P12ihipStream_tbENKUlT_T0_E_clISt17integral_constantIbLb0EES12_IbLb1EEEEDaSY_SZ_EUlSY_E_NS1_11comp_targetILNS1_3genE10ELNS1_11target_archE1201ELNS1_3gpuE5ELNS1_3repE0EEENS1_30default_config_static_selectorELNS0_4arch9wavefront6targetE0EEEvT1_
	.p2align	8
	.type	_ZN7rocprim17ROCPRIM_400000_NS6detail17trampoline_kernelINS0_14default_configENS1_29reduce_by_key_config_selectorIsjN6thrust23THRUST_200600_302600_NS4plusIjEEEEZZNS1_33reduce_by_key_impl_wrapped_configILNS1_25lookback_scan_determinismE0ES3_S9_NS6_6detail15normal_iteratorINS6_10device_ptrIsEEEENSD_INSE_IjEEEESG_SI_PmS8_NS6_8equal_toIsEEEE10hipError_tPvRmT2_T3_mT4_T5_T6_T7_T8_P12ihipStream_tbENKUlT_T0_E_clISt17integral_constantIbLb0EES12_IbLb1EEEEDaSY_SZ_EUlSY_E_NS1_11comp_targetILNS1_3genE10ELNS1_11target_archE1201ELNS1_3gpuE5ELNS1_3repE0EEENS1_30default_config_static_selectorELNS0_4arch9wavefront6targetE0EEEvT1_,@function
_ZN7rocprim17ROCPRIM_400000_NS6detail17trampoline_kernelINS0_14default_configENS1_29reduce_by_key_config_selectorIsjN6thrust23THRUST_200600_302600_NS4plusIjEEEEZZNS1_33reduce_by_key_impl_wrapped_configILNS1_25lookback_scan_determinismE0ES3_S9_NS6_6detail15normal_iteratorINS6_10device_ptrIsEEEENSD_INSE_IjEEEESG_SI_PmS8_NS6_8equal_toIsEEEE10hipError_tPvRmT2_T3_mT4_T5_T6_T7_T8_P12ihipStream_tbENKUlT_T0_E_clISt17integral_constantIbLb0EES12_IbLb1EEEEDaSY_SZ_EUlSY_E_NS1_11comp_targetILNS1_3genE10ELNS1_11target_archE1201ELNS1_3gpuE5ELNS1_3repE0EEENS1_30default_config_static_selectorELNS0_4arch9wavefront6targetE0EEEvT1_: ; @_ZN7rocprim17ROCPRIM_400000_NS6detail17trampoline_kernelINS0_14default_configENS1_29reduce_by_key_config_selectorIsjN6thrust23THRUST_200600_302600_NS4plusIjEEEEZZNS1_33reduce_by_key_impl_wrapped_configILNS1_25lookback_scan_determinismE0ES3_S9_NS6_6detail15normal_iteratorINS6_10device_ptrIsEEEENSD_INSE_IjEEEESG_SI_PmS8_NS6_8equal_toIsEEEE10hipError_tPvRmT2_T3_mT4_T5_T6_T7_T8_P12ihipStream_tbENKUlT_T0_E_clISt17integral_constantIbLb0EES12_IbLb1EEEEDaSY_SZ_EUlSY_E_NS1_11comp_targetILNS1_3genE10ELNS1_11target_archE1201ELNS1_3gpuE5ELNS1_3repE0EEENS1_30default_config_static_selectorELNS0_4arch9wavefront6targetE0EEEvT1_
; %bb.0:
	.section	.rodata,"a",@progbits
	.p2align	6, 0x0
	.amdhsa_kernel _ZN7rocprim17ROCPRIM_400000_NS6detail17trampoline_kernelINS0_14default_configENS1_29reduce_by_key_config_selectorIsjN6thrust23THRUST_200600_302600_NS4plusIjEEEEZZNS1_33reduce_by_key_impl_wrapped_configILNS1_25lookback_scan_determinismE0ES3_S9_NS6_6detail15normal_iteratorINS6_10device_ptrIsEEEENSD_INSE_IjEEEESG_SI_PmS8_NS6_8equal_toIsEEEE10hipError_tPvRmT2_T3_mT4_T5_T6_T7_T8_P12ihipStream_tbENKUlT_T0_E_clISt17integral_constantIbLb0EES12_IbLb1EEEEDaSY_SZ_EUlSY_E_NS1_11comp_targetILNS1_3genE10ELNS1_11target_archE1201ELNS1_3gpuE5ELNS1_3repE0EEENS1_30default_config_static_selectorELNS0_4arch9wavefront6targetE0EEEvT1_
		.amdhsa_group_segment_fixed_size 0
		.amdhsa_private_segment_fixed_size 0
		.amdhsa_kernarg_size 120
		.amdhsa_user_sgpr_count 15
		.amdhsa_user_sgpr_dispatch_ptr 0
		.amdhsa_user_sgpr_queue_ptr 0
		.amdhsa_user_sgpr_kernarg_segment_ptr 1
		.amdhsa_user_sgpr_dispatch_id 0
		.amdhsa_user_sgpr_private_segment_size 0
		.amdhsa_wavefront_size32 1
		.amdhsa_uses_dynamic_stack 0
		.amdhsa_enable_private_segment 0
		.amdhsa_system_sgpr_workgroup_id_x 1
		.amdhsa_system_sgpr_workgroup_id_y 0
		.amdhsa_system_sgpr_workgroup_id_z 0
		.amdhsa_system_sgpr_workgroup_info 0
		.amdhsa_system_vgpr_workitem_id 0
		.amdhsa_next_free_vgpr 1
		.amdhsa_next_free_sgpr 1
		.amdhsa_reserve_vcc 0
		.amdhsa_float_round_mode_32 0
		.amdhsa_float_round_mode_16_64 0
		.amdhsa_float_denorm_mode_32 3
		.amdhsa_float_denorm_mode_16_64 3
		.amdhsa_dx10_clamp 1
		.amdhsa_ieee_mode 1
		.amdhsa_fp16_overflow 0
		.amdhsa_workgroup_processor_mode 1
		.amdhsa_memory_ordered 1
		.amdhsa_forward_progress 0
		.amdhsa_shared_vgpr_count 0
		.amdhsa_exception_fp_ieee_invalid_op 0
		.amdhsa_exception_fp_denorm_src 0
		.amdhsa_exception_fp_ieee_div_zero 0
		.amdhsa_exception_fp_ieee_overflow 0
		.amdhsa_exception_fp_ieee_underflow 0
		.amdhsa_exception_fp_ieee_inexact 0
		.amdhsa_exception_int_div_zero 0
	.end_amdhsa_kernel
	.section	.text._ZN7rocprim17ROCPRIM_400000_NS6detail17trampoline_kernelINS0_14default_configENS1_29reduce_by_key_config_selectorIsjN6thrust23THRUST_200600_302600_NS4plusIjEEEEZZNS1_33reduce_by_key_impl_wrapped_configILNS1_25lookback_scan_determinismE0ES3_S9_NS6_6detail15normal_iteratorINS6_10device_ptrIsEEEENSD_INSE_IjEEEESG_SI_PmS8_NS6_8equal_toIsEEEE10hipError_tPvRmT2_T3_mT4_T5_T6_T7_T8_P12ihipStream_tbENKUlT_T0_E_clISt17integral_constantIbLb0EES12_IbLb1EEEEDaSY_SZ_EUlSY_E_NS1_11comp_targetILNS1_3genE10ELNS1_11target_archE1201ELNS1_3gpuE5ELNS1_3repE0EEENS1_30default_config_static_selectorELNS0_4arch9wavefront6targetE0EEEvT1_,"axG",@progbits,_ZN7rocprim17ROCPRIM_400000_NS6detail17trampoline_kernelINS0_14default_configENS1_29reduce_by_key_config_selectorIsjN6thrust23THRUST_200600_302600_NS4plusIjEEEEZZNS1_33reduce_by_key_impl_wrapped_configILNS1_25lookback_scan_determinismE0ES3_S9_NS6_6detail15normal_iteratorINS6_10device_ptrIsEEEENSD_INSE_IjEEEESG_SI_PmS8_NS6_8equal_toIsEEEE10hipError_tPvRmT2_T3_mT4_T5_T6_T7_T8_P12ihipStream_tbENKUlT_T0_E_clISt17integral_constantIbLb0EES12_IbLb1EEEEDaSY_SZ_EUlSY_E_NS1_11comp_targetILNS1_3genE10ELNS1_11target_archE1201ELNS1_3gpuE5ELNS1_3repE0EEENS1_30default_config_static_selectorELNS0_4arch9wavefront6targetE0EEEvT1_,comdat
.Lfunc_end873:
	.size	_ZN7rocprim17ROCPRIM_400000_NS6detail17trampoline_kernelINS0_14default_configENS1_29reduce_by_key_config_selectorIsjN6thrust23THRUST_200600_302600_NS4plusIjEEEEZZNS1_33reduce_by_key_impl_wrapped_configILNS1_25lookback_scan_determinismE0ES3_S9_NS6_6detail15normal_iteratorINS6_10device_ptrIsEEEENSD_INSE_IjEEEESG_SI_PmS8_NS6_8equal_toIsEEEE10hipError_tPvRmT2_T3_mT4_T5_T6_T7_T8_P12ihipStream_tbENKUlT_T0_E_clISt17integral_constantIbLb0EES12_IbLb1EEEEDaSY_SZ_EUlSY_E_NS1_11comp_targetILNS1_3genE10ELNS1_11target_archE1201ELNS1_3gpuE5ELNS1_3repE0EEENS1_30default_config_static_selectorELNS0_4arch9wavefront6targetE0EEEvT1_, .Lfunc_end873-_ZN7rocprim17ROCPRIM_400000_NS6detail17trampoline_kernelINS0_14default_configENS1_29reduce_by_key_config_selectorIsjN6thrust23THRUST_200600_302600_NS4plusIjEEEEZZNS1_33reduce_by_key_impl_wrapped_configILNS1_25lookback_scan_determinismE0ES3_S9_NS6_6detail15normal_iteratorINS6_10device_ptrIsEEEENSD_INSE_IjEEEESG_SI_PmS8_NS6_8equal_toIsEEEE10hipError_tPvRmT2_T3_mT4_T5_T6_T7_T8_P12ihipStream_tbENKUlT_T0_E_clISt17integral_constantIbLb0EES12_IbLb1EEEEDaSY_SZ_EUlSY_E_NS1_11comp_targetILNS1_3genE10ELNS1_11target_archE1201ELNS1_3gpuE5ELNS1_3repE0EEENS1_30default_config_static_selectorELNS0_4arch9wavefront6targetE0EEEvT1_
                                        ; -- End function
	.section	.AMDGPU.csdata,"",@progbits
; Kernel info:
; codeLenInByte = 0
; NumSgprs: 0
; NumVgprs: 0
; ScratchSize: 0
; MemoryBound: 0
; FloatMode: 240
; IeeeMode: 1
; LDSByteSize: 0 bytes/workgroup (compile time only)
; SGPRBlocks: 0
; VGPRBlocks: 0
; NumSGPRsForWavesPerEU: 1
; NumVGPRsForWavesPerEU: 1
; Occupancy: 16
; WaveLimiterHint : 0
; COMPUTE_PGM_RSRC2:SCRATCH_EN: 0
; COMPUTE_PGM_RSRC2:USER_SGPR: 15
; COMPUTE_PGM_RSRC2:TRAP_HANDLER: 0
; COMPUTE_PGM_RSRC2:TGID_X_EN: 1
; COMPUTE_PGM_RSRC2:TGID_Y_EN: 0
; COMPUTE_PGM_RSRC2:TGID_Z_EN: 0
; COMPUTE_PGM_RSRC2:TIDIG_COMP_CNT: 0
	.section	.text._ZN7rocprim17ROCPRIM_400000_NS6detail17trampoline_kernelINS0_14default_configENS1_29reduce_by_key_config_selectorIsjN6thrust23THRUST_200600_302600_NS4plusIjEEEEZZNS1_33reduce_by_key_impl_wrapped_configILNS1_25lookback_scan_determinismE0ES3_S9_NS6_6detail15normal_iteratorINS6_10device_ptrIsEEEENSD_INSE_IjEEEESG_SI_PmS8_NS6_8equal_toIsEEEE10hipError_tPvRmT2_T3_mT4_T5_T6_T7_T8_P12ihipStream_tbENKUlT_T0_E_clISt17integral_constantIbLb0EES12_IbLb1EEEEDaSY_SZ_EUlSY_E_NS1_11comp_targetILNS1_3genE10ELNS1_11target_archE1200ELNS1_3gpuE4ELNS1_3repE0EEENS1_30default_config_static_selectorELNS0_4arch9wavefront6targetE0EEEvT1_,"axG",@progbits,_ZN7rocprim17ROCPRIM_400000_NS6detail17trampoline_kernelINS0_14default_configENS1_29reduce_by_key_config_selectorIsjN6thrust23THRUST_200600_302600_NS4plusIjEEEEZZNS1_33reduce_by_key_impl_wrapped_configILNS1_25lookback_scan_determinismE0ES3_S9_NS6_6detail15normal_iteratorINS6_10device_ptrIsEEEENSD_INSE_IjEEEESG_SI_PmS8_NS6_8equal_toIsEEEE10hipError_tPvRmT2_T3_mT4_T5_T6_T7_T8_P12ihipStream_tbENKUlT_T0_E_clISt17integral_constantIbLb0EES12_IbLb1EEEEDaSY_SZ_EUlSY_E_NS1_11comp_targetILNS1_3genE10ELNS1_11target_archE1200ELNS1_3gpuE4ELNS1_3repE0EEENS1_30default_config_static_selectorELNS0_4arch9wavefront6targetE0EEEvT1_,comdat
	.protected	_ZN7rocprim17ROCPRIM_400000_NS6detail17trampoline_kernelINS0_14default_configENS1_29reduce_by_key_config_selectorIsjN6thrust23THRUST_200600_302600_NS4plusIjEEEEZZNS1_33reduce_by_key_impl_wrapped_configILNS1_25lookback_scan_determinismE0ES3_S9_NS6_6detail15normal_iteratorINS6_10device_ptrIsEEEENSD_INSE_IjEEEESG_SI_PmS8_NS6_8equal_toIsEEEE10hipError_tPvRmT2_T3_mT4_T5_T6_T7_T8_P12ihipStream_tbENKUlT_T0_E_clISt17integral_constantIbLb0EES12_IbLb1EEEEDaSY_SZ_EUlSY_E_NS1_11comp_targetILNS1_3genE10ELNS1_11target_archE1200ELNS1_3gpuE4ELNS1_3repE0EEENS1_30default_config_static_selectorELNS0_4arch9wavefront6targetE0EEEvT1_ ; -- Begin function _ZN7rocprim17ROCPRIM_400000_NS6detail17trampoline_kernelINS0_14default_configENS1_29reduce_by_key_config_selectorIsjN6thrust23THRUST_200600_302600_NS4plusIjEEEEZZNS1_33reduce_by_key_impl_wrapped_configILNS1_25lookback_scan_determinismE0ES3_S9_NS6_6detail15normal_iteratorINS6_10device_ptrIsEEEENSD_INSE_IjEEEESG_SI_PmS8_NS6_8equal_toIsEEEE10hipError_tPvRmT2_T3_mT4_T5_T6_T7_T8_P12ihipStream_tbENKUlT_T0_E_clISt17integral_constantIbLb0EES12_IbLb1EEEEDaSY_SZ_EUlSY_E_NS1_11comp_targetILNS1_3genE10ELNS1_11target_archE1200ELNS1_3gpuE4ELNS1_3repE0EEENS1_30default_config_static_selectorELNS0_4arch9wavefront6targetE0EEEvT1_
	.globl	_ZN7rocprim17ROCPRIM_400000_NS6detail17trampoline_kernelINS0_14default_configENS1_29reduce_by_key_config_selectorIsjN6thrust23THRUST_200600_302600_NS4plusIjEEEEZZNS1_33reduce_by_key_impl_wrapped_configILNS1_25lookback_scan_determinismE0ES3_S9_NS6_6detail15normal_iteratorINS6_10device_ptrIsEEEENSD_INSE_IjEEEESG_SI_PmS8_NS6_8equal_toIsEEEE10hipError_tPvRmT2_T3_mT4_T5_T6_T7_T8_P12ihipStream_tbENKUlT_T0_E_clISt17integral_constantIbLb0EES12_IbLb1EEEEDaSY_SZ_EUlSY_E_NS1_11comp_targetILNS1_3genE10ELNS1_11target_archE1200ELNS1_3gpuE4ELNS1_3repE0EEENS1_30default_config_static_selectorELNS0_4arch9wavefront6targetE0EEEvT1_
	.p2align	8
	.type	_ZN7rocprim17ROCPRIM_400000_NS6detail17trampoline_kernelINS0_14default_configENS1_29reduce_by_key_config_selectorIsjN6thrust23THRUST_200600_302600_NS4plusIjEEEEZZNS1_33reduce_by_key_impl_wrapped_configILNS1_25lookback_scan_determinismE0ES3_S9_NS6_6detail15normal_iteratorINS6_10device_ptrIsEEEENSD_INSE_IjEEEESG_SI_PmS8_NS6_8equal_toIsEEEE10hipError_tPvRmT2_T3_mT4_T5_T6_T7_T8_P12ihipStream_tbENKUlT_T0_E_clISt17integral_constantIbLb0EES12_IbLb1EEEEDaSY_SZ_EUlSY_E_NS1_11comp_targetILNS1_3genE10ELNS1_11target_archE1200ELNS1_3gpuE4ELNS1_3repE0EEENS1_30default_config_static_selectorELNS0_4arch9wavefront6targetE0EEEvT1_,@function
_ZN7rocprim17ROCPRIM_400000_NS6detail17trampoline_kernelINS0_14default_configENS1_29reduce_by_key_config_selectorIsjN6thrust23THRUST_200600_302600_NS4plusIjEEEEZZNS1_33reduce_by_key_impl_wrapped_configILNS1_25lookback_scan_determinismE0ES3_S9_NS6_6detail15normal_iteratorINS6_10device_ptrIsEEEENSD_INSE_IjEEEESG_SI_PmS8_NS6_8equal_toIsEEEE10hipError_tPvRmT2_T3_mT4_T5_T6_T7_T8_P12ihipStream_tbENKUlT_T0_E_clISt17integral_constantIbLb0EES12_IbLb1EEEEDaSY_SZ_EUlSY_E_NS1_11comp_targetILNS1_3genE10ELNS1_11target_archE1200ELNS1_3gpuE4ELNS1_3repE0EEENS1_30default_config_static_selectorELNS0_4arch9wavefront6targetE0EEEvT1_: ; @_ZN7rocprim17ROCPRIM_400000_NS6detail17trampoline_kernelINS0_14default_configENS1_29reduce_by_key_config_selectorIsjN6thrust23THRUST_200600_302600_NS4plusIjEEEEZZNS1_33reduce_by_key_impl_wrapped_configILNS1_25lookback_scan_determinismE0ES3_S9_NS6_6detail15normal_iteratorINS6_10device_ptrIsEEEENSD_INSE_IjEEEESG_SI_PmS8_NS6_8equal_toIsEEEE10hipError_tPvRmT2_T3_mT4_T5_T6_T7_T8_P12ihipStream_tbENKUlT_T0_E_clISt17integral_constantIbLb0EES12_IbLb1EEEEDaSY_SZ_EUlSY_E_NS1_11comp_targetILNS1_3genE10ELNS1_11target_archE1200ELNS1_3gpuE4ELNS1_3repE0EEENS1_30default_config_static_selectorELNS0_4arch9wavefront6targetE0EEEvT1_
; %bb.0:
	.section	.rodata,"a",@progbits
	.p2align	6, 0x0
	.amdhsa_kernel _ZN7rocprim17ROCPRIM_400000_NS6detail17trampoline_kernelINS0_14default_configENS1_29reduce_by_key_config_selectorIsjN6thrust23THRUST_200600_302600_NS4plusIjEEEEZZNS1_33reduce_by_key_impl_wrapped_configILNS1_25lookback_scan_determinismE0ES3_S9_NS6_6detail15normal_iteratorINS6_10device_ptrIsEEEENSD_INSE_IjEEEESG_SI_PmS8_NS6_8equal_toIsEEEE10hipError_tPvRmT2_T3_mT4_T5_T6_T7_T8_P12ihipStream_tbENKUlT_T0_E_clISt17integral_constantIbLb0EES12_IbLb1EEEEDaSY_SZ_EUlSY_E_NS1_11comp_targetILNS1_3genE10ELNS1_11target_archE1200ELNS1_3gpuE4ELNS1_3repE0EEENS1_30default_config_static_selectorELNS0_4arch9wavefront6targetE0EEEvT1_
		.amdhsa_group_segment_fixed_size 0
		.amdhsa_private_segment_fixed_size 0
		.amdhsa_kernarg_size 120
		.amdhsa_user_sgpr_count 15
		.amdhsa_user_sgpr_dispatch_ptr 0
		.amdhsa_user_sgpr_queue_ptr 0
		.amdhsa_user_sgpr_kernarg_segment_ptr 1
		.amdhsa_user_sgpr_dispatch_id 0
		.amdhsa_user_sgpr_private_segment_size 0
		.amdhsa_wavefront_size32 1
		.amdhsa_uses_dynamic_stack 0
		.amdhsa_enable_private_segment 0
		.amdhsa_system_sgpr_workgroup_id_x 1
		.amdhsa_system_sgpr_workgroup_id_y 0
		.amdhsa_system_sgpr_workgroup_id_z 0
		.amdhsa_system_sgpr_workgroup_info 0
		.amdhsa_system_vgpr_workitem_id 0
		.amdhsa_next_free_vgpr 1
		.amdhsa_next_free_sgpr 1
		.amdhsa_reserve_vcc 0
		.amdhsa_float_round_mode_32 0
		.amdhsa_float_round_mode_16_64 0
		.amdhsa_float_denorm_mode_32 3
		.amdhsa_float_denorm_mode_16_64 3
		.amdhsa_dx10_clamp 1
		.amdhsa_ieee_mode 1
		.amdhsa_fp16_overflow 0
		.amdhsa_workgroup_processor_mode 1
		.amdhsa_memory_ordered 1
		.amdhsa_forward_progress 0
		.amdhsa_shared_vgpr_count 0
		.amdhsa_exception_fp_ieee_invalid_op 0
		.amdhsa_exception_fp_denorm_src 0
		.amdhsa_exception_fp_ieee_div_zero 0
		.amdhsa_exception_fp_ieee_overflow 0
		.amdhsa_exception_fp_ieee_underflow 0
		.amdhsa_exception_fp_ieee_inexact 0
		.amdhsa_exception_int_div_zero 0
	.end_amdhsa_kernel
	.section	.text._ZN7rocprim17ROCPRIM_400000_NS6detail17trampoline_kernelINS0_14default_configENS1_29reduce_by_key_config_selectorIsjN6thrust23THRUST_200600_302600_NS4plusIjEEEEZZNS1_33reduce_by_key_impl_wrapped_configILNS1_25lookback_scan_determinismE0ES3_S9_NS6_6detail15normal_iteratorINS6_10device_ptrIsEEEENSD_INSE_IjEEEESG_SI_PmS8_NS6_8equal_toIsEEEE10hipError_tPvRmT2_T3_mT4_T5_T6_T7_T8_P12ihipStream_tbENKUlT_T0_E_clISt17integral_constantIbLb0EES12_IbLb1EEEEDaSY_SZ_EUlSY_E_NS1_11comp_targetILNS1_3genE10ELNS1_11target_archE1200ELNS1_3gpuE4ELNS1_3repE0EEENS1_30default_config_static_selectorELNS0_4arch9wavefront6targetE0EEEvT1_,"axG",@progbits,_ZN7rocprim17ROCPRIM_400000_NS6detail17trampoline_kernelINS0_14default_configENS1_29reduce_by_key_config_selectorIsjN6thrust23THRUST_200600_302600_NS4plusIjEEEEZZNS1_33reduce_by_key_impl_wrapped_configILNS1_25lookback_scan_determinismE0ES3_S9_NS6_6detail15normal_iteratorINS6_10device_ptrIsEEEENSD_INSE_IjEEEESG_SI_PmS8_NS6_8equal_toIsEEEE10hipError_tPvRmT2_T3_mT4_T5_T6_T7_T8_P12ihipStream_tbENKUlT_T0_E_clISt17integral_constantIbLb0EES12_IbLb1EEEEDaSY_SZ_EUlSY_E_NS1_11comp_targetILNS1_3genE10ELNS1_11target_archE1200ELNS1_3gpuE4ELNS1_3repE0EEENS1_30default_config_static_selectorELNS0_4arch9wavefront6targetE0EEEvT1_,comdat
.Lfunc_end874:
	.size	_ZN7rocprim17ROCPRIM_400000_NS6detail17trampoline_kernelINS0_14default_configENS1_29reduce_by_key_config_selectorIsjN6thrust23THRUST_200600_302600_NS4plusIjEEEEZZNS1_33reduce_by_key_impl_wrapped_configILNS1_25lookback_scan_determinismE0ES3_S9_NS6_6detail15normal_iteratorINS6_10device_ptrIsEEEENSD_INSE_IjEEEESG_SI_PmS8_NS6_8equal_toIsEEEE10hipError_tPvRmT2_T3_mT4_T5_T6_T7_T8_P12ihipStream_tbENKUlT_T0_E_clISt17integral_constantIbLb0EES12_IbLb1EEEEDaSY_SZ_EUlSY_E_NS1_11comp_targetILNS1_3genE10ELNS1_11target_archE1200ELNS1_3gpuE4ELNS1_3repE0EEENS1_30default_config_static_selectorELNS0_4arch9wavefront6targetE0EEEvT1_, .Lfunc_end874-_ZN7rocprim17ROCPRIM_400000_NS6detail17trampoline_kernelINS0_14default_configENS1_29reduce_by_key_config_selectorIsjN6thrust23THRUST_200600_302600_NS4plusIjEEEEZZNS1_33reduce_by_key_impl_wrapped_configILNS1_25lookback_scan_determinismE0ES3_S9_NS6_6detail15normal_iteratorINS6_10device_ptrIsEEEENSD_INSE_IjEEEESG_SI_PmS8_NS6_8equal_toIsEEEE10hipError_tPvRmT2_T3_mT4_T5_T6_T7_T8_P12ihipStream_tbENKUlT_T0_E_clISt17integral_constantIbLb0EES12_IbLb1EEEEDaSY_SZ_EUlSY_E_NS1_11comp_targetILNS1_3genE10ELNS1_11target_archE1200ELNS1_3gpuE4ELNS1_3repE0EEENS1_30default_config_static_selectorELNS0_4arch9wavefront6targetE0EEEvT1_
                                        ; -- End function
	.section	.AMDGPU.csdata,"",@progbits
; Kernel info:
; codeLenInByte = 0
; NumSgprs: 0
; NumVgprs: 0
; ScratchSize: 0
; MemoryBound: 0
; FloatMode: 240
; IeeeMode: 1
; LDSByteSize: 0 bytes/workgroup (compile time only)
; SGPRBlocks: 0
; VGPRBlocks: 0
; NumSGPRsForWavesPerEU: 1
; NumVGPRsForWavesPerEU: 1
; Occupancy: 16
; WaveLimiterHint : 0
; COMPUTE_PGM_RSRC2:SCRATCH_EN: 0
; COMPUTE_PGM_RSRC2:USER_SGPR: 15
; COMPUTE_PGM_RSRC2:TRAP_HANDLER: 0
; COMPUTE_PGM_RSRC2:TGID_X_EN: 1
; COMPUTE_PGM_RSRC2:TGID_Y_EN: 0
; COMPUTE_PGM_RSRC2:TGID_Z_EN: 0
; COMPUTE_PGM_RSRC2:TIDIG_COMP_CNT: 0
	.section	.text._ZN7rocprim17ROCPRIM_400000_NS6detail17trampoline_kernelINS0_14default_configENS1_29reduce_by_key_config_selectorIsjN6thrust23THRUST_200600_302600_NS4plusIjEEEEZZNS1_33reduce_by_key_impl_wrapped_configILNS1_25lookback_scan_determinismE0ES3_S9_NS6_6detail15normal_iteratorINS6_10device_ptrIsEEEENSD_INSE_IjEEEESG_SI_PmS8_NS6_8equal_toIsEEEE10hipError_tPvRmT2_T3_mT4_T5_T6_T7_T8_P12ihipStream_tbENKUlT_T0_E_clISt17integral_constantIbLb0EES12_IbLb1EEEEDaSY_SZ_EUlSY_E_NS1_11comp_targetILNS1_3genE9ELNS1_11target_archE1100ELNS1_3gpuE3ELNS1_3repE0EEENS1_30default_config_static_selectorELNS0_4arch9wavefront6targetE0EEEvT1_,"axG",@progbits,_ZN7rocprim17ROCPRIM_400000_NS6detail17trampoline_kernelINS0_14default_configENS1_29reduce_by_key_config_selectorIsjN6thrust23THRUST_200600_302600_NS4plusIjEEEEZZNS1_33reduce_by_key_impl_wrapped_configILNS1_25lookback_scan_determinismE0ES3_S9_NS6_6detail15normal_iteratorINS6_10device_ptrIsEEEENSD_INSE_IjEEEESG_SI_PmS8_NS6_8equal_toIsEEEE10hipError_tPvRmT2_T3_mT4_T5_T6_T7_T8_P12ihipStream_tbENKUlT_T0_E_clISt17integral_constantIbLb0EES12_IbLb1EEEEDaSY_SZ_EUlSY_E_NS1_11comp_targetILNS1_3genE9ELNS1_11target_archE1100ELNS1_3gpuE3ELNS1_3repE0EEENS1_30default_config_static_selectorELNS0_4arch9wavefront6targetE0EEEvT1_,comdat
	.protected	_ZN7rocprim17ROCPRIM_400000_NS6detail17trampoline_kernelINS0_14default_configENS1_29reduce_by_key_config_selectorIsjN6thrust23THRUST_200600_302600_NS4plusIjEEEEZZNS1_33reduce_by_key_impl_wrapped_configILNS1_25lookback_scan_determinismE0ES3_S9_NS6_6detail15normal_iteratorINS6_10device_ptrIsEEEENSD_INSE_IjEEEESG_SI_PmS8_NS6_8equal_toIsEEEE10hipError_tPvRmT2_T3_mT4_T5_T6_T7_T8_P12ihipStream_tbENKUlT_T0_E_clISt17integral_constantIbLb0EES12_IbLb1EEEEDaSY_SZ_EUlSY_E_NS1_11comp_targetILNS1_3genE9ELNS1_11target_archE1100ELNS1_3gpuE3ELNS1_3repE0EEENS1_30default_config_static_selectorELNS0_4arch9wavefront6targetE0EEEvT1_ ; -- Begin function _ZN7rocprim17ROCPRIM_400000_NS6detail17trampoline_kernelINS0_14default_configENS1_29reduce_by_key_config_selectorIsjN6thrust23THRUST_200600_302600_NS4plusIjEEEEZZNS1_33reduce_by_key_impl_wrapped_configILNS1_25lookback_scan_determinismE0ES3_S9_NS6_6detail15normal_iteratorINS6_10device_ptrIsEEEENSD_INSE_IjEEEESG_SI_PmS8_NS6_8equal_toIsEEEE10hipError_tPvRmT2_T3_mT4_T5_T6_T7_T8_P12ihipStream_tbENKUlT_T0_E_clISt17integral_constantIbLb0EES12_IbLb1EEEEDaSY_SZ_EUlSY_E_NS1_11comp_targetILNS1_3genE9ELNS1_11target_archE1100ELNS1_3gpuE3ELNS1_3repE0EEENS1_30default_config_static_selectorELNS0_4arch9wavefront6targetE0EEEvT1_
	.globl	_ZN7rocprim17ROCPRIM_400000_NS6detail17trampoline_kernelINS0_14default_configENS1_29reduce_by_key_config_selectorIsjN6thrust23THRUST_200600_302600_NS4plusIjEEEEZZNS1_33reduce_by_key_impl_wrapped_configILNS1_25lookback_scan_determinismE0ES3_S9_NS6_6detail15normal_iteratorINS6_10device_ptrIsEEEENSD_INSE_IjEEEESG_SI_PmS8_NS6_8equal_toIsEEEE10hipError_tPvRmT2_T3_mT4_T5_T6_T7_T8_P12ihipStream_tbENKUlT_T0_E_clISt17integral_constantIbLb0EES12_IbLb1EEEEDaSY_SZ_EUlSY_E_NS1_11comp_targetILNS1_3genE9ELNS1_11target_archE1100ELNS1_3gpuE3ELNS1_3repE0EEENS1_30default_config_static_selectorELNS0_4arch9wavefront6targetE0EEEvT1_
	.p2align	8
	.type	_ZN7rocprim17ROCPRIM_400000_NS6detail17trampoline_kernelINS0_14default_configENS1_29reduce_by_key_config_selectorIsjN6thrust23THRUST_200600_302600_NS4plusIjEEEEZZNS1_33reduce_by_key_impl_wrapped_configILNS1_25lookback_scan_determinismE0ES3_S9_NS6_6detail15normal_iteratorINS6_10device_ptrIsEEEENSD_INSE_IjEEEESG_SI_PmS8_NS6_8equal_toIsEEEE10hipError_tPvRmT2_T3_mT4_T5_T6_T7_T8_P12ihipStream_tbENKUlT_T0_E_clISt17integral_constantIbLb0EES12_IbLb1EEEEDaSY_SZ_EUlSY_E_NS1_11comp_targetILNS1_3genE9ELNS1_11target_archE1100ELNS1_3gpuE3ELNS1_3repE0EEENS1_30default_config_static_selectorELNS0_4arch9wavefront6targetE0EEEvT1_,@function
_ZN7rocprim17ROCPRIM_400000_NS6detail17trampoline_kernelINS0_14default_configENS1_29reduce_by_key_config_selectorIsjN6thrust23THRUST_200600_302600_NS4plusIjEEEEZZNS1_33reduce_by_key_impl_wrapped_configILNS1_25lookback_scan_determinismE0ES3_S9_NS6_6detail15normal_iteratorINS6_10device_ptrIsEEEENSD_INSE_IjEEEESG_SI_PmS8_NS6_8equal_toIsEEEE10hipError_tPvRmT2_T3_mT4_T5_T6_T7_T8_P12ihipStream_tbENKUlT_T0_E_clISt17integral_constantIbLb0EES12_IbLb1EEEEDaSY_SZ_EUlSY_E_NS1_11comp_targetILNS1_3genE9ELNS1_11target_archE1100ELNS1_3gpuE3ELNS1_3repE0EEENS1_30default_config_static_selectorELNS0_4arch9wavefront6targetE0EEEvT1_: ; @_ZN7rocprim17ROCPRIM_400000_NS6detail17trampoline_kernelINS0_14default_configENS1_29reduce_by_key_config_selectorIsjN6thrust23THRUST_200600_302600_NS4plusIjEEEEZZNS1_33reduce_by_key_impl_wrapped_configILNS1_25lookback_scan_determinismE0ES3_S9_NS6_6detail15normal_iteratorINS6_10device_ptrIsEEEENSD_INSE_IjEEEESG_SI_PmS8_NS6_8equal_toIsEEEE10hipError_tPvRmT2_T3_mT4_T5_T6_T7_T8_P12ihipStream_tbENKUlT_T0_E_clISt17integral_constantIbLb0EES12_IbLb1EEEEDaSY_SZ_EUlSY_E_NS1_11comp_targetILNS1_3genE9ELNS1_11target_archE1100ELNS1_3gpuE3ELNS1_3repE0EEENS1_30default_config_static_selectorELNS0_4arch9wavefront6targetE0EEEvT1_
; %bb.0:
	s_clause 0x4
	s_load_b256 s[12:19], s[0:1], 0x0
	s_load_b128 s[28:31], s[0:1], 0x20
	s_load_b256 s[20:27], s[0:1], 0x38
	s_load_b64 s[34:35], s[0:1], 0x68
	s_load_b128 s[36:39], s[0:1], 0x58
	v_cmp_ne_u32_e64 s3, 0, v0
	v_cmp_eq_u32_e64 s2, 0, v0
	s_delay_alu instid0(VALU_DEP_1)
	s_and_saveexec_b32 s4, s2
	s_cbranch_execz .LBB875_4
; %bb.1:
	s_mov_b32 s6, exec_lo
	s_mov_b32 s5, exec_lo
	v_mbcnt_lo_u32_b32 v1, s6, 0
                                        ; implicit-def: $vgpr2
	s_delay_alu instid0(VALU_DEP_1)
	v_cmpx_eq_u32_e32 0, v1
	s_cbranch_execz .LBB875_3
; %bb.2:
	s_load_b64 s[0:1], s[0:1], 0x70
	s_bcnt1_i32_b32 s6, s6
	s_delay_alu instid0(SALU_CYCLE_1)
	v_dual_mov_b32 v2, 0 :: v_dual_mov_b32 v3, s6
	s_waitcnt lgkmcnt(0)
	global_atomic_add_u32 v2, v2, v3, s[0:1] glc
.LBB875_3:
	s_or_b32 exec_lo, exec_lo, s5
	s_waitcnt vmcnt(0)
	v_readfirstlane_b32 s0, v2
	s_delay_alu instid0(VALU_DEP_1)
	v_dual_mov_b32 v2, 0 :: v_dual_add_nc_u32 v1, s0, v1
	ds_store_b32 v2, v1
.LBB875_4:
	s_or_b32 exec_lo, exec_lo, s4
	v_mov_b32_e32 v2, 0
	s_waitcnt lgkmcnt(0)
	s_barrier
	buffer_gl0_inv
	s_lshl_b64 s[0:1], s[14:15], 1
	ds_load_b32 v1, v2
	s_add_u32 s10, s12, s0
	s_addc_u32 s1, s13, s1
	s_lshl_b64 s[4:5], s[14:15], 2
	s_mul_i32 s6, s24, s23
	s_mul_hi_u32 s7, s24, s22
	s_add_u32 s11, s16, s4
	s_mul_i32 s8, s25, s22
	s_addc_u32 s12, s17, s5
	s_add_i32 s4, s7, s6
	s_mul_i32 s9, s24, s22
	s_add_i32 s4, s4, s8
	v_mad_u32_u24 v5, v0, 15, 1
	v_mad_u32_u24 v7, v0, 15, 3
	;; [unrolled: 1-line block ×7, first 2 shown]
	s_mov_b32 s0, 0
	s_waitcnt lgkmcnt(0)
	v_readfirstlane_b32 s33, v1
	v_mul_lo_u32 v1, 0xf00, v1
	s_barrier
	buffer_gl0_inv
	s_add_u32 s24, s9, s33
	s_addc_u32 s25, s4, 0
	s_add_u32 s4, s26, -1
	s_addc_u32 s5, s27, -1
	v_lshlrev_b64 v[3:4], 1, v[1:2]
	v_lshlrev_b64 v[1:2], 2, v[1:2]
	s_cmp_eq_u64 s[24:25], s[4:5]
	s_mul_i32 s26, s4, 0xfffff100
	s_cselect_b32 s17, -1, 0
	s_cmp_lg_u64 s[24:25], s[4:5]
	v_add_co_u32 v8, vcc_lo, s10, v3
	v_add_co_ci_u32_e32 v6, vcc_lo, s1, v4, vcc_lo
	v_add_co_u32 v10, vcc_lo, s11, v1
	v_add_co_ci_u32_e32 v12, vcc_lo, s12, v2, vcc_lo
	s_cselect_b32 s40, -1, 0
	s_and_b32 vcc_lo, exec_lo, s17
	s_cbranch_vccnz .LBB875_6
; %bb.5:
	v_lshlrev_b32_e32 v13, 1, v0
	s_delay_alu instid0(VALU_DEP_1) | instskip(SKIP_2) | instid1(VALU_DEP_3)
	v_add_co_u32 v1, vcc_lo, v8, v13
	v_add_co_ci_u32_e32 v2, vcc_lo, 0, v6, vcc_lo
	v_mad_u32_u24 v37, v0, 28, v13
	v_add_co_u32 v3, vcc_lo, 0x1000, v1
	s_delay_alu instid0(VALU_DEP_3)
	v_add_co_ci_u32_e32 v4, vcc_lo, 0, v2, vcc_lo
	s_clause 0xe
	flat_load_u16 v14, v[1:2]
	flat_load_u16 v15, v[1:2] offset:512
	flat_load_u16 v19, v[1:2] offset:1024
	;; [unrolled: 1-line block ×7, first 2 shown]
	flat_load_u16 v2, v[3:4]
	flat_load_u16 v32, v[3:4] offset:512
	flat_load_u16 v33, v[3:4] offset:1024
	;; [unrolled: 1-line block ×6, first 2 shown]
	v_lshlrev_b32_e32 v4, 2, v0
	s_waitcnt vmcnt(14) lgkmcnt(14)
	ds_store_b16 v13, v14
	s_waitcnt vmcnt(13) lgkmcnt(14)
	ds_store_b16 v13, v15 offset:512
	s_waitcnt vmcnt(12) lgkmcnt(14)
	ds_store_b16 v13, v19 offset:1024
	;; [unrolled: 2-line block ×14, first 2 shown]
	v_add_co_u32 v17, vcc_lo, v10, v4
	v_add_co_ci_u32_e32 v18, vcc_lo, 0, v12, vcc_lo
	s_waitcnt lgkmcnt(0)
	s_delay_alu instid0(VALU_DEP_2) | instskip(NEXT) | instid1(VALU_DEP_2)
	v_add_co_u32 v23, vcc_lo, 0x1000, v17
	v_add_co_ci_u32_e32 v24, vcc_lo, 0, v18, vcc_lo
	v_add_co_u32 v25, vcc_lo, 0x2000, v17
	v_add_co_ci_u32_e32 v26, vcc_lo, 0, v18, vcc_lo
	;; [unrolled: 2-line block ×3, first 2 shown]
	s_barrier
	buffer_gl0_inv
	ds_load_u16 v56, v37
	ds_load_b128 v[1:4], v37 offset:2
	ds_load_b96 v[13:15], v37 offset:18
	s_waitcnt lgkmcnt(0)
	s_barrier
	buffer_gl0_inv
	s_clause 0xe
	flat_load_b32 v21, v[17:18]
	flat_load_b32 v29, v[17:18] offset:1024
	flat_load_b32 v30, v[17:18] offset:2048
	flat_load_b32 v17, v[17:18] offset:3072
	flat_load_b32 v18, v[23:24]
	flat_load_b32 v31, v[23:24] offset:1024
	flat_load_b32 v32, v[23:24] offset:2048
	flat_load_b32 v23, v[23:24] offset:3072
	;; [unrolled: 4-line block ×3, first 2 shown]
	flat_load_b32 v26, v[27:28]
	flat_load_b32 v35, v[27:28] offset:1024
	flat_load_b32 v27, v[27:28] offset:2048
	v_mad_i32_i24 v28, 0xffffffe6, v0, v37
	v_mul_u32_u24_e32 v19, 15, v0
	s_waitcnt vmcnt(13) lgkmcnt(13)
	ds_store_2addr_stride64_b32 v28, v21, v29 offset1:4
	s_waitcnt vmcnt(11) lgkmcnt(12)
	ds_store_2addr_stride64_b32 v28, v30, v17 offset0:8 offset1:12
	s_waitcnt vmcnt(9) lgkmcnt(11)
	ds_store_2addr_stride64_b32 v28, v18, v31 offset0:16 offset1:20
	;; [unrolled: 2-line block ×6, first 2 shown]
	s_waitcnt vmcnt(0) lgkmcnt(7)
	ds_store_b32 v28, v27 offset:14336
	s_waitcnt lgkmcnt(0)
	s_barrier
	s_branch .LBB875_7
.LBB875_6:
	s_mov_b32 s0, -1
                                        ; implicit-def: $vgpr1
                                        ; implicit-def: $vgpr13
                                        ; implicit-def: $vgpr19
                                        ; implicit-def: $vgpr56
.LBB875_7:
	v_dual_mov_b32 v25, v22 :: v_dual_mov_b32 v28, v20
	v_dual_mov_b32 v30, v16 :: v_dual_mov_b32 v29, v7
	;; [unrolled: 1-line block ×3, first 2 shown]
	v_mov_b32_e32 v26, v9
	s_and_not1_b32 vcc_lo, exec_lo, s0
	s_add_i32 s26, s26, s36
	s_cbranch_vccnz .LBB875_69
; %bb.8:
	v_cmp_gt_u32_e32 vcc_lo, s26, v0
                                        ; implicit-def: $vgpr1
	s_and_saveexec_b32 s1, vcc_lo
	s_cbranch_execz .LBB875_10
; %bb.9:
	v_lshlrev_b32_e32 v1, 1, v0
	s_delay_alu instid0(VALU_DEP_1) | instskip(NEXT) | instid1(VALU_DEP_1)
	v_add_co_u32 v1, s0, v8, v1
	v_add_co_ci_u32_e64 v2, s0, 0, v6, s0
	flat_load_u16 v1, v[1:2]
.LBB875_10:
	s_or_b32 exec_lo, exec_lo, s1
	v_or_b32_e32 v2, 0x100, v0
	s_delay_alu instid0(VALU_DEP_1) | instskip(NEXT) | instid1(VALU_DEP_1)
	v_cmp_gt_u32_e64 s0, s26, v2
                                        ; implicit-def: $vgpr2
	s_and_saveexec_b32 s4, s0
	s_cbranch_execz .LBB875_12
; %bb.11:
	v_lshlrev_b32_e32 v2, 1, v0
	s_delay_alu instid0(VALU_DEP_1) | instskip(NEXT) | instid1(VALU_DEP_1)
	v_add_co_u32 v2, s1, v8, v2
	v_add_co_ci_u32_e64 v3, s1, 0, v6, s1
	flat_load_u16 v2, v[2:3] offset:512
.LBB875_12:
	s_or_b32 exec_lo, exec_lo, s4
	v_or_b32_e32 v3, 0x200, v0
	s_delay_alu instid0(VALU_DEP_1) | instskip(NEXT) | instid1(VALU_DEP_1)
	v_cmp_gt_u32_e64 s1, s26, v3
                                        ; implicit-def: $vgpr3
	s_and_saveexec_b32 s5, s1
	s_cbranch_execz .LBB875_14
; %bb.13:
	v_lshlrev_b32_e32 v3, 1, v0
	s_delay_alu instid0(VALU_DEP_1) | instskip(NEXT) | instid1(VALU_DEP_1)
	v_add_co_u32 v3, s4, v8, v3
	v_add_co_ci_u32_e64 v4, s4, 0, v6, s4
	flat_load_u16 v3, v[3:4] offset:1024
.LBB875_14:
	s_or_b32 exec_lo, exec_lo, s5
	v_or_b32_e32 v4, 0x300, v0
	s_delay_alu instid0(VALU_DEP_1) | instskip(NEXT) | instid1(VALU_DEP_1)
	v_cmp_gt_u32_e64 s4, s26, v4
                                        ; implicit-def: $vgpr4
	s_and_saveexec_b32 s6, s4
	s_cbranch_execz .LBB875_16
; %bb.15:
	v_lshlrev_b32_e32 v4, 1, v0
	s_delay_alu instid0(VALU_DEP_1) | instskip(NEXT) | instid1(VALU_DEP_1)
	v_add_co_u32 v13, s5, v8, v4
	v_add_co_ci_u32_e64 v14, s5, 0, v6, s5
	flat_load_u16 v4, v[13:14] offset:1536
.LBB875_16:
	s_or_b32 exec_lo, exec_lo, s6
	v_or_b32_e32 v17, 0x400, v0
                                        ; implicit-def: $vgpr13
	s_delay_alu instid0(VALU_DEP_1) | instskip(NEXT) | instid1(VALU_DEP_1)
	v_cmp_gt_u32_e64 s5, s26, v17
	s_and_saveexec_b32 s7, s5
	s_cbranch_execz .LBB875_18
; %bb.17:
	v_lshlrev_b32_e32 v13, 1, v0
	s_delay_alu instid0(VALU_DEP_1) | instskip(NEXT) | instid1(VALU_DEP_1)
	v_add_co_u32 v13, s6, v8, v13
	v_add_co_ci_u32_e64 v14, s6, 0, v6, s6
	flat_load_u16 v13, v[13:14] offset:2048
.LBB875_18:
	s_or_b32 exec_lo, exec_lo, s7
	v_or_b32_e32 v18, 0x500, v0
                                        ; implicit-def: $vgpr14
	s_delay_alu instid0(VALU_DEP_1) | instskip(NEXT) | instid1(VALU_DEP_1)
	v_cmp_gt_u32_e64 s6, s26, v18
	s_and_saveexec_b32 s8, s6
	s_cbranch_execz .LBB875_20
; %bb.19:
	v_lshlrev_b32_e32 v14, 1, v0
	s_delay_alu instid0(VALU_DEP_1) | instskip(NEXT) | instid1(VALU_DEP_1)
	v_add_co_u32 v14, s7, v8, v14
	v_add_co_ci_u32_e64 v15, s7, 0, v6, s7
	flat_load_u16 v14, v[14:15] offset:2560
.LBB875_20:
	s_or_b32 exec_lo, exec_lo, s8
	v_or_b32_e32 v19, 0x600, v0
                                        ; implicit-def: $vgpr15
	s_delay_alu instid0(VALU_DEP_1) | instskip(NEXT) | instid1(VALU_DEP_1)
	v_cmp_gt_u32_e64 s7, s26, v19
	s_and_saveexec_b32 s9, s7
	s_cbranch_execz .LBB875_22
; %bb.21:
	v_lshlrev_b32_e32 v15, 1, v0
	s_delay_alu instid0(VALU_DEP_1) | instskip(NEXT) | instid1(VALU_DEP_1)
	v_add_co_u32 v23, s8, v8, v15
	v_add_co_ci_u32_e64 v24, s8, 0, v6, s8
	flat_load_u16 v15, v[23:24] offset:3072
.LBB875_22:
	s_or_b32 exec_lo, exec_lo, s9
	v_or_b32_e32 v21, 0x700, v0
                                        ; implicit-def: $vgpr30
	s_delay_alu instid0(VALU_DEP_1) | instskip(NEXT) | instid1(VALU_DEP_1)
	v_cmp_gt_u32_e64 s8, s26, v21
	s_and_saveexec_b32 s10, s8
	s_cbranch_execz .LBB875_24
; %bb.23:
	v_lshlrev_b32_e32 v23, 1, v0
	s_delay_alu instid0(VALU_DEP_1) | instskip(NEXT) | instid1(VALU_DEP_1)
	v_add_co_u32 v23, s9, v8, v23
	v_add_co_ci_u32_e64 v24, s9, 0, v6, s9
	flat_load_u16 v30, v[23:24] offset:3584
.LBB875_24:
	s_or_b32 exec_lo, exec_lo, s10
	v_or_b32_e32 v23, 0x800, v0
                                        ; implicit-def: $vgpr31
	s_delay_alu instid0(VALU_DEP_1) | instskip(NEXT) | instid1(VALU_DEP_1)
	v_cmp_gt_u32_e64 s9, s26, v23
	s_and_saveexec_b32 s11, s9
	s_cbranch_execz .LBB875_26
; %bb.25:
	v_lshlrev_b32_e32 v24, 1, v23
	s_delay_alu instid0(VALU_DEP_1) | instskip(NEXT) | instid1(VALU_DEP_1)
	v_add_co_u32 v24, s10, v8, v24
	v_add_co_ci_u32_e64 v25, s10, 0, v6, s10
	flat_load_u16 v31, v[24:25]
.LBB875_26:
	s_or_b32 exec_lo, exec_lo, s11
	v_or_b32_e32 v24, 0x900, v0
                                        ; implicit-def: $vgpr32
	s_delay_alu instid0(VALU_DEP_1) | instskip(NEXT) | instid1(VALU_DEP_1)
	v_cmp_gt_u32_e64 s10, s26, v24
	s_and_saveexec_b32 s12, s10
	s_cbranch_execz .LBB875_28
; %bb.27:
	v_lshlrev_b32_e32 v25, 1, v24
	s_delay_alu instid0(VALU_DEP_1) | instskip(NEXT) | instid1(VALU_DEP_1)
	v_add_co_u32 v25, s11, v8, v25
	v_add_co_ci_u32_e64 v26, s11, 0, v6, s11
	flat_load_u16 v32, v[25:26]
.LBB875_28:
	s_or_b32 exec_lo, exec_lo, s12
	v_or_b32_e32 v25, 0xa00, v0
                                        ; implicit-def: $vgpr33
	s_delay_alu instid0(VALU_DEP_1) | instskip(NEXT) | instid1(VALU_DEP_1)
	v_cmp_gt_u32_e64 s11, s26, v25
	s_and_saveexec_b32 s13, s11
	s_cbranch_execz .LBB875_30
; %bb.29:
	v_lshlrev_b32_e32 v26, 1, v25
	s_delay_alu instid0(VALU_DEP_1) | instskip(NEXT) | instid1(VALU_DEP_1)
	v_add_co_u32 v26, s12, v8, v26
	v_add_co_ci_u32_e64 v27, s12, 0, v6, s12
	flat_load_u16 v33, v[26:27]
.LBB875_30:
	s_or_b32 exec_lo, exec_lo, s13
	v_or_b32_e32 v26, 0xb00, v0
                                        ; implicit-def: $vgpr34
	s_delay_alu instid0(VALU_DEP_1) | instskip(NEXT) | instid1(VALU_DEP_1)
	v_cmp_gt_u32_e64 s12, s26, v26
	s_and_saveexec_b32 s14, s12
	s_cbranch_execz .LBB875_32
; %bb.31:
	v_lshlrev_b32_e32 v27, 1, v26
	s_delay_alu instid0(VALU_DEP_1) | instskip(NEXT) | instid1(VALU_DEP_1)
	v_add_co_u32 v27, s13, v8, v27
	v_add_co_ci_u32_e64 v28, s13, 0, v6, s13
	flat_load_u16 v34, v[27:28]
.LBB875_32:
	s_or_b32 exec_lo, exec_lo, s14
	v_or_b32_e32 v27, 0xc00, v0
                                        ; implicit-def: $vgpr35
	s_delay_alu instid0(VALU_DEP_1) | instskip(NEXT) | instid1(VALU_DEP_1)
	v_cmp_gt_u32_e64 s13, s26, v27
	s_and_saveexec_b32 s15, s13
	s_cbranch_execz .LBB875_34
; %bb.33:
	v_lshlrev_b32_e32 v28, 1, v27
	s_delay_alu instid0(VALU_DEP_1) | instskip(NEXT) | instid1(VALU_DEP_1)
	v_add_co_u32 v28, s14, v8, v28
	v_add_co_ci_u32_e64 v29, s14, 0, v6, s14
	flat_load_u16 v35, v[28:29]
.LBB875_34:
	s_or_b32 exec_lo, exec_lo, s15
	v_or_b32_e32 v28, 0xd00, v0
                                        ; implicit-def: $vgpr36
	s_delay_alu instid0(VALU_DEP_1) | instskip(NEXT) | instid1(VALU_DEP_1)
	v_cmp_gt_u32_e64 s14, s26, v28
	s_and_saveexec_b32 s16, s14
	s_cbranch_execz .LBB875_36
; %bb.35:
	v_lshlrev_b32_e32 v29, 1, v28
	s_delay_alu instid0(VALU_DEP_1) | instskip(NEXT) | instid1(VALU_DEP_1)
	v_add_co_u32 v36, s15, v8, v29
	v_add_co_ci_u32_e64 v37, s15, 0, v6, s15
	flat_load_u16 v36, v[36:37]
.LBB875_36:
	s_or_b32 exec_lo, exec_lo, s16
	v_or_b32_e32 v29, 0xe00, v0
                                        ; implicit-def: $vgpr37
	s_delay_alu instid0(VALU_DEP_1) | instskip(NEXT) | instid1(VALU_DEP_1)
	v_cmp_gt_u32_e64 s15, s26, v29
	s_and_saveexec_b32 s27, s15
	s_cbranch_execz .LBB875_38
; %bb.37:
	v_lshlrev_b32_e32 v37, 1, v29
	s_delay_alu instid0(VALU_DEP_1) | instskip(NEXT) | instid1(VALU_DEP_1)
	v_add_co_u32 v37, s16, v8, v37
	v_add_co_ci_u32_e64 v38, s16, 0, v6, s16
	flat_load_u16 v37, v[37:38]
.LBB875_38:
	s_or_b32 exec_lo, exec_lo, s27
	v_lshlrev_b32_e32 v38, 1, v0
	s_waitcnt vmcnt(0) lgkmcnt(0)
	ds_store_b16 v38, v1
	ds_store_b16 v38, v2 offset:512
	ds_store_b16 v38, v3 offset:1024
	;; [unrolled: 1-line block ×7, first 2 shown]
	v_mad_u32_u24 v30, v0, 28, v38
	ds_store_b16 v38, v31 offset:4096
	ds_store_b16 v38, v32 offset:4608
	;; [unrolled: 1-line block ×7, first 2 shown]
	s_waitcnt lgkmcnt(0)
	s_barrier
	buffer_gl0_inv
	ds_load_u16 v56, v30
	ds_load_b128 v[1:4], v30 offset:2
	ds_load_b96 v[13:15], v30 offset:18
	s_waitcnt lgkmcnt(0)
	s_barrier
	buffer_gl0_inv
                                        ; implicit-def: $vgpr31
	s_and_saveexec_b32 s16, vcc_lo
	s_cbranch_execz .LBB875_52
; %bb.39:
	v_lshlrev_b32_e32 v31, 2, v0
	s_delay_alu instid0(VALU_DEP_1)
	v_add_co_u32 v31, vcc_lo, v10, v31
	v_add_co_ci_u32_e32 v32, vcc_lo, 0, v12, vcc_lo
	flat_load_b32 v31, v[31:32]
	s_or_b32 exec_lo, exec_lo, s16
                                        ; implicit-def: $vgpr32
	s_and_saveexec_b32 s16, s0
	s_cbranch_execnz .LBB875_53
.LBB875_40:
	s_or_b32 exec_lo, exec_lo, s16
                                        ; implicit-def: $vgpr33
	s_and_saveexec_b32 s0, s1
	s_cbranch_execz .LBB875_54
.LBB875_41:
	v_lshlrev_b32_e32 v33, 2, v0
	s_delay_alu instid0(VALU_DEP_1)
	v_add_co_u32 v33, vcc_lo, v10, v33
	v_add_co_ci_u32_e32 v34, vcc_lo, 0, v12, vcc_lo
	flat_load_b32 v33, v[33:34] offset:2048
	s_or_b32 exec_lo, exec_lo, s0
                                        ; implicit-def: $vgpr34
	s_and_saveexec_b32 s0, s4
	s_cbranch_execnz .LBB875_55
.LBB875_42:
	s_or_b32 exec_lo, exec_lo, s0
                                        ; implicit-def: $vgpr35
	s_and_saveexec_b32 s0, s5
	s_cbranch_execz .LBB875_56
.LBB875_43:
	v_lshlrev_b32_e32 v17, 2, v17
	s_delay_alu instid0(VALU_DEP_1)
	v_add_co_u32 v35, vcc_lo, v10, v17
	v_add_co_ci_u32_e32 v36, vcc_lo, 0, v12, vcc_lo
	flat_load_b32 v35, v[35:36]
	s_or_b32 exec_lo, exec_lo, s0
                                        ; implicit-def: $vgpr17
	s_and_saveexec_b32 s0, s6
	s_cbranch_execnz .LBB875_57
.LBB875_44:
	s_or_b32 exec_lo, exec_lo, s0
                                        ; implicit-def: $vgpr18
	s_and_saveexec_b32 s0, s7
	s_cbranch_execz .LBB875_58
.LBB875_45:
	v_lshlrev_b32_e32 v18, 2, v19
	s_delay_alu instid0(VALU_DEP_1)
	v_add_co_u32 v18, vcc_lo, v10, v18
	v_add_co_ci_u32_e32 v19, vcc_lo, 0, v12, vcc_lo
	flat_load_b32 v18, v[18:19]
	s_or_b32 exec_lo, exec_lo, s0
                                        ; implicit-def: $vgpr36
	s_and_saveexec_b32 s0, s8
	s_cbranch_execnz .LBB875_59
.LBB875_46:
	s_or_b32 exec_lo, exec_lo, s0
                                        ; implicit-def: $vgpr21
	s_and_saveexec_b32 s0, s9
	s_cbranch_execz .LBB875_60
.LBB875_47:
	v_lshlrev_b32_e32 v19, 2, v23
	s_delay_alu instid0(VALU_DEP_1)
	v_add_co_u32 v37, vcc_lo, v10, v19
	v_add_co_ci_u32_e32 v38, vcc_lo, 0, v12, vcc_lo
	flat_load_b32 v21, v[37:38]
	s_or_b32 exec_lo, exec_lo, s0
                                        ; implicit-def: $vgpr23
	s_and_saveexec_b32 s0, s10
	s_cbranch_execnz .LBB875_61
.LBB875_48:
	s_or_b32 exec_lo, exec_lo, s0
                                        ; implicit-def: $vgpr24
	s_and_saveexec_b32 s0, s11
	s_cbranch_execz .LBB875_62
.LBB875_49:
	v_lshlrev_b32_e32 v19, 2, v25
	s_delay_alu instid0(VALU_DEP_1)
	v_add_co_u32 v24, vcc_lo, v10, v19
	v_add_co_ci_u32_e32 v25, vcc_lo, 0, v12, vcc_lo
	flat_load_b32 v24, v[24:25]
	s_or_b32 exec_lo, exec_lo, s0
                                        ; implicit-def: $vgpr37
	s_and_saveexec_b32 s0, s12
	s_cbranch_execnz .LBB875_63
.LBB875_50:
	s_or_b32 exec_lo, exec_lo, s0
                                        ; implicit-def: $vgpr39
	s_and_saveexec_b32 s0, s13
	s_cbranch_execz .LBB875_64
.LBB875_51:
	v_lshlrev_b32_e32 v19, 2, v27
	s_delay_alu instid0(VALU_DEP_1)
	v_add_co_u32 v25, vcc_lo, v10, v19
	v_add_co_ci_u32_e32 v26, vcc_lo, 0, v12, vcc_lo
	flat_load_b32 v39, v[25:26]
	s_or_b32 exec_lo, exec_lo, s0
                                        ; implicit-def: $vgpr40
	s_and_saveexec_b32 s0, s14
	s_cbranch_execz .LBB875_66
	s_branch .LBB875_65
.LBB875_52:
	s_or_b32 exec_lo, exec_lo, s16
                                        ; implicit-def: $vgpr32
	s_and_saveexec_b32 s16, s0
	s_cbranch_execz .LBB875_40
.LBB875_53:
	v_lshlrev_b32_e32 v32, 2, v0
	s_delay_alu instid0(VALU_DEP_1)
	v_add_co_u32 v32, vcc_lo, v10, v32
	v_add_co_ci_u32_e32 v33, vcc_lo, 0, v12, vcc_lo
	flat_load_b32 v32, v[32:33] offset:1024
	s_or_b32 exec_lo, exec_lo, s16
                                        ; implicit-def: $vgpr33
	s_and_saveexec_b32 s0, s1
	s_cbranch_execnz .LBB875_41
.LBB875_54:
	s_or_b32 exec_lo, exec_lo, s0
                                        ; implicit-def: $vgpr34
	s_and_saveexec_b32 s0, s4
	s_cbranch_execz .LBB875_42
.LBB875_55:
	v_lshlrev_b32_e32 v34, 2, v0
	s_delay_alu instid0(VALU_DEP_1)
	v_add_co_u32 v34, vcc_lo, v10, v34
	v_add_co_ci_u32_e32 v35, vcc_lo, 0, v12, vcc_lo
	flat_load_b32 v34, v[34:35] offset:3072
	s_or_b32 exec_lo, exec_lo, s0
                                        ; implicit-def: $vgpr35
	s_and_saveexec_b32 s0, s5
	s_cbranch_execnz .LBB875_43
.LBB875_56:
	s_or_b32 exec_lo, exec_lo, s0
                                        ; implicit-def: $vgpr17
	s_and_saveexec_b32 s0, s6
	s_cbranch_execz .LBB875_44
.LBB875_57:
	v_lshlrev_b32_e32 v17, 2, v18
	s_delay_alu instid0(VALU_DEP_1)
	v_add_co_u32 v17, vcc_lo, v10, v17
	v_add_co_ci_u32_e32 v18, vcc_lo, 0, v12, vcc_lo
	flat_load_b32 v17, v[17:18]
	s_or_b32 exec_lo, exec_lo, s0
                                        ; implicit-def: $vgpr18
	s_and_saveexec_b32 s0, s7
	s_cbranch_execnz .LBB875_45
.LBB875_58:
	s_or_b32 exec_lo, exec_lo, s0
                                        ; implicit-def: $vgpr36
	s_and_saveexec_b32 s0, s8
	s_cbranch_execz .LBB875_46
.LBB875_59:
	v_lshlrev_b32_e32 v19, 2, v21
	s_delay_alu instid0(VALU_DEP_1)
	v_add_co_u32 v36, vcc_lo, v10, v19
	v_add_co_ci_u32_e32 v37, vcc_lo, 0, v12, vcc_lo
	flat_load_b32 v36, v[36:37]
	s_or_b32 exec_lo, exec_lo, s0
                                        ; implicit-def: $vgpr21
	s_and_saveexec_b32 s0, s9
	s_cbranch_execnz .LBB875_47
.LBB875_60:
	s_or_b32 exec_lo, exec_lo, s0
                                        ; implicit-def: $vgpr23
	s_and_saveexec_b32 s0, s10
	s_cbranch_execz .LBB875_48
.LBB875_61:
	v_lshlrev_b32_e32 v19, 2, v24
	s_delay_alu instid0(VALU_DEP_1)
	v_add_co_u32 v23, vcc_lo, v10, v19
	v_add_co_ci_u32_e32 v24, vcc_lo, 0, v12, vcc_lo
	flat_load_b32 v23, v[23:24]
	s_or_b32 exec_lo, exec_lo, s0
                                        ; implicit-def: $vgpr24
	s_and_saveexec_b32 s0, s11
	s_cbranch_execnz .LBB875_49
.LBB875_62:
	s_or_b32 exec_lo, exec_lo, s0
                                        ; implicit-def: $vgpr37
	s_and_saveexec_b32 s0, s12
	s_cbranch_execz .LBB875_50
.LBB875_63:
	v_lshlrev_b32_e32 v19, 2, v26
	s_delay_alu instid0(VALU_DEP_1)
	v_add_co_u32 v25, vcc_lo, v10, v19
	v_add_co_ci_u32_e32 v26, vcc_lo, 0, v12, vcc_lo
	flat_load_b32 v37, v[25:26]
	s_or_b32 exec_lo, exec_lo, s0
                                        ; implicit-def: $vgpr39
	s_and_saveexec_b32 s0, s13
	s_cbranch_execnz .LBB875_51
.LBB875_64:
	s_or_b32 exec_lo, exec_lo, s0
                                        ; implicit-def: $vgpr40
	s_and_saveexec_b32 s0, s14
	s_cbranch_execz .LBB875_66
.LBB875_65:
	v_lshlrev_b32_e32 v19, 2, v28
	s_delay_alu instid0(VALU_DEP_1)
	v_add_co_u32 v25, vcc_lo, v10, v19
	v_add_co_ci_u32_e32 v26, vcc_lo, 0, v12, vcc_lo
	flat_load_b32 v40, v[25:26]
.LBB875_66:
	s_or_b32 exec_lo, exec_lo, s0
	v_mul_u32_u24_e32 v19, 15, v0
                                        ; implicit-def: $vgpr41
	s_and_saveexec_b32 s0, s15
	s_cbranch_execz .LBB875_68
; %bb.67:
	v_lshlrev_b32_e32 v25, 2, v29
	s_delay_alu instid0(VALU_DEP_1)
	v_add_co_u32 v25, vcc_lo, v10, v25
	v_add_co_ci_u32_e32 v26, vcc_lo, 0, v12, vcc_lo
	flat_load_b32 v41, v[25:26]
.LBB875_68:
	s_or_b32 exec_lo, exec_lo, s0
	s_delay_alu instid0(VALU_DEP_1)
	v_add_nc_u32_e32 v27, 1, v19
	v_add_nc_u32_e32 v29, 3, v19
	;; [unrolled: 1-line block ×3, first 2 shown]
	v_mad_i32_i24 v10, 0xffffffe6, v0, v30
	v_add_nc_u32_e32 v38, 7, v19
	v_add_nc_u32_e32 v30, 9, v19
	v_add_nc_u32_e32 v28, 11, v19
	v_add_nc_u32_e32 v25, 13, v19
	s_waitcnt vmcnt(0) lgkmcnt(0)
	ds_store_2addr_stride64_b32 v10, v31, v32 offset1:4
	ds_store_2addr_stride64_b32 v10, v33, v34 offset0:8 offset1:12
	ds_store_2addr_stride64_b32 v10, v35, v17 offset0:16 offset1:20
	;; [unrolled: 1-line block ×6, first 2 shown]
	ds_store_b32 v10, v41 offset:14336
	s_waitcnt lgkmcnt(0)
	s_barrier
.LBB875_69:
	v_lshlrev_b32_e32 v10, 2, v19
	buffer_gl0_inv
	v_lshlrev_b32_e32 v12, 2, v29
	v_lshlrev_b32_e32 v17, 2, v26
	;; [unrolled: 1-line block ×3, first 2 shown]
	ds_load_2addr_b32 v[48:49], v10 offset1:2
	ds_load_2addr_b32 v[46:47], v10 offset0:4 offset1:6
	ds_load_2addr_b32 v[32:33], v10 offset0:8 offset1:10
	;; [unrolled: 1-line block ×3, first 2 shown]
	v_lshlrev_b32_e32 v10, 2, v27
	v_lshlrev_b32_e32 v23, 2, v30
	;; [unrolled: 1-line block ×4, first 2 shown]
	ds_load_b32 v73, v10
	ds_load_b32 v72, v12
	;; [unrolled: 1-line block ×7, first 2 shown]
	s_cmp_eq_u64 s[24:25], 0
	s_waitcnt lgkmcnt(0)
	s_cselect_b32 s27, -1, 0
	s_cmp_lg_u64 s[24:25], 0
	s_barrier
	s_cselect_b32 s41, -1, 0
	s_and_b32 vcc_lo, exec_lo, s40
	buffer_gl0_inv
	s_cbranch_vccz .LBB875_75
; %bb.70:
	s_and_b32 vcc_lo, exec_lo, s41
	s_cbranch_vccz .LBB875_135
; %bb.71:
	v_add_co_u32 v23, vcc_lo, -2, v8
	v_add_co_ci_u32_e32 v24, vcc_lo, -1, v6, vcc_lo
	v_lshrrev_b32_e32 v21, 16, v14
	v_lshrrev_b32_e32 v17, 16, v15
	v_lshlrev_b32_e32 v12, 1, v0
	flat_load_u16 v10, v[23:24]
	v_lshrrev_b32_e32 v23, 16, v13
	v_lshrrev_b32_e32 v24, 16, v4
	v_cmp_ne_u16_e64 s0, v21, v15
	v_cmp_ne_u16_e64 s1, v14, v21
	v_lshrrev_b32_e32 v21, 16, v3
	v_cmp_ne_u16_e64 s4, v23, v14
	v_cmp_ne_u16_e64 s5, v13, v23
	;; [unrolled: 1-line block ×3, first 2 shown]
	v_lshrrev_b32_e32 v23, 16, v2
	v_cmp_ne_u16_e64 s7, v4, v24
	v_lshrrev_b32_e32 v24, 16, v1
	v_cmp_ne_u16_e32 vcc_lo, v15, v17
	v_cmp_ne_u16_e64 s8, v21, v4
	v_cmp_ne_u16_e64 s9, v3, v21
	;; [unrolled: 1-line block ×7, first 2 shown]
	s_mov_b32 s16, -1
	ds_store_b16 v12, v17
	s_waitcnt vmcnt(0) lgkmcnt(0)
	s_barrier
	buffer_gl0_inv
	s_and_saveexec_b32 s15, s3
	s_cbranch_execz .LBB875_73
; %bb.72:
	v_add_nc_u32_e32 v10, -2, v12
	ds_load_u16 v10, v10
.LBB875_73:
	s_or_b32 exec_lo, exec_lo, s15
	v_cndmask_b32_e64 v55, 0, 1, vcc_lo
	v_cndmask_b32_e64 v50, 0, 1, s0
	v_cndmask_b32_e64 v51, 0, 1, s1
	;; [unrolled: 1-line block ×13, first 2 shown]
	s_waitcnt lgkmcnt(0)
	v_cmp_ne_u16_e64 s0, v10, v56
.LBB875_74:
                                        ; implicit-def: $sgpr7
	s_branch .LBB875_76
.LBB875_75:
	s_mov_b32 s16, 0
                                        ; implicit-def: $sgpr0
                                        ; implicit-def: $vgpr55
                                        ; implicit-def: $vgpr50
                                        ; implicit-def: $vgpr51
                                        ; implicit-def: $vgpr52
                                        ; implicit-def: $vgpr53
                                        ; implicit-def: $vgpr54
                                        ; implicit-def: $vgpr57
                                        ; implicit-def: $vgpr58
                                        ; implicit-def: $vgpr59
                                        ; implicit-def: $vgpr60
                                        ; implicit-def: $vgpr61
                                        ; implicit-def: $vgpr62
                                        ; implicit-def: $vgpr63
                                        ; implicit-def: $vgpr64
                                        ; implicit-def: $sgpr7
	s_cbranch_execnz .LBB875_139
.LBB875_76:
	v_mov_b32_e32 v65, s7
	s_and_saveexec_b32 s1, s16
.LBB875_77:
	s_delay_alu instid0(VALU_DEP_2)
	v_cndmask_b32_e64 v65, 0, 1, s0
.LBB875_78:
	s_or_b32 exec_lo, exec_lo, s1
	s_delay_alu instid0(VALU_DEP_1)
	v_add3_u32 v5, v64, v65, v63
	v_cmp_eq_u32_e64 s13, 0, v64
	v_cmp_eq_u32_e64 s12, 0, v63
	v_cmp_eq_u32_e64 s11, 0, v62
	v_cmp_eq_u32_e64 s10, 0, v61
	v_add3_u32 v77, v5, v62, v61
	v_cmp_eq_u32_e64 s9, 0, v60
	v_cmp_eq_u32_e64 s8, 0, v59
	;; [unrolled: 1-line block ×9, first 2 shown]
	v_cmp_eq_u32_e32 vcc_lo, 0, v55
	v_mbcnt_lo_u32_b32 v74, -1, 0
	v_lshrrev_b32_e32 v75, 5, v0
	v_or_b32_e32 v76, 31, v0
	s_cmp_eq_u64 s[22:23], 0
	s_cselect_b32 s16, -1, 0
	s_cmp_lg_u32 s33, 0
	s_cbranch_scc0 .LBB875_104
; %bb.79:
	v_cndmask_b32_e64 v5, 0, v48, s13
	v_add3_u32 v6, v77, v60, v59
	v_and_b32_e32 v8, 15, v74
	s_delay_alu instid0(VALU_DEP_3) | instskip(NEXT) | instid1(VALU_DEP_3)
	v_add_nc_u32_e32 v5, v5, v73
	v_add3_u32 v6, v6, v58, v57
	s_delay_alu instid0(VALU_DEP_3) | instskip(NEXT) | instid1(VALU_DEP_3)
	v_cmp_lt_u32_e64 s14, 1, v8
	v_cndmask_b32_e64 v5, 0, v5, s12
	s_delay_alu instid0(VALU_DEP_3) | instskip(NEXT) | instid1(VALU_DEP_2)
	v_add3_u32 v6, v6, v54, v53
	v_add_nc_u32_e32 v5, v5, v49
	s_delay_alu instid0(VALU_DEP_2) | instskip(NEXT) | instid1(VALU_DEP_2)
	v_add3_u32 v6, v6, v52, v51
	v_cndmask_b32_e64 v5, 0, v5, s11
	s_delay_alu instid0(VALU_DEP_2) | instskip(NEXT) | instid1(VALU_DEP_2)
	v_add3_u32 v6, v6, v50, v55
	v_add_nc_u32_e32 v5, v5, v72
	s_delay_alu instid0(VALU_DEP_2) | instskip(NEXT) | instid1(VALU_DEP_2)
	v_mov_b32_dpp v9, v6 row_shr:1 row_mask:0xf bank_mask:0xf
	v_cndmask_b32_e64 v5, 0, v5, s10
	s_delay_alu instid0(VALU_DEP_1) | instskip(NEXT) | instid1(VALU_DEP_1)
	v_add_nc_u32_e32 v5, v5, v46
	v_cndmask_b32_e64 v5, 0, v5, s9
	s_delay_alu instid0(VALU_DEP_1) | instskip(NEXT) | instid1(VALU_DEP_1)
	v_add_nc_u32_e32 v5, v5, v71
	;; [unrolled: 3-line block ×10, first 2 shown]
	v_cndmask_b32_e32 v5, 0, v5, vcc_lo
	v_cmp_eq_u32_e32 vcc_lo, 0, v6
	s_delay_alu instid0(VALU_DEP_2) | instskip(NEXT) | instid1(VALU_DEP_1)
	v_add_nc_u32_e32 v5, v5, v19
	v_mov_b32_dpp v7, v5 row_shr:1 row_mask:0xf bank_mask:0xf
	s_delay_alu instid0(VALU_DEP_1) | instskip(SKIP_2) | instid1(VALU_DEP_1)
	v_cndmask_b32_e32 v7, 0, v7, vcc_lo
	v_cmp_eq_u32_e32 vcc_lo, 0, v8
	v_cndmask_b32_e64 v9, v9, 0, vcc_lo
	v_add_nc_u32_e32 v6, v9, v6
	s_delay_alu instid0(VALU_DEP_4) | instskip(NEXT) | instid1(VALU_DEP_2)
	v_cndmask_b32_e64 v7, v7, 0, vcc_lo
	v_cmp_eq_u32_e32 vcc_lo, 0, v6
	s_delay_alu instid0(VALU_DEP_2) | instskip(SKIP_2) | instid1(VALU_DEP_2)
	v_add_nc_u32_e32 v5, v7, v5
	v_mov_b32_dpp v7, v6 row_shr:2 row_mask:0xf bank_mask:0xf
	s_and_b32 vcc_lo, s14, vcc_lo
	v_mov_b32_dpp v9, v5 row_shr:2 row_mask:0xf bank_mask:0xf
	s_delay_alu instid0(VALU_DEP_2) | instskip(SKIP_1) | instid1(VALU_DEP_2)
	v_cndmask_b32_e64 v7, 0, v7, s14
	v_cmp_lt_u32_e64 s14, 3, v8
	v_dual_cndmask_b32 v9, 0, v9 :: v_dual_add_nc_u32 v6, v6, v7
	s_delay_alu instid0(VALU_DEP_1) | instskip(NEXT) | instid1(VALU_DEP_2)
	v_add_nc_u32_e32 v5, v9, v5
	v_mov_b32_dpp v7, v6 row_shr:4 row_mask:0xf bank_mask:0xf
	v_cmp_eq_u32_e32 vcc_lo, 0, v6
	s_delay_alu instid0(VALU_DEP_3) | instskip(NEXT) | instid1(VALU_DEP_3)
	v_mov_b32_dpp v9, v5 row_shr:4 row_mask:0xf bank_mask:0xf
	v_cndmask_b32_e64 v7, 0, v7, s14
	s_and_b32 vcc_lo, s14, vcc_lo
	v_cmp_lt_u32_e64 s14, 7, v8
	s_delay_alu instid0(VALU_DEP_2) | instskip(NEXT) | instid1(VALU_DEP_1)
	v_dual_cndmask_b32 v9, 0, v9 :: v_dual_add_nc_u32 v6, v7, v6
	v_add_nc_u32_e32 v5, v5, v9
	s_delay_alu instid0(VALU_DEP_2) | instskip(SKIP_2) | instid1(VALU_DEP_4)
	v_cmp_eq_u32_e32 vcc_lo, 0, v6
	v_mov_b32_dpp v7, v6 row_shr:8 row_mask:0xf bank_mask:0xf
	v_bfe_i32 v9, v74, 4, 1
	v_mov_b32_dpp v8, v5 row_shr:8 row_mask:0xf bank_mask:0xf
	s_and_b32 vcc_lo, s14, vcc_lo
	s_delay_alu instid0(VALU_DEP_3) | instskip(SKIP_1) | instid1(VALU_DEP_2)
	v_cndmask_b32_e64 v7, 0, v7, s14
	s_mov_b32 s14, exec_lo
	v_cndmask_b32_e32 v8, 0, v8, vcc_lo
	s_delay_alu instid0(VALU_DEP_1) | instskip(NEXT) | instid1(VALU_DEP_3)
	v_add_nc_u32_e32 v8, v8, v5
	v_add_nc_u32_e32 v5, v7, v6
	ds_swizzle_b32 v6, v8 offset:swizzle(BROADCAST,32,15)
	ds_swizzle_b32 v7, v5 offset:swizzle(BROADCAST,32,15)
	v_cmp_eq_u32_e32 vcc_lo, 0, v5
	s_waitcnt lgkmcnt(0)
	v_dual_cndmask_b32 v6, 0, v6 :: v_dual_and_b32 v7, v9, v7
	s_delay_alu instid0(VALU_DEP_1) | instskip(NEXT) | instid1(VALU_DEP_2)
	v_and_b32_e32 v6, v9, v6
	v_add_nc_u32_e32 v5, v7, v5
	v_lshlrev_b32_e32 v7, 3, v75
	s_delay_alu instid0(VALU_DEP_3)
	v_add_nc_u32_e32 v6, v6, v8
	v_cmpx_eq_u32_e64 v76, v0
	s_cbranch_execz .LBB875_81
; %bb.80:
	ds_store_b64 v7, v[5:6] offset:1040
.LBB875_81:
	s_or_b32 exec_lo, exec_lo, s14
	s_delay_alu instid0(SALU_CYCLE_1)
	s_mov_b32 s15, exec_lo
	s_waitcnt lgkmcnt(0)
	s_barrier
	buffer_gl0_inv
	v_cmpx_gt_u32_e32 8, v0
	s_cbranch_execz .LBB875_83
; %bb.82:
	v_lshlrev_b32_e32 v10, 3, v0
	v_and_b32_e32 v12, 7, v74
	ds_load_b64 v[8:9], v10 offset:1040
	v_cmp_lt_u32_e64 s14, 1, v12
	s_waitcnt lgkmcnt(0)
	v_mov_b32_dpp v11, v9 row_shr:1 row_mask:0xf bank_mask:0xf
	v_cmp_eq_u32_e32 vcc_lo, 0, v8
	v_mov_b32_dpp v16, v8 row_shr:1 row_mask:0xf bank_mask:0xf
	s_delay_alu instid0(VALU_DEP_3) | instskip(SKIP_1) | instid1(VALU_DEP_3)
	v_cndmask_b32_e32 v11, 0, v11, vcc_lo
	v_cmp_eq_u32_e32 vcc_lo, 0, v12
	v_cndmask_b32_e64 v16, v16, 0, vcc_lo
	s_delay_alu instid0(VALU_DEP_3) | instskip(NEXT) | instid1(VALU_DEP_2)
	v_cndmask_b32_e64 v11, v11, 0, vcc_lo
	v_add_nc_u32_e32 v8, v16, v8
	s_delay_alu instid0(VALU_DEP_1) | instskip(SKIP_1) | instid1(VALU_DEP_3)
	v_cmp_eq_u32_e32 vcc_lo, 0, v8
	s_and_b32 vcc_lo, s14, vcc_lo
	v_add_nc_u32_e32 v9, v11, v9
	v_mov_b32_dpp v11, v8 row_shr:2 row_mask:0xf bank_mask:0xf
	s_delay_alu instid0(VALU_DEP_2) | instskip(NEXT) | instid1(VALU_DEP_2)
	v_mov_b32_dpp v16, v9 row_shr:2 row_mask:0xf bank_mask:0xf
	v_cndmask_b32_e64 v11, 0, v11, s14
	v_cmp_lt_u32_e64 s14, 3, v12
	s_delay_alu instid0(VALU_DEP_3) | instskip(NEXT) | instid1(VALU_DEP_3)
	v_cndmask_b32_e32 v16, 0, v16, vcc_lo
	v_add_nc_u32_e32 v8, v11, v8
	s_delay_alu instid0(VALU_DEP_1) | instskip(SKIP_3) | instid1(VALU_DEP_2)
	v_cmp_eq_u32_e32 vcc_lo, 0, v8
	v_mov_b32_dpp v11, v8 row_shr:4 row_mask:0xf bank_mask:0xf
	s_and_b32 vcc_lo, s14, vcc_lo
	v_add_nc_u32_e32 v9, v16, v9
	v_cndmask_b32_e64 v11, 0, v11, s14
	s_delay_alu instid0(VALU_DEP_2) | instskip(NEXT) | instid1(VALU_DEP_2)
	v_mov_b32_dpp v12, v9 row_shr:4 row_mask:0xf bank_mask:0xf
	v_add_nc_u32_e32 v8, v11, v8
	s_delay_alu instid0(VALU_DEP_2) | instskip(NEXT) | instid1(VALU_DEP_1)
	v_cndmask_b32_e32 v12, 0, v12, vcc_lo
	v_add_nc_u32_e32 v9, v12, v9
	ds_store_b64 v10, v[8:9] offset:1040
.LBB875_83:
	s_or_b32 exec_lo, exec_lo, s15
	v_cmp_gt_u32_e32 vcc_lo, 32, v0
	v_dual_mov_b32 v16, 0 :: v_dual_mov_b32 v17, 0
	s_mov_b32 s15, exec_lo
	s_waitcnt lgkmcnt(0)
	s_barrier
	buffer_gl0_inv
	v_cmpx_lt_u32_e32 31, v0
	s_cbranch_execz .LBB875_85
; %bb.84:
	ds_load_b64 v[16:17], v7 offset:1032
	v_cmp_eq_u32_e64 s14, 0, v5
	s_waitcnt lgkmcnt(0)
	s_delay_alu instid0(VALU_DEP_1) | instskip(SKIP_1) | instid1(VALU_DEP_2)
	v_cndmask_b32_e64 v7, 0, v17, s14
	v_add_nc_u32_e32 v5, v16, v5
	v_add_nc_u32_e32 v6, v7, v6
.LBB875_85:
	s_or_b32 exec_lo, exec_lo, s15
	v_add_nc_u32_e32 v7, -1, v74
	s_delay_alu instid0(VALU_DEP_1) | instskip(NEXT) | instid1(VALU_DEP_1)
	v_cmp_gt_i32_e64 s14, 0, v7
	v_cndmask_b32_e64 v7, v7, v74, s14
	v_cmp_eq_u32_e64 s14, 0, v74
	s_delay_alu instid0(VALU_DEP_2)
	v_lshlrev_b32_e32 v7, 2, v7
	ds_bpermute_b32 v24, v7, v5
	ds_bpermute_b32 v25, v7, v6
	s_and_saveexec_b32 s22, vcc_lo
	s_cbranch_execz .LBB875_103
; %bb.86:
	v_mov_b32_e32 v8, 0
	ds_load_b64 v[5:6], v8 offset:1096
	s_waitcnt lgkmcnt(0)
	v_readfirstlane_b32 s23, v6
	s_and_saveexec_b32 s15, s14
	s_cbranch_execz .LBB875_88
; %bb.87:
	s_add_i32 s24, s33, 32
	s_mov_b32 s25, 0
	v_mov_b32_e32 v7, 1
	s_lshl_b64 s[36:37], s[24:25], 4
	s_mov_b32 s40, s25
	s_add_u32 s36, s20, s36
	s_addc_u32 s37, s21, s37
	s_and_b32 s41, s23, 0xff000000
	s_and_b32 s43, s23, 0xff0000
	s_mov_b32 s42, s25
	v_dual_mov_b32 v9, s36 :: v_dual_mov_b32 v10, s37
	s_or_b64 s[40:41], s[42:43], s[40:41]
	s_and_b32 s43, s23, 0xff00
	s_delay_alu instid0(SALU_CYCLE_1) | instskip(SKIP_1) | instid1(SALU_CYCLE_1)
	s_or_b64 s[40:41], s[40:41], s[42:43]
	s_and_b32 s43, s23, 0xff
	s_or_b64 s[24:25], s[40:41], s[42:43]
	s_delay_alu instid0(SALU_CYCLE_1)
	v_mov_b32_e32 v6, s25
	;;#ASMSTART
	global_store_dwordx4 v[9:10], v[5:8] off	
s_waitcnt vmcnt(0)
	;;#ASMEND
.LBB875_88:
	s_or_b32 exec_lo, exec_lo, s15
	v_xad_u32 v20, v74, -1, s33
	s_mov_b32 s24, 0
	s_mov_b32 s15, exec_lo
	s_delay_alu instid0(VALU_DEP_1) | instskip(NEXT) | instid1(VALU_DEP_1)
	v_add_nc_u32_e32 v7, 32, v20
	v_lshlrev_b64 v[6:7], 4, v[7:8]
	s_delay_alu instid0(VALU_DEP_1) | instskip(NEXT) | instid1(VALU_DEP_2)
	v_add_co_u32 v6, vcc_lo, s20, v6
	v_add_co_ci_u32_e32 v7, vcc_lo, s21, v7, vcc_lo
	;;#ASMSTART
	global_load_dwordx4 v[9:12], v[6:7] off glc	
s_waitcnt vmcnt(0)
	;;#ASMEND
	v_and_b32_e32 v8, 0xff, v10
	v_and_b32_e32 v12, 0xff00, v10
	;; [unrolled: 1-line block ×3, first 2 shown]
	v_or3_b32 v9, v9, 0, 0
	v_and_b32_e32 v10, 0xff000000, v10
	s_delay_alu instid0(VALU_DEP_4) | instskip(SKIP_1) | instid1(VALU_DEP_4)
	v_or3_b32 v8, 0, v8, v12
	v_and_b32_e32 v12, 0xff, v11
	v_or3_b32 v9, v9, 0, 0
	s_delay_alu instid0(VALU_DEP_3) | instskip(NEXT) | instid1(VALU_DEP_3)
	v_or3_b32 v10, v8, v21, v10
	v_cmpx_eq_u16_e32 0, v12
	s_cbranch_execz .LBB875_91
.LBB875_89:                             ; =>This Inner Loop Header: Depth=1
	;;#ASMSTART
	global_load_dwordx4 v[9:12], v[6:7] off glc	
s_waitcnt vmcnt(0)
	;;#ASMEND
	v_and_b32_e32 v8, 0xff, v11
	s_delay_alu instid0(VALU_DEP_1) | instskip(SKIP_1) | instid1(SALU_CYCLE_1)
	v_cmp_ne_u16_e32 vcc_lo, 0, v8
	s_or_b32 s24, vcc_lo, s24
	s_and_not1_b32 exec_lo, exec_lo, s24
	s_cbranch_execnz .LBB875_89
; %bb.90:
	s_or_b32 exec_lo, exec_lo, s24
.LBB875_91:
	s_delay_alu instid0(SALU_CYCLE_1)
	s_or_b32 exec_lo, exec_lo, s15
	v_cmp_ne_u32_e32 vcc_lo, 31, v74
	v_and_b32_e32 v7, 0xff, v11
	v_lshlrev_b32_e64 v26, v74, -1
	v_add_nc_u32_e32 v28, 2, v74
	v_add_nc_u32_e32 v30, 4, v74
	v_add_co_ci_u32_e32 v6, vcc_lo, 0, v74, vcc_lo
	v_cmp_eq_u16_e32 vcc_lo, 2, v7
	v_add_nc_u32_e32 v34, 8, v74
	v_add_nc_u32_e32 v36, 16, v74
	v_and_or_b32 v12, vcc_lo, v26, 0x80000000
	v_cmp_gt_u32_e32 vcc_lo, 30, v74
	s_delay_alu instid0(VALU_DEP_2) | instskip(SKIP_2) | instid1(VALU_DEP_3)
	v_ctz_i32_b32_e32 v12, v12
	v_cndmask_b32_e64 v21, 0, 1, vcc_lo
	v_cmp_eq_u32_e32 vcc_lo, 0, v9
	v_cmp_lt_u32_e64 s15, v74, v12
	s_delay_alu instid0(VALU_DEP_3) | instskip(NEXT) | instid1(VALU_DEP_2)
	v_lshlrev_b32_e32 v21, 1, v21
	s_and_b32 vcc_lo, s15, vcc_lo
	v_lshlrev_b32_e32 v6, 2, v6
	s_delay_alu instid0(VALU_DEP_2)
	v_add_lshl_u32 v27, v21, v74, 2
	ds_bpermute_b32 v7, v6, v10
	s_waitcnt lgkmcnt(0)
	v_cndmask_b32_e32 v7, 0, v7, vcc_lo
	ds_bpermute_b32 v8, v6, v9
	v_cmp_gt_u32_e32 vcc_lo, 28, v74
	v_add_nc_u32_e32 v7, v7, v10
	ds_bpermute_b32 v10, v27, v7
	s_waitcnt lgkmcnt(1)
	v_cndmask_b32_e64 v8, 0, v8, s15
	s_delay_alu instid0(VALU_DEP_1) | instskip(SKIP_1) | instid1(VALU_DEP_2)
	v_add_nc_u32_e32 v8, v8, v9
	v_cndmask_b32_e64 v9, 0, 1, vcc_lo
	v_cmp_eq_u32_e32 vcc_lo, 0, v8
	ds_bpermute_b32 v21, v27, v8
	s_waitcnt lgkmcnt(1)
	v_dual_cndmask_b32 v10, 0, v10 :: v_dual_lshlrev_b32 v9, 2, v9
	v_cmp_gt_u32_e32 vcc_lo, v28, v12
	s_delay_alu instid0(VALU_DEP_2) | instskip(NEXT) | instid1(VALU_DEP_3)
	v_add_lshl_u32 v29, v9, v74, 2
	v_cndmask_b32_e64 v10, v10, 0, vcc_lo
	s_delay_alu instid0(VALU_DEP_1) | instskip(SKIP_4) | instid1(VALU_DEP_2)
	v_add_nc_u32_e32 v7, v10, v7
	ds_bpermute_b32 v9, v29, v7
	s_waitcnt lgkmcnt(1)
	v_cndmask_b32_e64 v10, v21, 0, vcc_lo
	v_cmp_gt_u32_e32 vcc_lo, 24, v74
	v_add_nc_u32_e32 v8, v8, v10
	v_cndmask_b32_e64 v21, 0, 1, vcc_lo
	ds_bpermute_b32 v10, v29, v8
	v_cmp_eq_u32_e32 vcc_lo, 0, v8
	v_lshlrev_b32_e32 v21, 3, v21
	s_delay_alu instid0(VALU_DEP_1) | instskip(SKIP_3) | instid1(VALU_DEP_2)
	v_add_lshl_u32 v31, v21, v74, 2
	s_waitcnt lgkmcnt(1)
	v_cndmask_b32_e32 v9, 0, v9, vcc_lo
	v_cmp_gt_u32_e32 vcc_lo, v30, v12
	v_cndmask_b32_e64 v9, v9, 0, vcc_lo
	s_delay_alu instid0(VALU_DEP_1)
	v_add_nc_u32_e32 v7, v7, v9
	s_waitcnt lgkmcnt(0)
	v_cndmask_b32_e64 v10, v10, 0, vcc_lo
	v_cmp_gt_u32_e32 vcc_lo, 16, v74
	ds_bpermute_b32 v9, v31, v7
	v_add_nc_u32_e32 v8, v8, v10
	v_cndmask_b32_e64 v21, 0, 1, vcc_lo
	ds_bpermute_b32 v10, v31, v8
	v_cmp_eq_u32_e32 vcc_lo, 0, v8
	v_lshlrev_b32_e32 v21, 4, v21
	s_delay_alu instid0(VALU_DEP_1) | instskip(SKIP_4) | instid1(VALU_DEP_2)
	v_add_lshl_u32 v35, v21, v74, 2
	v_mov_b32_e32 v21, 0
	s_waitcnt lgkmcnt(1)
	v_cndmask_b32_e32 v9, 0, v9, vcc_lo
	v_cmp_gt_u32_e32 vcc_lo, v34, v12
	v_cndmask_b32_e64 v9, v9, 0, vcc_lo
	s_delay_alu instid0(VALU_DEP_1)
	v_add_nc_u32_e32 v7, v7, v9
	s_waitcnt lgkmcnt(0)
	v_cndmask_b32_e64 v9, v10, 0, vcc_lo
	ds_bpermute_b32 v10, v35, v7
	v_add_nc_u32_e32 v8, v8, v9
	ds_bpermute_b32 v9, v35, v8
	v_cmp_eq_u32_e32 vcc_lo, 0, v8
	s_waitcnt lgkmcnt(1)
	v_cndmask_b32_e32 v10, 0, v10, vcc_lo
	v_cmp_gt_u32_e32 vcc_lo, v36, v12
	s_delay_alu instid0(VALU_DEP_2) | instskip(SKIP_2) | instid1(VALU_DEP_2)
	v_cndmask_b32_e64 v10, v10, 0, vcc_lo
	s_waitcnt lgkmcnt(0)
	v_cndmask_b32_e64 v9, v9, 0, vcc_lo
	v_add_nc_u32_e32 v10, v10, v7
	s_delay_alu instid0(VALU_DEP_2)
	v_add_nc_u32_e32 v9, v9, v8
	s_branch .LBB875_93
.LBB875_92:                             ;   in Loop: Header=BB875_93 Depth=1
	s_or_b32 exec_lo, exec_lo, s15
	v_and_b32_e32 v12, 0xff, v11
	ds_bpermute_b32 v22, v6, v9
	v_subrev_nc_u32_e32 v20, 32, v20
	v_cmp_eq_u16_e32 vcc_lo, 2, v12
	ds_bpermute_b32 v12, v6, v10
	v_and_or_b32 v23, vcc_lo, v26, 0x80000000
	v_cmp_eq_u32_e32 vcc_lo, 0, v9
	s_delay_alu instid0(VALU_DEP_2) | instskip(NEXT) | instid1(VALU_DEP_1)
	v_ctz_i32_b32_e32 v23, v23
	v_cmp_lt_u32_e64 s15, v74, v23
	s_delay_alu instid0(VALU_DEP_1) | instskip(SKIP_4) | instid1(VALU_DEP_2)
	s_and_b32 vcc_lo, s15, vcc_lo
	s_waitcnt lgkmcnt(1)
	v_cndmask_b32_e64 v22, 0, v22, s15
	s_waitcnt lgkmcnt(0)
	v_cndmask_b32_e32 v12, 0, v12, vcc_lo
	v_add_nc_u32_e32 v9, v22, v9
	s_delay_alu instid0(VALU_DEP_2)
	v_add_nc_u32_e32 v10, v12, v10
	ds_bpermute_b32 v22, v27, v9
	ds_bpermute_b32 v12, v27, v10
	v_cmp_eq_u32_e32 vcc_lo, 0, v9
	s_waitcnt lgkmcnt(0)
	v_cndmask_b32_e32 v12, 0, v12, vcc_lo
	v_cmp_gt_u32_e32 vcc_lo, v28, v23
	v_cndmask_b32_e64 v22, v22, 0, vcc_lo
	s_delay_alu instid0(VALU_DEP_1) | instskip(NEXT) | instid1(VALU_DEP_4)
	v_add_nc_u32_e32 v9, v9, v22
	v_cndmask_b32_e64 v12, v12, 0, vcc_lo
	ds_bpermute_b32 v22, v29, v9
	v_add_nc_u32_e32 v10, v12, v10
	v_cmp_eq_u32_e32 vcc_lo, 0, v9
	ds_bpermute_b32 v12, v29, v10
	s_waitcnt lgkmcnt(0)
	v_cndmask_b32_e32 v12, 0, v12, vcc_lo
	v_cmp_gt_u32_e32 vcc_lo, v30, v23
	v_cndmask_b32_e64 v22, v22, 0, vcc_lo
	s_delay_alu instid0(VALU_DEP_1) | instskip(NEXT) | instid1(VALU_DEP_4)
	v_add_nc_u32_e32 v9, v9, v22
	v_cndmask_b32_e64 v12, v12, 0, vcc_lo
	ds_bpermute_b32 v22, v31, v9
	v_add_nc_u32_e32 v10, v10, v12
	v_cmp_eq_u32_e32 vcc_lo, 0, v9
	ds_bpermute_b32 v12, v31, v10
	;; [unrolled: 11-line block ×3, first 2 shown]
	s_waitcnt lgkmcnt(0)
	v_cndmask_b32_e32 v12, 0, v12, vcc_lo
	v_cmp_gt_u32_e32 vcc_lo, v36, v23
	s_delay_alu instid0(VALU_DEP_2) | instskip(NEXT) | instid1(VALU_DEP_1)
	v_cndmask_b32_e64 v12, v12, 0, vcc_lo
	v_add_nc_u32_e32 v10, v12, v10
	v_cndmask_b32_e64 v12, v22, 0, vcc_lo
	v_cmp_eq_u32_e32 vcc_lo, 0, v7
	s_delay_alu instid0(VALU_DEP_2) | instskip(NEXT) | instid1(VALU_DEP_4)
	v_add3_u32 v9, v9, v7, v12
	v_cndmask_b32_e32 v10, 0, v10, vcc_lo
	s_delay_alu instid0(VALU_DEP_1)
	v_add_nc_u32_e32 v10, v10, v8
.LBB875_93:                             ; =>This Loop Header: Depth=1
                                        ;     Child Loop BB875_96 Depth 2
	s_delay_alu instid0(VALU_DEP_1) | instskip(NEXT) | instid1(VALU_DEP_1)
	v_dual_mov_b32 v8, v10 :: v_dual_and_b32 v7, 0xff, v11
	v_cmp_ne_u16_e32 vcc_lo, 2, v7
	v_cndmask_b32_e64 v7, 0, 1, vcc_lo
	;;#ASMSTART
	;;#ASMEND
	s_delay_alu instid0(VALU_DEP_1)
	v_cmp_ne_u32_e32 vcc_lo, 0, v7
	v_mov_b32_e32 v7, v9
	s_cmp_lg_u32 vcc_lo, exec_lo
	s_cbranch_scc1 .LBB875_98
; %bb.94:                               ;   in Loop: Header=BB875_93 Depth=1
	v_lshlrev_b64 v[9:10], 4, v[20:21]
	s_mov_b32 s15, exec_lo
	s_delay_alu instid0(VALU_DEP_1) | instskip(NEXT) | instid1(VALU_DEP_2)
	v_add_co_u32 v22, vcc_lo, s20, v9
	v_add_co_ci_u32_e32 v23, vcc_lo, s21, v10, vcc_lo
	;;#ASMSTART
	global_load_dwordx4 v[9:12], v[22:23] off glc	
s_waitcnt vmcnt(0)
	;;#ASMEND
	v_and_b32_e32 v12, 0xff, v10
	v_and_b32_e32 v37, 0xff00, v10
	;; [unrolled: 1-line block ×3, first 2 shown]
	v_or3_b32 v9, v9, 0, 0
	v_and_b32_e32 v10, 0xff000000, v10
	s_delay_alu instid0(VALU_DEP_4) | instskip(SKIP_1) | instid1(VALU_DEP_4)
	v_or3_b32 v12, 0, v12, v37
	v_and_b32_e32 v37, 0xff, v11
	v_or3_b32 v9, v9, 0, 0
	s_delay_alu instid0(VALU_DEP_3) | instskip(NEXT) | instid1(VALU_DEP_3)
	v_or3_b32 v10, v12, v38, v10
	v_cmpx_eq_u16_e32 0, v37
	s_cbranch_execz .LBB875_92
; %bb.95:                               ;   in Loop: Header=BB875_93 Depth=1
	s_mov_b32 s24, 0
.LBB875_96:                             ;   Parent Loop BB875_93 Depth=1
                                        ; =>  This Inner Loop Header: Depth=2
	;;#ASMSTART
	global_load_dwordx4 v[9:12], v[22:23] off glc	
s_waitcnt vmcnt(0)
	;;#ASMEND
	v_and_b32_e32 v12, 0xff, v11
	s_delay_alu instid0(VALU_DEP_1) | instskip(SKIP_1) | instid1(SALU_CYCLE_1)
	v_cmp_ne_u16_e32 vcc_lo, 0, v12
	s_or_b32 s24, vcc_lo, s24
	s_and_not1_b32 exec_lo, exec_lo, s24
	s_cbranch_execnz .LBB875_96
; %bb.97:                               ;   in Loop: Header=BB875_93 Depth=1
	s_or_b32 exec_lo, exec_lo, s24
	s_branch .LBB875_92
.LBB875_98:                             ;   in Loop: Header=BB875_93 Depth=1
                                        ; implicit-def: $vgpr10
                                        ; implicit-def: $vgpr9
                                        ; implicit-def: $vgpr11
	s_cbranch_execz .LBB875_93
; %bb.99:
	s_and_saveexec_b32 s15, s14
	s_cbranch_execz .LBB875_101
; %bb.100:
	v_cmp_eq_u32_e32 vcc_lo, 0, v5
	s_mov_b32 s25, 0
	s_add_i32 s24, s33, 32
	v_add_nc_u32_e32 v9, v7, v5
	s_lshl_b64 s[24:25], s[24:25], 4
	v_cndmask_b32_e32 v6, 0, v8, vcc_lo
	s_add_u32 s24, s20, s24
	s_addc_u32 s25, s21, s25
	v_mov_b32_e32 v12, 0
	s_delay_alu instid0(VALU_DEP_2) | instskip(NEXT) | instid1(VALU_DEP_1)
	v_add_nc_u32_e32 v6, s23, v6
	v_and_b32_e32 v10, 0xff000000, v6
	v_and_b32_e32 v11, 0xff0000, v6
	s_delay_alu instid0(VALU_DEP_1) | instskip(SKIP_2) | instid1(VALU_DEP_1)
	v_or_b32_e32 v10, v11, v10
	v_dual_mov_b32 v11, 2 :: v_dual_and_b32 v20, 0xff00, v6
	v_and_b32_e32 v6, 0xff, v6
	v_or3_b32 v10, v10, v20, v6
	v_mov_b32_e32 v6, s23
	v_dual_mov_b32 v20, s24 :: v_dual_mov_b32 v21, s25
	;;#ASMSTART
	global_store_dwordx4 v[20:21], v[9:12] off	
s_waitcnt vmcnt(0)
	;;#ASMEND
	ds_store_b128 v12, v[5:8] offset:1024
.LBB875_101:
	s_or_b32 exec_lo, exec_lo, s15
	s_delay_alu instid0(SALU_CYCLE_1)
	s_and_b32 exec_lo, exec_lo, s2
	s_cbranch_execz .LBB875_103
; %bb.102:
	v_mov_b32_e32 v5, 0
	ds_store_b64 v5, v[7:8] offset:1096
.LBB875_103:
	s_or_b32 exec_lo, exec_lo, s22
	s_waitcnt lgkmcnt(1)
	v_cndmask_b32_e64 v8, v24, v16, s14
	s_waitcnt lgkmcnt(0)
	s_barrier
	buffer_gl0_inv
	v_cndmask_b32_e64 v9, v25, v17, s14
	v_cmp_eq_u32_e32 vcc_lo, 0, v8
	v_mov_b32_e32 v7, 0
	ds_load_b64 v[5:6], v7 offset:1096
	s_waitcnt lgkmcnt(0)
	s_barrier
	buffer_gl0_inv
	v_cndmask_b32_e32 v10, 0, v6, vcc_lo
	v_cmp_eq_u32_e32 vcc_lo, 0, v65
	s_delay_alu instid0(VALU_DEP_2) | instskip(NEXT) | instid1(VALU_DEP_1)
	v_add_nc_u32_e32 v9, v10, v9
	v_cndmask_b32_e64 v37, v9, v6, s2
	s_delay_alu instid0(VALU_DEP_1) | instskip(NEXT) | instid1(VALU_DEP_1)
	v_cndmask_b32_e32 v6, 0, v37, vcc_lo
	v_add_nc_u32_e32 v43, v6, v48
	s_delay_alu instid0(VALU_DEP_1) | instskip(NEXT) | instid1(VALU_DEP_1)
	v_cndmask_b32_e64 v6, 0, v43, s13
	v_add_nc_u32_e32 v39, v6, v73
	s_delay_alu instid0(VALU_DEP_1) | instskip(NEXT) | instid1(VALU_DEP_1)
	v_cndmask_b32_e64 v6, 0, v39, s12
	;; [unrolled: 3-line block ×5, first 2 shown]
	v_add_nc_u32_e32 v21, v6, v71
	v_cndmask_b32_e64 v6, v8, 0, s2
	s_delay_alu instid0(VALU_DEP_2) | instskip(NEXT) | instid1(VALU_DEP_2)
	v_cndmask_b32_e64 v8, 0, v21, s8
	v_add_nc_u32_e32 v36, v5, v6
	s_delay_alu instid0(VALU_DEP_2) | instskip(NEXT) | instid1(VALU_DEP_2)
	v_add_nc_u32_e32 v25, v8, v47
	v_add_nc_u32_e32 v42, v36, v65
	s_delay_alu instid0(VALU_DEP_2) | instskip(NEXT) | instid1(VALU_DEP_2)
	v_cndmask_b32_e64 v5, 0, v25, s7
	v_add_nc_u32_e32 v38, v42, v64
	s_delay_alu instid0(VALU_DEP_2) | instskip(NEXT) | instid1(VALU_DEP_2)
	v_add_nc_u32_e32 v29, v5, v70
	v_add_nc_u32_e32 v34, v38, v63
	;; [unrolled: 6-line block ×4, first 2 shown]
	s_delay_alu instid0(VALU_DEP_2) | instskip(NEXT) | instid1(VALU_DEP_2)
	v_cndmask_b32_e64 v5, 0, v12, s4
	v_add_nc_u32_e32 v28, v24, v58
	s_delay_alu instid0(VALU_DEP_2) | instskip(SKIP_3) | instid1(VALU_DEP_2)
	v_add_nc_u32_e32 v17, v5, v33
	ds_load_b128 v[5:8], v7 offset:1024
	v_add_nc_u32_e32 v9, v28, v57
	v_cndmask_b32_e64 v16, 0, v17, s3
	v_add_nc_u32_e32 v11, v9, v54
	s_delay_alu instid0(VALU_DEP_2) | instskip(NEXT) | instid1(VALU_DEP_2)
	v_add_nc_u32_e32 v45, v16, v68
	v_add_nc_u32_e32 v16, v11, v53
	s_delay_alu instid0(VALU_DEP_2) | instskip(NEXT) | instid1(VALU_DEP_2)
	v_cndmask_b32_e64 v30, 0, v45, s1
	v_add_nc_u32_e32 v44, v16, v52
	s_delay_alu instid0(VALU_DEP_2) | instskip(SKIP_2) | instid1(VALU_DEP_3)
	v_add_nc_u32_e32 v41, v30, v18
	s_waitcnt lgkmcnt(0)
	v_cmp_eq_u32_e32 vcc_lo, 0, v5
	v_add_nc_u32_e32 v40, v44, v51
	s_delay_alu instid0(VALU_DEP_3) | instskip(SKIP_1) | instid1(VALU_DEP_3)
	v_cndmask_b32_e64 v31, 0, v41, s0
	v_cndmask_b32_e32 v8, 0, v8, vcc_lo
	v_add_nc_u32_e32 v30, v40, v50
	s_delay_alu instid0(VALU_DEP_3) | instskip(NEXT) | instid1(VALU_DEP_3)
	v_add_nc_u32_e32 v31, v31, v67
	v_add_nc_u32_e32 v66, v8, v6
	s_branch .LBB875_116
.LBB875_104:
                                        ; implicit-def: $vgpr5
                                        ; implicit-def: $vgpr66
                                        ; implicit-def: $vgpr36_vgpr37
                                        ; implicit-def: $vgpr42_vgpr43
                                        ; implicit-def: $vgpr38_vgpr39
                                        ; implicit-def: $vgpr34_vgpr35
                                        ; implicit-def: $vgpr26_vgpr27
                                        ; implicit-def: $vgpr22_vgpr23
                                        ; implicit-def: $vgpr20_vgpr21
                                        ; implicit-def: $vgpr24_vgpr25
                                        ; implicit-def: $vgpr28_vgpr29
                                        ; implicit-def: $vgpr9_vgpr10
                                        ; implicit-def: $vgpr11_vgpr12
                                        ; implicit-def: $vgpr16_vgpr17
                                        ; implicit-def: $vgpr44_vgpr45
                                        ; implicit-def: $vgpr40_vgpr41
                                        ; implicit-def: $vgpr30_vgpr31
	s_cbranch_execz .LBB875_116
; %bb.105:
	s_and_b32 s0, s16, exec_lo
	v_mov_b32_e32 v30, v48
	s_cselect_b32 s1, 0, s35
	s_cselect_b32 s0, 0, s34
	s_delay_alu instid0(SALU_CYCLE_1)
	s_cmp_eq_u64 s[0:1], 0
	s_cbranch_scc1 .LBB875_107
; %bb.106:
	v_mov_b32_e32 v5, 0
	global_load_b32 v30, v5, s[0:1]
.LBB875_107:
	v_cmp_eq_u32_e64 s7, 0, v64
	v_cmp_eq_u32_e64 s8, 0, v63
	;; [unrolled: 1-line block ×5, first 2 shown]
	v_cndmask_b32_e64 v5, 0, v48, s7
	v_cmp_eq_u32_e64 s12, 0, v59
	v_cmp_eq_u32_e64 s6, 0, v58
	;; [unrolled: 1-line block ×4, first 2 shown]
	v_add_nc_u32_e32 v5, v5, v73
	v_cmp_eq_u32_e64 s3, 0, v53
	v_cmp_eq_u32_e64 s1, 0, v52
	v_cmp_eq_u32_e32 vcc_lo, 0, v51
	v_add3_u32 v6, v77, v60, v59
	v_cndmask_b32_e64 v5, 0, v5, s8
	v_cmp_eq_u32_e64 s0, 0, v50
	v_cmp_eq_u32_e64 s13, 0, v55
	v_and_b32_e32 v8, 15, v74
	v_add3_u32 v6, v6, v58, v57
	v_add_nc_u32_e32 v5, v5, v49
	s_delay_alu instid0(VALU_DEP_3) | instskip(NEXT) | instid1(VALU_DEP_3)
	v_cmp_lt_u32_e64 s14, 1, v8
	v_add3_u32 v6, v6, v54, v53
	s_delay_alu instid0(VALU_DEP_3) | instskip(NEXT) | instid1(VALU_DEP_2)
	v_cndmask_b32_e64 v5, 0, v5, s9
	v_add3_u32 v6, v6, v52, v51
	s_delay_alu instid0(VALU_DEP_2) | instskip(NEXT) | instid1(VALU_DEP_2)
	v_add_nc_u32_e32 v5, v5, v72
	v_add3_u32 v6, v6, v50, v55
	s_delay_alu instid0(VALU_DEP_2) | instskip(NEXT) | instid1(VALU_DEP_2)
	v_cndmask_b32_e64 v5, 0, v5, s10
	v_mov_b32_dpp v9, v6 row_shr:1 row_mask:0xf bank_mask:0xf
	s_delay_alu instid0(VALU_DEP_2) | instskip(NEXT) | instid1(VALU_DEP_1)
	v_add_nc_u32_e32 v5, v5, v46
	v_cndmask_b32_e64 v5, 0, v5, s11
	s_delay_alu instid0(VALU_DEP_1) | instskip(NEXT) | instid1(VALU_DEP_1)
	v_add_nc_u32_e32 v5, v5, v71
	v_cndmask_b32_e64 v5, 0, v5, s12
	s_delay_alu instid0(VALU_DEP_1) | instskip(NEXT) | instid1(VALU_DEP_1)
	;; [unrolled: 3-line block ×7, first 2 shown]
	v_add_nc_u32_e32 v5, v5, v68
	v_cndmask_b32_e32 v5, 0, v5, vcc_lo
	s_delay_alu instid0(VALU_DEP_1) | instskip(NEXT) | instid1(VALU_DEP_1)
	v_add_nc_u32_e32 v5, v5, v18
	v_cndmask_b32_e64 v5, 0, v5, s0
	s_delay_alu instid0(VALU_DEP_1) | instskip(NEXT) | instid1(VALU_DEP_1)
	v_add_nc_u32_e32 v5, v5, v67
	v_cndmask_b32_e64 v5, 0, v5, s13
	v_cmp_eq_u32_e64 s13, 0, v6
	s_delay_alu instid0(VALU_DEP_2) | instskip(NEXT) | instid1(VALU_DEP_1)
	v_add_nc_u32_e32 v5, v5, v19
	v_mov_b32_dpp v7, v5 row_shr:1 row_mask:0xf bank_mask:0xf
	s_delay_alu instid0(VALU_DEP_1) | instskip(SKIP_1) | instid1(VALU_DEP_1)
	v_cndmask_b32_e64 v7, 0, v7, s13
	v_cmp_eq_u32_e64 s13, 0, v8
	v_cndmask_b32_e64 v9, v9, 0, s13
	s_delay_alu instid0(VALU_DEP_3) | instskip(NEXT) | instid1(VALU_DEP_2)
	v_cndmask_b32_e64 v7, v7, 0, s13
	v_add_nc_u32_e32 v6, v9, v6
	s_delay_alu instid0(VALU_DEP_2) | instskip(NEXT) | instid1(VALU_DEP_2)
	v_add_nc_u32_e32 v5, v7, v5
	v_mov_b32_dpp v7, v6 row_shr:2 row_mask:0xf bank_mask:0xf
	v_cmp_eq_u32_e64 s13, 0, v6
	s_delay_alu instid0(VALU_DEP_3) | instskip(NEXT) | instid1(VALU_DEP_3)
	v_mov_b32_dpp v9, v5 row_shr:2 row_mask:0xf bank_mask:0xf
	v_cndmask_b32_e64 v7, 0, v7, s14
	s_delay_alu instid0(VALU_DEP_3) | instskip(SKIP_1) | instid1(VALU_DEP_3)
	s_and_b32 s13, s14, s13
	v_cmp_lt_u32_e64 s14, 3, v8
	v_cndmask_b32_e64 v9, 0, v9, s13
	s_delay_alu instid0(VALU_DEP_3) | instskip(NEXT) | instid1(VALU_DEP_2)
	v_add_nc_u32_e32 v6, v6, v7
	v_add_nc_u32_e32 v5, v9, v5
	s_delay_alu instid0(VALU_DEP_2) | instskip(SKIP_1) | instid1(VALU_DEP_3)
	v_mov_b32_dpp v7, v6 row_shr:4 row_mask:0xf bank_mask:0xf
	v_cmp_eq_u32_e64 s13, 0, v6
	v_mov_b32_dpp v9, v5 row_shr:4 row_mask:0xf bank_mask:0xf
	s_delay_alu instid0(VALU_DEP_3) | instskip(NEXT) | instid1(VALU_DEP_3)
	v_cndmask_b32_e64 v7, 0, v7, s14
	s_and_b32 s13, s14, s13
	v_cmp_lt_u32_e64 s14, 7, v8
	s_delay_alu instid0(VALU_DEP_3) | instskip(NEXT) | instid1(VALU_DEP_3)
	v_cndmask_b32_e64 v9, 0, v9, s13
	v_add_nc_u32_e32 v6, v7, v6
	s_delay_alu instid0(VALU_DEP_2) | instskip(SKIP_1) | instid1(VALU_DEP_3)
	v_add_nc_u32_e32 v5, v5, v9
	v_bfe_i32 v9, v74, 4, 1
	v_cmp_eq_u32_e64 s13, 0, v6
	v_mov_b32_dpp v7, v6 row_shr:8 row_mask:0xf bank_mask:0xf
	s_delay_alu instid0(VALU_DEP_4) | instskip(NEXT) | instid1(VALU_DEP_3)
	v_mov_b32_dpp v8, v5 row_shr:8 row_mask:0xf bank_mask:0xf
	s_and_b32 s13, s14, s13
	s_delay_alu instid0(VALU_DEP_2) | instskip(SKIP_1) | instid1(VALU_DEP_2)
	v_cndmask_b32_e64 v7, 0, v7, s14
	s_mov_b32 s14, exec_lo
	v_cndmask_b32_e64 v8, 0, v8, s13
	s_delay_alu instid0(VALU_DEP_1) | instskip(NEXT) | instid1(VALU_DEP_3)
	v_add_nc_u32_e32 v8, v8, v5
	v_add_nc_u32_e32 v5, v7, v6
	ds_swizzle_b32 v6, v8 offset:swizzle(BROADCAST,32,15)
	ds_swizzle_b32 v7, v5 offset:swizzle(BROADCAST,32,15)
	v_cmp_eq_u32_e64 s13, 0, v5
	s_waitcnt lgkmcnt(1)
	s_delay_alu instid0(VALU_DEP_1) | instskip(SKIP_2) | instid1(VALU_DEP_2)
	v_cndmask_b32_e64 v6, 0, v6, s13
	s_waitcnt lgkmcnt(0)
	v_and_b32_e32 v7, v9, v7
	v_and_b32_e32 v6, v9, v6
	s_delay_alu instid0(VALU_DEP_2) | instskip(NEXT) | instid1(VALU_DEP_2)
	v_add_nc_u32_e32 v5, v7, v5
	v_add_nc_u32_e32 v6, v6, v8
	v_lshlrev_b32_e32 v8, 3, v75
	v_cmpx_eq_u32_e64 v76, v0
	s_cbranch_execz .LBB875_109
; %bb.108:
	ds_store_b64 v8, v[5:6] offset:1040
.LBB875_109:
	s_or_b32 exec_lo, exec_lo, s14
	s_delay_alu instid0(SALU_CYCLE_1)
	s_mov_b32 s15, exec_lo
	s_waitcnt vmcnt(0) lgkmcnt(0)
	s_barrier
	buffer_gl0_inv
	v_cmpx_gt_u32_e32 8, v0
	s_cbranch_execz .LBB875_111
; %bb.110:
	v_lshlrev_b32_e32 v7, 3, v0
	v_and_b32_e32 v12, 7, v74
	ds_load_b64 v[9:10], v7 offset:1040
	v_cmp_lt_u32_e64 s14, 1, v12
	s_waitcnt lgkmcnt(0)
	v_mov_b32_dpp v11, v10 row_shr:1 row_mask:0xf bank_mask:0xf
	v_cmp_eq_u32_e64 s13, 0, v9
	v_mov_b32_dpp v16, v9 row_shr:1 row_mask:0xf bank_mask:0xf
	s_delay_alu instid0(VALU_DEP_2) | instskip(SKIP_1) | instid1(VALU_DEP_1)
	v_cndmask_b32_e64 v11, 0, v11, s13
	v_cmp_eq_u32_e64 s13, 0, v12
	v_cndmask_b32_e64 v16, v16, 0, s13
	s_delay_alu instid0(VALU_DEP_3) | instskip(NEXT) | instid1(VALU_DEP_2)
	v_cndmask_b32_e64 v11, v11, 0, s13
	v_add_nc_u32_e32 v9, v16, v9
	s_delay_alu instid0(VALU_DEP_2) | instskip(NEXT) | instid1(VALU_DEP_2)
	v_add_nc_u32_e32 v10, v11, v10
	v_mov_b32_dpp v11, v9 row_shr:2 row_mask:0xf bank_mask:0xf
	v_cmp_eq_u32_e64 s13, 0, v9
	s_delay_alu instid0(VALU_DEP_3) | instskip(NEXT) | instid1(VALU_DEP_3)
	v_mov_b32_dpp v16, v10 row_shr:2 row_mask:0xf bank_mask:0xf
	v_cndmask_b32_e64 v11, 0, v11, s14
	s_delay_alu instid0(VALU_DEP_3) | instskip(SKIP_1) | instid1(VALU_DEP_3)
	s_and_b32 s13, s14, s13
	v_cmp_lt_u32_e64 s14, 3, v12
	v_cndmask_b32_e64 v16, 0, v16, s13
	s_delay_alu instid0(VALU_DEP_3) | instskip(NEXT) | instid1(VALU_DEP_2)
	v_add_nc_u32_e32 v9, v11, v9
	v_add_nc_u32_e32 v10, v16, v10
	s_delay_alu instid0(VALU_DEP_2) | instskip(SKIP_1) | instid1(VALU_DEP_3)
	v_cmp_eq_u32_e64 s13, 0, v9
	v_mov_b32_dpp v11, v9 row_shr:4 row_mask:0xf bank_mask:0xf
	v_mov_b32_dpp v12, v10 row_shr:4 row_mask:0xf bank_mask:0xf
	s_delay_alu instid0(VALU_DEP_3) | instskip(NEXT) | instid1(VALU_DEP_2)
	s_and_b32 s13, s14, s13
	v_cndmask_b32_e64 v11, 0, v11, s14
	s_delay_alu instid0(VALU_DEP_2) | instskip(NEXT) | instid1(VALU_DEP_2)
	v_cndmask_b32_e64 v12, 0, v12, s13
	v_add_nc_u32_e32 v9, v11, v9
	s_delay_alu instid0(VALU_DEP_2)
	v_add_nc_u32_e32 v10, v12, v10
	ds_store_b64 v7, v[9:10] offset:1040
.LBB875_111:
	s_or_b32 exec_lo, exec_lo, s15
	v_mov_b32_e32 v11, 0
	v_mov_b32_e32 v7, 0
	;; [unrolled: 1-line block ×3, first 2 shown]
	s_mov_b32 s14, exec_lo
	s_waitcnt lgkmcnt(0)
	s_barrier
	buffer_gl0_inv
	v_cmpx_lt_u32_e32 31, v0
	s_cbranch_execz .LBB875_113
; %bb.112:
	ds_load_b64 v[7:8], v8 offset:1032
	s_waitcnt lgkmcnt(0)
	v_cmp_eq_u32_e64 s13, 0, v7
	s_delay_alu instid0(VALU_DEP_1) | instskip(NEXT) | instid1(VALU_DEP_1)
	v_cndmask_b32_e64 v9, 0, v30, s13
	v_add_nc_u32_e32 v9, v9, v8
.LBB875_113:
	s_or_b32 exec_lo, exec_lo, s14
	v_add_nc_u32_e32 v8, -1, v74
	s_delay_alu instid0(VALU_DEP_1) | instskip(NEXT) | instid1(VALU_DEP_1)
	v_cmp_gt_i32_e64 s13, 0, v8
	v_cndmask_b32_e64 v8, v8, v74, s13
	v_cmp_eq_u32_e64 s13, 0, v5
	v_add_nc_u32_e32 v5, v7, v5
	s_delay_alu instid0(VALU_DEP_3) | instskip(NEXT) | instid1(VALU_DEP_3)
	v_lshlrev_b32_e32 v8, 2, v8
	v_cndmask_b32_e64 v10, 0, v9, s13
	v_cmp_eq_u32_e64 s13, 0, v74
	ds_bpermute_b32 v5, v8, v5
	v_add_nc_u32_e32 v6, v10, v6
	ds_bpermute_b32 v6, v8, v6
	s_waitcnt lgkmcnt(1)
	v_cndmask_b32_e64 v5, v5, v7, s13
	s_delay_alu instid0(VALU_DEP_1) | instskip(SKIP_3) | instid1(VALU_DEP_3)
	v_cndmask_b32_e64 v36, v5, 0, s2
	s_waitcnt lgkmcnt(0)
	v_cndmask_b32_e64 v6, v6, v9, s13
	v_cmp_eq_u32_e64 s13, 0, v65
	v_add_nc_u32_e32 v42, v36, v65
	s_delay_alu instid0(VALU_DEP_3) | instskip(NEXT) | instid1(VALU_DEP_2)
	v_cndmask_b32_e64 v37, v6, v30, s2
	v_add_nc_u32_e32 v38, v42, v64
	s_delay_alu instid0(VALU_DEP_2) | instskip(NEXT) | instid1(VALU_DEP_2)
	v_cndmask_b32_e64 v6, 0, v37, s13
	v_add_nc_u32_e32 v34, v38, v63
	s_delay_alu instid0(VALU_DEP_2) | instskip(NEXT) | instid1(VALU_DEP_2)
	v_add_nc_u32_e32 v43, v6, v48
	v_add_nc_u32_e32 v26, v34, v62
	s_delay_alu instid0(VALU_DEP_2) | instskip(NEXT) | instid1(VALU_DEP_2)
	v_cndmask_b32_e64 v6, 0, v43, s7
	v_add_nc_u32_e32 v22, v26, v61
	s_delay_alu instid0(VALU_DEP_2) | instskip(NEXT) | instid1(VALU_DEP_2)
	v_add_nc_u32_e32 v39, v6, v73
	;; [unrolled: 6-line block ×3, first 2 shown]
	v_add_nc_u32_e32 v28, v24, v58
	s_delay_alu instid0(VALU_DEP_2) | instskip(NEXT) | instid1(VALU_DEP_2)
	v_cndmask_b32_e64 v6, 0, v35, s9
	v_add_nc_u32_e32 v9, v28, v57
	s_delay_alu instid0(VALU_DEP_2) | instskip(NEXT) | instid1(VALU_DEP_1)
	v_add_nc_u32_e32 v27, v6, v72
	v_cndmask_b32_e64 v6, 0, v27, s10
	s_delay_alu instid0(VALU_DEP_1) | instskip(NEXT) | instid1(VALU_DEP_1)
	v_add_nc_u32_e32 v23, v6, v46
	v_cndmask_b32_e64 v6, 0, v23, s11
	s_delay_alu instid0(VALU_DEP_1) | instskip(NEXT) | instid1(VALU_DEP_1)
	;; [unrolled: 3-line block ×6, first 2 shown]
	v_add_nc_u32_e32 v12, v5, v69
	v_cndmask_b32_e64 v5, 0, v12, s3
	s_delay_alu instid0(VALU_DEP_1) | instskip(SKIP_3) | instid1(VALU_DEP_2)
	v_add_nc_u32_e32 v17, v5, v33
	ds_load_b64 v[5:6], v11 offset:1096
	v_add_nc_u32_e32 v11, v9, v54
	v_cndmask_b32_e64 v7, 0, v17, s1
	v_add_nc_u32_e32 v16, v11, v53
	s_delay_alu instid0(VALU_DEP_2) | instskip(NEXT) | instid1(VALU_DEP_1)
	v_add_nc_u32_e32 v45, v7, v68
	v_dual_cndmask_b32 v7, 0, v45 :: v_dual_add_nc_u32 v44, v16, v52
	s_delay_alu instid0(VALU_DEP_1) | instskip(NEXT) | instid1(VALU_DEP_2)
	v_add_nc_u32_e32 v40, v44, v51
	v_add_nc_u32_e32 v41, v7, v18
	s_waitcnt lgkmcnt(0)
	v_cmp_eq_u32_e32 vcc_lo, 0, v5
	s_delay_alu instid0(VALU_DEP_2) | instskip(SKIP_2) | instid1(VALU_DEP_3)
	v_cndmask_b32_e64 v7, 0, v41, s0
	v_cndmask_b32_e32 v8, 0, v30, vcc_lo
	v_add_nc_u32_e32 v30, v40, v50
	v_add_nc_u32_e32 v31, v7, v67
	s_delay_alu instid0(VALU_DEP_3)
	v_add_nc_u32_e32 v66, v8, v6
	s_and_saveexec_b32 s0, s2
	s_cbranch_execz .LBB875_115
; %bb.114:
	s_delay_alu instid0(VALU_DEP_1)
	v_and_b32_e32 v6, 0xff000000, v66
	v_dual_mov_b32 v8, 0 :: v_dual_and_b32 v7, 0xff0000, v66
	s_add_u32 s4, s20, 0x200
	v_and_b32_e32 v18, 0xff00, v66
	s_addc_u32 s5, s21, 0
	v_and_b32_e32 v19, 0xff, v66
	v_or_b32_e32 v6, v7, v6
	v_mov_b32_e32 v7, 2
	s_delay_alu instid0(VALU_DEP_2)
	v_or3_b32 v6, v6, v18, v19
	v_dual_mov_b32 v19, s5 :: v_dual_mov_b32 v18, s4
	;;#ASMSTART
	global_store_dwordx4 v[18:19], v[5:8] off	
s_waitcnt vmcnt(0)
	;;#ASMEND
.LBB875_115:
	s_or_b32 exec_lo, exec_lo, s0
	v_mov_b32_e32 v7, 0
.LBB875_116:
	v_mov_b32_e32 v18, 0
	s_and_b32 s0, s16, exec_lo
	v_mov_b32_e32 v19, 0
	s_cselect_b32 s1, 0, s39
	s_cselect_b32 s0, 0, s38
	s_delay_alu instid0(SALU_CYCLE_1)
	s_cmp_eq_u64 s[0:1], 0
	s_barrier
	buffer_gl0_inv
	s_cbranch_scc1 .LBB875_118
; %bb.117:
	v_mov_b32_e32 v6, 0
	global_load_b64 v[18:19], v6, s[0:1]
.LBB875_118:
	v_cmp_eq_u32_e32 vcc_lo, 0, v65
	v_cmp_ne_u32_e64 s15, 0, v65
	v_cmp_ne_u32_e64 s14, 0, v64
	;; [unrolled: 1-line block ×4, first 2 shown]
	v_cndmask_b32_e64 v6, 1, 2, vcc_lo
	v_cmp_eq_u32_e32 vcc_lo, 0, v64
	v_cmp_ne_u32_e64 s11, 0, v61
	v_cmp_ne_u32_e64 s10, 0, v60
	;; [unrolled: 1-line block ×4, first 2 shown]
	v_cndmask_b32_e64 v8, 1, 2, vcc_lo
	v_cmp_eq_u32_e32 vcc_lo, 0, v63
	v_cmp_ne_u32_e64 s9, 0, v57
	v_cmp_ne_u32_e64 s7, 0, v54
	;; [unrolled: 1-line block ×3, first 2 shown]
	v_and_b32_e32 v6, v8, v6
	v_cndmask_b32_e64 v32, 1, 2, vcc_lo
	v_cmp_eq_u32_e32 vcc_lo, 0, v62
	v_cmp_ne_u32_e64 s4, 0, v52
	v_cmp_ne_u32_e64 s3, 0, v51
	v_cmp_ne_u32_e64 s1, 0, v50
	v_and_b32_e32 v6, v6, v32
	v_cndmask_b32_e64 v8, 1, 2, vcc_lo
	v_cmp_eq_u32_e32 vcc_lo, 0, v61
	v_cmp_ne_u32_e64 s0, 0, v55
	s_delay_alu instid0(VALU_DEP_3) | instskip(SKIP_2) | instid1(VALU_DEP_2)
	v_and_b32_e32 v6, v6, v8
	v_cndmask_b32_e64 v32, 1, 2, vcc_lo
	v_cmp_eq_u32_e32 vcc_lo, 0, v60
	v_and_b32_e32 v6, v6, v32
	v_cndmask_b32_e64 v8, 1, 2, vcc_lo
	v_cmp_eq_u32_e32 vcc_lo, 0, v59
	s_waitcnt vmcnt(0)
	v_lshlrev_b64 v[32:33], 1, v[18:19]
	s_delay_alu instid0(VALU_DEP_3) | instskip(SKIP_2) | instid1(VALU_DEP_2)
	v_and_b32_e32 v6, v6, v8
	v_cndmask_b32_e64 v46, 1, 2, vcc_lo
	v_cmp_eq_u32_e32 vcc_lo, 0, v58
	v_and_b32_e32 v6, v6, v46
	v_cndmask_b32_e64 v47, 1, 2, vcc_lo
	v_cmp_eq_u32_e32 vcc_lo, 0, v57
	s_delay_alu instid0(VALU_DEP_2) | instskip(SKIP_2) | instid1(VALU_DEP_2)
	v_and_b32_e32 v6, v6, v47
	v_cndmask_b32_e64 v46, 1, 2, vcc_lo
	v_cmp_eq_u32_e32 vcc_lo, 0, v54
	v_and_b32_e32 v6, v6, v46
	v_cndmask_b32_e64 v47, 1, 2, vcc_lo
	v_cmp_eq_u32_e32 vcc_lo, 0, v53
	s_delay_alu instid0(VALU_DEP_2) | instskip(SKIP_2) | instid1(VALU_DEP_2)
	;; [unrolled: 7-line block ×3, first 2 shown]
	v_and_b32_e32 v6, v6, v48
	v_cndmask_b32_e64 v49, 1, 2, vcc_lo
	v_cmp_eq_u32_e32 vcc_lo, 0, v50
	v_and_b32_e32 v48, v6, v49
	v_cndmask_b32_e64 v67, 1, 2, vcc_lo
	v_mov_b32_e32 v8, 0
	v_add_co_u32 v32, vcc_lo, s18, v32
	v_add_co_ci_u32_e32 v33, vcc_lo, s19, v33, vcc_lo
	s_delay_alu instid0(VALU_DEP_3) | instskip(SKIP_1) | instid1(VALU_DEP_1)
	v_lshlrev_b64 v[46:47], 1, v[7:8]
	s_mov_b32 s18, -1
	v_add_co_u32 v6, vcc_lo, v32, v46
	s_delay_alu instid0(VALU_DEP_2) | instskip(SKIP_4) | instid1(VALU_DEP_2)
	v_add_co_ci_u32_e32 v32, vcc_lo, v33, v47, vcc_lo
	v_and_b32_e32 v33, v48, v67
	v_cmp_eq_u32_e32 vcc_lo, 0, v55
	v_cndmask_b32_e64 v46, 1, 2, vcc_lo
	v_cmp_gt_u32_e32 vcc_lo, 0x100, v5
	v_and_b32_e32 v33, v33, v46
	s_delay_alu instid0(VALU_DEP_1)
	v_cmp_gt_i16_e64 s16, 2, v33
	s_cbranch_vccz .LBB875_167
; %bb.119:
	s_delay_alu instid0(VALU_DEP_1)
	s_and_saveexec_b32 s18, s16
	s_cbranch_execz .LBB875_166
; %bb.120:
	s_mov_b32 s19, 0
	s_mov_b32 s16, exec_lo
	v_cmpx_ne_u16_e32 1, v33
	s_xor_b32 s16, exec_lo, s16
	s_cbranch_execz .LBB875_144
; %bb.121:
	s_and_saveexec_b32 s19, s15
	s_cbranch_execz .LBB875_149
; %bb.122:
	v_sub_nc_u32_e32 v46, v36, v7
	v_mov_b32_e32 v47, 0
	s_delay_alu instid0(VALU_DEP_1) | instskip(NEXT) | instid1(VALU_DEP_1)
	v_lshlrev_b64 v[46:47], 1, v[46:47]
	v_add_co_u32 v46, vcc_lo, v6, v46
	s_delay_alu instid0(VALU_DEP_2)
	v_add_co_ci_u32_e32 v47, vcc_lo, v32, v47, vcc_lo
	global_store_b16 v[46:47], v56, off
	s_or_b32 exec_lo, exec_lo, s19
	s_and_saveexec_b32 s19, s14
	s_cbranch_execnz .LBB875_150
.LBB875_123:
	s_or_b32 exec_lo, exec_lo, s19
	s_and_saveexec_b32 s19, s13
	s_cbranch_execz .LBB875_151
.LBB875_124:
	v_sub_nc_u32_e32 v46, v38, v7
	v_mov_b32_e32 v47, 0
	s_delay_alu instid0(VALU_DEP_1) | instskip(NEXT) | instid1(VALU_DEP_1)
	v_lshlrev_b64 v[46:47], 1, v[46:47]
	v_add_co_u32 v46, vcc_lo, v6, v46
	s_delay_alu instid0(VALU_DEP_2)
	v_add_co_ci_u32_e32 v47, vcc_lo, v32, v47, vcc_lo
	global_store_d16_hi_b16 v[46:47], v1, off
	s_or_b32 exec_lo, exec_lo, s19
	s_and_saveexec_b32 s19, s12
	s_cbranch_execnz .LBB875_152
.LBB875_125:
	s_or_b32 exec_lo, exec_lo, s19
	s_and_saveexec_b32 s19, s11
	s_cbranch_execz .LBB875_153
.LBB875_126:
	v_sub_nc_u32_e32 v46, v26, v7
	v_mov_b32_e32 v47, 0
	s_delay_alu instid0(VALU_DEP_1) | instskip(NEXT) | instid1(VALU_DEP_1)
	v_lshlrev_b64 v[46:47], 1, v[46:47]
	v_add_co_u32 v46, vcc_lo, v6, v46
	s_delay_alu instid0(VALU_DEP_2)
	v_add_co_ci_u32_e32 v47, vcc_lo, v32, v47, vcc_lo
	global_store_d16_hi_b16 v[46:47], v2, off
	s_or_b32 exec_lo, exec_lo, s19
	s_and_saveexec_b32 s19, s10
	s_cbranch_execnz .LBB875_154
.LBB875_127:
	s_or_b32 exec_lo, exec_lo, s19
	s_and_saveexec_b32 s19, s8
	s_cbranch_execz .LBB875_155
.LBB875_128:
	v_sub_nc_u32_e32 v46, v20, v7
	v_mov_b32_e32 v47, 0
	s_delay_alu instid0(VALU_DEP_1) | instskip(NEXT) | instid1(VALU_DEP_1)
	v_lshlrev_b64 v[46:47], 1, v[46:47]
	v_add_co_u32 v46, vcc_lo, v6, v46
	s_delay_alu instid0(VALU_DEP_2)
	v_add_co_ci_u32_e32 v47, vcc_lo, v32, v47, vcc_lo
	global_store_d16_hi_b16 v[46:47], v3, off
	s_or_b32 exec_lo, exec_lo, s19
	s_and_saveexec_b32 s19, s6
	s_cbranch_execnz .LBB875_156
.LBB875_129:
	s_or_b32 exec_lo, exec_lo, s19
	s_and_saveexec_b32 s19, s9
	s_cbranch_execz .LBB875_157
.LBB875_130:
	v_sub_nc_u32_e32 v46, v28, v7
	v_mov_b32_e32 v47, 0
	s_delay_alu instid0(VALU_DEP_1) | instskip(NEXT) | instid1(VALU_DEP_1)
	v_lshlrev_b64 v[46:47], 1, v[46:47]
	v_add_co_u32 v46, vcc_lo, v6, v46
	s_delay_alu instid0(VALU_DEP_2)
	v_add_co_ci_u32_e32 v47, vcc_lo, v32, v47, vcc_lo
	global_store_d16_hi_b16 v[46:47], v4, off
	s_or_b32 exec_lo, exec_lo, s19
	s_and_saveexec_b32 s19, s7
	s_cbranch_execnz .LBB875_158
.LBB875_131:
	s_or_b32 exec_lo, exec_lo, s19
	s_and_saveexec_b32 s19, s5
	s_cbranch_execz .LBB875_159
.LBB875_132:
	v_sub_nc_u32_e32 v46, v11, v7
	v_mov_b32_e32 v47, 0
	s_delay_alu instid0(VALU_DEP_1) | instskip(NEXT) | instid1(VALU_DEP_1)
	v_lshlrev_b64 v[46:47], 1, v[46:47]
	v_add_co_u32 v46, vcc_lo, v6, v46
	s_delay_alu instid0(VALU_DEP_2)
	v_add_co_ci_u32_e32 v47, vcc_lo, v32, v47, vcc_lo
	global_store_d16_hi_b16 v[46:47], v13, off
	s_or_b32 exec_lo, exec_lo, s19
	s_and_saveexec_b32 s19, s4
	s_cbranch_execnz .LBB875_160
.LBB875_133:
	s_or_b32 exec_lo, exec_lo, s19
	s_and_saveexec_b32 s19, s3
	s_cbranch_execz .LBB875_161
.LBB875_134:
	v_sub_nc_u32_e32 v46, v44, v7
	v_mov_b32_e32 v47, 0
	s_delay_alu instid0(VALU_DEP_1) | instskip(NEXT) | instid1(VALU_DEP_1)
	v_lshlrev_b64 v[46:47], 1, v[46:47]
	v_add_co_u32 v46, vcc_lo, v6, v46
	s_delay_alu instid0(VALU_DEP_2)
	v_add_co_ci_u32_e32 v47, vcc_lo, v32, v47, vcc_lo
	global_store_d16_hi_b16 v[46:47], v14, off
	s_or_b32 exec_lo, exec_lo, s19
	s_and_saveexec_b32 s19, s1
	s_cbranch_execnz .LBB875_162
	s_branch .LBB875_163
.LBB875_135:
	s_mov_b32 s16, 0
                                        ; implicit-def: $sgpr0
                                        ; implicit-def: $vgpr55
                                        ; implicit-def: $vgpr50
                                        ; implicit-def: $vgpr51
                                        ; implicit-def: $vgpr52
                                        ; implicit-def: $vgpr53
                                        ; implicit-def: $vgpr54
                                        ; implicit-def: $vgpr57
                                        ; implicit-def: $vgpr58
                                        ; implicit-def: $vgpr59
                                        ; implicit-def: $vgpr60
                                        ; implicit-def: $vgpr61
                                        ; implicit-def: $vgpr62
                                        ; implicit-def: $vgpr63
                                        ; implicit-def: $vgpr64
	s_cbranch_execz .LBB875_74
; %bb.136:
	v_lshrrev_b32_e32 v12, 16, v15
	v_lshrrev_b32_e32 v17, 16, v14
	;; [unrolled: 1-line block ×3, first 2 shown]
	v_lshlrev_b32_e32 v10, 1, v0
	s_mov_b32 s7, 1
	v_cmp_ne_u16_e32 vcc_lo, v15, v12
                                        ; implicit-def: $sgpr0
	ds_store_b16 v10, v12
	s_waitcnt lgkmcnt(0)
	v_cndmask_b32_e64 v55, 0, 1, vcc_lo
	v_cmp_ne_u16_e32 vcc_lo, v17, v15
	s_barrier
	buffer_gl0_inv
	v_cndmask_b32_e64 v50, 0, 1, vcc_lo
	v_cmp_ne_u16_e32 vcc_lo, v14, v17
	v_lshrrev_b32_e32 v17, 16, v4
	v_cndmask_b32_e64 v51, 0, 1, vcc_lo
	v_cmp_ne_u16_e32 vcc_lo, v21, v14
	v_cndmask_b32_e64 v52, 0, 1, vcc_lo
	v_cmp_ne_u16_e32 vcc_lo, v13, v21
	v_lshrrev_b32_e32 v21, 16, v3
	v_cndmask_b32_e64 v53, 0, 1, vcc_lo
	v_cmp_ne_u16_e32 vcc_lo, v17, v13
	;; [unrolled: 5-line block ×4, first 2 shown]
	v_cndmask_b32_e64 v60, 0, 1, vcc_lo
	v_cmp_ne_u16_e32 vcc_lo, v2, v17
	v_cndmask_b32_e64 v61, 0, 1, vcc_lo
	v_cmp_ne_u16_e32 vcc_lo, v21, v2
	;; [unrolled: 2-line block ×4, first 2 shown]
	v_cndmask_b32_e64 v64, 0, 1, vcc_lo
	s_and_saveexec_b32 s1, s3
	s_delay_alu instid0(SALU_CYCLE_1)
	s_xor_b32 s1, exec_lo, s1
	s_cbranch_execz .LBB875_138
; %bb.137:
	v_add_nc_u32_e32 v10, -2, v10
	s_or_b32 s16, s16, exec_lo
	ds_load_u16 v10, v10
	s_waitcnt lgkmcnt(0)
	v_cmp_ne_u16_e32 vcc_lo, v10, v56
	s_and_b32 s0, vcc_lo, exec_lo
.LBB875_138:
	s_or_b32 exec_lo, exec_lo, s1
	s_branch .LBB875_76
.LBB875_139:
	s_mul_hi_u32 s0, s24, 0xfffff100
	s_mul_i32 s1, s25, 0xfffff100
	s_sub_i32 s0, s0, s24
	s_mul_i32 s4, s24, 0xfffff100
	s_add_i32 s0, s0, s1
	s_add_u32 s14, s4, s36
	s_addc_u32 s15, s0, s37
	v_lshrrev_b32_e32 v42, 16, v15
	v_mad_u32_u24 v24, v0, 15, 14
	v_lshrrev_b32_e32 v74, 16, v14
	v_mad_u32_u24 v38, v0, 15, 12
	v_lshrrev_b32_e32 v66, 16, v13
	v_mad_u32_u24 v36, v0, 15, 10
	v_lshrrev_b32_e32 v65, 16, v4
	v_mad_u32_u24 v34, v0, 15, 8
	v_lshrrev_b32_e32 v45, 16, v3
	v_mad_u32_u24 v30, v0, 15, 6
	v_lshrrev_b32_e32 v44, 16, v2
	v_mad_u32_u24 v28, v0, 15, 4
	v_lshrrev_b32_e32 v43, 16, v1
	v_mad_u32_u24 v26, v0, 15, 2
	v_cmp_ne_u16_e64 s0, v56, v1
	s_and_b32 vcc_lo, exec_lo, s41
	s_cbranch_vccz .LBB875_146
; %bb.140:
	v_add_co_u32 v39, vcc_lo, -2, v8
	v_add_co_ci_u32_e32 v40, vcc_lo, -1, v6, vcc_lo
	v_mov_b32_e32 v25, 0
	v_cmp_ne_u16_e64 s1, v15, v42
	v_cmp_ne_u16_e64 s5, v74, v15
	flat_load_u16 v63, v[39:40]
	v_dual_mov_b32 v12, v25 :: v_dual_lshlrev_b32 v41, 1, v0
	v_mov_b32_e32 v23, v25
	v_cmp_gt_u64_e32 vcc_lo, s[14:15], v[24:25]
	v_mov_b32_e32 v39, v25
	v_mov_b32_e32 v21, v25
	;; [unrolled: 1-line block ×3, first 2 shown]
	v_cmp_gt_u64_e64 s4, s[14:15], v[22:23]
	v_cmp_ne_u16_e64 s7, v13, v66
	s_and_b32 s24, vcc_lo, s1
	v_cmp_gt_u64_e32 vcc_lo, s[14:15], v[38:39]
	v_cmp_gt_u64_e64 s6, s[14:15], v[36:37]
	v_cmp_ne_u16_e64 s1, v14, v74
	s_and_b32 s25, s4, s5
	v_cmp_gt_u64_e64 s4, s[14:15], v[20:21]
	v_cmp_ne_u16_e64 s5, v66, v14
	v_mov_b32_e32 v17, v25
	v_mov_b32_e32 v35, v25
	s_and_b32 s36, vcc_lo, s1
	s_and_b32 s40, s6, s7
	s_and_b32 s37, s4, s5
	v_cmp_gt_u64_e32 vcc_lo, s[14:15], v[16:17]
	v_cmp_gt_u64_e64 s4, s[14:15], v[34:35]
	v_cmp_gt_u64_e64 s6, s[14:15], v[11:12]
	v_cmp_ne_u16_e64 s1, v65, v13
	v_cmp_ne_u16_e64 s5, v4, v65
	;; [unrolled: 1-line block ×3, first 2 shown]
	v_mov_b32_e32 v31, v25
	v_mov_b32_e32 v10, v25
	;; [unrolled: 1-line block ×6, first 2 shown]
	s_and_b32 s41, vcc_lo, s1
	s_and_b32 s42, s4, s5
	s_and_b32 s43, s6, s7
	v_cmp_gt_u64_e32 vcc_lo, s[14:15], v[30:31]
	v_cmp_gt_u64_e64 s4, s[14:15], v[9:10]
	v_cmp_gt_u64_e64 s6, s[14:15], v[28:29]
	;; [unrolled: 1-line block ×5, first 2 shown]
	v_cmp_ne_u16_e64 s1, v3, v45
	v_cmp_ne_u16_e64 s5, v44, v3
	;; [unrolled: 1-line block ×5, first 2 shown]
	v_mul_u32_u24_e32 v40, 15, v0
	s_mov_b32 s16, -1
	s_mov_b32 s13, 0
	s_and_b32 s44, vcc_lo, s1
	s_and_b32 s5, s4, s5
	s_and_b32 s6, s6, s7
	;; [unrolled: 1-line block ×5, first 2 shown]
	ds_store_b16 v41, v42
	s_waitcnt vmcnt(0) lgkmcnt(0)
	s_barrier
	buffer_gl0_inv
	s_and_saveexec_b32 s0, s3
	s_cbranch_execz .LBB875_142
; %bb.141:
	v_add_nc_u32_e32 v6, -2, v41
	ds_load_u16 v63, v6
.LBB875_142:
	s_or_b32 exec_lo, exec_lo, s0
	v_mov_b32_e32 v41, v25
	s_waitcnt lgkmcnt(0)
	v_cmp_ne_u16_e64 s0, v63, v56
	v_cndmask_b32_e64 v55, 0, 1, s24
	v_cndmask_b32_e64 v50, 0, 1, s25
	;; [unrolled: 1-line block ×3, first 2 shown]
	v_cmp_gt_u64_e32 vcc_lo, s[14:15], v[40:41]
	v_cndmask_b32_e64 v52, 0, 1, s37
	v_cndmask_b32_e64 v53, 0, 1, s40
	;; [unrolled: 1-line block ×11, first 2 shown]
	s_and_b32 s0, vcc_lo, s0
	s_and_b32 vcc_lo, exec_lo, s13
	s_cbranch_vccnz .LBB875_147
.LBB875_143:
                                        ; implicit-def: $sgpr7
	v_mov_b32_e32 v65, s7
	s_and_saveexec_b32 s1, s16
	s_cbranch_execnz .LBB875_77
	s_branch .LBB875_78
.LBB875_144:
	s_and_not1_saveexec_b32 s16, s16
	s_cbranch_execz .LBB875_164
.LBB875_145:
	v_sub_nc_u32_e32 v46, v36, v7
	v_mov_b32_e32 v47, 0
	s_or_b32 s19, s19, exec_lo
	s_delay_alu instid0(VALU_DEP_1) | instskip(SKIP_1) | instid1(VALU_DEP_1)
	v_lshlrev_b64 v[48:49], 1, v[46:47]
	v_sub_nc_u32_e32 v46, v42, v7
	v_lshlrev_b64 v[67:68], 1, v[46:47]
	v_sub_nc_u32_e32 v46, v38, v7
	s_delay_alu instid0(VALU_DEP_4) | instskip(SKIP_1) | instid1(VALU_DEP_3)
	v_add_co_u32 v48, vcc_lo, v6, v48
	v_add_co_ci_u32_e32 v49, vcc_lo, v32, v49, vcc_lo
	v_lshlrev_b64 v[69:70], 1, v[46:47]
	v_sub_nc_u32_e32 v46, v34, v7
	v_add_co_u32 v67, vcc_lo, v6, v67
	v_add_co_ci_u32_e32 v68, vcc_lo, v32, v68, vcc_lo
	global_store_b16 v[48:49], v56, off
	v_lshlrev_b64 v[48:49], 1, v[46:47]
	v_sub_nc_u32_e32 v46, v26, v7
	global_store_b16 v[67:68], v1, off
	v_add_co_u32 v67, vcc_lo, v6, v69
	v_add_co_ci_u32_e32 v68, vcc_lo, v32, v70, vcc_lo
	v_lshlrev_b64 v[69:70], 1, v[46:47]
	v_sub_nc_u32_e32 v46, v22, v7
	v_add_co_u32 v48, vcc_lo, v6, v48
	v_add_co_ci_u32_e32 v49, vcc_lo, v32, v49, vcc_lo
	s_delay_alu instid0(VALU_DEP_3) | instskip(SKIP_3) | instid1(VALU_DEP_3)
	v_lshlrev_b64 v[71:72], 1, v[46:47]
	v_sub_nc_u32_e32 v46, v20, v7
	v_add_co_u32 v69, vcc_lo, v6, v69
	v_add_co_ci_u32_e32 v70, vcc_lo, v32, v70, vcc_lo
	v_lshlrev_b64 v[73:74], 1, v[46:47]
	v_sub_nc_u32_e32 v46, v24, v7
	v_add_co_u32 v71, vcc_lo, v6, v71
	v_add_co_ci_u32_e32 v72, vcc_lo, v32, v72, vcc_lo
	s_clause 0x3
	global_store_d16_hi_b16 v[67:68], v1, off
	global_store_b16 v[48:49], v2, off
	global_store_d16_hi_b16 v[69:70], v2, off
	global_store_b16 v[71:72], v3, off
	v_lshlrev_b64 v[48:49], 1, v[46:47]
	v_sub_nc_u32_e32 v46, v28, v7
	v_add_co_u32 v67, vcc_lo, v6, v73
	v_add_co_ci_u32_e32 v68, vcc_lo, v32, v74, vcc_lo
	s_delay_alu instid0(VALU_DEP_3) | instskip(SKIP_3) | instid1(VALU_DEP_3)
	v_lshlrev_b64 v[69:70], 1, v[46:47]
	v_sub_nc_u32_e32 v46, v9, v7
	v_add_co_u32 v48, vcc_lo, v6, v48
	v_add_co_ci_u32_e32 v49, vcc_lo, v32, v49, vcc_lo
	v_lshlrev_b64 v[71:72], 1, v[46:47]
	v_sub_nc_u32_e32 v46, v11, v7
	v_add_co_u32 v69, vcc_lo, v6, v69
	v_add_co_ci_u32_e32 v70, vcc_lo, v32, v70, vcc_lo
	s_delay_alu instid0(VALU_DEP_3)
	v_lshlrev_b64 v[73:74], 1, v[46:47]
	v_sub_nc_u32_e32 v46, v16, v7
	v_add_co_u32 v71, vcc_lo, v6, v71
	v_add_co_ci_u32_e32 v72, vcc_lo, v32, v72, vcc_lo
	s_clause 0x3
	global_store_d16_hi_b16 v[67:68], v3, off
	global_store_b16 v[48:49], v4, off
	global_store_d16_hi_b16 v[69:70], v4, off
	global_store_b16 v[71:72], v13, off
	v_lshlrev_b64 v[48:49], 1, v[46:47]
	v_sub_nc_u32_e32 v46, v44, v7
	v_add_co_u32 v67, vcc_lo, v6, v73
	v_add_co_ci_u32_e32 v68, vcc_lo, v32, v74, vcc_lo
	s_delay_alu instid0(VALU_DEP_3) | instskip(SKIP_3) | instid1(VALU_DEP_3)
	v_lshlrev_b64 v[69:70], 1, v[46:47]
	v_sub_nc_u32_e32 v46, v40, v7
	v_add_co_u32 v48, vcc_lo, v6, v48
	v_add_co_ci_u32_e32 v49, vcc_lo, v32, v49, vcc_lo
	v_lshlrev_b64 v[46:47], 1, v[46:47]
	v_add_co_u32 v69, vcc_lo, v6, v69
	v_add_co_ci_u32_e32 v70, vcc_lo, v32, v70, vcc_lo
	s_clause 0x2
	global_store_d16_hi_b16 v[67:68], v13, off
	global_store_b16 v[48:49], v14, off
	global_store_d16_hi_b16 v[69:70], v14, off
	v_add_co_u32 v46, vcc_lo, v6, v46
	v_add_co_ci_u32_e32 v47, vcc_lo, v32, v47, vcc_lo
	global_store_b16 v[46:47], v15, off
	s_or_b32 exec_lo, exec_lo, s16
	s_delay_alu instid0(SALU_CYCLE_1)
	s_and_b32 exec_lo, exec_lo, s19
	s_cbranch_execnz .LBB875_165
	s_branch .LBB875_166
.LBB875_146:
                                        ; implicit-def: $sgpr0
                                        ; implicit-def: $vgpr55
                                        ; implicit-def: $vgpr50
                                        ; implicit-def: $vgpr51
                                        ; implicit-def: $vgpr52
                                        ; implicit-def: $vgpr53
                                        ; implicit-def: $vgpr54
                                        ; implicit-def: $vgpr57
                                        ; implicit-def: $vgpr58
                                        ; implicit-def: $vgpr59
                                        ; implicit-def: $vgpr60
                                        ; implicit-def: $vgpr61
                                        ; implicit-def: $vgpr62
                                        ; implicit-def: $vgpr63
                                        ; implicit-def: $vgpr64
	s_cbranch_execz .LBB875_143
.LBB875_147:
	v_dual_mov_b32 v25, 0 :: v_dual_lshlrev_b32 v40, 1, v0
	v_cmp_ne_u16_e32 vcc_lo, v15, v42
	v_cmp_ne_u16_e64 s4, v14, v74
	v_cmp_ne_u16_e64 s0, v74, v15
	s_delay_alu instid0(VALU_DEP_4)
	v_mov_b32_e32 v39, v25
	v_mov_b32_e32 v23, v25
	v_cmp_gt_u64_e64 s1, s[14:15], v[24:25]
	v_mov_b32_e32 v37, v25
	v_mov_b32_e32 v21, v25
	v_cmp_gt_u64_e64 s6, s[14:15], v[38:39]
	v_cmp_gt_u64_e64 s5, s[14:15], v[22:23]
	v_mov_b32_e32 v17, v25
	s_and_b32 s1, s1, vcc_lo
	v_cmp_gt_u64_e32 vcc_lo, s[14:15], v[20:21]
	v_cndmask_b32_e64 v55, 0, 1, s1
	s_and_b32 s1, s6, s4
	s_and_b32 s0, s5, s0
	v_cndmask_b32_e64 v51, 0, 1, s1
	v_cmp_gt_u64_e64 s1, s[14:15], v[36:37]
	v_cmp_ne_u16_e64 s4, v13, v66
	v_cndmask_b32_e64 v50, 0, 1, s0
	v_cmp_ne_u16_e64 s0, v66, v14
	v_mov_b32_e32 v35, v25
	v_mov_b32_e32 v12, v25
	s_and_b32 s1, s1, s4
	v_cmp_ne_u16_e64 s4, v4, v65
	s_and_b32 s0, vcc_lo, s0
	v_cmp_gt_u64_e32 vcc_lo, s[14:15], v[16:17]
	v_cndmask_b32_e64 v53, 0, 1, s1
	v_cmp_gt_u64_e64 s1, s[14:15], v[34:35]
	v_cndmask_b32_e64 v52, 0, 1, s0
	v_cmp_ne_u16_e64 s0, v65, v13
	v_mov_b32_e32 v31, v25
	v_mov_b32_e32 v10, v25
	;; [unrolled: 1-line block ×3, first 2 shown]
	s_and_b32 s1, s1, s4
	s_and_b32 s0, vcc_lo, s0
	v_cmp_gt_u64_e32 vcc_lo, s[14:15], v[11:12]
	v_cndmask_b32_e64 v54, 0, 1, s0
	v_cmp_ne_u16_e64 s0, v45, v4
	v_cndmask_b32_e64 v57, 0, 1, s1
	v_cmp_gt_u64_e64 s1, s[14:15], v[30:31]
	v_cmp_ne_u16_e64 s4, v3, v45
	v_mov_b32_e32 v8, v25
	s_and_b32 s0, vcc_lo, s0
	v_cmp_gt_u64_e32 vcc_lo, s[14:15], v[9:10]
	v_cndmask_b32_e64 v58, 0, 1, s0
	s_and_b32 s1, s1, s4
	v_cmp_ne_u16_e64 s0, v44, v3
	v_cndmask_b32_e64 v59, 0, 1, s1
	v_cmp_gt_u64_e64 s1, s[14:15], v[28:29]
	v_cmp_ne_u16_e64 s4, v2, v44
	v_mov_b32_e32 v27, v25
	s_and_b32 s0, vcc_lo, s0
	v_mov_b32_e32 v6, v25
	v_cndmask_b32_e64 v60, 0, 1, s0
	s_and_b32 s0, s1, s4
	v_cmp_gt_u64_e32 vcc_lo, s[14:15], v[7:8]
	v_cndmask_b32_e64 v61, 0, 1, s0
	v_cmp_ne_u16_e64 s0, v43, v2
	v_cmp_gt_u64_e64 s1, s[14:15], v[26:27]
	v_cmp_ne_u16_e64 s4, v1, v43
	v_cmp_gt_u64_e64 s5, s[14:15], v[5:6]
	v_cmp_ne_u16_e64 s6, v56, v1
	s_and_b32 s0, vcc_lo, s0
	s_mov_b32 s7, 1
	v_cndmask_b32_e64 v62, 0, 1, s0
	s_and_b32 s0, s1, s4
	ds_store_b16 v40, v42
	v_cndmask_b32_e64 v63, 0, 1, s0
	s_and_b32 s0, s5, s6
	s_waitcnt lgkmcnt(0)
	v_cndmask_b32_e64 v64, 0, 1, s0
	s_barrier
	buffer_gl0_inv
                                        ; implicit-def: $sgpr0
	s_and_saveexec_b32 s1, s3
	s_cbranch_execz .LBB875_186
; %bb.148:
	v_add_nc_u32_e32 v5, -2, v40
	v_mul_u32_u24_e32 v24, 15, v0
	s_or_b32 s16, s16, exec_lo
	ds_load_u16 v5, v5
	v_cmp_gt_u64_e32 vcc_lo, s[14:15], v[24:25]
	s_waitcnt lgkmcnt(0)
	v_cmp_ne_u16_e64 s0, v5, v56
	s_delay_alu instid0(VALU_DEP_1) | instskip(NEXT) | instid1(SALU_CYCLE_1)
	s_and_b32 s0, vcc_lo, s0
	s_and_b32 s0, s0, exec_lo
	s_or_b32 exec_lo, exec_lo, s1
	v_mov_b32_e32 v65, s7
	s_and_saveexec_b32 s1, s16
	s_cbranch_execz .LBB875_78
	s_branch .LBB875_77
.LBB875_149:
	s_or_b32 exec_lo, exec_lo, s19
	s_and_saveexec_b32 s19, s14
	s_cbranch_execz .LBB875_123
.LBB875_150:
	v_sub_nc_u32_e32 v46, v42, v7
	v_mov_b32_e32 v47, 0
	s_delay_alu instid0(VALU_DEP_1) | instskip(NEXT) | instid1(VALU_DEP_1)
	v_lshlrev_b64 v[46:47], 1, v[46:47]
	v_add_co_u32 v46, vcc_lo, v6, v46
	s_delay_alu instid0(VALU_DEP_2)
	v_add_co_ci_u32_e32 v47, vcc_lo, v32, v47, vcc_lo
	global_store_b16 v[46:47], v1, off
	s_or_b32 exec_lo, exec_lo, s19
	s_and_saveexec_b32 s19, s13
	s_cbranch_execnz .LBB875_124
.LBB875_151:
	s_or_b32 exec_lo, exec_lo, s19
	s_and_saveexec_b32 s19, s12
	s_cbranch_execz .LBB875_125
.LBB875_152:
	v_sub_nc_u32_e32 v46, v34, v7
	v_mov_b32_e32 v47, 0
	s_delay_alu instid0(VALU_DEP_1) | instskip(NEXT) | instid1(VALU_DEP_1)
	v_lshlrev_b64 v[46:47], 1, v[46:47]
	v_add_co_u32 v46, vcc_lo, v6, v46
	s_delay_alu instid0(VALU_DEP_2)
	v_add_co_ci_u32_e32 v47, vcc_lo, v32, v47, vcc_lo
	global_store_b16 v[46:47], v2, off
	s_or_b32 exec_lo, exec_lo, s19
	s_and_saveexec_b32 s19, s11
	s_cbranch_execnz .LBB875_126
.LBB875_153:
	s_or_b32 exec_lo, exec_lo, s19
	s_and_saveexec_b32 s19, s10
	s_cbranch_execz .LBB875_127
.LBB875_154:
	v_sub_nc_u32_e32 v46, v22, v7
	v_mov_b32_e32 v47, 0
	s_delay_alu instid0(VALU_DEP_1) | instskip(NEXT) | instid1(VALU_DEP_1)
	v_lshlrev_b64 v[46:47], 1, v[46:47]
	v_add_co_u32 v46, vcc_lo, v6, v46
	s_delay_alu instid0(VALU_DEP_2)
	v_add_co_ci_u32_e32 v47, vcc_lo, v32, v47, vcc_lo
	global_store_b16 v[46:47], v3, off
	s_or_b32 exec_lo, exec_lo, s19
	s_and_saveexec_b32 s19, s8
	s_cbranch_execnz .LBB875_128
.LBB875_155:
	s_or_b32 exec_lo, exec_lo, s19
	s_and_saveexec_b32 s19, s6
	s_cbranch_execz .LBB875_129
.LBB875_156:
	v_sub_nc_u32_e32 v46, v24, v7
	v_mov_b32_e32 v47, 0
	s_delay_alu instid0(VALU_DEP_1) | instskip(NEXT) | instid1(VALU_DEP_1)
	v_lshlrev_b64 v[46:47], 1, v[46:47]
	v_add_co_u32 v46, vcc_lo, v6, v46
	s_delay_alu instid0(VALU_DEP_2)
	v_add_co_ci_u32_e32 v47, vcc_lo, v32, v47, vcc_lo
	global_store_b16 v[46:47], v4, off
	s_or_b32 exec_lo, exec_lo, s19
	s_and_saveexec_b32 s19, s9
	s_cbranch_execnz .LBB875_130
.LBB875_157:
	s_or_b32 exec_lo, exec_lo, s19
	s_and_saveexec_b32 s19, s7
	s_cbranch_execz .LBB875_131
.LBB875_158:
	v_sub_nc_u32_e32 v46, v9, v7
	v_mov_b32_e32 v47, 0
	s_delay_alu instid0(VALU_DEP_1) | instskip(NEXT) | instid1(VALU_DEP_1)
	v_lshlrev_b64 v[46:47], 1, v[46:47]
	v_add_co_u32 v46, vcc_lo, v6, v46
	s_delay_alu instid0(VALU_DEP_2)
	v_add_co_ci_u32_e32 v47, vcc_lo, v32, v47, vcc_lo
	global_store_b16 v[46:47], v13, off
	s_or_b32 exec_lo, exec_lo, s19
	s_and_saveexec_b32 s19, s5
	s_cbranch_execnz .LBB875_132
.LBB875_159:
	s_or_b32 exec_lo, exec_lo, s19
	s_and_saveexec_b32 s19, s4
	s_cbranch_execz .LBB875_133
.LBB875_160:
	v_sub_nc_u32_e32 v46, v16, v7
	v_mov_b32_e32 v47, 0
	s_delay_alu instid0(VALU_DEP_1) | instskip(NEXT) | instid1(VALU_DEP_1)
	v_lshlrev_b64 v[46:47], 1, v[46:47]
	v_add_co_u32 v46, vcc_lo, v6, v46
	s_delay_alu instid0(VALU_DEP_2)
	v_add_co_ci_u32_e32 v47, vcc_lo, v32, v47, vcc_lo
	global_store_b16 v[46:47], v14, off
	s_or_b32 exec_lo, exec_lo, s19
	s_and_saveexec_b32 s19, s3
	s_cbranch_execnz .LBB875_134
.LBB875_161:
	s_or_b32 exec_lo, exec_lo, s19
	s_and_saveexec_b32 s19, s1
	s_cbranch_execz .LBB875_163
.LBB875_162:
	v_sub_nc_u32_e32 v46, v40, v7
	v_mov_b32_e32 v47, 0
	s_delay_alu instid0(VALU_DEP_1) | instskip(NEXT) | instid1(VALU_DEP_1)
	v_lshlrev_b64 v[46:47], 1, v[46:47]
	v_add_co_u32 v46, vcc_lo, v6, v46
	s_delay_alu instid0(VALU_DEP_2)
	v_add_co_ci_u32_e32 v47, vcc_lo, v32, v47, vcc_lo
	global_store_b16 v[46:47], v15, off
.LBB875_163:
	s_or_b32 exec_lo, exec_lo, s19
	s_delay_alu instid0(SALU_CYCLE_1)
	s_and_b32 s19, s0, exec_lo
	s_and_not1_saveexec_b32 s16, s16
	s_cbranch_execnz .LBB875_145
.LBB875_164:
	s_or_b32 exec_lo, exec_lo, s16
	s_delay_alu instid0(SALU_CYCLE_1)
	s_and_b32 exec_lo, exec_lo, s19
	s_cbranch_execz .LBB875_166
.LBB875_165:
	v_sub_nc_u32_e32 v46, v30, v7
	v_mov_b32_e32 v47, 0
	s_delay_alu instid0(VALU_DEP_1) | instskip(NEXT) | instid1(VALU_DEP_1)
	v_lshlrev_b64 v[46:47], 1, v[46:47]
	v_add_co_u32 v46, vcc_lo, v6, v46
	s_delay_alu instid0(VALU_DEP_2)
	v_add_co_ci_u32_e32 v47, vcc_lo, v32, v47, vcc_lo
	global_store_d16_hi_b16 v[46:47], v15, off
.LBB875_166:
	s_or_b32 exec_lo, exec_lo, s18
	s_mov_b32 s18, 0
.LBB875_167:
	s_delay_alu instid0(SALU_CYCLE_1)
	s_and_b32 vcc_lo, exec_lo, s18
	s_cbranch_vccz .LBB875_220
; %bb.168:
	s_mov_b32 s16, exec_lo
	v_cmpx_gt_i16_e32 2, v33
	s_cbranch_execz .LBB875_204
; %bb.169:
	s_mov_b32 s19, 0
	s_mov_b32 s18, exec_lo
	v_cmpx_ne_u16_e32 1, v33
	s_xor_b32 s18, exec_lo, s18
	s_cbranch_execz .LBB875_184
; %bb.170:
	s_and_saveexec_b32 s19, s15
	s_cbranch_execz .LBB875_187
; %bb.171:
	v_sub_nc_u32_e32 v33, v36, v7
	s_delay_alu instid0(VALU_DEP_1)
	v_lshlrev_b32_e32 v33, 1, v33
	ds_store_b16 v33, v56
	s_or_b32 exec_lo, exec_lo, s19
	s_and_saveexec_b32 s15, s14
	s_cbranch_execnz .LBB875_188
.LBB875_172:
	s_or_b32 exec_lo, exec_lo, s15
	s_and_saveexec_b32 s14, s13
	s_cbranch_execz .LBB875_189
.LBB875_173:
	v_sub_nc_u32_e32 v33, v38, v7
	s_delay_alu instid0(VALU_DEP_1)
	v_lshlrev_b32_e32 v33, 1, v33
	ds_store_b16_d16_hi v33, v1
	s_or_b32 exec_lo, exec_lo, s14
	s_and_saveexec_b32 s13, s12
	s_cbranch_execnz .LBB875_190
.LBB875_174:
	s_or_b32 exec_lo, exec_lo, s13
	s_and_saveexec_b32 s12, s11
	s_cbranch_execz .LBB875_191
.LBB875_175:
	v_sub_nc_u32_e32 v1, v26, v7
	s_delay_alu instid0(VALU_DEP_1)
	v_lshlrev_b32_e32 v1, 1, v1
	ds_store_b16_d16_hi v1, v2
	s_or_b32 exec_lo, exec_lo, s12
	s_and_saveexec_b32 s11, s10
	s_cbranch_execnz .LBB875_192
.LBB875_176:
	s_or_b32 exec_lo, exec_lo, s11
	s_and_saveexec_b32 s10, s8
	s_cbranch_execz .LBB875_193
.LBB875_177:
	v_sub_nc_u32_e32 v1, v20, v7
	s_delay_alu instid0(VALU_DEP_1)
	v_lshlrev_b32_e32 v1, 1, v1
	ds_store_b16_d16_hi v1, v3
	s_or_b32 exec_lo, exec_lo, s10
	s_and_saveexec_b32 s8, s6
	s_cbranch_execnz .LBB875_194
.LBB875_178:
	s_or_b32 exec_lo, exec_lo, s8
	s_and_saveexec_b32 s6, s9
	s_cbranch_execz .LBB875_195
.LBB875_179:
	v_sub_nc_u32_e32 v1, v28, v7
	s_delay_alu instid0(VALU_DEP_1)
	v_lshlrev_b32_e32 v1, 1, v1
	ds_store_b16_d16_hi v1, v4
	s_or_b32 exec_lo, exec_lo, s6
	s_and_saveexec_b32 s6, s7
	s_cbranch_execnz .LBB875_196
.LBB875_180:
	s_or_b32 exec_lo, exec_lo, s6
	s_and_saveexec_b32 s6, s5
	s_cbranch_execz .LBB875_197
.LBB875_181:
	v_sub_nc_u32_e32 v1, v11, v7
	s_delay_alu instid0(VALU_DEP_1)
	v_lshlrev_b32_e32 v1, 1, v1
	ds_store_b16_d16_hi v1, v13
	s_or_b32 exec_lo, exec_lo, s6
	s_and_saveexec_b32 s5, s4
	s_cbranch_execnz .LBB875_198
.LBB875_182:
	s_or_b32 exec_lo, exec_lo, s5
	s_and_saveexec_b32 s4, s3
	s_cbranch_execz .LBB875_199
.LBB875_183:
	v_sub_nc_u32_e32 v1, v44, v7
	s_delay_alu instid0(VALU_DEP_1)
	v_lshlrev_b32_e32 v1, 1, v1
	ds_store_b16_d16_hi v1, v14
	s_or_b32 exec_lo, exec_lo, s4
	s_and_saveexec_b32 s3, s1
	s_cbranch_execnz .LBB875_200
	s_branch .LBB875_201
.LBB875_184:
	s_and_not1_saveexec_b32 s0, s18
	s_cbranch_execz .LBB875_202
.LBB875_185:
	v_sub_nc_u32_e32 v33, v36, v7
	v_sub_nc_u32_e32 v46, v42, v7
	v_sub_nc_u32_e32 v47, v38, v7
	v_sub_nc_u32_e32 v48, v34, v7
	s_or_b32 s19, s19, exec_lo
	v_lshlrev_b32_e32 v33, 1, v33
	v_lshlrev_b32_e32 v46, 1, v46
	;; [unrolled: 1-line block ×4, first 2 shown]
	ds_store_b16 v33, v56
	ds_store_b16 v46, v1
	ds_store_b16_d16_hi v47, v1
	v_sub_nc_u32_e32 v1, v26, v7
	v_sub_nc_u32_e32 v33, v22, v7
	ds_store_b16 v48, v2
	v_sub_nc_u32_e32 v48, v28, v7
	v_sub_nc_u32_e32 v46, v20, v7
	v_lshlrev_b32_e32 v1, 1, v1
	v_sub_nc_u32_e32 v47, v24, v7
	v_lshlrev_b32_e32 v33, 1, v33
	s_delay_alu instid0(VALU_DEP_4)
	v_lshlrev_b32_e32 v46, 1, v46
	ds_store_b16_d16_hi v1, v2
	v_lshlrev_b32_e32 v1, 1, v48
	v_sub_nc_u32_e32 v2, v9, v7
	v_lshlrev_b32_e32 v47, 1, v47
	ds_store_b16 v33, v3
	ds_store_b16_d16_hi v46, v3
	ds_store_b16 v47, v4
	ds_store_b16_d16_hi v1, v4
	v_sub_nc_u32_e32 v1, v11, v7
	v_lshlrev_b32_e32 v2, 1, v2
	v_sub_nc_u32_e32 v33, v40, v7
	v_sub_nc_u32_e32 v3, v16, v7
	;; [unrolled: 1-line block ×3, first 2 shown]
	v_lshlrev_b32_e32 v1, 1, v1
	ds_store_b16 v2, v13
	v_lshlrev_b32_e32 v2, 1, v33
	v_lshlrev_b32_e32 v3, 1, v3
	;; [unrolled: 1-line block ×3, first 2 shown]
	ds_store_b16_d16_hi v1, v13
	ds_store_b16 v3, v14
	ds_store_b16_d16_hi v4, v14
	ds_store_b16 v2, v15
	s_or_b32 exec_lo, exec_lo, s0
	s_delay_alu instid0(SALU_CYCLE_1)
	s_and_b32 exec_lo, exec_lo, s19
	s_cbranch_execnz .LBB875_203
	s_branch .LBB875_204
.LBB875_186:
	s_or_b32 exec_lo, exec_lo, s1
	v_mov_b32_e32 v65, s7
	s_and_saveexec_b32 s1, s16
	s_cbranch_execnz .LBB875_77
	s_branch .LBB875_78
.LBB875_187:
	s_or_b32 exec_lo, exec_lo, s19
	s_and_saveexec_b32 s15, s14
	s_cbranch_execz .LBB875_172
.LBB875_188:
	v_sub_nc_u32_e32 v33, v42, v7
	s_delay_alu instid0(VALU_DEP_1)
	v_lshlrev_b32_e32 v33, 1, v33
	ds_store_b16 v33, v1
	s_or_b32 exec_lo, exec_lo, s15
	s_and_saveexec_b32 s14, s13
	s_cbranch_execnz .LBB875_173
.LBB875_189:
	s_or_b32 exec_lo, exec_lo, s14
	s_and_saveexec_b32 s13, s12
	s_cbranch_execz .LBB875_174
.LBB875_190:
	v_sub_nc_u32_e32 v1, v34, v7
	s_delay_alu instid0(VALU_DEP_1)
	v_lshlrev_b32_e32 v1, 1, v1
	ds_store_b16 v1, v2
	s_or_b32 exec_lo, exec_lo, s13
	s_and_saveexec_b32 s12, s11
	s_cbranch_execnz .LBB875_175
.LBB875_191:
	s_or_b32 exec_lo, exec_lo, s12
	s_and_saveexec_b32 s11, s10
	s_cbranch_execz .LBB875_176
.LBB875_192:
	v_sub_nc_u32_e32 v1, v22, v7
	s_delay_alu instid0(VALU_DEP_1)
	v_lshlrev_b32_e32 v1, 1, v1
	ds_store_b16 v1, v3
	s_or_b32 exec_lo, exec_lo, s11
	s_and_saveexec_b32 s10, s8
	s_cbranch_execnz .LBB875_177
.LBB875_193:
	s_or_b32 exec_lo, exec_lo, s10
	s_and_saveexec_b32 s8, s6
	s_cbranch_execz .LBB875_178
.LBB875_194:
	v_sub_nc_u32_e32 v1, v24, v7
	s_delay_alu instid0(VALU_DEP_1)
	v_lshlrev_b32_e32 v1, 1, v1
	ds_store_b16 v1, v4
	s_or_b32 exec_lo, exec_lo, s8
	s_and_saveexec_b32 s6, s9
	s_cbranch_execnz .LBB875_179
.LBB875_195:
	s_or_b32 exec_lo, exec_lo, s6
	s_and_saveexec_b32 s6, s7
	s_cbranch_execz .LBB875_180
.LBB875_196:
	v_sub_nc_u32_e32 v1, v9, v7
	s_delay_alu instid0(VALU_DEP_1)
	v_lshlrev_b32_e32 v1, 1, v1
	ds_store_b16 v1, v13
	s_or_b32 exec_lo, exec_lo, s6
	s_and_saveexec_b32 s6, s5
	s_cbranch_execnz .LBB875_181
.LBB875_197:
	s_or_b32 exec_lo, exec_lo, s6
	s_and_saveexec_b32 s5, s4
	s_cbranch_execz .LBB875_182
.LBB875_198:
	v_sub_nc_u32_e32 v1, v16, v7
	s_delay_alu instid0(VALU_DEP_1)
	v_lshlrev_b32_e32 v1, 1, v1
	ds_store_b16 v1, v14
	s_or_b32 exec_lo, exec_lo, s5
	s_and_saveexec_b32 s4, s3
	s_cbranch_execnz .LBB875_183
.LBB875_199:
	s_or_b32 exec_lo, exec_lo, s4
	s_and_saveexec_b32 s3, s1
	s_cbranch_execz .LBB875_201
.LBB875_200:
	v_sub_nc_u32_e32 v1, v40, v7
	s_delay_alu instid0(VALU_DEP_1)
	v_lshlrev_b32_e32 v1, 1, v1
	ds_store_b16 v1, v15
.LBB875_201:
	s_or_b32 exec_lo, exec_lo, s3
	s_delay_alu instid0(SALU_CYCLE_1)
	s_and_b32 s19, s0, exec_lo
                                        ; implicit-def: $vgpr56
                                        ; implicit-def: $vgpr1
	s_and_not1_saveexec_b32 s0, s18
	s_cbranch_execnz .LBB875_185
.LBB875_202:
	s_or_b32 exec_lo, exec_lo, s0
	s_delay_alu instid0(SALU_CYCLE_1)
	s_and_b32 exec_lo, exec_lo, s19
	s_cbranch_execz .LBB875_204
.LBB875_203:
	v_sub_nc_u32_e32 v1, v30, v7
	s_delay_alu instid0(VALU_DEP_1)
	v_lshlrev_b32_e32 v1, 1, v1
	ds_store_b16_d16_hi v1, v15
.LBB875_204:
	s_or_b32 exec_lo, exec_lo, s16
	s_delay_alu instid0(SALU_CYCLE_1)
	s_mov_b32 s1, exec_lo
	s_waitcnt lgkmcnt(0)
	s_waitcnt_vscnt null, 0x0
	s_barrier
	buffer_gl0_inv
	v_cmpx_lt_u32_e64 v0, v5
	s_cbranch_execz .LBB875_219
; %bb.205:
	v_xad_u32 v2, v0, -1, v5
	v_mov_b32_e32 v1, v0
	s_mov_b32 s0, -1
	s_mov_b32 s4, exec_lo
	s_delay_alu instid0(VALU_DEP_2)
	v_cmp_gt_u32_e64 s3, 0x1900, v2
	v_cmpx_lt_u32_e32 0x18ff, v2
	s_cbranch_execz .LBB875_216
; %bb.206:
	v_sub_nc_u32_e32 v1, v0, v5
	s_delay_alu instid0(VALU_DEP_1) | instskip(NEXT) | instid1(VALU_DEP_1)
	v_or_b32_e32 v1, 0xff, v1
	v_cmp_ge_u32_e32 vcc_lo, v1, v0
	v_mov_b32_e32 v1, v0
	s_and_saveexec_b32 s5, vcc_lo
	s_cbranch_execz .LBB875_215
; %bb.207:
	v_lshrrev_b32_e32 v4, 8, v2
	v_or_b32_e32 v1, 0x100, v0
	v_dual_mov_b32 v48, 0 :: v_dual_lshlrev_b32 v15, 1, v0
	s_delay_alu instid0(VALU_DEP_3) | instskip(NEXT) | instid1(VALU_DEP_1)
	v_add_nc_u32_e32 v2, -1, v4
	v_lshrrev_b32_e32 v3, 1, v2
	v_cmp_lt_u32_e32 vcc_lo, 13, v2
	s_delay_alu instid0(VALU_DEP_2)
	v_add_nc_u32_e32 v33, 1, v3
	v_dual_mov_b32 v3, v1 :: v_dual_mov_b32 v2, v0
	s_and_saveexec_b32 s0, vcc_lo
	s_cbranch_execz .LBB875_211
; %bb.208:
	v_dual_mov_b32 v14, 0 :: v_dual_mov_b32 v3, v1
	v_dual_mov_b32 v47, v15 :: v_dual_and_b32 v46, -8, v33
	v_mov_b32_e32 v2, v0
	s_mov_b32 s6, 0
	s_mov_b32 s7, 0
.LBB875_209:                            ; =>This Inner Loop Header: Depth=1
	s_delay_alu instid0(VALU_DEP_1) | instskip(SKIP_2) | instid1(VALU_DEP_3)
	v_dual_mov_b32 v13, v2 :: v_dual_add_nc_u32 v46, -8, v46
	v_dual_mov_b32 v68, v14 :: v_dual_add_nc_u32 v67, 0x200, v3
	v_dual_mov_b32 v70, v14 :: v_dual_add_nc_u32 v69, 0x400, v3
	v_lshlrev_b64 v[81:82], 1, v[13:14]
	s_delay_alu instid0(VALU_DEP_4) | instskip(NEXT) | instid1(VALU_DEP_4)
	v_cmp_eq_u32_e32 vcc_lo, 0, v46
	v_lshlrev_b64 v[67:68], 1, v[67:68]
	v_dual_mov_b32 v72, v14 :: v_dual_add_nc_u32 v71, 0x600, v3
	s_add_i32 s7, s7, 16
	v_lshlrev_b64 v[69:70], 1, v[69:70]
	s_or_b32 s6, vcc_lo, s6
	v_add_co_u32 v81, vcc_lo, v6, v81
	v_dual_mov_b32 v74, v14 :: v_dual_add_nc_u32 v73, 0x800, v3
	v_add_co_ci_u32_e32 v82, vcc_lo, v32, v82, vcc_lo
	v_lshlrev_b64 v[71:72], 1, v[71:72]
	v_add_co_u32 v67, vcc_lo, v6, v67
	v_dual_mov_b32 v76, v14 :: v_dual_add_nc_u32 v75, 0xa00, v3
	v_add_co_ci_u32_e32 v68, vcc_lo, v32, v68, vcc_lo
	v_lshlrev_b64 v[73:74], 1, v[73:74]
	;; [unrolled: 4-line block ×3, first 2 shown]
	v_add_co_u32 v71, vcc_lo, v6, v71
	v_dual_mov_b32 v80, v14 :: v_dual_add_nc_u32 v79, 0xe00, v3
	v_mov_b32_e32 v13, v3
	v_add_co_ci_u32_e32 v72, vcc_lo, v32, v72, vcc_lo
	v_lshlrev_b64 v[77:78], 1, v[77:78]
	v_add_co_u32 v73, vcc_lo, v6, v73
	ds_load_u16 v1, v47
	ds_load_u16 v49, v47 offset:512
	ds_load_u16 v56, v47 offset:1024
	ds_load_u16 v87, v47 offset:1536
	ds_load_u16 v88, v47 offset:2048
	ds_load_u16 v89, v47 offset:2560
	ds_load_u16 v90, v47 offset:3072
	ds_load_u16 v91, v47 offset:3584
	v_add_co_ci_u32_e32 v74, vcc_lo, v32, v74, vcc_lo
	v_lshlrev_b64 v[79:80], 1, v[79:80]
	v_add_co_u32 v75, vcc_lo, v6, v75
	v_lshlrev_b64 v[83:84], 1, v[13:14]
	v_add_nc_u32_e32 v13, 0x200, v2
	v_add_co_ci_u32_e32 v76, vcc_lo, v32, v76, vcc_lo
	v_add_co_u32 v77, vcc_lo, v6, v77
	v_add_co_ci_u32_e32 v78, vcc_lo, v32, v78, vcc_lo
	v_add_co_u32 v79, vcc_lo, v6, v79
	v_lshlrev_b64 v[85:86], 1, v[13:14]
	v_add_nc_u32_e32 v13, 0x400, v2
	v_add_co_ci_u32_e32 v80, vcc_lo, v32, v80, vcc_lo
	v_add_co_u32 v83, vcc_lo, v6, v83
	ds_load_u16 v92, v47 offset:4096
	ds_load_u16 v93, v47 offset:4608
	;; [unrolled: 1-line block ×8, first 2 shown]
	v_add_co_ci_u32_e32 v84, vcc_lo, v32, v84, vcc_lo
	s_waitcnt lgkmcnt(15)
	global_store_b16 v[81:82], v1, off
	v_lshlrev_b64 v[81:82], 1, v[13:14]
	v_add_nc_u32_e32 v13, 0x600, v2
	v_add_co_u32 v85, vcc_lo, v6, v85
	v_add_co_ci_u32_e32 v86, vcc_lo, v32, v86, vcc_lo
	s_waitcnt lgkmcnt(14)
	global_store_b16 v[83:84], v49, off
	v_lshlrev_b64 v[83:84], 1, v[13:14]
	v_add_nc_u32_e32 v13, 0x800, v2
	s_waitcnt lgkmcnt(13)
	global_store_b16 v[85:86], v56, off
	s_waitcnt lgkmcnt(12)
	global_store_b16 v[67:68], v87, off
	v_add_co_u32 v67, vcc_lo, v6, v81
	v_add_co_ci_u32_e32 v68, vcc_lo, v32, v82, vcc_lo
	v_lshlrev_b64 v[81:82], 1, v[13:14]
	v_add_nc_u32_e32 v13, 0xa00, v2
	v_add_co_u32 v83, vcc_lo, v6, v83
	v_add_co_ci_u32_e32 v84, vcc_lo, v32, v84, vcc_lo
	s_waitcnt lgkmcnt(11)
	global_store_b16 v[67:68], v88, off
	s_waitcnt lgkmcnt(10)
	global_store_b16 v[69:70], v89, off
	v_lshlrev_b64 v[67:68], 1, v[13:14]
	v_add_nc_u32_e32 v13, 0xc00, v2
	v_add_co_u32 v69, vcc_lo, v6, v81
	s_waitcnt lgkmcnt(9)
	global_store_b16 v[83:84], v90, off
	s_waitcnt lgkmcnt(8)
	global_store_b16 v[71:72], v91, off
	v_add_co_ci_u32_e32 v70, vcc_lo, v32, v82, vcc_lo
	v_lshlrev_b64 v[71:72], 1, v[13:14]
	v_add_nc_u32_e32 v13, 0xe00, v2
	v_add_nc_u32_e32 v2, 0x1000, v2
	v_add_co_u32 v67, vcc_lo, v6, v67
	v_add_co_ci_u32_e32 v68, vcc_lo, v32, v68, vcc_lo
	s_waitcnt lgkmcnt(7)
	global_store_b16 v[69:70], v92, off
	s_waitcnt lgkmcnt(6)
	global_store_b16 v[73:74], v93, off
	v_lshlrev_b64 v[69:70], 1, v[13:14]
	v_dual_mov_b32 v48, s7 :: v_dual_add_nc_u32 v47, 0x2000, v47
	s_waitcnt lgkmcnt(5)
	global_store_b16 v[67:68], v94, off
	v_add_co_u32 v67, vcc_lo, v6, v71
	v_add_nc_u32_e32 v3, 0x1000, v3
	v_add_co_ci_u32_e32 v68, vcc_lo, v32, v72, vcc_lo
	v_add_co_u32 v69, vcc_lo, v6, v69
	v_add_co_ci_u32_e32 v70, vcc_lo, v32, v70, vcc_lo
	s_waitcnt lgkmcnt(4)
	global_store_b16 v[75:76], v95, off
	s_waitcnt lgkmcnt(3)
	global_store_b16 v[67:68], v96, off
	;; [unrolled: 2-line block ×5, first 2 shown]
	s_and_not1_b32 exec_lo, exec_lo, s6
	s_cbranch_execnz .LBB875_209
; %bb.210:
	s_or_b32 exec_lo, exec_lo, s6
.LBB875_211:
	s_delay_alu instid0(SALU_CYCLE_1) | instskip(SKIP_3) | instid1(VALU_DEP_1)
	s_or_b32 exec_lo, exec_lo, s0
	v_and_b32_e32 v1, 7, v33
	s_mov_b32 s7, 0
	s_mov_b32 s6, exec_lo
	v_cmpx_ne_u32_e32 0, v1
	s_cbranch_execz .LBB875_214
; %bb.212:
	v_lshl_or_b32 v15, v48, 9, v15
	v_mov_b32_e32 v14, 0
	s_set_inst_prefetch_distance 0x1
	.p2align	6
.LBB875_213:                            ; =>This Inner Loop Header: Depth=1
	v_dual_mov_b32 v13, v2 :: v_dual_add_nc_u32 v2, 0x200, v2
	ds_load_u16 v33, v15
	ds_load_u16 v56, v15 offset:512
	v_add_nc_u32_e32 v1, -1, v1
	v_add_nc_u32_e32 v15, 0x400, v15
	v_lshlrev_b64 v[46:47], 1, v[13:14]
	v_mov_b32_e32 v13, v3
	v_add_nc_u32_e32 v3, 0x200, v3
	v_cmp_eq_u32_e32 vcc_lo, 0, v1
	s_delay_alu instid0(VALU_DEP_3) | instskip(SKIP_1) | instid1(VALU_DEP_1)
	v_lshlrev_b64 v[48:49], 1, v[13:14]
	v_add_co_u32 v46, s0, v6, v46
	v_add_co_ci_u32_e64 v47, s0, v32, v47, s0
	s_or_b32 s7, vcc_lo, s7
	s_delay_alu instid0(VALU_DEP_3) | instskip(NEXT) | instid1(VALU_DEP_1)
	v_add_co_u32 v48, s0, v6, v48
	v_add_co_ci_u32_e64 v49, s0, v32, v49, s0
	s_waitcnt lgkmcnt(1)
	global_store_b16 v[46:47], v33, off
	s_waitcnt lgkmcnt(0)
	global_store_b16 v[48:49], v56, off
	s_and_not1_b32 exec_lo, exec_lo, s7
	s_cbranch_execnz .LBB875_213
.LBB875_214:
	s_set_inst_prefetch_distance 0x2
	s_or_b32 exec_lo, exec_lo, s6
	v_add_nc_u32_e32 v1, 1, v4
	s_delay_alu instid0(VALU_DEP_1) | instskip(NEXT) | instid1(VALU_DEP_1)
	v_and_b32_e32 v2, 0x1fffffe, v1
	v_cmp_ne_u32_e32 vcc_lo, v1, v2
	v_lshl_or_b32 v1, v2, 8, v0
	s_or_not1_b32 s0, vcc_lo, exec_lo
.LBB875_215:
	s_or_b32 exec_lo, exec_lo, s5
	s_delay_alu instid0(SALU_CYCLE_1) | instskip(SKIP_1) | instid1(SALU_CYCLE_1)
	s_and_not1_b32 s3, s3, exec_lo
	s_and_b32 s0, s0, exec_lo
	s_or_b32 s3, s3, s0
.LBB875_216:
	s_or_b32 exec_lo, exec_lo, s4
	s_delay_alu instid0(VALU_DEP_2) | instid1(SALU_CYCLE_1)
	s_and_b32 exec_lo, exec_lo, s3
	s_cbranch_execz .LBB875_219
; %bb.217:
	v_dual_mov_b32 v2, 0 :: v_dual_lshlrev_b32 v3, 1, v1
	s_mov_b32 s3, 0
	.p2align	6
.LBB875_218:                            ; =>This Inner Loop Header: Depth=1
	ds_load_u16 v4, v3
	v_lshlrev_b64 v[13:14], 1, v[1:2]
	v_add_nc_u32_e32 v1, 0x100, v1
	v_add_nc_u32_e32 v3, 0x200, v3
	s_delay_alu instid0(VALU_DEP_2) | instskip(NEXT) | instid1(VALU_DEP_4)
	v_cmp_ge_u32_e32 vcc_lo, v1, v5
	v_add_co_u32 v13, s0, v6, v13
	s_delay_alu instid0(VALU_DEP_1)
	v_add_co_ci_u32_e64 v14, s0, v32, v14, s0
	s_or_b32 s3, vcc_lo, s3
	s_waitcnt lgkmcnt(0)
	global_store_b16 v[13:14], v4, off
	s_and_not1_b32 exec_lo, exec_lo, s3
	s_cbranch_execnz .LBB875_218
.LBB875_219:
	s_or_b32 exec_lo, exec_lo, s1
.LBB875_220:
	s_cmpk_lg_i32 s26, 0xf00
	v_cndmask_b32_e64 v15, 0, 1, s27
	s_cselect_b32 s0, -1, 0
	v_mad_i32_i24 v4, v0, -15, s26
	s_and_b32 s0, s0, s17
	s_and_b32 s1, s2, s27
	v_cndmask_b32_e64 v2, 0, 1, s0
	s_mul_hi_u32 s0, s26, 0x88888889
	v_sub_nc_u32_e32 v1, v5, v15
	s_lshr_b32 s0, s0, 3
	v_cndmask_b32_e64 v6, v65, 0, s1
	v_cmp_eq_u32_e32 vcc_lo, s0, v0
	v_cmp_ne_u32_e64 s0, 0, v4
	s_mov_b32 s16, -1
	s_waitcnt_vscnt null, 0x0
	s_barrier
	s_and_b32 vcc_lo, vcc_lo, s17
	v_add_nc_u32_e32 v3, v1, v2
	v_cndmask_b32_e64 v1, 1, v6, s0
	v_cmp_ne_u32_e64 s0, 1, v4
	buffer_gl0_inv
	v_cndmask_b32_e32 v47, v6, v1, vcc_lo
	v_cndmask_b32_e64 v2, 1, v64, s0
	v_cmp_ne_u32_e64 s0, 2, v4
	s_delay_alu instid0(VALU_DEP_3) | instskip(NEXT) | instid1(VALU_DEP_2)
	v_cmp_ne_u32_e64 s14, 0, v47
	v_cndmask_b32_e64 v13, 1, v63, s0
	v_cmp_ne_u32_e64 s0, 14, v4
	s_delay_alu instid0(VALU_DEP_2) | instskip(NEXT) | instid1(VALU_DEP_2)
	v_dual_cndmask_b32 v48, v64, v2 :: v_dual_cndmask_b32 v49, v63, v13
	v_cndmask_b32_e64 v14, 1, v55, s0
	v_cmp_ne_u32_e64 s0, 3, v4
	s_delay_alu instid0(VALU_DEP_3) | instskip(NEXT) | instid1(VALU_DEP_4)
	v_cmp_ne_u32_e64 s13, 0, v48
	v_cmp_ne_u32_e64 s12, 0, v49
	s_delay_alu instid0(VALU_DEP_4) | instskip(NEXT) | instid1(VALU_DEP_4)
	v_cndmask_b32_e32 v46, v55, v14, vcc_lo
	v_cndmask_b32_e64 v32, 1, v62, s0
	v_cmp_ne_u32_e64 s0, 4, v4
	s_delay_alu instid0(VALU_DEP_2) | instskip(NEXT) | instid1(VALU_DEP_2)
	v_cndmask_b32_e32 v32, v62, v32, vcc_lo
	v_cndmask_b32_e64 v33, 1, v61, s0
	v_cmp_ne_u32_e64 s0, 5, v4
	s_delay_alu instid0(VALU_DEP_3) | instskip(NEXT) | instid1(VALU_DEP_3)
	v_cmp_ne_u32_e64 s11, 0, v32
	v_cndmask_b32_e32 v33, v61, v33, vcc_lo
	s_delay_alu instid0(VALU_DEP_3) | instskip(SKIP_1) | instid1(VALU_DEP_3)
	v_cndmask_b32_e64 v1, 1, v60, s0
	v_cmp_ne_u32_e64 s0, 6, v4
	v_cmp_ne_u32_e64 s10, 0, v33
	s_delay_alu instid0(VALU_DEP_2) | instskip(SKIP_1) | instid1(VALU_DEP_1)
	v_cndmask_b32_e64 v2, 1, v59, s0
	v_cmp_eq_u32_e64 s0, 0, v47
	v_cndmask_b32_e64 v6, 1, 2, s0
	v_cmp_eq_u32_e64 s0, 0, v48
	s_delay_alu instid0(VALU_DEP_1) | instskip(SKIP_1) | instid1(VALU_DEP_2)
	v_cndmask_b32_e64 v14, 1, 2, s0
	v_cmp_ne_u32_e64 s0, 7, v4
	v_and_b32_e32 v6, v14, v6
	s_delay_alu instid0(VALU_DEP_2) | instskip(SKIP_1) | instid1(VALU_DEP_2)
	v_cndmask_b32_e64 v13, 1, v58, s0
	v_cmp_eq_u32_e64 s0, 0, v49
	v_cndmask_b32_e32 v58, v58, v13, vcc_lo
	s_delay_alu instid0(VALU_DEP_2) | instskip(SKIP_1) | instid1(VALU_DEP_3)
	v_cndmask_b32_e64 v14, 1, 2, s0
	v_cmp_ne_u32_e64 s0, 8, v4
	v_cmp_ne_u32_e64 s7, 0, v58
	s_delay_alu instid0(VALU_DEP_3) | instskip(NEXT) | instid1(VALU_DEP_3)
	v_and_b32_e32 v6, v6, v14
	v_cndmask_b32_e64 v55, 1, v57, s0
	v_cmp_ne_u32_e64 s0, 9, v4
	s_delay_alu instid0(VALU_DEP_2) | instskip(NEXT) | instid1(VALU_DEP_2)
	v_cndmask_b32_e32 v55, v57, v55, vcc_lo
	v_cndmask_b32_e64 v56, 1, v54, s0
	v_cmp_eq_u32_e64 s0, 0, v32
	s_delay_alu instid0(VALU_DEP_3) | instskip(NEXT) | instid1(VALU_DEP_3)
	v_cmp_ne_u32_e64 s6, 0, v55
	v_cndmask_b32_e32 v54, v54, v56, vcc_lo
	s_delay_alu instid0(VALU_DEP_3) | instskip(SKIP_1) | instid1(VALU_DEP_3)
	v_cndmask_b32_e64 v14, 1, 2, s0
	v_cmp_ne_u32_e64 s0, 10, v4
	v_cmp_ne_u32_e64 s5, 0, v54
	s_delay_alu instid0(VALU_DEP_2) | instskip(SKIP_1) | instid1(VALU_DEP_2)
	v_cndmask_b32_e64 v61, 1, v53, s0
	v_cmp_eq_u32_e64 s0, 0, v33
	v_cndmask_b32_e32 v53, v53, v61, vcc_lo
	v_dual_cndmask_b32 v60, v60, v1 :: v_dual_and_b32 v1, v6, v14
	s_delay_alu instid0(VALU_DEP_3) | instskip(SKIP_1) | instid1(VALU_DEP_4)
	v_cndmask_b32_e64 v6, 1, 2, s0
	v_cmp_ne_u32_e64 s0, 11, v4
	v_cmp_ne_u32_e64 s4, 0, v53
	s_delay_alu instid0(VALU_DEP_4) | instskip(NEXT) | instid1(VALU_DEP_4)
	v_cmp_ne_u32_e64 s9, 0, v60
	v_and_b32_e32 v1, v1, v6
	s_delay_alu instid0(VALU_DEP_4) | instskip(SKIP_1) | instid1(VALU_DEP_2)
	v_cndmask_b32_e64 v14, 1, v52, s0
	v_cmp_ne_u32_e64 s0, 13, v4
	v_cndmask_b32_e32 v52, v52, v14, vcc_lo
	s_delay_alu instid0(VALU_DEP_2) | instskip(SKIP_2) | instid1(VALU_DEP_3)
	v_cndmask_b32_e64 v62, 1, v50, s0
	v_cmp_eq_u32_e64 s0, 0, v60
	v_lshlrev_b64 v[13:14], 2, v[7:8]
	v_cndmask_b32_e32 v50, v50, v62, vcc_lo
	s_delay_alu instid0(VALU_DEP_3) | instskip(SKIP_1) | instid1(VALU_DEP_3)
	v_cndmask_b32_e64 v6, 1, 2, s0
	v_cmp_ne_u32_e64 s0, 12, v4
	v_cmp_ne_u32_e64 s1, 0, v50
	s_delay_alu instid0(VALU_DEP_3) | instskip(SKIP_1) | instid1(VALU_DEP_4)
	v_and_b32_e32 v1, v1, v6
	v_cndmask_b32_e32 v59, v59, v2, vcc_lo
	v_cndmask_b32_e64 v2, 1, v51, s0
	s_delay_alu instid0(VALU_DEP_2) | instskip(NEXT) | instid1(VALU_DEP_2)
	v_cmp_eq_u32_e64 s0, 0, v59
	v_cndmask_b32_e32 v51, v51, v2, vcc_lo
	v_cmp_eq_u32_e32 vcc_lo, 0, v55
	s_delay_alu instid0(VALU_DEP_3) | instskip(SKIP_1) | instid1(VALU_DEP_2)
	v_cndmask_b32_e64 v4, 1, 2, s0
	v_cmp_eq_u32_e64 s0, 0, v58
	v_and_b32_e32 v4, v1, v4
	v_lshlrev_b64 v[1:2], 2, v[18:19]
	s_delay_alu instid0(VALU_DEP_3) | instskip(SKIP_2) | instid1(VALU_DEP_3)
	v_cndmask_b32_e64 v6, 1, 2, s0
	v_cmp_ne_u32_e64 s8, 0, v59
	v_cmp_ne_u32_e64 s0, 0, v46
	v_and_b32_e32 v4, v4, v6
	v_cndmask_b32_e64 v6, 1, 2, vcc_lo
	v_add_co_u32 v1, vcc_lo, s28, v1
	v_add_co_ci_u32_e32 v2, vcc_lo, s29, v2, vcc_lo
	v_cmp_eq_u32_e32 vcc_lo, 0, v54
	s_delay_alu instid0(VALU_DEP_4) | instskip(SKIP_3) | instid1(VALU_DEP_3)
	v_and_b32_e32 v6, v4, v6
	v_cndmask_b32_e64 v56, 1, 2, vcc_lo
	v_add_co_u32 v4, vcc_lo, v1, v13
	v_add_co_ci_u32_e32 v8, vcc_lo, v2, v14, vcc_lo
	v_and_b32_e32 v2, v6, v56
	v_lshlrev_b32_e32 v1, 2, v15
	v_cmp_eq_u32_e32 vcc_lo, 0, v53
	v_cmp_ne_u32_e64 s3, 0, v52
	v_cmp_ne_u32_e64 s2, 0, v51
	v_cndmask_b32_e64 v6, 1, 2, vcc_lo
	v_add_co_u32 v1, vcc_lo, v1, v4
	v_add_co_ci_u32_e32 v13, vcc_lo, 0, v8, vcc_lo
	v_cmp_eq_u32_e32 vcc_lo, 0, v52
	s_delay_alu instid0(VALU_DEP_4) | instskip(SKIP_4) | instid1(VALU_DEP_4)
	v_and_b32_e32 v2, v2, v6
	v_cndmask_b32_e64 v14, 1, 2, vcc_lo
	v_add_co_u32 v6, vcc_lo, v1, -4
	v_add_co_ci_u32_e32 v13, vcc_lo, -1, v13, vcc_lo
	v_cmp_eq_u32_e32 vcc_lo, 0, v51
	v_and_b32_e32 v2, v2, v14
	v_add_nc_u32_e32 v1, v7, v15
	v_cndmask_b32_e64 v14, 1, 2, vcc_lo
	v_cmp_eq_u32_e32 vcc_lo, 0, v50
	s_delay_alu instid0(VALU_DEP_2) | instskip(SKIP_2) | instid1(VALU_DEP_2)
	v_and_b32_e32 v2, v2, v14
	v_cndmask_b32_e64 v14, 1, 2, vcc_lo
	v_cmp_eq_u32_e32 vcc_lo, 0, v46
	v_and_b32_e32 v2, v2, v14
	v_cndmask_b32_e64 v14, 1, 2, vcc_lo
	v_cmp_gt_u32_e32 vcc_lo, 0x100, v3
	s_delay_alu instid0(VALU_DEP_2) | instskip(NEXT) | instid1(VALU_DEP_1)
	v_and_b32_e32 v2, v2, v14
	v_cmp_gt_i16_e64 s15, 2, v2
	s_cbranch_vccz .LBB875_237
; %bb.221:
	s_delay_alu instid0(VALU_DEP_1)
	s_and_saveexec_b32 s16, s15
	s_cbranch_execz .LBB875_275
; %bb.222:
	s_mov_b32 s18, 0
	s_mov_b32 s15, exec_lo
	v_cmpx_ne_u16_e32 1, v2
	s_xor_b32 s15, exec_lo, s15
	s_cbranch_execz .LBB875_254
; %bb.223:
	s_and_saveexec_b32 s18, s14
	s_cbranch_execz .LBB875_258
; %bb.224:
	v_sub_nc_u32_e32 v14, v36, v1
	v_mov_b32_e32 v15, 0
	s_delay_alu instid0(VALU_DEP_1) | instskip(NEXT) | instid1(VALU_DEP_1)
	v_lshlrev_b64 v[14:15], 2, v[14:15]
	v_add_co_u32 v14, vcc_lo, v6, v14
	s_delay_alu instid0(VALU_DEP_2)
	v_add_co_ci_u32_e32 v15, vcc_lo, v13, v15, vcc_lo
	global_store_b32 v[14:15], v37, off
	s_or_b32 exec_lo, exec_lo, s18
	s_and_saveexec_b32 s18, s13
	s_cbranch_execnz .LBB875_259
.LBB875_225:
	s_or_b32 exec_lo, exec_lo, s18
	s_and_saveexec_b32 s18, s12
	s_cbranch_execz .LBB875_260
.LBB875_226:
	v_sub_nc_u32_e32 v14, v38, v1
	v_mov_b32_e32 v15, 0
	s_delay_alu instid0(VALU_DEP_1) | instskip(NEXT) | instid1(VALU_DEP_1)
	v_lshlrev_b64 v[14:15], 2, v[14:15]
	v_add_co_u32 v14, vcc_lo, v6, v14
	s_delay_alu instid0(VALU_DEP_2)
	v_add_co_ci_u32_e32 v15, vcc_lo, v13, v15, vcc_lo
	global_store_b32 v[14:15], v39, off
	s_or_b32 exec_lo, exec_lo, s18
	s_and_saveexec_b32 s18, s11
	s_cbranch_execnz .LBB875_261
.LBB875_227:
	s_or_b32 exec_lo, exec_lo, s18
	s_and_saveexec_b32 s18, s10
	s_cbranch_execz .LBB875_262
.LBB875_228:
	v_sub_nc_u32_e32 v14, v26, v1
	v_mov_b32_e32 v15, 0
	s_delay_alu instid0(VALU_DEP_1) | instskip(NEXT) | instid1(VALU_DEP_1)
	v_lshlrev_b64 v[14:15], 2, v[14:15]
	v_add_co_u32 v14, vcc_lo, v6, v14
	s_delay_alu instid0(VALU_DEP_2)
	v_add_co_ci_u32_e32 v15, vcc_lo, v13, v15, vcc_lo
	global_store_b32 v[14:15], v27, off
	s_or_b32 exec_lo, exec_lo, s18
	s_and_saveexec_b32 s18, s9
	s_cbranch_execnz .LBB875_263
.LBB875_229:
	s_or_b32 exec_lo, exec_lo, s18
	s_and_saveexec_b32 s18, s8
	s_cbranch_execz .LBB875_264
.LBB875_230:
	v_sub_nc_u32_e32 v14, v20, v1
	v_mov_b32_e32 v15, 0
	s_delay_alu instid0(VALU_DEP_1) | instskip(NEXT) | instid1(VALU_DEP_1)
	v_lshlrev_b64 v[14:15], 2, v[14:15]
	v_add_co_u32 v14, vcc_lo, v6, v14
	s_delay_alu instid0(VALU_DEP_2)
	v_add_co_ci_u32_e32 v15, vcc_lo, v13, v15, vcc_lo
	global_store_b32 v[14:15], v21, off
	s_or_b32 exec_lo, exec_lo, s18
	s_and_saveexec_b32 s18, s7
	s_cbranch_execnz .LBB875_265
.LBB875_231:
	s_or_b32 exec_lo, exec_lo, s18
	s_and_saveexec_b32 s18, s6
	s_cbranch_execz .LBB875_266
.LBB875_232:
	v_sub_nc_u32_e32 v14, v28, v1
	v_mov_b32_e32 v15, 0
	s_delay_alu instid0(VALU_DEP_1) | instskip(NEXT) | instid1(VALU_DEP_1)
	v_lshlrev_b64 v[14:15], 2, v[14:15]
	v_add_co_u32 v14, vcc_lo, v6, v14
	s_delay_alu instid0(VALU_DEP_2)
	v_add_co_ci_u32_e32 v15, vcc_lo, v13, v15, vcc_lo
	global_store_b32 v[14:15], v29, off
	s_or_b32 exec_lo, exec_lo, s18
	s_and_saveexec_b32 s18, s5
	s_cbranch_execnz .LBB875_267
.LBB875_233:
	s_or_b32 exec_lo, exec_lo, s18
	s_and_saveexec_b32 s18, s4
	s_cbranch_execz .LBB875_268
.LBB875_234:
	v_sub_nc_u32_e32 v14, v11, v1
	v_mov_b32_e32 v15, 0
	s_delay_alu instid0(VALU_DEP_1) | instskip(NEXT) | instid1(VALU_DEP_1)
	v_lshlrev_b64 v[14:15], 2, v[14:15]
	v_add_co_u32 v14, vcc_lo, v6, v14
	s_delay_alu instid0(VALU_DEP_2)
	v_add_co_ci_u32_e32 v15, vcc_lo, v13, v15, vcc_lo
	global_store_b32 v[14:15], v12, off
	s_or_b32 exec_lo, exec_lo, s18
	s_and_saveexec_b32 s18, s3
	s_cbranch_execnz .LBB875_269
.LBB875_235:
	s_or_b32 exec_lo, exec_lo, s18
	s_and_saveexec_b32 s18, s2
	s_cbranch_execz .LBB875_270
.LBB875_236:
	v_sub_nc_u32_e32 v14, v44, v1
	v_mov_b32_e32 v15, 0
	s_delay_alu instid0(VALU_DEP_1) | instskip(NEXT) | instid1(VALU_DEP_1)
	v_lshlrev_b64 v[14:15], 2, v[14:15]
	v_add_co_u32 v14, vcc_lo, v6, v14
	s_delay_alu instid0(VALU_DEP_2)
	v_add_co_ci_u32_e32 v15, vcc_lo, v13, v15, vcc_lo
	global_store_b32 v[14:15], v45, off
	s_or_b32 exec_lo, exec_lo, s18
	s_and_saveexec_b32 s18, s1
	s_cbranch_execnz .LBB875_271
	s_branch .LBB875_272
.LBB875_237:
	s_and_b32 vcc_lo, exec_lo, s16
	s_cbranch_vccz .LBB875_276
; %bb.238:
	s_mov_b32 s15, exec_lo
	v_cmpx_gt_i16_e32 2, v2
	s_cbranch_execz .LBB875_294
; %bb.239:
	s_mov_b32 s18, 0
	s_mov_b32 s16, exec_lo
	v_cmpx_ne_u16_e32 1, v2
	s_xor_b32 s16, exec_lo, s16
	s_cbranch_execz .LBB875_256
; %bb.240:
	s_and_saveexec_b32 s18, s14
	s_cbranch_execz .LBB875_277
; %bb.241:
	v_sub_nc_u32_e32 v2, v36, v1
	s_delay_alu instid0(VALU_DEP_1)
	v_lshlrev_b32_e32 v2, 2, v2
	ds_store_b32 v2, v37
	s_or_b32 exec_lo, exec_lo, s18
	s_and_saveexec_b32 s14, s13
	s_cbranch_execnz .LBB875_278
.LBB875_242:
	s_or_b32 exec_lo, exec_lo, s14
	s_and_saveexec_b32 s13, s12
	s_cbranch_execz .LBB875_279
.LBB875_243:
	v_sub_nc_u32_e32 v2, v38, v1
	s_delay_alu instid0(VALU_DEP_1)
	v_lshlrev_b32_e32 v2, 2, v2
	ds_store_b32 v2, v39
	s_or_b32 exec_lo, exec_lo, s13
	s_and_saveexec_b32 s12, s11
	s_cbranch_execnz .LBB875_280
.LBB875_244:
	s_or_b32 exec_lo, exec_lo, s12
	s_and_saveexec_b32 s11, s10
	s_cbranch_execz .LBB875_281
.LBB875_245:
	v_sub_nc_u32_e32 v2, v26, v1
	s_delay_alu instid0(VALU_DEP_1)
	v_lshlrev_b32_e32 v2, 2, v2
	ds_store_b32 v2, v27
	s_or_b32 exec_lo, exec_lo, s11
	s_and_saveexec_b32 s10, s9
	s_cbranch_execnz .LBB875_282
.LBB875_246:
	s_or_b32 exec_lo, exec_lo, s10
	s_and_saveexec_b32 s9, s8
	s_cbranch_execz .LBB875_283
.LBB875_247:
	v_sub_nc_u32_e32 v2, v20, v1
	s_delay_alu instid0(VALU_DEP_1)
	v_lshlrev_b32_e32 v2, 2, v2
	ds_store_b32 v2, v21
	s_or_b32 exec_lo, exec_lo, s9
	s_and_saveexec_b32 s8, s7
	s_cbranch_execnz .LBB875_284
.LBB875_248:
	s_or_b32 exec_lo, exec_lo, s8
	s_and_saveexec_b32 s7, s6
	s_cbranch_execz .LBB875_285
.LBB875_249:
	v_sub_nc_u32_e32 v2, v28, v1
	s_delay_alu instid0(VALU_DEP_1)
	v_lshlrev_b32_e32 v2, 2, v2
	ds_store_b32 v2, v29
	s_or_b32 exec_lo, exec_lo, s7
	s_and_saveexec_b32 s6, s5
	s_cbranch_execnz .LBB875_286
.LBB875_250:
	s_or_b32 exec_lo, exec_lo, s6
	s_and_saveexec_b32 s5, s4
	s_cbranch_execz .LBB875_287
.LBB875_251:
	v_sub_nc_u32_e32 v2, v11, v1
	s_delay_alu instid0(VALU_DEP_1)
	v_lshlrev_b32_e32 v2, 2, v2
	ds_store_b32 v2, v12
	s_or_b32 exec_lo, exec_lo, s5
	s_and_saveexec_b32 s4, s3
	s_cbranch_execnz .LBB875_288
.LBB875_252:
	s_or_b32 exec_lo, exec_lo, s4
	s_and_saveexec_b32 s3, s2
	s_cbranch_execz .LBB875_289
.LBB875_253:
	v_sub_nc_u32_e32 v2, v44, v1
	s_delay_alu instid0(VALU_DEP_1)
	v_lshlrev_b32_e32 v2, 2, v2
	ds_store_b32 v2, v45
	s_or_b32 exec_lo, exec_lo, s3
	s_and_saveexec_b32 s2, s1
	s_cbranch_execnz .LBB875_290
	s_branch .LBB875_291
.LBB875_254:
	s_and_not1_saveexec_b32 s15, s15
	s_cbranch_execz .LBB875_273
.LBB875_255:
	v_sub_nc_u32_e32 v14, v36, v1
	v_mov_b32_e32 v15, 0
	s_or_b32 s18, s18, exec_lo
	s_delay_alu instid0(VALU_DEP_1) | instskip(SKIP_1) | instid1(VALU_DEP_1)
	v_lshlrev_b64 v[32:33], 2, v[14:15]
	v_sub_nc_u32_e32 v14, v42, v1
	v_lshlrev_b64 v[46:47], 2, v[14:15]
	v_sub_nc_u32_e32 v14, v38, v1
	s_delay_alu instid0(VALU_DEP_4) | instskip(SKIP_1) | instid1(VALU_DEP_3)
	v_add_co_u32 v32, vcc_lo, v6, v32
	v_add_co_ci_u32_e32 v33, vcc_lo, v13, v33, vcc_lo
	v_lshlrev_b64 v[48:49], 2, v[14:15]
	v_sub_nc_u32_e32 v14, v34, v1
	v_add_co_u32 v46, vcc_lo, v6, v46
	v_add_co_ci_u32_e32 v47, vcc_lo, v13, v47, vcc_lo
	global_store_b32 v[32:33], v37, off
	v_lshlrev_b64 v[32:33], 2, v[14:15]
	v_sub_nc_u32_e32 v14, v26, v1
	global_store_b32 v[46:47], v43, off
	v_add_co_u32 v46, vcc_lo, v6, v48
	v_add_co_ci_u32_e32 v47, vcc_lo, v13, v49, vcc_lo
	v_lshlrev_b64 v[48:49], 2, v[14:15]
	v_sub_nc_u32_e32 v14, v22, v1
	v_add_co_u32 v32, vcc_lo, v6, v32
	v_add_co_ci_u32_e32 v33, vcc_lo, v13, v33, vcc_lo
	s_delay_alu instid0(VALU_DEP_3) | instskip(SKIP_3) | instid1(VALU_DEP_3)
	v_lshlrev_b64 v[50:51], 2, v[14:15]
	v_sub_nc_u32_e32 v14, v20, v1
	v_add_co_u32 v48, vcc_lo, v6, v48
	v_add_co_ci_u32_e32 v49, vcc_lo, v13, v49, vcc_lo
	v_lshlrev_b64 v[52:53], 2, v[14:15]
	v_sub_nc_u32_e32 v14, v24, v1
	v_add_co_u32 v50, vcc_lo, v6, v50
	v_add_co_ci_u32_e32 v51, vcc_lo, v13, v51, vcc_lo
	s_clause 0x3
	global_store_b32 v[46:47], v39, off
	global_store_b32 v[32:33], v35, off
	;; [unrolled: 1-line block ×4, first 2 shown]
	v_lshlrev_b64 v[32:33], 2, v[14:15]
	v_sub_nc_u32_e32 v14, v28, v1
	v_add_co_u32 v46, vcc_lo, v6, v52
	v_add_co_ci_u32_e32 v47, vcc_lo, v13, v53, vcc_lo
	s_delay_alu instid0(VALU_DEP_3) | instskip(SKIP_3) | instid1(VALU_DEP_3)
	v_lshlrev_b64 v[48:49], 2, v[14:15]
	v_sub_nc_u32_e32 v14, v9, v1
	v_add_co_u32 v32, vcc_lo, v6, v32
	v_add_co_ci_u32_e32 v33, vcc_lo, v13, v33, vcc_lo
	v_lshlrev_b64 v[50:51], 2, v[14:15]
	v_sub_nc_u32_e32 v14, v11, v1
	v_add_co_u32 v48, vcc_lo, v6, v48
	v_add_co_ci_u32_e32 v49, vcc_lo, v13, v49, vcc_lo
	s_delay_alu instid0(VALU_DEP_3)
	v_lshlrev_b64 v[52:53], 2, v[14:15]
	v_sub_nc_u32_e32 v14, v16, v1
	v_add_co_u32 v50, vcc_lo, v6, v50
	v_add_co_ci_u32_e32 v51, vcc_lo, v13, v51, vcc_lo
	s_clause 0x3
	global_store_b32 v[46:47], v21, off
	global_store_b32 v[32:33], v25, off
	;; [unrolled: 1-line block ×4, first 2 shown]
	v_lshlrev_b64 v[32:33], 2, v[14:15]
	v_sub_nc_u32_e32 v14, v44, v1
	v_add_co_u32 v46, vcc_lo, v6, v52
	v_add_co_ci_u32_e32 v47, vcc_lo, v13, v53, vcc_lo
	s_delay_alu instid0(VALU_DEP_3) | instskip(SKIP_3) | instid1(VALU_DEP_3)
	v_lshlrev_b64 v[48:49], 2, v[14:15]
	v_sub_nc_u32_e32 v14, v40, v1
	v_add_co_u32 v32, vcc_lo, v6, v32
	v_add_co_ci_u32_e32 v33, vcc_lo, v13, v33, vcc_lo
	v_lshlrev_b64 v[14:15], 2, v[14:15]
	v_add_co_u32 v48, vcc_lo, v6, v48
	v_add_co_ci_u32_e32 v49, vcc_lo, v13, v49, vcc_lo
	s_clause 0x2
	global_store_b32 v[46:47], v12, off
	global_store_b32 v[32:33], v17, off
	global_store_b32 v[48:49], v45, off
	v_add_co_u32 v14, vcc_lo, v6, v14
	v_add_co_ci_u32_e32 v15, vcc_lo, v13, v15, vcc_lo
	global_store_b32 v[14:15], v41, off
	s_or_b32 exec_lo, exec_lo, s15
	s_delay_alu instid0(SALU_CYCLE_1)
	s_and_b32 exec_lo, exec_lo, s18
	s_cbranch_execnz .LBB875_274
	s_branch .LBB875_275
.LBB875_256:
	s_and_not1_saveexec_b32 s0, s16
	s_cbranch_execz .LBB875_292
.LBB875_257:
	v_sub_nc_u32_e32 v2, v36, v1
	v_sub_nc_u32_e32 v14, v42, v1
	;; [unrolled: 1-line block ×5, first 2 shown]
	v_lshlrev_b32_e32 v2, 2, v2
	v_lshlrev_b32_e32 v14, 2, v14
	;; [unrolled: 1-line block ×5, first 2 shown]
	ds_store_b32 v2, v37
	ds_store_b32 v14, v43
	;; [unrolled: 1-line block ×3, first 2 shown]
	v_sub_nc_u32_e32 v2, v26, v1
	v_sub_nc_u32_e32 v14, v22, v1
	;; [unrolled: 1-line block ×5, first 2 shown]
	v_lshlrev_b32_e32 v2, 2, v2
	ds_store_b32 v32, v35
	v_lshlrev_b32_e32 v14, 2, v14
	v_lshlrev_b32_e32 v15, 2, v15
	;; [unrolled: 1-line block ×3, first 2 shown]
	ds_store_b32 v2, v27
	v_lshlrev_b32_e32 v2, 2, v22
	ds_store_b32 v14, v23
	ds_store_b32 v15, v21
	;; [unrolled: 1-line block ×3, first 2 shown]
	v_sub_nc_u32_e32 v15, v40, v1
	v_sub_nc_u32_e32 v14, v44, v1
	s_or_b32 s18, s18, exec_lo
	ds_store_b32 v2, v29
	v_sub_nc_u32_e32 v2, v11, v1
	v_sub_nc_u32_e32 v11, v16, v1
	ds_store_b32 v9, v10
	v_lshlrev_b32_e32 v9, 2, v15
	v_lshlrev_b32_e32 v14, 2, v14
	;; [unrolled: 1-line block ×4, first 2 shown]
	ds_store_b32 v2, v12
	ds_store_b32 v11, v17
	ds_store_b32 v14, v45
	ds_store_b32 v9, v41
	s_or_b32 exec_lo, exec_lo, s0
	s_delay_alu instid0(SALU_CYCLE_1)
	s_and_b32 exec_lo, exec_lo, s18
	s_cbranch_execnz .LBB875_293
	s_branch .LBB875_294
.LBB875_258:
	s_or_b32 exec_lo, exec_lo, s18
	s_and_saveexec_b32 s18, s13
	s_cbranch_execz .LBB875_225
.LBB875_259:
	v_sub_nc_u32_e32 v14, v42, v1
	v_mov_b32_e32 v15, 0
	s_delay_alu instid0(VALU_DEP_1) | instskip(NEXT) | instid1(VALU_DEP_1)
	v_lshlrev_b64 v[14:15], 2, v[14:15]
	v_add_co_u32 v14, vcc_lo, v6, v14
	s_delay_alu instid0(VALU_DEP_2)
	v_add_co_ci_u32_e32 v15, vcc_lo, v13, v15, vcc_lo
	global_store_b32 v[14:15], v43, off
	s_or_b32 exec_lo, exec_lo, s18
	s_and_saveexec_b32 s18, s12
	s_cbranch_execnz .LBB875_226
.LBB875_260:
	s_or_b32 exec_lo, exec_lo, s18
	s_and_saveexec_b32 s18, s11
	s_cbranch_execz .LBB875_227
.LBB875_261:
	v_sub_nc_u32_e32 v14, v34, v1
	v_mov_b32_e32 v15, 0
	s_delay_alu instid0(VALU_DEP_1) | instskip(NEXT) | instid1(VALU_DEP_1)
	v_lshlrev_b64 v[14:15], 2, v[14:15]
	v_add_co_u32 v14, vcc_lo, v6, v14
	s_delay_alu instid0(VALU_DEP_2)
	v_add_co_ci_u32_e32 v15, vcc_lo, v13, v15, vcc_lo
	global_store_b32 v[14:15], v35, off
	s_or_b32 exec_lo, exec_lo, s18
	s_and_saveexec_b32 s18, s10
	s_cbranch_execnz .LBB875_228
.LBB875_262:
	s_or_b32 exec_lo, exec_lo, s18
	s_and_saveexec_b32 s18, s9
	s_cbranch_execz .LBB875_229
.LBB875_263:
	v_sub_nc_u32_e32 v14, v22, v1
	v_mov_b32_e32 v15, 0
	s_delay_alu instid0(VALU_DEP_1) | instskip(NEXT) | instid1(VALU_DEP_1)
	v_lshlrev_b64 v[14:15], 2, v[14:15]
	v_add_co_u32 v14, vcc_lo, v6, v14
	s_delay_alu instid0(VALU_DEP_2)
	v_add_co_ci_u32_e32 v15, vcc_lo, v13, v15, vcc_lo
	global_store_b32 v[14:15], v23, off
	s_or_b32 exec_lo, exec_lo, s18
	s_and_saveexec_b32 s18, s8
	s_cbranch_execnz .LBB875_230
.LBB875_264:
	s_or_b32 exec_lo, exec_lo, s18
	s_and_saveexec_b32 s18, s7
	s_cbranch_execz .LBB875_231
.LBB875_265:
	v_sub_nc_u32_e32 v14, v24, v1
	v_mov_b32_e32 v15, 0
	s_delay_alu instid0(VALU_DEP_1) | instskip(NEXT) | instid1(VALU_DEP_1)
	v_lshlrev_b64 v[14:15], 2, v[14:15]
	v_add_co_u32 v14, vcc_lo, v6, v14
	s_delay_alu instid0(VALU_DEP_2)
	v_add_co_ci_u32_e32 v15, vcc_lo, v13, v15, vcc_lo
	global_store_b32 v[14:15], v25, off
	s_or_b32 exec_lo, exec_lo, s18
	s_and_saveexec_b32 s18, s6
	s_cbranch_execnz .LBB875_232
.LBB875_266:
	s_or_b32 exec_lo, exec_lo, s18
	s_and_saveexec_b32 s18, s5
	s_cbranch_execz .LBB875_233
.LBB875_267:
	v_sub_nc_u32_e32 v14, v9, v1
	v_mov_b32_e32 v15, 0
	s_delay_alu instid0(VALU_DEP_1) | instskip(NEXT) | instid1(VALU_DEP_1)
	v_lshlrev_b64 v[14:15], 2, v[14:15]
	v_add_co_u32 v14, vcc_lo, v6, v14
	s_delay_alu instid0(VALU_DEP_2)
	v_add_co_ci_u32_e32 v15, vcc_lo, v13, v15, vcc_lo
	global_store_b32 v[14:15], v10, off
	s_or_b32 exec_lo, exec_lo, s18
	s_and_saveexec_b32 s18, s4
	s_cbranch_execnz .LBB875_234
.LBB875_268:
	s_or_b32 exec_lo, exec_lo, s18
	s_and_saveexec_b32 s18, s3
	s_cbranch_execz .LBB875_235
.LBB875_269:
	v_sub_nc_u32_e32 v14, v16, v1
	v_mov_b32_e32 v15, 0
	s_delay_alu instid0(VALU_DEP_1) | instskip(NEXT) | instid1(VALU_DEP_1)
	v_lshlrev_b64 v[14:15], 2, v[14:15]
	v_add_co_u32 v14, vcc_lo, v6, v14
	s_delay_alu instid0(VALU_DEP_2)
	v_add_co_ci_u32_e32 v15, vcc_lo, v13, v15, vcc_lo
	global_store_b32 v[14:15], v17, off
	s_or_b32 exec_lo, exec_lo, s18
	s_and_saveexec_b32 s18, s2
	s_cbranch_execnz .LBB875_236
.LBB875_270:
	s_or_b32 exec_lo, exec_lo, s18
	s_and_saveexec_b32 s18, s1
	s_cbranch_execz .LBB875_272
.LBB875_271:
	v_sub_nc_u32_e32 v14, v40, v1
	v_mov_b32_e32 v15, 0
	s_delay_alu instid0(VALU_DEP_1) | instskip(NEXT) | instid1(VALU_DEP_1)
	v_lshlrev_b64 v[14:15], 2, v[14:15]
	v_add_co_u32 v14, vcc_lo, v6, v14
	s_delay_alu instid0(VALU_DEP_2)
	v_add_co_ci_u32_e32 v15, vcc_lo, v13, v15, vcc_lo
	global_store_b32 v[14:15], v41, off
.LBB875_272:
	s_or_b32 exec_lo, exec_lo, s18
	s_delay_alu instid0(SALU_CYCLE_1)
	s_and_b32 s18, s0, exec_lo
	s_and_not1_saveexec_b32 s15, s15
	s_cbranch_execnz .LBB875_255
.LBB875_273:
	s_or_b32 exec_lo, exec_lo, s15
	s_delay_alu instid0(SALU_CYCLE_1)
	s_and_b32 exec_lo, exec_lo, s18
	s_cbranch_execz .LBB875_275
.LBB875_274:
	v_sub_nc_u32_e32 v14, v30, v1
	v_mov_b32_e32 v15, 0
	s_delay_alu instid0(VALU_DEP_1) | instskip(NEXT) | instid1(VALU_DEP_1)
	v_lshlrev_b64 v[14:15], 2, v[14:15]
	v_add_co_u32 v14, vcc_lo, v6, v14
	s_delay_alu instid0(VALU_DEP_2)
	v_add_co_ci_u32_e32 v15, vcc_lo, v13, v15, vcc_lo
	global_store_b32 v[14:15], v31, off
.LBB875_275:
	s_or_b32 exec_lo, exec_lo, s16
.LBB875_276:
	v_cmp_eq_u32_e32 vcc_lo, 0xff, v0
	s_and_b32 s0, vcc_lo, s17
	s_delay_alu instid0(SALU_CYCLE_1)
	s_and_saveexec_b32 s1, s0
	s_cbranch_execnz .LBB875_298
	s_branch .LBB875_300
.LBB875_277:
	s_or_b32 exec_lo, exec_lo, s18
	s_and_saveexec_b32 s14, s13
	s_cbranch_execz .LBB875_242
.LBB875_278:
	v_sub_nc_u32_e32 v2, v42, v1
	s_delay_alu instid0(VALU_DEP_1)
	v_lshlrev_b32_e32 v2, 2, v2
	ds_store_b32 v2, v43
	s_or_b32 exec_lo, exec_lo, s14
	s_and_saveexec_b32 s13, s12
	s_cbranch_execnz .LBB875_243
.LBB875_279:
	s_or_b32 exec_lo, exec_lo, s13
	s_and_saveexec_b32 s12, s11
	s_cbranch_execz .LBB875_244
.LBB875_280:
	v_sub_nc_u32_e32 v2, v34, v1
	s_delay_alu instid0(VALU_DEP_1)
	v_lshlrev_b32_e32 v2, 2, v2
	ds_store_b32 v2, v35
	s_or_b32 exec_lo, exec_lo, s12
	s_and_saveexec_b32 s11, s10
	s_cbranch_execnz .LBB875_245
.LBB875_281:
	s_or_b32 exec_lo, exec_lo, s11
	s_and_saveexec_b32 s10, s9
	s_cbranch_execz .LBB875_246
.LBB875_282:
	v_sub_nc_u32_e32 v2, v22, v1
	s_delay_alu instid0(VALU_DEP_1)
	v_lshlrev_b32_e32 v2, 2, v2
	ds_store_b32 v2, v23
	s_or_b32 exec_lo, exec_lo, s10
	s_and_saveexec_b32 s9, s8
	s_cbranch_execnz .LBB875_247
.LBB875_283:
	s_or_b32 exec_lo, exec_lo, s9
	s_and_saveexec_b32 s8, s7
	s_cbranch_execz .LBB875_248
.LBB875_284:
	v_sub_nc_u32_e32 v2, v24, v1
	s_delay_alu instid0(VALU_DEP_1)
	v_lshlrev_b32_e32 v2, 2, v2
	ds_store_b32 v2, v25
	s_or_b32 exec_lo, exec_lo, s8
	s_and_saveexec_b32 s7, s6
	s_cbranch_execnz .LBB875_249
.LBB875_285:
	s_or_b32 exec_lo, exec_lo, s7
	s_and_saveexec_b32 s6, s5
	s_cbranch_execz .LBB875_250
.LBB875_286:
	v_sub_nc_u32_e32 v2, v9, v1
	s_delay_alu instid0(VALU_DEP_1)
	v_lshlrev_b32_e32 v2, 2, v2
	ds_store_b32 v2, v10
	s_or_b32 exec_lo, exec_lo, s6
	s_and_saveexec_b32 s5, s4
	s_cbranch_execnz .LBB875_251
.LBB875_287:
	s_or_b32 exec_lo, exec_lo, s5
	s_and_saveexec_b32 s4, s3
	s_cbranch_execz .LBB875_252
.LBB875_288:
	v_sub_nc_u32_e32 v2, v16, v1
	s_delay_alu instid0(VALU_DEP_1)
	v_lshlrev_b32_e32 v2, 2, v2
	ds_store_b32 v2, v17
	s_or_b32 exec_lo, exec_lo, s4
	s_and_saveexec_b32 s3, s2
	s_cbranch_execnz .LBB875_253
.LBB875_289:
	s_or_b32 exec_lo, exec_lo, s3
	s_and_saveexec_b32 s2, s1
	s_cbranch_execz .LBB875_291
.LBB875_290:
	v_sub_nc_u32_e32 v2, v40, v1
	s_delay_alu instid0(VALU_DEP_1)
	v_lshlrev_b32_e32 v2, 2, v2
	ds_store_b32 v2, v41
.LBB875_291:
	s_or_b32 exec_lo, exec_lo, s2
	s_delay_alu instid0(SALU_CYCLE_1)
	s_and_b32 s18, s0, exec_lo
                                        ; implicit-def: $vgpr36_vgpr37
                                        ; implicit-def: $vgpr42_vgpr43
                                        ; implicit-def: $vgpr38_vgpr39
                                        ; implicit-def: $vgpr34_vgpr35
                                        ; implicit-def: $vgpr26_vgpr27
                                        ; implicit-def: $vgpr22_vgpr23
                                        ; implicit-def: $vgpr20_vgpr21
                                        ; implicit-def: $vgpr24_vgpr25
                                        ; implicit-def: $vgpr28_vgpr29
                                        ; implicit-def: $vgpr9_vgpr10
                                        ; implicit-def: $vgpr11_vgpr12
                                        ; implicit-def: $vgpr16_vgpr17
                                        ; implicit-def: $vgpr44_vgpr45
                                        ; implicit-def: $vgpr40_vgpr41
	s_and_not1_saveexec_b32 s0, s16
	s_cbranch_execnz .LBB875_257
.LBB875_292:
	s_or_b32 exec_lo, exec_lo, s0
	s_delay_alu instid0(SALU_CYCLE_1)
	s_and_b32 exec_lo, exec_lo, s18
	s_cbranch_execz .LBB875_294
.LBB875_293:
	v_sub_nc_u32_e32 v1, v30, v1
	s_delay_alu instid0(VALU_DEP_1)
	v_lshlrev_b32_e32 v1, 2, v1
	ds_store_b32 v1, v31
.LBB875_294:
	s_or_b32 exec_lo, exec_lo, s15
	s_delay_alu instid0(SALU_CYCLE_1)
	s_mov_b32 s1, exec_lo
	s_waitcnt lgkmcnt(0)
	s_waitcnt_vscnt null, 0x0
	s_barrier
	buffer_gl0_inv
	v_cmpx_lt_u32_e64 v0, v3
	s_cbranch_execz .LBB875_297
; %bb.295:
	v_dual_mov_b32 v2, 0 :: v_dual_lshlrev_b32 v9, 2, v0
	v_mov_b32_e32 v1, v0
	s_mov_b32 s2, 0
	.p2align	6
.LBB875_296:                            ; =>This Inner Loop Header: Depth=1
	ds_load_b32 v12, v9
	v_lshlrev_b64 v[10:11], 2, v[1:2]
	v_add_nc_u32_e32 v1, 0x100, v1
	v_add_nc_u32_e32 v9, 0x400, v9
	s_delay_alu instid0(VALU_DEP_2) | instskip(NEXT) | instid1(VALU_DEP_4)
	v_cmp_ge_u32_e32 vcc_lo, v1, v3
	v_add_co_u32 v10, s0, v6, v10
	s_delay_alu instid0(VALU_DEP_1)
	v_add_co_ci_u32_e64 v11, s0, v13, v11, s0
	s_or_b32 s2, vcc_lo, s2
	s_waitcnt lgkmcnt(0)
	global_store_b32 v[10:11], v12, off
	s_and_not1_b32 exec_lo, exec_lo, s2
	s_cbranch_execnz .LBB875_296
.LBB875_297:
	s_or_b32 exec_lo, exec_lo, s1
	v_cmp_eq_u32_e32 vcc_lo, 0xff, v0
	s_and_b32 s0, vcc_lo, s17
	s_delay_alu instid0(SALU_CYCLE_1)
	s_and_saveexec_b32 s1, s0
	s_cbranch_execz .LBB875_300
.LBB875_298:
	v_add_co_u32 v0, s0, v5, v7
	s_delay_alu instid0(VALU_DEP_1) | instskip(SKIP_1) | instid1(VALU_DEP_3)
	v_add_co_ci_u32_e64 v1, null, 0, 0, s0
	v_mov_b32_e32 v6, 0
	v_add_co_u32 v0, vcc_lo, v0, v18
	s_delay_alu instid0(VALU_DEP_3)
	v_add_co_ci_u32_e32 v1, vcc_lo, v1, v19, vcc_lo
	s_cmpk_lg_i32 s26, 0xf00
	global_store_b64 v6, v[0:1], s[30:31]
	s_cbranch_scc1 .LBB875_300
; %bb.299:
	v_lshlrev_b64 v[0:1], 2, v[5:6]
	s_delay_alu instid0(VALU_DEP_1) | instskip(NEXT) | instid1(VALU_DEP_2)
	v_add_co_u32 v0, vcc_lo, v4, v0
	v_add_co_ci_u32_e32 v1, vcc_lo, v8, v1, vcc_lo
	global_store_b32 v[0:1], v66, off offset:-4
	s_nop 0
	s_sendmsg sendmsg(MSG_DEALLOC_VGPRS)
	s_endpgm
.LBB875_300:
	s_nop 0
	s_sendmsg sendmsg(MSG_DEALLOC_VGPRS)
	s_endpgm
	.section	.rodata,"a",@progbits
	.p2align	6, 0x0
	.amdhsa_kernel _ZN7rocprim17ROCPRIM_400000_NS6detail17trampoline_kernelINS0_14default_configENS1_29reduce_by_key_config_selectorIsjN6thrust23THRUST_200600_302600_NS4plusIjEEEEZZNS1_33reduce_by_key_impl_wrapped_configILNS1_25lookback_scan_determinismE0ES3_S9_NS6_6detail15normal_iteratorINS6_10device_ptrIsEEEENSD_INSE_IjEEEESG_SI_PmS8_NS6_8equal_toIsEEEE10hipError_tPvRmT2_T3_mT4_T5_T6_T7_T8_P12ihipStream_tbENKUlT_T0_E_clISt17integral_constantIbLb0EES12_IbLb1EEEEDaSY_SZ_EUlSY_E_NS1_11comp_targetILNS1_3genE9ELNS1_11target_archE1100ELNS1_3gpuE3ELNS1_3repE0EEENS1_30default_config_static_selectorELNS0_4arch9wavefront6targetE0EEEvT1_
		.amdhsa_group_segment_fixed_size 15360
		.amdhsa_private_segment_fixed_size 0
		.amdhsa_kernarg_size 120
		.amdhsa_user_sgpr_count 15
		.amdhsa_user_sgpr_dispatch_ptr 0
		.amdhsa_user_sgpr_queue_ptr 0
		.amdhsa_user_sgpr_kernarg_segment_ptr 1
		.amdhsa_user_sgpr_dispatch_id 0
		.amdhsa_user_sgpr_private_segment_size 0
		.amdhsa_wavefront_size32 1
		.amdhsa_uses_dynamic_stack 0
		.amdhsa_enable_private_segment 0
		.amdhsa_system_sgpr_workgroup_id_x 1
		.amdhsa_system_sgpr_workgroup_id_y 0
		.amdhsa_system_sgpr_workgroup_id_z 0
		.amdhsa_system_sgpr_workgroup_info 0
		.amdhsa_system_vgpr_workitem_id 0
		.amdhsa_next_free_vgpr 100
		.amdhsa_next_free_sgpr 45
		.amdhsa_reserve_vcc 1
		.amdhsa_float_round_mode_32 0
		.amdhsa_float_round_mode_16_64 0
		.amdhsa_float_denorm_mode_32 3
		.amdhsa_float_denorm_mode_16_64 3
		.amdhsa_dx10_clamp 1
		.amdhsa_ieee_mode 1
		.amdhsa_fp16_overflow 0
		.amdhsa_workgroup_processor_mode 1
		.amdhsa_memory_ordered 1
		.amdhsa_forward_progress 0
		.amdhsa_shared_vgpr_count 0
		.amdhsa_exception_fp_ieee_invalid_op 0
		.amdhsa_exception_fp_denorm_src 0
		.amdhsa_exception_fp_ieee_div_zero 0
		.amdhsa_exception_fp_ieee_overflow 0
		.amdhsa_exception_fp_ieee_underflow 0
		.amdhsa_exception_fp_ieee_inexact 0
		.amdhsa_exception_int_div_zero 0
	.end_amdhsa_kernel
	.section	.text._ZN7rocprim17ROCPRIM_400000_NS6detail17trampoline_kernelINS0_14default_configENS1_29reduce_by_key_config_selectorIsjN6thrust23THRUST_200600_302600_NS4plusIjEEEEZZNS1_33reduce_by_key_impl_wrapped_configILNS1_25lookback_scan_determinismE0ES3_S9_NS6_6detail15normal_iteratorINS6_10device_ptrIsEEEENSD_INSE_IjEEEESG_SI_PmS8_NS6_8equal_toIsEEEE10hipError_tPvRmT2_T3_mT4_T5_T6_T7_T8_P12ihipStream_tbENKUlT_T0_E_clISt17integral_constantIbLb0EES12_IbLb1EEEEDaSY_SZ_EUlSY_E_NS1_11comp_targetILNS1_3genE9ELNS1_11target_archE1100ELNS1_3gpuE3ELNS1_3repE0EEENS1_30default_config_static_selectorELNS0_4arch9wavefront6targetE0EEEvT1_,"axG",@progbits,_ZN7rocprim17ROCPRIM_400000_NS6detail17trampoline_kernelINS0_14default_configENS1_29reduce_by_key_config_selectorIsjN6thrust23THRUST_200600_302600_NS4plusIjEEEEZZNS1_33reduce_by_key_impl_wrapped_configILNS1_25lookback_scan_determinismE0ES3_S9_NS6_6detail15normal_iteratorINS6_10device_ptrIsEEEENSD_INSE_IjEEEESG_SI_PmS8_NS6_8equal_toIsEEEE10hipError_tPvRmT2_T3_mT4_T5_T6_T7_T8_P12ihipStream_tbENKUlT_T0_E_clISt17integral_constantIbLb0EES12_IbLb1EEEEDaSY_SZ_EUlSY_E_NS1_11comp_targetILNS1_3genE9ELNS1_11target_archE1100ELNS1_3gpuE3ELNS1_3repE0EEENS1_30default_config_static_selectorELNS0_4arch9wavefront6targetE0EEEvT1_,comdat
.Lfunc_end875:
	.size	_ZN7rocprim17ROCPRIM_400000_NS6detail17trampoline_kernelINS0_14default_configENS1_29reduce_by_key_config_selectorIsjN6thrust23THRUST_200600_302600_NS4plusIjEEEEZZNS1_33reduce_by_key_impl_wrapped_configILNS1_25lookback_scan_determinismE0ES3_S9_NS6_6detail15normal_iteratorINS6_10device_ptrIsEEEENSD_INSE_IjEEEESG_SI_PmS8_NS6_8equal_toIsEEEE10hipError_tPvRmT2_T3_mT4_T5_T6_T7_T8_P12ihipStream_tbENKUlT_T0_E_clISt17integral_constantIbLb0EES12_IbLb1EEEEDaSY_SZ_EUlSY_E_NS1_11comp_targetILNS1_3genE9ELNS1_11target_archE1100ELNS1_3gpuE3ELNS1_3repE0EEENS1_30default_config_static_selectorELNS0_4arch9wavefront6targetE0EEEvT1_, .Lfunc_end875-_ZN7rocprim17ROCPRIM_400000_NS6detail17trampoline_kernelINS0_14default_configENS1_29reduce_by_key_config_selectorIsjN6thrust23THRUST_200600_302600_NS4plusIjEEEEZZNS1_33reduce_by_key_impl_wrapped_configILNS1_25lookback_scan_determinismE0ES3_S9_NS6_6detail15normal_iteratorINS6_10device_ptrIsEEEENSD_INSE_IjEEEESG_SI_PmS8_NS6_8equal_toIsEEEE10hipError_tPvRmT2_T3_mT4_T5_T6_T7_T8_P12ihipStream_tbENKUlT_T0_E_clISt17integral_constantIbLb0EES12_IbLb1EEEEDaSY_SZ_EUlSY_E_NS1_11comp_targetILNS1_3genE9ELNS1_11target_archE1100ELNS1_3gpuE3ELNS1_3repE0EEENS1_30default_config_static_selectorELNS0_4arch9wavefront6targetE0EEEvT1_
                                        ; -- End function
	.section	.AMDGPU.csdata,"",@progbits
; Kernel info:
; codeLenInByte = 18824
; NumSgprs: 47
; NumVgprs: 100
; ScratchSize: 0
; MemoryBound: 0
; FloatMode: 240
; IeeeMode: 1
; LDSByteSize: 15360 bytes/workgroup (compile time only)
; SGPRBlocks: 5
; VGPRBlocks: 12
; NumSGPRsForWavesPerEU: 47
; NumVGPRsForWavesPerEU: 100
; Occupancy: 12
; WaveLimiterHint : 1
; COMPUTE_PGM_RSRC2:SCRATCH_EN: 0
; COMPUTE_PGM_RSRC2:USER_SGPR: 15
; COMPUTE_PGM_RSRC2:TRAP_HANDLER: 0
; COMPUTE_PGM_RSRC2:TGID_X_EN: 1
; COMPUTE_PGM_RSRC2:TGID_Y_EN: 0
; COMPUTE_PGM_RSRC2:TGID_Z_EN: 0
; COMPUTE_PGM_RSRC2:TIDIG_COMP_CNT: 0
	.section	.text._ZN7rocprim17ROCPRIM_400000_NS6detail17trampoline_kernelINS0_14default_configENS1_29reduce_by_key_config_selectorIsjN6thrust23THRUST_200600_302600_NS4plusIjEEEEZZNS1_33reduce_by_key_impl_wrapped_configILNS1_25lookback_scan_determinismE0ES3_S9_NS6_6detail15normal_iteratorINS6_10device_ptrIsEEEENSD_INSE_IjEEEESG_SI_PmS8_NS6_8equal_toIsEEEE10hipError_tPvRmT2_T3_mT4_T5_T6_T7_T8_P12ihipStream_tbENKUlT_T0_E_clISt17integral_constantIbLb0EES12_IbLb1EEEEDaSY_SZ_EUlSY_E_NS1_11comp_targetILNS1_3genE8ELNS1_11target_archE1030ELNS1_3gpuE2ELNS1_3repE0EEENS1_30default_config_static_selectorELNS0_4arch9wavefront6targetE0EEEvT1_,"axG",@progbits,_ZN7rocprim17ROCPRIM_400000_NS6detail17trampoline_kernelINS0_14default_configENS1_29reduce_by_key_config_selectorIsjN6thrust23THRUST_200600_302600_NS4plusIjEEEEZZNS1_33reduce_by_key_impl_wrapped_configILNS1_25lookback_scan_determinismE0ES3_S9_NS6_6detail15normal_iteratorINS6_10device_ptrIsEEEENSD_INSE_IjEEEESG_SI_PmS8_NS6_8equal_toIsEEEE10hipError_tPvRmT2_T3_mT4_T5_T6_T7_T8_P12ihipStream_tbENKUlT_T0_E_clISt17integral_constantIbLb0EES12_IbLb1EEEEDaSY_SZ_EUlSY_E_NS1_11comp_targetILNS1_3genE8ELNS1_11target_archE1030ELNS1_3gpuE2ELNS1_3repE0EEENS1_30default_config_static_selectorELNS0_4arch9wavefront6targetE0EEEvT1_,comdat
	.protected	_ZN7rocprim17ROCPRIM_400000_NS6detail17trampoline_kernelINS0_14default_configENS1_29reduce_by_key_config_selectorIsjN6thrust23THRUST_200600_302600_NS4plusIjEEEEZZNS1_33reduce_by_key_impl_wrapped_configILNS1_25lookback_scan_determinismE0ES3_S9_NS6_6detail15normal_iteratorINS6_10device_ptrIsEEEENSD_INSE_IjEEEESG_SI_PmS8_NS6_8equal_toIsEEEE10hipError_tPvRmT2_T3_mT4_T5_T6_T7_T8_P12ihipStream_tbENKUlT_T0_E_clISt17integral_constantIbLb0EES12_IbLb1EEEEDaSY_SZ_EUlSY_E_NS1_11comp_targetILNS1_3genE8ELNS1_11target_archE1030ELNS1_3gpuE2ELNS1_3repE0EEENS1_30default_config_static_selectorELNS0_4arch9wavefront6targetE0EEEvT1_ ; -- Begin function _ZN7rocprim17ROCPRIM_400000_NS6detail17trampoline_kernelINS0_14default_configENS1_29reduce_by_key_config_selectorIsjN6thrust23THRUST_200600_302600_NS4plusIjEEEEZZNS1_33reduce_by_key_impl_wrapped_configILNS1_25lookback_scan_determinismE0ES3_S9_NS6_6detail15normal_iteratorINS6_10device_ptrIsEEEENSD_INSE_IjEEEESG_SI_PmS8_NS6_8equal_toIsEEEE10hipError_tPvRmT2_T3_mT4_T5_T6_T7_T8_P12ihipStream_tbENKUlT_T0_E_clISt17integral_constantIbLb0EES12_IbLb1EEEEDaSY_SZ_EUlSY_E_NS1_11comp_targetILNS1_3genE8ELNS1_11target_archE1030ELNS1_3gpuE2ELNS1_3repE0EEENS1_30default_config_static_selectorELNS0_4arch9wavefront6targetE0EEEvT1_
	.globl	_ZN7rocprim17ROCPRIM_400000_NS6detail17trampoline_kernelINS0_14default_configENS1_29reduce_by_key_config_selectorIsjN6thrust23THRUST_200600_302600_NS4plusIjEEEEZZNS1_33reduce_by_key_impl_wrapped_configILNS1_25lookback_scan_determinismE0ES3_S9_NS6_6detail15normal_iteratorINS6_10device_ptrIsEEEENSD_INSE_IjEEEESG_SI_PmS8_NS6_8equal_toIsEEEE10hipError_tPvRmT2_T3_mT4_T5_T6_T7_T8_P12ihipStream_tbENKUlT_T0_E_clISt17integral_constantIbLb0EES12_IbLb1EEEEDaSY_SZ_EUlSY_E_NS1_11comp_targetILNS1_3genE8ELNS1_11target_archE1030ELNS1_3gpuE2ELNS1_3repE0EEENS1_30default_config_static_selectorELNS0_4arch9wavefront6targetE0EEEvT1_
	.p2align	8
	.type	_ZN7rocprim17ROCPRIM_400000_NS6detail17trampoline_kernelINS0_14default_configENS1_29reduce_by_key_config_selectorIsjN6thrust23THRUST_200600_302600_NS4plusIjEEEEZZNS1_33reduce_by_key_impl_wrapped_configILNS1_25lookback_scan_determinismE0ES3_S9_NS6_6detail15normal_iteratorINS6_10device_ptrIsEEEENSD_INSE_IjEEEESG_SI_PmS8_NS6_8equal_toIsEEEE10hipError_tPvRmT2_T3_mT4_T5_T6_T7_T8_P12ihipStream_tbENKUlT_T0_E_clISt17integral_constantIbLb0EES12_IbLb1EEEEDaSY_SZ_EUlSY_E_NS1_11comp_targetILNS1_3genE8ELNS1_11target_archE1030ELNS1_3gpuE2ELNS1_3repE0EEENS1_30default_config_static_selectorELNS0_4arch9wavefront6targetE0EEEvT1_,@function
_ZN7rocprim17ROCPRIM_400000_NS6detail17trampoline_kernelINS0_14default_configENS1_29reduce_by_key_config_selectorIsjN6thrust23THRUST_200600_302600_NS4plusIjEEEEZZNS1_33reduce_by_key_impl_wrapped_configILNS1_25lookback_scan_determinismE0ES3_S9_NS6_6detail15normal_iteratorINS6_10device_ptrIsEEEENSD_INSE_IjEEEESG_SI_PmS8_NS6_8equal_toIsEEEE10hipError_tPvRmT2_T3_mT4_T5_T6_T7_T8_P12ihipStream_tbENKUlT_T0_E_clISt17integral_constantIbLb0EES12_IbLb1EEEEDaSY_SZ_EUlSY_E_NS1_11comp_targetILNS1_3genE8ELNS1_11target_archE1030ELNS1_3gpuE2ELNS1_3repE0EEENS1_30default_config_static_selectorELNS0_4arch9wavefront6targetE0EEEvT1_: ; @_ZN7rocprim17ROCPRIM_400000_NS6detail17trampoline_kernelINS0_14default_configENS1_29reduce_by_key_config_selectorIsjN6thrust23THRUST_200600_302600_NS4plusIjEEEEZZNS1_33reduce_by_key_impl_wrapped_configILNS1_25lookback_scan_determinismE0ES3_S9_NS6_6detail15normal_iteratorINS6_10device_ptrIsEEEENSD_INSE_IjEEEESG_SI_PmS8_NS6_8equal_toIsEEEE10hipError_tPvRmT2_T3_mT4_T5_T6_T7_T8_P12ihipStream_tbENKUlT_T0_E_clISt17integral_constantIbLb0EES12_IbLb1EEEEDaSY_SZ_EUlSY_E_NS1_11comp_targetILNS1_3genE8ELNS1_11target_archE1030ELNS1_3gpuE2ELNS1_3repE0EEENS1_30default_config_static_selectorELNS0_4arch9wavefront6targetE0EEEvT1_
; %bb.0:
	.section	.rodata,"a",@progbits
	.p2align	6, 0x0
	.amdhsa_kernel _ZN7rocprim17ROCPRIM_400000_NS6detail17trampoline_kernelINS0_14default_configENS1_29reduce_by_key_config_selectorIsjN6thrust23THRUST_200600_302600_NS4plusIjEEEEZZNS1_33reduce_by_key_impl_wrapped_configILNS1_25lookback_scan_determinismE0ES3_S9_NS6_6detail15normal_iteratorINS6_10device_ptrIsEEEENSD_INSE_IjEEEESG_SI_PmS8_NS6_8equal_toIsEEEE10hipError_tPvRmT2_T3_mT4_T5_T6_T7_T8_P12ihipStream_tbENKUlT_T0_E_clISt17integral_constantIbLb0EES12_IbLb1EEEEDaSY_SZ_EUlSY_E_NS1_11comp_targetILNS1_3genE8ELNS1_11target_archE1030ELNS1_3gpuE2ELNS1_3repE0EEENS1_30default_config_static_selectorELNS0_4arch9wavefront6targetE0EEEvT1_
		.amdhsa_group_segment_fixed_size 0
		.amdhsa_private_segment_fixed_size 0
		.amdhsa_kernarg_size 120
		.amdhsa_user_sgpr_count 15
		.amdhsa_user_sgpr_dispatch_ptr 0
		.amdhsa_user_sgpr_queue_ptr 0
		.amdhsa_user_sgpr_kernarg_segment_ptr 1
		.amdhsa_user_sgpr_dispatch_id 0
		.amdhsa_user_sgpr_private_segment_size 0
		.amdhsa_wavefront_size32 1
		.amdhsa_uses_dynamic_stack 0
		.amdhsa_enable_private_segment 0
		.amdhsa_system_sgpr_workgroup_id_x 1
		.amdhsa_system_sgpr_workgroup_id_y 0
		.amdhsa_system_sgpr_workgroup_id_z 0
		.amdhsa_system_sgpr_workgroup_info 0
		.amdhsa_system_vgpr_workitem_id 0
		.amdhsa_next_free_vgpr 1
		.amdhsa_next_free_sgpr 1
		.amdhsa_reserve_vcc 0
		.amdhsa_float_round_mode_32 0
		.amdhsa_float_round_mode_16_64 0
		.amdhsa_float_denorm_mode_32 3
		.amdhsa_float_denorm_mode_16_64 3
		.amdhsa_dx10_clamp 1
		.amdhsa_ieee_mode 1
		.amdhsa_fp16_overflow 0
		.amdhsa_workgroup_processor_mode 1
		.amdhsa_memory_ordered 1
		.amdhsa_forward_progress 0
		.amdhsa_shared_vgpr_count 0
		.amdhsa_exception_fp_ieee_invalid_op 0
		.amdhsa_exception_fp_denorm_src 0
		.amdhsa_exception_fp_ieee_div_zero 0
		.amdhsa_exception_fp_ieee_overflow 0
		.amdhsa_exception_fp_ieee_underflow 0
		.amdhsa_exception_fp_ieee_inexact 0
		.amdhsa_exception_int_div_zero 0
	.end_amdhsa_kernel
	.section	.text._ZN7rocprim17ROCPRIM_400000_NS6detail17trampoline_kernelINS0_14default_configENS1_29reduce_by_key_config_selectorIsjN6thrust23THRUST_200600_302600_NS4plusIjEEEEZZNS1_33reduce_by_key_impl_wrapped_configILNS1_25lookback_scan_determinismE0ES3_S9_NS6_6detail15normal_iteratorINS6_10device_ptrIsEEEENSD_INSE_IjEEEESG_SI_PmS8_NS6_8equal_toIsEEEE10hipError_tPvRmT2_T3_mT4_T5_T6_T7_T8_P12ihipStream_tbENKUlT_T0_E_clISt17integral_constantIbLb0EES12_IbLb1EEEEDaSY_SZ_EUlSY_E_NS1_11comp_targetILNS1_3genE8ELNS1_11target_archE1030ELNS1_3gpuE2ELNS1_3repE0EEENS1_30default_config_static_selectorELNS0_4arch9wavefront6targetE0EEEvT1_,"axG",@progbits,_ZN7rocprim17ROCPRIM_400000_NS6detail17trampoline_kernelINS0_14default_configENS1_29reduce_by_key_config_selectorIsjN6thrust23THRUST_200600_302600_NS4plusIjEEEEZZNS1_33reduce_by_key_impl_wrapped_configILNS1_25lookback_scan_determinismE0ES3_S9_NS6_6detail15normal_iteratorINS6_10device_ptrIsEEEENSD_INSE_IjEEEESG_SI_PmS8_NS6_8equal_toIsEEEE10hipError_tPvRmT2_T3_mT4_T5_T6_T7_T8_P12ihipStream_tbENKUlT_T0_E_clISt17integral_constantIbLb0EES12_IbLb1EEEEDaSY_SZ_EUlSY_E_NS1_11comp_targetILNS1_3genE8ELNS1_11target_archE1030ELNS1_3gpuE2ELNS1_3repE0EEENS1_30default_config_static_selectorELNS0_4arch9wavefront6targetE0EEEvT1_,comdat
.Lfunc_end876:
	.size	_ZN7rocprim17ROCPRIM_400000_NS6detail17trampoline_kernelINS0_14default_configENS1_29reduce_by_key_config_selectorIsjN6thrust23THRUST_200600_302600_NS4plusIjEEEEZZNS1_33reduce_by_key_impl_wrapped_configILNS1_25lookback_scan_determinismE0ES3_S9_NS6_6detail15normal_iteratorINS6_10device_ptrIsEEEENSD_INSE_IjEEEESG_SI_PmS8_NS6_8equal_toIsEEEE10hipError_tPvRmT2_T3_mT4_T5_T6_T7_T8_P12ihipStream_tbENKUlT_T0_E_clISt17integral_constantIbLb0EES12_IbLb1EEEEDaSY_SZ_EUlSY_E_NS1_11comp_targetILNS1_3genE8ELNS1_11target_archE1030ELNS1_3gpuE2ELNS1_3repE0EEENS1_30default_config_static_selectorELNS0_4arch9wavefront6targetE0EEEvT1_, .Lfunc_end876-_ZN7rocprim17ROCPRIM_400000_NS6detail17trampoline_kernelINS0_14default_configENS1_29reduce_by_key_config_selectorIsjN6thrust23THRUST_200600_302600_NS4plusIjEEEEZZNS1_33reduce_by_key_impl_wrapped_configILNS1_25lookback_scan_determinismE0ES3_S9_NS6_6detail15normal_iteratorINS6_10device_ptrIsEEEENSD_INSE_IjEEEESG_SI_PmS8_NS6_8equal_toIsEEEE10hipError_tPvRmT2_T3_mT4_T5_T6_T7_T8_P12ihipStream_tbENKUlT_T0_E_clISt17integral_constantIbLb0EES12_IbLb1EEEEDaSY_SZ_EUlSY_E_NS1_11comp_targetILNS1_3genE8ELNS1_11target_archE1030ELNS1_3gpuE2ELNS1_3repE0EEENS1_30default_config_static_selectorELNS0_4arch9wavefront6targetE0EEEvT1_
                                        ; -- End function
	.section	.AMDGPU.csdata,"",@progbits
; Kernel info:
; codeLenInByte = 0
; NumSgprs: 0
; NumVgprs: 0
; ScratchSize: 0
; MemoryBound: 0
; FloatMode: 240
; IeeeMode: 1
; LDSByteSize: 0 bytes/workgroup (compile time only)
; SGPRBlocks: 0
; VGPRBlocks: 0
; NumSGPRsForWavesPerEU: 1
; NumVGPRsForWavesPerEU: 1
; Occupancy: 16
; WaveLimiterHint : 0
; COMPUTE_PGM_RSRC2:SCRATCH_EN: 0
; COMPUTE_PGM_RSRC2:USER_SGPR: 15
; COMPUTE_PGM_RSRC2:TRAP_HANDLER: 0
; COMPUTE_PGM_RSRC2:TGID_X_EN: 1
; COMPUTE_PGM_RSRC2:TGID_Y_EN: 0
; COMPUTE_PGM_RSRC2:TGID_Z_EN: 0
; COMPUTE_PGM_RSRC2:TIDIG_COMP_CNT: 0
	.section	.text._ZN7rocprim17ROCPRIM_400000_NS6detail17trampoline_kernelINS0_14default_configENS1_29reduce_by_key_config_selectorIjyN6thrust23THRUST_200600_302600_NS4plusIyEEEEZZNS1_33reduce_by_key_impl_wrapped_configILNS1_25lookback_scan_determinismE0ES3_S9_NS6_6detail15normal_iteratorINS6_10device_ptrIjEEEENSD_INSE_IyEEEENS6_16discard_iteratorINS6_11use_defaultEEESI_PmS8_NS6_8equal_toIjEEEE10hipError_tPvRmT2_T3_mT4_T5_T6_T7_T8_P12ihipStream_tbENKUlT_T0_E_clISt17integral_constantIbLb0EES16_EEDaS11_S12_EUlS11_E_NS1_11comp_targetILNS1_3genE0ELNS1_11target_archE4294967295ELNS1_3gpuE0ELNS1_3repE0EEENS1_30default_config_static_selectorELNS0_4arch9wavefront6targetE0EEEvT1_,"axG",@progbits,_ZN7rocprim17ROCPRIM_400000_NS6detail17trampoline_kernelINS0_14default_configENS1_29reduce_by_key_config_selectorIjyN6thrust23THRUST_200600_302600_NS4plusIyEEEEZZNS1_33reduce_by_key_impl_wrapped_configILNS1_25lookback_scan_determinismE0ES3_S9_NS6_6detail15normal_iteratorINS6_10device_ptrIjEEEENSD_INSE_IyEEEENS6_16discard_iteratorINS6_11use_defaultEEESI_PmS8_NS6_8equal_toIjEEEE10hipError_tPvRmT2_T3_mT4_T5_T6_T7_T8_P12ihipStream_tbENKUlT_T0_E_clISt17integral_constantIbLb0EES16_EEDaS11_S12_EUlS11_E_NS1_11comp_targetILNS1_3genE0ELNS1_11target_archE4294967295ELNS1_3gpuE0ELNS1_3repE0EEENS1_30default_config_static_selectorELNS0_4arch9wavefront6targetE0EEEvT1_,comdat
	.protected	_ZN7rocprim17ROCPRIM_400000_NS6detail17trampoline_kernelINS0_14default_configENS1_29reduce_by_key_config_selectorIjyN6thrust23THRUST_200600_302600_NS4plusIyEEEEZZNS1_33reduce_by_key_impl_wrapped_configILNS1_25lookback_scan_determinismE0ES3_S9_NS6_6detail15normal_iteratorINS6_10device_ptrIjEEEENSD_INSE_IyEEEENS6_16discard_iteratorINS6_11use_defaultEEESI_PmS8_NS6_8equal_toIjEEEE10hipError_tPvRmT2_T3_mT4_T5_T6_T7_T8_P12ihipStream_tbENKUlT_T0_E_clISt17integral_constantIbLb0EES16_EEDaS11_S12_EUlS11_E_NS1_11comp_targetILNS1_3genE0ELNS1_11target_archE4294967295ELNS1_3gpuE0ELNS1_3repE0EEENS1_30default_config_static_selectorELNS0_4arch9wavefront6targetE0EEEvT1_ ; -- Begin function _ZN7rocprim17ROCPRIM_400000_NS6detail17trampoline_kernelINS0_14default_configENS1_29reduce_by_key_config_selectorIjyN6thrust23THRUST_200600_302600_NS4plusIyEEEEZZNS1_33reduce_by_key_impl_wrapped_configILNS1_25lookback_scan_determinismE0ES3_S9_NS6_6detail15normal_iteratorINS6_10device_ptrIjEEEENSD_INSE_IyEEEENS6_16discard_iteratorINS6_11use_defaultEEESI_PmS8_NS6_8equal_toIjEEEE10hipError_tPvRmT2_T3_mT4_T5_T6_T7_T8_P12ihipStream_tbENKUlT_T0_E_clISt17integral_constantIbLb0EES16_EEDaS11_S12_EUlS11_E_NS1_11comp_targetILNS1_3genE0ELNS1_11target_archE4294967295ELNS1_3gpuE0ELNS1_3repE0EEENS1_30default_config_static_selectorELNS0_4arch9wavefront6targetE0EEEvT1_
	.globl	_ZN7rocprim17ROCPRIM_400000_NS6detail17trampoline_kernelINS0_14default_configENS1_29reduce_by_key_config_selectorIjyN6thrust23THRUST_200600_302600_NS4plusIyEEEEZZNS1_33reduce_by_key_impl_wrapped_configILNS1_25lookback_scan_determinismE0ES3_S9_NS6_6detail15normal_iteratorINS6_10device_ptrIjEEEENSD_INSE_IyEEEENS6_16discard_iteratorINS6_11use_defaultEEESI_PmS8_NS6_8equal_toIjEEEE10hipError_tPvRmT2_T3_mT4_T5_T6_T7_T8_P12ihipStream_tbENKUlT_T0_E_clISt17integral_constantIbLb0EES16_EEDaS11_S12_EUlS11_E_NS1_11comp_targetILNS1_3genE0ELNS1_11target_archE4294967295ELNS1_3gpuE0ELNS1_3repE0EEENS1_30default_config_static_selectorELNS0_4arch9wavefront6targetE0EEEvT1_
	.p2align	8
	.type	_ZN7rocprim17ROCPRIM_400000_NS6detail17trampoline_kernelINS0_14default_configENS1_29reduce_by_key_config_selectorIjyN6thrust23THRUST_200600_302600_NS4plusIyEEEEZZNS1_33reduce_by_key_impl_wrapped_configILNS1_25lookback_scan_determinismE0ES3_S9_NS6_6detail15normal_iteratorINS6_10device_ptrIjEEEENSD_INSE_IyEEEENS6_16discard_iteratorINS6_11use_defaultEEESI_PmS8_NS6_8equal_toIjEEEE10hipError_tPvRmT2_T3_mT4_T5_T6_T7_T8_P12ihipStream_tbENKUlT_T0_E_clISt17integral_constantIbLb0EES16_EEDaS11_S12_EUlS11_E_NS1_11comp_targetILNS1_3genE0ELNS1_11target_archE4294967295ELNS1_3gpuE0ELNS1_3repE0EEENS1_30default_config_static_selectorELNS0_4arch9wavefront6targetE0EEEvT1_,@function
_ZN7rocprim17ROCPRIM_400000_NS6detail17trampoline_kernelINS0_14default_configENS1_29reduce_by_key_config_selectorIjyN6thrust23THRUST_200600_302600_NS4plusIyEEEEZZNS1_33reduce_by_key_impl_wrapped_configILNS1_25lookback_scan_determinismE0ES3_S9_NS6_6detail15normal_iteratorINS6_10device_ptrIjEEEENSD_INSE_IyEEEENS6_16discard_iteratorINS6_11use_defaultEEESI_PmS8_NS6_8equal_toIjEEEE10hipError_tPvRmT2_T3_mT4_T5_T6_T7_T8_P12ihipStream_tbENKUlT_T0_E_clISt17integral_constantIbLb0EES16_EEDaS11_S12_EUlS11_E_NS1_11comp_targetILNS1_3genE0ELNS1_11target_archE4294967295ELNS1_3gpuE0ELNS1_3repE0EEENS1_30default_config_static_selectorELNS0_4arch9wavefront6targetE0EEEvT1_: ; @_ZN7rocprim17ROCPRIM_400000_NS6detail17trampoline_kernelINS0_14default_configENS1_29reduce_by_key_config_selectorIjyN6thrust23THRUST_200600_302600_NS4plusIyEEEEZZNS1_33reduce_by_key_impl_wrapped_configILNS1_25lookback_scan_determinismE0ES3_S9_NS6_6detail15normal_iteratorINS6_10device_ptrIjEEEENSD_INSE_IyEEEENS6_16discard_iteratorINS6_11use_defaultEEESI_PmS8_NS6_8equal_toIjEEEE10hipError_tPvRmT2_T3_mT4_T5_T6_T7_T8_P12ihipStream_tbENKUlT_T0_E_clISt17integral_constantIbLb0EES16_EEDaS11_S12_EUlS11_E_NS1_11comp_targetILNS1_3genE0ELNS1_11target_archE4294967295ELNS1_3gpuE0ELNS1_3repE0EEENS1_30default_config_static_selectorELNS0_4arch9wavefront6targetE0EEEvT1_
; %bb.0:
	.section	.rodata,"a",@progbits
	.p2align	6, 0x0
	.amdhsa_kernel _ZN7rocprim17ROCPRIM_400000_NS6detail17trampoline_kernelINS0_14default_configENS1_29reduce_by_key_config_selectorIjyN6thrust23THRUST_200600_302600_NS4plusIyEEEEZZNS1_33reduce_by_key_impl_wrapped_configILNS1_25lookback_scan_determinismE0ES3_S9_NS6_6detail15normal_iteratorINS6_10device_ptrIjEEEENSD_INSE_IyEEEENS6_16discard_iteratorINS6_11use_defaultEEESI_PmS8_NS6_8equal_toIjEEEE10hipError_tPvRmT2_T3_mT4_T5_T6_T7_T8_P12ihipStream_tbENKUlT_T0_E_clISt17integral_constantIbLb0EES16_EEDaS11_S12_EUlS11_E_NS1_11comp_targetILNS1_3genE0ELNS1_11target_archE4294967295ELNS1_3gpuE0ELNS1_3repE0EEENS1_30default_config_static_selectorELNS0_4arch9wavefront6targetE0EEEvT1_
		.amdhsa_group_segment_fixed_size 0
		.amdhsa_private_segment_fixed_size 0
		.amdhsa_kernarg_size 144
		.amdhsa_user_sgpr_count 15
		.amdhsa_user_sgpr_dispatch_ptr 0
		.amdhsa_user_sgpr_queue_ptr 0
		.amdhsa_user_sgpr_kernarg_segment_ptr 1
		.amdhsa_user_sgpr_dispatch_id 0
		.amdhsa_user_sgpr_private_segment_size 0
		.amdhsa_wavefront_size32 1
		.amdhsa_uses_dynamic_stack 0
		.amdhsa_enable_private_segment 0
		.amdhsa_system_sgpr_workgroup_id_x 1
		.amdhsa_system_sgpr_workgroup_id_y 0
		.amdhsa_system_sgpr_workgroup_id_z 0
		.amdhsa_system_sgpr_workgroup_info 0
		.amdhsa_system_vgpr_workitem_id 0
		.amdhsa_next_free_vgpr 1
		.amdhsa_next_free_sgpr 1
		.amdhsa_reserve_vcc 0
		.amdhsa_float_round_mode_32 0
		.amdhsa_float_round_mode_16_64 0
		.amdhsa_float_denorm_mode_32 3
		.amdhsa_float_denorm_mode_16_64 3
		.amdhsa_dx10_clamp 1
		.amdhsa_ieee_mode 1
		.amdhsa_fp16_overflow 0
		.amdhsa_workgroup_processor_mode 1
		.amdhsa_memory_ordered 1
		.amdhsa_forward_progress 0
		.amdhsa_shared_vgpr_count 0
		.amdhsa_exception_fp_ieee_invalid_op 0
		.amdhsa_exception_fp_denorm_src 0
		.amdhsa_exception_fp_ieee_div_zero 0
		.amdhsa_exception_fp_ieee_overflow 0
		.amdhsa_exception_fp_ieee_underflow 0
		.amdhsa_exception_fp_ieee_inexact 0
		.amdhsa_exception_int_div_zero 0
	.end_amdhsa_kernel
	.section	.text._ZN7rocprim17ROCPRIM_400000_NS6detail17trampoline_kernelINS0_14default_configENS1_29reduce_by_key_config_selectorIjyN6thrust23THRUST_200600_302600_NS4plusIyEEEEZZNS1_33reduce_by_key_impl_wrapped_configILNS1_25lookback_scan_determinismE0ES3_S9_NS6_6detail15normal_iteratorINS6_10device_ptrIjEEEENSD_INSE_IyEEEENS6_16discard_iteratorINS6_11use_defaultEEESI_PmS8_NS6_8equal_toIjEEEE10hipError_tPvRmT2_T3_mT4_T5_T6_T7_T8_P12ihipStream_tbENKUlT_T0_E_clISt17integral_constantIbLb0EES16_EEDaS11_S12_EUlS11_E_NS1_11comp_targetILNS1_3genE0ELNS1_11target_archE4294967295ELNS1_3gpuE0ELNS1_3repE0EEENS1_30default_config_static_selectorELNS0_4arch9wavefront6targetE0EEEvT1_,"axG",@progbits,_ZN7rocprim17ROCPRIM_400000_NS6detail17trampoline_kernelINS0_14default_configENS1_29reduce_by_key_config_selectorIjyN6thrust23THRUST_200600_302600_NS4plusIyEEEEZZNS1_33reduce_by_key_impl_wrapped_configILNS1_25lookback_scan_determinismE0ES3_S9_NS6_6detail15normal_iteratorINS6_10device_ptrIjEEEENSD_INSE_IyEEEENS6_16discard_iteratorINS6_11use_defaultEEESI_PmS8_NS6_8equal_toIjEEEE10hipError_tPvRmT2_T3_mT4_T5_T6_T7_T8_P12ihipStream_tbENKUlT_T0_E_clISt17integral_constantIbLb0EES16_EEDaS11_S12_EUlS11_E_NS1_11comp_targetILNS1_3genE0ELNS1_11target_archE4294967295ELNS1_3gpuE0ELNS1_3repE0EEENS1_30default_config_static_selectorELNS0_4arch9wavefront6targetE0EEEvT1_,comdat
.Lfunc_end877:
	.size	_ZN7rocprim17ROCPRIM_400000_NS6detail17trampoline_kernelINS0_14default_configENS1_29reduce_by_key_config_selectorIjyN6thrust23THRUST_200600_302600_NS4plusIyEEEEZZNS1_33reduce_by_key_impl_wrapped_configILNS1_25lookback_scan_determinismE0ES3_S9_NS6_6detail15normal_iteratorINS6_10device_ptrIjEEEENSD_INSE_IyEEEENS6_16discard_iteratorINS6_11use_defaultEEESI_PmS8_NS6_8equal_toIjEEEE10hipError_tPvRmT2_T3_mT4_T5_T6_T7_T8_P12ihipStream_tbENKUlT_T0_E_clISt17integral_constantIbLb0EES16_EEDaS11_S12_EUlS11_E_NS1_11comp_targetILNS1_3genE0ELNS1_11target_archE4294967295ELNS1_3gpuE0ELNS1_3repE0EEENS1_30default_config_static_selectorELNS0_4arch9wavefront6targetE0EEEvT1_, .Lfunc_end877-_ZN7rocprim17ROCPRIM_400000_NS6detail17trampoline_kernelINS0_14default_configENS1_29reduce_by_key_config_selectorIjyN6thrust23THRUST_200600_302600_NS4plusIyEEEEZZNS1_33reduce_by_key_impl_wrapped_configILNS1_25lookback_scan_determinismE0ES3_S9_NS6_6detail15normal_iteratorINS6_10device_ptrIjEEEENSD_INSE_IyEEEENS6_16discard_iteratorINS6_11use_defaultEEESI_PmS8_NS6_8equal_toIjEEEE10hipError_tPvRmT2_T3_mT4_T5_T6_T7_T8_P12ihipStream_tbENKUlT_T0_E_clISt17integral_constantIbLb0EES16_EEDaS11_S12_EUlS11_E_NS1_11comp_targetILNS1_3genE0ELNS1_11target_archE4294967295ELNS1_3gpuE0ELNS1_3repE0EEENS1_30default_config_static_selectorELNS0_4arch9wavefront6targetE0EEEvT1_
                                        ; -- End function
	.section	.AMDGPU.csdata,"",@progbits
; Kernel info:
; codeLenInByte = 0
; NumSgprs: 0
; NumVgprs: 0
; ScratchSize: 0
; MemoryBound: 0
; FloatMode: 240
; IeeeMode: 1
; LDSByteSize: 0 bytes/workgroup (compile time only)
; SGPRBlocks: 0
; VGPRBlocks: 0
; NumSGPRsForWavesPerEU: 1
; NumVGPRsForWavesPerEU: 1
; Occupancy: 16
; WaveLimiterHint : 0
; COMPUTE_PGM_RSRC2:SCRATCH_EN: 0
; COMPUTE_PGM_RSRC2:USER_SGPR: 15
; COMPUTE_PGM_RSRC2:TRAP_HANDLER: 0
; COMPUTE_PGM_RSRC2:TGID_X_EN: 1
; COMPUTE_PGM_RSRC2:TGID_Y_EN: 0
; COMPUTE_PGM_RSRC2:TGID_Z_EN: 0
; COMPUTE_PGM_RSRC2:TIDIG_COMP_CNT: 0
	.section	.text._ZN7rocprim17ROCPRIM_400000_NS6detail17trampoline_kernelINS0_14default_configENS1_29reduce_by_key_config_selectorIjyN6thrust23THRUST_200600_302600_NS4plusIyEEEEZZNS1_33reduce_by_key_impl_wrapped_configILNS1_25lookback_scan_determinismE0ES3_S9_NS6_6detail15normal_iteratorINS6_10device_ptrIjEEEENSD_INSE_IyEEEENS6_16discard_iteratorINS6_11use_defaultEEESI_PmS8_NS6_8equal_toIjEEEE10hipError_tPvRmT2_T3_mT4_T5_T6_T7_T8_P12ihipStream_tbENKUlT_T0_E_clISt17integral_constantIbLb0EES16_EEDaS11_S12_EUlS11_E_NS1_11comp_targetILNS1_3genE5ELNS1_11target_archE942ELNS1_3gpuE9ELNS1_3repE0EEENS1_30default_config_static_selectorELNS0_4arch9wavefront6targetE0EEEvT1_,"axG",@progbits,_ZN7rocprim17ROCPRIM_400000_NS6detail17trampoline_kernelINS0_14default_configENS1_29reduce_by_key_config_selectorIjyN6thrust23THRUST_200600_302600_NS4plusIyEEEEZZNS1_33reduce_by_key_impl_wrapped_configILNS1_25lookback_scan_determinismE0ES3_S9_NS6_6detail15normal_iteratorINS6_10device_ptrIjEEEENSD_INSE_IyEEEENS6_16discard_iteratorINS6_11use_defaultEEESI_PmS8_NS6_8equal_toIjEEEE10hipError_tPvRmT2_T3_mT4_T5_T6_T7_T8_P12ihipStream_tbENKUlT_T0_E_clISt17integral_constantIbLb0EES16_EEDaS11_S12_EUlS11_E_NS1_11comp_targetILNS1_3genE5ELNS1_11target_archE942ELNS1_3gpuE9ELNS1_3repE0EEENS1_30default_config_static_selectorELNS0_4arch9wavefront6targetE0EEEvT1_,comdat
	.protected	_ZN7rocprim17ROCPRIM_400000_NS6detail17trampoline_kernelINS0_14default_configENS1_29reduce_by_key_config_selectorIjyN6thrust23THRUST_200600_302600_NS4plusIyEEEEZZNS1_33reduce_by_key_impl_wrapped_configILNS1_25lookback_scan_determinismE0ES3_S9_NS6_6detail15normal_iteratorINS6_10device_ptrIjEEEENSD_INSE_IyEEEENS6_16discard_iteratorINS6_11use_defaultEEESI_PmS8_NS6_8equal_toIjEEEE10hipError_tPvRmT2_T3_mT4_T5_T6_T7_T8_P12ihipStream_tbENKUlT_T0_E_clISt17integral_constantIbLb0EES16_EEDaS11_S12_EUlS11_E_NS1_11comp_targetILNS1_3genE5ELNS1_11target_archE942ELNS1_3gpuE9ELNS1_3repE0EEENS1_30default_config_static_selectorELNS0_4arch9wavefront6targetE0EEEvT1_ ; -- Begin function _ZN7rocprim17ROCPRIM_400000_NS6detail17trampoline_kernelINS0_14default_configENS1_29reduce_by_key_config_selectorIjyN6thrust23THRUST_200600_302600_NS4plusIyEEEEZZNS1_33reduce_by_key_impl_wrapped_configILNS1_25lookback_scan_determinismE0ES3_S9_NS6_6detail15normal_iteratorINS6_10device_ptrIjEEEENSD_INSE_IyEEEENS6_16discard_iteratorINS6_11use_defaultEEESI_PmS8_NS6_8equal_toIjEEEE10hipError_tPvRmT2_T3_mT4_T5_T6_T7_T8_P12ihipStream_tbENKUlT_T0_E_clISt17integral_constantIbLb0EES16_EEDaS11_S12_EUlS11_E_NS1_11comp_targetILNS1_3genE5ELNS1_11target_archE942ELNS1_3gpuE9ELNS1_3repE0EEENS1_30default_config_static_selectorELNS0_4arch9wavefront6targetE0EEEvT1_
	.globl	_ZN7rocprim17ROCPRIM_400000_NS6detail17trampoline_kernelINS0_14default_configENS1_29reduce_by_key_config_selectorIjyN6thrust23THRUST_200600_302600_NS4plusIyEEEEZZNS1_33reduce_by_key_impl_wrapped_configILNS1_25lookback_scan_determinismE0ES3_S9_NS6_6detail15normal_iteratorINS6_10device_ptrIjEEEENSD_INSE_IyEEEENS6_16discard_iteratorINS6_11use_defaultEEESI_PmS8_NS6_8equal_toIjEEEE10hipError_tPvRmT2_T3_mT4_T5_T6_T7_T8_P12ihipStream_tbENKUlT_T0_E_clISt17integral_constantIbLb0EES16_EEDaS11_S12_EUlS11_E_NS1_11comp_targetILNS1_3genE5ELNS1_11target_archE942ELNS1_3gpuE9ELNS1_3repE0EEENS1_30default_config_static_selectorELNS0_4arch9wavefront6targetE0EEEvT1_
	.p2align	8
	.type	_ZN7rocprim17ROCPRIM_400000_NS6detail17trampoline_kernelINS0_14default_configENS1_29reduce_by_key_config_selectorIjyN6thrust23THRUST_200600_302600_NS4plusIyEEEEZZNS1_33reduce_by_key_impl_wrapped_configILNS1_25lookback_scan_determinismE0ES3_S9_NS6_6detail15normal_iteratorINS6_10device_ptrIjEEEENSD_INSE_IyEEEENS6_16discard_iteratorINS6_11use_defaultEEESI_PmS8_NS6_8equal_toIjEEEE10hipError_tPvRmT2_T3_mT4_T5_T6_T7_T8_P12ihipStream_tbENKUlT_T0_E_clISt17integral_constantIbLb0EES16_EEDaS11_S12_EUlS11_E_NS1_11comp_targetILNS1_3genE5ELNS1_11target_archE942ELNS1_3gpuE9ELNS1_3repE0EEENS1_30default_config_static_selectorELNS0_4arch9wavefront6targetE0EEEvT1_,@function
_ZN7rocprim17ROCPRIM_400000_NS6detail17trampoline_kernelINS0_14default_configENS1_29reduce_by_key_config_selectorIjyN6thrust23THRUST_200600_302600_NS4plusIyEEEEZZNS1_33reduce_by_key_impl_wrapped_configILNS1_25lookback_scan_determinismE0ES3_S9_NS6_6detail15normal_iteratorINS6_10device_ptrIjEEEENSD_INSE_IyEEEENS6_16discard_iteratorINS6_11use_defaultEEESI_PmS8_NS6_8equal_toIjEEEE10hipError_tPvRmT2_T3_mT4_T5_T6_T7_T8_P12ihipStream_tbENKUlT_T0_E_clISt17integral_constantIbLb0EES16_EEDaS11_S12_EUlS11_E_NS1_11comp_targetILNS1_3genE5ELNS1_11target_archE942ELNS1_3gpuE9ELNS1_3repE0EEENS1_30default_config_static_selectorELNS0_4arch9wavefront6targetE0EEEvT1_: ; @_ZN7rocprim17ROCPRIM_400000_NS6detail17trampoline_kernelINS0_14default_configENS1_29reduce_by_key_config_selectorIjyN6thrust23THRUST_200600_302600_NS4plusIyEEEEZZNS1_33reduce_by_key_impl_wrapped_configILNS1_25lookback_scan_determinismE0ES3_S9_NS6_6detail15normal_iteratorINS6_10device_ptrIjEEEENSD_INSE_IyEEEENS6_16discard_iteratorINS6_11use_defaultEEESI_PmS8_NS6_8equal_toIjEEEE10hipError_tPvRmT2_T3_mT4_T5_T6_T7_T8_P12ihipStream_tbENKUlT_T0_E_clISt17integral_constantIbLb0EES16_EEDaS11_S12_EUlS11_E_NS1_11comp_targetILNS1_3genE5ELNS1_11target_archE942ELNS1_3gpuE9ELNS1_3repE0EEENS1_30default_config_static_selectorELNS0_4arch9wavefront6targetE0EEEvT1_
; %bb.0:
	.section	.rodata,"a",@progbits
	.p2align	6, 0x0
	.amdhsa_kernel _ZN7rocprim17ROCPRIM_400000_NS6detail17trampoline_kernelINS0_14default_configENS1_29reduce_by_key_config_selectorIjyN6thrust23THRUST_200600_302600_NS4plusIyEEEEZZNS1_33reduce_by_key_impl_wrapped_configILNS1_25lookback_scan_determinismE0ES3_S9_NS6_6detail15normal_iteratorINS6_10device_ptrIjEEEENSD_INSE_IyEEEENS6_16discard_iteratorINS6_11use_defaultEEESI_PmS8_NS6_8equal_toIjEEEE10hipError_tPvRmT2_T3_mT4_T5_T6_T7_T8_P12ihipStream_tbENKUlT_T0_E_clISt17integral_constantIbLb0EES16_EEDaS11_S12_EUlS11_E_NS1_11comp_targetILNS1_3genE5ELNS1_11target_archE942ELNS1_3gpuE9ELNS1_3repE0EEENS1_30default_config_static_selectorELNS0_4arch9wavefront6targetE0EEEvT1_
		.amdhsa_group_segment_fixed_size 0
		.amdhsa_private_segment_fixed_size 0
		.amdhsa_kernarg_size 144
		.amdhsa_user_sgpr_count 15
		.amdhsa_user_sgpr_dispatch_ptr 0
		.amdhsa_user_sgpr_queue_ptr 0
		.amdhsa_user_sgpr_kernarg_segment_ptr 1
		.amdhsa_user_sgpr_dispatch_id 0
		.amdhsa_user_sgpr_private_segment_size 0
		.amdhsa_wavefront_size32 1
		.amdhsa_uses_dynamic_stack 0
		.amdhsa_enable_private_segment 0
		.amdhsa_system_sgpr_workgroup_id_x 1
		.amdhsa_system_sgpr_workgroup_id_y 0
		.amdhsa_system_sgpr_workgroup_id_z 0
		.amdhsa_system_sgpr_workgroup_info 0
		.amdhsa_system_vgpr_workitem_id 0
		.amdhsa_next_free_vgpr 1
		.amdhsa_next_free_sgpr 1
		.amdhsa_reserve_vcc 0
		.amdhsa_float_round_mode_32 0
		.amdhsa_float_round_mode_16_64 0
		.amdhsa_float_denorm_mode_32 3
		.amdhsa_float_denorm_mode_16_64 3
		.amdhsa_dx10_clamp 1
		.amdhsa_ieee_mode 1
		.amdhsa_fp16_overflow 0
		.amdhsa_workgroup_processor_mode 1
		.amdhsa_memory_ordered 1
		.amdhsa_forward_progress 0
		.amdhsa_shared_vgpr_count 0
		.amdhsa_exception_fp_ieee_invalid_op 0
		.amdhsa_exception_fp_denorm_src 0
		.amdhsa_exception_fp_ieee_div_zero 0
		.amdhsa_exception_fp_ieee_overflow 0
		.amdhsa_exception_fp_ieee_underflow 0
		.amdhsa_exception_fp_ieee_inexact 0
		.amdhsa_exception_int_div_zero 0
	.end_amdhsa_kernel
	.section	.text._ZN7rocprim17ROCPRIM_400000_NS6detail17trampoline_kernelINS0_14default_configENS1_29reduce_by_key_config_selectorIjyN6thrust23THRUST_200600_302600_NS4plusIyEEEEZZNS1_33reduce_by_key_impl_wrapped_configILNS1_25lookback_scan_determinismE0ES3_S9_NS6_6detail15normal_iteratorINS6_10device_ptrIjEEEENSD_INSE_IyEEEENS6_16discard_iteratorINS6_11use_defaultEEESI_PmS8_NS6_8equal_toIjEEEE10hipError_tPvRmT2_T3_mT4_T5_T6_T7_T8_P12ihipStream_tbENKUlT_T0_E_clISt17integral_constantIbLb0EES16_EEDaS11_S12_EUlS11_E_NS1_11comp_targetILNS1_3genE5ELNS1_11target_archE942ELNS1_3gpuE9ELNS1_3repE0EEENS1_30default_config_static_selectorELNS0_4arch9wavefront6targetE0EEEvT1_,"axG",@progbits,_ZN7rocprim17ROCPRIM_400000_NS6detail17trampoline_kernelINS0_14default_configENS1_29reduce_by_key_config_selectorIjyN6thrust23THRUST_200600_302600_NS4plusIyEEEEZZNS1_33reduce_by_key_impl_wrapped_configILNS1_25lookback_scan_determinismE0ES3_S9_NS6_6detail15normal_iteratorINS6_10device_ptrIjEEEENSD_INSE_IyEEEENS6_16discard_iteratorINS6_11use_defaultEEESI_PmS8_NS6_8equal_toIjEEEE10hipError_tPvRmT2_T3_mT4_T5_T6_T7_T8_P12ihipStream_tbENKUlT_T0_E_clISt17integral_constantIbLb0EES16_EEDaS11_S12_EUlS11_E_NS1_11comp_targetILNS1_3genE5ELNS1_11target_archE942ELNS1_3gpuE9ELNS1_3repE0EEENS1_30default_config_static_selectorELNS0_4arch9wavefront6targetE0EEEvT1_,comdat
.Lfunc_end878:
	.size	_ZN7rocprim17ROCPRIM_400000_NS6detail17trampoline_kernelINS0_14default_configENS1_29reduce_by_key_config_selectorIjyN6thrust23THRUST_200600_302600_NS4plusIyEEEEZZNS1_33reduce_by_key_impl_wrapped_configILNS1_25lookback_scan_determinismE0ES3_S9_NS6_6detail15normal_iteratorINS6_10device_ptrIjEEEENSD_INSE_IyEEEENS6_16discard_iteratorINS6_11use_defaultEEESI_PmS8_NS6_8equal_toIjEEEE10hipError_tPvRmT2_T3_mT4_T5_T6_T7_T8_P12ihipStream_tbENKUlT_T0_E_clISt17integral_constantIbLb0EES16_EEDaS11_S12_EUlS11_E_NS1_11comp_targetILNS1_3genE5ELNS1_11target_archE942ELNS1_3gpuE9ELNS1_3repE0EEENS1_30default_config_static_selectorELNS0_4arch9wavefront6targetE0EEEvT1_, .Lfunc_end878-_ZN7rocprim17ROCPRIM_400000_NS6detail17trampoline_kernelINS0_14default_configENS1_29reduce_by_key_config_selectorIjyN6thrust23THRUST_200600_302600_NS4plusIyEEEEZZNS1_33reduce_by_key_impl_wrapped_configILNS1_25lookback_scan_determinismE0ES3_S9_NS6_6detail15normal_iteratorINS6_10device_ptrIjEEEENSD_INSE_IyEEEENS6_16discard_iteratorINS6_11use_defaultEEESI_PmS8_NS6_8equal_toIjEEEE10hipError_tPvRmT2_T3_mT4_T5_T6_T7_T8_P12ihipStream_tbENKUlT_T0_E_clISt17integral_constantIbLb0EES16_EEDaS11_S12_EUlS11_E_NS1_11comp_targetILNS1_3genE5ELNS1_11target_archE942ELNS1_3gpuE9ELNS1_3repE0EEENS1_30default_config_static_selectorELNS0_4arch9wavefront6targetE0EEEvT1_
                                        ; -- End function
	.section	.AMDGPU.csdata,"",@progbits
; Kernel info:
; codeLenInByte = 0
; NumSgprs: 0
; NumVgprs: 0
; ScratchSize: 0
; MemoryBound: 0
; FloatMode: 240
; IeeeMode: 1
; LDSByteSize: 0 bytes/workgroup (compile time only)
; SGPRBlocks: 0
; VGPRBlocks: 0
; NumSGPRsForWavesPerEU: 1
; NumVGPRsForWavesPerEU: 1
; Occupancy: 16
; WaveLimiterHint : 0
; COMPUTE_PGM_RSRC2:SCRATCH_EN: 0
; COMPUTE_PGM_RSRC2:USER_SGPR: 15
; COMPUTE_PGM_RSRC2:TRAP_HANDLER: 0
; COMPUTE_PGM_RSRC2:TGID_X_EN: 1
; COMPUTE_PGM_RSRC2:TGID_Y_EN: 0
; COMPUTE_PGM_RSRC2:TGID_Z_EN: 0
; COMPUTE_PGM_RSRC2:TIDIG_COMP_CNT: 0
	.section	.text._ZN7rocprim17ROCPRIM_400000_NS6detail17trampoline_kernelINS0_14default_configENS1_29reduce_by_key_config_selectorIjyN6thrust23THRUST_200600_302600_NS4plusIyEEEEZZNS1_33reduce_by_key_impl_wrapped_configILNS1_25lookback_scan_determinismE0ES3_S9_NS6_6detail15normal_iteratorINS6_10device_ptrIjEEEENSD_INSE_IyEEEENS6_16discard_iteratorINS6_11use_defaultEEESI_PmS8_NS6_8equal_toIjEEEE10hipError_tPvRmT2_T3_mT4_T5_T6_T7_T8_P12ihipStream_tbENKUlT_T0_E_clISt17integral_constantIbLb0EES16_EEDaS11_S12_EUlS11_E_NS1_11comp_targetILNS1_3genE4ELNS1_11target_archE910ELNS1_3gpuE8ELNS1_3repE0EEENS1_30default_config_static_selectorELNS0_4arch9wavefront6targetE0EEEvT1_,"axG",@progbits,_ZN7rocprim17ROCPRIM_400000_NS6detail17trampoline_kernelINS0_14default_configENS1_29reduce_by_key_config_selectorIjyN6thrust23THRUST_200600_302600_NS4plusIyEEEEZZNS1_33reduce_by_key_impl_wrapped_configILNS1_25lookback_scan_determinismE0ES3_S9_NS6_6detail15normal_iteratorINS6_10device_ptrIjEEEENSD_INSE_IyEEEENS6_16discard_iteratorINS6_11use_defaultEEESI_PmS8_NS6_8equal_toIjEEEE10hipError_tPvRmT2_T3_mT4_T5_T6_T7_T8_P12ihipStream_tbENKUlT_T0_E_clISt17integral_constantIbLb0EES16_EEDaS11_S12_EUlS11_E_NS1_11comp_targetILNS1_3genE4ELNS1_11target_archE910ELNS1_3gpuE8ELNS1_3repE0EEENS1_30default_config_static_selectorELNS0_4arch9wavefront6targetE0EEEvT1_,comdat
	.protected	_ZN7rocprim17ROCPRIM_400000_NS6detail17trampoline_kernelINS0_14default_configENS1_29reduce_by_key_config_selectorIjyN6thrust23THRUST_200600_302600_NS4plusIyEEEEZZNS1_33reduce_by_key_impl_wrapped_configILNS1_25lookback_scan_determinismE0ES3_S9_NS6_6detail15normal_iteratorINS6_10device_ptrIjEEEENSD_INSE_IyEEEENS6_16discard_iteratorINS6_11use_defaultEEESI_PmS8_NS6_8equal_toIjEEEE10hipError_tPvRmT2_T3_mT4_T5_T6_T7_T8_P12ihipStream_tbENKUlT_T0_E_clISt17integral_constantIbLb0EES16_EEDaS11_S12_EUlS11_E_NS1_11comp_targetILNS1_3genE4ELNS1_11target_archE910ELNS1_3gpuE8ELNS1_3repE0EEENS1_30default_config_static_selectorELNS0_4arch9wavefront6targetE0EEEvT1_ ; -- Begin function _ZN7rocprim17ROCPRIM_400000_NS6detail17trampoline_kernelINS0_14default_configENS1_29reduce_by_key_config_selectorIjyN6thrust23THRUST_200600_302600_NS4plusIyEEEEZZNS1_33reduce_by_key_impl_wrapped_configILNS1_25lookback_scan_determinismE0ES3_S9_NS6_6detail15normal_iteratorINS6_10device_ptrIjEEEENSD_INSE_IyEEEENS6_16discard_iteratorINS6_11use_defaultEEESI_PmS8_NS6_8equal_toIjEEEE10hipError_tPvRmT2_T3_mT4_T5_T6_T7_T8_P12ihipStream_tbENKUlT_T0_E_clISt17integral_constantIbLb0EES16_EEDaS11_S12_EUlS11_E_NS1_11comp_targetILNS1_3genE4ELNS1_11target_archE910ELNS1_3gpuE8ELNS1_3repE0EEENS1_30default_config_static_selectorELNS0_4arch9wavefront6targetE0EEEvT1_
	.globl	_ZN7rocprim17ROCPRIM_400000_NS6detail17trampoline_kernelINS0_14default_configENS1_29reduce_by_key_config_selectorIjyN6thrust23THRUST_200600_302600_NS4plusIyEEEEZZNS1_33reduce_by_key_impl_wrapped_configILNS1_25lookback_scan_determinismE0ES3_S9_NS6_6detail15normal_iteratorINS6_10device_ptrIjEEEENSD_INSE_IyEEEENS6_16discard_iteratorINS6_11use_defaultEEESI_PmS8_NS6_8equal_toIjEEEE10hipError_tPvRmT2_T3_mT4_T5_T6_T7_T8_P12ihipStream_tbENKUlT_T0_E_clISt17integral_constantIbLb0EES16_EEDaS11_S12_EUlS11_E_NS1_11comp_targetILNS1_3genE4ELNS1_11target_archE910ELNS1_3gpuE8ELNS1_3repE0EEENS1_30default_config_static_selectorELNS0_4arch9wavefront6targetE0EEEvT1_
	.p2align	8
	.type	_ZN7rocprim17ROCPRIM_400000_NS6detail17trampoline_kernelINS0_14default_configENS1_29reduce_by_key_config_selectorIjyN6thrust23THRUST_200600_302600_NS4plusIyEEEEZZNS1_33reduce_by_key_impl_wrapped_configILNS1_25lookback_scan_determinismE0ES3_S9_NS6_6detail15normal_iteratorINS6_10device_ptrIjEEEENSD_INSE_IyEEEENS6_16discard_iteratorINS6_11use_defaultEEESI_PmS8_NS6_8equal_toIjEEEE10hipError_tPvRmT2_T3_mT4_T5_T6_T7_T8_P12ihipStream_tbENKUlT_T0_E_clISt17integral_constantIbLb0EES16_EEDaS11_S12_EUlS11_E_NS1_11comp_targetILNS1_3genE4ELNS1_11target_archE910ELNS1_3gpuE8ELNS1_3repE0EEENS1_30default_config_static_selectorELNS0_4arch9wavefront6targetE0EEEvT1_,@function
_ZN7rocprim17ROCPRIM_400000_NS6detail17trampoline_kernelINS0_14default_configENS1_29reduce_by_key_config_selectorIjyN6thrust23THRUST_200600_302600_NS4plusIyEEEEZZNS1_33reduce_by_key_impl_wrapped_configILNS1_25lookback_scan_determinismE0ES3_S9_NS6_6detail15normal_iteratorINS6_10device_ptrIjEEEENSD_INSE_IyEEEENS6_16discard_iteratorINS6_11use_defaultEEESI_PmS8_NS6_8equal_toIjEEEE10hipError_tPvRmT2_T3_mT4_T5_T6_T7_T8_P12ihipStream_tbENKUlT_T0_E_clISt17integral_constantIbLb0EES16_EEDaS11_S12_EUlS11_E_NS1_11comp_targetILNS1_3genE4ELNS1_11target_archE910ELNS1_3gpuE8ELNS1_3repE0EEENS1_30default_config_static_selectorELNS0_4arch9wavefront6targetE0EEEvT1_: ; @_ZN7rocprim17ROCPRIM_400000_NS6detail17trampoline_kernelINS0_14default_configENS1_29reduce_by_key_config_selectorIjyN6thrust23THRUST_200600_302600_NS4plusIyEEEEZZNS1_33reduce_by_key_impl_wrapped_configILNS1_25lookback_scan_determinismE0ES3_S9_NS6_6detail15normal_iteratorINS6_10device_ptrIjEEEENSD_INSE_IyEEEENS6_16discard_iteratorINS6_11use_defaultEEESI_PmS8_NS6_8equal_toIjEEEE10hipError_tPvRmT2_T3_mT4_T5_T6_T7_T8_P12ihipStream_tbENKUlT_T0_E_clISt17integral_constantIbLb0EES16_EEDaS11_S12_EUlS11_E_NS1_11comp_targetILNS1_3genE4ELNS1_11target_archE910ELNS1_3gpuE8ELNS1_3repE0EEENS1_30default_config_static_selectorELNS0_4arch9wavefront6targetE0EEEvT1_
; %bb.0:
	.section	.rodata,"a",@progbits
	.p2align	6, 0x0
	.amdhsa_kernel _ZN7rocprim17ROCPRIM_400000_NS6detail17trampoline_kernelINS0_14default_configENS1_29reduce_by_key_config_selectorIjyN6thrust23THRUST_200600_302600_NS4plusIyEEEEZZNS1_33reduce_by_key_impl_wrapped_configILNS1_25lookback_scan_determinismE0ES3_S9_NS6_6detail15normal_iteratorINS6_10device_ptrIjEEEENSD_INSE_IyEEEENS6_16discard_iteratorINS6_11use_defaultEEESI_PmS8_NS6_8equal_toIjEEEE10hipError_tPvRmT2_T3_mT4_T5_T6_T7_T8_P12ihipStream_tbENKUlT_T0_E_clISt17integral_constantIbLb0EES16_EEDaS11_S12_EUlS11_E_NS1_11comp_targetILNS1_3genE4ELNS1_11target_archE910ELNS1_3gpuE8ELNS1_3repE0EEENS1_30default_config_static_selectorELNS0_4arch9wavefront6targetE0EEEvT1_
		.amdhsa_group_segment_fixed_size 0
		.amdhsa_private_segment_fixed_size 0
		.amdhsa_kernarg_size 144
		.amdhsa_user_sgpr_count 15
		.amdhsa_user_sgpr_dispatch_ptr 0
		.amdhsa_user_sgpr_queue_ptr 0
		.amdhsa_user_sgpr_kernarg_segment_ptr 1
		.amdhsa_user_sgpr_dispatch_id 0
		.amdhsa_user_sgpr_private_segment_size 0
		.amdhsa_wavefront_size32 1
		.amdhsa_uses_dynamic_stack 0
		.amdhsa_enable_private_segment 0
		.amdhsa_system_sgpr_workgroup_id_x 1
		.amdhsa_system_sgpr_workgroup_id_y 0
		.amdhsa_system_sgpr_workgroup_id_z 0
		.amdhsa_system_sgpr_workgroup_info 0
		.amdhsa_system_vgpr_workitem_id 0
		.amdhsa_next_free_vgpr 1
		.amdhsa_next_free_sgpr 1
		.amdhsa_reserve_vcc 0
		.amdhsa_float_round_mode_32 0
		.amdhsa_float_round_mode_16_64 0
		.amdhsa_float_denorm_mode_32 3
		.amdhsa_float_denorm_mode_16_64 3
		.amdhsa_dx10_clamp 1
		.amdhsa_ieee_mode 1
		.amdhsa_fp16_overflow 0
		.amdhsa_workgroup_processor_mode 1
		.amdhsa_memory_ordered 1
		.amdhsa_forward_progress 0
		.amdhsa_shared_vgpr_count 0
		.amdhsa_exception_fp_ieee_invalid_op 0
		.amdhsa_exception_fp_denorm_src 0
		.amdhsa_exception_fp_ieee_div_zero 0
		.amdhsa_exception_fp_ieee_overflow 0
		.amdhsa_exception_fp_ieee_underflow 0
		.amdhsa_exception_fp_ieee_inexact 0
		.amdhsa_exception_int_div_zero 0
	.end_amdhsa_kernel
	.section	.text._ZN7rocprim17ROCPRIM_400000_NS6detail17trampoline_kernelINS0_14default_configENS1_29reduce_by_key_config_selectorIjyN6thrust23THRUST_200600_302600_NS4plusIyEEEEZZNS1_33reduce_by_key_impl_wrapped_configILNS1_25lookback_scan_determinismE0ES3_S9_NS6_6detail15normal_iteratorINS6_10device_ptrIjEEEENSD_INSE_IyEEEENS6_16discard_iteratorINS6_11use_defaultEEESI_PmS8_NS6_8equal_toIjEEEE10hipError_tPvRmT2_T3_mT4_T5_T6_T7_T8_P12ihipStream_tbENKUlT_T0_E_clISt17integral_constantIbLb0EES16_EEDaS11_S12_EUlS11_E_NS1_11comp_targetILNS1_3genE4ELNS1_11target_archE910ELNS1_3gpuE8ELNS1_3repE0EEENS1_30default_config_static_selectorELNS0_4arch9wavefront6targetE0EEEvT1_,"axG",@progbits,_ZN7rocprim17ROCPRIM_400000_NS6detail17trampoline_kernelINS0_14default_configENS1_29reduce_by_key_config_selectorIjyN6thrust23THRUST_200600_302600_NS4plusIyEEEEZZNS1_33reduce_by_key_impl_wrapped_configILNS1_25lookback_scan_determinismE0ES3_S9_NS6_6detail15normal_iteratorINS6_10device_ptrIjEEEENSD_INSE_IyEEEENS6_16discard_iteratorINS6_11use_defaultEEESI_PmS8_NS6_8equal_toIjEEEE10hipError_tPvRmT2_T3_mT4_T5_T6_T7_T8_P12ihipStream_tbENKUlT_T0_E_clISt17integral_constantIbLb0EES16_EEDaS11_S12_EUlS11_E_NS1_11comp_targetILNS1_3genE4ELNS1_11target_archE910ELNS1_3gpuE8ELNS1_3repE0EEENS1_30default_config_static_selectorELNS0_4arch9wavefront6targetE0EEEvT1_,comdat
.Lfunc_end879:
	.size	_ZN7rocprim17ROCPRIM_400000_NS6detail17trampoline_kernelINS0_14default_configENS1_29reduce_by_key_config_selectorIjyN6thrust23THRUST_200600_302600_NS4plusIyEEEEZZNS1_33reduce_by_key_impl_wrapped_configILNS1_25lookback_scan_determinismE0ES3_S9_NS6_6detail15normal_iteratorINS6_10device_ptrIjEEEENSD_INSE_IyEEEENS6_16discard_iteratorINS6_11use_defaultEEESI_PmS8_NS6_8equal_toIjEEEE10hipError_tPvRmT2_T3_mT4_T5_T6_T7_T8_P12ihipStream_tbENKUlT_T0_E_clISt17integral_constantIbLb0EES16_EEDaS11_S12_EUlS11_E_NS1_11comp_targetILNS1_3genE4ELNS1_11target_archE910ELNS1_3gpuE8ELNS1_3repE0EEENS1_30default_config_static_selectorELNS0_4arch9wavefront6targetE0EEEvT1_, .Lfunc_end879-_ZN7rocprim17ROCPRIM_400000_NS6detail17trampoline_kernelINS0_14default_configENS1_29reduce_by_key_config_selectorIjyN6thrust23THRUST_200600_302600_NS4plusIyEEEEZZNS1_33reduce_by_key_impl_wrapped_configILNS1_25lookback_scan_determinismE0ES3_S9_NS6_6detail15normal_iteratorINS6_10device_ptrIjEEEENSD_INSE_IyEEEENS6_16discard_iteratorINS6_11use_defaultEEESI_PmS8_NS6_8equal_toIjEEEE10hipError_tPvRmT2_T3_mT4_T5_T6_T7_T8_P12ihipStream_tbENKUlT_T0_E_clISt17integral_constantIbLb0EES16_EEDaS11_S12_EUlS11_E_NS1_11comp_targetILNS1_3genE4ELNS1_11target_archE910ELNS1_3gpuE8ELNS1_3repE0EEENS1_30default_config_static_selectorELNS0_4arch9wavefront6targetE0EEEvT1_
                                        ; -- End function
	.section	.AMDGPU.csdata,"",@progbits
; Kernel info:
; codeLenInByte = 0
; NumSgprs: 0
; NumVgprs: 0
; ScratchSize: 0
; MemoryBound: 0
; FloatMode: 240
; IeeeMode: 1
; LDSByteSize: 0 bytes/workgroup (compile time only)
; SGPRBlocks: 0
; VGPRBlocks: 0
; NumSGPRsForWavesPerEU: 1
; NumVGPRsForWavesPerEU: 1
; Occupancy: 16
; WaveLimiterHint : 0
; COMPUTE_PGM_RSRC2:SCRATCH_EN: 0
; COMPUTE_PGM_RSRC2:USER_SGPR: 15
; COMPUTE_PGM_RSRC2:TRAP_HANDLER: 0
; COMPUTE_PGM_RSRC2:TGID_X_EN: 1
; COMPUTE_PGM_RSRC2:TGID_Y_EN: 0
; COMPUTE_PGM_RSRC2:TGID_Z_EN: 0
; COMPUTE_PGM_RSRC2:TIDIG_COMP_CNT: 0
	.section	.text._ZN7rocprim17ROCPRIM_400000_NS6detail17trampoline_kernelINS0_14default_configENS1_29reduce_by_key_config_selectorIjyN6thrust23THRUST_200600_302600_NS4plusIyEEEEZZNS1_33reduce_by_key_impl_wrapped_configILNS1_25lookback_scan_determinismE0ES3_S9_NS6_6detail15normal_iteratorINS6_10device_ptrIjEEEENSD_INSE_IyEEEENS6_16discard_iteratorINS6_11use_defaultEEESI_PmS8_NS6_8equal_toIjEEEE10hipError_tPvRmT2_T3_mT4_T5_T6_T7_T8_P12ihipStream_tbENKUlT_T0_E_clISt17integral_constantIbLb0EES16_EEDaS11_S12_EUlS11_E_NS1_11comp_targetILNS1_3genE3ELNS1_11target_archE908ELNS1_3gpuE7ELNS1_3repE0EEENS1_30default_config_static_selectorELNS0_4arch9wavefront6targetE0EEEvT1_,"axG",@progbits,_ZN7rocprim17ROCPRIM_400000_NS6detail17trampoline_kernelINS0_14default_configENS1_29reduce_by_key_config_selectorIjyN6thrust23THRUST_200600_302600_NS4plusIyEEEEZZNS1_33reduce_by_key_impl_wrapped_configILNS1_25lookback_scan_determinismE0ES3_S9_NS6_6detail15normal_iteratorINS6_10device_ptrIjEEEENSD_INSE_IyEEEENS6_16discard_iteratorINS6_11use_defaultEEESI_PmS8_NS6_8equal_toIjEEEE10hipError_tPvRmT2_T3_mT4_T5_T6_T7_T8_P12ihipStream_tbENKUlT_T0_E_clISt17integral_constantIbLb0EES16_EEDaS11_S12_EUlS11_E_NS1_11comp_targetILNS1_3genE3ELNS1_11target_archE908ELNS1_3gpuE7ELNS1_3repE0EEENS1_30default_config_static_selectorELNS0_4arch9wavefront6targetE0EEEvT1_,comdat
	.protected	_ZN7rocprim17ROCPRIM_400000_NS6detail17trampoline_kernelINS0_14default_configENS1_29reduce_by_key_config_selectorIjyN6thrust23THRUST_200600_302600_NS4plusIyEEEEZZNS1_33reduce_by_key_impl_wrapped_configILNS1_25lookback_scan_determinismE0ES3_S9_NS6_6detail15normal_iteratorINS6_10device_ptrIjEEEENSD_INSE_IyEEEENS6_16discard_iteratorINS6_11use_defaultEEESI_PmS8_NS6_8equal_toIjEEEE10hipError_tPvRmT2_T3_mT4_T5_T6_T7_T8_P12ihipStream_tbENKUlT_T0_E_clISt17integral_constantIbLb0EES16_EEDaS11_S12_EUlS11_E_NS1_11comp_targetILNS1_3genE3ELNS1_11target_archE908ELNS1_3gpuE7ELNS1_3repE0EEENS1_30default_config_static_selectorELNS0_4arch9wavefront6targetE0EEEvT1_ ; -- Begin function _ZN7rocprim17ROCPRIM_400000_NS6detail17trampoline_kernelINS0_14default_configENS1_29reduce_by_key_config_selectorIjyN6thrust23THRUST_200600_302600_NS4plusIyEEEEZZNS1_33reduce_by_key_impl_wrapped_configILNS1_25lookback_scan_determinismE0ES3_S9_NS6_6detail15normal_iteratorINS6_10device_ptrIjEEEENSD_INSE_IyEEEENS6_16discard_iteratorINS6_11use_defaultEEESI_PmS8_NS6_8equal_toIjEEEE10hipError_tPvRmT2_T3_mT4_T5_T6_T7_T8_P12ihipStream_tbENKUlT_T0_E_clISt17integral_constantIbLb0EES16_EEDaS11_S12_EUlS11_E_NS1_11comp_targetILNS1_3genE3ELNS1_11target_archE908ELNS1_3gpuE7ELNS1_3repE0EEENS1_30default_config_static_selectorELNS0_4arch9wavefront6targetE0EEEvT1_
	.globl	_ZN7rocprim17ROCPRIM_400000_NS6detail17trampoline_kernelINS0_14default_configENS1_29reduce_by_key_config_selectorIjyN6thrust23THRUST_200600_302600_NS4plusIyEEEEZZNS1_33reduce_by_key_impl_wrapped_configILNS1_25lookback_scan_determinismE0ES3_S9_NS6_6detail15normal_iteratorINS6_10device_ptrIjEEEENSD_INSE_IyEEEENS6_16discard_iteratorINS6_11use_defaultEEESI_PmS8_NS6_8equal_toIjEEEE10hipError_tPvRmT2_T3_mT4_T5_T6_T7_T8_P12ihipStream_tbENKUlT_T0_E_clISt17integral_constantIbLb0EES16_EEDaS11_S12_EUlS11_E_NS1_11comp_targetILNS1_3genE3ELNS1_11target_archE908ELNS1_3gpuE7ELNS1_3repE0EEENS1_30default_config_static_selectorELNS0_4arch9wavefront6targetE0EEEvT1_
	.p2align	8
	.type	_ZN7rocprim17ROCPRIM_400000_NS6detail17trampoline_kernelINS0_14default_configENS1_29reduce_by_key_config_selectorIjyN6thrust23THRUST_200600_302600_NS4plusIyEEEEZZNS1_33reduce_by_key_impl_wrapped_configILNS1_25lookback_scan_determinismE0ES3_S9_NS6_6detail15normal_iteratorINS6_10device_ptrIjEEEENSD_INSE_IyEEEENS6_16discard_iteratorINS6_11use_defaultEEESI_PmS8_NS6_8equal_toIjEEEE10hipError_tPvRmT2_T3_mT4_T5_T6_T7_T8_P12ihipStream_tbENKUlT_T0_E_clISt17integral_constantIbLb0EES16_EEDaS11_S12_EUlS11_E_NS1_11comp_targetILNS1_3genE3ELNS1_11target_archE908ELNS1_3gpuE7ELNS1_3repE0EEENS1_30default_config_static_selectorELNS0_4arch9wavefront6targetE0EEEvT1_,@function
_ZN7rocprim17ROCPRIM_400000_NS6detail17trampoline_kernelINS0_14default_configENS1_29reduce_by_key_config_selectorIjyN6thrust23THRUST_200600_302600_NS4plusIyEEEEZZNS1_33reduce_by_key_impl_wrapped_configILNS1_25lookback_scan_determinismE0ES3_S9_NS6_6detail15normal_iteratorINS6_10device_ptrIjEEEENSD_INSE_IyEEEENS6_16discard_iteratorINS6_11use_defaultEEESI_PmS8_NS6_8equal_toIjEEEE10hipError_tPvRmT2_T3_mT4_T5_T6_T7_T8_P12ihipStream_tbENKUlT_T0_E_clISt17integral_constantIbLb0EES16_EEDaS11_S12_EUlS11_E_NS1_11comp_targetILNS1_3genE3ELNS1_11target_archE908ELNS1_3gpuE7ELNS1_3repE0EEENS1_30default_config_static_selectorELNS0_4arch9wavefront6targetE0EEEvT1_: ; @_ZN7rocprim17ROCPRIM_400000_NS6detail17trampoline_kernelINS0_14default_configENS1_29reduce_by_key_config_selectorIjyN6thrust23THRUST_200600_302600_NS4plusIyEEEEZZNS1_33reduce_by_key_impl_wrapped_configILNS1_25lookback_scan_determinismE0ES3_S9_NS6_6detail15normal_iteratorINS6_10device_ptrIjEEEENSD_INSE_IyEEEENS6_16discard_iteratorINS6_11use_defaultEEESI_PmS8_NS6_8equal_toIjEEEE10hipError_tPvRmT2_T3_mT4_T5_T6_T7_T8_P12ihipStream_tbENKUlT_T0_E_clISt17integral_constantIbLb0EES16_EEDaS11_S12_EUlS11_E_NS1_11comp_targetILNS1_3genE3ELNS1_11target_archE908ELNS1_3gpuE7ELNS1_3repE0EEENS1_30default_config_static_selectorELNS0_4arch9wavefront6targetE0EEEvT1_
; %bb.0:
	.section	.rodata,"a",@progbits
	.p2align	6, 0x0
	.amdhsa_kernel _ZN7rocprim17ROCPRIM_400000_NS6detail17trampoline_kernelINS0_14default_configENS1_29reduce_by_key_config_selectorIjyN6thrust23THRUST_200600_302600_NS4plusIyEEEEZZNS1_33reduce_by_key_impl_wrapped_configILNS1_25lookback_scan_determinismE0ES3_S9_NS6_6detail15normal_iteratorINS6_10device_ptrIjEEEENSD_INSE_IyEEEENS6_16discard_iteratorINS6_11use_defaultEEESI_PmS8_NS6_8equal_toIjEEEE10hipError_tPvRmT2_T3_mT4_T5_T6_T7_T8_P12ihipStream_tbENKUlT_T0_E_clISt17integral_constantIbLb0EES16_EEDaS11_S12_EUlS11_E_NS1_11comp_targetILNS1_3genE3ELNS1_11target_archE908ELNS1_3gpuE7ELNS1_3repE0EEENS1_30default_config_static_selectorELNS0_4arch9wavefront6targetE0EEEvT1_
		.amdhsa_group_segment_fixed_size 0
		.amdhsa_private_segment_fixed_size 0
		.amdhsa_kernarg_size 144
		.amdhsa_user_sgpr_count 15
		.amdhsa_user_sgpr_dispatch_ptr 0
		.amdhsa_user_sgpr_queue_ptr 0
		.amdhsa_user_sgpr_kernarg_segment_ptr 1
		.amdhsa_user_sgpr_dispatch_id 0
		.amdhsa_user_sgpr_private_segment_size 0
		.amdhsa_wavefront_size32 1
		.amdhsa_uses_dynamic_stack 0
		.amdhsa_enable_private_segment 0
		.amdhsa_system_sgpr_workgroup_id_x 1
		.amdhsa_system_sgpr_workgroup_id_y 0
		.amdhsa_system_sgpr_workgroup_id_z 0
		.amdhsa_system_sgpr_workgroup_info 0
		.amdhsa_system_vgpr_workitem_id 0
		.amdhsa_next_free_vgpr 1
		.amdhsa_next_free_sgpr 1
		.amdhsa_reserve_vcc 0
		.amdhsa_float_round_mode_32 0
		.amdhsa_float_round_mode_16_64 0
		.amdhsa_float_denorm_mode_32 3
		.amdhsa_float_denorm_mode_16_64 3
		.amdhsa_dx10_clamp 1
		.amdhsa_ieee_mode 1
		.amdhsa_fp16_overflow 0
		.amdhsa_workgroup_processor_mode 1
		.amdhsa_memory_ordered 1
		.amdhsa_forward_progress 0
		.amdhsa_shared_vgpr_count 0
		.amdhsa_exception_fp_ieee_invalid_op 0
		.amdhsa_exception_fp_denorm_src 0
		.amdhsa_exception_fp_ieee_div_zero 0
		.amdhsa_exception_fp_ieee_overflow 0
		.amdhsa_exception_fp_ieee_underflow 0
		.amdhsa_exception_fp_ieee_inexact 0
		.amdhsa_exception_int_div_zero 0
	.end_amdhsa_kernel
	.section	.text._ZN7rocprim17ROCPRIM_400000_NS6detail17trampoline_kernelINS0_14default_configENS1_29reduce_by_key_config_selectorIjyN6thrust23THRUST_200600_302600_NS4plusIyEEEEZZNS1_33reduce_by_key_impl_wrapped_configILNS1_25lookback_scan_determinismE0ES3_S9_NS6_6detail15normal_iteratorINS6_10device_ptrIjEEEENSD_INSE_IyEEEENS6_16discard_iteratorINS6_11use_defaultEEESI_PmS8_NS6_8equal_toIjEEEE10hipError_tPvRmT2_T3_mT4_T5_T6_T7_T8_P12ihipStream_tbENKUlT_T0_E_clISt17integral_constantIbLb0EES16_EEDaS11_S12_EUlS11_E_NS1_11comp_targetILNS1_3genE3ELNS1_11target_archE908ELNS1_3gpuE7ELNS1_3repE0EEENS1_30default_config_static_selectorELNS0_4arch9wavefront6targetE0EEEvT1_,"axG",@progbits,_ZN7rocprim17ROCPRIM_400000_NS6detail17trampoline_kernelINS0_14default_configENS1_29reduce_by_key_config_selectorIjyN6thrust23THRUST_200600_302600_NS4plusIyEEEEZZNS1_33reduce_by_key_impl_wrapped_configILNS1_25lookback_scan_determinismE0ES3_S9_NS6_6detail15normal_iteratorINS6_10device_ptrIjEEEENSD_INSE_IyEEEENS6_16discard_iteratorINS6_11use_defaultEEESI_PmS8_NS6_8equal_toIjEEEE10hipError_tPvRmT2_T3_mT4_T5_T6_T7_T8_P12ihipStream_tbENKUlT_T0_E_clISt17integral_constantIbLb0EES16_EEDaS11_S12_EUlS11_E_NS1_11comp_targetILNS1_3genE3ELNS1_11target_archE908ELNS1_3gpuE7ELNS1_3repE0EEENS1_30default_config_static_selectorELNS0_4arch9wavefront6targetE0EEEvT1_,comdat
.Lfunc_end880:
	.size	_ZN7rocprim17ROCPRIM_400000_NS6detail17trampoline_kernelINS0_14default_configENS1_29reduce_by_key_config_selectorIjyN6thrust23THRUST_200600_302600_NS4plusIyEEEEZZNS1_33reduce_by_key_impl_wrapped_configILNS1_25lookback_scan_determinismE0ES3_S9_NS6_6detail15normal_iteratorINS6_10device_ptrIjEEEENSD_INSE_IyEEEENS6_16discard_iteratorINS6_11use_defaultEEESI_PmS8_NS6_8equal_toIjEEEE10hipError_tPvRmT2_T3_mT4_T5_T6_T7_T8_P12ihipStream_tbENKUlT_T0_E_clISt17integral_constantIbLb0EES16_EEDaS11_S12_EUlS11_E_NS1_11comp_targetILNS1_3genE3ELNS1_11target_archE908ELNS1_3gpuE7ELNS1_3repE0EEENS1_30default_config_static_selectorELNS0_4arch9wavefront6targetE0EEEvT1_, .Lfunc_end880-_ZN7rocprim17ROCPRIM_400000_NS6detail17trampoline_kernelINS0_14default_configENS1_29reduce_by_key_config_selectorIjyN6thrust23THRUST_200600_302600_NS4plusIyEEEEZZNS1_33reduce_by_key_impl_wrapped_configILNS1_25lookback_scan_determinismE0ES3_S9_NS6_6detail15normal_iteratorINS6_10device_ptrIjEEEENSD_INSE_IyEEEENS6_16discard_iteratorINS6_11use_defaultEEESI_PmS8_NS6_8equal_toIjEEEE10hipError_tPvRmT2_T3_mT4_T5_T6_T7_T8_P12ihipStream_tbENKUlT_T0_E_clISt17integral_constantIbLb0EES16_EEDaS11_S12_EUlS11_E_NS1_11comp_targetILNS1_3genE3ELNS1_11target_archE908ELNS1_3gpuE7ELNS1_3repE0EEENS1_30default_config_static_selectorELNS0_4arch9wavefront6targetE0EEEvT1_
                                        ; -- End function
	.section	.AMDGPU.csdata,"",@progbits
; Kernel info:
; codeLenInByte = 0
; NumSgprs: 0
; NumVgprs: 0
; ScratchSize: 0
; MemoryBound: 0
; FloatMode: 240
; IeeeMode: 1
; LDSByteSize: 0 bytes/workgroup (compile time only)
; SGPRBlocks: 0
; VGPRBlocks: 0
; NumSGPRsForWavesPerEU: 1
; NumVGPRsForWavesPerEU: 1
; Occupancy: 16
; WaveLimiterHint : 0
; COMPUTE_PGM_RSRC2:SCRATCH_EN: 0
; COMPUTE_PGM_RSRC2:USER_SGPR: 15
; COMPUTE_PGM_RSRC2:TRAP_HANDLER: 0
; COMPUTE_PGM_RSRC2:TGID_X_EN: 1
; COMPUTE_PGM_RSRC2:TGID_Y_EN: 0
; COMPUTE_PGM_RSRC2:TGID_Z_EN: 0
; COMPUTE_PGM_RSRC2:TIDIG_COMP_CNT: 0
	.section	.text._ZN7rocprim17ROCPRIM_400000_NS6detail17trampoline_kernelINS0_14default_configENS1_29reduce_by_key_config_selectorIjyN6thrust23THRUST_200600_302600_NS4plusIyEEEEZZNS1_33reduce_by_key_impl_wrapped_configILNS1_25lookback_scan_determinismE0ES3_S9_NS6_6detail15normal_iteratorINS6_10device_ptrIjEEEENSD_INSE_IyEEEENS6_16discard_iteratorINS6_11use_defaultEEESI_PmS8_NS6_8equal_toIjEEEE10hipError_tPvRmT2_T3_mT4_T5_T6_T7_T8_P12ihipStream_tbENKUlT_T0_E_clISt17integral_constantIbLb0EES16_EEDaS11_S12_EUlS11_E_NS1_11comp_targetILNS1_3genE2ELNS1_11target_archE906ELNS1_3gpuE6ELNS1_3repE0EEENS1_30default_config_static_selectorELNS0_4arch9wavefront6targetE0EEEvT1_,"axG",@progbits,_ZN7rocprim17ROCPRIM_400000_NS6detail17trampoline_kernelINS0_14default_configENS1_29reduce_by_key_config_selectorIjyN6thrust23THRUST_200600_302600_NS4plusIyEEEEZZNS1_33reduce_by_key_impl_wrapped_configILNS1_25lookback_scan_determinismE0ES3_S9_NS6_6detail15normal_iteratorINS6_10device_ptrIjEEEENSD_INSE_IyEEEENS6_16discard_iteratorINS6_11use_defaultEEESI_PmS8_NS6_8equal_toIjEEEE10hipError_tPvRmT2_T3_mT4_T5_T6_T7_T8_P12ihipStream_tbENKUlT_T0_E_clISt17integral_constantIbLb0EES16_EEDaS11_S12_EUlS11_E_NS1_11comp_targetILNS1_3genE2ELNS1_11target_archE906ELNS1_3gpuE6ELNS1_3repE0EEENS1_30default_config_static_selectorELNS0_4arch9wavefront6targetE0EEEvT1_,comdat
	.protected	_ZN7rocprim17ROCPRIM_400000_NS6detail17trampoline_kernelINS0_14default_configENS1_29reduce_by_key_config_selectorIjyN6thrust23THRUST_200600_302600_NS4plusIyEEEEZZNS1_33reduce_by_key_impl_wrapped_configILNS1_25lookback_scan_determinismE0ES3_S9_NS6_6detail15normal_iteratorINS6_10device_ptrIjEEEENSD_INSE_IyEEEENS6_16discard_iteratorINS6_11use_defaultEEESI_PmS8_NS6_8equal_toIjEEEE10hipError_tPvRmT2_T3_mT4_T5_T6_T7_T8_P12ihipStream_tbENKUlT_T0_E_clISt17integral_constantIbLb0EES16_EEDaS11_S12_EUlS11_E_NS1_11comp_targetILNS1_3genE2ELNS1_11target_archE906ELNS1_3gpuE6ELNS1_3repE0EEENS1_30default_config_static_selectorELNS0_4arch9wavefront6targetE0EEEvT1_ ; -- Begin function _ZN7rocprim17ROCPRIM_400000_NS6detail17trampoline_kernelINS0_14default_configENS1_29reduce_by_key_config_selectorIjyN6thrust23THRUST_200600_302600_NS4plusIyEEEEZZNS1_33reduce_by_key_impl_wrapped_configILNS1_25lookback_scan_determinismE0ES3_S9_NS6_6detail15normal_iteratorINS6_10device_ptrIjEEEENSD_INSE_IyEEEENS6_16discard_iteratorINS6_11use_defaultEEESI_PmS8_NS6_8equal_toIjEEEE10hipError_tPvRmT2_T3_mT4_T5_T6_T7_T8_P12ihipStream_tbENKUlT_T0_E_clISt17integral_constantIbLb0EES16_EEDaS11_S12_EUlS11_E_NS1_11comp_targetILNS1_3genE2ELNS1_11target_archE906ELNS1_3gpuE6ELNS1_3repE0EEENS1_30default_config_static_selectorELNS0_4arch9wavefront6targetE0EEEvT1_
	.globl	_ZN7rocprim17ROCPRIM_400000_NS6detail17trampoline_kernelINS0_14default_configENS1_29reduce_by_key_config_selectorIjyN6thrust23THRUST_200600_302600_NS4plusIyEEEEZZNS1_33reduce_by_key_impl_wrapped_configILNS1_25lookback_scan_determinismE0ES3_S9_NS6_6detail15normal_iteratorINS6_10device_ptrIjEEEENSD_INSE_IyEEEENS6_16discard_iteratorINS6_11use_defaultEEESI_PmS8_NS6_8equal_toIjEEEE10hipError_tPvRmT2_T3_mT4_T5_T6_T7_T8_P12ihipStream_tbENKUlT_T0_E_clISt17integral_constantIbLb0EES16_EEDaS11_S12_EUlS11_E_NS1_11comp_targetILNS1_3genE2ELNS1_11target_archE906ELNS1_3gpuE6ELNS1_3repE0EEENS1_30default_config_static_selectorELNS0_4arch9wavefront6targetE0EEEvT1_
	.p2align	8
	.type	_ZN7rocprim17ROCPRIM_400000_NS6detail17trampoline_kernelINS0_14default_configENS1_29reduce_by_key_config_selectorIjyN6thrust23THRUST_200600_302600_NS4plusIyEEEEZZNS1_33reduce_by_key_impl_wrapped_configILNS1_25lookback_scan_determinismE0ES3_S9_NS6_6detail15normal_iteratorINS6_10device_ptrIjEEEENSD_INSE_IyEEEENS6_16discard_iteratorINS6_11use_defaultEEESI_PmS8_NS6_8equal_toIjEEEE10hipError_tPvRmT2_T3_mT4_T5_T6_T7_T8_P12ihipStream_tbENKUlT_T0_E_clISt17integral_constantIbLb0EES16_EEDaS11_S12_EUlS11_E_NS1_11comp_targetILNS1_3genE2ELNS1_11target_archE906ELNS1_3gpuE6ELNS1_3repE0EEENS1_30default_config_static_selectorELNS0_4arch9wavefront6targetE0EEEvT1_,@function
_ZN7rocprim17ROCPRIM_400000_NS6detail17trampoline_kernelINS0_14default_configENS1_29reduce_by_key_config_selectorIjyN6thrust23THRUST_200600_302600_NS4plusIyEEEEZZNS1_33reduce_by_key_impl_wrapped_configILNS1_25lookback_scan_determinismE0ES3_S9_NS6_6detail15normal_iteratorINS6_10device_ptrIjEEEENSD_INSE_IyEEEENS6_16discard_iteratorINS6_11use_defaultEEESI_PmS8_NS6_8equal_toIjEEEE10hipError_tPvRmT2_T3_mT4_T5_T6_T7_T8_P12ihipStream_tbENKUlT_T0_E_clISt17integral_constantIbLb0EES16_EEDaS11_S12_EUlS11_E_NS1_11comp_targetILNS1_3genE2ELNS1_11target_archE906ELNS1_3gpuE6ELNS1_3repE0EEENS1_30default_config_static_selectorELNS0_4arch9wavefront6targetE0EEEvT1_: ; @_ZN7rocprim17ROCPRIM_400000_NS6detail17trampoline_kernelINS0_14default_configENS1_29reduce_by_key_config_selectorIjyN6thrust23THRUST_200600_302600_NS4plusIyEEEEZZNS1_33reduce_by_key_impl_wrapped_configILNS1_25lookback_scan_determinismE0ES3_S9_NS6_6detail15normal_iteratorINS6_10device_ptrIjEEEENSD_INSE_IyEEEENS6_16discard_iteratorINS6_11use_defaultEEESI_PmS8_NS6_8equal_toIjEEEE10hipError_tPvRmT2_T3_mT4_T5_T6_T7_T8_P12ihipStream_tbENKUlT_T0_E_clISt17integral_constantIbLb0EES16_EEDaS11_S12_EUlS11_E_NS1_11comp_targetILNS1_3genE2ELNS1_11target_archE906ELNS1_3gpuE6ELNS1_3repE0EEENS1_30default_config_static_selectorELNS0_4arch9wavefront6targetE0EEEvT1_
; %bb.0:
	.section	.rodata,"a",@progbits
	.p2align	6, 0x0
	.amdhsa_kernel _ZN7rocprim17ROCPRIM_400000_NS6detail17trampoline_kernelINS0_14default_configENS1_29reduce_by_key_config_selectorIjyN6thrust23THRUST_200600_302600_NS4plusIyEEEEZZNS1_33reduce_by_key_impl_wrapped_configILNS1_25lookback_scan_determinismE0ES3_S9_NS6_6detail15normal_iteratorINS6_10device_ptrIjEEEENSD_INSE_IyEEEENS6_16discard_iteratorINS6_11use_defaultEEESI_PmS8_NS6_8equal_toIjEEEE10hipError_tPvRmT2_T3_mT4_T5_T6_T7_T8_P12ihipStream_tbENKUlT_T0_E_clISt17integral_constantIbLb0EES16_EEDaS11_S12_EUlS11_E_NS1_11comp_targetILNS1_3genE2ELNS1_11target_archE906ELNS1_3gpuE6ELNS1_3repE0EEENS1_30default_config_static_selectorELNS0_4arch9wavefront6targetE0EEEvT1_
		.amdhsa_group_segment_fixed_size 0
		.amdhsa_private_segment_fixed_size 0
		.amdhsa_kernarg_size 144
		.amdhsa_user_sgpr_count 15
		.amdhsa_user_sgpr_dispatch_ptr 0
		.amdhsa_user_sgpr_queue_ptr 0
		.amdhsa_user_sgpr_kernarg_segment_ptr 1
		.amdhsa_user_sgpr_dispatch_id 0
		.amdhsa_user_sgpr_private_segment_size 0
		.amdhsa_wavefront_size32 1
		.amdhsa_uses_dynamic_stack 0
		.amdhsa_enable_private_segment 0
		.amdhsa_system_sgpr_workgroup_id_x 1
		.amdhsa_system_sgpr_workgroup_id_y 0
		.amdhsa_system_sgpr_workgroup_id_z 0
		.amdhsa_system_sgpr_workgroup_info 0
		.amdhsa_system_vgpr_workitem_id 0
		.amdhsa_next_free_vgpr 1
		.amdhsa_next_free_sgpr 1
		.amdhsa_reserve_vcc 0
		.amdhsa_float_round_mode_32 0
		.amdhsa_float_round_mode_16_64 0
		.amdhsa_float_denorm_mode_32 3
		.amdhsa_float_denorm_mode_16_64 3
		.amdhsa_dx10_clamp 1
		.amdhsa_ieee_mode 1
		.amdhsa_fp16_overflow 0
		.amdhsa_workgroup_processor_mode 1
		.amdhsa_memory_ordered 1
		.amdhsa_forward_progress 0
		.amdhsa_shared_vgpr_count 0
		.amdhsa_exception_fp_ieee_invalid_op 0
		.amdhsa_exception_fp_denorm_src 0
		.amdhsa_exception_fp_ieee_div_zero 0
		.amdhsa_exception_fp_ieee_overflow 0
		.amdhsa_exception_fp_ieee_underflow 0
		.amdhsa_exception_fp_ieee_inexact 0
		.amdhsa_exception_int_div_zero 0
	.end_amdhsa_kernel
	.section	.text._ZN7rocprim17ROCPRIM_400000_NS6detail17trampoline_kernelINS0_14default_configENS1_29reduce_by_key_config_selectorIjyN6thrust23THRUST_200600_302600_NS4plusIyEEEEZZNS1_33reduce_by_key_impl_wrapped_configILNS1_25lookback_scan_determinismE0ES3_S9_NS6_6detail15normal_iteratorINS6_10device_ptrIjEEEENSD_INSE_IyEEEENS6_16discard_iteratorINS6_11use_defaultEEESI_PmS8_NS6_8equal_toIjEEEE10hipError_tPvRmT2_T3_mT4_T5_T6_T7_T8_P12ihipStream_tbENKUlT_T0_E_clISt17integral_constantIbLb0EES16_EEDaS11_S12_EUlS11_E_NS1_11comp_targetILNS1_3genE2ELNS1_11target_archE906ELNS1_3gpuE6ELNS1_3repE0EEENS1_30default_config_static_selectorELNS0_4arch9wavefront6targetE0EEEvT1_,"axG",@progbits,_ZN7rocprim17ROCPRIM_400000_NS6detail17trampoline_kernelINS0_14default_configENS1_29reduce_by_key_config_selectorIjyN6thrust23THRUST_200600_302600_NS4plusIyEEEEZZNS1_33reduce_by_key_impl_wrapped_configILNS1_25lookback_scan_determinismE0ES3_S9_NS6_6detail15normal_iteratorINS6_10device_ptrIjEEEENSD_INSE_IyEEEENS6_16discard_iteratorINS6_11use_defaultEEESI_PmS8_NS6_8equal_toIjEEEE10hipError_tPvRmT2_T3_mT4_T5_T6_T7_T8_P12ihipStream_tbENKUlT_T0_E_clISt17integral_constantIbLb0EES16_EEDaS11_S12_EUlS11_E_NS1_11comp_targetILNS1_3genE2ELNS1_11target_archE906ELNS1_3gpuE6ELNS1_3repE0EEENS1_30default_config_static_selectorELNS0_4arch9wavefront6targetE0EEEvT1_,comdat
.Lfunc_end881:
	.size	_ZN7rocprim17ROCPRIM_400000_NS6detail17trampoline_kernelINS0_14default_configENS1_29reduce_by_key_config_selectorIjyN6thrust23THRUST_200600_302600_NS4plusIyEEEEZZNS1_33reduce_by_key_impl_wrapped_configILNS1_25lookback_scan_determinismE0ES3_S9_NS6_6detail15normal_iteratorINS6_10device_ptrIjEEEENSD_INSE_IyEEEENS6_16discard_iteratorINS6_11use_defaultEEESI_PmS8_NS6_8equal_toIjEEEE10hipError_tPvRmT2_T3_mT4_T5_T6_T7_T8_P12ihipStream_tbENKUlT_T0_E_clISt17integral_constantIbLb0EES16_EEDaS11_S12_EUlS11_E_NS1_11comp_targetILNS1_3genE2ELNS1_11target_archE906ELNS1_3gpuE6ELNS1_3repE0EEENS1_30default_config_static_selectorELNS0_4arch9wavefront6targetE0EEEvT1_, .Lfunc_end881-_ZN7rocprim17ROCPRIM_400000_NS6detail17trampoline_kernelINS0_14default_configENS1_29reduce_by_key_config_selectorIjyN6thrust23THRUST_200600_302600_NS4plusIyEEEEZZNS1_33reduce_by_key_impl_wrapped_configILNS1_25lookback_scan_determinismE0ES3_S9_NS6_6detail15normal_iteratorINS6_10device_ptrIjEEEENSD_INSE_IyEEEENS6_16discard_iteratorINS6_11use_defaultEEESI_PmS8_NS6_8equal_toIjEEEE10hipError_tPvRmT2_T3_mT4_T5_T6_T7_T8_P12ihipStream_tbENKUlT_T0_E_clISt17integral_constantIbLb0EES16_EEDaS11_S12_EUlS11_E_NS1_11comp_targetILNS1_3genE2ELNS1_11target_archE906ELNS1_3gpuE6ELNS1_3repE0EEENS1_30default_config_static_selectorELNS0_4arch9wavefront6targetE0EEEvT1_
                                        ; -- End function
	.section	.AMDGPU.csdata,"",@progbits
; Kernel info:
; codeLenInByte = 0
; NumSgprs: 0
; NumVgprs: 0
; ScratchSize: 0
; MemoryBound: 0
; FloatMode: 240
; IeeeMode: 1
; LDSByteSize: 0 bytes/workgroup (compile time only)
; SGPRBlocks: 0
; VGPRBlocks: 0
; NumSGPRsForWavesPerEU: 1
; NumVGPRsForWavesPerEU: 1
; Occupancy: 16
; WaveLimiterHint : 0
; COMPUTE_PGM_RSRC2:SCRATCH_EN: 0
; COMPUTE_PGM_RSRC2:USER_SGPR: 15
; COMPUTE_PGM_RSRC2:TRAP_HANDLER: 0
; COMPUTE_PGM_RSRC2:TGID_X_EN: 1
; COMPUTE_PGM_RSRC2:TGID_Y_EN: 0
; COMPUTE_PGM_RSRC2:TGID_Z_EN: 0
; COMPUTE_PGM_RSRC2:TIDIG_COMP_CNT: 0
	.section	.text._ZN7rocprim17ROCPRIM_400000_NS6detail17trampoline_kernelINS0_14default_configENS1_29reduce_by_key_config_selectorIjyN6thrust23THRUST_200600_302600_NS4plusIyEEEEZZNS1_33reduce_by_key_impl_wrapped_configILNS1_25lookback_scan_determinismE0ES3_S9_NS6_6detail15normal_iteratorINS6_10device_ptrIjEEEENSD_INSE_IyEEEENS6_16discard_iteratorINS6_11use_defaultEEESI_PmS8_NS6_8equal_toIjEEEE10hipError_tPvRmT2_T3_mT4_T5_T6_T7_T8_P12ihipStream_tbENKUlT_T0_E_clISt17integral_constantIbLb0EES16_EEDaS11_S12_EUlS11_E_NS1_11comp_targetILNS1_3genE10ELNS1_11target_archE1201ELNS1_3gpuE5ELNS1_3repE0EEENS1_30default_config_static_selectorELNS0_4arch9wavefront6targetE0EEEvT1_,"axG",@progbits,_ZN7rocprim17ROCPRIM_400000_NS6detail17trampoline_kernelINS0_14default_configENS1_29reduce_by_key_config_selectorIjyN6thrust23THRUST_200600_302600_NS4plusIyEEEEZZNS1_33reduce_by_key_impl_wrapped_configILNS1_25lookback_scan_determinismE0ES3_S9_NS6_6detail15normal_iteratorINS6_10device_ptrIjEEEENSD_INSE_IyEEEENS6_16discard_iteratorINS6_11use_defaultEEESI_PmS8_NS6_8equal_toIjEEEE10hipError_tPvRmT2_T3_mT4_T5_T6_T7_T8_P12ihipStream_tbENKUlT_T0_E_clISt17integral_constantIbLb0EES16_EEDaS11_S12_EUlS11_E_NS1_11comp_targetILNS1_3genE10ELNS1_11target_archE1201ELNS1_3gpuE5ELNS1_3repE0EEENS1_30default_config_static_selectorELNS0_4arch9wavefront6targetE0EEEvT1_,comdat
	.protected	_ZN7rocprim17ROCPRIM_400000_NS6detail17trampoline_kernelINS0_14default_configENS1_29reduce_by_key_config_selectorIjyN6thrust23THRUST_200600_302600_NS4plusIyEEEEZZNS1_33reduce_by_key_impl_wrapped_configILNS1_25lookback_scan_determinismE0ES3_S9_NS6_6detail15normal_iteratorINS6_10device_ptrIjEEEENSD_INSE_IyEEEENS6_16discard_iteratorINS6_11use_defaultEEESI_PmS8_NS6_8equal_toIjEEEE10hipError_tPvRmT2_T3_mT4_T5_T6_T7_T8_P12ihipStream_tbENKUlT_T0_E_clISt17integral_constantIbLb0EES16_EEDaS11_S12_EUlS11_E_NS1_11comp_targetILNS1_3genE10ELNS1_11target_archE1201ELNS1_3gpuE5ELNS1_3repE0EEENS1_30default_config_static_selectorELNS0_4arch9wavefront6targetE0EEEvT1_ ; -- Begin function _ZN7rocprim17ROCPRIM_400000_NS6detail17trampoline_kernelINS0_14default_configENS1_29reduce_by_key_config_selectorIjyN6thrust23THRUST_200600_302600_NS4plusIyEEEEZZNS1_33reduce_by_key_impl_wrapped_configILNS1_25lookback_scan_determinismE0ES3_S9_NS6_6detail15normal_iteratorINS6_10device_ptrIjEEEENSD_INSE_IyEEEENS6_16discard_iteratorINS6_11use_defaultEEESI_PmS8_NS6_8equal_toIjEEEE10hipError_tPvRmT2_T3_mT4_T5_T6_T7_T8_P12ihipStream_tbENKUlT_T0_E_clISt17integral_constantIbLb0EES16_EEDaS11_S12_EUlS11_E_NS1_11comp_targetILNS1_3genE10ELNS1_11target_archE1201ELNS1_3gpuE5ELNS1_3repE0EEENS1_30default_config_static_selectorELNS0_4arch9wavefront6targetE0EEEvT1_
	.globl	_ZN7rocprim17ROCPRIM_400000_NS6detail17trampoline_kernelINS0_14default_configENS1_29reduce_by_key_config_selectorIjyN6thrust23THRUST_200600_302600_NS4plusIyEEEEZZNS1_33reduce_by_key_impl_wrapped_configILNS1_25lookback_scan_determinismE0ES3_S9_NS6_6detail15normal_iteratorINS6_10device_ptrIjEEEENSD_INSE_IyEEEENS6_16discard_iteratorINS6_11use_defaultEEESI_PmS8_NS6_8equal_toIjEEEE10hipError_tPvRmT2_T3_mT4_T5_T6_T7_T8_P12ihipStream_tbENKUlT_T0_E_clISt17integral_constantIbLb0EES16_EEDaS11_S12_EUlS11_E_NS1_11comp_targetILNS1_3genE10ELNS1_11target_archE1201ELNS1_3gpuE5ELNS1_3repE0EEENS1_30default_config_static_selectorELNS0_4arch9wavefront6targetE0EEEvT1_
	.p2align	8
	.type	_ZN7rocprim17ROCPRIM_400000_NS6detail17trampoline_kernelINS0_14default_configENS1_29reduce_by_key_config_selectorIjyN6thrust23THRUST_200600_302600_NS4plusIyEEEEZZNS1_33reduce_by_key_impl_wrapped_configILNS1_25lookback_scan_determinismE0ES3_S9_NS6_6detail15normal_iteratorINS6_10device_ptrIjEEEENSD_INSE_IyEEEENS6_16discard_iteratorINS6_11use_defaultEEESI_PmS8_NS6_8equal_toIjEEEE10hipError_tPvRmT2_T3_mT4_T5_T6_T7_T8_P12ihipStream_tbENKUlT_T0_E_clISt17integral_constantIbLb0EES16_EEDaS11_S12_EUlS11_E_NS1_11comp_targetILNS1_3genE10ELNS1_11target_archE1201ELNS1_3gpuE5ELNS1_3repE0EEENS1_30default_config_static_selectorELNS0_4arch9wavefront6targetE0EEEvT1_,@function
_ZN7rocprim17ROCPRIM_400000_NS6detail17trampoline_kernelINS0_14default_configENS1_29reduce_by_key_config_selectorIjyN6thrust23THRUST_200600_302600_NS4plusIyEEEEZZNS1_33reduce_by_key_impl_wrapped_configILNS1_25lookback_scan_determinismE0ES3_S9_NS6_6detail15normal_iteratorINS6_10device_ptrIjEEEENSD_INSE_IyEEEENS6_16discard_iteratorINS6_11use_defaultEEESI_PmS8_NS6_8equal_toIjEEEE10hipError_tPvRmT2_T3_mT4_T5_T6_T7_T8_P12ihipStream_tbENKUlT_T0_E_clISt17integral_constantIbLb0EES16_EEDaS11_S12_EUlS11_E_NS1_11comp_targetILNS1_3genE10ELNS1_11target_archE1201ELNS1_3gpuE5ELNS1_3repE0EEENS1_30default_config_static_selectorELNS0_4arch9wavefront6targetE0EEEvT1_: ; @_ZN7rocprim17ROCPRIM_400000_NS6detail17trampoline_kernelINS0_14default_configENS1_29reduce_by_key_config_selectorIjyN6thrust23THRUST_200600_302600_NS4plusIyEEEEZZNS1_33reduce_by_key_impl_wrapped_configILNS1_25lookback_scan_determinismE0ES3_S9_NS6_6detail15normal_iteratorINS6_10device_ptrIjEEEENSD_INSE_IyEEEENS6_16discard_iteratorINS6_11use_defaultEEESI_PmS8_NS6_8equal_toIjEEEE10hipError_tPvRmT2_T3_mT4_T5_T6_T7_T8_P12ihipStream_tbENKUlT_T0_E_clISt17integral_constantIbLb0EES16_EEDaS11_S12_EUlS11_E_NS1_11comp_targetILNS1_3genE10ELNS1_11target_archE1201ELNS1_3gpuE5ELNS1_3repE0EEENS1_30default_config_static_selectorELNS0_4arch9wavefront6targetE0EEEvT1_
; %bb.0:
	.section	.rodata,"a",@progbits
	.p2align	6, 0x0
	.amdhsa_kernel _ZN7rocprim17ROCPRIM_400000_NS6detail17trampoline_kernelINS0_14default_configENS1_29reduce_by_key_config_selectorIjyN6thrust23THRUST_200600_302600_NS4plusIyEEEEZZNS1_33reduce_by_key_impl_wrapped_configILNS1_25lookback_scan_determinismE0ES3_S9_NS6_6detail15normal_iteratorINS6_10device_ptrIjEEEENSD_INSE_IyEEEENS6_16discard_iteratorINS6_11use_defaultEEESI_PmS8_NS6_8equal_toIjEEEE10hipError_tPvRmT2_T3_mT4_T5_T6_T7_T8_P12ihipStream_tbENKUlT_T0_E_clISt17integral_constantIbLb0EES16_EEDaS11_S12_EUlS11_E_NS1_11comp_targetILNS1_3genE10ELNS1_11target_archE1201ELNS1_3gpuE5ELNS1_3repE0EEENS1_30default_config_static_selectorELNS0_4arch9wavefront6targetE0EEEvT1_
		.amdhsa_group_segment_fixed_size 0
		.amdhsa_private_segment_fixed_size 0
		.amdhsa_kernarg_size 144
		.amdhsa_user_sgpr_count 15
		.amdhsa_user_sgpr_dispatch_ptr 0
		.amdhsa_user_sgpr_queue_ptr 0
		.amdhsa_user_sgpr_kernarg_segment_ptr 1
		.amdhsa_user_sgpr_dispatch_id 0
		.amdhsa_user_sgpr_private_segment_size 0
		.amdhsa_wavefront_size32 1
		.amdhsa_uses_dynamic_stack 0
		.amdhsa_enable_private_segment 0
		.amdhsa_system_sgpr_workgroup_id_x 1
		.amdhsa_system_sgpr_workgroup_id_y 0
		.amdhsa_system_sgpr_workgroup_id_z 0
		.amdhsa_system_sgpr_workgroup_info 0
		.amdhsa_system_vgpr_workitem_id 0
		.amdhsa_next_free_vgpr 1
		.amdhsa_next_free_sgpr 1
		.amdhsa_reserve_vcc 0
		.amdhsa_float_round_mode_32 0
		.amdhsa_float_round_mode_16_64 0
		.amdhsa_float_denorm_mode_32 3
		.amdhsa_float_denorm_mode_16_64 3
		.amdhsa_dx10_clamp 1
		.amdhsa_ieee_mode 1
		.amdhsa_fp16_overflow 0
		.amdhsa_workgroup_processor_mode 1
		.amdhsa_memory_ordered 1
		.amdhsa_forward_progress 0
		.amdhsa_shared_vgpr_count 0
		.amdhsa_exception_fp_ieee_invalid_op 0
		.amdhsa_exception_fp_denorm_src 0
		.amdhsa_exception_fp_ieee_div_zero 0
		.amdhsa_exception_fp_ieee_overflow 0
		.amdhsa_exception_fp_ieee_underflow 0
		.amdhsa_exception_fp_ieee_inexact 0
		.amdhsa_exception_int_div_zero 0
	.end_amdhsa_kernel
	.section	.text._ZN7rocprim17ROCPRIM_400000_NS6detail17trampoline_kernelINS0_14default_configENS1_29reduce_by_key_config_selectorIjyN6thrust23THRUST_200600_302600_NS4plusIyEEEEZZNS1_33reduce_by_key_impl_wrapped_configILNS1_25lookback_scan_determinismE0ES3_S9_NS6_6detail15normal_iteratorINS6_10device_ptrIjEEEENSD_INSE_IyEEEENS6_16discard_iteratorINS6_11use_defaultEEESI_PmS8_NS6_8equal_toIjEEEE10hipError_tPvRmT2_T3_mT4_T5_T6_T7_T8_P12ihipStream_tbENKUlT_T0_E_clISt17integral_constantIbLb0EES16_EEDaS11_S12_EUlS11_E_NS1_11comp_targetILNS1_3genE10ELNS1_11target_archE1201ELNS1_3gpuE5ELNS1_3repE0EEENS1_30default_config_static_selectorELNS0_4arch9wavefront6targetE0EEEvT1_,"axG",@progbits,_ZN7rocprim17ROCPRIM_400000_NS6detail17trampoline_kernelINS0_14default_configENS1_29reduce_by_key_config_selectorIjyN6thrust23THRUST_200600_302600_NS4plusIyEEEEZZNS1_33reduce_by_key_impl_wrapped_configILNS1_25lookback_scan_determinismE0ES3_S9_NS6_6detail15normal_iteratorINS6_10device_ptrIjEEEENSD_INSE_IyEEEENS6_16discard_iteratorINS6_11use_defaultEEESI_PmS8_NS6_8equal_toIjEEEE10hipError_tPvRmT2_T3_mT4_T5_T6_T7_T8_P12ihipStream_tbENKUlT_T0_E_clISt17integral_constantIbLb0EES16_EEDaS11_S12_EUlS11_E_NS1_11comp_targetILNS1_3genE10ELNS1_11target_archE1201ELNS1_3gpuE5ELNS1_3repE0EEENS1_30default_config_static_selectorELNS0_4arch9wavefront6targetE0EEEvT1_,comdat
.Lfunc_end882:
	.size	_ZN7rocprim17ROCPRIM_400000_NS6detail17trampoline_kernelINS0_14default_configENS1_29reduce_by_key_config_selectorIjyN6thrust23THRUST_200600_302600_NS4plusIyEEEEZZNS1_33reduce_by_key_impl_wrapped_configILNS1_25lookback_scan_determinismE0ES3_S9_NS6_6detail15normal_iteratorINS6_10device_ptrIjEEEENSD_INSE_IyEEEENS6_16discard_iteratorINS6_11use_defaultEEESI_PmS8_NS6_8equal_toIjEEEE10hipError_tPvRmT2_T3_mT4_T5_T6_T7_T8_P12ihipStream_tbENKUlT_T0_E_clISt17integral_constantIbLb0EES16_EEDaS11_S12_EUlS11_E_NS1_11comp_targetILNS1_3genE10ELNS1_11target_archE1201ELNS1_3gpuE5ELNS1_3repE0EEENS1_30default_config_static_selectorELNS0_4arch9wavefront6targetE0EEEvT1_, .Lfunc_end882-_ZN7rocprim17ROCPRIM_400000_NS6detail17trampoline_kernelINS0_14default_configENS1_29reduce_by_key_config_selectorIjyN6thrust23THRUST_200600_302600_NS4plusIyEEEEZZNS1_33reduce_by_key_impl_wrapped_configILNS1_25lookback_scan_determinismE0ES3_S9_NS6_6detail15normal_iteratorINS6_10device_ptrIjEEEENSD_INSE_IyEEEENS6_16discard_iteratorINS6_11use_defaultEEESI_PmS8_NS6_8equal_toIjEEEE10hipError_tPvRmT2_T3_mT4_T5_T6_T7_T8_P12ihipStream_tbENKUlT_T0_E_clISt17integral_constantIbLb0EES16_EEDaS11_S12_EUlS11_E_NS1_11comp_targetILNS1_3genE10ELNS1_11target_archE1201ELNS1_3gpuE5ELNS1_3repE0EEENS1_30default_config_static_selectorELNS0_4arch9wavefront6targetE0EEEvT1_
                                        ; -- End function
	.section	.AMDGPU.csdata,"",@progbits
; Kernel info:
; codeLenInByte = 0
; NumSgprs: 0
; NumVgprs: 0
; ScratchSize: 0
; MemoryBound: 0
; FloatMode: 240
; IeeeMode: 1
; LDSByteSize: 0 bytes/workgroup (compile time only)
; SGPRBlocks: 0
; VGPRBlocks: 0
; NumSGPRsForWavesPerEU: 1
; NumVGPRsForWavesPerEU: 1
; Occupancy: 16
; WaveLimiterHint : 0
; COMPUTE_PGM_RSRC2:SCRATCH_EN: 0
; COMPUTE_PGM_RSRC2:USER_SGPR: 15
; COMPUTE_PGM_RSRC2:TRAP_HANDLER: 0
; COMPUTE_PGM_RSRC2:TGID_X_EN: 1
; COMPUTE_PGM_RSRC2:TGID_Y_EN: 0
; COMPUTE_PGM_RSRC2:TGID_Z_EN: 0
; COMPUTE_PGM_RSRC2:TIDIG_COMP_CNT: 0
	.section	.text._ZN7rocprim17ROCPRIM_400000_NS6detail17trampoline_kernelINS0_14default_configENS1_29reduce_by_key_config_selectorIjyN6thrust23THRUST_200600_302600_NS4plusIyEEEEZZNS1_33reduce_by_key_impl_wrapped_configILNS1_25lookback_scan_determinismE0ES3_S9_NS6_6detail15normal_iteratorINS6_10device_ptrIjEEEENSD_INSE_IyEEEENS6_16discard_iteratorINS6_11use_defaultEEESI_PmS8_NS6_8equal_toIjEEEE10hipError_tPvRmT2_T3_mT4_T5_T6_T7_T8_P12ihipStream_tbENKUlT_T0_E_clISt17integral_constantIbLb0EES16_EEDaS11_S12_EUlS11_E_NS1_11comp_targetILNS1_3genE10ELNS1_11target_archE1200ELNS1_3gpuE4ELNS1_3repE0EEENS1_30default_config_static_selectorELNS0_4arch9wavefront6targetE0EEEvT1_,"axG",@progbits,_ZN7rocprim17ROCPRIM_400000_NS6detail17trampoline_kernelINS0_14default_configENS1_29reduce_by_key_config_selectorIjyN6thrust23THRUST_200600_302600_NS4plusIyEEEEZZNS1_33reduce_by_key_impl_wrapped_configILNS1_25lookback_scan_determinismE0ES3_S9_NS6_6detail15normal_iteratorINS6_10device_ptrIjEEEENSD_INSE_IyEEEENS6_16discard_iteratorINS6_11use_defaultEEESI_PmS8_NS6_8equal_toIjEEEE10hipError_tPvRmT2_T3_mT4_T5_T6_T7_T8_P12ihipStream_tbENKUlT_T0_E_clISt17integral_constantIbLb0EES16_EEDaS11_S12_EUlS11_E_NS1_11comp_targetILNS1_3genE10ELNS1_11target_archE1200ELNS1_3gpuE4ELNS1_3repE0EEENS1_30default_config_static_selectorELNS0_4arch9wavefront6targetE0EEEvT1_,comdat
	.protected	_ZN7rocprim17ROCPRIM_400000_NS6detail17trampoline_kernelINS0_14default_configENS1_29reduce_by_key_config_selectorIjyN6thrust23THRUST_200600_302600_NS4plusIyEEEEZZNS1_33reduce_by_key_impl_wrapped_configILNS1_25lookback_scan_determinismE0ES3_S9_NS6_6detail15normal_iteratorINS6_10device_ptrIjEEEENSD_INSE_IyEEEENS6_16discard_iteratorINS6_11use_defaultEEESI_PmS8_NS6_8equal_toIjEEEE10hipError_tPvRmT2_T3_mT4_T5_T6_T7_T8_P12ihipStream_tbENKUlT_T0_E_clISt17integral_constantIbLb0EES16_EEDaS11_S12_EUlS11_E_NS1_11comp_targetILNS1_3genE10ELNS1_11target_archE1200ELNS1_3gpuE4ELNS1_3repE0EEENS1_30default_config_static_selectorELNS0_4arch9wavefront6targetE0EEEvT1_ ; -- Begin function _ZN7rocprim17ROCPRIM_400000_NS6detail17trampoline_kernelINS0_14default_configENS1_29reduce_by_key_config_selectorIjyN6thrust23THRUST_200600_302600_NS4plusIyEEEEZZNS1_33reduce_by_key_impl_wrapped_configILNS1_25lookback_scan_determinismE0ES3_S9_NS6_6detail15normal_iteratorINS6_10device_ptrIjEEEENSD_INSE_IyEEEENS6_16discard_iteratorINS6_11use_defaultEEESI_PmS8_NS6_8equal_toIjEEEE10hipError_tPvRmT2_T3_mT4_T5_T6_T7_T8_P12ihipStream_tbENKUlT_T0_E_clISt17integral_constantIbLb0EES16_EEDaS11_S12_EUlS11_E_NS1_11comp_targetILNS1_3genE10ELNS1_11target_archE1200ELNS1_3gpuE4ELNS1_3repE0EEENS1_30default_config_static_selectorELNS0_4arch9wavefront6targetE0EEEvT1_
	.globl	_ZN7rocprim17ROCPRIM_400000_NS6detail17trampoline_kernelINS0_14default_configENS1_29reduce_by_key_config_selectorIjyN6thrust23THRUST_200600_302600_NS4plusIyEEEEZZNS1_33reduce_by_key_impl_wrapped_configILNS1_25lookback_scan_determinismE0ES3_S9_NS6_6detail15normal_iteratorINS6_10device_ptrIjEEEENSD_INSE_IyEEEENS6_16discard_iteratorINS6_11use_defaultEEESI_PmS8_NS6_8equal_toIjEEEE10hipError_tPvRmT2_T3_mT4_T5_T6_T7_T8_P12ihipStream_tbENKUlT_T0_E_clISt17integral_constantIbLb0EES16_EEDaS11_S12_EUlS11_E_NS1_11comp_targetILNS1_3genE10ELNS1_11target_archE1200ELNS1_3gpuE4ELNS1_3repE0EEENS1_30default_config_static_selectorELNS0_4arch9wavefront6targetE0EEEvT1_
	.p2align	8
	.type	_ZN7rocprim17ROCPRIM_400000_NS6detail17trampoline_kernelINS0_14default_configENS1_29reduce_by_key_config_selectorIjyN6thrust23THRUST_200600_302600_NS4plusIyEEEEZZNS1_33reduce_by_key_impl_wrapped_configILNS1_25lookback_scan_determinismE0ES3_S9_NS6_6detail15normal_iteratorINS6_10device_ptrIjEEEENSD_INSE_IyEEEENS6_16discard_iteratorINS6_11use_defaultEEESI_PmS8_NS6_8equal_toIjEEEE10hipError_tPvRmT2_T3_mT4_T5_T6_T7_T8_P12ihipStream_tbENKUlT_T0_E_clISt17integral_constantIbLb0EES16_EEDaS11_S12_EUlS11_E_NS1_11comp_targetILNS1_3genE10ELNS1_11target_archE1200ELNS1_3gpuE4ELNS1_3repE0EEENS1_30default_config_static_selectorELNS0_4arch9wavefront6targetE0EEEvT1_,@function
_ZN7rocprim17ROCPRIM_400000_NS6detail17trampoline_kernelINS0_14default_configENS1_29reduce_by_key_config_selectorIjyN6thrust23THRUST_200600_302600_NS4plusIyEEEEZZNS1_33reduce_by_key_impl_wrapped_configILNS1_25lookback_scan_determinismE0ES3_S9_NS6_6detail15normal_iteratorINS6_10device_ptrIjEEEENSD_INSE_IyEEEENS6_16discard_iteratorINS6_11use_defaultEEESI_PmS8_NS6_8equal_toIjEEEE10hipError_tPvRmT2_T3_mT4_T5_T6_T7_T8_P12ihipStream_tbENKUlT_T0_E_clISt17integral_constantIbLb0EES16_EEDaS11_S12_EUlS11_E_NS1_11comp_targetILNS1_3genE10ELNS1_11target_archE1200ELNS1_3gpuE4ELNS1_3repE0EEENS1_30default_config_static_selectorELNS0_4arch9wavefront6targetE0EEEvT1_: ; @_ZN7rocprim17ROCPRIM_400000_NS6detail17trampoline_kernelINS0_14default_configENS1_29reduce_by_key_config_selectorIjyN6thrust23THRUST_200600_302600_NS4plusIyEEEEZZNS1_33reduce_by_key_impl_wrapped_configILNS1_25lookback_scan_determinismE0ES3_S9_NS6_6detail15normal_iteratorINS6_10device_ptrIjEEEENSD_INSE_IyEEEENS6_16discard_iteratorINS6_11use_defaultEEESI_PmS8_NS6_8equal_toIjEEEE10hipError_tPvRmT2_T3_mT4_T5_T6_T7_T8_P12ihipStream_tbENKUlT_T0_E_clISt17integral_constantIbLb0EES16_EEDaS11_S12_EUlS11_E_NS1_11comp_targetILNS1_3genE10ELNS1_11target_archE1200ELNS1_3gpuE4ELNS1_3repE0EEENS1_30default_config_static_selectorELNS0_4arch9wavefront6targetE0EEEvT1_
; %bb.0:
	.section	.rodata,"a",@progbits
	.p2align	6, 0x0
	.amdhsa_kernel _ZN7rocprim17ROCPRIM_400000_NS6detail17trampoline_kernelINS0_14default_configENS1_29reduce_by_key_config_selectorIjyN6thrust23THRUST_200600_302600_NS4plusIyEEEEZZNS1_33reduce_by_key_impl_wrapped_configILNS1_25lookback_scan_determinismE0ES3_S9_NS6_6detail15normal_iteratorINS6_10device_ptrIjEEEENSD_INSE_IyEEEENS6_16discard_iteratorINS6_11use_defaultEEESI_PmS8_NS6_8equal_toIjEEEE10hipError_tPvRmT2_T3_mT4_T5_T6_T7_T8_P12ihipStream_tbENKUlT_T0_E_clISt17integral_constantIbLb0EES16_EEDaS11_S12_EUlS11_E_NS1_11comp_targetILNS1_3genE10ELNS1_11target_archE1200ELNS1_3gpuE4ELNS1_3repE0EEENS1_30default_config_static_selectorELNS0_4arch9wavefront6targetE0EEEvT1_
		.amdhsa_group_segment_fixed_size 0
		.amdhsa_private_segment_fixed_size 0
		.amdhsa_kernarg_size 144
		.amdhsa_user_sgpr_count 15
		.amdhsa_user_sgpr_dispatch_ptr 0
		.amdhsa_user_sgpr_queue_ptr 0
		.amdhsa_user_sgpr_kernarg_segment_ptr 1
		.amdhsa_user_sgpr_dispatch_id 0
		.amdhsa_user_sgpr_private_segment_size 0
		.amdhsa_wavefront_size32 1
		.amdhsa_uses_dynamic_stack 0
		.amdhsa_enable_private_segment 0
		.amdhsa_system_sgpr_workgroup_id_x 1
		.amdhsa_system_sgpr_workgroup_id_y 0
		.amdhsa_system_sgpr_workgroup_id_z 0
		.amdhsa_system_sgpr_workgroup_info 0
		.amdhsa_system_vgpr_workitem_id 0
		.amdhsa_next_free_vgpr 1
		.amdhsa_next_free_sgpr 1
		.amdhsa_reserve_vcc 0
		.amdhsa_float_round_mode_32 0
		.amdhsa_float_round_mode_16_64 0
		.amdhsa_float_denorm_mode_32 3
		.amdhsa_float_denorm_mode_16_64 3
		.amdhsa_dx10_clamp 1
		.amdhsa_ieee_mode 1
		.amdhsa_fp16_overflow 0
		.amdhsa_workgroup_processor_mode 1
		.amdhsa_memory_ordered 1
		.amdhsa_forward_progress 0
		.amdhsa_shared_vgpr_count 0
		.amdhsa_exception_fp_ieee_invalid_op 0
		.amdhsa_exception_fp_denorm_src 0
		.amdhsa_exception_fp_ieee_div_zero 0
		.amdhsa_exception_fp_ieee_overflow 0
		.amdhsa_exception_fp_ieee_underflow 0
		.amdhsa_exception_fp_ieee_inexact 0
		.amdhsa_exception_int_div_zero 0
	.end_amdhsa_kernel
	.section	.text._ZN7rocprim17ROCPRIM_400000_NS6detail17trampoline_kernelINS0_14default_configENS1_29reduce_by_key_config_selectorIjyN6thrust23THRUST_200600_302600_NS4plusIyEEEEZZNS1_33reduce_by_key_impl_wrapped_configILNS1_25lookback_scan_determinismE0ES3_S9_NS6_6detail15normal_iteratorINS6_10device_ptrIjEEEENSD_INSE_IyEEEENS6_16discard_iteratorINS6_11use_defaultEEESI_PmS8_NS6_8equal_toIjEEEE10hipError_tPvRmT2_T3_mT4_T5_T6_T7_T8_P12ihipStream_tbENKUlT_T0_E_clISt17integral_constantIbLb0EES16_EEDaS11_S12_EUlS11_E_NS1_11comp_targetILNS1_3genE10ELNS1_11target_archE1200ELNS1_3gpuE4ELNS1_3repE0EEENS1_30default_config_static_selectorELNS0_4arch9wavefront6targetE0EEEvT1_,"axG",@progbits,_ZN7rocprim17ROCPRIM_400000_NS6detail17trampoline_kernelINS0_14default_configENS1_29reduce_by_key_config_selectorIjyN6thrust23THRUST_200600_302600_NS4plusIyEEEEZZNS1_33reduce_by_key_impl_wrapped_configILNS1_25lookback_scan_determinismE0ES3_S9_NS6_6detail15normal_iteratorINS6_10device_ptrIjEEEENSD_INSE_IyEEEENS6_16discard_iteratorINS6_11use_defaultEEESI_PmS8_NS6_8equal_toIjEEEE10hipError_tPvRmT2_T3_mT4_T5_T6_T7_T8_P12ihipStream_tbENKUlT_T0_E_clISt17integral_constantIbLb0EES16_EEDaS11_S12_EUlS11_E_NS1_11comp_targetILNS1_3genE10ELNS1_11target_archE1200ELNS1_3gpuE4ELNS1_3repE0EEENS1_30default_config_static_selectorELNS0_4arch9wavefront6targetE0EEEvT1_,comdat
.Lfunc_end883:
	.size	_ZN7rocprim17ROCPRIM_400000_NS6detail17trampoline_kernelINS0_14default_configENS1_29reduce_by_key_config_selectorIjyN6thrust23THRUST_200600_302600_NS4plusIyEEEEZZNS1_33reduce_by_key_impl_wrapped_configILNS1_25lookback_scan_determinismE0ES3_S9_NS6_6detail15normal_iteratorINS6_10device_ptrIjEEEENSD_INSE_IyEEEENS6_16discard_iteratorINS6_11use_defaultEEESI_PmS8_NS6_8equal_toIjEEEE10hipError_tPvRmT2_T3_mT4_T5_T6_T7_T8_P12ihipStream_tbENKUlT_T0_E_clISt17integral_constantIbLb0EES16_EEDaS11_S12_EUlS11_E_NS1_11comp_targetILNS1_3genE10ELNS1_11target_archE1200ELNS1_3gpuE4ELNS1_3repE0EEENS1_30default_config_static_selectorELNS0_4arch9wavefront6targetE0EEEvT1_, .Lfunc_end883-_ZN7rocprim17ROCPRIM_400000_NS6detail17trampoline_kernelINS0_14default_configENS1_29reduce_by_key_config_selectorIjyN6thrust23THRUST_200600_302600_NS4plusIyEEEEZZNS1_33reduce_by_key_impl_wrapped_configILNS1_25lookback_scan_determinismE0ES3_S9_NS6_6detail15normal_iteratorINS6_10device_ptrIjEEEENSD_INSE_IyEEEENS6_16discard_iteratorINS6_11use_defaultEEESI_PmS8_NS6_8equal_toIjEEEE10hipError_tPvRmT2_T3_mT4_T5_T6_T7_T8_P12ihipStream_tbENKUlT_T0_E_clISt17integral_constantIbLb0EES16_EEDaS11_S12_EUlS11_E_NS1_11comp_targetILNS1_3genE10ELNS1_11target_archE1200ELNS1_3gpuE4ELNS1_3repE0EEENS1_30default_config_static_selectorELNS0_4arch9wavefront6targetE0EEEvT1_
                                        ; -- End function
	.section	.AMDGPU.csdata,"",@progbits
; Kernel info:
; codeLenInByte = 0
; NumSgprs: 0
; NumVgprs: 0
; ScratchSize: 0
; MemoryBound: 0
; FloatMode: 240
; IeeeMode: 1
; LDSByteSize: 0 bytes/workgroup (compile time only)
; SGPRBlocks: 0
; VGPRBlocks: 0
; NumSGPRsForWavesPerEU: 1
; NumVGPRsForWavesPerEU: 1
; Occupancy: 16
; WaveLimiterHint : 0
; COMPUTE_PGM_RSRC2:SCRATCH_EN: 0
; COMPUTE_PGM_RSRC2:USER_SGPR: 15
; COMPUTE_PGM_RSRC2:TRAP_HANDLER: 0
; COMPUTE_PGM_RSRC2:TGID_X_EN: 1
; COMPUTE_PGM_RSRC2:TGID_Y_EN: 0
; COMPUTE_PGM_RSRC2:TGID_Z_EN: 0
; COMPUTE_PGM_RSRC2:TIDIG_COMP_CNT: 0
	.section	.text._ZN7rocprim17ROCPRIM_400000_NS6detail17trampoline_kernelINS0_14default_configENS1_29reduce_by_key_config_selectorIjyN6thrust23THRUST_200600_302600_NS4plusIyEEEEZZNS1_33reduce_by_key_impl_wrapped_configILNS1_25lookback_scan_determinismE0ES3_S9_NS6_6detail15normal_iteratorINS6_10device_ptrIjEEEENSD_INSE_IyEEEENS6_16discard_iteratorINS6_11use_defaultEEESI_PmS8_NS6_8equal_toIjEEEE10hipError_tPvRmT2_T3_mT4_T5_T6_T7_T8_P12ihipStream_tbENKUlT_T0_E_clISt17integral_constantIbLb0EES16_EEDaS11_S12_EUlS11_E_NS1_11comp_targetILNS1_3genE9ELNS1_11target_archE1100ELNS1_3gpuE3ELNS1_3repE0EEENS1_30default_config_static_selectorELNS0_4arch9wavefront6targetE0EEEvT1_,"axG",@progbits,_ZN7rocprim17ROCPRIM_400000_NS6detail17trampoline_kernelINS0_14default_configENS1_29reduce_by_key_config_selectorIjyN6thrust23THRUST_200600_302600_NS4plusIyEEEEZZNS1_33reduce_by_key_impl_wrapped_configILNS1_25lookback_scan_determinismE0ES3_S9_NS6_6detail15normal_iteratorINS6_10device_ptrIjEEEENSD_INSE_IyEEEENS6_16discard_iteratorINS6_11use_defaultEEESI_PmS8_NS6_8equal_toIjEEEE10hipError_tPvRmT2_T3_mT4_T5_T6_T7_T8_P12ihipStream_tbENKUlT_T0_E_clISt17integral_constantIbLb0EES16_EEDaS11_S12_EUlS11_E_NS1_11comp_targetILNS1_3genE9ELNS1_11target_archE1100ELNS1_3gpuE3ELNS1_3repE0EEENS1_30default_config_static_selectorELNS0_4arch9wavefront6targetE0EEEvT1_,comdat
	.protected	_ZN7rocprim17ROCPRIM_400000_NS6detail17trampoline_kernelINS0_14default_configENS1_29reduce_by_key_config_selectorIjyN6thrust23THRUST_200600_302600_NS4plusIyEEEEZZNS1_33reduce_by_key_impl_wrapped_configILNS1_25lookback_scan_determinismE0ES3_S9_NS6_6detail15normal_iteratorINS6_10device_ptrIjEEEENSD_INSE_IyEEEENS6_16discard_iteratorINS6_11use_defaultEEESI_PmS8_NS6_8equal_toIjEEEE10hipError_tPvRmT2_T3_mT4_T5_T6_T7_T8_P12ihipStream_tbENKUlT_T0_E_clISt17integral_constantIbLb0EES16_EEDaS11_S12_EUlS11_E_NS1_11comp_targetILNS1_3genE9ELNS1_11target_archE1100ELNS1_3gpuE3ELNS1_3repE0EEENS1_30default_config_static_selectorELNS0_4arch9wavefront6targetE0EEEvT1_ ; -- Begin function _ZN7rocprim17ROCPRIM_400000_NS6detail17trampoline_kernelINS0_14default_configENS1_29reduce_by_key_config_selectorIjyN6thrust23THRUST_200600_302600_NS4plusIyEEEEZZNS1_33reduce_by_key_impl_wrapped_configILNS1_25lookback_scan_determinismE0ES3_S9_NS6_6detail15normal_iteratorINS6_10device_ptrIjEEEENSD_INSE_IyEEEENS6_16discard_iteratorINS6_11use_defaultEEESI_PmS8_NS6_8equal_toIjEEEE10hipError_tPvRmT2_T3_mT4_T5_T6_T7_T8_P12ihipStream_tbENKUlT_T0_E_clISt17integral_constantIbLb0EES16_EEDaS11_S12_EUlS11_E_NS1_11comp_targetILNS1_3genE9ELNS1_11target_archE1100ELNS1_3gpuE3ELNS1_3repE0EEENS1_30default_config_static_selectorELNS0_4arch9wavefront6targetE0EEEvT1_
	.globl	_ZN7rocprim17ROCPRIM_400000_NS6detail17trampoline_kernelINS0_14default_configENS1_29reduce_by_key_config_selectorIjyN6thrust23THRUST_200600_302600_NS4plusIyEEEEZZNS1_33reduce_by_key_impl_wrapped_configILNS1_25lookback_scan_determinismE0ES3_S9_NS6_6detail15normal_iteratorINS6_10device_ptrIjEEEENSD_INSE_IyEEEENS6_16discard_iteratorINS6_11use_defaultEEESI_PmS8_NS6_8equal_toIjEEEE10hipError_tPvRmT2_T3_mT4_T5_T6_T7_T8_P12ihipStream_tbENKUlT_T0_E_clISt17integral_constantIbLb0EES16_EEDaS11_S12_EUlS11_E_NS1_11comp_targetILNS1_3genE9ELNS1_11target_archE1100ELNS1_3gpuE3ELNS1_3repE0EEENS1_30default_config_static_selectorELNS0_4arch9wavefront6targetE0EEEvT1_
	.p2align	8
	.type	_ZN7rocprim17ROCPRIM_400000_NS6detail17trampoline_kernelINS0_14default_configENS1_29reduce_by_key_config_selectorIjyN6thrust23THRUST_200600_302600_NS4plusIyEEEEZZNS1_33reduce_by_key_impl_wrapped_configILNS1_25lookback_scan_determinismE0ES3_S9_NS6_6detail15normal_iteratorINS6_10device_ptrIjEEEENSD_INSE_IyEEEENS6_16discard_iteratorINS6_11use_defaultEEESI_PmS8_NS6_8equal_toIjEEEE10hipError_tPvRmT2_T3_mT4_T5_T6_T7_T8_P12ihipStream_tbENKUlT_T0_E_clISt17integral_constantIbLb0EES16_EEDaS11_S12_EUlS11_E_NS1_11comp_targetILNS1_3genE9ELNS1_11target_archE1100ELNS1_3gpuE3ELNS1_3repE0EEENS1_30default_config_static_selectorELNS0_4arch9wavefront6targetE0EEEvT1_,@function
_ZN7rocprim17ROCPRIM_400000_NS6detail17trampoline_kernelINS0_14default_configENS1_29reduce_by_key_config_selectorIjyN6thrust23THRUST_200600_302600_NS4plusIyEEEEZZNS1_33reduce_by_key_impl_wrapped_configILNS1_25lookback_scan_determinismE0ES3_S9_NS6_6detail15normal_iteratorINS6_10device_ptrIjEEEENSD_INSE_IyEEEENS6_16discard_iteratorINS6_11use_defaultEEESI_PmS8_NS6_8equal_toIjEEEE10hipError_tPvRmT2_T3_mT4_T5_T6_T7_T8_P12ihipStream_tbENKUlT_T0_E_clISt17integral_constantIbLb0EES16_EEDaS11_S12_EUlS11_E_NS1_11comp_targetILNS1_3genE9ELNS1_11target_archE1100ELNS1_3gpuE3ELNS1_3repE0EEENS1_30default_config_static_selectorELNS0_4arch9wavefront6targetE0EEEvT1_: ; @_ZN7rocprim17ROCPRIM_400000_NS6detail17trampoline_kernelINS0_14default_configENS1_29reduce_by_key_config_selectorIjyN6thrust23THRUST_200600_302600_NS4plusIyEEEEZZNS1_33reduce_by_key_impl_wrapped_configILNS1_25lookback_scan_determinismE0ES3_S9_NS6_6detail15normal_iteratorINS6_10device_ptrIjEEEENSD_INSE_IyEEEENS6_16discard_iteratorINS6_11use_defaultEEESI_PmS8_NS6_8equal_toIjEEEE10hipError_tPvRmT2_T3_mT4_T5_T6_T7_T8_P12ihipStream_tbENKUlT_T0_E_clISt17integral_constantIbLb0EES16_EEDaS11_S12_EUlS11_E_NS1_11comp_targetILNS1_3genE9ELNS1_11target_archE1100ELNS1_3gpuE3ELNS1_3repE0EEENS1_30default_config_static_selectorELNS0_4arch9wavefront6targetE0EEEvT1_
; %bb.0:
	s_clause 0x2
	s_load_b128 s[4:7], s[0:1], 0x0
	s_load_b512 s[36:51], s[0:1], 0x40
	s_load_b64 s[8:9], s[0:1], 0x10
	s_mov_b32 s3, 0
	s_mul_i32 s2, s15, 0xf00
	v_lshlrev_b32_e32 v74, 2, v0
	v_mad_u32_u24 v47, v0, 15, 1
	v_mad_u32_u24 v49, v0, 15, 2
	;; [unrolled: 1-line block ×14, first 2 shown]
	s_waitcnt lgkmcnt(0)
	s_lshl_b64 s[10:11], s[6:7], 2
	s_mul_i32 s12, s44, s43
	s_add_u32 s10, s4, s10
	s_addc_u32 s11, s5, s11
	s_lshl_b64 s[4:5], s[6:7], 3
	s_mul_hi_u32 s13, s44, s42
	s_add_u32 s7, s8, s4
	s_mul_i32 s6, s45, s42
	s_addc_u32 s8, s9, s5
	s_add_i32 s9, s13, s12
	s_lshl_b64 s[4:5], s[2:3], 2
	s_add_i32 s9, s9, s6
	s_add_u32 s29, s10, s4
	s_addc_u32 s28, s11, s5
	s_lshl_b64 s[4:5], s[2:3], 3
	s_mul_i32 s2, s44, s42
	s_add_u32 s20, s7, s4
	s_addc_u32 s21, s8, s5
	s_add_u32 s24, s2, s15
	s_addc_u32 s25, s9, 0
	s_add_u32 s4, s46, -1
	s_addc_u32 s5, s47, -1
	s_mul_i32 s26, s4, 0xfffff100
	s_cmp_eq_u64 s[24:25], s[4:5]
	s_cselect_b32 s17, -1, 0
	s_cmp_lg_u64 s[24:25], s[4:5]
	s_cselect_b32 s30, -1, 0
	s_and_b32 vcc_lo, exec_lo, s17
	s_cbranch_vccnz .LBB884_2
; %bb.1:
	v_add_co_u32 v1, s2, s29, v74
	s_delay_alu instid0(VALU_DEP_1) | instskip(SKIP_1) | instid1(VALU_DEP_3)
	v_add_co_ci_u32_e64 v2, null, s28, 0, s2
	v_mad_u32_u24 v46, v0, 56, v74
	v_add_co_u32 v3, vcc_lo, 0x1000, v1
	s_delay_alu instid0(VALU_DEP_3)
	v_add_co_ci_u32_e32 v4, vcc_lo, 0, v2, vcc_lo
	s_clause 0x7
	flat_load_b32 v5, v[1:2]
	flat_load_b32 v6, v[1:2] offset:1024
	flat_load_b32 v7, v[1:2] offset:2048
	;; [unrolled: 1-line block ×3, first 2 shown]
	flat_load_b32 v9, v[3:4]
	flat_load_b32 v10, v[3:4] offset:1024
	flat_load_b32 v11, v[3:4] offset:2048
	flat_load_b32 v12, v[3:4] offset:3072
	v_add_co_u32 v3, vcc_lo, 0x2000, v1
	v_add_co_ci_u32_e32 v4, vcc_lo, 0, v2, vcc_lo
	v_add_co_u32 v1, vcc_lo, 0x3000, v1
	v_add_co_ci_u32_e32 v2, vcc_lo, 0, v2, vcc_lo
	s_clause 0x6
	flat_load_b32 v13, v[3:4]
	flat_load_b32 v14, v[3:4] offset:1024
	flat_load_b32 v31, v[3:4] offset:2048
	;; [unrolled: 1-line block ×3, first 2 shown]
	flat_load_b32 v4, v[1:2]
	flat_load_b32 v32, v[1:2] offset:1024
	flat_load_b32 v1, v[1:2] offset:2048
	v_lshlrev_b32_e32 v2, 3, v0
	v_mul_u32_u24_e32 v50, 15, v0
	s_waitcnt vmcnt(13) lgkmcnt(13)
	ds_store_2addr_stride64_b32 v74, v5, v6 offset1:4
	s_waitcnt vmcnt(11) lgkmcnt(12)
	ds_store_2addr_stride64_b32 v74, v7, v8 offset0:8 offset1:12
	s_waitcnt vmcnt(9) lgkmcnt(11)
	ds_store_2addr_stride64_b32 v74, v9, v10 offset0:16 offset1:20
	;; [unrolled: 2-line block ×6, first 2 shown]
	s_waitcnt vmcnt(0) lgkmcnt(7)
	ds_store_b32 v74, v1 offset:14336
	v_add_co_u32 v15, s2, s20, v2
	s_delay_alu instid0(VALU_DEP_1) | instskip(SKIP_1) | instid1(VALU_DEP_2)
	v_add_co_ci_u32_e64 v16, null, s21, 0, s2
	s_waitcnt lgkmcnt(0)
	v_add_co_u32 v17, vcc_lo, 0x1000, v15
	s_delay_alu instid0(VALU_DEP_2)
	v_add_co_ci_u32_e32 v18, vcc_lo, 0, v16, vcc_lo
	v_add_co_u32 v19, vcc_lo, 0x2000, v15
	v_add_co_ci_u32_e32 v20, vcc_lo, 0, v16, vcc_lo
	v_add_co_u32 v21, vcc_lo, 0x3000, v15
	;; [unrolled: 2-line block ×6, first 2 shown]
	v_add_co_ci_u32_e32 v30, vcc_lo, 0, v16, vcc_lo
	s_barrier
	buffer_gl0_inv
	ds_load_2addr_b32 v[13:14], v46 offset1:1
	ds_load_2addr_b32 v[11:12], v46 offset0:2 offset1:3
	ds_load_2addr_b32 v[9:10], v46 offset0:4 offset1:5
	;; [unrolled: 1-line block ×6, first 2 shown]
	ds_load_b32 v81, v46 offset:56
	s_waitcnt lgkmcnt(0)
	s_barrier
	buffer_gl0_inv
	s_clause 0xe
	flat_load_b64 v[31:32], v[15:16]
	flat_load_b64 v[15:16], v[15:16] offset:2048
	flat_load_b64 v[33:34], v[17:18]
	flat_load_b64 v[17:18], v[17:18] offset:2048
	;; [unrolled: 2-line block ×7, first 2 shown]
	flat_load_b64 v[29:30], v[29:30]
	v_mad_i32_i24 v46, 0xffffffcc, v0, v46
	s_waitcnt vmcnt(13) lgkmcnt(13)
	ds_store_2addr_stride64_b64 v46, v[31:32], v[15:16] offset1:4
	s_waitcnt vmcnt(11) lgkmcnt(12)
	ds_store_2addr_stride64_b64 v46, v[33:34], v[17:18] offset0:8 offset1:12
	s_waitcnt vmcnt(9) lgkmcnt(11)
	ds_store_2addr_stride64_b64 v46, v[35:36], v[19:20] offset0:16 offset1:20
	;; [unrolled: 2-line block ×6, first 2 shown]
	s_waitcnt vmcnt(0) lgkmcnt(7)
	ds_store_b64 v46, v[29:30] offset:28672
	s_waitcnt lgkmcnt(0)
	s_barrier
	s_branch .LBB884_3
.LBB884_2:
	s_mov_b32 s3, -1
                                        ; implicit-def: $vgpr50
                                        ; implicit-def: $vgpr13
                                        ; implicit-def: $vgpr11
                                        ; implicit-def: $vgpr9
                                        ; implicit-def: $vgpr7
                                        ; implicit-def: $vgpr5
                                        ; implicit-def: $vgpr3
                                        ; implicit-def: $vgpr1
                                        ; implicit-def: $vgpr81
.LBB884_3:
	s_load_b64 s[18:19], s[0:1], 0x80
	v_dual_mov_b32 v46, v45 :: v_dual_mov_b32 v73, v47
	v_mov_b32_e32 v52, v71
	v_mov_b32_e32 v58, v69
	;; [unrolled: 1-line block ×12, first 2 shown]
	s_and_not1_b32 vcc_lo, exec_lo, s3
	s_add_i32 s26, s26, s48
	s_cbranch_vccnz .LBB884_65
; %bb.4:
	v_cmp_gt_u32_e32 vcc_lo, s26, v0
                                        ; implicit-def: $vgpr1
	s_and_saveexec_b32 s2, vcc_lo
	s_cbranch_execz .LBB884_6
; %bb.5:
	v_add_co_u32 v1, s3, s29, v74
	s_delay_alu instid0(VALU_DEP_1)
	v_add_co_ci_u32_e64 v2, null, s28, 0, s3
	flat_load_b32 v1, v[1:2]
.LBB884_6:
	s_or_b32 exec_lo, exec_lo, s2
	v_or_b32_e32 v2, 0x100, v0
	s_delay_alu instid0(VALU_DEP_1) | instskip(NEXT) | instid1(VALU_DEP_1)
	v_cmp_gt_u32_e64 s2, s26, v2
                                        ; implicit-def: $vgpr2
	s_and_saveexec_b32 s3, s2
	s_cbranch_execz .LBB884_8
; %bb.7:
	v_add_co_u32 v2, s4, s29, v74
	s_delay_alu instid0(VALU_DEP_1)
	v_add_co_ci_u32_e64 v3, null, s28, 0, s4
	flat_load_b32 v2, v[2:3] offset:1024
.LBB884_8:
	s_or_b32 exec_lo, exec_lo, s3
	v_or_b32_e32 v21, 0x200, v0
                                        ; implicit-def: $vgpr3
	s_delay_alu instid0(VALU_DEP_1) | instskip(NEXT) | instid1(VALU_DEP_1)
	v_cmp_gt_u32_e64 s3, s26, v21
	s_and_saveexec_b32 s4, s3
	s_cbranch_execz .LBB884_10
; %bb.9:
	v_add_co_u32 v3, s5, s29, v74
	s_delay_alu instid0(VALU_DEP_1)
	v_add_co_ci_u32_e64 v4, null, s28, 0, s5
	flat_load_b32 v3, v[3:4] offset:2048
.LBB884_10:
	s_or_b32 exec_lo, exec_lo, s4
	v_or_b32_e32 v23, 0x300, v0
                                        ; implicit-def: $vgpr4
	s_delay_alu instid0(VALU_DEP_1) | instskip(NEXT) | instid1(VALU_DEP_1)
	v_cmp_gt_u32_e64 s4, s26, v23
	s_and_saveexec_b32 s5, s4
	s_cbranch_execz .LBB884_12
; %bb.11:
	v_add_co_u32 v4, s6, s29, v74
	s_delay_alu instid0(VALU_DEP_1)
	v_add_co_ci_u32_e64 v5, null, s28, 0, s6
	flat_load_b32 v4, v[4:5] offset:3072
.LBB884_12:
	s_or_b32 exec_lo, exec_lo, s5
	v_or_b32_e32 v25, 0x400, v0
                                        ; implicit-def: $vgpr5
	s_delay_alu instid0(VALU_DEP_1) | instskip(NEXT) | instid1(VALU_DEP_1)
	v_cmp_gt_u32_e64 s5, s26, v25
	s_and_saveexec_b32 s6, s5
	s_cbranch_execz .LBB884_14
; %bb.13:
	v_lshlrev_b32_e32 v5, 2, v25
	s_delay_alu instid0(VALU_DEP_1) | instskip(NEXT) | instid1(VALU_DEP_1)
	v_add_co_u32 v5, s7, s29, v5
	v_add_co_ci_u32_e64 v6, null, s28, 0, s7
	flat_load_b32 v5, v[5:6]
.LBB884_14:
	s_or_b32 exec_lo, exec_lo, s6
	v_or_b32_e32 v27, 0x500, v0
                                        ; implicit-def: $vgpr6
	s_delay_alu instid0(VALU_DEP_1) | instskip(NEXT) | instid1(VALU_DEP_1)
	v_cmp_gt_u32_e64 s6, s26, v27
	s_and_saveexec_b32 s7, s6
	s_cbranch_execz .LBB884_16
; %bb.15:
	v_lshlrev_b32_e32 v6, 2, v27
	s_delay_alu instid0(VALU_DEP_1) | instskip(NEXT) | instid1(VALU_DEP_1)
	v_add_co_u32 v6, s8, s29, v6
	v_add_co_ci_u32_e64 v7, null, s28, 0, s8
	flat_load_b32 v6, v[6:7]
.LBB884_16:
	s_or_b32 exec_lo, exec_lo, s7
	v_or_b32_e32 v29, 0x600, v0
                                        ; implicit-def: $vgpr7
	s_delay_alu instid0(VALU_DEP_1) | instskip(NEXT) | instid1(VALU_DEP_1)
	v_cmp_gt_u32_e64 s7, s26, v29
	s_and_saveexec_b32 s8, s7
	s_cbranch_execz .LBB884_18
; %bb.17:
	v_lshlrev_b32_e32 v7, 2, v29
	s_delay_alu instid0(VALU_DEP_1) | instskip(NEXT) | instid1(VALU_DEP_1)
	v_add_co_u32 v7, s9, s29, v7
	v_add_co_ci_u32_e64 v8, null, s28, 0, s9
	flat_load_b32 v7, v[7:8]
.LBB884_18:
	s_or_b32 exec_lo, exec_lo, s8
	v_or_b32_e32 v31, 0x700, v0
                                        ; implicit-def: $vgpr8
	s_delay_alu instid0(VALU_DEP_1) | instskip(NEXT) | instid1(VALU_DEP_1)
	v_cmp_gt_u32_e64 s8, s26, v31
	s_and_saveexec_b32 s9, s8
	s_cbranch_execz .LBB884_20
; %bb.19:
	v_lshlrev_b32_e32 v8, 2, v31
	s_delay_alu instid0(VALU_DEP_1) | instskip(NEXT) | instid1(VALU_DEP_1)
	v_add_co_u32 v8, s10, s29, v8
	v_add_co_ci_u32_e64 v9, null, s28, 0, s10
	flat_load_b32 v8, v[8:9]
.LBB884_20:
	s_or_b32 exec_lo, exec_lo, s9
	v_or_b32_e32 v33, 0x800, v0
                                        ; implicit-def: $vgpr9
	s_delay_alu instid0(VALU_DEP_1) | instskip(NEXT) | instid1(VALU_DEP_1)
	v_cmp_gt_u32_e64 s9, s26, v33
	s_and_saveexec_b32 s10, s9
	s_cbranch_execz .LBB884_22
; %bb.21:
	v_lshlrev_b32_e32 v9, 2, v33
	s_delay_alu instid0(VALU_DEP_1) | instskip(NEXT) | instid1(VALU_DEP_1)
	v_add_co_u32 v9, s11, s29, v9
	v_add_co_ci_u32_e64 v10, null, s28, 0, s11
	flat_load_b32 v9, v[9:10]
.LBB884_22:
	s_or_b32 exec_lo, exec_lo, s10
	v_or_b32_e32 v35, 0x900, v0
                                        ; implicit-def: $vgpr10
	s_delay_alu instid0(VALU_DEP_1) | instskip(NEXT) | instid1(VALU_DEP_1)
	v_cmp_gt_u32_e64 s10, s26, v35
	s_and_saveexec_b32 s11, s10
	s_cbranch_execz .LBB884_24
; %bb.23:
	v_lshlrev_b32_e32 v10, 2, v35
	s_delay_alu instid0(VALU_DEP_1) | instskip(NEXT) | instid1(VALU_DEP_1)
	v_add_co_u32 v10, s12, s29, v10
	v_add_co_ci_u32_e64 v11, null, s28, 0, s12
	flat_load_b32 v10, v[10:11]
.LBB884_24:
	s_or_b32 exec_lo, exec_lo, s11
	v_or_b32_e32 v37, 0xa00, v0
                                        ; implicit-def: $vgpr11
	s_delay_alu instid0(VALU_DEP_1) | instskip(NEXT) | instid1(VALU_DEP_1)
	v_cmp_gt_u32_e64 s11, s26, v37
	s_and_saveexec_b32 s12, s11
	s_cbranch_execz .LBB884_26
; %bb.25:
	v_lshlrev_b32_e32 v11, 2, v37
	s_delay_alu instid0(VALU_DEP_1) | instskip(NEXT) | instid1(VALU_DEP_1)
	v_add_co_u32 v11, s13, s29, v11
	v_add_co_ci_u32_e64 v12, null, s28, 0, s13
	flat_load_b32 v11, v[11:12]
.LBB884_26:
	s_or_b32 exec_lo, exec_lo, s12
	v_or_b32_e32 v39, 0xb00, v0
                                        ; implicit-def: $vgpr12
	s_delay_alu instid0(VALU_DEP_1) | instskip(NEXT) | instid1(VALU_DEP_1)
	v_cmp_gt_u32_e64 s12, s26, v39
	s_and_saveexec_b32 s13, s12
	s_cbranch_execz .LBB884_28
; %bb.27:
	v_lshlrev_b32_e32 v12, 2, v39
	s_delay_alu instid0(VALU_DEP_1) | instskip(NEXT) | instid1(VALU_DEP_1)
	v_add_co_u32 v12, s14, s29, v12
	v_add_co_ci_u32_e64 v13, null, s28, 0, s14
	flat_load_b32 v12, v[12:13]
.LBB884_28:
	s_or_b32 exec_lo, exec_lo, s13
	v_or_b32_e32 v41, 0xc00, v0
                                        ; implicit-def: $vgpr13
	s_delay_alu instid0(VALU_DEP_1) | instskip(NEXT) | instid1(VALU_DEP_1)
	v_cmp_gt_u32_e64 s13, s26, v41
	s_and_saveexec_b32 s14, s13
	s_cbranch_execz .LBB884_30
; %bb.29:
	v_lshlrev_b32_e32 v13, 2, v41
	s_delay_alu instid0(VALU_DEP_1) | instskip(NEXT) | instid1(VALU_DEP_1)
	v_add_co_u32 v13, s16, s29, v13
	v_add_co_ci_u32_e64 v14, null, s28, 0, s16
	flat_load_b32 v13, v[13:14]
.LBB884_30:
	s_or_b32 exec_lo, exec_lo, s14
	v_or_b32_e32 v43, 0xd00, v0
                                        ; implicit-def: $vgpr14
	s_delay_alu instid0(VALU_DEP_1) | instskip(NEXT) | instid1(VALU_DEP_1)
	v_cmp_gt_u32_e64 s14, s26, v43
	s_and_saveexec_b32 s16, s14
	s_cbranch_execz .LBB884_32
; %bb.31:
	v_lshlrev_b32_e32 v14, 2, v43
	s_delay_alu instid0(VALU_DEP_1) | instskip(NEXT) | instid1(VALU_DEP_1)
	v_add_co_u32 v14, s22, s29, v14
	v_add_co_ci_u32_e64 v15, null, s28, 0, s22
	flat_load_b32 v14, v[14:15]
.LBB884_32:
	s_or_b32 exec_lo, exec_lo, s16
	v_or_b32_e32 v48, 0xe00, v0
                                        ; implicit-def: $vgpr15
	s_delay_alu instid0(VALU_DEP_1) | instskip(NEXT) | instid1(VALU_DEP_1)
	v_cmp_gt_u32_e64 s16, s26, v48
	s_and_saveexec_b32 s22, s16
	s_cbranch_execz .LBB884_34
; %bb.33:
	v_lshlrev_b32_e32 v15, 2, v48
	s_delay_alu instid0(VALU_DEP_1) | instskip(NEXT) | instid1(VALU_DEP_1)
	v_add_co_u32 v15, s23, s29, v15
	v_add_co_ci_u32_e64 v16, null, s28, 0, s23
	flat_load_b32 v15, v[15:16]
.LBB884_34:
	s_or_b32 exec_lo, exec_lo, s22
	v_mad_u32_u24 v46, v0, 56, v74
	s_waitcnt vmcnt(0) lgkmcnt(0)
	ds_store_2addr_stride64_b32 v74, v1, v2 offset1:4
	ds_store_2addr_stride64_b32 v74, v3, v4 offset0:8 offset1:12
	ds_store_2addr_stride64_b32 v74, v5, v6 offset0:16 offset1:20
	;; [unrolled: 1-line block ×6, first 2 shown]
	ds_store_b32 v74, v15 offset:14336
	s_waitcnt lgkmcnt(0)
	s_barrier
	buffer_gl0_inv
	ds_load_2addr_b32 v[13:14], v46 offset1:1
	ds_load_2addr_b32 v[11:12], v46 offset0:2 offset1:3
	ds_load_2addr_b32 v[9:10], v46 offset0:4 offset1:5
	;; [unrolled: 1-line block ×6, first 2 shown]
	ds_load_b32 v81, v46 offset:56
	s_waitcnt lgkmcnt(0)
	s_barrier
	buffer_gl0_inv
                                        ; implicit-def: $vgpr15_vgpr16
	s_and_saveexec_b32 s22, vcc_lo
	s_cbranch_execz .LBB884_48
; %bb.35:
	v_lshlrev_b32_e32 v15, 3, v0
	s_delay_alu instid0(VALU_DEP_1) | instskip(NEXT) | instid1(VALU_DEP_1)
	v_add_co_u32 v15, s23, s20, v15
	v_add_co_ci_u32_e64 v16, null, s21, 0, s23
	flat_load_b64 v[15:16], v[15:16]
	s_or_b32 exec_lo, exec_lo, s22
                                        ; implicit-def: $vgpr17_vgpr18
	s_and_saveexec_b32 s22, s2
	s_cbranch_execnz .LBB884_49
.LBB884_36:
	s_or_b32 exec_lo, exec_lo, s22
                                        ; implicit-def: $vgpr19_vgpr20
	s_and_saveexec_b32 s2, s3
	s_cbranch_execz .LBB884_50
.LBB884_37:
	v_lshlrev_b32_e32 v19, 3, v21
	s_delay_alu instid0(VALU_DEP_1) | instskip(NEXT) | instid1(VALU_DEP_1)
	v_add_co_u32 v19, s3, s20, v19
	v_add_co_ci_u32_e64 v20, null, s21, 0, s3
	flat_load_b64 v[19:20], v[19:20]
	s_or_b32 exec_lo, exec_lo, s2
                                        ; implicit-def: $vgpr21_vgpr22
	s_and_saveexec_b32 s2, s4
	s_cbranch_execnz .LBB884_51
.LBB884_38:
	s_or_b32 exec_lo, exec_lo, s2
                                        ; implicit-def: $vgpr23_vgpr24
	s_and_saveexec_b32 s2, s5
	s_cbranch_execz .LBB884_52
.LBB884_39:
	v_lshlrev_b32_e32 v23, 3, v25
	s_delay_alu instid0(VALU_DEP_1) | instskip(NEXT) | instid1(VALU_DEP_1)
	v_add_co_u32 v23, s3, s20, v23
	v_add_co_ci_u32_e64 v24, null, s21, 0, s3
	flat_load_b64 v[23:24], v[23:24]
	s_or_b32 exec_lo, exec_lo, s2
                                        ; implicit-def: $vgpr25_vgpr26
	s_and_saveexec_b32 s2, s6
	s_cbranch_execnz .LBB884_53
.LBB884_40:
	s_or_b32 exec_lo, exec_lo, s2
                                        ; implicit-def: $vgpr27_vgpr28
	s_and_saveexec_b32 s2, s7
	s_cbranch_execz .LBB884_54
.LBB884_41:
	v_lshlrev_b32_e32 v27, 3, v29
	s_delay_alu instid0(VALU_DEP_1) | instskip(NEXT) | instid1(VALU_DEP_1)
	v_add_co_u32 v27, s3, s20, v27
	v_add_co_ci_u32_e64 v28, null, s21, 0, s3
	flat_load_b64 v[27:28], v[27:28]
	s_or_b32 exec_lo, exec_lo, s2
                                        ; implicit-def: $vgpr29_vgpr30
	s_and_saveexec_b32 s2, s8
	s_cbranch_execnz .LBB884_55
.LBB884_42:
	s_or_b32 exec_lo, exec_lo, s2
                                        ; implicit-def: $vgpr31_vgpr32
	s_and_saveexec_b32 s2, s9
	s_cbranch_execz .LBB884_56
.LBB884_43:
	v_lshlrev_b32_e32 v31, 3, v33
	s_delay_alu instid0(VALU_DEP_1) | instskip(NEXT) | instid1(VALU_DEP_1)
	v_add_co_u32 v31, s3, s20, v31
	v_add_co_ci_u32_e64 v32, null, s21, 0, s3
	flat_load_b64 v[31:32], v[31:32]
	s_or_b32 exec_lo, exec_lo, s2
                                        ; implicit-def: $vgpr33_vgpr34
	s_and_saveexec_b32 s2, s10
	s_cbranch_execnz .LBB884_57
.LBB884_44:
	s_or_b32 exec_lo, exec_lo, s2
                                        ; implicit-def: $vgpr35_vgpr36
	s_and_saveexec_b32 s2, s11
	s_cbranch_execz .LBB884_58
.LBB884_45:
	v_lshlrev_b32_e32 v35, 3, v37
	s_delay_alu instid0(VALU_DEP_1) | instskip(NEXT) | instid1(VALU_DEP_1)
	v_add_co_u32 v35, s3, s20, v35
	v_add_co_ci_u32_e64 v36, null, s21, 0, s3
	flat_load_b64 v[35:36], v[35:36]
	s_or_b32 exec_lo, exec_lo, s2
                                        ; implicit-def: $vgpr37_vgpr38
	s_and_saveexec_b32 s2, s12
	s_cbranch_execnz .LBB884_59
.LBB884_46:
	s_or_b32 exec_lo, exec_lo, s2
                                        ; implicit-def: $vgpr39_vgpr40
	s_and_saveexec_b32 s2, s13
	s_cbranch_execz .LBB884_60
.LBB884_47:
	v_lshlrev_b32_e32 v39, 3, v41
	s_delay_alu instid0(VALU_DEP_1) | instskip(NEXT) | instid1(VALU_DEP_1)
	v_add_co_u32 v39, s3, s20, v39
	v_add_co_ci_u32_e64 v40, null, s21, 0, s3
	flat_load_b64 v[39:40], v[39:40]
	s_or_b32 exec_lo, exec_lo, s2
                                        ; implicit-def: $vgpr41_vgpr42
	s_and_saveexec_b32 s2, s14
	s_cbranch_execz .LBB884_62
	s_branch .LBB884_61
.LBB884_48:
	s_or_b32 exec_lo, exec_lo, s22
                                        ; implicit-def: $vgpr17_vgpr18
	s_and_saveexec_b32 s22, s2
	s_cbranch_execz .LBB884_36
.LBB884_49:
	v_lshlrev_b32_e32 v17, 3, v0
	s_delay_alu instid0(VALU_DEP_1) | instskip(NEXT) | instid1(VALU_DEP_1)
	v_add_co_u32 v17, s2, s20, v17
	v_add_co_ci_u32_e64 v18, null, s21, 0, s2
	flat_load_b64 v[17:18], v[17:18] offset:2048
	s_or_b32 exec_lo, exec_lo, s22
                                        ; implicit-def: $vgpr19_vgpr20
	s_and_saveexec_b32 s2, s3
	s_cbranch_execnz .LBB884_37
.LBB884_50:
	s_or_b32 exec_lo, exec_lo, s2
                                        ; implicit-def: $vgpr21_vgpr22
	s_and_saveexec_b32 s2, s4
	s_cbranch_execz .LBB884_38
.LBB884_51:
	v_lshlrev_b32_e32 v21, 3, v23
	s_delay_alu instid0(VALU_DEP_1) | instskip(NEXT) | instid1(VALU_DEP_1)
	v_add_co_u32 v21, s3, s20, v21
	v_add_co_ci_u32_e64 v22, null, s21, 0, s3
	flat_load_b64 v[21:22], v[21:22]
	s_or_b32 exec_lo, exec_lo, s2
                                        ; implicit-def: $vgpr23_vgpr24
	s_and_saveexec_b32 s2, s5
	s_cbranch_execnz .LBB884_39
.LBB884_52:
	s_or_b32 exec_lo, exec_lo, s2
                                        ; implicit-def: $vgpr25_vgpr26
	s_and_saveexec_b32 s2, s6
	s_cbranch_execz .LBB884_40
.LBB884_53:
	v_lshlrev_b32_e32 v25, 3, v27
	s_delay_alu instid0(VALU_DEP_1) | instskip(NEXT) | instid1(VALU_DEP_1)
	v_add_co_u32 v25, s3, s20, v25
	v_add_co_ci_u32_e64 v26, null, s21, 0, s3
	flat_load_b64 v[25:26], v[25:26]
	s_or_b32 exec_lo, exec_lo, s2
                                        ; implicit-def: $vgpr27_vgpr28
	s_and_saveexec_b32 s2, s7
	s_cbranch_execnz .LBB884_41
.LBB884_54:
	s_or_b32 exec_lo, exec_lo, s2
                                        ; implicit-def: $vgpr29_vgpr30
	s_and_saveexec_b32 s2, s8
	s_cbranch_execz .LBB884_42
.LBB884_55:
	v_lshlrev_b32_e32 v29, 3, v31
	s_delay_alu instid0(VALU_DEP_1) | instskip(NEXT) | instid1(VALU_DEP_1)
	v_add_co_u32 v29, s3, s20, v29
	v_add_co_ci_u32_e64 v30, null, s21, 0, s3
	flat_load_b64 v[29:30], v[29:30]
	s_or_b32 exec_lo, exec_lo, s2
                                        ; implicit-def: $vgpr31_vgpr32
	s_and_saveexec_b32 s2, s9
	s_cbranch_execnz .LBB884_43
.LBB884_56:
	s_or_b32 exec_lo, exec_lo, s2
                                        ; implicit-def: $vgpr33_vgpr34
	s_and_saveexec_b32 s2, s10
	s_cbranch_execz .LBB884_44
.LBB884_57:
	v_lshlrev_b32_e32 v33, 3, v35
	s_delay_alu instid0(VALU_DEP_1) | instskip(NEXT) | instid1(VALU_DEP_1)
	v_add_co_u32 v33, s3, s20, v33
	v_add_co_ci_u32_e64 v34, null, s21, 0, s3
	flat_load_b64 v[33:34], v[33:34]
	s_or_b32 exec_lo, exec_lo, s2
                                        ; implicit-def: $vgpr35_vgpr36
	s_and_saveexec_b32 s2, s11
	s_cbranch_execnz .LBB884_45
.LBB884_58:
	s_or_b32 exec_lo, exec_lo, s2
                                        ; implicit-def: $vgpr37_vgpr38
	s_and_saveexec_b32 s2, s12
	s_cbranch_execz .LBB884_46
.LBB884_59:
	v_lshlrev_b32_e32 v37, 3, v39
	s_delay_alu instid0(VALU_DEP_1) | instskip(NEXT) | instid1(VALU_DEP_1)
	v_add_co_u32 v37, s3, s20, v37
	v_add_co_ci_u32_e64 v38, null, s21, 0, s3
	flat_load_b64 v[37:38], v[37:38]
	s_or_b32 exec_lo, exec_lo, s2
                                        ; implicit-def: $vgpr39_vgpr40
	s_and_saveexec_b32 s2, s13
	s_cbranch_execnz .LBB884_47
.LBB884_60:
	s_or_b32 exec_lo, exec_lo, s2
                                        ; implicit-def: $vgpr41_vgpr42
	s_and_saveexec_b32 s2, s14
	s_cbranch_execz .LBB884_62
.LBB884_61:
	v_lshlrev_b32_e32 v41, 3, v43
	s_delay_alu instid0(VALU_DEP_1) | instskip(NEXT) | instid1(VALU_DEP_1)
	v_add_co_u32 v41, s3, s20, v41
	v_add_co_ci_u32_e64 v42, null, s21, 0, s3
	flat_load_b64 v[41:42], v[41:42]
.LBB884_62:
	s_or_b32 exec_lo, exec_lo, s2
	v_mul_u32_u24_e32 v50, 15, v0
                                        ; implicit-def: $vgpr43_vgpr44
	s_and_saveexec_b32 s2, s16
	s_cbranch_execz .LBB884_64
; %bb.63:
	v_lshlrev_b32_e32 v43, 3, v48
	s_delay_alu instid0(VALU_DEP_1) | instskip(NEXT) | instid1(VALU_DEP_1)
	v_add_co_u32 v43, s3, s20, v43
	v_add_co_ci_u32_e64 v44, null, s21, 0, s3
	flat_load_b64 v[43:44], v[43:44]
.LBB884_64:
	s_or_b32 exec_lo, exec_lo, s2
	s_delay_alu instid0(VALU_DEP_1)
	v_add_nc_u32_e32 v73, 1, v50
	v_add_nc_u32_e32 v72, 2, v50
	;; [unrolled: 1-line block ×10, first 2 shown]
	v_mad_i32_i24 v75, 0xffffffcc, v0, v46
	v_add_nc_u32_e32 v60, 11, v50
	v_add_nc_u32_e32 v58, 12, v50
	;; [unrolled: 1-line block ×4, first 2 shown]
	s_waitcnt vmcnt(0) lgkmcnt(0)
	ds_store_2addr_stride64_b64 v75, v[15:16], v[17:18] offset1:4
	ds_store_2addr_stride64_b64 v75, v[19:20], v[21:22] offset0:8 offset1:12
	ds_store_2addr_stride64_b64 v75, v[23:24], v[25:26] offset0:16 offset1:20
	;; [unrolled: 1-line block ×6, first 2 shown]
	ds_store_b64 v75, v[43:44] offset:28672
	s_waitcnt lgkmcnt(0)
	s_barrier
.LBB884_65:
	v_lshlrev_b32_e32 v15, 3, v50
	v_lshlrev_b32_e32 v16, 3, v73
	;; [unrolled: 1-line block ×5, first 2 shown]
	s_waitcnt lgkmcnt(0)
	buffer_gl0_inv
	v_lshlrev_b32_e32 v20, 3, v66
	v_lshlrev_b32_e32 v21, 3, v64
	;; [unrolled: 1-line block ×3, first 2 shown]
	ds_load_b64 v[41:42], v15
	ds_load_b64 v[39:40], v16
	;; [unrolled: 1-line block ×8, first 2 shown]
	v_lshlrev_b32_e32 v15, 3, v56
	v_lshlrev_b32_e32 v16, 3, v54
	;; [unrolled: 1-line block ×7, first 2 shown]
	ds_load_b64 v[29:30], v15
	ds_load_b64 v[25:26], v16
	;; [unrolled: 1-line block ×7, first 2 shown]
	s_load_b128 s[20:23], s[0:1], 0x28
	s_cmp_eq_u64 s[24:25], 0
	s_waitcnt lgkmcnt(0)
	s_cselect_b32 s27, -1, 0
	s_cmp_lg_u64 s[24:25], 0
	s_barrier
	s_cselect_b32 s14, -1, 0
	s_and_b32 vcc_lo, exec_lo, s30
	buffer_gl0_inv
	s_cbranch_vccz .LBB884_71
; %bb.66:
	s_and_b32 vcc_lo, exec_lo, s14
	s_cbranch_vccz .LBB884_184
; %bb.67:
	v_add_co_u32 v72, s0, -4, s29
	s_delay_alu instid0(VALU_DEP_1)
	v_add_co_ci_u32_e64 v73, null, -1, s28, s0
	v_cmp_ne_u32_e32 vcc_lo, v2, v81
	v_cmp_ne_u32_e64 s0, v1, v2
	v_cmp_ne_u32_e64 s1, v4, v1
	flat_load_b32 v46, v[72:73]
	v_cmp_ne_u32_e64 s2, v3, v4
	v_cmp_ne_u32_e64 s3, v6, v3
	;; [unrolled: 1-line block ×11, first 2 shown]
	s_mov_b32 s30, -1
	s_mov_b32 s16, 0
	s_mov_b32 s31, exec_lo
	ds_store_b32 v74, v81
	s_waitcnt vmcnt(0) lgkmcnt(0)
	s_barrier
	buffer_gl0_inv
	v_cmpx_ne_u32_e32 0, v0
	s_cbranch_execz .LBB884_69
; %bb.68:
	v_add_nc_u32_e32 v46, -4, v74
	ds_load_b32 v46, v46
.LBB884_69:
	s_or_b32 exec_lo, exec_lo, s31
	v_cndmask_b32_e64 v88, 0, 1, vcc_lo
	v_cndmask_b32_e64 v82, 0, 1, s0
	v_cndmask_b32_e64 v83, 0, 1, s1
	;; [unrolled: 1-line block ×13, first 2 shown]
	s_waitcnt lgkmcnt(0)
	v_cmp_ne_u32_e64 s0, v46, v13
	s_and_b32 vcc_lo, exec_lo, s16
	s_cbranch_vccnz .LBB884_185
.LBB884_70:
                                        ; implicit-def: $sgpr1
	s_branch .LBB884_72
.LBB884_71:
	s_mov_b32 s30, 0
                                        ; implicit-def: $sgpr0
                                        ; implicit-def: $vgpr88
                                        ; implicit-def: $vgpr82
                                        ; implicit-def: $vgpr83
                                        ; implicit-def: $vgpr84
                                        ; implicit-def: $vgpr85
                                        ; implicit-def: $vgpr86
                                        ; implicit-def: $vgpr87
                                        ; implicit-def: $vgpr89
                                        ; implicit-def: $vgpr90
                                        ; implicit-def: $vgpr91
                                        ; implicit-def: $vgpr92
                                        ; implicit-def: $vgpr93
                                        ; implicit-def: $vgpr94
                                        ; implicit-def: $vgpr95
                                        ; implicit-def: $sgpr1
	s_cbranch_execnz .LBB884_188
.LBB884_72:
	v_mov_b32_e32 v96, s1
	s_and_saveexec_b32 s1, s30
.LBB884_73:
	v_cndmask_b32_e64 v96, 0, 1, s0
.LBB884_74:
	s_or_b32 exec_lo, exec_lo, s1
	s_delay_alu instid0(VALU_DEP_1)
	v_add3_u32 v45, v95, v96, v94
	v_cmp_eq_u32_e64 s12, 0, v95
	v_cmp_eq_u32_e64 s11, 0, v94
	;; [unrolled: 1-line block ×4, first 2 shown]
	v_add3_u32 v99, v45, v93, v92
	v_cmp_eq_u32_e64 s8, 0, v91
	v_cmp_eq_u32_e64 s7, 0, v90
	;; [unrolled: 1-line block ×9, first 2 shown]
	v_cmp_eq_u32_e32 vcc_lo, 0, v88
	v_mbcnt_lo_u32_b32 v97, -1, 0
	s_cmp_eq_u64 s[42:43], 0
	s_cselect_b32 s14, -1, 0
	s_cmp_lg_u32 s15, 0
	s_cbranch_scc0 .LBB884_137
; %bb.75:
	v_cndmask_b32_e64 v45, 0, v41, s12
	v_cndmask_b32_e64 v46, 0, v42, s12
	v_add3_u32 v47, v99, v91, v90
	s_delay_alu instid0(VALU_DEP_3) | instskip(NEXT) | instid1(VALU_DEP_1)
	v_add_co_u32 v45, s13, v45, v39
	v_add_co_ci_u32_e64 v46, s13, v46, v40, s13
	s_delay_alu instid0(VALU_DEP_3) | instskip(NEXT) | instid1(VALU_DEP_3)
	v_add3_u32 v47, v47, v89, v87
	v_cndmask_b32_e64 v45, 0, v45, s11
	s_delay_alu instid0(VALU_DEP_3) | instskip(NEXT) | instid1(VALU_DEP_3)
	v_cndmask_b32_e64 v46, 0, v46, s11
	v_add3_u32 v47, v47, v86, v85
	s_delay_alu instid0(VALU_DEP_3) | instskip(NEXT) | instid1(VALU_DEP_1)
	v_add_co_u32 v45, s13, v45, v37
	v_add_co_ci_u32_e64 v46, s13, v46, v38, s13
	s_delay_alu instid0(VALU_DEP_3) | instskip(NEXT) | instid1(VALU_DEP_3)
	v_add3_u32 v47, v47, v84, v83
	v_cndmask_b32_e64 v45, 0, v45, s10
	s_delay_alu instid0(VALU_DEP_3) | instskip(NEXT) | instid1(VALU_DEP_3)
	v_cndmask_b32_e64 v46, 0, v46, s10
	v_add3_u32 v49, v47, v82, v88
	s_delay_alu instid0(VALU_DEP_3) | instskip(NEXT) | instid1(VALU_DEP_1)
	v_add_co_u32 v45, s13, v45, v35
	v_add_co_ci_u32_e64 v46, s13, v46, v36, s13
	s_delay_alu instid0(VALU_DEP_2) | instskip(NEXT) | instid1(VALU_DEP_2)
	v_cndmask_b32_e64 v45, 0, v45, s9
	v_cndmask_b32_e64 v46, 0, v46, s9
	s_delay_alu instid0(VALU_DEP_2) | instskip(NEXT) | instid1(VALU_DEP_1)
	v_add_co_u32 v45, s13, v45, v33
	v_add_co_ci_u32_e64 v46, s13, v46, v34, s13
	s_delay_alu instid0(VALU_DEP_2) | instskip(NEXT) | instid1(VALU_DEP_2)
	v_cndmask_b32_e64 v45, 0, v45, s8
	v_cndmask_b32_e64 v46, 0, v46, s8
	s_delay_alu instid0(VALU_DEP_2) | instskip(NEXT) | instid1(VALU_DEP_1)
	;; [unrolled: 6-line block ×10, first 2 shown]
	v_add_co_u32 v45, s13, v45, v15
	v_add_co_ci_u32_e64 v46, s13, v46, v16, s13
	s_mov_b32 s13, exec_lo
	s_delay_alu instid0(VALU_DEP_1) | instskip(NEXT) | instid1(VALU_DEP_1)
	v_dual_cndmask_b32 v45, 0, v45 :: v_dual_cndmask_b32 v46, 0, v46
	v_add_co_u32 v47, vcc_lo, v45, v43
	s_delay_alu instid0(VALU_DEP_2) | instskip(SKIP_2) | instid1(VALU_DEP_4)
	v_add_co_ci_u32_e32 v48, vcc_lo, v46, v44, vcc_lo
	v_and_b32_e32 v45, 15, v97
	v_mov_b32_dpp v46, v49 row_shr:1 row_mask:0xf bank_mask:0xf
	v_mov_b32_dpp v50, v47 row_shr:1 row_mask:0xf bank_mask:0xf
	s_delay_alu instid0(VALU_DEP_4) | instskip(NEXT) | instid1(VALU_DEP_4)
	v_mov_b32_dpp v51, v48 row_shr:1 row_mask:0xf bank_mask:0xf
	v_cmpx_ne_u32_e32 0, v45
; %bb.76:
	v_cmp_eq_u32_e32 vcc_lo, 0, v49
	v_add_nc_u32_e32 v49, v46, v49
	s_delay_alu instid0(VALU_DEP_4) | instskip(NEXT) | instid1(VALU_DEP_1)
	v_dual_cndmask_b32 v51, 0, v51 :: v_dual_cndmask_b32 v50, 0, v50
	v_add_co_u32 v47, vcc_lo, v50, v47
	s_delay_alu instid0(VALU_DEP_2)
	v_add_co_ci_u32_e32 v48, vcc_lo, v51, v48, vcc_lo
; %bb.77:
	s_or_b32 exec_lo, exec_lo, s13
	v_mov_b32_dpp v46, v49 row_shr:2 row_mask:0xf bank_mask:0xf
	s_delay_alu instid0(VALU_DEP_3) | instskip(NEXT) | instid1(VALU_DEP_3)
	v_mov_b32_dpp v50, v47 row_shr:2 row_mask:0xf bank_mask:0xf
	v_mov_b32_dpp v51, v48 row_shr:2 row_mask:0xf bank_mask:0xf
	s_mov_b32 s13, exec_lo
	v_cmpx_lt_u32_e32 1, v45
; %bb.78:
	v_cmp_eq_u32_e32 vcc_lo, 0, v49
	v_add_nc_u32_e32 v49, v46, v49
	v_dual_cndmask_b32 v51, 0, v51 :: v_dual_cndmask_b32 v50, 0, v50
	s_delay_alu instid0(VALU_DEP_1) | instskip(NEXT) | instid1(VALU_DEP_2)
	v_add_co_u32 v47, vcc_lo, v50, v47
	v_add_co_ci_u32_e32 v48, vcc_lo, v51, v48, vcc_lo
; %bb.79:
	s_or_b32 exec_lo, exec_lo, s13
	v_mov_b32_dpp v46, v49 row_shr:4 row_mask:0xf bank_mask:0xf
	s_delay_alu instid0(VALU_DEP_3) | instskip(NEXT) | instid1(VALU_DEP_3)
	v_mov_b32_dpp v50, v47 row_shr:4 row_mask:0xf bank_mask:0xf
	v_mov_b32_dpp v51, v48 row_shr:4 row_mask:0xf bank_mask:0xf
	s_mov_b32 s13, exec_lo
	v_cmpx_lt_u32_e32 3, v45
; %bb.80:
	v_cmp_eq_u32_e32 vcc_lo, 0, v49
	v_add_nc_u32_e32 v49, v46, v49
	v_dual_cndmask_b32 v51, 0, v51 :: v_dual_cndmask_b32 v50, 0, v50
	s_delay_alu instid0(VALU_DEP_1) | instskip(NEXT) | instid1(VALU_DEP_2)
	v_add_co_u32 v47, vcc_lo, v50, v47
	v_add_co_ci_u32_e32 v48, vcc_lo, v51, v48, vcc_lo
; %bb.81:
	s_or_b32 exec_lo, exec_lo, s13
	v_mov_b32_dpp v46, v49 row_shr:8 row_mask:0xf bank_mask:0xf
	s_delay_alu instid0(VALU_DEP_3) | instskip(NEXT) | instid1(VALU_DEP_3)
	v_mov_b32_dpp v50, v47 row_shr:8 row_mask:0xf bank_mask:0xf
	v_mov_b32_dpp v51, v48 row_shr:8 row_mask:0xf bank_mask:0xf
	s_mov_b32 s13, exec_lo
	v_cmpx_lt_u32_e32 7, v45
; %bb.82:
	v_cmp_eq_u32_e32 vcc_lo, 0, v49
	v_add_nc_u32_e32 v49, v46, v49
	v_dual_cndmask_b32 v45, 0, v51 :: v_dual_cndmask_b32 v50, 0, v50
	s_delay_alu instid0(VALU_DEP_1) | instskip(NEXT) | instid1(VALU_DEP_2)
	v_add_co_u32 v47, vcc_lo, v50, v47
	v_add_co_ci_u32_e32 v48, vcc_lo, v45, v48, vcc_lo
; %bb.83:
	s_or_b32 exec_lo, exec_lo, s13
	ds_swizzle_b32 v45, v49 offset:swizzle(BROADCAST,32,15)
	ds_swizzle_b32 v46, v47 offset:swizzle(BROADCAST,32,15)
	;; [unrolled: 1-line block ×3, first 2 shown]
	v_and_b32_e32 v51, 16, v97
	s_mov_b32 s13, exec_lo
	s_delay_alu instid0(VALU_DEP_1)
	v_cmpx_ne_u32_e32 0, v51
	s_cbranch_execz .LBB884_85
; %bb.84:
	v_cmp_eq_u32_e32 vcc_lo, 0, v49
	s_waitcnt lgkmcnt(1)
	v_dual_cndmask_b32 v46, 0, v46 :: v_dual_add_nc_u32 v49, v45, v49
	s_waitcnt lgkmcnt(0)
	v_cndmask_b32_e32 v50, 0, v50, vcc_lo
	s_delay_alu instid0(VALU_DEP_2) | instskip(NEXT) | instid1(VALU_DEP_2)
	v_add_co_u32 v47, vcc_lo, v46, v47
	v_add_co_ci_u32_e32 v48, vcc_lo, v50, v48, vcc_lo
.LBB884_85:
	s_or_b32 exec_lo, exec_lo, s13
	s_waitcnt lgkmcnt(1)
	v_lshrrev_b32_e32 v46, 5, v0
	v_or_b32_e32 v45, 31, v0
	s_mov_b32 s13, exec_lo
	s_waitcnt lgkmcnt(0)
	s_delay_alu instid0(VALU_DEP_2) | instskip(NEXT) | instid1(VALU_DEP_2)
	v_lshlrev_b32_e32 v50, 4, v46
	v_cmpx_eq_u32_e64 v45, v0
	s_cbranch_execz .LBB884_87
; %bb.86:
	ds_store_b32 v50, v49 offset:2080
	ds_store_b64 v50, v[47:48] offset:2088
.LBB884_87:
	s_or_b32 exec_lo, exec_lo, s13
	s_delay_alu instid0(SALU_CYCLE_1)
	s_mov_b32 s13, exec_lo
	s_waitcnt lgkmcnt(0)
	s_barrier
	buffer_gl0_inv
	v_cmpx_gt_u32_e32 8, v0
	s_cbranch_execz .LBB884_95
; %bb.88:
	v_lshlrev_b32_e32 v51, 4, v0
	v_and_b32_e32 v53, 7, v97
	s_mov_b32 s16, exec_lo
	ds_load_b32 v52, v51 offset:2080
	ds_load_b64 v[45:46], v51 offset:2088
	s_waitcnt lgkmcnt(1)
	v_mov_b32_dpp v54, v52 row_shr:1 row_mask:0xf bank_mask:0xf
	s_waitcnt lgkmcnt(0)
	v_mov_b32_dpp v55, v45 row_shr:1 row_mask:0xf bank_mask:0xf
	v_mov_b32_dpp v56, v46 row_shr:1 row_mask:0xf bank_mask:0xf
	v_cmpx_ne_u32_e32 0, v53
; %bb.89:
	v_cmp_eq_u32_e32 vcc_lo, 0, v52
	v_add_nc_u32_e32 v52, v54, v52
	s_delay_alu instid0(VALU_DEP_4) | instskip(NEXT) | instid1(VALU_DEP_1)
	v_dual_cndmask_b32 v56, 0, v56 :: v_dual_cndmask_b32 v55, 0, v55
	v_add_co_u32 v45, vcc_lo, v55, v45
	s_delay_alu instid0(VALU_DEP_2)
	v_add_co_ci_u32_e32 v46, vcc_lo, v56, v46, vcc_lo
; %bb.90:
	s_or_b32 exec_lo, exec_lo, s16
	v_mov_b32_dpp v54, v52 row_shr:2 row_mask:0xf bank_mask:0xf
	s_delay_alu instid0(VALU_DEP_3) | instskip(NEXT) | instid1(VALU_DEP_3)
	v_mov_b32_dpp v55, v45 row_shr:2 row_mask:0xf bank_mask:0xf
	v_mov_b32_dpp v56, v46 row_shr:2 row_mask:0xf bank_mask:0xf
	s_mov_b32 s16, exec_lo
	v_cmpx_lt_u32_e32 1, v53
; %bb.91:
	v_cmp_eq_u32_e32 vcc_lo, 0, v52
	v_add_nc_u32_e32 v52, v54, v52
	v_dual_cndmask_b32 v56, 0, v56 :: v_dual_cndmask_b32 v55, 0, v55
	s_delay_alu instid0(VALU_DEP_1) | instskip(NEXT) | instid1(VALU_DEP_2)
	v_add_co_u32 v45, vcc_lo, v55, v45
	v_add_co_ci_u32_e32 v46, vcc_lo, v56, v46, vcc_lo
; %bb.92:
	s_or_b32 exec_lo, exec_lo, s16
	v_mov_b32_dpp v54, v52 row_shr:4 row_mask:0xf bank_mask:0xf
	s_delay_alu instid0(VALU_DEP_3) | instskip(NEXT) | instid1(VALU_DEP_3)
	v_mov_b32_dpp v55, v45 row_shr:4 row_mask:0xf bank_mask:0xf
	v_mov_b32_dpp v56, v46 row_shr:4 row_mask:0xf bank_mask:0xf
	s_mov_b32 s16, exec_lo
	v_cmpx_lt_u32_e32 3, v53
; %bb.93:
	v_cmp_eq_u32_e32 vcc_lo, 0, v52
	v_dual_cndmask_b32 v55, 0, v55 :: v_dual_add_nc_u32 v52, v54, v52
	v_cndmask_b32_e32 v53, 0, v56, vcc_lo
	s_delay_alu instid0(VALU_DEP_2) | instskip(NEXT) | instid1(VALU_DEP_2)
	v_add_co_u32 v45, vcc_lo, v55, v45
	v_add_co_ci_u32_e32 v46, vcc_lo, v53, v46, vcc_lo
; %bb.94:
	s_or_b32 exec_lo, exec_lo, s16
	ds_store_b32 v51, v52 offset:2080
	ds_store_b64 v51, v[45:46] offset:2088
.LBB884_95:
	s_or_b32 exec_lo, exec_lo, s13
	v_mov_b32_e32 v45, 0
	v_cmp_gt_u32_e32 vcc_lo, 32, v0
	v_dual_mov_b32 v46, 0 :: v_dual_mov_b32 v55, 0
	s_mov_b32 s16, exec_lo
	s_waitcnt lgkmcnt(0)
	s_barrier
	buffer_gl0_inv
	v_cmpx_lt_u32_e32 31, v0
	s_cbranch_execz .LBB884_97
; %bb.96:
	ds_load_b64 v[45:46], v50 offset:2072
	ds_load_b32 v55, v50 offset:2064
	v_cmp_eq_u32_e64 s13, 0, v49
	s_waitcnt lgkmcnt(1)
	s_delay_alu instid0(VALU_DEP_1) | instskip(SKIP_3) | instid1(VALU_DEP_3)
	v_cndmask_b32_e64 v51, 0, v45, s13
	v_cndmask_b32_e64 v50, 0, v46, s13
	s_waitcnt lgkmcnt(0)
	v_add_nc_u32_e32 v49, v55, v49
	v_add_co_u32 v47, s13, v51, v47
	s_delay_alu instid0(VALU_DEP_1)
	v_add_co_ci_u32_e64 v48, s13, v50, v48, s13
.LBB884_97:
	s_or_b32 exec_lo, exec_lo, s16
	v_add_nc_u32_e32 v50, -1, v97
	s_delay_alu instid0(VALU_DEP_1) | instskip(NEXT) | instid1(VALU_DEP_1)
	v_cmp_gt_i32_e64 s13, 0, v50
	v_cndmask_b32_e64 v50, v50, v97, s13
	v_cmp_eq_u32_e64 s13, 0, v97
	s_delay_alu instid0(VALU_DEP_2)
	v_lshlrev_b32_e32 v50, 2, v50
	ds_bpermute_b32 v58, v50, v49
	ds_bpermute_b32 v57, v50, v47
	;; [unrolled: 1-line block ×3, first 2 shown]
	s_and_saveexec_b32 s16, vcc_lo
	s_cbranch_execz .LBB884_136
; %bb.98:
	v_mov_b32_e32 v51, 0
	ds_load_b32 v59, v51 offset:2192
	ds_load_b64 v[47:48], v51 offset:2200
	s_and_saveexec_b32 s24, s13
	s_cbranch_execz .LBB884_100
; %bb.99:
	s_add_i32 s28, s15, 32
	s_mov_b32 s29, 0
	v_dual_mov_b32 v49, s28 :: v_dual_mov_b32 v50, 1
	s_lshl_b64 s[30:31], s[28:29], 4
	s_delay_alu instid0(SALU_CYCLE_1)
	s_add_u32 s28, s36, s30
	s_addc_u32 s29, s37, s31
	s_waitcnt lgkmcnt(1)
	global_store_b32 v51, v59, s[28:29]
	s_waitcnt lgkmcnt(0)
	global_store_b64 v51, v[47:48], s[28:29] offset:8
	s_waitcnt_vscnt null, 0x0
	buffer_gl1_inv
	buffer_gl0_inv
	global_store_b8 v49, v50, s[40:41]
.LBB884_100:
	s_or_b32 exec_lo, exec_lo, s24
	v_xad_u32 v49, v97, -1, s15
	s_mov_b32 s25, 0
	s_mov_b32 s24, exec_lo
	s_delay_alu instid0(VALU_DEP_1)
	v_add_nc_u32_e32 v50, 32, v49
	global_load_u8 v60, v50, s[40:41] glc
	s_waitcnt vmcnt(0)
	v_cmpx_eq_u16_e32 0, v60
	s_cbranch_execz .LBB884_104
; %bb.101:
	v_add_co_u32 v52, s28, s40, v50
	s_delay_alu instid0(VALU_DEP_1)
	v_add_co_ci_u32_e64 v53, null, s41, 0, s28
.LBB884_102:                            ; =>This Inner Loop Header: Depth=1
	global_load_u8 v60, v[52:53], off glc
	s_waitcnt vmcnt(0)
	v_cmp_ne_u16_e32 vcc_lo, 0, v60
	s_or_b32 s25, vcc_lo, s25
	s_delay_alu instid0(SALU_CYCLE_1)
	s_and_not1_b32 exec_lo, exec_lo, s25
	s_cbranch_execnz .LBB884_102
; %bb.103:
	s_or_b32 exec_lo, exec_lo, s25
.LBB884_104:
	s_delay_alu instid0(SALU_CYCLE_1)
	s_or_b32 exec_lo, exec_lo, s24
	v_dual_mov_b32 v52, s37 :: v_dual_mov_b32 v53, s36
	v_cmp_eq_u16_e32 vcc_lo, 1, v60
	v_lshlrev_b64 v[50:51], 4, v[50:51]
	s_waitcnt lgkmcnt(0)
	s_waitcnt_vscnt null, 0x0
	buffer_gl1_inv
	buffer_gl0_inv
	v_lshlrev_b32_e64 v62, v97, -1
	s_mov_b32 s24, exec_lo
	v_cndmask_b32_e32 v53, s38, v53, vcc_lo
	v_cndmask_b32_e32 v52, s39, v52, vcc_lo
	s_delay_alu instid0(VALU_DEP_2) | instskip(NEXT) | instid1(VALU_DEP_2)
	v_add_co_u32 v50, vcc_lo, v53, v50
	v_add_co_ci_u32_e32 v51, vcc_lo, v52, v51, vcc_lo
	v_cmp_ne_u32_e32 vcc_lo, 31, v97
	s_clause 0x1
	global_load_b32 v72, v[50:51], off
	global_load_b64 v[53:54], v[50:51], off offset:8
	v_add_co_ci_u32_e32 v50, vcc_lo, 0, v97, vcc_lo
	v_cmp_eq_u16_e32 vcc_lo, 2, v60
	s_delay_alu instid0(VALU_DEP_2) | instskip(SKIP_1) | instid1(VALU_DEP_1)
	v_lshlrev_b32_e32 v61, 2, v50
	v_and_or_b32 v50, vcc_lo, v62, 0x80000000
	v_ctz_i32_b32_e32 v50, v50
	s_waitcnt vmcnt(1)
	ds_bpermute_b32 v51, v61, v72
	s_waitcnt vmcnt(0)
	ds_bpermute_b32 v52, v61, v53
	ds_bpermute_b32 v63, v61, v54
	v_cmpx_lt_u32_e64 v97, v50
	s_cbranch_execz .LBB884_106
; %bb.105:
	v_cmp_eq_u32_e32 vcc_lo, 0, v72
	s_waitcnt lgkmcnt(0)
	v_dual_cndmask_b32 v63, 0, v63 :: v_dual_add_nc_u32 v72, v51, v72
	v_cndmask_b32_e32 v52, 0, v52, vcc_lo
	s_delay_alu instid0(VALU_DEP_1) | instskip(NEXT) | instid1(VALU_DEP_3)
	v_add_co_u32 v53, vcc_lo, v52, v53
	v_add_co_ci_u32_e32 v54, vcc_lo, v63, v54, vcc_lo
.LBB884_106:
	s_or_b32 exec_lo, exec_lo, s24
	v_cmp_gt_u32_e32 vcc_lo, 30, v97
	v_add_nc_u32_e32 v64, 2, v97
	s_mov_b32 s24, exec_lo
	s_waitcnt lgkmcnt(2)
	v_cndmask_b32_e64 v51, 0, 1, vcc_lo
	s_delay_alu instid0(VALU_DEP_1) | instskip(SKIP_1) | instid1(VALU_DEP_1)
	v_lshlrev_b32_e32 v51, 1, v51
	s_waitcnt lgkmcnt(0)
	v_add_lshl_u32 v63, v51, v97, 2
	ds_bpermute_b32 v51, v63, v72
	ds_bpermute_b32 v52, v63, v53
	ds_bpermute_b32 v65, v63, v54
	v_cmpx_le_u32_e64 v64, v50
	s_cbranch_execz .LBB884_108
; %bb.107:
	v_cmp_eq_u32_e32 vcc_lo, 0, v72
	s_waitcnt lgkmcnt(0)
	v_dual_cndmask_b32 v65, 0, v65 :: v_dual_add_nc_u32 v72, v51, v72
	v_cndmask_b32_e32 v52, 0, v52, vcc_lo
	s_delay_alu instid0(VALU_DEP_1) | instskip(NEXT) | instid1(VALU_DEP_3)
	v_add_co_u32 v53, vcc_lo, v52, v53
	v_add_co_ci_u32_e32 v54, vcc_lo, v65, v54, vcc_lo
.LBB884_108:
	s_or_b32 exec_lo, exec_lo, s24
	v_cmp_gt_u32_e32 vcc_lo, 28, v97
	v_add_nc_u32_e32 v66, 4, v97
	s_mov_b32 s24, exec_lo
	s_waitcnt lgkmcnt(2)
	v_cndmask_b32_e64 v51, 0, 1, vcc_lo
	s_delay_alu instid0(VALU_DEP_1) | instskip(SKIP_1) | instid1(VALU_DEP_1)
	v_lshlrev_b32_e32 v51, 2, v51
	s_waitcnt lgkmcnt(0)
	v_add_lshl_u32 v65, v51, v97, 2
	ds_bpermute_b32 v51, v65, v72
	ds_bpermute_b32 v52, v65, v53
	ds_bpermute_b32 v67, v65, v54
	v_cmpx_le_u32_e64 v66, v50
	s_cbranch_execz .LBB884_110
; %bb.109:
	v_cmp_eq_u32_e32 vcc_lo, 0, v72
	s_waitcnt lgkmcnt(0)
	v_dual_cndmask_b32 v67, 0, v67 :: v_dual_add_nc_u32 v72, v51, v72
	v_cndmask_b32_e32 v52, 0, v52, vcc_lo
	s_delay_alu instid0(VALU_DEP_1) | instskip(NEXT) | instid1(VALU_DEP_3)
	v_add_co_u32 v53, vcc_lo, v52, v53
	v_add_co_ci_u32_e32 v54, vcc_lo, v67, v54, vcc_lo
.LBB884_110:
	s_or_b32 exec_lo, exec_lo, s24
	v_cmp_gt_u32_e32 vcc_lo, 24, v97
	v_add_nc_u32_e32 v68, 8, v97
	s_mov_b32 s24, exec_lo
	s_waitcnt lgkmcnt(2)
	v_cndmask_b32_e64 v51, 0, 1, vcc_lo
	s_delay_alu instid0(VALU_DEP_1) | instskip(SKIP_1) | instid1(VALU_DEP_1)
	v_lshlrev_b32_e32 v51, 3, v51
	s_waitcnt lgkmcnt(0)
	v_add_lshl_u32 v67, v51, v97, 2
	ds_bpermute_b32 v51, v67, v72
	ds_bpermute_b32 v52, v67, v53
	ds_bpermute_b32 v69, v67, v54
	v_cmpx_le_u32_e64 v68, v50
	s_cbranch_execz .LBB884_112
; %bb.111:
	v_cmp_eq_u32_e32 vcc_lo, 0, v72
	s_waitcnt lgkmcnt(0)
	v_dual_cndmask_b32 v69, 0, v69 :: v_dual_add_nc_u32 v72, v51, v72
	v_cndmask_b32_e32 v52, 0, v52, vcc_lo
	s_delay_alu instid0(VALU_DEP_1) | instskip(NEXT) | instid1(VALU_DEP_3)
	v_add_co_u32 v53, vcc_lo, v52, v53
	v_add_co_ci_u32_e32 v54, vcc_lo, v69, v54, vcc_lo
.LBB884_112:
	s_or_b32 exec_lo, exec_lo, s24
	v_cmp_gt_u32_e32 vcc_lo, 16, v97
	v_add_nc_u32_e32 v71, 16, v97
	s_mov_b32 s24, exec_lo
	s_waitcnt lgkmcnt(2)
	v_cndmask_b32_e64 v51, 0, 1, vcc_lo
	s_delay_alu instid0(VALU_DEP_1) | instskip(NEXT) | instid1(VALU_DEP_1)
	v_lshlrev_b32_e32 v51, 4, v51
	v_add_lshl_u32 v70, v51, v97, 2
	ds_bpermute_b32 v51, v70, v72
	s_waitcnt lgkmcnt(2)
	ds_bpermute_b32 v52, v70, v53
	s_waitcnt lgkmcnt(2)
	ds_bpermute_b32 v69, v70, v54
	v_cmpx_le_u32_e64 v71, v50
	s_cbranch_execz .LBB884_114
; %bb.113:
	v_cmp_eq_u32_e32 vcc_lo, 0, v72
	s_waitcnt lgkmcnt(2)
	v_add_nc_u32_e32 v72, v51, v72
	s_waitcnt lgkmcnt(1)
	v_cndmask_b32_e32 v52, 0, v52, vcc_lo
	s_waitcnt lgkmcnt(0)
	v_cndmask_b32_e32 v50, 0, v69, vcc_lo
	s_delay_alu instid0(VALU_DEP_2) | instskip(NEXT) | instid1(VALU_DEP_2)
	v_add_co_u32 v53, vcc_lo, v52, v53
	v_add_co_ci_u32_e32 v54, vcc_lo, v50, v54, vcc_lo
.LBB884_114:
	s_or_b32 exec_lo, exec_lo, s24
	v_mov_b32_e32 v50, 0
	s_branch .LBB884_116
.LBB884_115:                            ;   in Loop: Header=BB884_116 Depth=1
	s_or_b32 exec_lo, exec_lo, s24
	v_cmp_eq_u32_e32 vcc_lo, 0, v69
	v_subrev_nc_u32_e32 v49, 32, v49
	v_add_nc_u32_e32 v72, v72, v69
	v_dual_cndmask_b32 v54, 0, v54 :: v_dual_cndmask_b32 v53, 0, v53
	s_delay_alu instid0(VALU_DEP_1) | instskip(NEXT) | instid1(VALU_DEP_2)
	v_add_co_u32 v53, vcc_lo, v53, v51
	v_add_co_ci_u32_e32 v54, vcc_lo, v54, v52, vcc_lo
.LBB884_116:                            ; =>This Loop Header: Depth=1
                                        ;     Child Loop BB884_119 Depth 2
	s_waitcnt lgkmcnt(2)
	v_and_b32_e32 v51, 0xff, v60
	s_waitcnt lgkmcnt(0)
	v_mov_b32_e32 v69, v72
	s_delay_alu instid0(VALU_DEP_2) | instskip(SKIP_2) | instid1(VALU_DEP_1)
	v_cmp_ne_u16_e32 vcc_lo, 2, v51
	v_cndmask_b32_e64 v51, 0, 1, vcc_lo
	;;#ASMSTART
	;;#ASMEND
	v_cmp_ne_u32_e32 vcc_lo, 0, v51
	v_dual_mov_b32 v51, v53 :: v_dual_mov_b32 v52, v54
	s_cmp_lg_u32 vcc_lo, exec_lo
	s_cbranch_scc1 .LBB884_131
; %bb.117:                              ;   in Loop: Header=BB884_116 Depth=1
	global_load_u8 v60, v49, s[40:41] glc
	s_mov_b32 s24, exec_lo
	s_waitcnt vmcnt(0)
	v_cmpx_eq_u16_e32 0, v60
	s_cbranch_execz .LBB884_121
; %bb.118:                              ;   in Loop: Header=BB884_116 Depth=1
	v_add_co_u32 v53, s25, s40, v49
	s_delay_alu instid0(VALU_DEP_1)
	v_add_co_ci_u32_e64 v54, null, s41, 0, s25
	s_mov_b32 s25, 0
.LBB884_119:                            ;   Parent Loop BB884_116 Depth=1
                                        ; =>  This Inner Loop Header: Depth=2
	global_load_u8 v60, v[53:54], off glc
	s_waitcnt vmcnt(0)
	v_cmp_ne_u16_e32 vcc_lo, 0, v60
	s_or_b32 s25, vcc_lo, s25
	s_delay_alu instid0(SALU_CYCLE_1)
	s_and_not1_b32 exec_lo, exec_lo, s25
	s_cbranch_execnz .LBB884_119
; %bb.120:                              ;   in Loop: Header=BB884_116 Depth=1
	s_or_b32 exec_lo, exec_lo, s25
.LBB884_121:                            ;   in Loop: Header=BB884_116 Depth=1
	s_delay_alu instid0(SALU_CYCLE_1)
	s_or_b32 exec_lo, exec_lo, s24
	v_dual_mov_b32 v72, s37 :: v_dual_mov_b32 v73, s36
	v_cmp_eq_u16_e32 vcc_lo, 1, v60
	v_lshlrev_b64 v[53:54], 4, v[49:50]
	buffer_gl1_inv
	buffer_gl0_inv
	s_mov_b32 s24, exec_lo
	v_cndmask_b32_e32 v73, s38, v73, vcc_lo
	v_cndmask_b32_e32 v72, s39, v72, vcc_lo
	s_delay_alu instid0(VALU_DEP_2) | instskip(NEXT) | instid1(VALU_DEP_2)
	v_add_co_u32 v53, vcc_lo, v73, v53
	v_add_co_ci_u32_e32 v54, vcc_lo, v72, v54, vcc_lo
	v_cmp_eq_u16_e32 vcc_lo, 2, v60
	s_clause 0x1
	global_load_b32 v72, v[53:54], off
	global_load_b64 v[53:54], v[53:54], off offset:8
	v_and_or_b32 v73, vcc_lo, v62, 0x80000000
	s_delay_alu instid0(VALU_DEP_1)
	v_ctz_i32_b32_e32 v73, v73
	s_waitcnt vmcnt(1)
	ds_bpermute_b32 v74, v61, v72
	s_waitcnt vmcnt(0)
	ds_bpermute_b32 v75, v61, v53
	ds_bpermute_b32 v76, v61, v54
	v_cmpx_lt_u32_e64 v97, v73
	s_cbranch_execz .LBB884_123
; %bb.122:                              ;   in Loop: Header=BB884_116 Depth=1
	v_cmp_eq_u32_e32 vcc_lo, 0, v72
	s_waitcnt lgkmcnt(2)
	v_add_nc_u32_e32 v72, v74, v72
	s_waitcnt lgkmcnt(0)
	v_dual_cndmask_b32 v76, 0, v76 :: v_dual_cndmask_b32 v75, 0, v75
	s_delay_alu instid0(VALU_DEP_1) | instskip(NEXT) | instid1(VALU_DEP_2)
	v_add_co_u32 v53, vcc_lo, v75, v53
	v_add_co_ci_u32_e32 v54, vcc_lo, v76, v54, vcc_lo
.LBB884_123:                            ;   in Loop: Header=BB884_116 Depth=1
	s_or_b32 exec_lo, exec_lo, s24
	s_waitcnt lgkmcnt(2)
	ds_bpermute_b32 v74, v63, v72
	s_waitcnt lgkmcnt(2)
	ds_bpermute_b32 v75, v63, v53
	s_waitcnt lgkmcnt(2)
	ds_bpermute_b32 v76, v63, v54
	s_mov_b32 s24, exec_lo
	v_cmpx_le_u32_e64 v64, v73
	s_cbranch_execz .LBB884_125
; %bb.124:                              ;   in Loop: Header=BB884_116 Depth=1
	v_cmp_eq_u32_e32 vcc_lo, 0, v72
	s_waitcnt lgkmcnt(2)
	v_add_nc_u32_e32 v72, v74, v72
	s_waitcnt lgkmcnt(0)
	v_dual_cndmask_b32 v76, 0, v76 :: v_dual_cndmask_b32 v75, 0, v75
	s_delay_alu instid0(VALU_DEP_1) | instskip(NEXT) | instid1(VALU_DEP_2)
	v_add_co_u32 v53, vcc_lo, v75, v53
	v_add_co_ci_u32_e32 v54, vcc_lo, v76, v54, vcc_lo
.LBB884_125:                            ;   in Loop: Header=BB884_116 Depth=1
	s_or_b32 exec_lo, exec_lo, s24
	s_waitcnt lgkmcnt(2)
	ds_bpermute_b32 v74, v65, v72
	s_waitcnt lgkmcnt(2)
	ds_bpermute_b32 v75, v65, v53
	s_waitcnt lgkmcnt(2)
	ds_bpermute_b32 v76, v65, v54
	s_mov_b32 s24, exec_lo
	v_cmpx_le_u32_e64 v66, v73
	;; [unrolled: 20-line block ×4, first 2 shown]
	s_cbranch_execz .LBB884_115
; %bb.130:                              ;   in Loop: Header=BB884_116 Depth=1
	v_cmp_eq_u32_e32 vcc_lo, 0, v72
	s_waitcnt lgkmcnt(1)
	v_dual_cndmask_b32 v75, 0, v75 :: v_dual_add_nc_u32 v72, v74, v72
	s_waitcnt lgkmcnt(0)
	v_cndmask_b32_e32 v73, 0, v76, vcc_lo
	s_delay_alu instid0(VALU_DEP_2) | instskip(NEXT) | instid1(VALU_DEP_2)
	v_add_co_u32 v53, vcc_lo, v75, v53
	v_add_co_ci_u32_e32 v54, vcc_lo, v73, v54, vcc_lo
	s_branch .LBB884_115
.LBB884_131:                            ;   in Loop: Header=BB884_116 Depth=1
                                        ; implicit-def: $vgpr53_vgpr54
                                        ; implicit-def: $vgpr72
                                        ; implicit-def: $vgpr60
	s_cbranch_execz .LBB884_116
; %bb.132:
	s_and_saveexec_b32 s24, s13
	s_cbranch_execz .LBB884_134
; %bb.133:
	v_cmp_eq_u32_e32 vcc_lo, 0, v59
	s_mov_b32 s29, 0
	s_add_i32 s28, s15, 32
	v_dual_mov_b32 v54, 0 :: v_dual_add_nc_u32 v53, v69, v59
	v_dual_cndmask_b32 v50, 0, v52 :: v_dual_cndmask_b32 v49, 0, v51
	s_lshl_b64 s[30:31], s[28:29], 4
	v_dual_mov_b32 v60, s28 :: v_dual_mov_b32 v61, 2
	s_add_u32 s30, s38, s30
	s_delay_alu instid0(VALU_DEP_2)
	v_add_co_u32 v49, vcc_lo, v49, v47
	v_add_co_ci_u32_e32 v50, vcc_lo, v50, v48, vcc_lo
	s_addc_u32 s31, s39, s31
	s_clause 0x1
	global_store_b32 v54, v53, s[30:31]
	global_store_b64 v54, v[49:50], s[30:31] offset:8
	s_waitcnt lgkmcnt(0)
	s_waitcnt_vscnt null, 0x0
	buffer_gl1_inv
	buffer_gl0_inv
	global_store_b8 v60, v61, s[40:41]
	ds_store_b32 v54, v59 offset:2048
	ds_store_b64 v54, v[47:48] offset:2056
	ds_store_b32 v54, v69 offset:2064
	ds_store_b64 v54, v[51:52] offset:2072
.LBB884_134:
	s_or_b32 exec_lo, exec_lo, s24
	v_cmp_eq_u32_e32 vcc_lo, 0, v0
	s_and_b32 exec_lo, exec_lo, vcc_lo
	s_cbranch_execz .LBB884_136
; %bb.135:
	v_mov_b32_e32 v47, 0
	ds_store_b32 v47, v69 offset:2192
	ds_store_b64 v47, v[51:52] offset:2200
.LBB884_136:
	s_or_b32 exec_lo, exec_lo, s16
	s_waitcnt lgkmcnt(2)
	v_cndmask_b32_e64 v50, v58, v55, s13
	s_waitcnt lgkmcnt(0)
	s_waitcnt_vscnt null, 0x0
	s_barrier
	buffer_gl0_inv
	v_cndmask_b32_e64 v45, v57, v45, s13
	v_cmp_eq_u32_e32 vcc_lo, 0, v50
	v_mov_b32_e32 v49, 0
	v_cndmask_b32_e64 v46, v56, v46, s13
	ds_load_b64 v[47:48], v49 offset:2200
	s_waitcnt lgkmcnt(0)
	v_dual_cndmask_b32 v52, 0, v47 :: v_dual_cndmask_b32 v51, 0, v48
	s_delay_alu instid0(VALU_DEP_1) | instskip(NEXT) | instid1(VALU_DEP_2)
	v_add_co_u32 v45, vcc_lo, v52, v45
	v_add_co_ci_u32_e32 v46, vcc_lo, v51, v46, vcc_lo
	v_cmp_eq_u32_e32 vcc_lo, 0, v0
	v_cndmask_b32_e64 v50, v50, 0, vcc_lo
	s_delay_alu instid0(VALU_DEP_3)
	v_dual_cndmask_b32 v62, v46, v48 :: v_dual_cndmask_b32 v61, v45, v47
	v_cmp_eq_u32_e32 vcc_lo, 0, v96
	ds_load_b32 v48, v49 offset:2192
	s_waitcnt lgkmcnt(0)
	s_barrier
	buffer_gl0_inv
	v_dual_cndmask_b32 v46, 0, v61 :: v_dual_cndmask_b32 v45, 0, v62
	ds_load_b64 v[100:101], v49 offset:2056
	v_add_co_u32 v59, vcc_lo, v46, v41
	v_add_co_ci_u32_e32 v60, vcc_lo, v45, v42, vcc_lo
	s_delay_alu instid0(VALU_DEP_2) | instskip(NEXT) | instid1(VALU_DEP_2)
	v_cndmask_b32_e64 v45, 0, v59, s12
	v_cndmask_b32_e64 v46, 0, v60, s12
	s_delay_alu instid0(VALU_DEP_2) | instskip(NEXT) | instid1(VALU_DEP_2)
	v_add_co_u32 v65, vcc_lo, v45, v39
	v_add_co_ci_u32_e32 v66, vcc_lo, v46, v40, vcc_lo
	v_add_nc_u32_e32 v98, v48, v50
	s_delay_alu instid0(VALU_DEP_3) | instskip(NEXT) | instid1(VALU_DEP_3)
	v_cndmask_b32_e64 v45, 0, v65, s11
	v_cndmask_b32_e64 v46, 0, v66, s11
	s_delay_alu instid0(VALU_DEP_2) | instskip(NEXT) | instid1(VALU_DEP_2)
	v_add_co_u32 v69, vcc_lo, v45, v37
	v_add_co_ci_u32_e32 v70, vcc_lo, v46, v38, vcc_lo
	s_delay_alu instid0(VALU_DEP_2) | instskip(NEXT) | instid1(VALU_DEP_2)
	v_cndmask_b32_e64 v45, 0, v69, s10
	v_cndmask_b32_e64 v46, 0, v70, s10
	s_delay_alu instid0(VALU_DEP_2) | instskip(NEXT) | instid1(VALU_DEP_2)
	v_add_co_u32 v51, vcc_lo, v45, v35
	v_add_co_ci_u32_e32 v52, vcc_lo, v46, v36, vcc_lo
	s_delay_alu instid0(VALU_DEP_2) | instskip(NEXT) | instid1(VALU_DEP_2)
	;; [unrolled: 6-line block ×7, first 2 shown]
	v_cndmask_b32_e64 v45, 0, v53, s4
	v_cndmask_b32_e64 v46, 0, v54, s4
	s_delay_alu instid0(VALU_DEP_2) | instskip(NEXT) | instid1(VALU_DEP_2)
	v_add_co_u32 v57, vcc_lo, v45, v25
	v_add_co_ci_u32_e32 v58, vcc_lo, v46, v26, vcc_lo
	ds_load_b32 v45, v49 offset:2048
	v_cndmask_b32_e64 v46, 0, v57, s3
	v_cndmask_b32_e64 v47, 0, v58, s3
	s_delay_alu instid0(VALU_DEP_2) | instskip(NEXT) | instid1(VALU_DEP_2)
	v_add_co_u32 v73, vcc_lo, v46, v21
	v_add_co_ci_u32_e32 v74, vcc_lo, v47, v22, vcc_lo
	ds_load_b64 v[46:47], v49 offset:2072
	v_cndmask_b32_e64 v75, 0, v73, s2
	ds_load_b32 v49, v49 offset:2064
	v_cndmask_b32_e64 v76, 0, v74, s2
	v_add_co_u32 v77, vcc_lo, v75, v19
	s_delay_alu instid0(VALU_DEP_2) | instskip(SKIP_2) | instid1(VALU_DEP_3)
	v_add_co_ci_u32_e32 v78, vcc_lo, v76, v20, vcc_lo
	s_waitcnt lgkmcnt(2)
	v_cmp_eq_u32_e32 vcc_lo, 0, v45
	v_cndmask_b32_e64 v75, 0, v77, s1
	s_delay_alu instid0(VALU_DEP_3) | instskip(NEXT) | instid1(VALU_DEP_2)
	v_cndmask_b32_e64 v76, 0, v78, s1
	v_add_co_u32 v75, s1, v75, v17
	s_delay_alu instid0(VALU_DEP_1)
	v_add_co_ci_u32_e64 v76, s1, v76, v18, s1
	s_waitcnt lgkmcnt(1)
	v_cndmask_b32_e32 v46, 0, v46, vcc_lo
	v_cndmask_b32_e32 v102, 0, v47, vcc_lo
	v_cndmask_b32_e64 v79, 0, v75, s0
	v_cndmask_b32_e64 v80, 0, v76, s0
	s_delay_alu instid0(VALU_DEP_4) | instskip(NEXT) | instid1(VALU_DEP_4)
	v_add_co_u32 v47, vcc_lo, v46, v100
	v_add_co_ci_u32_e32 v48, vcc_lo, v102, v101, vcc_lo
	s_branch .LBB884_165
.LBB884_137:
                                        ; implicit-def: $vgpr45
                                        ; implicit-def: $vgpr47_vgpr48
                                        ; implicit-def: $vgpr49
                                        ; implicit-def: $vgpr61_vgpr62
                                        ; implicit-def: $vgpr59_vgpr60
                                        ; implicit-def: $vgpr65_vgpr66
                                        ; implicit-def: $vgpr69_vgpr70
                                        ; implicit-def: $vgpr51_vgpr52
                                        ; implicit-def: $vgpr55_vgpr56
                                        ; implicit-def: $vgpr63_vgpr64
                                        ; implicit-def: $vgpr67_vgpr68
                                        ; implicit-def: $vgpr71_vgpr72
                                        ; implicit-def: $vgpr53_vgpr54
                                        ; implicit-def: $vgpr57_vgpr58
                                        ; implicit-def: $vgpr73_vgpr74
                                        ; implicit-def: $vgpr77_vgpr78
                                        ; implicit-def: $vgpr75_vgpr76
                                        ; implicit-def: $vgpr79_vgpr80
                                        ; implicit-def: $vgpr98
	s_cbranch_execz .LBB884_165
; %bb.138:
	s_and_b32 s0, s14, exec_lo
	s_waitcnt lgkmcnt(0)
	v_dual_mov_b32 v50, v42 :: v_dual_mov_b32 v49, v41
	s_cselect_b32 s1, 0, s19
	s_cselect_b32 s0, 0, s18
	s_delay_alu instid0(SALU_CYCLE_1)
	s_cmp_eq_u64 s[0:1], 0
	s_cbranch_scc1 .LBB884_140
; %bb.139:
	v_mov_b32_e32 v45, 0
	global_load_b64 v[49:50], v45, s[0:1]
.LBB884_140:
	v_cmp_eq_u32_e64 s11, 0, v95
	v_cmp_eq_u32_e64 s10, 0, v94
	;; [unrolled: 1-line block ×5, first 2 shown]
	v_cndmask_b32_e64 v46, 0, v41, s11
	v_cndmask_b32_e64 v45, 0, v42, s11
	v_cmp_eq_u32_e64 s6, 0, v90
	v_cmp_eq_u32_e64 s5, 0, v89
	;; [unrolled: 1-line block ×3, first 2 shown]
	v_add_co_u32 v46, vcc_lo, v46, v39
	v_add_co_ci_u32_e32 v45, vcc_lo, v45, v40, vcc_lo
	v_cmp_eq_u32_e64 s3, 0, v86
	s_delay_alu instid0(VALU_DEP_3) | instskip(SKIP_1) | instid1(VALU_DEP_4)
	v_cndmask_b32_e64 v46, 0, v46, s10
	v_cmp_eq_u32_e64 s2, 0, v85
	v_cndmask_b32_e64 v45, 0, v45, s10
	v_cmp_eq_u32_e64 s1, 0, v83
	v_add3_u32 v47, v99, v91, v90
	v_add_co_u32 v46, vcc_lo, v46, v37
	s_delay_alu instid0(VALU_DEP_4) | instskip(NEXT) | instid1(VALU_DEP_3)
	v_add_co_ci_u32_e32 v45, vcc_lo, v45, v38, vcc_lo
	v_add3_u32 v47, v47, v89, v87
	s_delay_alu instid0(VALU_DEP_3) | instskip(SKIP_1) | instid1(VALU_DEP_3)
	v_cndmask_b32_e64 v46, 0, v46, s9
	s_mov_b32 s13, exec_lo
	v_cndmask_b32_e64 v45, 0, v45, s9
	s_delay_alu instid0(VALU_DEP_3) | instskip(NEXT) | instid1(VALU_DEP_3)
	v_add3_u32 v47, v47, v86, v85
	v_add_co_u32 v46, vcc_lo, v46, v35
	s_delay_alu instid0(VALU_DEP_3) | instskip(NEXT) | instid1(VALU_DEP_3)
	v_add_co_ci_u32_e32 v45, vcc_lo, v45, v36, vcc_lo
	v_add3_u32 v47, v47, v84, v83
	s_delay_alu instid0(VALU_DEP_3) | instskip(NEXT) | instid1(VALU_DEP_3)
	v_cndmask_b32_e64 v46, 0, v46, s8
	v_cndmask_b32_e64 v45, 0, v45, s8
	s_delay_alu instid0(VALU_DEP_3) | instskip(NEXT) | instid1(VALU_DEP_3)
	v_add3_u32 v47, v47, v82, v88
	v_add_co_u32 v46, vcc_lo, v46, v33
	s_delay_alu instid0(VALU_DEP_3) | instskip(NEXT) | instid1(VALU_DEP_2)
	v_add_co_ci_u32_e32 v45, vcc_lo, v45, v34, vcc_lo
	v_cndmask_b32_e64 v46, 0, v46, s7
	s_delay_alu instid0(VALU_DEP_2) | instskip(NEXT) | instid1(VALU_DEP_2)
	v_cndmask_b32_e64 v45, 0, v45, s7
	v_add_co_u32 v46, vcc_lo, v46, v31
	s_delay_alu instid0(VALU_DEP_2) | instskip(NEXT) | instid1(VALU_DEP_2)
	v_add_co_ci_u32_e32 v45, vcc_lo, v45, v32, vcc_lo
	v_cndmask_b32_e64 v46, 0, v46, s6
	s_delay_alu instid0(VALU_DEP_2) | instskip(NEXT) | instid1(VALU_DEP_2)
	v_cndmask_b32_e64 v45, 0, v45, s6
	v_add_co_u32 v46, vcc_lo, v46, v27
	s_delay_alu instid0(VALU_DEP_2) | instskip(NEXT) | instid1(VALU_DEP_2)
	;; [unrolled: 6-line block ×5, first 2 shown]
	v_add_co_ci_u32_e32 v45, vcc_lo, v45, v26, vcc_lo
	v_cndmask_b32_e64 v46, 0, v46, s2
	s_delay_alu instid0(VALU_DEP_2) | instskip(NEXT) | instid1(VALU_DEP_2)
	v_cndmask_b32_e64 v45, 0, v45, s2
	v_add_co_u32 v46, vcc_lo, v46, v21
	s_delay_alu instid0(VALU_DEP_2) | instskip(SKIP_1) | instid1(VALU_DEP_2)
	v_add_co_ci_u32_e32 v45, vcc_lo, v45, v22, vcc_lo
	v_cmp_eq_u32_e32 vcc_lo, 0, v84
	v_dual_cndmask_b32 v45, 0, v45 :: v_dual_cndmask_b32 v46, 0, v46
	s_delay_alu instid0(VALU_DEP_1) | instskip(NEXT) | instid1(VALU_DEP_1)
	v_add_co_u32 v46, s0, v46, v19
	v_add_co_ci_u32_e64 v45, s0, v45, v20, s0
	s_delay_alu instid0(VALU_DEP_2) | instskip(NEXT) | instid1(VALU_DEP_2)
	v_cndmask_b32_e64 v46, 0, v46, s1
	v_cndmask_b32_e64 v45, 0, v45, s1
	s_delay_alu instid0(VALU_DEP_2) | instskip(NEXT) | instid1(VALU_DEP_1)
	v_add_co_u32 v46, s0, v46, v17
	v_add_co_ci_u32_e64 v45, s0, v45, v18, s0
	v_cmp_eq_u32_e64 s0, 0, v82
	s_delay_alu instid0(VALU_DEP_1) | instskip(NEXT) | instid1(VALU_DEP_3)
	v_cndmask_b32_e64 v46, 0, v46, s0
	v_cndmask_b32_e64 v45, 0, v45, s0
	s_delay_alu instid0(VALU_DEP_2) | instskip(NEXT) | instid1(VALU_DEP_1)
	v_add_co_u32 v46, s12, v46, v15
	v_add_co_ci_u32_e64 v45, s12, v45, v16, s12
	v_cmp_eq_u32_e64 s12, 0, v88
	s_delay_alu instid0(VALU_DEP_1) | instskip(NEXT) | instid1(VALU_DEP_3)
	v_cndmask_b32_e64 v46, 0, v46, s12
	v_cndmask_b32_e64 v45, 0, v45, s12
	s_delay_alu instid0(VALU_DEP_2) | instskip(NEXT) | instid1(VALU_DEP_1)
	v_add_co_u32 v43, s12, v46, v43
	v_add_co_ci_u32_e64 v44, s12, v45, v44, s12
	v_and_b32_e32 v45, 15, v97
	v_mov_b32_dpp v46, v47 row_shr:1 row_mask:0xf bank_mask:0xf
	s_delay_alu instid0(VALU_DEP_4) | instskip(NEXT) | instid1(VALU_DEP_4)
	v_mov_b32_dpp v48, v43 row_shr:1 row_mask:0xf bank_mask:0xf
	v_mov_b32_dpp v51, v44 row_shr:1 row_mask:0xf bank_mask:0xf
	s_delay_alu instid0(VALU_DEP_4)
	v_cmpx_ne_u32_e32 0, v45
; %bb.141:
	v_cmp_eq_u32_e64 s12, 0, v47
	v_add_nc_u32_e32 v47, v46, v47
	s_delay_alu instid0(VALU_DEP_2) | instskip(SKIP_1) | instid1(VALU_DEP_2)
	v_cndmask_b32_e64 v48, 0, v48, s12
	v_cndmask_b32_e64 v51, 0, v51, s12
	v_add_co_u32 v43, s12, v48, v43
	s_delay_alu instid0(VALU_DEP_1)
	v_add_co_ci_u32_e64 v44, s12, v51, v44, s12
; %bb.142:
	s_or_b32 exec_lo, exec_lo, s13
	v_mov_b32_dpp v46, v47 row_shr:2 row_mask:0xf bank_mask:0xf
	s_delay_alu instid0(VALU_DEP_3) | instskip(NEXT) | instid1(VALU_DEP_3)
	v_mov_b32_dpp v48, v43 row_shr:2 row_mask:0xf bank_mask:0xf
	v_mov_b32_dpp v51, v44 row_shr:2 row_mask:0xf bank_mask:0xf
	s_mov_b32 s13, exec_lo
	v_cmpx_lt_u32_e32 1, v45
; %bb.143:
	v_cmp_eq_u32_e64 s12, 0, v47
	v_add_nc_u32_e32 v47, v46, v47
	s_delay_alu instid0(VALU_DEP_2) | instskip(SKIP_1) | instid1(VALU_DEP_2)
	v_cndmask_b32_e64 v48, 0, v48, s12
	v_cndmask_b32_e64 v51, 0, v51, s12
	v_add_co_u32 v43, s12, v48, v43
	s_delay_alu instid0(VALU_DEP_1)
	v_add_co_ci_u32_e64 v44, s12, v51, v44, s12
; %bb.144:
	s_or_b32 exec_lo, exec_lo, s13
	v_mov_b32_dpp v46, v47 row_shr:4 row_mask:0xf bank_mask:0xf
	s_delay_alu instid0(VALU_DEP_3) | instskip(NEXT) | instid1(VALU_DEP_3)
	v_mov_b32_dpp v48, v43 row_shr:4 row_mask:0xf bank_mask:0xf
	v_mov_b32_dpp v51, v44 row_shr:4 row_mask:0xf bank_mask:0xf
	s_mov_b32 s13, exec_lo
	v_cmpx_lt_u32_e32 3, v45
	;; [unrolled: 17-line block ×3, first 2 shown]
; %bb.147:
	v_cmp_eq_u32_e64 s12, 0, v47
	v_add_nc_u32_e32 v47, v46, v47
	s_delay_alu instid0(VALU_DEP_2) | instskip(SKIP_1) | instid1(VALU_DEP_2)
	v_cndmask_b32_e64 v48, 0, v48, s12
	v_cndmask_b32_e64 v45, 0, v51, s12
	v_add_co_u32 v43, s12, v48, v43
	s_delay_alu instid0(VALU_DEP_1)
	v_add_co_ci_u32_e64 v44, s12, v45, v44, s12
; %bb.148:
	s_or_b32 exec_lo, exec_lo, s13
	ds_swizzle_b32 v45, v47 offset:swizzle(BROADCAST,32,15)
	ds_swizzle_b32 v46, v43 offset:swizzle(BROADCAST,32,15)
	;; [unrolled: 1-line block ×3, first 2 shown]
	v_and_b32_e32 v51, 16, v97
	s_mov_b32 s13, exec_lo
	s_delay_alu instid0(VALU_DEP_1)
	v_cmpx_ne_u32_e32 0, v51
	s_cbranch_execz .LBB884_150
; %bb.149:
	v_cmp_eq_u32_e64 s12, 0, v47
	s_waitcnt lgkmcnt(2)
	v_add_nc_u32_e32 v47, v45, v47
	s_waitcnt lgkmcnt(1)
	s_delay_alu instid0(VALU_DEP_2) | instskip(SKIP_2) | instid1(VALU_DEP_2)
	v_cndmask_b32_e64 v46, 0, v46, s12
	s_waitcnt lgkmcnt(0)
	v_cndmask_b32_e64 v48, 0, v48, s12
	v_add_co_u32 v43, s12, v46, v43
	s_delay_alu instid0(VALU_DEP_1)
	v_add_co_ci_u32_e64 v44, s12, v48, v44, s12
.LBB884_150:
	s_or_b32 exec_lo, exec_lo, s13
	s_waitcnt lgkmcnt(1)
	v_lshrrev_b32_e32 v46, 5, v0
	v_or_b32_e32 v45, 31, v0
	s_mov_b32 s13, exec_lo
	s_delay_alu instid0(VALU_DEP_2) | instskip(NEXT) | instid1(VALU_DEP_2)
	v_lshlrev_b32_e32 v51, 4, v46
	v_cmpx_eq_u32_e64 v45, v0
	s_cbranch_execz .LBB884_152
; %bb.151:
	ds_store_b32 v51, v47 offset:2080
	ds_store_b64 v51, v[43:44] offset:2088
.LBB884_152:
	s_or_b32 exec_lo, exec_lo, s13
	s_delay_alu instid0(SALU_CYCLE_1)
	s_mov_b32 s13, exec_lo
	s_waitcnt vmcnt(0) lgkmcnt(0)
	s_barrier
	buffer_gl0_inv
	v_cmpx_gt_u32_e32 8, v0
	s_cbranch_execz .LBB884_160
; %bb.153:
	v_lshlrev_b32_e32 v48, 4, v0
	v_and_b32_e32 v53, 7, v97
	s_mov_b32 s15, exec_lo
	ds_load_b32 v52, v48 offset:2080
	ds_load_b64 v[45:46], v48 offset:2088
	s_waitcnt lgkmcnt(1)
	v_mov_b32_dpp v54, v52 row_shr:1 row_mask:0xf bank_mask:0xf
	s_waitcnt lgkmcnt(0)
	v_mov_b32_dpp v55, v45 row_shr:1 row_mask:0xf bank_mask:0xf
	v_mov_b32_dpp v56, v46 row_shr:1 row_mask:0xf bank_mask:0xf
	v_cmpx_ne_u32_e32 0, v53
; %bb.154:
	v_cmp_eq_u32_e64 s12, 0, v52
	v_add_nc_u32_e32 v52, v54, v52
	s_delay_alu instid0(VALU_DEP_2) | instskip(SKIP_1) | instid1(VALU_DEP_2)
	v_cndmask_b32_e64 v55, 0, v55, s12
	v_cndmask_b32_e64 v56, 0, v56, s12
	v_add_co_u32 v45, s12, v55, v45
	s_delay_alu instid0(VALU_DEP_1)
	v_add_co_ci_u32_e64 v46, s12, v56, v46, s12
; %bb.155:
	s_or_b32 exec_lo, exec_lo, s15
	v_mov_b32_dpp v54, v52 row_shr:2 row_mask:0xf bank_mask:0xf
	s_delay_alu instid0(VALU_DEP_3) | instskip(NEXT) | instid1(VALU_DEP_3)
	v_mov_b32_dpp v55, v45 row_shr:2 row_mask:0xf bank_mask:0xf
	v_mov_b32_dpp v56, v46 row_shr:2 row_mask:0xf bank_mask:0xf
	s_mov_b32 s15, exec_lo
	v_cmpx_lt_u32_e32 1, v53
; %bb.156:
	v_cmp_eq_u32_e64 s12, 0, v52
	v_add_nc_u32_e32 v52, v54, v52
	s_delay_alu instid0(VALU_DEP_2) | instskip(SKIP_1) | instid1(VALU_DEP_2)
	v_cndmask_b32_e64 v55, 0, v55, s12
	v_cndmask_b32_e64 v56, 0, v56, s12
	v_add_co_u32 v45, s12, v55, v45
	s_delay_alu instid0(VALU_DEP_1)
	v_add_co_ci_u32_e64 v46, s12, v56, v46, s12
; %bb.157:
	s_or_b32 exec_lo, exec_lo, s15
	v_mov_b32_dpp v54, v52 row_shr:4 row_mask:0xf bank_mask:0xf
	s_delay_alu instid0(VALU_DEP_3) | instskip(NEXT) | instid1(VALU_DEP_3)
	v_mov_b32_dpp v55, v45 row_shr:4 row_mask:0xf bank_mask:0xf
	v_mov_b32_dpp v56, v46 row_shr:4 row_mask:0xf bank_mask:0xf
	s_mov_b32 s15, exec_lo
	v_cmpx_lt_u32_e32 3, v53
; %bb.158:
	v_cmp_eq_u32_e64 s12, 0, v52
	v_add_nc_u32_e32 v52, v54, v52
	s_delay_alu instid0(VALU_DEP_2) | instskip(SKIP_1) | instid1(VALU_DEP_2)
	v_cndmask_b32_e64 v55, 0, v55, s12
	v_cndmask_b32_e64 v53, 0, v56, s12
	v_add_co_u32 v45, s12, v55, v45
	s_delay_alu instid0(VALU_DEP_1)
	v_add_co_ci_u32_e64 v46, s12, v53, v46, s12
; %bb.159:
	s_or_b32 exec_lo, exec_lo, s15
	ds_store_b32 v48, v52 offset:2080
	ds_store_b64 v48, v[45:46] offset:2088
.LBB884_160:
	s_or_b32 exec_lo, exec_lo, s13
	v_dual_mov_b32 v48, 0 :: v_dual_mov_b32 v45, v49
	v_mov_b32_e32 v52, 0
	v_mov_b32_e32 v46, v50
	s_mov_b32 s13, exec_lo
	s_waitcnt lgkmcnt(0)
	s_barrier
	buffer_gl0_inv
	v_cmpx_lt_u32_e32 31, v0
	s_cbranch_execz .LBB884_162
; %bb.161:
	ds_load_b32 v52, v51 offset:2064
	ds_load_b64 v[45:46], v51 offset:2072
	s_waitcnt lgkmcnt(1)
	v_cmp_eq_u32_e64 s12, 0, v52
	s_delay_alu instid0(VALU_DEP_1) | instskip(SKIP_2) | instid1(VALU_DEP_2)
	v_cndmask_b32_e64 v53, 0, v49, s12
	v_cndmask_b32_e64 v51, 0, v50, s12
	s_waitcnt lgkmcnt(0)
	v_add_co_u32 v45, s12, v53, v45
	s_delay_alu instid0(VALU_DEP_1)
	v_add_co_ci_u32_e64 v46, s12, v51, v46, s12
.LBB884_162:
	s_or_b32 exec_lo, exec_lo, s13
	v_add_nc_u32_e32 v51, -1, v97
	v_cmp_eq_u32_e64 s12, 0, v47
	v_add_nc_u32_e32 v47, v52, v47
	s_delay_alu instid0(VALU_DEP_3) | instskip(NEXT) | instid1(VALU_DEP_3)
	v_cmp_gt_i32_e64 s13, 0, v51
	v_cndmask_b32_e64 v54, 0, v45, s12
	v_cndmask_b32_e64 v53, 0, v46, s12
	s_delay_alu instid0(VALU_DEP_3) | instskip(NEXT) | instid1(VALU_DEP_3)
	v_cndmask_b32_e64 v51, v51, v97, s13
	v_add_co_u32 v43, s12, v54, v43
	s_delay_alu instid0(VALU_DEP_1) | instskip(NEXT) | instid1(VALU_DEP_3)
	v_add_co_ci_u32_e64 v44, s12, v53, v44, s12
	v_lshlrev_b32_e32 v51, 2, v51
	v_cmp_eq_u32_e64 s12, 0, v97
	v_cmp_eq_u32_e64 s13, 0, v96
	ds_bpermute_b32 v47, v51, v47
	ds_bpermute_b32 v44, v51, v44
	;; [unrolled: 1-line block ×3, first 2 shown]
	s_waitcnt lgkmcnt(2)
	v_cndmask_b32_e64 v98, v47, v52, s12
	s_waitcnt lgkmcnt(1)
	v_cndmask_b32_e64 v62, v44, v46, s12
	;; [unrolled: 2-line block ×3, first 2 shown]
	v_cmp_eq_u32_e64 s12, 0, v0
	ds_load_b32 v45, v48 offset:2192
	v_cndmask_b32_e64 v43, v61, v49, s12
	v_cndmask_b32_e64 v44, v62, v50, s12
	s_delay_alu instid0(VALU_DEP_2) | instskip(NEXT) | instid1(VALU_DEP_2)
	v_cndmask_b32_e64 v43, 0, v43, s13
	v_cndmask_b32_e64 v44, 0, v44, s13
	s_delay_alu instid0(VALU_DEP_2) | instskip(NEXT) | instid1(VALU_DEP_1)
	v_add_co_u32 v59, s13, v43, v41
	v_add_co_ci_u32_e64 v60, s13, v44, v42, s13
	s_delay_alu instid0(VALU_DEP_2) | instskip(NEXT) | instid1(VALU_DEP_2)
	v_cndmask_b32_e64 v41, 0, v59, s11
	v_cndmask_b32_e64 v42, 0, v60, s11
	s_delay_alu instid0(VALU_DEP_2) | instskip(NEXT) | instid1(VALU_DEP_1)
	v_add_co_u32 v65, s11, v41, v39
	v_add_co_ci_u32_e64 v66, s11, v42, v40, s11
	;; [unrolled: 6-line block ×11, first 2 shown]
	ds_load_b64 v[21:22], v48 offset:2200
	v_dual_cndmask_b32 v23, 0, v73 :: v_dual_cndmask_b32 v24, 0, v74
	s_delay_alu instid0(VALU_DEP_1) | instskip(NEXT) | instid1(VALU_DEP_2)
	v_add_co_u32 v77, vcc_lo, v23, v19
	v_add_co_ci_u32_e32 v78, vcc_lo, v24, v20, vcc_lo
	s_waitcnt lgkmcnt(1)
	v_cmp_eq_u32_e32 vcc_lo, 0, v45
	s_delay_alu instid0(VALU_DEP_3) | instskip(NEXT) | instid1(VALU_DEP_3)
	v_cndmask_b32_e64 v19, 0, v77, s1
	v_cndmask_b32_e64 v20, 0, v78, s1
	s_delay_alu instid0(VALU_DEP_2) | instskip(NEXT) | instid1(VALU_DEP_1)
	v_add_co_u32 v75, s1, v19, v17
	v_add_co_ci_u32_e64 v76, s1, v20, v18, s1
	v_dual_cndmask_b32 v18, 0, v49 :: v_dual_cndmask_b32 v17, 0, v50
	s_delay_alu instid0(VALU_DEP_3) | instskip(NEXT) | instid1(VALU_DEP_3)
	v_cndmask_b32_e64 v79, 0, v75, s0
	v_cndmask_b32_e64 v80, 0, v76, s0
	s_waitcnt lgkmcnt(0)
	s_delay_alu instid0(VALU_DEP_3)
	v_add_co_u32 v47, vcc_lo, v18, v21
	v_add_co_ci_u32_e32 v48, vcc_lo, v17, v22, vcc_lo
	s_and_saveexec_b32 s0, s12
	s_cbranch_execz .LBB884_164
; %bb.163:
	v_dual_mov_b32 v98, 0 :: v_dual_mov_b32 v17, 2
	v_dual_mov_b32 v62, v50 :: v_dual_mov_b32 v61, v49
	s_clause 0x1
	global_store_b32 v98, v45, s[38:39] offset:512
	global_store_b64 v98, v[47:48], s[38:39] offset:520
	s_waitcnt_vscnt null, 0x0
	buffer_gl1_inv
	buffer_gl0_inv
	global_store_b8 v98, v17, s[40:41] offset:32
.LBB884_164:
	s_or_b32 exec_lo, exec_lo, s0
	v_mov_b32_e32 v49, 0
.LBB884_165:
	v_mov_b32_e32 v17, 0
	s_and_b32 s0, s14, exec_lo
	v_mov_b32_e32 v18, 0
	s_cselect_b32 s1, 0, s51
	s_cselect_b32 s0, 0, s50
	s_waitcnt lgkmcnt(0)
	s_waitcnt_vscnt null, 0x0
	s_cmp_eq_u64 s[0:1], 0
	s_barrier
	buffer_gl0_inv
	s_cbranch_scc1 .LBB884_167
; %bb.166:
	v_mov_b32_e32 v17, 0
	global_load_b64 v[17:18], v17, s[0:1]
.LBB884_167:
	v_add_nc_u32_e32 v32, v98, v96
	v_cmp_gt_u32_e32 vcc_lo, 0x100, v45
	s_delay_alu instid0(VALU_DEP_2) | instskip(SKIP_1) | instid1(VALU_DEP_1)
	v_add_nc_u32_e32 v31, v32, v95
	s_and_b32 vcc_lo, exec_lo, vcc_lo
	v_add_nc_u32_e32 v30, v31, v94
	s_delay_alu instid0(VALU_DEP_1) | instskip(NEXT) | instid1(VALU_DEP_1)
	v_add_nc_u32_e32 v29, v30, v93
	v_add_nc_u32_e32 v28, v29, v92
	s_delay_alu instid0(VALU_DEP_1) | instskip(NEXT) | instid1(VALU_DEP_1)
	v_add_nc_u32_e32 v27, v28, v91
	;; [unrolled: 3-line block ×5, first 2 shown]
	v_add_nc_u32_e32 v20, v21, v83
	s_delay_alu instid0(VALU_DEP_1)
	v_add_nc_u32_e32 v19, v20, v82
	s_cbranch_vccnz .LBB884_216
; %bb.168:
	v_cmp_eq_u32_e32 vcc_lo, 0, v95
	v_cmp_eq_u32_e64 s0, 0, v83
	v_cmp_eq_u32_e64 s1, 0, v82
	v_cmp_ne_u32_e64 s11, 0, v96
	v_cmp_ne_u32_e64 s2, 0, v84
	v_cndmask_b32_e64 v33, 1, 2, vcc_lo
	v_cmp_eq_u32_e32 vcc_lo, 0, v96
	v_cndmask_b32_e64 v36, 1, 2, s1
	v_cmp_ne_u32_e64 s1, 0, v83
	v_cmp_ne_u32_e64 s3, 0, v85
	;; [unrolled: 1-line block ×3, first 2 shown]
	v_cndmask_b32_e64 v34, 1, 2, vcc_lo
	v_cmp_eq_u32_e32 vcc_lo, 0, v94
	v_cmp_ne_u32_e64 s5, 0, v87
	v_cmp_ne_u32_e64 s6, 0, v89
	;; [unrolled: 1-line block ×3, first 2 shown]
	v_and_b32_e32 v33, v33, v34
	v_cndmask_b32_e64 v35, 1, 2, vcc_lo
	v_cmp_eq_u32_e32 vcc_lo, 0, v93
	v_cmp_ne_u32_e64 s8, 0, v91
	v_cmp_ne_u32_e64 s9, 0, v92
	;; [unrolled: 1-line block ×3, first 2 shown]
	v_and_b32_e32 v33, v33, v35
	v_cndmask_b32_e64 v34, 1, 2, vcc_lo
	v_cmp_eq_u32_e32 vcc_lo, 0, v92
	v_cmp_ne_u32_e64 s12, 0, v94
	v_cmp_ne_u32_e64 s13, 0, v95
	s_mov_b32 s16, 0
	v_and_b32_e32 v33, v33, v34
	v_cndmask_b32_e64 v35, 1, 2, vcc_lo
	v_cmp_eq_u32_e32 vcc_lo, 0, v91
	s_mov_b32 s15, exec_lo
	s_delay_alu instid0(VALU_DEP_2) | instskip(SKIP_2) | instid1(VALU_DEP_2)
	v_and_b32_e32 v33, v33, v35
	v_cndmask_b32_e64 v34, 1, 2, vcc_lo
	v_cmp_eq_u32_e32 vcc_lo, 0, v90
	v_and_b32_e32 v33, v33, v34
	v_cndmask_b32_e64 v35, 1, 2, vcc_lo
	v_cmp_eq_u32_e32 vcc_lo, 0, v89
	s_delay_alu instid0(VALU_DEP_2) | instskip(SKIP_2) | instid1(VALU_DEP_2)
	v_and_b32_e32 v33, v33, v35
	v_cndmask_b32_e64 v34, 1, 2, vcc_lo
	v_cmp_eq_u32_e32 vcc_lo, 0, v87
	v_and_b32_e32 v33, v33, v34
	v_cndmask_b32_e64 v35, 1, 2, vcc_lo
	v_cmp_eq_u32_e32 vcc_lo, 0, v86
	;; [unrolled: 7-line block ×3, first 2 shown]
	s_delay_alu instid0(VALU_DEP_2) | instskip(SKIP_4) | instid1(VALU_DEP_4)
	v_and_b32_e32 v33, v33, v35
	v_cndmask_b32_e64 v34, 1, 2, vcc_lo
	v_cndmask_b32_e64 v35, 1, 2, s0
	v_cmp_eq_u32_e64 s0, 0, v88
	v_cmp_ne_u32_e32 vcc_lo, 0, v88
	v_and_b32_e32 v33, v33, v34
	s_delay_alu instid0(VALU_DEP_3) | instskip(SKIP_1) | instid1(VALU_DEP_3)
	v_cndmask_b32_e64 v34, 1, 2, s0
	v_cmp_ne_u32_e64 s0, 0, v82
	v_and_b32_e32 v33, v33, v35
	s_delay_alu instid0(VALU_DEP_1) | instskip(NEXT) | instid1(VALU_DEP_1)
	v_and_b32_e32 v33, v33, v36
	v_and_b32_e32 v33, v33, v34
	s_delay_alu instid0(VALU_DEP_1)
	v_cmpx_gt_i16_e32 2, v33
	s_cbranch_execz .LBB884_215
; %bb.169:
	v_cmp_ne_u16_e64 s14, 1, v33
	s_delay_alu instid0(VALU_DEP_1) | instskip(NEXT) | instid1(SALU_CYCLE_1)
	s_and_saveexec_b32 s18, s14
	s_xor_b32 s14, exec_lo, s18
	s_cbranch_execz .LBB884_193
; %bb.170:
	s_and_saveexec_b32 s16, s11
	s_cbranch_execz .LBB884_198
; %bb.171:
	v_sub_nc_u32_e32 v33, v98, v49
	s_delay_alu instid0(VALU_DEP_1)
	v_lshlrev_b32_e32 v33, 2, v33
	ds_store_b32 v33, v13
	s_or_b32 exec_lo, exec_lo, s16
	s_and_saveexec_b32 s11, s13
	s_cbranch_execnz .LBB884_199
.LBB884_172:
	s_or_b32 exec_lo, exec_lo, s11
	s_and_saveexec_b32 s11, s12
	s_cbranch_execz .LBB884_200
.LBB884_173:
	v_sub_nc_u32_e32 v13, v31, v49
	s_delay_alu instid0(VALU_DEP_1)
	v_lshlrev_b32_e32 v13, 2, v13
	ds_store_b32 v13, v11
	s_or_b32 exec_lo, exec_lo, s11
	s_and_saveexec_b32 s11, s10
	s_cbranch_execnz .LBB884_201
.LBB884_174:
	s_or_b32 exec_lo, exec_lo, s11
	s_and_saveexec_b32 s10, s9
	s_cbranch_execz .LBB884_202
.LBB884_175:
	v_sub_nc_u32_e32 v11, v29, v49
	s_delay_alu instid0(VALU_DEP_1)
	v_lshlrev_b32_e32 v11, 2, v11
	ds_store_b32 v11, v9
	s_or_b32 exec_lo, exec_lo, s10
	s_and_saveexec_b32 s9, s8
	s_cbranch_execnz .LBB884_203
.LBB884_176:
	s_or_b32 exec_lo, exec_lo, s9
	s_and_saveexec_b32 s8, s7
	s_cbranch_execz .LBB884_204
.LBB884_177:
	v_sub_nc_u32_e32 v9, v27, v49
	s_delay_alu instid0(VALU_DEP_1)
	v_lshlrev_b32_e32 v9, 2, v9
	ds_store_b32 v9, v7
	s_or_b32 exec_lo, exec_lo, s8
	s_and_saveexec_b32 s7, s6
	s_cbranch_execnz .LBB884_205
.LBB884_178:
	s_or_b32 exec_lo, exec_lo, s7
	s_and_saveexec_b32 s6, s5
	s_cbranch_execz .LBB884_206
.LBB884_179:
	v_sub_nc_u32_e32 v7, v25, v49
	s_delay_alu instid0(VALU_DEP_1)
	v_lshlrev_b32_e32 v7, 2, v7
	ds_store_b32 v7, v5
	s_or_b32 exec_lo, exec_lo, s6
	s_and_saveexec_b32 s5, s4
	s_cbranch_execnz .LBB884_207
.LBB884_180:
	s_or_b32 exec_lo, exec_lo, s5
	s_and_saveexec_b32 s4, s3
	s_cbranch_execz .LBB884_208
.LBB884_181:
	v_sub_nc_u32_e32 v5, v23, v49
	s_delay_alu instid0(VALU_DEP_1)
	v_lshlrev_b32_e32 v5, 2, v5
	ds_store_b32 v5, v3
	s_or_b32 exec_lo, exec_lo, s4
	s_and_saveexec_b32 s3, s2
	s_cbranch_execnz .LBB884_209
.LBB884_182:
	s_or_b32 exec_lo, exec_lo, s3
	s_and_saveexec_b32 s2, s1
	s_cbranch_execz .LBB884_210
.LBB884_183:
	v_sub_nc_u32_e32 v3, v21, v49
	s_delay_alu instid0(VALU_DEP_1)
	v_lshlrev_b32_e32 v3, 2, v3
	ds_store_b32 v3, v1
	s_or_b32 exec_lo, exec_lo, s2
	s_and_saveexec_b32 s1, s0
	s_cbranch_execnz .LBB884_211
	s_branch .LBB884_212
.LBB884_184:
	s_mov_b32 s30, 0
                                        ; implicit-def: $sgpr0
                                        ; implicit-def: $vgpr88
                                        ; implicit-def: $vgpr82
                                        ; implicit-def: $vgpr83
                                        ; implicit-def: $vgpr84
                                        ; implicit-def: $vgpr85
                                        ; implicit-def: $vgpr86
                                        ; implicit-def: $vgpr87
                                        ; implicit-def: $vgpr89
                                        ; implicit-def: $vgpr90
                                        ; implicit-def: $vgpr91
                                        ; implicit-def: $vgpr92
                                        ; implicit-def: $vgpr93
                                        ; implicit-def: $vgpr94
                                        ; implicit-def: $vgpr95
	s_cbranch_execz .LBB884_70
.LBB884_185:
	v_cmp_ne_u32_e32 vcc_lo, v2, v81
	s_mov_b32 s1, exec_lo
	ds_store_b32 v74, v81
	s_waitcnt lgkmcnt(0)
	s_barrier
	v_cndmask_b32_e64 v88, 0, 1, vcc_lo
	v_cmp_ne_u32_e32 vcc_lo, v1, v2
	buffer_gl0_inv
                                        ; implicit-def: $sgpr0
	v_cndmask_b32_e64 v82, 0, 1, vcc_lo
	v_cmp_ne_u32_e32 vcc_lo, v4, v1
	v_cndmask_b32_e64 v83, 0, 1, vcc_lo
	v_cmp_ne_u32_e32 vcc_lo, v3, v4
	;; [unrolled: 2-line block ×12, first 2 shown]
	v_cndmask_b32_e64 v95, 0, 1, vcc_lo
	v_cmpx_ne_u32_e32 0, v0
	s_xor_b32 s1, exec_lo, s1
	s_cbranch_execz .LBB884_187
; %bb.186:
	v_add_nc_u32_e32 v46, -4, v74
	s_or_b32 s30, s30, exec_lo
	ds_load_b32 v46, v46
	s_waitcnt lgkmcnt(0)
	v_cmp_ne_u32_e32 vcc_lo, v46, v13
	s_and_b32 s0, vcc_lo, exec_lo
.LBB884_187:
	s_or_b32 exec_lo, exec_lo, s1
	s_mov_b32 s1, 1
	s_branch .LBB884_72
.LBB884_188:
	s_mul_hi_u32 s0, s24, 0xfffff100
	s_mul_i32 s1, s25, 0xfffff100
	s_sub_i32 s0, s0, s24
	s_mul_i32 s2, s24, 0xfffff100
	s_add_i32 s0, s0, s1
	s_add_u32 s24, s2, s48
	s_addc_u32 s25, s0, s49
	s_and_b32 vcc_lo, exec_lo, s14
	v_cmp_ne_u32_e64 s13, v2, v81
	v_cmp_ne_u32_e64 s14, v1, v2
	;; [unrolled: 1-line block ×15, first 2 shown]
	s_cbranch_vccz .LBB884_195
; %bb.189:
	v_add_co_u32 v72, s16, -4, s29
	s_delay_alu instid0(VALU_DEP_1)
	v_add_co_ci_u32_e64 v73, null, -1, s28, s16
	v_mov_b32_e32 v46, 0
	s_mov_b32 s30, -1
	s_mov_b32 s28, 0
	flat_load_b32 v75, v[72:73]
	ds_store_b32 v74, v81
	v_cmp_gt_u64_e32 vcc_lo, s[24:25], v[45:46]
	v_mov_b32_e32 v72, v46
	v_mov_b32_e32 v70, v46
	;; [unrolled: 1-line block ×5, first 2 shown]
	v_cmp_gt_u64_e64 s16, s[24:25], v[71:72]
	s_and_b32 s29, vcc_lo, s13
	v_cmp_gt_u64_e32 vcc_lo, s[24:25], v[69:70]
	v_mov_b32_e32 v62, v46
	v_mov_b32_e32 v60, v46
	v_cmp_gt_u64_e64 s13, s[24:25], v[67:68]
	s_and_b32 s31, s16, s14
	v_mov_b32_e32 v58, v46
	s_and_b32 s33, vcc_lo, s12
	v_cmp_gt_u64_e32 vcc_lo, s[24:25], v[65:66]
	v_cmp_gt_u64_e64 s12, s[24:25], v[63:64]
	v_cmp_gt_u64_e64 s14, s[24:25], v[61:62]
	;; [unrolled: 1-line block ×3, first 2 shown]
	v_mov_b32_e32 v56, v46
	v_mov_b32_e32 v54, v46
	;; [unrolled: 1-line block ×5, first 2 shown]
	s_and_b32 s13, s13, s11
	s_and_b32 s34, vcc_lo, s7
	s_and_b32 s12, s12, s8
	s_and_b32 s14, s14, s9
	;; [unrolled: 1-line block ×3, first 2 shown]
	v_cmp_gt_u64_e32 vcc_lo, s[24:25], v[57:58]
	v_cmp_gt_u64_e64 s7, s[24:25], v[55:56]
	v_cmp_gt_u64_e64 s8, s[24:25], v[53:54]
	;; [unrolled: 1-line block ×5, first 2 shown]
	v_mul_u32_u24_e32 v72, 15, v0
	s_and_b32 s35, vcc_lo, s1
	s_and_b32 s7, s7, s2
	s_and_b32 s3, s8, s3
	;; [unrolled: 1-line block ×5, first 2 shown]
	s_waitcnt vmcnt(0) lgkmcnt(0)
	s_barrier
	buffer_gl0_inv
	s_and_saveexec_b32 s5, s0
	s_cbranch_execz .LBB884_191
; %bb.190:
	v_add_nc_u32_e32 v48, -4, v74
	ds_load_b32 v75, v48
.LBB884_191:
	s_or_b32 exec_lo, exec_lo, s5
	v_mov_b32_e32 v73, v46
	s_waitcnt lgkmcnt(0)
	v_cmp_ne_u32_e64 s0, v75, v13
	v_cndmask_b32_e64 v88, 0, 1, s29
	v_cndmask_b32_e64 v82, 0, 1, s31
	;; [unrolled: 1-line block ×3, first 2 shown]
	v_cmp_gt_u64_e32 vcc_lo, s[24:25], v[72:73]
	v_cndmask_b32_e64 v84, 0, 1, s13
	v_cndmask_b32_e64 v85, 0, 1, s34
	;; [unrolled: 1-line block ×11, first 2 shown]
	s_and_b32 s0, vcc_lo, s0
	s_and_b32 vcc_lo, exec_lo, s28
	s_cbranch_vccnz .LBB884_196
.LBB884_192:
                                        ; implicit-def: $sgpr1
	v_mov_b32_e32 v96, s1
	s_and_saveexec_b32 s1, s30
	s_cbranch_execnz .LBB884_73
	s_branch .LBB884_74
.LBB884_193:
	s_and_not1_saveexec_b32 s0, s14
	s_cbranch_execz .LBB884_213
.LBB884_194:
	v_sub_nc_u32_e32 v33, v98, v49
	v_sub_nc_u32_e32 v36, v30, v49
	;; [unrolled: 1-line block ×4, first 2 shown]
	s_or_b32 s16, s16, exec_lo
	v_lshlrev_b32_e32 v33, 2, v33
	v_lshlrev_b32_e32 v36, 2, v36
	;; [unrolled: 1-line block ×4, first 2 shown]
	ds_store_b32 v33, v13
	ds_store_b32 v34, v14
	;; [unrolled: 1-line block ×3, first 2 shown]
	v_sub_nc_u32_e32 v11, v29, v49
	ds_store_b32 v36, v12
	v_sub_nc_u32_e32 v12, v28, v49
	v_sub_nc_u32_e32 v13, v27, v49
	;; [unrolled: 1-line block ×3, first 2 shown]
	v_lshlrev_b32_e32 v11, 2, v11
	v_sub_nc_u32_e32 v33, v25, v49
	v_lshlrev_b32_e32 v12, 2, v12
	v_lshlrev_b32_e32 v13, 2, v13
	;; [unrolled: 1-line block ×3, first 2 shown]
	ds_store_b32 v11, v9
	v_lshlrev_b32_e32 v9, 2, v33
	ds_store_b32 v12, v10
	ds_store_b32 v13, v7
	;; [unrolled: 1-line block ×3, first 2 shown]
	v_sub_nc_u32_e32 v7, v24, v49
	v_sub_nc_u32_e32 v10, v20, v49
	;; [unrolled: 1-line block ×3, first 2 shown]
	ds_store_b32 v9, v5
	v_sub_nc_u32_e32 v5, v23, v49
	v_lshlrev_b32_e32 v7, 2, v7
	v_sub_nc_u32_e32 v9, v21, v49
	v_lshlrev_b32_e32 v8, 2, v8
	s_delay_alu instid0(VALU_DEP_4)
	v_lshlrev_b32_e32 v5, 2, v5
	ds_store_b32 v7, v6
	v_lshlrev_b32_e32 v6, 2, v10
	v_lshlrev_b32_e32 v9, 2, v9
	ds_store_b32 v5, v3
	ds_store_b32 v8, v4
	;; [unrolled: 1-line block ×4, first 2 shown]
	s_or_b32 exec_lo, exec_lo, s0
	s_delay_alu instid0(SALU_CYCLE_1)
	s_and_b32 exec_lo, exec_lo, s16
	s_cbranch_execnz .LBB884_214
	s_branch .LBB884_215
.LBB884_195:
                                        ; implicit-def: $sgpr0
                                        ; implicit-def: $vgpr88
                                        ; implicit-def: $vgpr82
                                        ; implicit-def: $vgpr83
                                        ; implicit-def: $vgpr84
                                        ; implicit-def: $vgpr85
                                        ; implicit-def: $vgpr86
                                        ; implicit-def: $vgpr87
                                        ; implicit-def: $vgpr89
                                        ; implicit-def: $vgpr90
                                        ; implicit-def: $vgpr91
                                        ; implicit-def: $vgpr92
                                        ; implicit-def: $vgpr93
                                        ; implicit-def: $vgpr94
                                        ; implicit-def: $vgpr95
	s_cbranch_execz .LBB884_192
.LBB884_196:
	v_mov_b32_e32 v46, 0
	v_cmp_ne_u32_e64 s0, v1, v2
	v_cmp_ne_u32_e64 s2, v4, v1
	v_cmp_ne_u32_e32 vcc_lo, v2, v81
	ds_store_b32 v74, v81
	v_mov_b32_e32 v72, v46
	v_mov_b32_e32 v70, v46
	v_cmp_gt_u64_e64 s1, s[24:25], v[45:46]
	v_mov_b32_e32 v66, v46
	v_mov_b32_e32 v68, v46
	v_cmp_gt_u64_e64 s3, s[24:25], v[71:72]
	v_cmp_gt_u64_e64 s4, s[24:25], v[69:70]
	v_mov_b32_e32 v62, v46
	s_and_b32 s1, s1, vcc_lo
	v_cmp_gt_u64_e64 s5, s[24:25], v[67:68]
	v_cndmask_b32_e64 v88, 0, 1, s1
	s_and_b32 s0, s3, s0
	v_cmp_ne_u32_e64 s1, v6, v3
	v_cndmask_b32_e64 v82, 0, 1, s0
	s_and_b32 s0, s4, s2
	v_cmp_ne_u32_e32 vcc_lo, v3, v4
	v_cndmask_b32_e64 v83, 0, 1, s0
	v_cmp_gt_u64_e64 s0, s[24:25], v[65:66]
	v_mov_b32_e32 v64, v46
	v_mov_b32_e32 v58, v46
	s_and_b32 s2, s5, vcc_lo
	v_mov_b32_e32 v60, v46
	v_cndmask_b32_e64 v84, 0, 1, s2
	s_and_b32 s0, s0, s1
	v_cmp_ne_u32_e64 s1, v8, v5
	v_cndmask_b32_e64 v85, 0, 1, s0
	v_cmp_gt_u64_e64 s0, s[24:25], v[61:62]
	v_cmp_gt_u64_e32 vcc_lo, s[24:25], v[63:64]
	v_cmp_ne_u32_e64 s2, v5, v6
	v_mov_b32_e32 v54, v46
	v_mov_b32_e32 v56, v46
	;; [unrolled: 1-line block ×3, first 2 shown]
	s_and_b32 s0, s0, s1
	s_and_b32 s2, vcc_lo, s2
	v_cndmask_b32_e64 v87, 0, 1, s0
	v_cmp_gt_u64_e64 s0, s[24:25], v[57:58]
	v_cmp_ne_u32_e64 s1, v10, v7
	v_cmp_gt_u64_e32 vcc_lo, s[24:25], v[59:60]
	v_cndmask_b32_e64 v86, 0, 1, s2
	v_cmp_ne_u32_e64 s2, v7, v8
	v_mov_b32_e32 v50, v46
	s_and_b32 s0, s0, s1
	v_cmp_ne_u32_e64 s1, v12, v9
	v_cndmask_b32_e64 v90, 0, 1, s0
	s_and_b32 s2, vcc_lo, s2
	v_cmp_gt_u64_e64 s0, s[24:25], v[53:54]
	v_cmp_gt_u64_e32 vcc_lo, s[24:25], v[55:56]
	v_cndmask_b32_e64 v89, 0, 1, s2
	v_cmp_ne_u32_e64 s2, v9, v10
	v_mov_b32_e32 v48, v46
	v_cmp_ne_u32_e64 s4, v13, v14
	s_and_b32 s0, s0, s1
	v_cmp_gt_u64_e64 s1, s[24:25], v[49:50]
	s_and_b32 s2, vcc_lo, s2
	v_cmp_gt_u64_e32 vcc_lo, s[24:25], v[51:52]
	v_cndmask_b32_e64 v92, 0, 1, s0
	v_cmp_ne_u32_e64 s0, v11, v12
	v_cndmask_b32_e64 v91, 0, 1, s2
	v_cmp_ne_u32_e64 s2, v14, v11
	v_cmp_gt_u64_e64 s3, s[24:25], v[47:48]
	s_waitcnt lgkmcnt(0)
	s_and_b32 s0, vcc_lo, s0
	s_barrier
	v_cndmask_b32_e64 v93, 0, 1, s0
	s_and_b32 s0, s1, s2
	s_mov_b32 s1, 1
	v_cndmask_b32_e64 v94, 0, 1, s0
	s_and_b32 s0, s3, s4
	s_mov_b32 s2, exec_lo
	v_cndmask_b32_e64 v95, 0, 1, s0
	buffer_gl0_inv
                                        ; implicit-def: $sgpr0
	v_cmpx_ne_u32_e32 0, v0
	s_cbranch_execz .LBB884_254
; %bb.197:
	v_add_nc_u32_e32 v45, -4, v74
	s_or_b32 s30, s30, exec_lo
	ds_load_b32 v47, v45
	v_mul_u32_u24_e32 v45, 15, v0
	s_delay_alu instid0(VALU_DEP_1) | instskip(SKIP_2) | instid1(VALU_DEP_1)
	v_cmp_gt_u64_e32 vcc_lo, s[24:25], v[45:46]
	s_waitcnt lgkmcnt(0)
	v_cmp_ne_u32_e64 s0, v47, v13
	s_and_b32 s0, vcc_lo, s0
	s_delay_alu instid0(SALU_CYCLE_1)
	s_and_b32 s0, s0, exec_lo
	s_or_b32 exec_lo, exec_lo, s2
	v_mov_b32_e32 v96, s1
	s_and_saveexec_b32 s1, s30
	s_cbranch_execz .LBB884_74
	s_branch .LBB884_73
.LBB884_198:
	s_or_b32 exec_lo, exec_lo, s16
	s_and_saveexec_b32 s11, s13
	s_cbranch_execz .LBB884_172
.LBB884_199:
	v_sub_nc_u32_e32 v13, v32, v49
	s_delay_alu instid0(VALU_DEP_1)
	v_lshlrev_b32_e32 v13, 2, v13
	ds_store_b32 v13, v14
	s_or_b32 exec_lo, exec_lo, s11
	s_and_saveexec_b32 s11, s12
	s_cbranch_execnz .LBB884_173
.LBB884_200:
	s_or_b32 exec_lo, exec_lo, s11
	s_and_saveexec_b32 s11, s10
	s_cbranch_execz .LBB884_174
.LBB884_201:
	v_sub_nc_u32_e32 v11, v30, v49
	s_delay_alu instid0(VALU_DEP_1)
	v_lshlrev_b32_e32 v11, 2, v11
	ds_store_b32 v11, v12
	s_or_b32 exec_lo, exec_lo, s11
	s_and_saveexec_b32 s10, s9
	s_cbranch_execnz .LBB884_175
.LBB884_202:
	s_or_b32 exec_lo, exec_lo, s10
	s_and_saveexec_b32 s9, s8
	s_cbranch_execz .LBB884_176
.LBB884_203:
	v_sub_nc_u32_e32 v9, v28, v49
	s_delay_alu instid0(VALU_DEP_1)
	v_lshlrev_b32_e32 v9, 2, v9
	ds_store_b32 v9, v10
	s_or_b32 exec_lo, exec_lo, s9
	s_and_saveexec_b32 s8, s7
	s_cbranch_execnz .LBB884_177
.LBB884_204:
	s_or_b32 exec_lo, exec_lo, s8
	s_and_saveexec_b32 s7, s6
	s_cbranch_execz .LBB884_178
.LBB884_205:
	v_sub_nc_u32_e32 v7, v26, v49
	s_delay_alu instid0(VALU_DEP_1)
	v_lshlrev_b32_e32 v7, 2, v7
	ds_store_b32 v7, v8
	s_or_b32 exec_lo, exec_lo, s7
	s_and_saveexec_b32 s6, s5
	s_cbranch_execnz .LBB884_179
.LBB884_206:
	s_or_b32 exec_lo, exec_lo, s6
	s_and_saveexec_b32 s5, s4
	s_cbranch_execz .LBB884_180
.LBB884_207:
	v_sub_nc_u32_e32 v5, v24, v49
	s_delay_alu instid0(VALU_DEP_1)
	v_lshlrev_b32_e32 v5, 2, v5
	ds_store_b32 v5, v6
	s_or_b32 exec_lo, exec_lo, s5
	s_and_saveexec_b32 s4, s3
	s_cbranch_execnz .LBB884_181
.LBB884_208:
	s_or_b32 exec_lo, exec_lo, s4
	s_and_saveexec_b32 s3, s2
	s_cbranch_execz .LBB884_182
.LBB884_209:
	v_sub_nc_u32_e32 v3, v22, v49
	s_delay_alu instid0(VALU_DEP_1)
	v_lshlrev_b32_e32 v3, 2, v3
	ds_store_b32 v3, v4
	s_or_b32 exec_lo, exec_lo, s3
	s_and_saveexec_b32 s2, s1
	s_cbranch_execnz .LBB884_183
.LBB884_210:
	s_or_b32 exec_lo, exec_lo, s2
	s_and_saveexec_b32 s1, s0
	s_cbranch_execz .LBB884_212
.LBB884_211:
	v_sub_nc_u32_e32 v1, v20, v49
	s_delay_alu instid0(VALU_DEP_1)
	v_lshlrev_b32_e32 v1, 2, v1
	ds_store_b32 v1, v2
.LBB884_212:
	s_or_b32 exec_lo, exec_lo, s1
	s_delay_alu instid0(SALU_CYCLE_1)
	s_and_b32 s16, vcc_lo, exec_lo
                                        ; implicit-def: $vgpr13
                                        ; implicit-def: $vgpr11
                                        ; implicit-def: $vgpr9
                                        ; implicit-def: $vgpr7
                                        ; implicit-def: $vgpr5
                                        ; implicit-def: $vgpr3
                                        ; implicit-def: $vgpr1
	s_and_not1_saveexec_b32 s0, s14
	s_cbranch_execnz .LBB884_194
.LBB884_213:
	s_or_b32 exec_lo, exec_lo, s0
	s_delay_alu instid0(SALU_CYCLE_1)
	s_and_b32 exec_lo, exec_lo, s16
	s_cbranch_execz .LBB884_215
.LBB884_214:
	v_sub_nc_u32_e32 v1, v19, v49
	s_delay_alu instid0(VALU_DEP_1)
	v_lshlrev_b32_e32 v1, 2, v1
	ds_store_b32 v1, v81
.LBB884_215:
	s_or_b32 exec_lo, exec_lo, s15
	s_waitcnt vmcnt(0) lgkmcnt(0)
	s_barrier
	buffer_gl0_inv
.LBB884_216:
	v_add_co_u32 v1, vcc_lo, v79, v15
	s_cmpk_lg_i32 s26, 0xf00
	v_add_co_ci_u32_e32 v2, vcc_lo, v80, v16, vcc_lo
	s_cselect_b32 s0, -1, 0
	v_cmp_eq_u32_e32 vcc_lo, 0, v0
	s_and_b32 s0, s17, s0
	v_cndmask_b32_e64 v8, 0, 1, s27
	v_mad_i32_i24 v5, v0, -15, s26
	v_cndmask_b32_e64 v4, 0, 1, s0
	s_mul_hi_u32 s0, s26, 0x88888889
	s_and_b32 s1, vcc_lo, s27
	s_lshr_b32 s0, s0, 3
	v_sub_nc_u32_e32 v3, v45, v8
	v_cndmask_b32_e64 v6, v96, 0, s1
	v_cmp_eq_u32_e32 vcc_lo, s0, v0
	v_cmp_ne_u32_e64 s0, 0, v5
	s_delay_alu instid0(VALU_DEP_4) | instskip(SKIP_2) | instid1(VALU_DEP_2)
	v_dual_mov_b32 v50, 0 :: v_dual_add_nc_u32 v3, v3, v4
	s_mov_b32 s16, -1
	s_and_b32 vcc_lo, s17, vcc_lo
	v_cndmask_b32_e64 v4, 1, v6, s0
	v_cmp_ne_u32_e64 s0, 1, v5
	s_waitcnt vmcnt(0)
	s_barrier
	buffer_gl0_inv
	v_cndmask_b32_e32 v13, v6, v4, vcc_lo
	v_cndmask_b32_e64 v7, 1, v95, s0
	v_cmp_ne_u32_e64 s0, 2, v5
	s_delay_alu instid0(VALU_DEP_3) | instskip(NEXT) | instid1(VALU_DEP_2)
	v_cmp_ne_u32_e64 s14, 0, v13
	v_cndmask_b32_e64 v9, 1, v94, s0
	v_cmp_ne_u32_e64 s0, 14, v5
	s_delay_alu instid0(VALU_DEP_2) | instskip(NEXT) | instid1(VALU_DEP_2)
	v_dual_cndmask_b32 v14, v95, v7 :: v_dual_cndmask_b32 v9, v94, v9
	v_cndmask_b32_e64 v10, 1, v88, s0
	v_cmp_ne_u32_e64 s0, 3, v5
	s_delay_alu instid0(VALU_DEP_3) | instskip(NEXT) | instid1(VALU_DEP_4)
	v_cmp_ne_u32_e64 s13, 0, v14
	v_cmp_ne_u32_e64 s12, 0, v9
	s_delay_alu instid0(VALU_DEP_4) | instskip(NEXT) | instid1(VALU_DEP_4)
	v_cndmask_b32_e32 v10, v88, v10, vcc_lo
	v_cndmask_b32_e64 v11, 1, v93, s0
	v_cmp_ne_u32_e64 s0, 4, v5
	s_delay_alu instid0(VALU_DEP_1) | instskip(SKIP_1) | instid1(VALU_DEP_2)
	v_cndmask_b32_e64 v12, 1, v92, s0
	v_cmp_ne_u32_e64 s0, 5, v5
	v_dual_cndmask_b32 v11, v93, v11 :: v_dual_cndmask_b32 v12, v92, v12
	s_delay_alu instid0(VALU_DEP_2) | instskip(SKIP_1) | instid1(VALU_DEP_3)
	v_cndmask_b32_e64 v4, 1, v91, s0
	v_cmp_ne_u32_e64 s0, 6, v5
	v_cmp_ne_u32_e64 s11, 0, v11
	s_delay_alu instid0(VALU_DEP_4) | instskip(NEXT) | instid1(VALU_DEP_4)
	v_cmp_ne_u32_e64 s10, 0, v12
	v_cndmask_b32_e32 v36, v91, v4, vcc_lo
	s_delay_alu instid0(VALU_DEP_4) | instskip(SKIP_1) | instid1(VALU_DEP_2)
	v_cndmask_b32_e64 v6, 1, v90, s0
	v_cmp_eq_u32_e64 s0, 0, v13
	v_cndmask_b32_e32 v38, v90, v6, vcc_lo
	s_delay_alu instid0(VALU_DEP_2) | instskip(SKIP_1) | instid1(VALU_DEP_3)
	v_cndmask_b32_e64 v7, 1, 2, s0
	v_cmp_eq_u32_e64 s0, 0, v14
	v_cmp_ne_u32_e64 s8, 0, v38
	s_delay_alu instid0(VALU_DEP_2) | instskip(SKIP_1) | instid1(VALU_DEP_2)
	v_cndmask_b32_e64 v15, 1, 2, s0
	v_cmp_ne_u32_e64 s0, 7, v5
	v_and_b32_e32 v7, v15, v7
	s_delay_alu instid0(VALU_DEP_2) | instskip(SKIP_1) | instid1(VALU_DEP_2)
	v_cndmask_b32_e64 v16, 1, v89, s0
	v_cmp_eq_u32_e64 s0, 0, v9
	v_cndmask_b32_e32 v16, v89, v16, vcc_lo
	s_delay_alu instid0(VALU_DEP_2) | instskip(SKIP_1) | instid1(VALU_DEP_3)
	v_cndmask_b32_e64 v15, 1, 2, s0
	v_cmp_ne_u32_e64 s0, 8, v5
	v_cmp_ne_u32_e64 s7, 0, v16
	s_delay_alu instid0(VALU_DEP_3) | instskip(NEXT) | instid1(VALU_DEP_3)
	v_and_b32_e32 v7, v7, v15
	v_cndmask_b32_e64 v33, 1, v87, s0
	v_cmp_ne_u32_e64 s0, 9, v5
	s_delay_alu instid0(VALU_DEP_2) | instskip(NEXT) | instid1(VALU_DEP_2)
	v_cndmask_b32_e32 v33, v87, v33, vcc_lo
	v_cndmask_b32_e64 v34, 1, v86, s0
	v_cmp_eq_u32_e64 s0, 0, v11
	s_delay_alu instid0(VALU_DEP_3) | instskip(NEXT) | instid1(VALU_DEP_3)
	v_cmp_ne_u32_e64 s6, 0, v33
	v_cndmask_b32_e32 v34, v86, v34, vcc_lo
	s_delay_alu instid0(VALU_DEP_3) | instskip(SKIP_1) | instid1(VALU_DEP_3)
	v_cndmask_b32_e64 v15, 1, 2, s0
	v_cmp_ne_u32_e64 s0, 10, v5
	v_cmp_ne_u32_e64 s5, 0, v34
	s_delay_alu instid0(VALU_DEP_3) | instskip(NEXT) | instid1(VALU_DEP_3)
	v_and_b32_e32 v4, v7, v15
	v_cndmask_b32_e64 v35, 1, v85, s0
	v_cmp_eq_u32_e64 s0, 0, v12
	s_delay_alu instid0(VALU_DEP_1) | instskip(SKIP_1) | instid1(VALU_DEP_2)
	v_cndmask_b32_e64 v7, 1, 2, s0
	v_cmp_ne_u32_e64 s0, 11, v5
	v_and_b32_e32 v4, v4, v7
	s_delay_alu instid0(VALU_DEP_2) | instskip(SKIP_1) | instid1(VALU_DEP_2)
	v_cndmask_b32_e64 v15, 1, v84, s0
	v_cmp_ne_u32_e64 s0, 13, v5
	v_cndmask_b32_e32 v15, v84, v15, vcc_lo
	s_delay_alu instid0(VALU_DEP_2) | instskip(NEXT) | instid1(VALU_DEP_2)
	v_cndmask_b32_e64 v37, 1, v82, s0
	v_cmp_ne_u32_e64 s3, 0, v15
	s_delay_alu instid0(VALU_DEP_2) | instskip(SKIP_2) | instid1(VALU_DEP_3)
	v_cndmask_b32_e32 v37, v82, v37, vcc_lo
	v_cmp_eq_u32_e64 s0, 0, v36
	v_cmp_ne_u32_e64 s9, 0, v36
	v_cmp_ne_u32_e64 s1, 0, v37
	s_delay_alu instid0(VALU_DEP_3) | instskip(SKIP_1) | instid1(VALU_DEP_1)
	v_cndmask_b32_e64 v7, 1, 2, s0
	v_cmp_ne_u32_e64 s0, 12, v5
	v_cndmask_b32_e64 v5, 1, v83, s0
	v_cmp_eq_u32_e64 s0, 0, v38
	s_delay_alu instid0(VALU_DEP_2) | instskip(NEXT) | instid1(VALU_DEP_2)
	v_dual_cndmask_b32 v39, v83, v5 :: v_dual_and_b32 v4, v4, v7
	v_cndmask_b32_e64 v6, 1, 2, s0
	v_cmp_eq_u32_e64 s0, 0, v16
	v_cndmask_b32_e32 v35, v85, v35, vcc_lo
	v_cmp_eq_u32_e32 vcc_lo, 0, v33
	v_cmp_ne_u32_e64 s2, 0, v39
	v_and_b32_e32 v40, v4, v6
	v_lshlrev_b64 v[4:5], 3, v[17:18]
	v_cndmask_b32_e64 v41, 1, 2, s0
	v_lshlrev_b64 v[6:7], 3, v[49:50]
	v_cmp_ne_u32_e64 s4, 0, v35
	v_cmp_ne_u32_e64 s0, 0, v10
	s_delay_alu instid0(VALU_DEP_4) | instskip(SKIP_4) | instid1(VALU_DEP_4)
	v_and_b32_e32 v40, v40, v41
	v_cndmask_b32_e64 v41, 1, 2, vcc_lo
	v_add_co_u32 v4, vcc_lo, s20, v4
	v_add_co_ci_u32_e32 v5, vcc_lo, s21, v5, vcc_lo
	v_cmp_eq_u32_e32 vcc_lo, 0, v34
	v_and_b32_e32 v40, v40, v41
	v_cndmask_b32_e64 v41, 1, 2, vcc_lo
	v_add_co_u32 v4, vcc_lo, v4, v6
	v_add_co_ci_u32_e32 v5, vcc_lo, v5, v7, vcc_lo
	v_lshlrev_b32_e32 v6, 3, v8
	v_cmp_eq_u32_e32 vcc_lo, 0, v35
	v_and_b32_e32 v7, v40, v41
	v_add_nc_u32_e32 v8, v49, v8
	v_cndmask_b32_e64 v40, 1, 2, vcc_lo
	v_add_co_u32 v6, vcc_lo, v6, v4
	v_add_co_ci_u32_e32 v41, vcc_lo, 0, v5, vcc_lo
	v_cmp_eq_u32_e32 vcc_lo, 0, v15
	s_delay_alu instid0(VALU_DEP_4) | instskip(SKIP_4) | instid1(VALU_DEP_4)
	v_and_b32_e32 v40, v7, v40
	v_cndmask_b32_e64 v42, 1, 2, vcc_lo
	v_add_co_u32 v6, vcc_lo, v6, -8
	v_add_co_ci_u32_e32 v7, vcc_lo, -1, v41, vcc_lo
	v_cmp_eq_u32_e32 vcc_lo, 0, v39
	v_and_b32_e32 v40, v40, v42
	v_cndmask_b32_e64 v41, 1, 2, vcc_lo
	v_cmp_eq_u32_e32 vcc_lo, 0, v37
	s_delay_alu instid0(VALU_DEP_2) | instskip(SKIP_2) | instid1(VALU_DEP_2)
	v_and_b32_e32 v9, v40, v41
	v_cndmask_b32_e64 v11, 1, 2, vcc_lo
	v_cmp_eq_u32_e32 vcc_lo, 0, v10
	v_and_b32_e32 v9, v9, v11
	v_cndmask_b32_e64 v11, 1, 2, vcc_lo
	v_cmp_gt_u32_e32 vcc_lo, 0x100, v3
	s_delay_alu instid0(VALU_DEP_2) | instskip(NEXT) | instid1(VALU_DEP_1)
	v_and_b32_e32 v9, v9, v11
	v_cmp_gt_i16_e64 s15, 2, v9
	s_cbranch_vccz .LBB884_233
; %bb.217:
	s_delay_alu instid0(VALU_DEP_1)
	s_and_saveexec_b32 s16, s15
	s_cbranch_execz .LBB884_272
; %bb.218:
	s_mov_b32 s18, 0
	s_mov_b32 s15, exec_lo
	v_cmpx_ne_u16_e32 1, v9
	s_xor_b32 s15, exec_lo, s15
	s_cbranch_execz .LBB884_250
; %bb.219:
	s_and_saveexec_b32 s18, s14
	s_cbranch_execz .LBB884_255
; %bb.220:
	v_sub_nc_u32_e32 v10, v98, v8
	v_mov_b32_e32 v11, 0
	s_delay_alu instid0(VALU_DEP_1) | instskip(NEXT) | instid1(VALU_DEP_1)
	v_lshlrev_b64 v[10:11], 3, v[10:11]
	v_add_co_u32 v10, vcc_lo, v6, v10
	s_delay_alu instid0(VALU_DEP_2)
	v_add_co_ci_u32_e32 v11, vcc_lo, v7, v11, vcc_lo
	global_store_b64 v[10:11], v[61:62], off
	s_or_b32 exec_lo, exec_lo, s18
	s_and_saveexec_b32 s18, s13
	s_cbranch_execnz .LBB884_256
.LBB884_221:
	s_or_b32 exec_lo, exec_lo, s18
	s_and_saveexec_b32 s18, s12
	s_cbranch_execz .LBB884_257
.LBB884_222:
	v_sub_nc_u32_e32 v10, v31, v8
	v_mov_b32_e32 v11, 0
	s_delay_alu instid0(VALU_DEP_1) | instskip(NEXT) | instid1(VALU_DEP_1)
	v_lshlrev_b64 v[10:11], 3, v[10:11]
	v_add_co_u32 v10, vcc_lo, v6, v10
	s_delay_alu instid0(VALU_DEP_2)
	v_add_co_ci_u32_e32 v11, vcc_lo, v7, v11, vcc_lo
	global_store_b64 v[10:11], v[65:66], off
	s_or_b32 exec_lo, exec_lo, s18
	s_and_saveexec_b32 s18, s11
	s_cbranch_execnz .LBB884_258
.LBB884_223:
	s_or_b32 exec_lo, exec_lo, s18
	s_and_saveexec_b32 s18, s10
	s_cbranch_execz .LBB884_259
.LBB884_224:
	v_sub_nc_u32_e32 v10, v29, v8
	v_mov_b32_e32 v11, 0
	s_delay_alu instid0(VALU_DEP_1) | instskip(NEXT) | instid1(VALU_DEP_1)
	v_lshlrev_b64 v[10:11], 3, v[10:11]
	v_add_co_u32 v10, vcc_lo, v6, v10
	s_delay_alu instid0(VALU_DEP_2)
	v_add_co_ci_u32_e32 v11, vcc_lo, v7, v11, vcc_lo
	global_store_b64 v[10:11], v[51:52], off
	s_or_b32 exec_lo, exec_lo, s18
	s_and_saveexec_b32 s18, s9
	s_cbranch_execnz .LBB884_260
.LBB884_225:
	s_or_b32 exec_lo, exec_lo, s18
	s_and_saveexec_b32 s18, s8
	s_cbranch_execz .LBB884_261
.LBB884_226:
	v_sub_nc_u32_e32 v10, v27, v8
	v_mov_b32_e32 v11, 0
	s_delay_alu instid0(VALU_DEP_1) | instskip(NEXT) | instid1(VALU_DEP_1)
	v_lshlrev_b64 v[10:11], 3, v[10:11]
	v_add_co_u32 v10, vcc_lo, v6, v10
	s_delay_alu instid0(VALU_DEP_2)
	v_add_co_ci_u32_e32 v11, vcc_lo, v7, v11, vcc_lo
	global_store_b64 v[10:11], v[63:64], off
	s_or_b32 exec_lo, exec_lo, s18
	s_and_saveexec_b32 s18, s7
	s_cbranch_execnz .LBB884_262
.LBB884_227:
	s_or_b32 exec_lo, exec_lo, s18
	s_and_saveexec_b32 s18, s6
	s_cbranch_execz .LBB884_263
.LBB884_228:
	v_sub_nc_u32_e32 v10, v25, v8
	v_mov_b32_e32 v11, 0
	s_delay_alu instid0(VALU_DEP_1) | instskip(NEXT) | instid1(VALU_DEP_1)
	v_lshlrev_b64 v[10:11], 3, v[10:11]
	v_add_co_u32 v10, vcc_lo, v6, v10
	s_delay_alu instid0(VALU_DEP_2)
	v_add_co_ci_u32_e32 v11, vcc_lo, v7, v11, vcc_lo
	global_store_b64 v[10:11], v[71:72], off
	s_or_b32 exec_lo, exec_lo, s18
	s_and_saveexec_b32 s18, s5
	s_cbranch_execnz .LBB884_264
.LBB884_229:
	s_or_b32 exec_lo, exec_lo, s18
	s_and_saveexec_b32 s18, s4
	s_cbranch_execz .LBB884_265
.LBB884_230:
	v_sub_nc_u32_e32 v10, v23, v8
	v_mov_b32_e32 v11, 0
	s_delay_alu instid0(VALU_DEP_1) | instskip(NEXT) | instid1(VALU_DEP_1)
	v_lshlrev_b64 v[10:11], 3, v[10:11]
	v_add_co_u32 v10, vcc_lo, v6, v10
	s_delay_alu instid0(VALU_DEP_2)
	v_add_co_ci_u32_e32 v11, vcc_lo, v7, v11, vcc_lo
	global_store_b64 v[10:11], v[57:58], off
	s_or_b32 exec_lo, exec_lo, s18
	s_and_saveexec_b32 s18, s3
	s_cbranch_execnz .LBB884_266
.LBB884_231:
	s_or_b32 exec_lo, exec_lo, s18
	s_and_saveexec_b32 s18, s2
	s_cbranch_execz .LBB884_267
.LBB884_232:
	v_sub_nc_u32_e32 v10, v21, v8
	v_mov_b32_e32 v11, 0
	s_delay_alu instid0(VALU_DEP_1) | instskip(NEXT) | instid1(VALU_DEP_1)
	v_lshlrev_b64 v[10:11], 3, v[10:11]
	v_add_co_u32 v10, vcc_lo, v6, v10
	s_delay_alu instid0(VALU_DEP_2)
	v_add_co_ci_u32_e32 v11, vcc_lo, v7, v11, vcc_lo
	global_store_b64 v[10:11], v[77:78], off
	s_or_b32 exec_lo, exec_lo, s18
	s_and_saveexec_b32 s18, s1
	s_cbranch_execnz .LBB884_268
	s_branch .LBB884_269
.LBB884_233:
	s_and_b32 vcc_lo, exec_lo, s16
	s_cbranch_vccz .LBB884_273
; %bb.234:
	s_mov_b32 s15, exec_lo
	v_cmpx_gt_i16_e32 2, v9
	s_cbranch_execz .LBB884_291
; %bb.235:
	s_mov_b32 s18, 0
	s_mov_b32 s16, exec_lo
	v_cmpx_ne_u16_e32 1, v9
	s_xor_b32 s16, exec_lo, s16
	s_cbranch_execz .LBB884_252
; %bb.236:
	s_and_saveexec_b32 s18, s14
	s_cbranch_execz .LBB884_274
; %bb.237:
	v_sub_nc_u32_e32 v9, v98, v8
	s_delay_alu instid0(VALU_DEP_1)
	v_lshlrev_b32_e32 v9, 3, v9
	ds_store_b64 v9, v[61:62]
	s_or_b32 exec_lo, exec_lo, s18
	s_and_saveexec_b32 s14, s13
	s_cbranch_execnz .LBB884_275
.LBB884_238:
	s_or_b32 exec_lo, exec_lo, s14
	s_and_saveexec_b32 s13, s12
	s_cbranch_execz .LBB884_276
.LBB884_239:
	v_sub_nc_u32_e32 v9, v31, v8
	s_delay_alu instid0(VALU_DEP_1)
	v_lshlrev_b32_e32 v9, 3, v9
	ds_store_b64 v9, v[65:66]
	s_or_b32 exec_lo, exec_lo, s13
	s_and_saveexec_b32 s12, s11
	s_cbranch_execnz .LBB884_277
.LBB884_240:
	s_or_b32 exec_lo, exec_lo, s12
	s_and_saveexec_b32 s11, s10
	s_cbranch_execz .LBB884_278
.LBB884_241:
	v_sub_nc_u32_e32 v9, v29, v8
	s_delay_alu instid0(VALU_DEP_1)
	v_lshlrev_b32_e32 v9, 3, v9
	ds_store_b64 v9, v[51:52]
	s_or_b32 exec_lo, exec_lo, s11
	s_and_saveexec_b32 s10, s9
	s_cbranch_execnz .LBB884_279
.LBB884_242:
	s_or_b32 exec_lo, exec_lo, s10
	s_and_saveexec_b32 s9, s8
	s_cbranch_execz .LBB884_280
.LBB884_243:
	v_sub_nc_u32_e32 v9, v27, v8
	s_delay_alu instid0(VALU_DEP_1)
	v_lshlrev_b32_e32 v9, 3, v9
	ds_store_b64 v9, v[63:64]
	s_or_b32 exec_lo, exec_lo, s9
	s_and_saveexec_b32 s8, s7
	s_cbranch_execnz .LBB884_281
.LBB884_244:
	s_or_b32 exec_lo, exec_lo, s8
	s_and_saveexec_b32 s7, s6
	s_cbranch_execz .LBB884_282
.LBB884_245:
	v_sub_nc_u32_e32 v9, v25, v8
	s_delay_alu instid0(VALU_DEP_1)
	v_lshlrev_b32_e32 v9, 3, v9
	ds_store_b64 v9, v[71:72]
	s_or_b32 exec_lo, exec_lo, s7
	s_and_saveexec_b32 s6, s5
	s_cbranch_execnz .LBB884_283
.LBB884_246:
	s_or_b32 exec_lo, exec_lo, s6
	s_and_saveexec_b32 s5, s4
	s_cbranch_execz .LBB884_284
.LBB884_247:
	v_sub_nc_u32_e32 v9, v23, v8
	s_delay_alu instid0(VALU_DEP_1)
	v_lshlrev_b32_e32 v9, 3, v9
	ds_store_b64 v9, v[57:58]
	s_or_b32 exec_lo, exec_lo, s5
	s_and_saveexec_b32 s4, s3
	s_cbranch_execnz .LBB884_285
.LBB884_248:
	s_or_b32 exec_lo, exec_lo, s4
	s_and_saveexec_b32 s3, s2
	s_cbranch_execz .LBB884_286
.LBB884_249:
	v_sub_nc_u32_e32 v9, v21, v8
	s_delay_alu instid0(VALU_DEP_1)
	v_lshlrev_b32_e32 v9, 3, v9
	ds_store_b64 v9, v[77:78]
	s_or_b32 exec_lo, exec_lo, s3
	s_and_saveexec_b32 s2, s1
	s_cbranch_execnz .LBB884_287
	s_branch .LBB884_288
.LBB884_250:
	s_and_not1_saveexec_b32 s15, s15
	s_cbranch_execz .LBB884_270
.LBB884_251:
	v_sub_nc_u32_e32 v10, v98, v8
	v_mov_b32_e32 v11, 0
	s_or_b32 s18, s18, exec_lo
	s_delay_alu instid0(VALU_DEP_1) | instskip(SKIP_1) | instid1(VALU_DEP_1)
	v_lshlrev_b64 v[12:13], 3, v[10:11]
	v_sub_nc_u32_e32 v10, v32, v8
	v_lshlrev_b64 v[14:15], 3, v[10:11]
	v_sub_nc_u32_e32 v10, v31, v8
	s_delay_alu instid0(VALU_DEP_4) | instskip(SKIP_1) | instid1(VALU_DEP_3)
	v_add_co_u32 v12, vcc_lo, v6, v12
	v_add_co_ci_u32_e32 v13, vcc_lo, v7, v13, vcc_lo
	v_lshlrev_b64 v[33:34], 3, v[10:11]
	v_sub_nc_u32_e32 v10, v30, v8
	v_add_co_u32 v14, vcc_lo, v6, v14
	v_add_co_ci_u32_e32 v15, vcc_lo, v7, v15, vcc_lo
	global_store_b64 v[12:13], v[61:62], off
	v_lshlrev_b64 v[12:13], 3, v[10:11]
	v_sub_nc_u32_e32 v10, v29, v8
	global_store_b64 v[14:15], v[59:60], off
	v_add_co_u32 v14, vcc_lo, v6, v33
	v_add_co_ci_u32_e32 v15, vcc_lo, v7, v34, vcc_lo
	v_lshlrev_b64 v[33:34], 3, v[10:11]
	v_sub_nc_u32_e32 v10, v28, v8
	v_add_co_u32 v12, vcc_lo, v6, v12
	v_add_co_ci_u32_e32 v13, vcc_lo, v7, v13, vcc_lo
	s_delay_alu instid0(VALU_DEP_3) | instskip(SKIP_3) | instid1(VALU_DEP_3)
	v_lshlrev_b64 v[35:36], 3, v[10:11]
	v_sub_nc_u32_e32 v10, v27, v8
	v_add_co_u32 v33, vcc_lo, v6, v33
	v_add_co_ci_u32_e32 v34, vcc_lo, v7, v34, vcc_lo
	v_lshlrev_b64 v[37:38], 3, v[10:11]
	v_sub_nc_u32_e32 v10, v26, v8
	v_add_co_u32 v35, vcc_lo, v6, v35
	v_add_co_ci_u32_e32 v36, vcc_lo, v7, v36, vcc_lo
	s_clause 0x3
	global_store_b64 v[14:15], v[65:66], off
	global_store_b64 v[12:13], v[69:70], off
	;; [unrolled: 1-line block ×4, first 2 shown]
	v_lshlrev_b64 v[12:13], 3, v[10:11]
	v_sub_nc_u32_e32 v10, v25, v8
	v_add_co_u32 v14, vcc_lo, v6, v37
	v_add_co_ci_u32_e32 v15, vcc_lo, v7, v38, vcc_lo
	s_delay_alu instid0(VALU_DEP_3) | instskip(SKIP_3) | instid1(VALU_DEP_3)
	v_lshlrev_b64 v[33:34], 3, v[10:11]
	v_sub_nc_u32_e32 v10, v24, v8
	v_add_co_u32 v12, vcc_lo, v6, v12
	v_add_co_ci_u32_e32 v13, vcc_lo, v7, v13, vcc_lo
	v_lshlrev_b64 v[35:36], 3, v[10:11]
	v_sub_nc_u32_e32 v10, v23, v8
	v_add_co_u32 v33, vcc_lo, v6, v33
	v_add_co_ci_u32_e32 v34, vcc_lo, v7, v34, vcc_lo
	s_delay_alu instid0(VALU_DEP_3)
	v_lshlrev_b64 v[37:38], 3, v[10:11]
	v_sub_nc_u32_e32 v10, v22, v8
	v_add_co_u32 v35, vcc_lo, v6, v35
	v_add_co_ci_u32_e32 v36, vcc_lo, v7, v36, vcc_lo
	s_clause 0x3
	global_store_b64 v[14:15], v[63:64], off
	global_store_b64 v[12:13], v[67:68], off
	global_store_b64 v[33:34], v[71:72], off
	global_store_b64 v[35:36], v[53:54], off
	v_lshlrev_b64 v[12:13], 3, v[10:11]
	v_sub_nc_u32_e32 v10, v21, v8
	v_add_co_u32 v14, vcc_lo, v6, v37
	v_add_co_ci_u32_e32 v15, vcc_lo, v7, v38, vcc_lo
	s_delay_alu instid0(VALU_DEP_3) | instskip(SKIP_3) | instid1(VALU_DEP_3)
	v_lshlrev_b64 v[33:34], 3, v[10:11]
	v_sub_nc_u32_e32 v10, v20, v8
	v_add_co_u32 v12, vcc_lo, v6, v12
	v_add_co_ci_u32_e32 v13, vcc_lo, v7, v13, vcc_lo
	v_lshlrev_b64 v[10:11], 3, v[10:11]
	v_add_co_u32 v33, vcc_lo, v6, v33
	v_add_co_ci_u32_e32 v34, vcc_lo, v7, v34, vcc_lo
	s_clause 0x2
	global_store_b64 v[14:15], v[57:58], off
	global_store_b64 v[12:13], v[73:74], off
	;; [unrolled: 1-line block ×3, first 2 shown]
	v_add_co_u32 v10, vcc_lo, v6, v10
	v_add_co_ci_u32_e32 v11, vcc_lo, v7, v11, vcc_lo
	global_store_b64 v[10:11], v[75:76], off
	s_or_b32 exec_lo, exec_lo, s15
	s_delay_alu instid0(SALU_CYCLE_1)
	s_and_b32 exec_lo, exec_lo, s18
	s_cbranch_execnz .LBB884_271
	s_branch .LBB884_272
.LBB884_252:
	s_and_not1_saveexec_b32 s0, s16
	s_cbranch_execz .LBB884_289
.LBB884_253:
	v_sub_nc_u32_e32 v9, v98, v8
	v_sub_nc_u32_e32 v10, v32, v8
	;; [unrolled: 1-line block ×5, first 2 shown]
	v_lshlrev_b32_e32 v9, 3, v9
	v_lshlrev_b32_e32 v10, 3, v10
	;; [unrolled: 1-line block ×4, first 2 shown]
	s_or_b32 s18, s18, exec_lo
	ds_store_b64 v9, v[61:62]
	ds_store_b64 v10, v[59:60]
	;; [unrolled: 1-line block ×3, first 2 shown]
	v_sub_nc_u32_e32 v9, v29, v8
	v_sub_nc_u32_e32 v10, v28, v8
	;; [unrolled: 1-line block ×3, first 2 shown]
	ds_store_b64 v12, v[69:70]
	v_sub_nc_u32_e32 v12, v26, v8
	v_lshlrev_b32_e32 v9, 3, v9
	v_lshlrev_b32_e32 v10, 3, v10
	;; [unrolled: 1-line block ×3, first 2 shown]
	s_delay_alu instid0(VALU_DEP_4)
	v_lshlrev_b32_e32 v12, 3, v12
	ds_store_b64 v9, v[51:52]
	v_lshlrev_b32_e32 v9, 3, v13
	ds_store_b64 v10, v[55:56]
	ds_store_b64 v11, v[63:64]
	;; [unrolled: 1-line block ×3, first 2 shown]
	v_sub_nc_u32_e32 v10, v24, v8
	v_sub_nc_u32_e32 v13, v20, v8
	;; [unrolled: 1-line block ×3, first 2 shown]
	ds_store_b64 v9, v[71:72]
	v_sub_nc_u32_e32 v9, v23, v8
	v_lshlrev_b32_e32 v10, 3, v10
	v_sub_nc_u32_e32 v12, v21, v8
	v_lshlrev_b32_e32 v11, 3, v11
	s_delay_alu instid0(VALU_DEP_4)
	v_lshlrev_b32_e32 v9, 3, v9
	ds_store_b64 v10, v[53:54]
	v_lshlrev_b32_e32 v10, 3, v13
	v_lshlrev_b32_e32 v12, 3, v12
	ds_store_b64 v9, v[57:58]
	ds_store_b64 v11, v[73:74]
	ds_store_b64 v12, v[77:78]
	ds_store_b64 v10, v[75:76]
	s_or_b32 exec_lo, exec_lo, s0
	s_delay_alu instid0(SALU_CYCLE_1)
	s_and_b32 exec_lo, exec_lo, s18
	s_cbranch_execnz .LBB884_290
	s_branch .LBB884_291
.LBB884_254:
	s_or_b32 exec_lo, exec_lo, s2
	v_mov_b32_e32 v96, s1
	s_and_saveexec_b32 s1, s30
	s_cbranch_execnz .LBB884_73
	s_branch .LBB884_74
.LBB884_255:
	s_or_b32 exec_lo, exec_lo, s18
	s_and_saveexec_b32 s18, s13
	s_cbranch_execz .LBB884_221
.LBB884_256:
	v_sub_nc_u32_e32 v10, v32, v8
	v_mov_b32_e32 v11, 0
	s_delay_alu instid0(VALU_DEP_1) | instskip(NEXT) | instid1(VALU_DEP_1)
	v_lshlrev_b64 v[10:11], 3, v[10:11]
	v_add_co_u32 v10, vcc_lo, v6, v10
	s_delay_alu instid0(VALU_DEP_2)
	v_add_co_ci_u32_e32 v11, vcc_lo, v7, v11, vcc_lo
	global_store_b64 v[10:11], v[59:60], off
	s_or_b32 exec_lo, exec_lo, s18
	s_and_saveexec_b32 s18, s12
	s_cbranch_execnz .LBB884_222
.LBB884_257:
	s_or_b32 exec_lo, exec_lo, s18
	s_and_saveexec_b32 s18, s11
	s_cbranch_execz .LBB884_223
.LBB884_258:
	v_sub_nc_u32_e32 v10, v30, v8
	v_mov_b32_e32 v11, 0
	s_delay_alu instid0(VALU_DEP_1) | instskip(NEXT) | instid1(VALU_DEP_1)
	v_lshlrev_b64 v[10:11], 3, v[10:11]
	v_add_co_u32 v10, vcc_lo, v6, v10
	s_delay_alu instid0(VALU_DEP_2)
	v_add_co_ci_u32_e32 v11, vcc_lo, v7, v11, vcc_lo
	global_store_b64 v[10:11], v[69:70], off
	s_or_b32 exec_lo, exec_lo, s18
	s_and_saveexec_b32 s18, s10
	s_cbranch_execnz .LBB884_224
.LBB884_259:
	s_or_b32 exec_lo, exec_lo, s18
	s_and_saveexec_b32 s18, s9
	s_cbranch_execz .LBB884_225
.LBB884_260:
	v_sub_nc_u32_e32 v10, v28, v8
	v_mov_b32_e32 v11, 0
	s_delay_alu instid0(VALU_DEP_1) | instskip(NEXT) | instid1(VALU_DEP_1)
	v_lshlrev_b64 v[10:11], 3, v[10:11]
	v_add_co_u32 v10, vcc_lo, v6, v10
	s_delay_alu instid0(VALU_DEP_2)
	v_add_co_ci_u32_e32 v11, vcc_lo, v7, v11, vcc_lo
	global_store_b64 v[10:11], v[55:56], off
	s_or_b32 exec_lo, exec_lo, s18
	s_and_saveexec_b32 s18, s8
	s_cbranch_execnz .LBB884_226
.LBB884_261:
	s_or_b32 exec_lo, exec_lo, s18
	s_and_saveexec_b32 s18, s7
	s_cbranch_execz .LBB884_227
.LBB884_262:
	v_sub_nc_u32_e32 v10, v26, v8
	v_mov_b32_e32 v11, 0
	s_delay_alu instid0(VALU_DEP_1) | instskip(NEXT) | instid1(VALU_DEP_1)
	v_lshlrev_b64 v[10:11], 3, v[10:11]
	v_add_co_u32 v10, vcc_lo, v6, v10
	s_delay_alu instid0(VALU_DEP_2)
	v_add_co_ci_u32_e32 v11, vcc_lo, v7, v11, vcc_lo
	global_store_b64 v[10:11], v[67:68], off
	s_or_b32 exec_lo, exec_lo, s18
	s_and_saveexec_b32 s18, s6
	s_cbranch_execnz .LBB884_228
.LBB884_263:
	s_or_b32 exec_lo, exec_lo, s18
	s_and_saveexec_b32 s18, s5
	s_cbranch_execz .LBB884_229
.LBB884_264:
	v_sub_nc_u32_e32 v10, v24, v8
	v_mov_b32_e32 v11, 0
	s_delay_alu instid0(VALU_DEP_1) | instskip(NEXT) | instid1(VALU_DEP_1)
	v_lshlrev_b64 v[10:11], 3, v[10:11]
	v_add_co_u32 v10, vcc_lo, v6, v10
	s_delay_alu instid0(VALU_DEP_2)
	v_add_co_ci_u32_e32 v11, vcc_lo, v7, v11, vcc_lo
	global_store_b64 v[10:11], v[53:54], off
	s_or_b32 exec_lo, exec_lo, s18
	s_and_saveexec_b32 s18, s4
	s_cbranch_execnz .LBB884_230
.LBB884_265:
	s_or_b32 exec_lo, exec_lo, s18
	s_and_saveexec_b32 s18, s3
	s_cbranch_execz .LBB884_231
.LBB884_266:
	v_sub_nc_u32_e32 v10, v22, v8
	v_mov_b32_e32 v11, 0
	s_delay_alu instid0(VALU_DEP_1) | instskip(NEXT) | instid1(VALU_DEP_1)
	v_lshlrev_b64 v[10:11], 3, v[10:11]
	v_add_co_u32 v10, vcc_lo, v6, v10
	s_delay_alu instid0(VALU_DEP_2)
	v_add_co_ci_u32_e32 v11, vcc_lo, v7, v11, vcc_lo
	global_store_b64 v[10:11], v[73:74], off
	s_or_b32 exec_lo, exec_lo, s18
	s_and_saveexec_b32 s18, s2
	s_cbranch_execnz .LBB884_232
.LBB884_267:
	s_or_b32 exec_lo, exec_lo, s18
	s_and_saveexec_b32 s18, s1
	s_cbranch_execz .LBB884_269
.LBB884_268:
	v_sub_nc_u32_e32 v10, v20, v8
	v_mov_b32_e32 v11, 0
	s_delay_alu instid0(VALU_DEP_1) | instskip(NEXT) | instid1(VALU_DEP_1)
	v_lshlrev_b64 v[10:11], 3, v[10:11]
	v_add_co_u32 v10, vcc_lo, v6, v10
	s_delay_alu instid0(VALU_DEP_2)
	v_add_co_ci_u32_e32 v11, vcc_lo, v7, v11, vcc_lo
	global_store_b64 v[10:11], v[75:76], off
.LBB884_269:
	s_or_b32 exec_lo, exec_lo, s18
	s_delay_alu instid0(SALU_CYCLE_1)
	s_and_b32 s18, s0, exec_lo
	s_and_not1_saveexec_b32 s15, s15
	s_cbranch_execnz .LBB884_251
.LBB884_270:
	s_or_b32 exec_lo, exec_lo, s15
	s_delay_alu instid0(SALU_CYCLE_1)
	s_and_b32 exec_lo, exec_lo, s18
	s_cbranch_execz .LBB884_272
.LBB884_271:
	v_sub_nc_u32_e32 v10, v19, v8
	v_mov_b32_e32 v11, 0
	s_delay_alu instid0(VALU_DEP_1) | instskip(NEXT) | instid1(VALU_DEP_1)
	v_lshlrev_b64 v[10:11], 3, v[10:11]
	v_add_co_u32 v10, vcc_lo, v6, v10
	s_delay_alu instid0(VALU_DEP_2)
	v_add_co_ci_u32_e32 v11, vcc_lo, v7, v11, vcc_lo
	global_store_b64 v[10:11], v[1:2], off
.LBB884_272:
	s_or_b32 exec_lo, exec_lo, s16
.LBB884_273:
	v_cmp_eq_u32_e32 vcc_lo, 0xff, v0
	s_and_b32 s0, vcc_lo, s17
	s_delay_alu instid0(SALU_CYCLE_1)
	s_and_saveexec_b32 s1, s0
	s_cbranch_execnz .LBB884_295
	s_branch .LBB884_297
.LBB884_274:
	s_or_b32 exec_lo, exec_lo, s18
	s_and_saveexec_b32 s14, s13
	s_cbranch_execz .LBB884_238
.LBB884_275:
	v_sub_nc_u32_e32 v9, v32, v8
	s_delay_alu instid0(VALU_DEP_1)
	v_lshlrev_b32_e32 v9, 3, v9
	ds_store_b64 v9, v[59:60]
	s_or_b32 exec_lo, exec_lo, s14
	s_and_saveexec_b32 s13, s12
	s_cbranch_execnz .LBB884_239
.LBB884_276:
	s_or_b32 exec_lo, exec_lo, s13
	s_and_saveexec_b32 s12, s11
	s_cbranch_execz .LBB884_240
.LBB884_277:
	v_sub_nc_u32_e32 v9, v30, v8
	s_delay_alu instid0(VALU_DEP_1)
	v_lshlrev_b32_e32 v9, 3, v9
	ds_store_b64 v9, v[69:70]
	s_or_b32 exec_lo, exec_lo, s12
	s_and_saveexec_b32 s11, s10
	s_cbranch_execnz .LBB884_241
.LBB884_278:
	s_or_b32 exec_lo, exec_lo, s11
	s_and_saveexec_b32 s10, s9
	s_cbranch_execz .LBB884_242
.LBB884_279:
	v_sub_nc_u32_e32 v9, v28, v8
	s_delay_alu instid0(VALU_DEP_1)
	v_lshlrev_b32_e32 v9, 3, v9
	ds_store_b64 v9, v[55:56]
	s_or_b32 exec_lo, exec_lo, s10
	s_and_saveexec_b32 s9, s8
	s_cbranch_execnz .LBB884_243
.LBB884_280:
	s_or_b32 exec_lo, exec_lo, s9
	s_and_saveexec_b32 s8, s7
	s_cbranch_execz .LBB884_244
.LBB884_281:
	v_sub_nc_u32_e32 v9, v26, v8
	s_delay_alu instid0(VALU_DEP_1)
	v_lshlrev_b32_e32 v9, 3, v9
	ds_store_b64 v9, v[67:68]
	s_or_b32 exec_lo, exec_lo, s8
	s_and_saveexec_b32 s7, s6
	s_cbranch_execnz .LBB884_245
.LBB884_282:
	s_or_b32 exec_lo, exec_lo, s7
	s_and_saveexec_b32 s6, s5
	s_cbranch_execz .LBB884_246
.LBB884_283:
	v_sub_nc_u32_e32 v9, v24, v8
	s_delay_alu instid0(VALU_DEP_1)
	v_lshlrev_b32_e32 v9, 3, v9
	ds_store_b64 v9, v[53:54]
	s_or_b32 exec_lo, exec_lo, s6
	s_and_saveexec_b32 s5, s4
	s_cbranch_execnz .LBB884_247
.LBB884_284:
	s_or_b32 exec_lo, exec_lo, s5
	s_and_saveexec_b32 s4, s3
	s_cbranch_execz .LBB884_248
.LBB884_285:
	v_sub_nc_u32_e32 v9, v22, v8
	s_delay_alu instid0(VALU_DEP_1)
	v_lshlrev_b32_e32 v9, 3, v9
	ds_store_b64 v9, v[73:74]
	s_or_b32 exec_lo, exec_lo, s4
	s_and_saveexec_b32 s3, s2
	s_cbranch_execnz .LBB884_249
.LBB884_286:
	s_or_b32 exec_lo, exec_lo, s3
	s_and_saveexec_b32 s2, s1
	s_cbranch_execz .LBB884_288
.LBB884_287:
	v_sub_nc_u32_e32 v9, v20, v8
	s_delay_alu instid0(VALU_DEP_1)
	v_lshlrev_b32_e32 v9, 3, v9
	ds_store_b64 v9, v[75:76]
.LBB884_288:
	s_or_b32 exec_lo, exec_lo, s2
	s_delay_alu instid0(SALU_CYCLE_1)
	s_and_b32 s18, s0, exec_lo
                                        ; implicit-def: $vgpr61_vgpr62
                                        ; implicit-def: $vgpr59_vgpr60
                                        ; implicit-def: $vgpr65_vgpr66
                                        ; implicit-def: $vgpr69_vgpr70
                                        ; implicit-def: $vgpr51_vgpr52
                                        ; implicit-def: $vgpr55_vgpr56
                                        ; implicit-def: $vgpr63_vgpr64
                                        ; implicit-def: $vgpr67_vgpr68
                                        ; implicit-def: $vgpr71_vgpr72
                                        ; implicit-def: $vgpr53_vgpr54
                                        ; implicit-def: $vgpr57_vgpr58
                                        ; implicit-def: $vgpr73_vgpr74
                                        ; implicit-def: $vgpr77_vgpr78
                                        ; implicit-def: $vgpr75_vgpr76
                                        ; implicit-def: $vgpr98
                                        ; implicit-def: $vgpr32
                                        ; implicit-def: $vgpr31
                                        ; implicit-def: $vgpr30
                                        ; implicit-def: $vgpr29
                                        ; implicit-def: $vgpr28
                                        ; implicit-def: $vgpr27
                                        ; implicit-def: $vgpr26
                                        ; implicit-def: $vgpr25
                                        ; implicit-def: $vgpr24
                                        ; implicit-def: $vgpr23
                                        ; implicit-def: $vgpr22
                                        ; implicit-def: $vgpr21
                                        ; implicit-def: $vgpr20
	s_and_not1_saveexec_b32 s0, s16
	s_cbranch_execnz .LBB884_253
.LBB884_289:
	s_or_b32 exec_lo, exec_lo, s0
	s_delay_alu instid0(SALU_CYCLE_1)
	s_and_b32 exec_lo, exec_lo, s18
	s_cbranch_execz .LBB884_291
.LBB884_290:
	v_sub_nc_u32_e32 v8, v19, v8
	s_delay_alu instid0(VALU_DEP_1)
	v_lshlrev_b32_e32 v8, 3, v8
	ds_store_b64 v8, v[1:2]
.LBB884_291:
	s_or_b32 exec_lo, exec_lo, s15
	s_delay_alu instid0(SALU_CYCLE_1)
	s_mov_b32 s1, exec_lo
	s_waitcnt lgkmcnt(0)
	s_waitcnt_vscnt null, 0x0
	s_barrier
	buffer_gl0_inv
	v_cmpx_lt_u32_e64 v0, v3
	s_cbranch_execz .LBB884_294
; %bb.292:
	v_dual_mov_b32 v1, v0 :: v_dual_lshlrev_b32 v8, 3, v0
	v_mov_b32_e32 v2, 0
	s_mov_b32 s2, 0
	.p2align	6
.LBB884_293:                            ; =>This Inner Loop Header: Depth=1
	ds_load_b64 v[9:10], v8
	v_lshlrev_b64 v[11:12], 3, v[1:2]
	v_add_nc_u32_e32 v1, 0x100, v1
	v_add_nc_u32_e32 v8, 0x800, v8
	s_delay_alu instid0(VALU_DEP_2) | instskip(NEXT) | instid1(VALU_DEP_4)
	v_cmp_ge_u32_e32 vcc_lo, v1, v3
	v_add_co_u32 v11, s0, v6, v11
	s_delay_alu instid0(VALU_DEP_1)
	v_add_co_ci_u32_e64 v12, s0, v7, v12, s0
	s_or_b32 s2, vcc_lo, s2
	s_waitcnt lgkmcnt(0)
	global_store_b64 v[11:12], v[9:10], off
	s_and_not1_b32 exec_lo, exec_lo, s2
	s_cbranch_execnz .LBB884_293
.LBB884_294:
	s_or_b32 exec_lo, exec_lo, s1
	v_cmp_eq_u32_e32 vcc_lo, 0xff, v0
	s_and_b32 s0, vcc_lo, s17
	s_delay_alu instid0(SALU_CYCLE_1)
	s_and_saveexec_b32 s1, s0
	s_cbranch_execz .LBB884_297
.LBB884_295:
	v_add_co_u32 v0, s0, v45, v49
	s_delay_alu instid0(VALU_DEP_1) | instskip(SKIP_1) | instid1(VALU_DEP_3)
	v_add_co_ci_u32_e64 v1, null, 0, 0, s0
	v_mov_b32_e32 v46, 0
	v_add_co_u32 v0, vcc_lo, v0, v17
	s_delay_alu instid0(VALU_DEP_3)
	v_add_co_ci_u32_e32 v1, vcc_lo, v1, v18, vcc_lo
	s_cmpk_lg_i32 s26, 0xf00
	global_store_b64 v46, v[0:1], s[22:23]
	s_cbranch_scc1 .LBB884_297
; %bb.296:
	v_lshlrev_b64 v[0:1], 3, v[45:46]
	s_delay_alu instid0(VALU_DEP_1) | instskip(NEXT) | instid1(VALU_DEP_2)
	v_add_co_u32 v0, vcc_lo, v4, v0
	v_add_co_ci_u32_e32 v1, vcc_lo, v5, v1, vcc_lo
	global_store_b64 v[0:1], v[47:48], off offset:-8
	s_nop 0
	s_sendmsg sendmsg(MSG_DEALLOC_VGPRS)
	s_endpgm
.LBB884_297:
	s_nop 0
	s_sendmsg sendmsg(MSG_DEALLOC_VGPRS)
	s_endpgm
	.section	.rodata,"a",@progbits
	.p2align	6, 0x0
	.amdhsa_kernel _ZN7rocprim17ROCPRIM_400000_NS6detail17trampoline_kernelINS0_14default_configENS1_29reduce_by_key_config_selectorIjyN6thrust23THRUST_200600_302600_NS4plusIyEEEEZZNS1_33reduce_by_key_impl_wrapped_configILNS1_25lookback_scan_determinismE0ES3_S9_NS6_6detail15normal_iteratorINS6_10device_ptrIjEEEENSD_INSE_IyEEEENS6_16discard_iteratorINS6_11use_defaultEEESI_PmS8_NS6_8equal_toIjEEEE10hipError_tPvRmT2_T3_mT4_T5_T6_T7_T8_P12ihipStream_tbENKUlT_T0_E_clISt17integral_constantIbLb0EES16_EEDaS11_S12_EUlS11_E_NS1_11comp_targetILNS1_3genE9ELNS1_11target_archE1100ELNS1_3gpuE3ELNS1_3repE0EEENS1_30default_config_static_selectorELNS0_4arch9wavefront6targetE0EEEvT1_
		.amdhsa_group_segment_fixed_size 30720
		.amdhsa_private_segment_fixed_size 0
		.amdhsa_kernarg_size 144
		.amdhsa_user_sgpr_count 15
		.amdhsa_user_sgpr_dispatch_ptr 0
		.amdhsa_user_sgpr_queue_ptr 0
		.amdhsa_user_sgpr_kernarg_segment_ptr 1
		.amdhsa_user_sgpr_dispatch_id 0
		.amdhsa_user_sgpr_private_segment_size 0
		.amdhsa_wavefront_size32 1
		.amdhsa_uses_dynamic_stack 0
		.amdhsa_enable_private_segment 0
		.amdhsa_system_sgpr_workgroup_id_x 1
		.amdhsa_system_sgpr_workgroup_id_y 0
		.amdhsa_system_sgpr_workgroup_id_z 0
		.amdhsa_system_sgpr_workgroup_info 0
		.amdhsa_system_vgpr_workitem_id 0
		.amdhsa_next_free_vgpr 103
		.amdhsa_next_free_sgpr 52
		.amdhsa_reserve_vcc 1
		.amdhsa_float_round_mode_32 0
		.amdhsa_float_round_mode_16_64 0
		.amdhsa_float_denorm_mode_32 3
		.amdhsa_float_denorm_mode_16_64 3
		.amdhsa_dx10_clamp 1
		.amdhsa_ieee_mode 1
		.amdhsa_fp16_overflow 0
		.amdhsa_workgroup_processor_mode 1
		.amdhsa_memory_ordered 1
		.amdhsa_forward_progress 0
		.amdhsa_shared_vgpr_count 0
		.amdhsa_exception_fp_ieee_invalid_op 0
		.amdhsa_exception_fp_denorm_src 0
		.amdhsa_exception_fp_ieee_div_zero 0
		.amdhsa_exception_fp_ieee_overflow 0
		.amdhsa_exception_fp_ieee_underflow 0
		.amdhsa_exception_fp_ieee_inexact 0
		.amdhsa_exception_int_div_zero 0
	.end_amdhsa_kernel
	.section	.text._ZN7rocprim17ROCPRIM_400000_NS6detail17trampoline_kernelINS0_14default_configENS1_29reduce_by_key_config_selectorIjyN6thrust23THRUST_200600_302600_NS4plusIyEEEEZZNS1_33reduce_by_key_impl_wrapped_configILNS1_25lookback_scan_determinismE0ES3_S9_NS6_6detail15normal_iteratorINS6_10device_ptrIjEEEENSD_INSE_IyEEEENS6_16discard_iteratorINS6_11use_defaultEEESI_PmS8_NS6_8equal_toIjEEEE10hipError_tPvRmT2_T3_mT4_T5_T6_T7_T8_P12ihipStream_tbENKUlT_T0_E_clISt17integral_constantIbLb0EES16_EEDaS11_S12_EUlS11_E_NS1_11comp_targetILNS1_3genE9ELNS1_11target_archE1100ELNS1_3gpuE3ELNS1_3repE0EEENS1_30default_config_static_selectorELNS0_4arch9wavefront6targetE0EEEvT1_,"axG",@progbits,_ZN7rocprim17ROCPRIM_400000_NS6detail17trampoline_kernelINS0_14default_configENS1_29reduce_by_key_config_selectorIjyN6thrust23THRUST_200600_302600_NS4plusIyEEEEZZNS1_33reduce_by_key_impl_wrapped_configILNS1_25lookback_scan_determinismE0ES3_S9_NS6_6detail15normal_iteratorINS6_10device_ptrIjEEEENSD_INSE_IyEEEENS6_16discard_iteratorINS6_11use_defaultEEESI_PmS8_NS6_8equal_toIjEEEE10hipError_tPvRmT2_T3_mT4_T5_T6_T7_T8_P12ihipStream_tbENKUlT_T0_E_clISt17integral_constantIbLb0EES16_EEDaS11_S12_EUlS11_E_NS1_11comp_targetILNS1_3genE9ELNS1_11target_archE1100ELNS1_3gpuE3ELNS1_3repE0EEENS1_30default_config_static_selectorELNS0_4arch9wavefront6targetE0EEEvT1_,comdat
.Lfunc_end884:
	.size	_ZN7rocprim17ROCPRIM_400000_NS6detail17trampoline_kernelINS0_14default_configENS1_29reduce_by_key_config_selectorIjyN6thrust23THRUST_200600_302600_NS4plusIyEEEEZZNS1_33reduce_by_key_impl_wrapped_configILNS1_25lookback_scan_determinismE0ES3_S9_NS6_6detail15normal_iteratorINS6_10device_ptrIjEEEENSD_INSE_IyEEEENS6_16discard_iteratorINS6_11use_defaultEEESI_PmS8_NS6_8equal_toIjEEEE10hipError_tPvRmT2_T3_mT4_T5_T6_T7_T8_P12ihipStream_tbENKUlT_T0_E_clISt17integral_constantIbLb0EES16_EEDaS11_S12_EUlS11_E_NS1_11comp_targetILNS1_3genE9ELNS1_11target_archE1100ELNS1_3gpuE3ELNS1_3repE0EEENS1_30default_config_static_selectorELNS0_4arch9wavefront6targetE0EEEvT1_, .Lfunc_end884-_ZN7rocprim17ROCPRIM_400000_NS6detail17trampoline_kernelINS0_14default_configENS1_29reduce_by_key_config_selectorIjyN6thrust23THRUST_200600_302600_NS4plusIyEEEEZZNS1_33reduce_by_key_impl_wrapped_configILNS1_25lookback_scan_determinismE0ES3_S9_NS6_6detail15normal_iteratorINS6_10device_ptrIjEEEENSD_INSE_IyEEEENS6_16discard_iteratorINS6_11use_defaultEEESI_PmS8_NS6_8equal_toIjEEEE10hipError_tPvRmT2_T3_mT4_T5_T6_T7_T8_P12ihipStream_tbENKUlT_T0_E_clISt17integral_constantIbLb0EES16_EEDaS11_S12_EUlS11_E_NS1_11comp_targetILNS1_3genE9ELNS1_11target_archE1100ELNS1_3gpuE3ELNS1_3repE0EEENS1_30default_config_static_selectorELNS0_4arch9wavefront6targetE0EEEvT1_
                                        ; -- End function
	.section	.AMDGPU.csdata,"",@progbits
; Kernel info:
; codeLenInByte = 17504
; NumSgprs: 54
; NumVgprs: 103
; ScratchSize: 0
; MemoryBound: 0
; FloatMode: 240
; IeeeMode: 1
; LDSByteSize: 30720 bytes/workgroup (compile time only)
; SGPRBlocks: 6
; VGPRBlocks: 12
; NumSGPRsForWavesPerEU: 54
; NumVGPRsForWavesPerEU: 103
; Occupancy: 8
; WaveLimiterHint : 1
; COMPUTE_PGM_RSRC2:SCRATCH_EN: 0
; COMPUTE_PGM_RSRC2:USER_SGPR: 15
; COMPUTE_PGM_RSRC2:TRAP_HANDLER: 0
; COMPUTE_PGM_RSRC2:TGID_X_EN: 1
; COMPUTE_PGM_RSRC2:TGID_Y_EN: 0
; COMPUTE_PGM_RSRC2:TGID_Z_EN: 0
; COMPUTE_PGM_RSRC2:TIDIG_COMP_CNT: 0
	.section	.text._ZN7rocprim17ROCPRIM_400000_NS6detail17trampoline_kernelINS0_14default_configENS1_29reduce_by_key_config_selectorIjyN6thrust23THRUST_200600_302600_NS4plusIyEEEEZZNS1_33reduce_by_key_impl_wrapped_configILNS1_25lookback_scan_determinismE0ES3_S9_NS6_6detail15normal_iteratorINS6_10device_ptrIjEEEENSD_INSE_IyEEEENS6_16discard_iteratorINS6_11use_defaultEEESI_PmS8_NS6_8equal_toIjEEEE10hipError_tPvRmT2_T3_mT4_T5_T6_T7_T8_P12ihipStream_tbENKUlT_T0_E_clISt17integral_constantIbLb0EES16_EEDaS11_S12_EUlS11_E_NS1_11comp_targetILNS1_3genE8ELNS1_11target_archE1030ELNS1_3gpuE2ELNS1_3repE0EEENS1_30default_config_static_selectorELNS0_4arch9wavefront6targetE0EEEvT1_,"axG",@progbits,_ZN7rocprim17ROCPRIM_400000_NS6detail17trampoline_kernelINS0_14default_configENS1_29reduce_by_key_config_selectorIjyN6thrust23THRUST_200600_302600_NS4plusIyEEEEZZNS1_33reduce_by_key_impl_wrapped_configILNS1_25lookback_scan_determinismE0ES3_S9_NS6_6detail15normal_iteratorINS6_10device_ptrIjEEEENSD_INSE_IyEEEENS6_16discard_iteratorINS6_11use_defaultEEESI_PmS8_NS6_8equal_toIjEEEE10hipError_tPvRmT2_T3_mT4_T5_T6_T7_T8_P12ihipStream_tbENKUlT_T0_E_clISt17integral_constantIbLb0EES16_EEDaS11_S12_EUlS11_E_NS1_11comp_targetILNS1_3genE8ELNS1_11target_archE1030ELNS1_3gpuE2ELNS1_3repE0EEENS1_30default_config_static_selectorELNS0_4arch9wavefront6targetE0EEEvT1_,comdat
	.protected	_ZN7rocprim17ROCPRIM_400000_NS6detail17trampoline_kernelINS0_14default_configENS1_29reduce_by_key_config_selectorIjyN6thrust23THRUST_200600_302600_NS4plusIyEEEEZZNS1_33reduce_by_key_impl_wrapped_configILNS1_25lookback_scan_determinismE0ES3_S9_NS6_6detail15normal_iteratorINS6_10device_ptrIjEEEENSD_INSE_IyEEEENS6_16discard_iteratorINS6_11use_defaultEEESI_PmS8_NS6_8equal_toIjEEEE10hipError_tPvRmT2_T3_mT4_T5_T6_T7_T8_P12ihipStream_tbENKUlT_T0_E_clISt17integral_constantIbLb0EES16_EEDaS11_S12_EUlS11_E_NS1_11comp_targetILNS1_3genE8ELNS1_11target_archE1030ELNS1_3gpuE2ELNS1_3repE0EEENS1_30default_config_static_selectorELNS0_4arch9wavefront6targetE0EEEvT1_ ; -- Begin function _ZN7rocprim17ROCPRIM_400000_NS6detail17trampoline_kernelINS0_14default_configENS1_29reduce_by_key_config_selectorIjyN6thrust23THRUST_200600_302600_NS4plusIyEEEEZZNS1_33reduce_by_key_impl_wrapped_configILNS1_25lookback_scan_determinismE0ES3_S9_NS6_6detail15normal_iteratorINS6_10device_ptrIjEEEENSD_INSE_IyEEEENS6_16discard_iteratorINS6_11use_defaultEEESI_PmS8_NS6_8equal_toIjEEEE10hipError_tPvRmT2_T3_mT4_T5_T6_T7_T8_P12ihipStream_tbENKUlT_T0_E_clISt17integral_constantIbLb0EES16_EEDaS11_S12_EUlS11_E_NS1_11comp_targetILNS1_3genE8ELNS1_11target_archE1030ELNS1_3gpuE2ELNS1_3repE0EEENS1_30default_config_static_selectorELNS0_4arch9wavefront6targetE0EEEvT1_
	.globl	_ZN7rocprim17ROCPRIM_400000_NS6detail17trampoline_kernelINS0_14default_configENS1_29reduce_by_key_config_selectorIjyN6thrust23THRUST_200600_302600_NS4plusIyEEEEZZNS1_33reduce_by_key_impl_wrapped_configILNS1_25lookback_scan_determinismE0ES3_S9_NS6_6detail15normal_iteratorINS6_10device_ptrIjEEEENSD_INSE_IyEEEENS6_16discard_iteratorINS6_11use_defaultEEESI_PmS8_NS6_8equal_toIjEEEE10hipError_tPvRmT2_T3_mT4_T5_T6_T7_T8_P12ihipStream_tbENKUlT_T0_E_clISt17integral_constantIbLb0EES16_EEDaS11_S12_EUlS11_E_NS1_11comp_targetILNS1_3genE8ELNS1_11target_archE1030ELNS1_3gpuE2ELNS1_3repE0EEENS1_30default_config_static_selectorELNS0_4arch9wavefront6targetE0EEEvT1_
	.p2align	8
	.type	_ZN7rocprim17ROCPRIM_400000_NS6detail17trampoline_kernelINS0_14default_configENS1_29reduce_by_key_config_selectorIjyN6thrust23THRUST_200600_302600_NS4plusIyEEEEZZNS1_33reduce_by_key_impl_wrapped_configILNS1_25lookback_scan_determinismE0ES3_S9_NS6_6detail15normal_iteratorINS6_10device_ptrIjEEEENSD_INSE_IyEEEENS6_16discard_iteratorINS6_11use_defaultEEESI_PmS8_NS6_8equal_toIjEEEE10hipError_tPvRmT2_T3_mT4_T5_T6_T7_T8_P12ihipStream_tbENKUlT_T0_E_clISt17integral_constantIbLb0EES16_EEDaS11_S12_EUlS11_E_NS1_11comp_targetILNS1_3genE8ELNS1_11target_archE1030ELNS1_3gpuE2ELNS1_3repE0EEENS1_30default_config_static_selectorELNS0_4arch9wavefront6targetE0EEEvT1_,@function
_ZN7rocprim17ROCPRIM_400000_NS6detail17trampoline_kernelINS0_14default_configENS1_29reduce_by_key_config_selectorIjyN6thrust23THRUST_200600_302600_NS4plusIyEEEEZZNS1_33reduce_by_key_impl_wrapped_configILNS1_25lookback_scan_determinismE0ES3_S9_NS6_6detail15normal_iteratorINS6_10device_ptrIjEEEENSD_INSE_IyEEEENS6_16discard_iteratorINS6_11use_defaultEEESI_PmS8_NS6_8equal_toIjEEEE10hipError_tPvRmT2_T3_mT4_T5_T6_T7_T8_P12ihipStream_tbENKUlT_T0_E_clISt17integral_constantIbLb0EES16_EEDaS11_S12_EUlS11_E_NS1_11comp_targetILNS1_3genE8ELNS1_11target_archE1030ELNS1_3gpuE2ELNS1_3repE0EEENS1_30default_config_static_selectorELNS0_4arch9wavefront6targetE0EEEvT1_: ; @_ZN7rocprim17ROCPRIM_400000_NS6detail17trampoline_kernelINS0_14default_configENS1_29reduce_by_key_config_selectorIjyN6thrust23THRUST_200600_302600_NS4plusIyEEEEZZNS1_33reduce_by_key_impl_wrapped_configILNS1_25lookback_scan_determinismE0ES3_S9_NS6_6detail15normal_iteratorINS6_10device_ptrIjEEEENSD_INSE_IyEEEENS6_16discard_iteratorINS6_11use_defaultEEESI_PmS8_NS6_8equal_toIjEEEE10hipError_tPvRmT2_T3_mT4_T5_T6_T7_T8_P12ihipStream_tbENKUlT_T0_E_clISt17integral_constantIbLb0EES16_EEDaS11_S12_EUlS11_E_NS1_11comp_targetILNS1_3genE8ELNS1_11target_archE1030ELNS1_3gpuE2ELNS1_3repE0EEENS1_30default_config_static_selectorELNS0_4arch9wavefront6targetE0EEEvT1_
; %bb.0:
	.section	.rodata,"a",@progbits
	.p2align	6, 0x0
	.amdhsa_kernel _ZN7rocprim17ROCPRIM_400000_NS6detail17trampoline_kernelINS0_14default_configENS1_29reduce_by_key_config_selectorIjyN6thrust23THRUST_200600_302600_NS4plusIyEEEEZZNS1_33reduce_by_key_impl_wrapped_configILNS1_25lookback_scan_determinismE0ES3_S9_NS6_6detail15normal_iteratorINS6_10device_ptrIjEEEENSD_INSE_IyEEEENS6_16discard_iteratorINS6_11use_defaultEEESI_PmS8_NS6_8equal_toIjEEEE10hipError_tPvRmT2_T3_mT4_T5_T6_T7_T8_P12ihipStream_tbENKUlT_T0_E_clISt17integral_constantIbLb0EES16_EEDaS11_S12_EUlS11_E_NS1_11comp_targetILNS1_3genE8ELNS1_11target_archE1030ELNS1_3gpuE2ELNS1_3repE0EEENS1_30default_config_static_selectorELNS0_4arch9wavefront6targetE0EEEvT1_
		.amdhsa_group_segment_fixed_size 0
		.amdhsa_private_segment_fixed_size 0
		.amdhsa_kernarg_size 144
		.amdhsa_user_sgpr_count 15
		.amdhsa_user_sgpr_dispatch_ptr 0
		.amdhsa_user_sgpr_queue_ptr 0
		.amdhsa_user_sgpr_kernarg_segment_ptr 1
		.amdhsa_user_sgpr_dispatch_id 0
		.amdhsa_user_sgpr_private_segment_size 0
		.amdhsa_wavefront_size32 1
		.amdhsa_uses_dynamic_stack 0
		.amdhsa_enable_private_segment 0
		.amdhsa_system_sgpr_workgroup_id_x 1
		.amdhsa_system_sgpr_workgroup_id_y 0
		.amdhsa_system_sgpr_workgroup_id_z 0
		.amdhsa_system_sgpr_workgroup_info 0
		.amdhsa_system_vgpr_workitem_id 0
		.amdhsa_next_free_vgpr 1
		.amdhsa_next_free_sgpr 1
		.amdhsa_reserve_vcc 0
		.amdhsa_float_round_mode_32 0
		.amdhsa_float_round_mode_16_64 0
		.amdhsa_float_denorm_mode_32 3
		.amdhsa_float_denorm_mode_16_64 3
		.amdhsa_dx10_clamp 1
		.amdhsa_ieee_mode 1
		.amdhsa_fp16_overflow 0
		.amdhsa_workgroup_processor_mode 1
		.amdhsa_memory_ordered 1
		.amdhsa_forward_progress 0
		.amdhsa_shared_vgpr_count 0
		.amdhsa_exception_fp_ieee_invalid_op 0
		.amdhsa_exception_fp_denorm_src 0
		.amdhsa_exception_fp_ieee_div_zero 0
		.amdhsa_exception_fp_ieee_overflow 0
		.amdhsa_exception_fp_ieee_underflow 0
		.amdhsa_exception_fp_ieee_inexact 0
		.amdhsa_exception_int_div_zero 0
	.end_amdhsa_kernel
	.section	.text._ZN7rocprim17ROCPRIM_400000_NS6detail17trampoline_kernelINS0_14default_configENS1_29reduce_by_key_config_selectorIjyN6thrust23THRUST_200600_302600_NS4plusIyEEEEZZNS1_33reduce_by_key_impl_wrapped_configILNS1_25lookback_scan_determinismE0ES3_S9_NS6_6detail15normal_iteratorINS6_10device_ptrIjEEEENSD_INSE_IyEEEENS6_16discard_iteratorINS6_11use_defaultEEESI_PmS8_NS6_8equal_toIjEEEE10hipError_tPvRmT2_T3_mT4_T5_T6_T7_T8_P12ihipStream_tbENKUlT_T0_E_clISt17integral_constantIbLb0EES16_EEDaS11_S12_EUlS11_E_NS1_11comp_targetILNS1_3genE8ELNS1_11target_archE1030ELNS1_3gpuE2ELNS1_3repE0EEENS1_30default_config_static_selectorELNS0_4arch9wavefront6targetE0EEEvT1_,"axG",@progbits,_ZN7rocprim17ROCPRIM_400000_NS6detail17trampoline_kernelINS0_14default_configENS1_29reduce_by_key_config_selectorIjyN6thrust23THRUST_200600_302600_NS4plusIyEEEEZZNS1_33reduce_by_key_impl_wrapped_configILNS1_25lookback_scan_determinismE0ES3_S9_NS6_6detail15normal_iteratorINS6_10device_ptrIjEEEENSD_INSE_IyEEEENS6_16discard_iteratorINS6_11use_defaultEEESI_PmS8_NS6_8equal_toIjEEEE10hipError_tPvRmT2_T3_mT4_T5_T6_T7_T8_P12ihipStream_tbENKUlT_T0_E_clISt17integral_constantIbLb0EES16_EEDaS11_S12_EUlS11_E_NS1_11comp_targetILNS1_3genE8ELNS1_11target_archE1030ELNS1_3gpuE2ELNS1_3repE0EEENS1_30default_config_static_selectorELNS0_4arch9wavefront6targetE0EEEvT1_,comdat
.Lfunc_end885:
	.size	_ZN7rocprim17ROCPRIM_400000_NS6detail17trampoline_kernelINS0_14default_configENS1_29reduce_by_key_config_selectorIjyN6thrust23THRUST_200600_302600_NS4plusIyEEEEZZNS1_33reduce_by_key_impl_wrapped_configILNS1_25lookback_scan_determinismE0ES3_S9_NS6_6detail15normal_iteratorINS6_10device_ptrIjEEEENSD_INSE_IyEEEENS6_16discard_iteratorINS6_11use_defaultEEESI_PmS8_NS6_8equal_toIjEEEE10hipError_tPvRmT2_T3_mT4_T5_T6_T7_T8_P12ihipStream_tbENKUlT_T0_E_clISt17integral_constantIbLb0EES16_EEDaS11_S12_EUlS11_E_NS1_11comp_targetILNS1_3genE8ELNS1_11target_archE1030ELNS1_3gpuE2ELNS1_3repE0EEENS1_30default_config_static_selectorELNS0_4arch9wavefront6targetE0EEEvT1_, .Lfunc_end885-_ZN7rocprim17ROCPRIM_400000_NS6detail17trampoline_kernelINS0_14default_configENS1_29reduce_by_key_config_selectorIjyN6thrust23THRUST_200600_302600_NS4plusIyEEEEZZNS1_33reduce_by_key_impl_wrapped_configILNS1_25lookback_scan_determinismE0ES3_S9_NS6_6detail15normal_iteratorINS6_10device_ptrIjEEEENSD_INSE_IyEEEENS6_16discard_iteratorINS6_11use_defaultEEESI_PmS8_NS6_8equal_toIjEEEE10hipError_tPvRmT2_T3_mT4_T5_T6_T7_T8_P12ihipStream_tbENKUlT_T0_E_clISt17integral_constantIbLb0EES16_EEDaS11_S12_EUlS11_E_NS1_11comp_targetILNS1_3genE8ELNS1_11target_archE1030ELNS1_3gpuE2ELNS1_3repE0EEENS1_30default_config_static_selectorELNS0_4arch9wavefront6targetE0EEEvT1_
                                        ; -- End function
	.section	.AMDGPU.csdata,"",@progbits
; Kernel info:
; codeLenInByte = 0
; NumSgprs: 0
; NumVgprs: 0
; ScratchSize: 0
; MemoryBound: 0
; FloatMode: 240
; IeeeMode: 1
; LDSByteSize: 0 bytes/workgroup (compile time only)
; SGPRBlocks: 0
; VGPRBlocks: 0
; NumSGPRsForWavesPerEU: 1
; NumVGPRsForWavesPerEU: 1
; Occupancy: 16
; WaveLimiterHint : 0
; COMPUTE_PGM_RSRC2:SCRATCH_EN: 0
; COMPUTE_PGM_RSRC2:USER_SGPR: 15
; COMPUTE_PGM_RSRC2:TRAP_HANDLER: 0
; COMPUTE_PGM_RSRC2:TGID_X_EN: 1
; COMPUTE_PGM_RSRC2:TGID_Y_EN: 0
; COMPUTE_PGM_RSRC2:TGID_Z_EN: 0
; COMPUTE_PGM_RSRC2:TIDIG_COMP_CNT: 0
	.section	.text._ZN7rocprim17ROCPRIM_400000_NS6detail17trampoline_kernelINS0_14default_configENS1_29reduce_by_key_config_selectorIjyN6thrust23THRUST_200600_302600_NS4plusIyEEEEZZNS1_33reduce_by_key_impl_wrapped_configILNS1_25lookback_scan_determinismE0ES3_S9_NS6_6detail15normal_iteratorINS6_10device_ptrIjEEEENSD_INSE_IyEEEENS6_16discard_iteratorINS6_11use_defaultEEESI_PmS8_NS6_8equal_toIjEEEE10hipError_tPvRmT2_T3_mT4_T5_T6_T7_T8_P12ihipStream_tbENKUlT_T0_E_clISt17integral_constantIbLb1EES16_EEDaS11_S12_EUlS11_E_NS1_11comp_targetILNS1_3genE0ELNS1_11target_archE4294967295ELNS1_3gpuE0ELNS1_3repE0EEENS1_30default_config_static_selectorELNS0_4arch9wavefront6targetE0EEEvT1_,"axG",@progbits,_ZN7rocprim17ROCPRIM_400000_NS6detail17trampoline_kernelINS0_14default_configENS1_29reduce_by_key_config_selectorIjyN6thrust23THRUST_200600_302600_NS4plusIyEEEEZZNS1_33reduce_by_key_impl_wrapped_configILNS1_25lookback_scan_determinismE0ES3_S9_NS6_6detail15normal_iteratorINS6_10device_ptrIjEEEENSD_INSE_IyEEEENS6_16discard_iteratorINS6_11use_defaultEEESI_PmS8_NS6_8equal_toIjEEEE10hipError_tPvRmT2_T3_mT4_T5_T6_T7_T8_P12ihipStream_tbENKUlT_T0_E_clISt17integral_constantIbLb1EES16_EEDaS11_S12_EUlS11_E_NS1_11comp_targetILNS1_3genE0ELNS1_11target_archE4294967295ELNS1_3gpuE0ELNS1_3repE0EEENS1_30default_config_static_selectorELNS0_4arch9wavefront6targetE0EEEvT1_,comdat
	.protected	_ZN7rocprim17ROCPRIM_400000_NS6detail17trampoline_kernelINS0_14default_configENS1_29reduce_by_key_config_selectorIjyN6thrust23THRUST_200600_302600_NS4plusIyEEEEZZNS1_33reduce_by_key_impl_wrapped_configILNS1_25lookback_scan_determinismE0ES3_S9_NS6_6detail15normal_iteratorINS6_10device_ptrIjEEEENSD_INSE_IyEEEENS6_16discard_iteratorINS6_11use_defaultEEESI_PmS8_NS6_8equal_toIjEEEE10hipError_tPvRmT2_T3_mT4_T5_T6_T7_T8_P12ihipStream_tbENKUlT_T0_E_clISt17integral_constantIbLb1EES16_EEDaS11_S12_EUlS11_E_NS1_11comp_targetILNS1_3genE0ELNS1_11target_archE4294967295ELNS1_3gpuE0ELNS1_3repE0EEENS1_30default_config_static_selectorELNS0_4arch9wavefront6targetE0EEEvT1_ ; -- Begin function _ZN7rocprim17ROCPRIM_400000_NS6detail17trampoline_kernelINS0_14default_configENS1_29reduce_by_key_config_selectorIjyN6thrust23THRUST_200600_302600_NS4plusIyEEEEZZNS1_33reduce_by_key_impl_wrapped_configILNS1_25lookback_scan_determinismE0ES3_S9_NS6_6detail15normal_iteratorINS6_10device_ptrIjEEEENSD_INSE_IyEEEENS6_16discard_iteratorINS6_11use_defaultEEESI_PmS8_NS6_8equal_toIjEEEE10hipError_tPvRmT2_T3_mT4_T5_T6_T7_T8_P12ihipStream_tbENKUlT_T0_E_clISt17integral_constantIbLb1EES16_EEDaS11_S12_EUlS11_E_NS1_11comp_targetILNS1_3genE0ELNS1_11target_archE4294967295ELNS1_3gpuE0ELNS1_3repE0EEENS1_30default_config_static_selectorELNS0_4arch9wavefront6targetE0EEEvT1_
	.globl	_ZN7rocprim17ROCPRIM_400000_NS6detail17trampoline_kernelINS0_14default_configENS1_29reduce_by_key_config_selectorIjyN6thrust23THRUST_200600_302600_NS4plusIyEEEEZZNS1_33reduce_by_key_impl_wrapped_configILNS1_25lookback_scan_determinismE0ES3_S9_NS6_6detail15normal_iteratorINS6_10device_ptrIjEEEENSD_INSE_IyEEEENS6_16discard_iteratorINS6_11use_defaultEEESI_PmS8_NS6_8equal_toIjEEEE10hipError_tPvRmT2_T3_mT4_T5_T6_T7_T8_P12ihipStream_tbENKUlT_T0_E_clISt17integral_constantIbLb1EES16_EEDaS11_S12_EUlS11_E_NS1_11comp_targetILNS1_3genE0ELNS1_11target_archE4294967295ELNS1_3gpuE0ELNS1_3repE0EEENS1_30default_config_static_selectorELNS0_4arch9wavefront6targetE0EEEvT1_
	.p2align	8
	.type	_ZN7rocprim17ROCPRIM_400000_NS6detail17trampoline_kernelINS0_14default_configENS1_29reduce_by_key_config_selectorIjyN6thrust23THRUST_200600_302600_NS4plusIyEEEEZZNS1_33reduce_by_key_impl_wrapped_configILNS1_25lookback_scan_determinismE0ES3_S9_NS6_6detail15normal_iteratorINS6_10device_ptrIjEEEENSD_INSE_IyEEEENS6_16discard_iteratorINS6_11use_defaultEEESI_PmS8_NS6_8equal_toIjEEEE10hipError_tPvRmT2_T3_mT4_T5_T6_T7_T8_P12ihipStream_tbENKUlT_T0_E_clISt17integral_constantIbLb1EES16_EEDaS11_S12_EUlS11_E_NS1_11comp_targetILNS1_3genE0ELNS1_11target_archE4294967295ELNS1_3gpuE0ELNS1_3repE0EEENS1_30default_config_static_selectorELNS0_4arch9wavefront6targetE0EEEvT1_,@function
_ZN7rocprim17ROCPRIM_400000_NS6detail17trampoline_kernelINS0_14default_configENS1_29reduce_by_key_config_selectorIjyN6thrust23THRUST_200600_302600_NS4plusIyEEEEZZNS1_33reduce_by_key_impl_wrapped_configILNS1_25lookback_scan_determinismE0ES3_S9_NS6_6detail15normal_iteratorINS6_10device_ptrIjEEEENSD_INSE_IyEEEENS6_16discard_iteratorINS6_11use_defaultEEESI_PmS8_NS6_8equal_toIjEEEE10hipError_tPvRmT2_T3_mT4_T5_T6_T7_T8_P12ihipStream_tbENKUlT_T0_E_clISt17integral_constantIbLb1EES16_EEDaS11_S12_EUlS11_E_NS1_11comp_targetILNS1_3genE0ELNS1_11target_archE4294967295ELNS1_3gpuE0ELNS1_3repE0EEENS1_30default_config_static_selectorELNS0_4arch9wavefront6targetE0EEEvT1_: ; @_ZN7rocprim17ROCPRIM_400000_NS6detail17trampoline_kernelINS0_14default_configENS1_29reduce_by_key_config_selectorIjyN6thrust23THRUST_200600_302600_NS4plusIyEEEEZZNS1_33reduce_by_key_impl_wrapped_configILNS1_25lookback_scan_determinismE0ES3_S9_NS6_6detail15normal_iteratorINS6_10device_ptrIjEEEENSD_INSE_IyEEEENS6_16discard_iteratorINS6_11use_defaultEEESI_PmS8_NS6_8equal_toIjEEEE10hipError_tPvRmT2_T3_mT4_T5_T6_T7_T8_P12ihipStream_tbENKUlT_T0_E_clISt17integral_constantIbLb1EES16_EEDaS11_S12_EUlS11_E_NS1_11comp_targetILNS1_3genE0ELNS1_11target_archE4294967295ELNS1_3gpuE0ELNS1_3repE0EEENS1_30default_config_static_selectorELNS0_4arch9wavefront6targetE0EEEvT1_
; %bb.0:
	.section	.rodata,"a",@progbits
	.p2align	6, 0x0
	.amdhsa_kernel _ZN7rocprim17ROCPRIM_400000_NS6detail17trampoline_kernelINS0_14default_configENS1_29reduce_by_key_config_selectorIjyN6thrust23THRUST_200600_302600_NS4plusIyEEEEZZNS1_33reduce_by_key_impl_wrapped_configILNS1_25lookback_scan_determinismE0ES3_S9_NS6_6detail15normal_iteratorINS6_10device_ptrIjEEEENSD_INSE_IyEEEENS6_16discard_iteratorINS6_11use_defaultEEESI_PmS8_NS6_8equal_toIjEEEE10hipError_tPvRmT2_T3_mT4_T5_T6_T7_T8_P12ihipStream_tbENKUlT_T0_E_clISt17integral_constantIbLb1EES16_EEDaS11_S12_EUlS11_E_NS1_11comp_targetILNS1_3genE0ELNS1_11target_archE4294967295ELNS1_3gpuE0ELNS1_3repE0EEENS1_30default_config_static_selectorELNS0_4arch9wavefront6targetE0EEEvT1_
		.amdhsa_group_segment_fixed_size 0
		.amdhsa_private_segment_fixed_size 0
		.amdhsa_kernarg_size 144
		.amdhsa_user_sgpr_count 15
		.amdhsa_user_sgpr_dispatch_ptr 0
		.amdhsa_user_sgpr_queue_ptr 0
		.amdhsa_user_sgpr_kernarg_segment_ptr 1
		.amdhsa_user_sgpr_dispatch_id 0
		.amdhsa_user_sgpr_private_segment_size 0
		.amdhsa_wavefront_size32 1
		.amdhsa_uses_dynamic_stack 0
		.amdhsa_enable_private_segment 0
		.amdhsa_system_sgpr_workgroup_id_x 1
		.amdhsa_system_sgpr_workgroup_id_y 0
		.amdhsa_system_sgpr_workgroup_id_z 0
		.amdhsa_system_sgpr_workgroup_info 0
		.amdhsa_system_vgpr_workitem_id 0
		.amdhsa_next_free_vgpr 1
		.amdhsa_next_free_sgpr 1
		.amdhsa_reserve_vcc 0
		.amdhsa_float_round_mode_32 0
		.amdhsa_float_round_mode_16_64 0
		.amdhsa_float_denorm_mode_32 3
		.amdhsa_float_denorm_mode_16_64 3
		.amdhsa_dx10_clamp 1
		.amdhsa_ieee_mode 1
		.amdhsa_fp16_overflow 0
		.amdhsa_workgroup_processor_mode 1
		.amdhsa_memory_ordered 1
		.amdhsa_forward_progress 0
		.amdhsa_shared_vgpr_count 0
		.amdhsa_exception_fp_ieee_invalid_op 0
		.amdhsa_exception_fp_denorm_src 0
		.amdhsa_exception_fp_ieee_div_zero 0
		.amdhsa_exception_fp_ieee_overflow 0
		.amdhsa_exception_fp_ieee_underflow 0
		.amdhsa_exception_fp_ieee_inexact 0
		.amdhsa_exception_int_div_zero 0
	.end_amdhsa_kernel
	.section	.text._ZN7rocprim17ROCPRIM_400000_NS6detail17trampoline_kernelINS0_14default_configENS1_29reduce_by_key_config_selectorIjyN6thrust23THRUST_200600_302600_NS4plusIyEEEEZZNS1_33reduce_by_key_impl_wrapped_configILNS1_25lookback_scan_determinismE0ES3_S9_NS6_6detail15normal_iteratorINS6_10device_ptrIjEEEENSD_INSE_IyEEEENS6_16discard_iteratorINS6_11use_defaultEEESI_PmS8_NS6_8equal_toIjEEEE10hipError_tPvRmT2_T3_mT4_T5_T6_T7_T8_P12ihipStream_tbENKUlT_T0_E_clISt17integral_constantIbLb1EES16_EEDaS11_S12_EUlS11_E_NS1_11comp_targetILNS1_3genE0ELNS1_11target_archE4294967295ELNS1_3gpuE0ELNS1_3repE0EEENS1_30default_config_static_selectorELNS0_4arch9wavefront6targetE0EEEvT1_,"axG",@progbits,_ZN7rocprim17ROCPRIM_400000_NS6detail17trampoline_kernelINS0_14default_configENS1_29reduce_by_key_config_selectorIjyN6thrust23THRUST_200600_302600_NS4plusIyEEEEZZNS1_33reduce_by_key_impl_wrapped_configILNS1_25lookback_scan_determinismE0ES3_S9_NS6_6detail15normal_iteratorINS6_10device_ptrIjEEEENSD_INSE_IyEEEENS6_16discard_iteratorINS6_11use_defaultEEESI_PmS8_NS6_8equal_toIjEEEE10hipError_tPvRmT2_T3_mT4_T5_T6_T7_T8_P12ihipStream_tbENKUlT_T0_E_clISt17integral_constantIbLb1EES16_EEDaS11_S12_EUlS11_E_NS1_11comp_targetILNS1_3genE0ELNS1_11target_archE4294967295ELNS1_3gpuE0ELNS1_3repE0EEENS1_30default_config_static_selectorELNS0_4arch9wavefront6targetE0EEEvT1_,comdat
.Lfunc_end886:
	.size	_ZN7rocprim17ROCPRIM_400000_NS6detail17trampoline_kernelINS0_14default_configENS1_29reduce_by_key_config_selectorIjyN6thrust23THRUST_200600_302600_NS4plusIyEEEEZZNS1_33reduce_by_key_impl_wrapped_configILNS1_25lookback_scan_determinismE0ES3_S9_NS6_6detail15normal_iteratorINS6_10device_ptrIjEEEENSD_INSE_IyEEEENS6_16discard_iteratorINS6_11use_defaultEEESI_PmS8_NS6_8equal_toIjEEEE10hipError_tPvRmT2_T3_mT4_T5_T6_T7_T8_P12ihipStream_tbENKUlT_T0_E_clISt17integral_constantIbLb1EES16_EEDaS11_S12_EUlS11_E_NS1_11comp_targetILNS1_3genE0ELNS1_11target_archE4294967295ELNS1_3gpuE0ELNS1_3repE0EEENS1_30default_config_static_selectorELNS0_4arch9wavefront6targetE0EEEvT1_, .Lfunc_end886-_ZN7rocprim17ROCPRIM_400000_NS6detail17trampoline_kernelINS0_14default_configENS1_29reduce_by_key_config_selectorIjyN6thrust23THRUST_200600_302600_NS4plusIyEEEEZZNS1_33reduce_by_key_impl_wrapped_configILNS1_25lookback_scan_determinismE0ES3_S9_NS6_6detail15normal_iteratorINS6_10device_ptrIjEEEENSD_INSE_IyEEEENS6_16discard_iteratorINS6_11use_defaultEEESI_PmS8_NS6_8equal_toIjEEEE10hipError_tPvRmT2_T3_mT4_T5_T6_T7_T8_P12ihipStream_tbENKUlT_T0_E_clISt17integral_constantIbLb1EES16_EEDaS11_S12_EUlS11_E_NS1_11comp_targetILNS1_3genE0ELNS1_11target_archE4294967295ELNS1_3gpuE0ELNS1_3repE0EEENS1_30default_config_static_selectorELNS0_4arch9wavefront6targetE0EEEvT1_
                                        ; -- End function
	.section	.AMDGPU.csdata,"",@progbits
; Kernel info:
; codeLenInByte = 0
; NumSgprs: 0
; NumVgprs: 0
; ScratchSize: 0
; MemoryBound: 0
; FloatMode: 240
; IeeeMode: 1
; LDSByteSize: 0 bytes/workgroup (compile time only)
; SGPRBlocks: 0
; VGPRBlocks: 0
; NumSGPRsForWavesPerEU: 1
; NumVGPRsForWavesPerEU: 1
; Occupancy: 16
; WaveLimiterHint : 0
; COMPUTE_PGM_RSRC2:SCRATCH_EN: 0
; COMPUTE_PGM_RSRC2:USER_SGPR: 15
; COMPUTE_PGM_RSRC2:TRAP_HANDLER: 0
; COMPUTE_PGM_RSRC2:TGID_X_EN: 1
; COMPUTE_PGM_RSRC2:TGID_Y_EN: 0
; COMPUTE_PGM_RSRC2:TGID_Z_EN: 0
; COMPUTE_PGM_RSRC2:TIDIG_COMP_CNT: 0
	.section	.text._ZN7rocprim17ROCPRIM_400000_NS6detail17trampoline_kernelINS0_14default_configENS1_29reduce_by_key_config_selectorIjyN6thrust23THRUST_200600_302600_NS4plusIyEEEEZZNS1_33reduce_by_key_impl_wrapped_configILNS1_25lookback_scan_determinismE0ES3_S9_NS6_6detail15normal_iteratorINS6_10device_ptrIjEEEENSD_INSE_IyEEEENS6_16discard_iteratorINS6_11use_defaultEEESI_PmS8_NS6_8equal_toIjEEEE10hipError_tPvRmT2_T3_mT4_T5_T6_T7_T8_P12ihipStream_tbENKUlT_T0_E_clISt17integral_constantIbLb1EES16_EEDaS11_S12_EUlS11_E_NS1_11comp_targetILNS1_3genE5ELNS1_11target_archE942ELNS1_3gpuE9ELNS1_3repE0EEENS1_30default_config_static_selectorELNS0_4arch9wavefront6targetE0EEEvT1_,"axG",@progbits,_ZN7rocprim17ROCPRIM_400000_NS6detail17trampoline_kernelINS0_14default_configENS1_29reduce_by_key_config_selectorIjyN6thrust23THRUST_200600_302600_NS4plusIyEEEEZZNS1_33reduce_by_key_impl_wrapped_configILNS1_25lookback_scan_determinismE0ES3_S9_NS6_6detail15normal_iteratorINS6_10device_ptrIjEEEENSD_INSE_IyEEEENS6_16discard_iteratorINS6_11use_defaultEEESI_PmS8_NS6_8equal_toIjEEEE10hipError_tPvRmT2_T3_mT4_T5_T6_T7_T8_P12ihipStream_tbENKUlT_T0_E_clISt17integral_constantIbLb1EES16_EEDaS11_S12_EUlS11_E_NS1_11comp_targetILNS1_3genE5ELNS1_11target_archE942ELNS1_3gpuE9ELNS1_3repE0EEENS1_30default_config_static_selectorELNS0_4arch9wavefront6targetE0EEEvT1_,comdat
	.protected	_ZN7rocprim17ROCPRIM_400000_NS6detail17trampoline_kernelINS0_14default_configENS1_29reduce_by_key_config_selectorIjyN6thrust23THRUST_200600_302600_NS4plusIyEEEEZZNS1_33reduce_by_key_impl_wrapped_configILNS1_25lookback_scan_determinismE0ES3_S9_NS6_6detail15normal_iteratorINS6_10device_ptrIjEEEENSD_INSE_IyEEEENS6_16discard_iteratorINS6_11use_defaultEEESI_PmS8_NS6_8equal_toIjEEEE10hipError_tPvRmT2_T3_mT4_T5_T6_T7_T8_P12ihipStream_tbENKUlT_T0_E_clISt17integral_constantIbLb1EES16_EEDaS11_S12_EUlS11_E_NS1_11comp_targetILNS1_3genE5ELNS1_11target_archE942ELNS1_3gpuE9ELNS1_3repE0EEENS1_30default_config_static_selectorELNS0_4arch9wavefront6targetE0EEEvT1_ ; -- Begin function _ZN7rocprim17ROCPRIM_400000_NS6detail17trampoline_kernelINS0_14default_configENS1_29reduce_by_key_config_selectorIjyN6thrust23THRUST_200600_302600_NS4plusIyEEEEZZNS1_33reduce_by_key_impl_wrapped_configILNS1_25lookback_scan_determinismE0ES3_S9_NS6_6detail15normal_iteratorINS6_10device_ptrIjEEEENSD_INSE_IyEEEENS6_16discard_iteratorINS6_11use_defaultEEESI_PmS8_NS6_8equal_toIjEEEE10hipError_tPvRmT2_T3_mT4_T5_T6_T7_T8_P12ihipStream_tbENKUlT_T0_E_clISt17integral_constantIbLb1EES16_EEDaS11_S12_EUlS11_E_NS1_11comp_targetILNS1_3genE5ELNS1_11target_archE942ELNS1_3gpuE9ELNS1_3repE0EEENS1_30default_config_static_selectorELNS0_4arch9wavefront6targetE0EEEvT1_
	.globl	_ZN7rocprim17ROCPRIM_400000_NS6detail17trampoline_kernelINS0_14default_configENS1_29reduce_by_key_config_selectorIjyN6thrust23THRUST_200600_302600_NS4plusIyEEEEZZNS1_33reduce_by_key_impl_wrapped_configILNS1_25lookback_scan_determinismE0ES3_S9_NS6_6detail15normal_iteratorINS6_10device_ptrIjEEEENSD_INSE_IyEEEENS6_16discard_iteratorINS6_11use_defaultEEESI_PmS8_NS6_8equal_toIjEEEE10hipError_tPvRmT2_T3_mT4_T5_T6_T7_T8_P12ihipStream_tbENKUlT_T0_E_clISt17integral_constantIbLb1EES16_EEDaS11_S12_EUlS11_E_NS1_11comp_targetILNS1_3genE5ELNS1_11target_archE942ELNS1_3gpuE9ELNS1_3repE0EEENS1_30default_config_static_selectorELNS0_4arch9wavefront6targetE0EEEvT1_
	.p2align	8
	.type	_ZN7rocprim17ROCPRIM_400000_NS6detail17trampoline_kernelINS0_14default_configENS1_29reduce_by_key_config_selectorIjyN6thrust23THRUST_200600_302600_NS4plusIyEEEEZZNS1_33reduce_by_key_impl_wrapped_configILNS1_25lookback_scan_determinismE0ES3_S9_NS6_6detail15normal_iteratorINS6_10device_ptrIjEEEENSD_INSE_IyEEEENS6_16discard_iteratorINS6_11use_defaultEEESI_PmS8_NS6_8equal_toIjEEEE10hipError_tPvRmT2_T3_mT4_T5_T6_T7_T8_P12ihipStream_tbENKUlT_T0_E_clISt17integral_constantIbLb1EES16_EEDaS11_S12_EUlS11_E_NS1_11comp_targetILNS1_3genE5ELNS1_11target_archE942ELNS1_3gpuE9ELNS1_3repE0EEENS1_30default_config_static_selectorELNS0_4arch9wavefront6targetE0EEEvT1_,@function
_ZN7rocprim17ROCPRIM_400000_NS6detail17trampoline_kernelINS0_14default_configENS1_29reduce_by_key_config_selectorIjyN6thrust23THRUST_200600_302600_NS4plusIyEEEEZZNS1_33reduce_by_key_impl_wrapped_configILNS1_25lookback_scan_determinismE0ES3_S9_NS6_6detail15normal_iteratorINS6_10device_ptrIjEEEENSD_INSE_IyEEEENS6_16discard_iteratorINS6_11use_defaultEEESI_PmS8_NS6_8equal_toIjEEEE10hipError_tPvRmT2_T3_mT4_T5_T6_T7_T8_P12ihipStream_tbENKUlT_T0_E_clISt17integral_constantIbLb1EES16_EEDaS11_S12_EUlS11_E_NS1_11comp_targetILNS1_3genE5ELNS1_11target_archE942ELNS1_3gpuE9ELNS1_3repE0EEENS1_30default_config_static_selectorELNS0_4arch9wavefront6targetE0EEEvT1_: ; @_ZN7rocprim17ROCPRIM_400000_NS6detail17trampoline_kernelINS0_14default_configENS1_29reduce_by_key_config_selectorIjyN6thrust23THRUST_200600_302600_NS4plusIyEEEEZZNS1_33reduce_by_key_impl_wrapped_configILNS1_25lookback_scan_determinismE0ES3_S9_NS6_6detail15normal_iteratorINS6_10device_ptrIjEEEENSD_INSE_IyEEEENS6_16discard_iteratorINS6_11use_defaultEEESI_PmS8_NS6_8equal_toIjEEEE10hipError_tPvRmT2_T3_mT4_T5_T6_T7_T8_P12ihipStream_tbENKUlT_T0_E_clISt17integral_constantIbLb1EES16_EEDaS11_S12_EUlS11_E_NS1_11comp_targetILNS1_3genE5ELNS1_11target_archE942ELNS1_3gpuE9ELNS1_3repE0EEENS1_30default_config_static_selectorELNS0_4arch9wavefront6targetE0EEEvT1_
; %bb.0:
	.section	.rodata,"a",@progbits
	.p2align	6, 0x0
	.amdhsa_kernel _ZN7rocprim17ROCPRIM_400000_NS6detail17trampoline_kernelINS0_14default_configENS1_29reduce_by_key_config_selectorIjyN6thrust23THRUST_200600_302600_NS4plusIyEEEEZZNS1_33reduce_by_key_impl_wrapped_configILNS1_25lookback_scan_determinismE0ES3_S9_NS6_6detail15normal_iteratorINS6_10device_ptrIjEEEENSD_INSE_IyEEEENS6_16discard_iteratorINS6_11use_defaultEEESI_PmS8_NS6_8equal_toIjEEEE10hipError_tPvRmT2_T3_mT4_T5_T6_T7_T8_P12ihipStream_tbENKUlT_T0_E_clISt17integral_constantIbLb1EES16_EEDaS11_S12_EUlS11_E_NS1_11comp_targetILNS1_3genE5ELNS1_11target_archE942ELNS1_3gpuE9ELNS1_3repE0EEENS1_30default_config_static_selectorELNS0_4arch9wavefront6targetE0EEEvT1_
		.amdhsa_group_segment_fixed_size 0
		.amdhsa_private_segment_fixed_size 0
		.amdhsa_kernarg_size 144
		.amdhsa_user_sgpr_count 15
		.amdhsa_user_sgpr_dispatch_ptr 0
		.amdhsa_user_sgpr_queue_ptr 0
		.amdhsa_user_sgpr_kernarg_segment_ptr 1
		.amdhsa_user_sgpr_dispatch_id 0
		.amdhsa_user_sgpr_private_segment_size 0
		.amdhsa_wavefront_size32 1
		.amdhsa_uses_dynamic_stack 0
		.amdhsa_enable_private_segment 0
		.amdhsa_system_sgpr_workgroup_id_x 1
		.amdhsa_system_sgpr_workgroup_id_y 0
		.amdhsa_system_sgpr_workgroup_id_z 0
		.amdhsa_system_sgpr_workgroup_info 0
		.amdhsa_system_vgpr_workitem_id 0
		.amdhsa_next_free_vgpr 1
		.amdhsa_next_free_sgpr 1
		.amdhsa_reserve_vcc 0
		.amdhsa_float_round_mode_32 0
		.amdhsa_float_round_mode_16_64 0
		.amdhsa_float_denorm_mode_32 3
		.amdhsa_float_denorm_mode_16_64 3
		.amdhsa_dx10_clamp 1
		.amdhsa_ieee_mode 1
		.amdhsa_fp16_overflow 0
		.amdhsa_workgroup_processor_mode 1
		.amdhsa_memory_ordered 1
		.amdhsa_forward_progress 0
		.amdhsa_shared_vgpr_count 0
		.amdhsa_exception_fp_ieee_invalid_op 0
		.amdhsa_exception_fp_denorm_src 0
		.amdhsa_exception_fp_ieee_div_zero 0
		.amdhsa_exception_fp_ieee_overflow 0
		.amdhsa_exception_fp_ieee_underflow 0
		.amdhsa_exception_fp_ieee_inexact 0
		.amdhsa_exception_int_div_zero 0
	.end_amdhsa_kernel
	.section	.text._ZN7rocprim17ROCPRIM_400000_NS6detail17trampoline_kernelINS0_14default_configENS1_29reduce_by_key_config_selectorIjyN6thrust23THRUST_200600_302600_NS4plusIyEEEEZZNS1_33reduce_by_key_impl_wrapped_configILNS1_25lookback_scan_determinismE0ES3_S9_NS6_6detail15normal_iteratorINS6_10device_ptrIjEEEENSD_INSE_IyEEEENS6_16discard_iteratorINS6_11use_defaultEEESI_PmS8_NS6_8equal_toIjEEEE10hipError_tPvRmT2_T3_mT4_T5_T6_T7_T8_P12ihipStream_tbENKUlT_T0_E_clISt17integral_constantIbLb1EES16_EEDaS11_S12_EUlS11_E_NS1_11comp_targetILNS1_3genE5ELNS1_11target_archE942ELNS1_3gpuE9ELNS1_3repE0EEENS1_30default_config_static_selectorELNS0_4arch9wavefront6targetE0EEEvT1_,"axG",@progbits,_ZN7rocprim17ROCPRIM_400000_NS6detail17trampoline_kernelINS0_14default_configENS1_29reduce_by_key_config_selectorIjyN6thrust23THRUST_200600_302600_NS4plusIyEEEEZZNS1_33reduce_by_key_impl_wrapped_configILNS1_25lookback_scan_determinismE0ES3_S9_NS6_6detail15normal_iteratorINS6_10device_ptrIjEEEENSD_INSE_IyEEEENS6_16discard_iteratorINS6_11use_defaultEEESI_PmS8_NS6_8equal_toIjEEEE10hipError_tPvRmT2_T3_mT4_T5_T6_T7_T8_P12ihipStream_tbENKUlT_T0_E_clISt17integral_constantIbLb1EES16_EEDaS11_S12_EUlS11_E_NS1_11comp_targetILNS1_3genE5ELNS1_11target_archE942ELNS1_3gpuE9ELNS1_3repE0EEENS1_30default_config_static_selectorELNS0_4arch9wavefront6targetE0EEEvT1_,comdat
.Lfunc_end887:
	.size	_ZN7rocprim17ROCPRIM_400000_NS6detail17trampoline_kernelINS0_14default_configENS1_29reduce_by_key_config_selectorIjyN6thrust23THRUST_200600_302600_NS4plusIyEEEEZZNS1_33reduce_by_key_impl_wrapped_configILNS1_25lookback_scan_determinismE0ES3_S9_NS6_6detail15normal_iteratorINS6_10device_ptrIjEEEENSD_INSE_IyEEEENS6_16discard_iteratorINS6_11use_defaultEEESI_PmS8_NS6_8equal_toIjEEEE10hipError_tPvRmT2_T3_mT4_T5_T6_T7_T8_P12ihipStream_tbENKUlT_T0_E_clISt17integral_constantIbLb1EES16_EEDaS11_S12_EUlS11_E_NS1_11comp_targetILNS1_3genE5ELNS1_11target_archE942ELNS1_3gpuE9ELNS1_3repE0EEENS1_30default_config_static_selectorELNS0_4arch9wavefront6targetE0EEEvT1_, .Lfunc_end887-_ZN7rocprim17ROCPRIM_400000_NS6detail17trampoline_kernelINS0_14default_configENS1_29reduce_by_key_config_selectorIjyN6thrust23THRUST_200600_302600_NS4plusIyEEEEZZNS1_33reduce_by_key_impl_wrapped_configILNS1_25lookback_scan_determinismE0ES3_S9_NS6_6detail15normal_iteratorINS6_10device_ptrIjEEEENSD_INSE_IyEEEENS6_16discard_iteratorINS6_11use_defaultEEESI_PmS8_NS6_8equal_toIjEEEE10hipError_tPvRmT2_T3_mT4_T5_T6_T7_T8_P12ihipStream_tbENKUlT_T0_E_clISt17integral_constantIbLb1EES16_EEDaS11_S12_EUlS11_E_NS1_11comp_targetILNS1_3genE5ELNS1_11target_archE942ELNS1_3gpuE9ELNS1_3repE0EEENS1_30default_config_static_selectorELNS0_4arch9wavefront6targetE0EEEvT1_
                                        ; -- End function
	.section	.AMDGPU.csdata,"",@progbits
; Kernel info:
; codeLenInByte = 0
; NumSgprs: 0
; NumVgprs: 0
; ScratchSize: 0
; MemoryBound: 0
; FloatMode: 240
; IeeeMode: 1
; LDSByteSize: 0 bytes/workgroup (compile time only)
; SGPRBlocks: 0
; VGPRBlocks: 0
; NumSGPRsForWavesPerEU: 1
; NumVGPRsForWavesPerEU: 1
; Occupancy: 16
; WaveLimiterHint : 0
; COMPUTE_PGM_RSRC2:SCRATCH_EN: 0
; COMPUTE_PGM_RSRC2:USER_SGPR: 15
; COMPUTE_PGM_RSRC2:TRAP_HANDLER: 0
; COMPUTE_PGM_RSRC2:TGID_X_EN: 1
; COMPUTE_PGM_RSRC2:TGID_Y_EN: 0
; COMPUTE_PGM_RSRC2:TGID_Z_EN: 0
; COMPUTE_PGM_RSRC2:TIDIG_COMP_CNT: 0
	.section	.text._ZN7rocprim17ROCPRIM_400000_NS6detail17trampoline_kernelINS0_14default_configENS1_29reduce_by_key_config_selectorIjyN6thrust23THRUST_200600_302600_NS4plusIyEEEEZZNS1_33reduce_by_key_impl_wrapped_configILNS1_25lookback_scan_determinismE0ES3_S9_NS6_6detail15normal_iteratorINS6_10device_ptrIjEEEENSD_INSE_IyEEEENS6_16discard_iteratorINS6_11use_defaultEEESI_PmS8_NS6_8equal_toIjEEEE10hipError_tPvRmT2_T3_mT4_T5_T6_T7_T8_P12ihipStream_tbENKUlT_T0_E_clISt17integral_constantIbLb1EES16_EEDaS11_S12_EUlS11_E_NS1_11comp_targetILNS1_3genE4ELNS1_11target_archE910ELNS1_3gpuE8ELNS1_3repE0EEENS1_30default_config_static_selectorELNS0_4arch9wavefront6targetE0EEEvT1_,"axG",@progbits,_ZN7rocprim17ROCPRIM_400000_NS6detail17trampoline_kernelINS0_14default_configENS1_29reduce_by_key_config_selectorIjyN6thrust23THRUST_200600_302600_NS4plusIyEEEEZZNS1_33reduce_by_key_impl_wrapped_configILNS1_25lookback_scan_determinismE0ES3_S9_NS6_6detail15normal_iteratorINS6_10device_ptrIjEEEENSD_INSE_IyEEEENS6_16discard_iteratorINS6_11use_defaultEEESI_PmS8_NS6_8equal_toIjEEEE10hipError_tPvRmT2_T3_mT4_T5_T6_T7_T8_P12ihipStream_tbENKUlT_T0_E_clISt17integral_constantIbLb1EES16_EEDaS11_S12_EUlS11_E_NS1_11comp_targetILNS1_3genE4ELNS1_11target_archE910ELNS1_3gpuE8ELNS1_3repE0EEENS1_30default_config_static_selectorELNS0_4arch9wavefront6targetE0EEEvT1_,comdat
	.protected	_ZN7rocprim17ROCPRIM_400000_NS6detail17trampoline_kernelINS0_14default_configENS1_29reduce_by_key_config_selectorIjyN6thrust23THRUST_200600_302600_NS4plusIyEEEEZZNS1_33reduce_by_key_impl_wrapped_configILNS1_25lookback_scan_determinismE0ES3_S9_NS6_6detail15normal_iteratorINS6_10device_ptrIjEEEENSD_INSE_IyEEEENS6_16discard_iteratorINS6_11use_defaultEEESI_PmS8_NS6_8equal_toIjEEEE10hipError_tPvRmT2_T3_mT4_T5_T6_T7_T8_P12ihipStream_tbENKUlT_T0_E_clISt17integral_constantIbLb1EES16_EEDaS11_S12_EUlS11_E_NS1_11comp_targetILNS1_3genE4ELNS1_11target_archE910ELNS1_3gpuE8ELNS1_3repE0EEENS1_30default_config_static_selectorELNS0_4arch9wavefront6targetE0EEEvT1_ ; -- Begin function _ZN7rocprim17ROCPRIM_400000_NS6detail17trampoline_kernelINS0_14default_configENS1_29reduce_by_key_config_selectorIjyN6thrust23THRUST_200600_302600_NS4plusIyEEEEZZNS1_33reduce_by_key_impl_wrapped_configILNS1_25lookback_scan_determinismE0ES3_S9_NS6_6detail15normal_iteratorINS6_10device_ptrIjEEEENSD_INSE_IyEEEENS6_16discard_iteratorINS6_11use_defaultEEESI_PmS8_NS6_8equal_toIjEEEE10hipError_tPvRmT2_T3_mT4_T5_T6_T7_T8_P12ihipStream_tbENKUlT_T0_E_clISt17integral_constantIbLb1EES16_EEDaS11_S12_EUlS11_E_NS1_11comp_targetILNS1_3genE4ELNS1_11target_archE910ELNS1_3gpuE8ELNS1_3repE0EEENS1_30default_config_static_selectorELNS0_4arch9wavefront6targetE0EEEvT1_
	.globl	_ZN7rocprim17ROCPRIM_400000_NS6detail17trampoline_kernelINS0_14default_configENS1_29reduce_by_key_config_selectorIjyN6thrust23THRUST_200600_302600_NS4plusIyEEEEZZNS1_33reduce_by_key_impl_wrapped_configILNS1_25lookback_scan_determinismE0ES3_S9_NS6_6detail15normal_iteratorINS6_10device_ptrIjEEEENSD_INSE_IyEEEENS6_16discard_iteratorINS6_11use_defaultEEESI_PmS8_NS6_8equal_toIjEEEE10hipError_tPvRmT2_T3_mT4_T5_T6_T7_T8_P12ihipStream_tbENKUlT_T0_E_clISt17integral_constantIbLb1EES16_EEDaS11_S12_EUlS11_E_NS1_11comp_targetILNS1_3genE4ELNS1_11target_archE910ELNS1_3gpuE8ELNS1_3repE0EEENS1_30default_config_static_selectorELNS0_4arch9wavefront6targetE0EEEvT1_
	.p2align	8
	.type	_ZN7rocprim17ROCPRIM_400000_NS6detail17trampoline_kernelINS0_14default_configENS1_29reduce_by_key_config_selectorIjyN6thrust23THRUST_200600_302600_NS4plusIyEEEEZZNS1_33reduce_by_key_impl_wrapped_configILNS1_25lookback_scan_determinismE0ES3_S9_NS6_6detail15normal_iteratorINS6_10device_ptrIjEEEENSD_INSE_IyEEEENS6_16discard_iteratorINS6_11use_defaultEEESI_PmS8_NS6_8equal_toIjEEEE10hipError_tPvRmT2_T3_mT4_T5_T6_T7_T8_P12ihipStream_tbENKUlT_T0_E_clISt17integral_constantIbLb1EES16_EEDaS11_S12_EUlS11_E_NS1_11comp_targetILNS1_3genE4ELNS1_11target_archE910ELNS1_3gpuE8ELNS1_3repE0EEENS1_30default_config_static_selectorELNS0_4arch9wavefront6targetE0EEEvT1_,@function
_ZN7rocprim17ROCPRIM_400000_NS6detail17trampoline_kernelINS0_14default_configENS1_29reduce_by_key_config_selectorIjyN6thrust23THRUST_200600_302600_NS4plusIyEEEEZZNS1_33reduce_by_key_impl_wrapped_configILNS1_25lookback_scan_determinismE0ES3_S9_NS6_6detail15normal_iteratorINS6_10device_ptrIjEEEENSD_INSE_IyEEEENS6_16discard_iteratorINS6_11use_defaultEEESI_PmS8_NS6_8equal_toIjEEEE10hipError_tPvRmT2_T3_mT4_T5_T6_T7_T8_P12ihipStream_tbENKUlT_T0_E_clISt17integral_constantIbLb1EES16_EEDaS11_S12_EUlS11_E_NS1_11comp_targetILNS1_3genE4ELNS1_11target_archE910ELNS1_3gpuE8ELNS1_3repE0EEENS1_30default_config_static_selectorELNS0_4arch9wavefront6targetE0EEEvT1_: ; @_ZN7rocprim17ROCPRIM_400000_NS6detail17trampoline_kernelINS0_14default_configENS1_29reduce_by_key_config_selectorIjyN6thrust23THRUST_200600_302600_NS4plusIyEEEEZZNS1_33reduce_by_key_impl_wrapped_configILNS1_25lookback_scan_determinismE0ES3_S9_NS6_6detail15normal_iteratorINS6_10device_ptrIjEEEENSD_INSE_IyEEEENS6_16discard_iteratorINS6_11use_defaultEEESI_PmS8_NS6_8equal_toIjEEEE10hipError_tPvRmT2_T3_mT4_T5_T6_T7_T8_P12ihipStream_tbENKUlT_T0_E_clISt17integral_constantIbLb1EES16_EEDaS11_S12_EUlS11_E_NS1_11comp_targetILNS1_3genE4ELNS1_11target_archE910ELNS1_3gpuE8ELNS1_3repE0EEENS1_30default_config_static_selectorELNS0_4arch9wavefront6targetE0EEEvT1_
; %bb.0:
	.section	.rodata,"a",@progbits
	.p2align	6, 0x0
	.amdhsa_kernel _ZN7rocprim17ROCPRIM_400000_NS6detail17trampoline_kernelINS0_14default_configENS1_29reduce_by_key_config_selectorIjyN6thrust23THRUST_200600_302600_NS4plusIyEEEEZZNS1_33reduce_by_key_impl_wrapped_configILNS1_25lookback_scan_determinismE0ES3_S9_NS6_6detail15normal_iteratorINS6_10device_ptrIjEEEENSD_INSE_IyEEEENS6_16discard_iteratorINS6_11use_defaultEEESI_PmS8_NS6_8equal_toIjEEEE10hipError_tPvRmT2_T3_mT4_T5_T6_T7_T8_P12ihipStream_tbENKUlT_T0_E_clISt17integral_constantIbLb1EES16_EEDaS11_S12_EUlS11_E_NS1_11comp_targetILNS1_3genE4ELNS1_11target_archE910ELNS1_3gpuE8ELNS1_3repE0EEENS1_30default_config_static_selectorELNS0_4arch9wavefront6targetE0EEEvT1_
		.amdhsa_group_segment_fixed_size 0
		.amdhsa_private_segment_fixed_size 0
		.amdhsa_kernarg_size 144
		.amdhsa_user_sgpr_count 15
		.amdhsa_user_sgpr_dispatch_ptr 0
		.amdhsa_user_sgpr_queue_ptr 0
		.amdhsa_user_sgpr_kernarg_segment_ptr 1
		.amdhsa_user_sgpr_dispatch_id 0
		.amdhsa_user_sgpr_private_segment_size 0
		.amdhsa_wavefront_size32 1
		.amdhsa_uses_dynamic_stack 0
		.amdhsa_enable_private_segment 0
		.amdhsa_system_sgpr_workgroup_id_x 1
		.amdhsa_system_sgpr_workgroup_id_y 0
		.amdhsa_system_sgpr_workgroup_id_z 0
		.amdhsa_system_sgpr_workgroup_info 0
		.amdhsa_system_vgpr_workitem_id 0
		.amdhsa_next_free_vgpr 1
		.amdhsa_next_free_sgpr 1
		.amdhsa_reserve_vcc 0
		.amdhsa_float_round_mode_32 0
		.amdhsa_float_round_mode_16_64 0
		.amdhsa_float_denorm_mode_32 3
		.amdhsa_float_denorm_mode_16_64 3
		.amdhsa_dx10_clamp 1
		.amdhsa_ieee_mode 1
		.amdhsa_fp16_overflow 0
		.amdhsa_workgroup_processor_mode 1
		.amdhsa_memory_ordered 1
		.amdhsa_forward_progress 0
		.amdhsa_shared_vgpr_count 0
		.amdhsa_exception_fp_ieee_invalid_op 0
		.amdhsa_exception_fp_denorm_src 0
		.amdhsa_exception_fp_ieee_div_zero 0
		.amdhsa_exception_fp_ieee_overflow 0
		.amdhsa_exception_fp_ieee_underflow 0
		.amdhsa_exception_fp_ieee_inexact 0
		.amdhsa_exception_int_div_zero 0
	.end_amdhsa_kernel
	.section	.text._ZN7rocprim17ROCPRIM_400000_NS6detail17trampoline_kernelINS0_14default_configENS1_29reduce_by_key_config_selectorIjyN6thrust23THRUST_200600_302600_NS4plusIyEEEEZZNS1_33reduce_by_key_impl_wrapped_configILNS1_25lookback_scan_determinismE0ES3_S9_NS6_6detail15normal_iteratorINS6_10device_ptrIjEEEENSD_INSE_IyEEEENS6_16discard_iteratorINS6_11use_defaultEEESI_PmS8_NS6_8equal_toIjEEEE10hipError_tPvRmT2_T3_mT4_T5_T6_T7_T8_P12ihipStream_tbENKUlT_T0_E_clISt17integral_constantIbLb1EES16_EEDaS11_S12_EUlS11_E_NS1_11comp_targetILNS1_3genE4ELNS1_11target_archE910ELNS1_3gpuE8ELNS1_3repE0EEENS1_30default_config_static_selectorELNS0_4arch9wavefront6targetE0EEEvT1_,"axG",@progbits,_ZN7rocprim17ROCPRIM_400000_NS6detail17trampoline_kernelINS0_14default_configENS1_29reduce_by_key_config_selectorIjyN6thrust23THRUST_200600_302600_NS4plusIyEEEEZZNS1_33reduce_by_key_impl_wrapped_configILNS1_25lookback_scan_determinismE0ES3_S9_NS6_6detail15normal_iteratorINS6_10device_ptrIjEEEENSD_INSE_IyEEEENS6_16discard_iteratorINS6_11use_defaultEEESI_PmS8_NS6_8equal_toIjEEEE10hipError_tPvRmT2_T3_mT4_T5_T6_T7_T8_P12ihipStream_tbENKUlT_T0_E_clISt17integral_constantIbLb1EES16_EEDaS11_S12_EUlS11_E_NS1_11comp_targetILNS1_3genE4ELNS1_11target_archE910ELNS1_3gpuE8ELNS1_3repE0EEENS1_30default_config_static_selectorELNS0_4arch9wavefront6targetE0EEEvT1_,comdat
.Lfunc_end888:
	.size	_ZN7rocprim17ROCPRIM_400000_NS6detail17trampoline_kernelINS0_14default_configENS1_29reduce_by_key_config_selectorIjyN6thrust23THRUST_200600_302600_NS4plusIyEEEEZZNS1_33reduce_by_key_impl_wrapped_configILNS1_25lookback_scan_determinismE0ES3_S9_NS6_6detail15normal_iteratorINS6_10device_ptrIjEEEENSD_INSE_IyEEEENS6_16discard_iteratorINS6_11use_defaultEEESI_PmS8_NS6_8equal_toIjEEEE10hipError_tPvRmT2_T3_mT4_T5_T6_T7_T8_P12ihipStream_tbENKUlT_T0_E_clISt17integral_constantIbLb1EES16_EEDaS11_S12_EUlS11_E_NS1_11comp_targetILNS1_3genE4ELNS1_11target_archE910ELNS1_3gpuE8ELNS1_3repE0EEENS1_30default_config_static_selectorELNS0_4arch9wavefront6targetE0EEEvT1_, .Lfunc_end888-_ZN7rocprim17ROCPRIM_400000_NS6detail17trampoline_kernelINS0_14default_configENS1_29reduce_by_key_config_selectorIjyN6thrust23THRUST_200600_302600_NS4plusIyEEEEZZNS1_33reduce_by_key_impl_wrapped_configILNS1_25lookback_scan_determinismE0ES3_S9_NS6_6detail15normal_iteratorINS6_10device_ptrIjEEEENSD_INSE_IyEEEENS6_16discard_iteratorINS6_11use_defaultEEESI_PmS8_NS6_8equal_toIjEEEE10hipError_tPvRmT2_T3_mT4_T5_T6_T7_T8_P12ihipStream_tbENKUlT_T0_E_clISt17integral_constantIbLb1EES16_EEDaS11_S12_EUlS11_E_NS1_11comp_targetILNS1_3genE4ELNS1_11target_archE910ELNS1_3gpuE8ELNS1_3repE0EEENS1_30default_config_static_selectorELNS0_4arch9wavefront6targetE0EEEvT1_
                                        ; -- End function
	.section	.AMDGPU.csdata,"",@progbits
; Kernel info:
; codeLenInByte = 0
; NumSgprs: 0
; NumVgprs: 0
; ScratchSize: 0
; MemoryBound: 0
; FloatMode: 240
; IeeeMode: 1
; LDSByteSize: 0 bytes/workgroup (compile time only)
; SGPRBlocks: 0
; VGPRBlocks: 0
; NumSGPRsForWavesPerEU: 1
; NumVGPRsForWavesPerEU: 1
; Occupancy: 16
; WaveLimiterHint : 0
; COMPUTE_PGM_RSRC2:SCRATCH_EN: 0
; COMPUTE_PGM_RSRC2:USER_SGPR: 15
; COMPUTE_PGM_RSRC2:TRAP_HANDLER: 0
; COMPUTE_PGM_RSRC2:TGID_X_EN: 1
; COMPUTE_PGM_RSRC2:TGID_Y_EN: 0
; COMPUTE_PGM_RSRC2:TGID_Z_EN: 0
; COMPUTE_PGM_RSRC2:TIDIG_COMP_CNT: 0
	.section	.text._ZN7rocprim17ROCPRIM_400000_NS6detail17trampoline_kernelINS0_14default_configENS1_29reduce_by_key_config_selectorIjyN6thrust23THRUST_200600_302600_NS4plusIyEEEEZZNS1_33reduce_by_key_impl_wrapped_configILNS1_25lookback_scan_determinismE0ES3_S9_NS6_6detail15normal_iteratorINS6_10device_ptrIjEEEENSD_INSE_IyEEEENS6_16discard_iteratorINS6_11use_defaultEEESI_PmS8_NS6_8equal_toIjEEEE10hipError_tPvRmT2_T3_mT4_T5_T6_T7_T8_P12ihipStream_tbENKUlT_T0_E_clISt17integral_constantIbLb1EES16_EEDaS11_S12_EUlS11_E_NS1_11comp_targetILNS1_3genE3ELNS1_11target_archE908ELNS1_3gpuE7ELNS1_3repE0EEENS1_30default_config_static_selectorELNS0_4arch9wavefront6targetE0EEEvT1_,"axG",@progbits,_ZN7rocprim17ROCPRIM_400000_NS6detail17trampoline_kernelINS0_14default_configENS1_29reduce_by_key_config_selectorIjyN6thrust23THRUST_200600_302600_NS4plusIyEEEEZZNS1_33reduce_by_key_impl_wrapped_configILNS1_25lookback_scan_determinismE0ES3_S9_NS6_6detail15normal_iteratorINS6_10device_ptrIjEEEENSD_INSE_IyEEEENS6_16discard_iteratorINS6_11use_defaultEEESI_PmS8_NS6_8equal_toIjEEEE10hipError_tPvRmT2_T3_mT4_T5_T6_T7_T8_P12ihipStream_tbENKUlT_T0_E_clISt17integral_constantIbLb1EES16_EEDaS11_S12_EUlS11_E_NS1_11comp_targetILNS1_3genE3ELNS1_11target_archE908ELNS1_3gpuE7ELNS1_3repE0EEENS1_30default_config_static_selectorELNS0_4arch9wavefront6targetE0EEEvT1_,comdat
	.protected	_ZN7rocprim17ROCPRIM_400000_NS6detail17trampoline_kernelINS0_14default_configENS1_29reduce_by_key_config_selectorIjyN6thrust23THRUST_200600_302600_NS4plusIyEEEEZZNS1_33reduce_by_key_impl_wrapped_configILNS1_25lookback_scan_determinismE0ES3_S9_NS6_6detail15normal_iteratorINS6_10device_ptrIjEEEENSD_INSE_IyEEEENS6_16discard_iteratorINS6_11use_defaultEEESI_PmS8_NS6_8equal_toIjEEEE10hipError_tPvRmT2_T3_mT4_T5_T6_T7_T8_P12ihipStream_tbENKUlT_T0_E_clISt17integral_constantIbLb1EES16_EEDaS11_S12_EUlS11_E_NS1_11comp_targetILNS1_3genE3ELNS1_11target_archE908ELNS1_3gpuE7ELNS1_3repE0EEENS1_30default_config_static_selectorELNS0_4arch9wavefront6targetE0EEEvT1_ ; -- Begin function _ZN7rocprim17ROCPRIM_400000_NS6detail17trampoline_kernelINS0_14default_configENS1_29reduce_by_key_config_selectorIjyN6thrust23THRUST_200600_302600_NS4plusIyEEEEZZNS1_33reduce_by_key_impl_wrapped_configILNS1_25lookback_scan_determinismE0ES3_S9_NS6_6detail15normal_iteratorINS6_10device_ptrIjEEEENSD_INSE_IyEEEENS6_16discard_iteratorINS6_11use_defaultEEESI_PmS8_NS6_8equal_toIjEEEE10hipError_tPvRmT2_T3_mT4_T5_T6_T7_T8_P12ihipStream_tbENKUlT_T0_E_clISt17integral_constantIbLb1EES16_EEDaS11_S12_EUlS11_E_NS1_11comp_targetILNS1_3genE3ELNS1_11target_archE908ELNS1_3gpuE7ELNS1_3repE0EEENS1_30default_config_static_selectorELNS0_4arch9wavefront6targetE0EEEvT1_
	.globl	_ZN7rocprim17ROCPRIM_400000_NS6detail17trampoline_kernelINS0_14default_configENS1_29reduce_by_key_config_selectorIjyN6thrust23THRUST_200600_302600_NS4plusIyEEEEZZNS1_33reduce_by_key_impl_wrapped_configILNS1_25lookback_scan_determinismE0ES3_S9_NS6_6detail15normal_iteratorINS6_10device_ptrIjEEEENSD_INSE_IyEEEENS6_16discard_iteratorINS6_11use_defaultEEESI_PmS8_NS6_8equal_toIjEEEE10hipError_tPvRmT2_T3_mT4_T5_T6_T7_T8_P12ihipStream_tbENKUlT_T0_E_clISt17integral_constantIbLb1EES16_EEDaS11_S12_EUlS11_E_NS1_11comp_targetILNS1_3genE3ELNS1_11target_archE908ELNS1_3gpuE7ELNS1_3repE0EEENS1_30default_config_static_selectorELNS0_4arch9wavefront6targetE0EEEvT1_
	.p2align	8
	.type	_ZN7rocprim17ROCPRIM_400000_NS6detail17trampoline_kernelINS0_14default_configENS1_29reduce_by_key_config_selectorIjyN6thrust23THRUST_200600_302600_NS4plusIyEEEEZZNS1_33reduce_by_key_impl_wrapped_configILNS1_25lookback_scan_determinismE0ES3_S9_NS6_6detail15normal_iteratorINS6_10device_ptrIjEEEENSD_INSE_IyEEEENS6_16discard_iteratorINS6_11use_defaultEEESI_PmS8_NS6_8equal_toIjEEEE10hipError_tPvRmT2_T3_mT4_T5_T6_T7_T8_P12ihipStream_tbENKUlT_T0_E_clISt17integral_constantIbLb1EES16_EEDaS11_S12_EUlS11_E_NS1_11comp_targetILNS1_3genE3ELNS1_11target_archE908ELNS1_3gpuE7ELNS1_3repE0EEENS1_30default_config_static_selectorELNS0_4arch9wavefront6targetE0EEEvT1_,@function
_ZN7rocprim17ROCPRIM_400000_NS6detail17trampoline_kernelINS0_14default_configENS1_29reduce_by_key_config_selectorIjyN6thrust23THRUST_200600_302600_NS4plusIyEEEEZZNS1_33reduce_by_key_impl_wrapped_configILNS1_25lookback_scan_determinismE0ES3_S9_NS6_6detail15normal_iteratorINS6_10device_ptrIjEEEENSD_INSE_IyEEEENS6_16discard_iteratorINS6_11use_defaultEEESI_PmS8_NS6_8equal_toIjEEEE10hipError_tPvRmT2_T3_mT4_T5_T6_T7_T8_P12ihipStream_tbENKUlT_T0_E_clISt17integral_constantIbLb1EES16_EEDaS11_S12_EUlS11_E_NS1_11comp_targetILNS1_3genE3ELNS1_11target_archE908ELNS1_3gpuE7ELNS1_3repE0EEENS1_30default_config_static_selectorELNS0_4arch9wavefront6targetE0EEEvT1_: ; @_ZN7rocprim17ROCPRIM_400000_NS6detail17trampoline_kernelINS0_14default_configENS1_29reduce_by_key_config_selectorIjyN6thrust23THRUST_200600_302600_NS4plusIyEEEEZZNS1_33reduce_by_key_impl_wrapped_configILNS1_25lookback_scan_determinismE0ES3_S9_NS6_6detail15normal_iteratorINS6_10device_ptrIjEEEENSD_INSE_IyEEEENS6_16discard_iteratorINS6_11use_defaultEEESI_PmS8_NS6_8equal_toIjEEEE10hipError_tPvRmT2_T3_mT4_T5_T6_T7_T8_P12ihipStream_tbENKUlT_T0_E_clISt17integral_constantIbLb1EES16_EEDaS11_S12_EUlS11_E_NS1_11comp_targetILNS1_3genE3ELNS1_11target_archE908ELNS1_3gpuE7ELNS1_3repE0EEENS1_30default_config_static_selectorELNS0_4arch9wavefront6targetE0EEEvT1_
; %bb.0:
	.section	.rodata,"a",@progbits
	.p2align	6, 0x0
	.amdhsa_kernel _ZN7rocprim17ROCPRIM_400000_NS6detail17trampoline_kernelINS0_14default_configENS1_29reduce_by_key_config_selectorIjyN6thrust23THRUST_200600_302600_NS4plusIyEEEEZZNS1_33reduce_by_key_impl_wrapped_configILNS1_25lookback_scan_determinismE0ES3_S9_NS6_6detail15normal_iteratorINS6_10device_ptrIjEEEENSD_INSE_IyEEEENS6_16discard_iteratorINS6_11use_defaultEEESI_PmS8_NS6_8equal_toIjEEEE10hipError_tPvRmT2_T3_mT4_T5_T6_T7_T8_P12ihipStream_tbENKUlT_T0_E_clISt17integral_constantIbLb1EES16_EEDaS11_S12_EUlS11_E_NS1_11comp_targetILNS1_3genE3ELNS1_11target_archE908ELNS1_3gpuE7ELNS1_3repE0EEENS1_30default_config_static_selectorELNS0_4arch9wavefront6targetE0EEEvT1_
		.amdhsa_group_segment_fixed_size 0
		.amdhsa_private_segment_fixed_size 0
		.amdhsa_kernarg_size 144
		.amdhsa_user_sgpr_count 15
		.amdhsa_user_sgpr_dispatch_ptr 0
		.amdhsa_user_sgpr_queue_ptr 0
		.amdhsa_user_sgpr_kernarg_segment_ptr 1
		.amdhsa_user_sgpr_dispatch_id 0
		.amdhsa_user_sgpr_private_segment_size 0
		.amdhsa_wavefront_size32 1
		.amdhsa_uses_dynamic_stack 0
		.amdhsa_enable_private_segment 0
		.amdhsa_system_sgpr_workgroup_id_x 1
		.amdhsa_system_sgpr_workgroup_id_y 0
		.amdhsa_system_sgpr_workgroup_id_z 0
		.amdhsa_system_sgpr_workgroup_info 0
		.amdhsa_system_vgpr_workitem_id 0
		.amdhsa_next_free_vgpr 1
		.amdhsa_next_free_sgpr 1
		.amdhsa_reserve_vcc 0
		.amdhsa_float_round_mode_32 0
		.amdhsa_float_round_mode_16_64 0
		.amdhsa_float_denorm_mode_32 3
		.amdhsa_float_denorm_mode_16_64 3
		.amdhsa_dx10_clamp 1
		.amdhsa_ieee_mode 1
		.amdhsa_fp16_overflow 0
		.amdhsa_workgroup_processor_mode 1
		.amdhsa_memory_ordered 1
		.amdhsa_forward_progress 0
		.amdhsa_shared_vgpr_count 0
		.amdhsa_exception_fp_ieee_invalid_op 0
		.amdhsa_exception_fp_denorm_src 0
		.amdhsa_exception_fp_ieee_div_zero 0
		.amdhsa_exception_fp_ieee_overflow 0
		.amdhsa_exception_fp_ieee_underflow 0
		.amdhsa_exception_fp_ieee_inexact 0
		.amdhsa_exception_int_div_zero 0
	.end_amdhsa_kernel
	.section	.text._ZN7rocprim17ROCPRIM_400000_NS6detail17trampoline_kernelINS0_14default_configENS1_29reduce_by_key_config_selectorIjyN6thrust23THRUST_200600_302600_NS4plusIyEEEEZZNS1_33reduce_by_key_impl_wrapped_configILNS1_25lookback_scan_determinismE0ES3_S9_NS6_6detail15normal_iteratorINS6_10device_ptrIjEEEENSD_INSE_IyEEEENS6_16discard_iteratorINS6_11use_defaultEEESI_PmS8_NS6_8equal_toIjEEEE10hipError_tPvRmT2_T3_mT4_T5_T6_T7_T8_P12ihipStream_tbENKUlT_T0_E_clISt17integral_constantIbLb1EES16_EEDaS11_S12_EUlS11_E_NS1_11comp_targetILNS1_3genE3ELNS1_11target_archE908ELNS1_3gpuE7ELNS1_3repE0EEENS1_30default_config_static_selectorELNS0_4arch9wavefront6targetE0EEEvT1_,"axG",@progbits,_ZN7rocprim17ROCPRIM_400000_NS6detail17trampoline_kernelINS0_14default_configENS1_29reduce_by_key_config_selectorIjyN6thrust23THRUST_200600_302600_NS4plusIyEEEEZZNS1_33reduce_by_key_impl_wrapped_configILNS1_25lookback_scan_determinismE0ES3_S9_NS6_6detail15normal_iteratorINS6_10device_ptrIjEEEENSD_INSE_IyEEEENS6_16discard_iteratorINS6_11use_defaultEEESI_PmS8_NS6_8equal_toIjEEEE10hipError_tPvRmT2_T3_mT4_T5_T6_T7_T8_P12ihipStream_tbENKUlT_T0_E_clISt17integral_constantIbLb1EES16_EEDaS11_S12_EUlS11_E_NS1_11comp_targetILNS1_3genE3ELNS1_11target_archE908ELNS1_3gpuE7ELNS1_3repE0EEENS1_30default_config_static_selectorELNS0_4arch9wavefront6targetE0EEEvT1_,comdat
.Lfunc_end889:
	.size	_ZN7rocprim17ROCPRIM_400000_NS6detail17trampoline_kernelINS0_14default_configENS1_29reduce_by_key_config_selectorIjyN6thrust23THRUST_200600_302600_NS4plusIyEEEEZZNS1_33reduce_by_key_impl_wrapped_configILNS1_25lookback_scan_determinismE0ES3_S9_NS6_6detail15normal_iteratorINS6_10device_ptrIjEEEENSD_INSE_IyEEEENS6_16discard_iteratorINS6_11use_defaultEEESI_PmS8_NS6_8equal_toIjEEEE10hipError_tPvRmT2_T3_mT4_T5_T6_T7_T8_P12ihipStream_tbENKUlT_T0_E_clISt17integral_constantIbLb1EES16_EEDaS11_S12_EUlS11_E_NS1_11comp_targetILNS1_3genE3ELNS1_11target_archE908ELNS1_3gpuE7ELNS1_3repE0EEENS1_30default_config_static_selectorELNS0_4arch9wavefront6targetE0EEEvT1_, .Lfunc_end889-_ZN7rocprim17ROCPRIM_400000_NS6detail17trampoline_kernelINS0_14default_configENS1_29reduce_by_key_config_selectorIjyN6thrust23THRUST_200600_302600_NS4plusIyEEEEZZNS1_33reduce_by_key_impl_wrapped_configILNS1_25lookback_scan_determinismE0ES3_S9_NS6_6detail15normal_iteratorINS6_10device_ptrIjEEEENSD_INSE_IyEEEENS6_16discard_iteratorINS6_11use_defaultEEESI_PmS8_NS6_8equal_toIjEEEE10hipError_tPvRmT2_T3_mT4_T5_T6_T7_T8_P12ihipStream_tbENKUlT_T0_E_clISt17integral_constantIbLb1EES16_EEDaS11_S12_EUlS11_E_NS1_11comp_targetILNS1_3genE3ELNS1_11target_archE908ELNS1_3gpuE7ELNS1_3repE0EEENS1_30default_config_static_selectorELNS0_4arch9wavefront6targetE0EEEvT1_
                                        ; -- End function
	.section	.AMDGPU.csdata,"",@progbits
; Kernel info:
; codeLenInByte = 0
; NumSgprs: 0
; NumVgprs: 0
; ScratchSize: 0
; MemoryBound: 0
; FloatMode: 240
; IeeeMode: 1
; LDSByteSize: 0 bytes/workgroup (compile time only)
; SGPRBlocks: 0
; VGPRBlocks: 0
; NumSGPRsForWavesPerEU: 1
; NumVGPRsForWavesPerEU: 1
; Occupancy: 16
; WaveLimiterHint : 0
; COMPUTE_PGM_RSRC2:SCRATCH_EN: 0
; COMPUTE_PGM_RSRC2:USER_SGPR: 15
; COMPUTE_PGM_RSRC2:TRAP_HANDLER: 0
; COMPUTE_PGM_RSRC2:TGID_X_EN: 1
; COMPUTE_PGM_RSRC2:TGID_Y_EN: 0
; COMPUTE_PGM_RSRC2:TGID_Z_EN: 0
; COMPUTE_PGM_RSRC2:TIDIG_COMP_CNT: 0
	.section	.text._ZN7rocprim17ROCPRIM_400000_NS6detail17trampoline_kernelINS0_14default_configENS1_29reduce_by_key_config_selectorIjyN6thrust23THRUST_200600_302600_NS4plusIyEEEEZZNS1_33reduce_by_key_impl_wrapped_configILNS1_25lookback_scan_determinismE0ES3_S9_NS6_6detail15normal_iteratorINS6_10device_ptrIjEEEENSD_INSE_IyEEEENS6_16discard_iteratorINS6_11use_defaultEEESI_PmS8_NS6_8equal_toIjEEEE10hipError_tPvRmT2_T3_mT4_T5_T6_T7_T8_P12ihipStream_tbENKUlT_T0_E_clISt17integral_constantIbLb1EES16_EEDaS11_S12_EUlS11_E_NS1_11comp_targetILNS1_3genE2ELNS1_11target_archE906ELNS1_3gpuE6ELNS1_3repE0EEENS1_30default_config_static_selectorELNS0_4arch9wavefront6targetE0EEEvT1_,"axG",@progbits,_ZN7rocprim17ROCPRIM_400000_NS6detail17trampoline_kernelINS0_14default_configENS1_29reduce_by_key_config_selectorIjyN6thrust23THRUST_200600_302600_NS4plusIyEEEEZZNS1_33reduce_by_key_impl_wrapped_configILNS1_25lookback_scan_determinismE0ES3_S9_NS6_6detail15normal_iteratorINS6_10device_ptrIjEEEENSD_INSE_IyEEEENS6_16discard_iteratorINS6_11use_defaultEEESI_PmS8_NS6_8equal_toIjEEEE10hipError_tPvRmT2_T3_mT4_T5_T6_T7_T8_P12ihipStream_tbENKUlT_T0_E_clISt17integral_constantIbLb1EES16_EEDaS11_S12_EUlS11_E_NS1_11comp_targetILNS1_3genE2ELNS1_11target_archE906ELNS1_3gpuE6ELNS1_3repE0EEENS1_30default_config_static_selectorELNS0_4arch9wavefront6targetE0EEEvT1_,comdat
	.protected	_ZN7rocprim17ROCPRIM_400000_NS6detail17trampoline_kernelINS0_14default_configENS1_29reduce_by_key_config_selectorIjyN6thrust23THRUST_200600_302600_NS4plusIyEEEEZZNS1_33reduce_by_key_impl_wrapped_configILNS1_25lookback_scan_determinismE0ES3_S9_NS6_6detail15normal_iteratorINS6_10device_ptrIjEEEENSD_INSE_IyEEEENS6_16discard_iteratorINS6_11use_defaultEEESI_PmS8_NS6_8equal_toIjEEEE10hipError_tPvRmT2_T3_mT4_T5_T6_T7_T8_P12ihipStream_tbENKUlT_T0_E_clISt17integral_constantIbLb1EES16_EEDaS11_S12_EUlS11_E_NS1_11comp_targetILNS1_3genE2ELNS1_11target_archE906ELNS1_3gpuE6ELNS1_3repE0EEENS1_30default_config_static_selectorELNS0_4arch9wavefront6targetE0EEEvT1_ ; -- Begin function _ZN7rocprim17ROCPRIM_400000_NS6detail17trampoline_kernelINS0_14default_configENS1_29reduce_by_key_config_selectorIjyN6thrust23THRUST_200600_302600_NS4plusIyEEEEZZNS1_33reduce_by_key_impl_wrapped_configILNS1_25lookback_scan_determinismE0ES3_S9_NS6_6detail15normal_iteratorINS6_10device_ptrIjEEEENSD_INSE_IyEEEENS6_16discard_iteratorINS6_11use_defaultEEESI_PmS8_NS6_8equal_toIjEEEE10hipError_tPvRmT2_T3_mT4_T5_T6_T7_T8_P12ihipStream_tbENKUlT_T0_E_clISt17integral_constantIbLb1EES16_EEDaS11_S12_EUlS11_E_NS1_11comp_targetILNS1_3genE2ELNS1_11target_archE906ELNS1_3gpuE6ELNS1_3repE0EEENS1_30default_config_static_selectorELNS0_4arch9wavefront6targetE0EEEvT1_
	.globl	_ZN7rocprim17ROCPRIM_400000_NS6detail17trampoline_kernelINS0_14default_configENS1_29reduce_by_key_config_selectorIjyN6thrust23THRUST_200600_302600_NS4plusIyEEEEZZNS1_33reduce_by_key_impl_wrapped_configILNS1_25lookback_scan_determinismE0ES3_S9_NS6_6detail15normal_iteratorINS6_10device_ptrIjEEEENSD_INSE_IyEEEENS6_16discard_iteratorINS6_11use_defaultEEESI_PmS8_NS6_8equal_toIjEEEE10hipError_tPvRmT2_T3_mT4_T5_T6_T7_T8_P12ihipStream_tbENKUlT_T0_E_clISt17integral_constantIbLb1EES16_EEDaS11_S12_EUlS11_E_NS1_11comp_targetILNS1_3genE2ELNS1_11target_archE906ELNS1_3gpuE6ELNS1_3repE0EEENS1_30default_config_static_selectorELNS0_4arch9wavefront6targetE0EEEvT1_
	.p2align	8
	.type	_ZN7rocprim17ROCPRIM_400000_NS6detail17trampoline_kernelINS0_14default_configENS1_29reduce_by_key_config_selectorIjyN6thrust23THRUST_200600_302600_NS4plusIyEEEEZZNS1_33reduce_by_key_impl_wrapped_configILNS1_25lookback_scan_determinismE0ES3_S9_NS6_6detail15normal_iteratorINS6_10device_ptrIjEEEENSD_INSE_IyEEEENS6_16discard_iteratorINS6_11use_defaultEEESI_PmS8_NS6_8equal_toIjEEEE10hipError_tPvRmT2_T3_mT4_T5_T6_T7_T8_P12ihipStream_tbENKUlT_T0_E_clISt17integral_constantIbLb1EES16_EEDaS11_S12_EUlS11_E_NS1_11comp_targetILNS1_3genE2ELNS1_11target_archE906ELNS1_3gpuE6ELNS1_3repE0EEENS1_30default_config_static_selectorELNS0_4arch9wavefront6targetE0EEEvT1_,@function
_ZN7rocprim17ROCPRIM_400000_NS6detail17trampoline_kernelINS0_14default_configENS1_29reduce_by_key_config_selectorIjyN6thrust23THRUST_200600_302600_NS4plusIyEEEEZZNS1_33reduce_by_key_impl_wrapped_configILNS1_25lookback_scan_determinismE0ES3_S9_NS6_6detail15normal_iteratorINS6_10device_ptrIjEEEENSD_INSE_IyEEEENS6_16discard_iteratorINS6_11use_defaultEEESI_PmS8_NS6_8equal_toIjEEEE10hipError_tPvRmT2_T3_mT4_T5_T6_T7_T8_P12ihipStream_tbENKUlT_T0_E_clISt17integral_constantIbLb1EES16_EEDaS11_S12_EUlS11_E_NS1_11comp_targetILNS1_3genE2ELNS1_11target_archE906ELNS1_3gpuE6ELNS1_3repE0EEENS1_30default_config_static_selectorELNS0_4arch9wavefront6targetE0EEEvT1_: ; @_ZN7rocprim17ROCPRIM_400000_NS6detail17trampoline_kernelINS0_14default_configENS1_29reduce_by_key_config_selectorIjyN6thrust23THRUST_200600_302600_NS4plusIyEEEEZZNS1_33reduce_by_key_impl_wrapped_configILNS1_25lookback_scan_determinismE0ES3_S9_NS6_6detail15normal_iteratorINS6_10device_ptrIjEEEENSD_INSE_IyEEEENS6_16discard_iteratorINS6_11use_defaultEEESI_PmS8_NS6_8equal_toIjEEEE10hipError_tPvRmT2_T3_mT4_T5_T6_T7_T8_P12ihipStream_tbENKUlT_T0_E_clISt17integral_constantIbLb1EES16_EEDaS11_S12_EUlS11_E_NS1_11comp_targetILNS1_3genE2ELNS1_11target_archE906ELNS1_3gpuE6ELNS1_3repE0EEENS1_30default_config_static_selectorELNS0_4arch9wavefront6targetE0EEEvT1_
; %bb.0:
	.section	.rodata,"a",@progbits
	.p2align	6, 0x0
	.amdhsa_kernel _ZN7rocprim17ROCPRIM_400000_NS6detail17trampoline_kernelINS0_14default_configENS1_29reduce_by_key_config_selectorIjyN6thrust23THRUST_200600_302600_NS4plusIyEEEEZZNS1_33reduce_by_key_impl_wrapped_configILNS1_25lookback_scan_determinismE0ES3_S9_NS6_6detail15normal_iteratorINS6_10device_ptrIjEEEENSD_INSE_IyEEEENS6_16discard_iteratorINS6_11use_defaultEEESI_PmS8_NS6_8equal_toIjEEEE10hipError_tPvRmT2_T3_mT4_T5_T6_T7_T8_P12ihipStream_tbENKUlT_T0_E_clISt17integral_constantIbLb1EES16_EEDaS11_S12_EUlS11_E_NS1_11comp_targetILNS1_3genE2ELNS1_11target_archE906ELNS1_3gpuE6ELNS1_3repE0EEENS1_30default_config_static_selectorELNS0_4arch9wavefront6targetE0EEEvT1_
		.amdhsa_group_segment_fixed_size 0
		.amdhsa_private_segment_fixed_size 0
		.amdhsa_kernarg_size 144
		.amdhsa_user_sgpr_count 15
		.amdhsa_user_sgpr_dispatch_ptr 0
		.amdhsa_user_sgpr_queue_ptr 0
		.amdhsa_user_sgpr_kernarg_segment_ptr 1
		.amdhsa_user_sgpr_dispatch_id 0
		.amdhsa_user_sgpr_private_segment_size 0
		.amdhsa_wavefront_size32 1
		.amdhsa_uses_dynamic_stack 0
		.amdhsa_enable_private_segment 0
		.amdhsa_system_sgpr_workgroup_id_x 1
		.amdhsa_system_sgpr_workgroup_id_y 0
		.amdhsa_system_sgpr_workgroup_id_z 0
		.amdhsa_system_sgpr_workgroup_info 0
		.amdhsa_system_vgpr_workitem_id 0
		.amdhsa_next_free_vgpr 1
		.amdhsa_next_free_sgpr 1
		.amdhsa_reserve_vcc 0
		.amdhsa_float_round_mode_32 0
		.amdhsa_float_round_mode_16_64 0
		.amdhsa_float_denorm_mode_32 3
		.amdhsa_float_denorm_mode_16_64 3
		.amdhsa_dx10_clamp 1
		.amdhsa_ieee_mode 1
		.amdhsa_fp16_overflow 0
		.amdhsa_workgroup_processor_mode 1
		.amdhsa_memory_ordered 1
		.amdhsa_forward_progress 0
		.amdhsa_shared_vgpr_count 0
		.amdhsa_exception_fp_ieee_invalid_op 0
		.amdhsa_exception_fp_denorm_src 0
		.amdhsa_exception_fp_ieee_div_zero 0
		.amdhsa_exception_fp_ieee_overflow 0
		.amdhsa_exception_fp_ieee_underflow 0
		.amdhsa_exception_fp_ieee_inexact 0
		.amdhsa_exception_int_div_zero 0
	.end_amdhsa_kernel
	.section	.text._ZN7rocprim17ROCPRIM_400000_NS6detail17trampoline_kernelINS0_14default_configENS1_29reduce_by_key_config_selectorIjyN6thrust23THRUST_200600_302600_NS4plusIyEEEEZZNS1_33reduce_by_key_impl_wrapped_configILNS1_25lookback_scan_determinismE0ES3_S9_NS6_6detail15normal_iteratorINS6_10device_ptrIjEEEENSD_INSE_IyEEEENS6_16discard_iteratorINS6_11use_defaultEEESI_PmS8_NS6_8equal_toIjEEEE10hipError_tPvRmT2_T3_mT4_T5_T6_T7_T8_P12ihipStream_tbENKUlT_T0_E_clISt17integral_constantIbLb1EES16_EEDaS11_S12_EUlS11_E_NS1_11comp_targetILNS1_3genE2ELNS1_11target_archE906ELNS1_3gpuE6ELNS1_3repE0EEENS1_30default_config_static_selectorELNS0_4arch9wavefront6targetE0EEEvT1_,"axG",@progbits,_ZN7rocprim17ROCPRIM_400000_NS6detail17trampoline_kernelINS0_14default_configENS1_29reduce_by_key_config_selectorIjyN6thrust23THRUST_200600_302600_NS4plusIyEEEEZZNS1_33reduce_by_key_impl_wrapped_configILNS1_25lookback_scan_determinismE0ES3_S9_NS6_6detail15normal_iteratorINS6_10device_ptrIjEEEENSD_INSE_IyEEEENS6_16discard_iteratorINS6_11use_defaultEEESI_PmS8_NS6_8equal_toIjEEEE10hipError_tPvRmT2_T3_mT4_T5_T6_T7_T8_P12ihipStream_tbENKUlT_T0_E_clISt17integral_constantIbLb1EES16_EEDaS11_S12_EUlS11_E_NS1_11comp_targetILNS1_3genE2ELNS1_11target_archE906ELNS1_3gpuE6ELNS1_3repE0EEENS1_30default_config_static_selectorELNS0_4arch9wavefront6targetE0EEEvT1_,comdat
.Lfunc_end890:
	.size	_ZN7rocprim17ROCPRIM_400000_NS6detail17trampoline_kernelINS0_14default_configENS1_29reduce_by_key_config_selectorIjyN6thrust23THRUST_200600_302600_NS4plusIyEEEEZZNS1_33reduce_by_key_impl_wrapped_configILNS1_25lookback_scan_determinismE0ES3_S9_NS6_6detail15normal_iteratorINS6_10device_ptrIjEEEENSD_INSE_IyEEEENS6_16discard_iteratorINS6_11use_defaultEEESI_PmS8_NS6_8equal_toIjEEEE10hipError_tPvRmT2_T3_mT4_T5_T6_T7_T8_P12ihipStream_tbENKUlT_T0_E_clISt17integral_constantIbLb1EES16_EEDaS11_S12_EUlS11_E_NS1_11comp_targetILNS1_3genE2ELNS1_11target_archE906ELNS1_3gpuE6ELNS1_3repE0EEENS1_30default_config_static_selectorELNS0_4arch9wavefront6targetE0EEEvT1_, .Lfunc_end890-_ZN7rocprim17ROCPRIM_400000_NS6detail17trampoline_kernelINS0_14default_configENS1_29reduce_by_key_config_selectorIjyN6thrust23THRUST_200600_302600_NS4plusIyEEEEZZNS1_33reduce_by_key_impl_wrapped_configILNS1_25lookback_scan_determinismE0ES3_S9_NS6_6detail15normal_iteratorINS6_10device_ptrIjEEEENSD_INSE_IyEEEENS6_16discard_iteratorINS6_11use_defaultEEESI_PmS8_NS6_8equal_toIjEEEE10hipError_tPvRmT2_T3_mT4_T5_T6_T7_T8_P12ihipStream_tbENKUlT_T0_E_clISt17integral_constantIbLb1EES16_EEDaS11_S12_EUlS11_E_NS1_11comp_targetILNS1_3genE2ELNS1_11target_archE906ELNS1_3gpuE6ELNS1_3repE0EEENS1_30default_config_static_selectorELNS0_4arch9wavefront6targetE0EEEvT1_
                                        ; -- End function
	.section	.AMDGPU.csdata,"",@progbits
; Kernel info:
; codeLenInByte = 0
; NumSgprs: 0
; NumVgprs: 0
; ScratchSize: 0
; MemoryBound: 0
; FloatMode: 240
; IeeeMode: 1
; LDSByteSize: 0 bytes/workgroup (compile time only)
; SGPRBlocks: 0
; VGPRBlocks: 0
; NumSGPRsForWavesPerEU: 1
; NumVGPRsForWavesPerEU: 1
; Occupancy: 16
; WaveLimiterHint : 0
; COMPUTE_PGM_RSRC2:SCRATCH_EN: 0
; COMPUTE_PGM_RSRC2:USER_SGPR: 15
; COMPUTE_PGM_RSRC2:TRAP_HANDLER: 0
; COMPUTE_PGM_RSRC2:TGID_X_EN: 1
; COMPUTE_PGM_RSRC2:TGID_Y_EN: 0
; COMPUTE_PGM_RSRC2:TGID_Z_EN: 0
; COMPUTE_PGM_RSRC2:TIDIG_COMP_CNT: 0
	.section	.text._ZN7rocprim17ROCPRIM_400000_NS6detail17trampoline_kernelINS0_14default_configENS1_29reduce_by_key_config_selectorIjyN6thrust23THRUST_200600_302600_NS4plusIyEEEEZZNS1_33reduce_by_key_impl_wrapped_configILNS1_25lookback_scan_determinismE0ES3_S9_NS6_6detail15normal_iteratorINS6_10device_ptrIjEEEENSD_INSE_IyEEEENS6_16discard_iteratorINS6_11use_defaultEEESI_PmS8_NS6_8equal_toIjEEEE10hipError_tPvRmT2_T3_mT4_T5_T6_T7_T8_P12ihipStream_tbENKUlT_T0_E_clISt17integral_constantIbLb1EES16_EEDaS11_S12_EUlS11_E_NS1_11comp_targetILNS1_3genE10ELNS1_11target_archE1201ELNS1_3gpuE5ELNS1_3repE0EEENS1_30default_config_static_selectorELNS0_4arch9wavefront6targetE0EEEvT1_,"axG",@progbits,_ZN7rocprim17ROCPRIM_400000_NS6detail17trampoline_kernelINS0_14default_configENS1_29reduce_by_key_config_selectorIjyN6thrust23THRUST_200600_302600_NS4plusIyEEEEZZNS1_33reduce_by_key_impl_wrapped_configILNS1_25lookback_scan_determinismE0ES3_S9_NS6_6detail15normal_iteratorINS6_10device_ptrIjEEEENSD_INSE_IyEEEENS6_16discard_iteratorINS6_11use_defaultEEESI_PmS8_NS6_8equal_toIjEEEE10hipError_tPvRmT2_T3_mT4_T5_T6_T7_T8_P12ihipStream_tbENKUlT_T0_E_clISt17integral_constantIbLb1EES16_EEDaS11_S12_EUlS11_E_NS1_11comp_targetILNS1_3genE10ELNS1_11target_archE1201ELNS1_3gpuE5ELNS1_3repE0EEENS1_30default_config_static_selectorELNS0_4arch9wavefront6targetE0EEEvT1_,comdat
	.protected	_ZN7rocprim17ROCPRIM_400000_NS6detail17trampoline_kernelINS0_14default_configENS1_29reduce_by_key_config_selectorIjyN6thrust23THRUST_200600_302600_NS4plusIyEEEEZZNS1_33reduce_by_key_impl_wrapped_configILNS1_25lookback_scan_determinismE0ES3_S9_NS6_6detail15normal_iteratorINS6_10device_ptrIjEEEENSD_INSE_IyEEEENS6_16discard_iteratorINS6_11use_defaultEEESI_PmS8_NS6_8equal_toIjEEEE10hipError_tPvRmT2_T3_mT4_T5_T6_T7_T8_P12ihipStream_tbENKUlT_T0_E_clISt17integral_constantIbLb1EES16_EEDaS11_S12_EUlS11_E_NS1_11comp_targetILNS1_3genE10ELNS1_11target_archE1201ELNS1_3gpuE5ELNS1_3repE0EEENS1_30default_config_static_selectorELNS0_4arch9wavefront6targetE0EEEvT1_ ; -- Begin function _ZN7rocprim17ROCPRIM_400000_NS6detail17trampoline_kernelINS0_14default_configENS1_29reduce_by_key_config_selectorIjyN6thrust23THRUST_200600_302600_NS4plusIyEEEEZZNS1_33reduce_by_key_impl_wrapped_configILNS1_25lookback_scan_determinismE0ES3_S9_NS6_6detail15normal_iteratorINS6_10device_ptrIjEEEENSD_INSE_IyEEEENS6_16discard_iteratorINS6_11use_defaultEEESI_PmS8_NS6_8equal_toIjEEEE10hipError_tPvRmT2_T3_mT4_T5_T6_T7_T8_P12ihipStream_tbENKUlT_T0_E_clISt17integral_constantIbLb1EES16_EEDaS11_S12_EUlS11_E_NS1_11comp_targetILNS1_3genE10ELNS1_11target_archE1201ELNS1_3gpuE5ELNS1_3repE0EEENS1_30default_config_static_selectorELNS0_4arch9wavefront6targetE0EEEvT1_
	.globl	_ZN7rocprim17ROCPRIM_400000_NS6detail17trampoline_kernelINS0_14default_configENS1_29reduce_by_key_config_selectorIjyN6thrust23THRUST_200600_302600_NS4plusIyEEEEZZNS1_33reduce_by_key_impl_wrapped_configILNS1_25lookback_scan_determinismE0ES3_S9_NS6_6detail15normal_iteratorINS6_10device_ptrIjEEEENSD_INSE_IyEEEENS6_16discard_iteratorINS6_11use_defaultEEESI_PmS8_NS6_8equal_toIjEEEE10hipError_tPvRmT2_T3_mT4_T5_T6_T7_T8_P12ihipStream_tbENKUlT_T0_E_clISt17integral_constantIbLb1EES16_EEDaS11_S12_EUlS11_E_NS1_11comp_targetILNS1_3genE10ELNS1_11target_archE1201ELNS1_3gpuE5ELNS1_3repE0EEENS1_30default_config_static_selectorELNS0_4arch9wavefront6targetE0EEEvT1_
	.p2align	8
	.type	_ZN7rocprim17ROCPRIM_400000_NS6detail17trampoline_kernelINS0_14default_configENS1_29reduce_by_key_config_selectorIjyN6thrust23THRUST_200600_302600_NS4plusIyEEEEZZNS1_33reduce_by_key_impl_wrapped_configILNS1_25lookback_scan_determinismE0ES3_S9_NS6_6detail15normal_iteratorINS6_10device_ptrIjEEEENSD_INSE_IyEEEENS6_16discard_iteratorINS6_11use_defaultEEESI_PmS8_NS6_8equal_toIjEEEE10hipError_tPvRmT2_T3_mT4_T5_T6_T7_T8_P12ihipStream_tbENKUlT_T0_E_clISt17integral_constantIbLb1EES16_EEDaS11_S12_EUlS11_E_NS1_11comp_targetILNS1_3genE10ELNS1_11target_archE1201ELNS1_3gpuE5ELNS1_3repE0EEENS1_30default_config_static_selectorELNS0_4arch9wavefront6targetE0EEEvT1_,@function
_ZN7rocprim17ROCPRIM_400000_NS6detail17trampoline_kernelINS0_14default_configENS1_29reduce_by_key_config_selectorIjyN6thrust23THRUST_200600_302600_NS4plusIyEEEEZZNS1_33reduce_by_key_impl_wrapped_configILNS1_25lookback_scan_determinismE0ES3_S9_NS6_6detail15normal_iteratorINS6_10device_ptrIjEEEENSD_INSE_IyEEEENS6_16discard_iteratorINS6_11use_defaultEEESI_PmS8_NS6_8equal_toIjEEEE10hipError_tPvRmT2_T3_mT4_T5_T6_T7_T8_P12ihipStream_tbENKUlT_T0_E_clISt17integral_constantIbLb1EES16_EEDaS11_S12_EUlS11_E_NS1_11comp_targetILNS1_3genE10ELNS1_11target_archE1201ELNS1_3gpuE5ELNS1_3repE0EEENS1_30default_config_static_selectorELNS0_4arch9wavefront6targetE0EEEvT1_: ; @_ZN7rocprim17ROCPRIM_400000_NS6detail17trampoline_kernelINS0_14default_configENS1_29reduce_by_key_config_selectorIjyN6thrust23THRUST_200600_302600_NS4plusIyEEEEZZNS1_33reduce_by_key_impl_wrapped_configILNS1_25lookback_scan_determinismE0ES3_S9_NS6_6detail15normal_iteratorINS6_10device_ptrIjEEEENSD_INSE_IyEEEENS6_16discard_iteratorINS6_11use_defaultEEESI_PmS8_NS6_8equal_toIjEEEE10hipError_tPvRmT2_T3_mT4_T5_T6_T7_T8_P12ihipStream_tbENKUlT_T0_E_clISt17integral_constantIbLb1EES16_EEDaS11_S12_EUlS11_E_NS1_11comp_targetILNS1_3genE10ELNS1_11target_archE1201ELNS1_3gpuE5ELNS1_3repE0EEENS1_30default_config_static_selectorELNS0_4arch9wavefront6targetE0EEEvT1_
; %bb.0:
	.section	.rodata,"a",@progbits
	.p2align	6, 0x0
	.amdhsa_kernel _ZN7rocprim17ROCPRIM_400000_NS6detail17trampoline_kernelINS0_14default_configENS1_29reduce_by_key_config_selectorIjyN6thrust23THRUST_200600_302600_NS4plusIyEEEEZZNS1_33reduce_by_key_impl_wrapped_configILNS1_25lookback_scan_determinismE0ES3_S9_NS6_6detail15normal_iteratorINS6_10device_ptrIjEEEENSD_INSE_IyEEEENS6_16discard_iteratorINS6_11use_defaultEEESI_PmS8_NS6_8equal_toIjEEEE10hipError_tPvRmT2_T3_mT4_T5_T6_T7_T8_P12ihipStream_tbENKUlT_T0_E_clISt17integral_constantIbLb1EES16_EEDaS11_S12_EUlS11_E_NS1_11comp_targetILNS1_3genE10ELNS1_11target_archE1201ELNS1_3gpuE5ELNS1_3repE0EEENS1_30default_config_static_selectorELNS0_4arch9wavefront6targetE0EEEvT1_
		.amdhsa_group_segment_fixed_size 0
		.amdhsa_private_segment_fixed_size 0
		.amdhsa_kernarg_size 144
		.amdhsa_user_sgpr_count 15
		.amdhsa_user_sgpr_dispatch_ptr 0
		.amdhsa_user_sgpr_queue_ptr 0
		.amdhsa_user_sgpr_kernarg_segment_ptr 1
		.amdhsa_user_sgpr_dispatch_id 0
		.amdhsa_user_sgpr_private_segment_size 0
		.amdhsa_wavefront_size32 1
		.amdhsa_uses_dynamic_stack 0
		.amdhsa_enable_private_segment 0
		.amdhsa_system_sgpr_workgroup_id_x 1
		.amdhsa_system_sgpr_workgroup_id_y 0
		.amdhsa_system_sgpr_workgroup_id_z 0
		.amdhsa_system_sgpr_workgroup_info 0
		.amdhsa_system_vgpr_workitem_id 0
		.amdhsa_next_free_vgpr 1
		.amdhsa_next_free_sgpr 1
		.amdhsa_reserve_vcc 0
		.amdhsa_float_round_mode_32 0
		.amdhsa_float_round_mode_16_64 0
		.amdhsa_float_denorm_mode_32 3
		.amdhsa_float_denorm_mode_16_64 3
		.amdhsa_dx10_clamp 1
		.amdhsa_ieee_mode 1
		.amdhsa_fp16_overflow 0
		.amdhsa_workgroup_processor_mode 1
		.amdhsa_memory_ordered 1
		.amdhsa_forward_progress 0
		.amdhsa_shared_vgpr_count 0
		.amdhsa_exception_fp_ieee_invalid_op 0
		.amdhsa_exception_fp_denorm_src 0
		.amdhsa_exception_fp_ieee_div_zero 0
		.amdhsa_exception_fp_ieee_overflow 0
		.amdhsa_exception_fp_ieee_underflow 0
		.amdhsa_exception_fp_ieee_inexact 0
		.amdhsa_exception_int_div_zero 0
	.end_amdhsa_kernel
	.section	.text._ZN7rocprim17ROCPRIM_400000_NS6detail17trampoline_kernelINS0_14default_configENS1_29reduce_by_key_config_selectorIjyN6thrust23THRUST_200600_302600_NS4plusIyEEEEZZNS1_33reduce_by_key_impl_wrapped_configILNS1_25lookback_scan_determinismE0ES3_S9_NS6_6detail15normal_iteratorINS6_10device_ptrIjEEEENSD_INSE_IyEEEENS6_16discard_iteratorINS6_11use_defaultEEESI_PmS8_NS6_8equal_toIjEEEE10hipError_tPvRmT2_T3_mT4_T5_T6_T7_T8_P12ihipStream_tbENKUlT_T0_E_clISt17integral_constantIbLb1EES16_EEDaS11_S12_EUlS11_E_NS1_11comp_targetILNS1_3genE10ELNS1_11target_archE1201ELNS1_3gpuE5ELNS1_3repE0EEENS1_30default_config_static_selectorELNS0_4arch9wavefront6targetE0EEEvT1_,"axG",@progbits,_ZN7rocprim17ROCPRIM_400000_NS6detail17trampoline_kernelINS0_14default_configENS1_29reduce_by_key_config_selectorIjyN6thrust23THRUST_200600_302600_NS4plusIyEEEEZZNS1_33reduce_by_key_impl_wrapped_configILNS1_25lookback_scan_determinismE0ES3_S9_NS6_6detail15normal_iteratorINS6_10device_ptrIjEEEENSD_INSE_IyEEEENS6_16discard_iteratorINS6_11use_defaultEEESI_PmS8_NS6_8equal_toIjEEEE10hipError_tPvRmT2_T3_mT4_T5_T6_T7_T8_P12ihipStream_tbENKUlT_T0_E_clISt17integral_constantIbLb1EES16_EEDaS11_S12_EUlS11_E_NS1_11comp_targetILNS1_3genE10ELNS1_11target_archE1201ELNS1_3gpuE5ELNS1_3repE0EEENS1_30default_config_static_selectorELNS0_4arch9wavefront6targetE0EEEvT1_,comdat
.Lfunc_end891:
	.size	_ZN7rocprim17ROCPRIM_400000_NS6detail17trampoline_kernelINS0_14default_configENS1_29reduce_by_key_config_selectorIjyN6thrust23THRUST_200600_302600_NS4plusIyEEEEZZNS1_33reduce_by_key_impl_wrapped_configILNS1_25lookback_scan_determinismE0ES3_S9_NS6_6detail15normal_iteratorINS6_10device_ptrIjEEEENSD_INSE_IyEEEENS6_16discard_iteratorINS6_11use_defaultEEESI_PmS8_NS6_8equal_toIjEEEE10hipError_tPvRmT2_T3_mT4_T5_T6_T7_T8_P12ihipStream_tbENKUlT_T0_E_clISt17integral_constantIbLb1EES16_EEDaS11_S12_EUlS11_E_NS1_11comp_targetILNS1_3genE10ELNS1_11target_archE1201ELNS1_3gpuE5ELNS1_3repE0EEENS1_30default_config_static_selectorELNS0_4arch9wavefront6targetE0EEEvT1_, .Lfunc_end891-_ZN7rocprim17ROCPRIM_400000_NS6detail17trampoline_kernelINS0_14default_configENS1_29reduce_by_key_config_selectorIjyN6thrust23THRUST_200600_302600_NS4plusIyEEEEZZNS1_33reduce_by_key_impl_wrapped_configILNS1_25lookback_scan_determinismE0ES3_S9_NS6_6detail15normal_iteratorINS6_10device_ptrIjEEEENSD_INSE_IyEEEENS6_16discard_iteratorINS6_11use_defaultEEESI_PmS8_NS6_8equal_toIjEEEE10hipError_tPvRmT2_T3_mT4_T5_T6_T7_T8_P12ihipStream_tbENKUlT_T0_E_clISt17integral_constantIbLb1EES16_EEDaS11_S12_EUlS11_E_NS1_11comp_targetILNS1_3genE10ELNS1_11target_archE1201ELNS1_3gpuE5ELNS1_3repE0EEENS1_30default_config_static_selectorELNS0_4arch9wavefront6targetE0EEEvT1_
                                        ; -- End function
	.section	.AMDGPU.csdata,"",@progbits
; Kernel info:
; codeLenInByte = 0
; NumSgprs: 0
; NumVgprs: 0
; ScratchSize: 0
; MemoryBound: 0
; FloatMode: 240
; IeeeMode: 1
; LDSByteSize: 0 bytes/workgroup (compile time only)
; SGPRBlocks: 0
; VGPRBlocks: 0
; NumSGPRsForWavesPerEU: 1
; NumVGPRsForWavesPerEU: 1
; Occupancy: 16
; WaveLimiterHint : 0
; COMPUTE_PGM_RSRC2:SCRATCH_EN: 0
; COMPUTE_PGM_RSRC2:USER_SGPR: 15
; COMPUTE_PGM_RSRC2:TRAP_HANDLER: 0
; COMPUTE_PGM_RSRC2:TGID_X_EN: 1
; COMPUTE_PGM_RSRC2:TGID_Y_EN: 0
; COMPUTE_PGM_RSRC2:TGID_Z_EN: 0
; COMPUTE_PGM_RSRC2:TIDIG_COMP_CNT: 0
	.section	.text._ZN7rocprim17ROCPRIM_400000_NS6detail17trampoline_kernelINS0_14default_configENS1_29reduce_by_key_config_selectorIjyN6thrust23THRUST_200600_302600_NS4plusIyEEEEZZNS1_33reduce_by_key_impl_wrapped_configILNS1_25lookback_scan_determinismE0ES3_S9_NS6_6detail15normal_iteratorINS6_10device_ptrIjEEEENSD_INSE_IyEEEENS6_16discard_iteratorINS6_11use_defaultEEESI_PmS8_NS6_8equal_toIjEEEE10hipError_tPvRmT2_T3_mT4_T5_T6_T7_T8_P12ihipStream_tbENKUlT_T0_E_clISt17integral_constantIbLb1EES16_EEDaS11_S12_EUlS11_E_NS1_11comp_targetILNS1_3genE10ELNS1_11target_archE1200ELNS1_3gpuE4ELNS1_3repE0EEENS1_30default_config_static_selectorELNS0_4arch9wavefront6targetE0EEEvT1_,"axG",@progbits,_ZN7rocprim17ROCPRIM_400000_NS6detail17trampoline_kernelINS0_14default_configENS1_29reduce_by_key_config_selectorIjyN6thrust23THRUST_200600_302600_NS4plusIyEEEEZZNS1_33reduce_by_key_impl_wrapped_configILNS1_25lookback_scan_determinismE0ES3_S9_NS6_6detail15normal_iteratorINS6_10device_ptrIjEEEENSD_INSE_IyEEEENS6_16discard_iteratorINS6_11use_defaultEEESI_PmS8_NS6_8equal_toIjEEEE10hipError_tPvRmT2_T3_mT4_T5_T6_T7_T8_P12ihipStream_tbENKUlT_T0_E_clISt17integral_constantIbLb1EES16_EEDaS11_S12_EUlS11_E_NS1_11comp_targetILNS1_3genE10ELNS1_11target_archE1200ELNS1_3gpuE4ELNS1_3repE0EEENS1_30default_config_static_selectorELNS0_4arch9wavefront6targetE0EEEvT1_,comdat
	.protected	_ZN7rocprim17ROCPRIM_400000_NS6detail17trampoline_kernelINS0_14default_configENS1_29reduce_by_key_config_selectorIjyN6thrust23THRUST_200600_302600_NS4plusIyEEEEZZNS1_33reduce_by_key_impl_wrapped_configILNS1_25lookback_scan_determinismE0ES3_S9_NS6_6detail15normal_iteratorINS6_10device_ptrIjEEEENSD_INSE_IyEEEENS6_16discard_iteratorINS6_11use_defaultEEESI_PmS8_NS6_8equal_toIjEEEE10hipError_tPvRmT2_T3_mT4_T5_T6_T7_T8_P12ihipStream_tbENKUlT_T0_E_clISt17integral_constantIbLb1EES16_EEDaS11_S12_EUlS11_E_NS1_11comp_targetILNS1_3genE10ELNS1_11target_archE1200ELNS1_3gpuE4ELNS1_3repE0EEENS1_30default_config_static_selectorELNS0_4arch9wavefront6targetE0EEEvT1_ ; -- Begin function _ZN7rocprim17ROCPRIM_400000_NS6detail17trampoline_kernelINS0_14default_configENS1_29reduce_by_key_config_selectorIjyN6thrust23THRUST_200600_302600_NS4plusIyEEEEZZNS1_33reduce_by_key_impl_wrapped_configILNS1_25lookback_scan_determinismE0ES3_S9_NS6_6detail15normal_iteratorINS6_10device_ptrIjEEEENSD_INSE_IyEEEENS6_16discard_iteratorINS6_11use_defaultEEESI_PmS8_NS6_8equal_toIjEEEE10hipError_tPvRmT2_T3_mT4_T5_T6_T7_T8_P12ihipStream_tbENKUlT_T0_E_clISt17integral_constantIbLb1EES16_EEDaS11_S12_EUlS11_E_NS1_11comp_targetILNS1_3genE10ELNS1_11target_archE1200ELNS1_3gpuE4ELNS1_3repE0EEENS1_30default_config_static_selectorELNS0_4arch9wavefront6targetE0EEEvT1_
	.globl	_ZN7rocprim17ROCPRIM_400000_NS6detail17trampoline_kernelINS0_14default_configENS1_29reduce_by_key_config_selectorIjyN6thrust23THRUST_200600_302600_NS4plusIyEEEEZZNS1_33reduce_by_key_impl_wrapped_configILNS1_25lookback_scan_determinismE0ES3_S9_NS6_6detail15normal_iteratorINS6_10device_ptrIjEEEENSD_INSE_IyEEEENS6_16discard_iteratorINS6_11use_defaultEEESI_PmS8_NS6_8equal_toIjEEEE10hipError_tPvRmT2_T3_mT4_T5_T6_T7_T8_P12ihipStream_tbENKUlT_T0_E_clISt17integral_constantIbLb1EES16_EEDaS11_S12_EUlS11_E_NS1_11comp_targetILNS1_3genE10ELNS1_11target_archE1200ELNS1_3gpuE4ELNS1_3repE0EEENS1_30default_config_static_selectorELNS0_4arch9wavefront6targetE0EEEvT1_
	.p2align	8
	.type	_ZN7rocprim17ROCPRIM_400000_NS6detail17trampoline_kernelINS0_14default_configENS1_29reduce_by_key_config_selectorIjyN6thrust23THRUST_200600_302600_NS4plusIyEEEEZZNS1_33reduce_by_key_impl_wrapped_configILNS1_25lookback_scan_determinismE0ES3_S9_NS6_6detail15normal_iteratorINS6_10device_ptrIjEEEENSD_INSE_IyEEEENS6_16discard_iteratorINS6_11use_defaultEEESI_PmS8_NS6_8equal_toIjEEEE10hipError_tPvRmT2_T3_mT4_T5_T6_T7_T8_P12ihipStream_tbENKUlT_T0_E_clISt17integral_constantIbLb1EES16_EEDaS11_S12_EUlS11_E_NS1_11comp_targetILNS1_3genE10ELNS1_11target_archE1200ELNS1_3gpuE4ELNS1_3repE0EEENS1_30default_config_static_selectorELNS0_4arch9wavefront6targetE0EEEvT1_,@function
_ZN7rocprim17ROCPRIM_400000_NS6detail17trampoline_kernelINS0_14default_configENS1_29reduce_by_key_config_selectorIjyN6thrust23THRUST_200600_302600_NS4plusIyEEEEZZNS1_33reduce_by_key_impl_wrapped_configILNS1_25lookback_scan_determinismE0ES3_S9_NS6_6detail15normal_iteratorINS6_10device_ptrIjEEEENSD_INSE_IyEEEENS6_16discard_iteratorINS6_11use_defaultEEESI_PmS8_NS6_8equal_toIjEEEE10hipError_tPvRmT2_T3_mT4_T5_T6_T7_T8_P12ihipStream_tbENKUlT_T0_E_clISt17integral_constantIbLb1EES16_EEDaS11_S12_EUlS11_E_NS1_11comp_targetILNS1_3genE10ELNS1_11target_archE1200ELNS1_3gpuE4ELNS1_3repE0EEENS1_30default_config_static_selectorELNS0_4arch9wavefront6targetE0EEEvT1_: ; @_ZN7rocprim17ROCPRIM_400000_NS6detail17trampoline_kernelINS0_14default_configENS1_29reduce_by_key_config_selectorIjyN6thrust23THRUST_200600_302600_NS4plusIyEEEEZZNS1_33reduce_by_key_impl_wrapped_configILNS1_25lookback_scan_determinismE0ES3_S9_NS6_6detail15normal_iteratorINS6_10device_ptrIjEEEENSD_INSE_IyEEEENS6_16discard_iteratorINS6_11use_defaultEEESI_PmS8_NS6_8equal_toIjEEEE10hipError_tPvRmT2_T3_mT4_T5_T6_T7_T8_P12ihipStream_tbENKUlT_T0_E_clISt17integral_constantIbLb1EES16_EEDaS11_S12_EUlS11_E_NS1_11comp_targetILNS1_3genE10ELNS1_11target_archE1200ELNS1_3gpuE4ELNS1_3repE0EEENS1_30default_config_static_selectorELNS0_4arch9wavefront6targetE0EEEvT1_
; %bb.0:
	.section	.rodata,"a",@progbits
	.p2align	6, 0x0
	.amdhsa_kernel _ZN7rocprim17ROCPRIM_400000_NS6detail17trampoline_kernelINS0_14default_configENS1_29reduce_by_key_config_selectorIjyN6thrust23THRUST_200600_302600_NS4plusIyEEEEZZNS1_33reduce_by_key_impl_wrapped_configILNS1_25lookback_scan_determinismE0ES3_S9_NS6_6detail15normal_iteratorINS6_10device_ptrIjEEEENSD_INSE_IyEEEENS6_16discard_iteratorINS6_11use_defaultEEESI_PmS8_NS6_8equal_toIjEEEE10hipError_tPvRmT2_T3_mT4_T5_T6_T7_T8_P12ihipStream_tbENKUlT_T0_E_clISt17integral_constantIbLb1EES16_EEDaS11_S12_EUlS11_E_NS1_11comp_targetILNS1_3genE10ELNS1_11target_archE1200ELNS1_3gpuE4ELNS1_3repE0EEENS1_30default_config_static_selectorELNS0_4arch9wavefront6targetE0EEEvT1_
		.amdhsa_group_segment_fixed_size 0
		.amdhsa_private_segment_fixed_size 0
		.amdhsa_kernarg_size 144
		.amdhsa_user_sgpr_count 15
		.amdhsa_user_sgpr_dispatch_ptr 0
		.amdhsa_user_sgpr_queue_ptr 0
		.amdhsa_user_sgpr_kernarg_segment_ptr 1
		.amdhsa_user_sgpr_dispatch_id 0
		.amdhsa_user_sgpr_private_segment_size 0
		.amdhsa_wavefront_size32 1
		.amdhsa_uses_dynamic_stack 0
		.amdhsa_enable_private_segment 0
		.amdhsa_system_sgpr_workgroup_id_x 1
		.amdhsa_system_sgpr_workgroup_id_y 0
		.amdhsa_system_sgpr_workgroup_id_z 0
		.amdhsa_system_sgpr_workgroup_info 0
		.amdhsa_system_vgpr_workitem_id 0
		.amdhsa_next_free_vgpr 1
		.amdhsa_next_free_sgpr 1
		.amdhsa_reserve_vcc 0
		.amdhsa_float_round_mode_32 0
		.amdhsa_float_round_mode_16_64 0
		.amdhsa_float_denorm_mode_32 3
		.amdhsa_float_denorm_mode_16_64 3
		.amdhsa_dx10_clamp 1
		.amdhsa_ieee_mode 1
		.amdhsa_fp16_overflow 0
		.amdhsa_workgroup_processor_mode 1
		.amdhsa_memory_ordered 1
		.amdhsa_forward_progress 0
		.amdhsa_shared_vgpr_count 0
		.amdhsa_exception_fp_ieee_invalid_op 0
		.amdhsa_exception_fp_denorm_src 0
		.amdhsa_exception_fp_ieee_div_zero 0
		.amdhsa_exception_fp_ieee_overflow 0
		.amdhsa_exception_fp_ieee_underflow 0
		.amdhsa_exception_fp_ieee_inexact 0
		.amdhsa_exception_int_div_zero 0
	.end_amdhsa_kernel
	.section	.text._ZN7rocprim17ROCPRIM_400000_NS6detail17trampoline_kernelINS0_14default_configENS1_29reduce_by_key_config_selectorIjyN6thrust23THRUST_200600_302600_NS4plusIyEEEEZZNS1_33reduce_by_key_impl_wrapped_configILNS1_25lookback_scan_determinismE0ES3_S9_NS6_6detail15normal_iteratorINS6_10device_ptrIjEEEENSD_INSE_IyEEEENS6_16discard_iteratorINS6_11use_defaultEEESI_PmS8_NS6_8equal_toIjEEEE10hipError_tPvRmT2_T3_mT4_T5_T6_T7_T8_P12ihipStream_tbENKUlT_T0_E_clISt17integral_constantIbLb1EES16_EEDaS11_S12_EUlS11_E_NS1_11comp_targetILNS1_3genE10ELNS1_11target_archE1200ELNS1_3gpuE4ELNS1_3repE0EEENS1_30default_config_static_selectorELNS0_4arch9wavefront6targetE0EEEvT1_,"axG",@progbits,_ZN7rocprim17ROCPRIM_400000_NS6detail17trampoline_kernelINS0_14default_configENS1_29reduce_by_key_config_selectorIjyN6thrust23THRUST_200600_302600_NS4plusIyEEEEZZNS1_33reduce_by_key_impl_wrapped_configILNS1_25lookback_scan_determinismE0ES3_S9_NS6_6detail15normal_iteratorINS6_10device_ptrIjEEEENSD_INSE_IyEEEENS6_16discard_iteratorINS6_11use_defaultEEESI_PmS8_NS6_8equal_toIjEEEE10hipError_tPvRmT2_T3_mT4_T5_T6_T7_T8_P12ihipStream_tbENKUlT_T0_E_clISt17integral_constantIbLb1EES16_EEDaS11_S12_EUlS11_E_NS1_11comp_targetILNS1_3genE10ELNS1_11target_archE1200ELNS1_3gpuE4ELNS1_3repE0EEENS1_30default_config_static_selectorELNS0_4arch9wavefront6targetE0EEEvT1_,comdat
.Lfunc_end892:
	.size	_ZN7rocprim17ROCPRIM_400000_NS6detail17trampoline_kernelINS0_14default_configENS1_29reduce_by_key_config_selectorIjyN6thrust23THRUST_200600_302600_NS4plusIyEEEEZZNS1_33reduce_by_key_impl_wrapped_configILNS1_25lookback_scan_determinismE0ES3_S9_NS6_6detail15normal_iteratorINS6_10device_ptrIjEEEENSD_INSE_IyEEEENS6_16discard_iteratorINS6_11use_defaultEEESI_PmS8_NS6_8equal_toIjEEEE10hipError_tPvRmT2_T3_mT4_T5_T6_T7_T8_P12ihipStream_tbENKUlT_T0_E_clISt17integral_constantIbLb1EES16_EEDaS11_S12_EUlS11_E_NS1_11comp_targetILNS1_3genE10ELNS1_11target_archE1200ELNS1_3gpuE4ELNS1_3repE0EEENS1_30default_config_static_selectorELNS0_4arch9wavefront6targetE0EEEvT1_, .Lfunc_end892-_ZN7rocprim17ROCPRIM_400000_NS6detail17trampoline_kernelINS0_14default_configENS1_29reduce_by_key_config_selectorIjyN6thrust23THRUST_200600_302600_NS4plusIyEEEEZZNS1_33reduce_by_key_impl_wrapped_configILNS1_25lookback_scan_determinismE0ES3_S9_NS6_6detail15normal_iteratorINS6_10device_ptrIjEEEENSD_INSE_IyEEEENS6_16discard_iteratorINS6_11use_defaultEEESI_PmS8_NS6_8equal_toIjEEEE10hipError_tPvRmT2_T3_mT4_T5_T6_T7_T8_P12ihipStream_tbENKUlT_T0_E_clISt17integral_constantIbLb1EES16_EEDaS11_S12_EUlS11_E_NS1_11comp_targetILNS1_3genE10ELNS1_11target_archE1200ELNS1_3gpuE4ELNS1_3repE0EEENS1_30default_config_static_selectorELNS0_4arch9wavefront6targetE0EEEvT1_
                                        ; -- End function
	.section	.AMDGPU.csdata,"",@progbits
; Kernel info:
; codeLenInByte = 0
; NumSgprs: 0
; NumVgprs: 0
; ScratchSize: 0
; MemoryBound: 0
; FloatMode: 240
; IeeeMode: 1
; LDSByteSize: 0 bytes/workgroup (compile time only)
; SGPRBlocks: 0
; VGPRBlocks: 0
; NumSGPRsForWavesPerEU: 1
; NumVGPRsForWavesPerEU: 1
; Occupancy: 16
; WaveLimiterHint : 0
; COMPUTE_PGM_RSRC2:SCRATCH_EN: 0
; COMPUTE_PGM_RSRC2:USER_SGPR: 15
; COMPUTE_PGM_RSRC2:TRAP_HANDLER: 0
; COMPUTE_PGM_RSRC2:TGID_X_EN: 1
; COMPUTE_PGM_RSRC2:TGID_Y_EN: 0
; COMPUTE_PGM_RSRC2:TGID_Z_EN: 0
; COMPUTE_PGM_RSRC2:TIDIG_COMP_CNT: 0
	.section	.text._ZN7rocprim17ROCPRIM_400000_NS6detail17trampoline_kernelINS0_14default_configENS1_29reduce_by_key_config_selectorIjyN6thrust23THRUST_200600_302600_NS4plusIyEEEEZZNS1_33reduce_by_key_impl_wrapped_configILNS1_25lookback_scan_determinismE0ES3_S9_NS6_6detail15normal_iteratorINS6_10device_ptrIjEEEENSD_INSE_IyEEEENS6_16discard_iteratorINS6_11use_defaultEEESI_PmS8_NS6_8equal_toIjEEEE10hipError_tPvRmT2_T3_mT4_T5_T6_T7_T8_P12ihipStream_tbENKUlT_T0_E_clISt17integral_constantIbLb1EES16_EEDaS11_S12_EUlS11_E_NS1_11comp_targetILNS1_3genE9ELNS1_11target_archE1100ELNS1_3gpuE3ELNS1_3repE0EEENS1_30default_config_static_selectorELNS0_4arch9wavefront6targetE0EEEvT1_,"axG",@progbits,_ZN7rocprim17ROCPRIM_400000_NS6detail17trampoline_kernelINS0_14default_configENS1_29reduce_by_key_config_selectorIjyN6thrust23THRUST_200600_302600_NS4plusIyEEEEZZNS1_33reduce_by_key_impl_wrapped_configILNS1_25lookback_scan_determinismE0ES3_S9_NS6_6detail15normal_iteratorINS6_10device_ptrIjEEEENSD_INSE_IyEEEENS6_16discard_iteratorINS6_11use_defaultEEESI_PmS8_NS6_8equal_toIjEEEE10hipError_tPvRmT2_T3_mT4_T5_T6_T7_T8_P12ihipStream_tbENKUlT_T0_E_clISt17integral_constantIbLb1EES16_EEDaS11_S12_EUlS11_E_NS1_11comp_targetILNS1_3genE9ELNS1_11target_archE1100ELNS1_3gpuE3ELNS1_3repE0EEENS1_30default_config_static_selectorELNS0_4arch9wavefront6targetE0EEEvT1_,comdat
	.protected	_ZN7rocprim17ROCPRIM_400000_NS6detail17trampoline_kernelINS0_14default_configENS1_29reduce_by_key_config_selectorIjyN6thrust23THRUST_200600_302600_NS4plusIyEEEEZZNS1_33reduce_by_key_impl_wrapped_configILNS1_25lookback_scan_determinismE0ES3_S9_NS6_6detail15normal_iteratorINS6_10device_ptrIjEEEENSD_INSE_IyEEEENS6_16discard_iteratorINS6_11use_defaultEEESI_PmS8_NS6_8equal_toIjEEEE10hipError_tPvRmT2_T3_mT4_T5_T6_T7_T8_P12ihipStream_tbENKUlT_T0_E_clISt17integral_constantIbLb1EES16_EEDaS11_S12_EUlS11_E_NS1_11comp_targetILNS1_3genE9ELNS1_11target_archE1100ELNS1_3gpuE3ELNS1_3repE0EEENS1_30default_config_static_selectorELNS0_4arch9wavefront6targetE0EEEvT1_ ; -- Begin function _ZN7rocprim17ROCPRIM_400000_NS6detail17trampoline_kernelINS0_14default_configENS1_29reduce_by_key_config_selectorIjyN6thrust23THRUST_200600_302600_NS4plusIyEEEEZZNS1_33reduce_by_key_impl_wrapped_configILNS1_25lookback_scan_determinismE0ES3_S9_NS6_6detail15normal_iteratorINS6_10device_ptrIjEEEENSD_INSE_IyEEEENS6_16discard_iteratorINS6_11use_defaultEEESI_PmS8_NS6_8equal_toIjEEEE10hipError_tPvRmT2_T3_mT4_T5_T6_T7_T8_P12ihipStream_tbENKUlT_T0_E_clISt17integral_constantIbLb1EES16_EEDaS11_S12_EUlS11_E_NS1_11comp_targetILNS1_3genE9ELNS1_11target_archE1100ELNS1_3gpuE3ELNS1_3repE0EEENS1_30default_config_static_selectorELNS0_4arch9wavefront6targetE0EEEvT1_
	.globl	_ZN7rocprim17ROCPRIM_400000_NS6detail17trampoline_kernelINS0_14default_configENS1_29reduce_by_key_config_selectorIjyN6thrust23THRUST_200600_302600_NS4plusIyEEEEZZNS1_33reduce_by_key_impl_wrapped_configILNS1_25lookback_scan_determinismE0ES3_S9_NS6_6detail15normal_iteratorINS6_10device_ptrIjEEEENSD_INSE_IyEEEENS6_16discard_iteratorINS6_11use_defaultEEESI_PmS8_NS6_8equal_toIjEEEE10hipError_tPvRmT2_T3_mT4_T5_T6_T7_T8_P12ihipStream_tbENKUlT_T0_E_clISt17integral_constantIbLb1EES16_EEDaS11_S12_EUlS11_E_NS1_11comp_targetILNS1_3genE9ELNS1_11target_archE1100ELNS1_3gpuE3ELNS1_3repE0EEENS1_30default_config_static_selectorELNS0_4arch9wavefront6targetE0EEEvT1_
	.p2align	8
	.type	_ZN7rocprim17ROCPRIM_400000_NS6detail17trampoline_kernelINS0_14default_configENS1_29reduce_by_key_config_selectorIjyN6thrust23THRUST_200600_302600_NS4plusIyEEEEZZNS1_33reduce_by_key_impl_wrapped_configILNS1_25lookback_scan_determinismE0ES3_S9_NS6_6detail15normal_iteratorINS6_10device_ptrIjEEEENSD_INSE_IyEEEENS6_16discard_iteratorINS6_11use_defaultEEESI_PmS8_NS6_8equal_toIjEEEE10hipError_tPvRmT2_T3_mT4_T5_T6_T7_T8_P12ihipStream_tbENKUlT_T0_E_clISt17integral_constantIbLb1EES16_EEDaS11_S12_EUlS11_E_NS1_11comp_targetILNS1_3genE9ELNS1_11target_archE1100ELNS1_3gpuE3ELNS1_3repE0EEENS1_30default_config_static_selectorELNS0_4arch9wavefront6targetE0EEEvT1_,@function
_ZN7rocprim17ROCPRIM_400000_NS6detail17trampoline_kernelINS0_14default_configENS1_29reduce_by_key_config_selectorIjyN6thrust23THRUST_200600_302600_NS4plusIyEEEEZZNS1_33reduce_by_key_impl_wrapped_configILNS1_25lookback_scan_determinismE0ES3_S9_NS6_6detail15normal_iteratorINS6_10device_ptrIjEEEENSD_INSE_IyEEEENS6_16discard_iteratorINS6_11use_defaultEEESI_PmS8_NS6_8equal_toIjEEEE10hipError_tPvRmT2_T3_mT4_T5_T6_T7_T8_P12ihipStream_tbENKUlT_T0_E_clISt17integral_constantIbLb1EES16_EEDaS11_S12_EUlS11_E_NS1_11comp_targetILNS1_3genE9ELNS1_11target_archE1100ELNS1_3gpuE3ELNS1_3repE0EEENS1_30default_config_static_selectorELNS0_4arch9wavefront6targetE0EEEvT1_: ; @_ZN7rocprim17ROCPRIM_400000_NS6detail17trampoline_kernelINS0_14default_configENS1_29reduce_by_key_config_selectorIjyN6thrust23THRUST_200600_302600_NS4plusIyEEEEZZNS1_33reduce_by_key_impl_wrapped_configILNS1_25lookback_scan_determinismE0ES3_S9_NS6_6detail15normal_iteratorINS6_10device_ptrIjEEEENSD_INSE_IyEEEENS6_16discard_iteratorINS6_11use_defaultEEESI_PmS8_NS6_8equal_toIjEEEE10hipError_tPvRmT2_T3_mT4_T5_T6_T7_T8_P12ihipStream_tbENKUlT_T0_E_clISt17integral_constantIbLb1EES16_EEDaS11_S12_EUlS11_E_NS1_11comp_targetILNS1_3genE9ELNS1_11target_archE1100ELNS1_3gpuE3ELNS1_3repE0EEENS1_30default_config_static_selectorELNS0_4arch9wavefront6targetE0EEEvT1_
; %bb.0:
	s_clause 0x2
	s_load_b128 s[4:7], s[0:1], 0x0
	s_load_b64 s[8:9], s[0:1], 0x10
	s_load_b64 s[28:29], s[0:1], 0x80
	v_cmp_ne_u32_e64 s3, 0, v0
	v_cmp_eq_u32_e64 s2, 0, v0
	s_delay_alu instid0(VALU_DEP_1)
	s_and_saveexec_b32 s10, s2
	s_cbranch_execz .LBB893_4
; %bb.1:
	s_mov_b32 s12, exec_lo
	s_mov_b32 s11, exec_lo
	v_mbcnt_lo_u32_b32 v1, s12, 0
                                        ; implicit-def: $vgpr2
	s_delay_alu instid0(VALU_DEP_1)
	v_cmpx_eq_u32_e32 0, v1
	s_cbranch_execz .LBB893_3
; %bb.2:
	s_load_b64 s[14:15], s[0:1], 0x88
	s_bcnt1_i32_b32 s12, s12
	s_delay_alu instid0(SALU_CYCLE_1)
	v_dual_mov_b32 v2, 0 :: v_dual_mov_b32 v3, s12
	s_waitcnt lgkmcnt(0)
	global_atomic_add_u32 v2, v2, v3, s[14:15] glc
.LBB893_3:
	s_or_b32 exec_lo, exec_lo, s11
	s_waitcnt vmcnt(0)
	v_readfirstlane_b32 s11, v2
	s_delay_alu instid0(VALU_DEP_1)
	v_dual_mov_b32 v2, 0 :: v_dual_add_nc_u32 v1, s11, v1
	ds_store_b32 v2, v1
.LBB893_4:
	s_or_b32 exec_lo, exec_lo, s10
	v_mov_b32_e32 v2, 0
	s_clause 0x1
	s_load_b128 s[24:27], s[0:1], 0x28
	s_load_b512 s[36:51], s[0:1], 0x40
	s_waitcnt lgkmcnt(0)
	s_barrier
	buffer_gl0_inv
	ds_load_b32 v1, v2
	s_lshl_b64 s[0:1], s[6:7], 2
	s_waitcnt lgkmcnt(0)
	s_add_u32 s14, s4, s0
	s_addc_u32 s1, s5, s1
	s_lshl_b64 s[4:5], s[6:7], 3
	s_mov_b32 s0, 0
	s_add_u32 s6, s8, s4
	s_addc_u32 s7, s9, s5
	s_barrier
	buffer_gl0_inv
	s_mul_i32 s10, s44, s43
	s_mul_hi_u32 s11, s44, s42
	s_mul_i32 s13, s44, s42
	s_mul_i32 s12, s45, s42
	v_readfirstlane_b32 s44, v1
	v_mul_lo_u32 v1, 0xf00, v1
	s_add_i32 s4, s11, s10
	s_delay_alu instid0(SALU_CYCLE_1) | instskip(NEXT) | instid1(VALU_DEP_2)
	s_add_i32 s4, s4, s12
	s_add_u32 s18, s13, s44
	s_addc_u32 s19, s4, 0
	s_add_u32 s4, s46, -1
	s_addc_u32 s5, s47, -1
	s_delay_alu instid0(VALU_DEP_1)
	v_lshlrev_b64 v[3:4], 2, v[1:2]
	v_lshlrev_b64 v[1:2], 3, v[1:2]
	s_cmp_eq_u64 s[18:19], s[4:5]
	s_mul_i32 s34, s4, 0xfffff100
	s_cselect_b32 s33, -1, 0
	s_cmp_lg_u64 s[18:19], s[4:5]
	v_add_co_u32 v46, vcc_lo, s14, v3
	v_add_co_ci_u32_e32 v45, vcc_lo, s1, v4, vcc_lo
	v_add_co_u32 v47, vcc_lo, s6, v1
	v_add_co_ci_u32_e32 v48, vcc_lo, s7, v2, vcc_lo
	s_cselect_b32 s17, -1, 0
	s_and_b32 vcc_lo, exec_lo, s33
	s_cbranch_vccnz .LBB893_6
; %bb.5:
	v_lshlrev_b32_e32 v5, 2, v0
	v_mul_u32_u24_e32 v51, 15, v0
	v_mad_u32_u24 v62, v0, 15, 1
	v_mad_u32_u24 v57, v0, 15, 2
	;; [unrolled: 1-line block ×3, first 2 shown]
	v_add_co_u32 v1, vcc_lo, v46, v5
	v_add_co_ci_u32_e32 v2, vcc_lo, 0, v45, vcc_lo
	v_mad_u32_u24 v49, v0, 56, v5
	s_delay_alu instid0(VALU_DEP_3) | instskip(NEXT) | instid1(VALU_DEP_3)
	v_add_co_u32 v3, vcc_lo, 0x1000, v1
	v_add_co_ci_u32_e32 v4, vcc_lo, 0, v2, vcc_lo
	s_clause 0x7
	flat_load_b32 v6, v[1:2]
	flat_load_b32 v7, v[1:2] offset:1024
	flat_load_b32 v8, v[1:2] offset:2048
	flat_load_b32 v9, v[1:2] offset:3072
	flat_load_b32 v10, v[3:4]
	flat_load_b32 v11, v[3:4] offset:1024
	flat_load_b32 v12, v[3:4] offset:2048
	;; [unrolled: 1-line block ×3, first 2 shown]
	v_add_co_u32 v3, vcc_lo, 0x2000, v1
	v_add_co_ci_u32_e32 v4, vcc_lo, 0, v2, vcc_lo
	v_add_co_u32 v1, vcc_lo, 0x3000, v1
	v_add_co_ci_u32_e32 v2, vcc_lo, 0, v2, vcc_lo
	s_clause 0x6
	flat_load_b32 v14, v[3:4]
	flat_load_b32 v31, v[3:4] offset:1024
	flat_load_b32 v32, v[3:4] offset:2048
	;; [unrolled: 1-line block ×3, first 2 shown]
	flat_load_b32 v4, v[1:2]
	flat_load_b32 v33, v[1:2] offset:1024
	flat_load_b32 v1, v[1:2] offset:2048
	v_lshlrev_b32_e32 v2, 3, v0
	v_mad_u32_u24 v56, v0, 15, 4
	v_mad_u32_u24 v60, v0, 15, 5
	;; [unrolled: 1-line block ×4, first 2 shown]
	v_add_co_u32 v15, vcc_lo, v47, v2
	v_add_co_ci_u32_e32 v16, vcc_lo, 0, v48, vcc_lo
	v_mad_u32_u24 v52, v0, 15, 8
	s_delay_alu instid0(VALU_DEP_3) | instskip(NEXT) | instid1(VALU_DEP_3)
	v_add_co_u32 v17, vcc_lo, 0x1000, v15
	v_add_co_ci_u32_e32 v18, vcc_lo, 0, v16, vcc_lo
	v_add_co_u32 v19, vcc_lo, 0x2000, v15
	v_add_co_ci_u32_e32 v20, vcc_lo, 0, v16, vcc_lo
	;; [unrolled: 2-line block ×7, first 2 shown]
	v_mad_u32_u24 v53, v0, 15, 9
	v_mad_u32_u24 v50, v0, 15, 10
	v_mad_i32_i24 v64, 0xffffffcc, v0, v49
	v_mad_u32_u24 v63, v0, 15, 11
	v_mad_u32_u24 v58, v0, 15, 12
	;; [unrolled: 1-line block ×3, first 2 shown]
	s_waitcnt vmcnt(13) lgkmcnt(13)
	ds_store_2addr_stride64_b32 v5, v6, v7 offset1:4
	s_waitcnt vmcnt(11) lgkmcnt(12)
	ds_store_2addr_stride64_b32 v5, v8, v9 offset0:8 offset1:12
	s_waitcnt vmcnt(9) lgkmcnt(11)
	ds_store_2addr_stride64_b32 v5, v10, v11 offset0:16 offset1:20
	;; [unrolled: 2-line block ×6, first 2 shown]
	s_waitcnt vmcnt(0) lgkmcnt(7)
	ds_store_b32 v5, v1 offset:14336
	s_waitcnt lgkmcnt(0)
	s_barrier
	buffer_gl0_inv
	ds_load_2addr_b32 v[13:14], v49 offset1:1
	ds_load_2addr_b32 v[11:12], v49 offset0:2 offset1:3
	ds_load_2addr_b32 v[9:10], v49 offset0:4 offset1:5
	;; [unrolled: 1-line block ×6, first 2 shown]
	ds_load_b32 v81, v49 offset:56
	s_waitcnt lgkmcnt(0)
	s_barrier
	buffer_gl0_inv
	s_clause 0xe
	flat_load_b64 v[31:32], v[15:16]
	flat_load_b64 v[15:16], v[15:16] offset:2048
	flat_load_b64 v[33:34], v[17:18]
	flat_load_b64 v[17:18], v[17:18] offset:2048
	;; [unrolled: 2-line block ×7, first 2 shown]
	flat_load_b64 v[29:30], v[29:30]
	v_mad_u32_u24 v49, v0, 15, 14
	s_waitcnt vmcnt(13) lgkmcnt(13)
	ds_store_2addr_stride64_b64 v64, v[31:32], v[15:16] offset1:4
	s_waitcnt vmcnt(11) lgkmcnt(12)
	ds_store_2addr_stride64_b64 v64, v[33:34], v[17:18] offset0:8 offset1:12
	s_waitcnt vmcnt(9) lgkmcnt(11)
	ds_store_2addr_stride64_b64 v64, v[35:36], v[19:20] offset0:16 offset1:20
	;; [unrolled: 2-line block ×6, first 2 shown]
	s_waitcnt vmcnt(0) lgkmcnt(7)
	ds_store_b64 v64, v[29:30] offset:28672
	s_waitcnt lgkmcnt(0)
	s_barrier
	s_and_not1_b32 vcc_lo, exec_lo, s0
	s_add_i32 s34, s34, s48
	s_cbranch_vccz .LBB893_7
	s_branch .LBB893_68
.LBB893_6:
                                        ; implicit-def: $vgpr49
                                        ; implicit-def: $vgpr54
                                        ; implicit-def: $vgpr58
                                        ; implicit-def: $vgpr63
                                        ; implicit-def: $vgpr50
                                        ; implicit-def: $vgpr53
                                        ; implicit-def: $vgpr52
                                        ; implicit-def: $vgpr59
                                        ; implicit-def: $vgpr55
                                        ; implicit-def: $vgpr60
                                        ; implicit-def: $vgpr56
                                        ; implicit-def: $vgpr61
                                        ; implicit-def: $vgpr57
                                        ; implicit-def: $vgpr62
                                        ; implicit-def: $vgpr51
                                        ; implicit-def: $vgpr13
                                        ; implicit-def: $vgpr11
                                        ; implicit-def: $vgpr9
                                        ; implicit-def: $vgpr7
                                        ; implicit-def: $vgpr5
                                        ; implicit-def: $vgpr3
                                        ; implicit-def: $vgpr1
                                        ; implicit-def: $vgpr81
	s_add_i32 s34, s34, s48
.LBB893_7:
	s_delay_alu instid0(SALU_CYCLE_1)
	v_cmp_gt_u32_e32 vcc_lo, s34, v0
                                        ; implicit-def: $vgpr1
	s_and_saveexec_b32 s1, vcc_lo
	s_cbranch_execz .LBB893_9
; %bb.8:
	v_lshlrev_b32_e32 v1, 2, v0
	s_delay_alu instid0(VALU_DEP_1) | instskip(NEXT) | instid1(VALU_DEP_1)
	v_add_co_u32 v1, s0, v46, v1
	v_add_co_ci_u32_e64 v2, s0, 0, v45, s0
	flat_load_b32 v1, v[1:2]
.LBB893_9:
	s_or_b32 exec_lo, exec_lo, s1
	v_or_b32_e32 v2, 0x100, v0
	s_delay_alu instid0(VALU_DEP_1) | instskip(NEXT) | instid1(VALU_DEP_1)
	v_cmp_gt_u32_e64 s0, s34, v2
                                        ; implicit-def: $vgpr2
	s_and_saveexec_b32 s4, s0
	s_cbranch_execz .LBB893_11
; %bb.10:
	v_lshlrev_b32_e32 v2, 2, v0
	s_delay_alu instid0(VALU_DEP_1) | instskip(NEXT) | instid1(VALU_DEP_1)
	v_add_co_u32 v2, s1, v46, v2
	v_add_co_ci_u32_e64 v3, s1, 0, v45, s1
	flat_load_b32 v2, v[2:3] offset:1024
.LBB893_11:
	s_or_b32 exec_lo, exec_lo, s4
	v_or_b32_e32 v21, 0x200, v0
                                        ; implicit-def: $vgpr3
	s_delay_alu instid0(VALU_DEP_1) | instskip(NEXT) | instid1(VALU_DEP_1)
	v_cmp_gt_u32_e64 s1, s34, v21
	s_and_saveexec_b32 s5, s1
	s_cbranch_execz .LBB893_13
; %bb.12:
	v_lshlrev_b32_e32 v3, 2, v0
	s_delay_alu instid0(VALU_DEP_1) | instskip(NEXT) | instid1(VALU_DEP_1)
	v_add_co_u32 v3, s4, v46, v3
	v_add_co_ci_u32_e64 v4, s4, 0, v45, s4
	flat_load_b32 v3, v[3:4] offset:2048
.LBB893_13:
	s_or_b32 exec_lo, exec_lo, s5
	v_or_b32_e32 v23, 0x300, v0
                                        ; implicit-def: $vgpr4
	s_delay_alu instid0(VALU_DEP_1) | instskip(NEXT) | instid1(VALU_DEP_1)
	v_cmp_gt_u32_e64 s4, s34, v23
	s_and_saveexec_b32 s6, s4
	s_cbranch_execz .LBB893_15
; %bb.14:
	v_lshlrev_b32_e32 v4, 2, v0
	s_delay_alu instid0(VALU_DEP_1) | instskip(NEXT) | instid1(VALU_DEP_1)
	v_add_co_u32 v4, s5, v46, v4
	v_add_co_ci_u32_e64 v5, s5, 0, v45, s5
	flat_load_b32 v4, v[4:5] offset:3072
.LBB893_15:
	s_or_b32 exec_lo, exec_lo, s6
	v_or_b32_e32 v25, 0x400, v0
                                        ; implicit-def: $vgpr5
	s_delay_alu instid0(VALU_DEP_1) | instskip(NEXT) | instid1(VALU_DEP_1)
	v_cmp_gt_u32_e64 s5, s34, v25
	s_and_saveexec_b32 s7, s5
	s_cbranch_execz .LBB893_17
; %bb.16:
	v_lshlrev_b32_e32 v5, 2, v25
	s_delay_alu instid0(VALU_DEP_1) | instskip(NEXT) | instid1(VALU_DEP_1)
	v_add_co_u32 v5, s6, v46, v5
	v_add_co_ci_u32_e64 v6, s6, 0, v45, s6
	flat_load_b32 v5, v[5:6]
.LBB893_17:
	s_or_b32 exec_lo, exec_lo, s7
	v_or_b32_e32 v27, 0x500, v0
                                        ; implicit-def: $vgpr6
	s_delay_alu instid0(VALU_DEP_1) | instskip(NEXT) | instid1(VALU_DEP_1)
	v_cmp_gt_u32_e64 s6, s34, v27
	s_and_saveexec_b32 s8, s6
	s_cbranch_execz .LBB893_19
; %bb.18:
	v_lshlrev_b32_e32 v6, 2, v27
	s_delay_alu instid0(VALU_DEP_1) | instskip(NEXT) | instid1(VALU_DEP_1)
	v_add_co_u32 v6, s7, v46, v6
	v_add_co_ci_u32_e64 v7, s7, 0, v45, s7
	flat_load_b32 v6, v[6:7]
.LBB893_19:
	s_or_b32 exec_lo, exec_lo, s8
	v_or_b32_e32 v29, 0x600, v0
                                        ; implicit-def: $vgpr7
	s_delay_alu instid0(VALU_DEP_1) | instskip(NEXT) | instid1(VALU_DEP_1)
	v_cmp_gt_u32_e64 s7, s34, v29
	s_and_saveexec_b32 s9, s7
	s_cbranch_execz .LBB893_21
; %bb.20:
	v_lshlrev_b32_e32 v7, 2, v29
	s_delay_alu instid0(VALU_DEP_1) | instskip(NEXT) | instid1(VALU_DEP_1)
	v_add_co_u32 v7, s8, v46, v7
	v_add_co_ci_u32_e64 v8, s8, 0, v45, s8
	flat_load_b32 v7, v[7:8]
.LBB893_21:
	s_or_b32 exec_lo, exec_lo, s9
	v_or_b32_e32 v31, 0x700, v0
                                        ; implicit-def: $vgpr8
	s_delay_alu instid0(VALU_DEP_1) | instskip(NEXT) | instid1(VALU_DEP_1)
	v_cmp_gt_u32_e64 s8, s34, v31
	s_and_saveexec_b32 s10, s8
	s_cbranch_execz .LBB893_23
; %bb.22:
	v_lshlrev_b32_e32 v8, 2, v31
	s_delay_alu instid0(VALU_DEP_1) | instskip(NEXT) | instid1(VALU_DEP_1)
	v_add_co_u32 v8, s9, v46, v8
	v_add_co_ci_u32_e64 v9, s9, 0, v45, s9
	flat_load_b32 v8, v[8:9]
.LBB893_23:
	s_or_b32 exec_lo, exec_lo, s10
	v_or_b32_e32 v33, 0x800, v0
                                        ; implicit-def: $vgpr9
	s_delay_alu instid0(VALU_DEP_1) | instskip(NEXT) | instid1(VALU_DEP_1)
	v_cmp_gt_u32_e64 s9, s34, v33
	s_and_saveexec_b32 s11, s9
	s_cbranch_execz .LBB893_25
; %bb.24:
	v_lshlrev_b32_e32 v9, 2, v33
	s_delay_alu instid0(VALU_DEP_1) | instskip(NEXT) | instid1(VALU_DEP_1)
	v_add_co_u32 v9, s10, v46, v9
	v_add_co_ci_u32_e64 v10, s10, 0, v45, s10
	flat_load_b32 v9, v[9:10]
.LBB893_25:
	s_or_b32 exec_lo, exec_lo, s11
	v_or_b32_e32 v35, 0x900, v0
                                        ; implicit-def: $vgpr10
	s_delay_alu instid0(VALU_DEP_1) | instskip(NEXT) | instid1(VALU_DEP_1)
	v_cmp_gt_u32_e64 s10, s34, v35
	s_and_saveexec_b32 s12, s10
	s_cbranch_execz .LBB893_27
; %bb.26:
	v_lshlrev_b32_e32 v10, 2, v35
	s_delay_alu instid0(VALU_DEP_1) | instskip(NEXT) | instid1(VALU_DEP_1)
	v_add_co_u32 v10, s11, v46, v10
	v_add_co_ci_u32_e64 v11, s11, 0, v45, s11
	flat_load_b32 v10, v[10:11]
.LBB893_27:
	s_or_b32 exec_lo, exec_lo, s12
	v_or_b32_e32 v37, 0xa00, v0
                                        ; implicit-def: $vgpr11
	s_delay_alu instid0(VALU_DEP_1) | instskip(NEXT) | instid1(VALU_DEP_1)
	v_cmp_gt_u32_e64 s11, s34, v37
	s_and_saveexec_b32 s13, s11
	s_cbranch_execz .LBB893_29
; %bb.28:
	v_lshlrev_b32_e32 v11, 2, v37
	s_delay_alu instid0(VALU_DEP_1) | instskip(NEXT) | instid1(VALU_DEP_1)
	v_add_co_u32 v11, s12, v46, v11
	v_add_co_ci_u32_e64 v12, s12, 0, v45, s12
	flat_load_b32 v11, v[11:12]
.LBB893_29:
	s_or_b32 exec_lo, exec_lo, s13
	v_or_b32_e32 v39, 0xb00, v0
                                        ; implicit-def: $vgpr12
	s_delay_alu instid0(VALU_DEP_1) | instskip(NEXT) | instid1(VALU_DEP_1)
	v_cmp_gt_u32_e64 s12, s34, v39
	s_and_saveexec_b32 s14, s12
	s_cbranch_execz .LBB893_31
; %bb.30:
	v_lshlrev_b32_e32 v12, 2, v39
	s_delay_alu instid0(VALU_DEP_1) | instskip(NEXT) | instid1(VALU_DEP_1)
	v_add_co_u32 v12, s13, v46, v12
	v_add_co_ci_u32_e64 v13, s13, 0, v45, s13
	flat_load_b32 v12, v[12:13]
.LBB893_31:
	s_or_b32 exec_lo, exec_lo, s14
	v_or_b32_e32 v41, 0xc00, v0
                                        ; implicit-def: $vgpr13
	s_delay_alu instid0(VALU_DEP_1) | instskip(NEXT) | instid1(VALU_DEP_1)
	v_cmp_gt_u32_e64 s13, s34, v41
	s_and_saveexec_b32 s15, s13
	s_cbranch_execz .LBB893_33
; %bb.32:
	v_lshlrev_b32_e32 v13, 2, v41
	s_delay_alu instid0(VALU_DEP_1) | instskip(NEXT) | instid1(VALU_DEP_1)
	v_add_co_u32 v13, s14, v46, v13
	v_add_co_ci_u32_e64 v14, s14, 0, v45, s14
	flat_load_b32 v13, v[13:14]
.LBB893_33:
	s_or_b32 exec_lo, exec_lo, s15
	v_or_b32_e32 v43, 0xd00, v0
                                        ; implicit-def: $vgpr14
	s_delay_alu instid0(VALU_DEP_1) | instskip(NEXT) | instid1(VALU_DEP_1)
	v_cmp_gt_u32_e64 s14, s34, v43
	s_and_saveexec_b32 s16, s14
	s_cbranch_execz .LBB893_35
; %bb.34:
	v_lshlrev_b32_e32 v14, 2, v43
	s_delay_alu instid0(VALU_DEP_1) | instskip(NEXT) | instid1(VALU_DEP_1)
	v_add_co_u32 v14, s15, v46, v14
	v_add_co_ci_u32_e64 v15, s15, 0, v45, s15
	flat_load_b32 v14, v[14:15]
.LBB893_35:
	s_or_b32 exec_lo, exec_lo, s16
	v_or_b32_e32 v50, 0xe00, v0
                                        ; implicit-def: $vgpr15
	s_delay_alu instid0(VALU_DEP_1) | instskip(NEXT) | instid1(VALU_DEP_1)
	v_cmp_gt_u32_e64 s15, s34, v50
	s_and_saveexec_b32 s20, s15
	s_cbranch_execz .LBB893_37
; %bb.36:
	v_lshlrev_b32_e32 v15, 2, v50
	s_delay_alu instid0(VALU_DEP_1) | instskip(NEXT) | instid1(VALU_DEP_1)
	v_add_co_u32 v15, s16, v46, v15
	v_add_co_ci_u32_e64 v16, s16, 0, v45, s16
	flat_load_b32 v15, v[15:16]
.LBB893_37:
	s_or_b32 exec_lo, exec_lo, s20
	v_lshlrev_b32_e32 v16, 2, v0
	s_waitcnt vmcnt(0) lgkmcnt(0)
	ds_store_2addr_stride64_b32 v16, v1, v2 offset1:4
	ds_store_2addr_stride64_b32 v16, v3, v4 offset0:8 offset1:12
	ds_store_2addr_stride64_b32 v16, v5, v6 offset0:16 offset1:20
	;; [unrolled: 1-line block ×6, first 2 shown]
	v_mad_u32_u24 v49, v0, 56, v16
	ds_store_b32 v16, v15 offset:14336
	s_waitcnt lgkmcnt(0)
	s_barrier
	buffer_gl0_inv
	ds_load_2addr_b32 v[13:14], v49 offset1:1
	ds_load_2addr_b32 v[11:12], v49 offset0:2 offset1:3
	ds_load_2addr_b32 v[9:10], v49 offset0:4 offset1:5
	;; [unrolled: 1-line block ×6, first 2 shown]
	ds_load_b32 v81, v49 offset:56
	s_waitcnt lgkmcnt(0)
	s_barrier
	buffer_gl0_inv
                                        ; implicit-def: $vgpr15_vgpr16
	s_and_saveexec_b32 s16, vcc_lo
	s_cbranch_execz .LBB893_51
; %bb.38:
	v_lshlrev_b32_e32 v15, 3, v0
	s_delay_alu instid0(VALU_DEP_1)
	v_add_co_u32 v15, vcc_lo, v47, v15
	v_add_co_ci_u32_e32 v16, vcc_lo, 0, v48, vcc_lo
	flat_load_b64 v[15:16], v[15:16]
	s_or_b32 exec_lo, exec_lo, s16
                                        ; implicit-def: $vgpr17_vgpr18
	s_and_saveexec_b32 s16, s0
	s_cbranch_execnz .LBB893_52
.LBB893_39:
	s_or_b32 exec_lo, exec_lo, s16
                                        ; implicit-def: $vgpr19_vgpr20
	s_and_saveexec_b32 s0, s1
	s_cbranch_execz .LBB893_53
.LBB893_40:
	v_lshlrev_b32_e32 v19, 3, v21
	s_delay_alu instid0(VALU_DEP_1)
	v_add_co_u32 v19, vcc_lo, v47, v19
	v_add_co_ci_u32_e32 v20, vcc_lo, 0, v48, vcc_lo
	flat_load_b64 v[19:20], v[19:20]
	s_or_b32 exec_lo, exec_lo, s0
                                        ; implicit-def: $vgpr21_vgpr22
	s_and_saveexec_b32 s0, s4
	s_cbranch_execnz .LBB893_54
.LBB893_41:
	s_or_b32 exec_lo, exec_lo, s0
                                        ; implicit-def: $vgpr23_vgpr24
	s_and_saveexec_b32 s0, s5
	s_cbranch_execz .LBB893_55
.LBB893_42:
	v_lshlrev_b32_e32 v23, 3, v25
	s_delay_alu instid0(VALU_DEP_1)
	v_add_co_u32 v23, vcc_lo, v47, v23
	v_add_co_ci_u32_e32 v24, vcc_lo, 0, v48, vcc_lo
	flat_load_b64 v[23:24], v[23:24]
	s_or_b32 exec_lo, exec_lo, s0
                                        ; implicit-def: $vgpr25_vgpr26
	s_and_saveexec_b32 s0, s6
	s_cbranch_execnz .LBB893_56
.LBB893_43:
	s_or_b32 exec_lo, exec_lo, s0
                                        ; implicit-def: $vgpr27_vgpr28
	s_and_saveexec_b32 s0, s7
	s_cbranch_execz .LBB893_57
.LBB893_44:
	v_lshlrev_b32_e32 v27, 3, v29
	s_delay_alu instid0(VALU_DEP_1)
	v_add_co_u32 v27, vcc_lo, v47, v27
	v_add_co_ci_u32_e32 v28, vcc_lo, 0, v48, vcc_lo
	flat_load_b64 v[27:28], v[27:28]
	s_or_b32 exec_lo, exec_lo, s0
                                        ; implicit-def: $vgpr29_vgpr30
	s_and_saveexec_b32 s0, s8
	s_cbranch_execnz .LBB893_58
.LBB893_45:
	s_or_b32 exec_lo, exec_lo, s0
                                        ; implicit-def: $vgpr31_vgpr32
	s_and_saveexec_b32 s0, s9
	s_cbranch_execz .LBB893_59
.LBB893_46:
	v_lshlrev_b32_e32 v31, 3, v33
	s_delay_alu instid0(VALU_DEP_1)
	v_add_co_u32 v31, vcc_lo, v47, v31
	v_add_co_ci_u32_e32 v32, vcc_lo, 0, v48, vcc_lo
	flat_load_b64 v[31:32], v[31:32]
	s_or_b32 exec_lo, exec_lo, s0
                                        ; implicit-def: $vgpr33_vgpr34
	s_and_saveexec_b32 s0, s10
	s_cbranch_execnz .LBB893_60
.LBB893_47:
	s_or_b32 exec_lo, exec_lo, s0
                                        ; implicit-def: $vgpr35_vgpr36
	s_and_saveexec_b32 s0, s11
	s_cbranch_execz .LBB893_61
.LBB893_48:
	v_lshlrev_b32_e32 v35, 3, v37
	s_delay_alu instid0(VALU_DEP_1)
	v_add_co_u32 v35, vcc_lo, v47, v35
	v_add_co_ci_u32_e32 v36, vcc_lo, 0, v48, vcc_lo
	flat_load_b64 v[35:36], v[35:36]
	s_or_b32 exec_lo, exec_lo, s0
                                        ; implicit-def: $vgpr37_vgpr38
	s_and_saveexec_b32 s0, s12
	s_cbranch_execnz .LBB893_62
.LBB893_49:
	s_or_b32 exec_lo, exec_lo, s0
                                        ; implicit-def: $vgpr39_vgpr40
	s_and_saveexec_b32 s0, s13
	s_cbranch_execz .LBB893_63
.LBB893_50:
	v_lshlrev_b32_e32 v39, 3, v41
	s_delay_alu instid0(VALU_DEP_1)
	v_add_co_u32 v39, vcc_lo, v47, v39
	v_add_co_ci_u32_e32 v40, vcc_lo, 0, v48, vcc_lo
	flat_load_b64 v[39:40], v[39:40]
	s_or_b32 exec_lo, exec_lo, s0
                                        ; implicit-def: $vgpr41_vgpr42
	s_and_saveexec_b32 s0, s14
	s_cbranch_execz .LBB893_65
	s_branch .LBB893_64
.LBB893_51:
	s_or_b32 exec_lo, exec_lo, s16
                                        ; implicit-def: $vgpr17_vgpr18
	s_and_saveexec_b32 s16, s0
	s_cbranch_execz .LBB893_39
.LBB893_52:
	v_lshlrev_b32_e32 v17, 3, v0
	s_delay_alu instid0(VALU_DEP_1)
	v_add_co_u32 v17, vcc_lo, v47, v17
	v_add_co_ci_u32_e32 v18, vcc_lo, 0, v48, vcc_lo
	flat_load_b64 v[17:18], v[17:18] offset:2048
	s_or_b32 exec_lo, exec_lo, s16
                                        ; implicit-def: $vgpr19_vgpr20
	s_and_saveexec_b32 s0, s1
	s_cbranch_execnz .LBB893_40
.LBB893_53:
	s_or_b32 exec_lo, exec_lo, s0
                                        ; implicit-def: $vgpr21_vgpr22
	s_and_saveexec_b32 s0, s4
	s_cbranch_execz .LBB893_41
.LBB893_54:
	v_lshlrev_b32_e32 v21, 3, v23
	s_delay_alu instid0(VALU_DEP_1)
	v_add_co_u32 v21, vcc_lo, v47, v21
	v_add_co_ci_u32_e32 v22, vcc_lo, 0, v48, vcc_lo
	flat_load_b64 v[21:22], v[21:22]
	s_or_b32 exec_lo, exec_lo, s0
                                        ; implicit-def: $vgpr23_vgpr24
	s_and_saveexec_b32 s0, s5
	s_cbranch_execnz .LBB893_42
.LBB893_55:
	s_or_b32 exec_lo, exec_lo, s0
                                        ; implicit-def: $vgpr25_vgpr26
	s_and_saveexec_b32 s0, s6
	s_cbranch_execz .LBB893_43
.LBB893_56:
	v_lshlrev_b32_e32 v25, 3, v27
	s_delay_alu instid0(VALU_DEP_1)
	v_add_co_u32 v25, vcc_lo, v47, v25
	v_add_co_ci_u32_e32 v26, vcc_lo, 0, v48, vcc_lo
	flat_load_b64 v[25:26], v[25:26]
	s_or_b32 exec_lo, exec_lo, s0
                                        ; implicit-def: $vgpr27_vgpr28
	s_and_saveexec_b32 s0, s7
	s_cbranch_execnz .LBB893_44
.LBB893_57:
	s_or_b32 exec_lo, exec_lo, s0
                                        ; implicit-def: $vgpr29_vgpr30
	s_and_saveexec_b32 s0, s8
	s_cbranch_execz .LBB893_45
.LBB893_58:
	v_lshlrev_b32_e32 v29, 3, v31
	s_delay_alu instid0(VALU_DEP_1)
	v_add_co_u32 v29, vcc_lo, v47, v29
	v_add_co_ci_u32_e32 v30, vcc_lo, 0, v48, vcc_lo
	flat_load_b64 v[29:30], v[29:30]
	s_or_b32 exec_lo, exec_lo, s0
                                        ; implicit-def: $vgpr31_vgpr32
	s_and_saveexec_b32 s0, s9
	s_cbranch_execnz .LBB893_46
.LBB893_59:
	s_or_b32 exec_lo, exec_lo, s0
                                        ; implicit-def: $vgpr33_vgpr34
	s_and_saveexec_b32 s0, s10
	s_cbranch_execz .LBB893_47
.LBB893_60:
	v_lshlrev_b32_e32 v33, 3, v35
	s_delay_alu instid0(VALU_DEP_1)
	v_add_co_u32 v33, vcc_lo, v47, v33
	v_add_co_ci_u32_e32 v34, vcc_lo, 0, v48, vcc_lo
	flat_load_b64 v[33:34], v[33:34]
	s_or_b32 exec_lo, exec_lo, s0
                                        ; implicit-def: $vgpr35_vgpr36
	s_and_saveexec_b32 s0, s11
	s_cbranch_execnz .LBB893_48
.LBB893_61:
	s_or_b32 exec_lo, exec_lo, s0
                                        ; implicit-def: $vgpr37_vgpr38
	s_and_saveexec_b32 s0, s12
	s_cbranch_execz .LBB893_49
.LBB893_62:
	v_lshlrev_b32_e32 v37, 3, v39
	s_delay_alu instid0(VALU_DEP_1)
	v_add_co_u32 v37, vcc_lo, v47, v37
	v_add_co_ci_u32_e32 v38, vcc_lo, 0, v48, vcc_lo
	flat_load_b64 v[37:38], v[37:38]
	s_or_b32 exec_lo, exec_lo, s0
                                        ; implicit-def: $vgpr39_vgpr40
	s_and_saveexec_b32 s0, s13
	s_cbranch_execnz .LBB893_50
.LBB893_63:
	s_or_b32 exec_lo, exec_lo, s0
                                        ; implicit-def: $vgpr41_vgpr42
	s_and_saveexec_b32 s0, s14
	s_cbranch_execz .LBB893_65
.LBB893_64:
	v_lshlrev_b32_e32 v41, 3, v43
	s_delay_alu instid0(VALU_DEP_1)
	v_add_co_u32 v41, vcc_lo, v47, v41
	v_add_co_ci_u32_e32 v42, vcc_lo, 0, v48, vcc_lo
	flat_load_b64 v[41:42], v[41:42]
.LBB893_65:
	s_or_b32 exec_lo, exec_lo, s0
	v_mul_u32_u24_e32 v51, 15, v0
                                        ; implicit-def: $vgpr43_vgpr44
	s_and_saveexec_b32 s0, s15
	s_cbranch_execz .LBB893_67
; %bb.66:
	v_lshlrev_b32_e32 v43, 3, v50
	s_delay_alu instid0(VALU_DEP_1)
	v_add_co_u32 v43, vcc_lo, v47, v43
	v_add_co_ci_u32_e32 v44, vcc_lo, 0, v48, vcc_lo
	flat_load_b64 v[43:44], v[43:44]
.LBB893_67:
	s_or_b32 exec_lo, exec_lo, s0
	s_delay_alu instid0(VALU_DEP_1)
	v_add_nc_u32_e32 v62, 1, v51
	v_add_nc_u32_e32 v57, 2, v51
	;; [unrolled: 1-line block ×10, first 2 shown]
	v_mad_i32_i24 v47, 0xffffffcc, v0, v49
	v_add_nc_u32_e32 v63, 11, v51
	v_add_nc_u32_e32 v58, 12, v51
	;; [unrolled: 1-line block ×4, first 2 shown]
	s_waitcnt vmcnt(0) lgkmcnt(0)
	ds_store_2addr_stride64_b64 v47, v[15:16], v[17:18] offset1:4
	ds_store_2addr_stride64_b64 v47, v[19:20], v[21:22] offset0:8 offset1:12
	ds_store_2addr_stride64_b64 v47, v[23:24], v[25:26] offset0:16 offset1:20
	;; [unrolled: 1-line block ×6, first 2 shown]
	ds_store_b64 v47, v[43:44] offset:28672
	s_waitcnt lgkmcnt(0)
	s_barrier
.LBB893_68:
	v_lshlrev_b32_e32 v15, 3, v51
	v_lshlrev_b32_e32 v16, 3, v62
	;; [unrolled: 1-line block ×5, first 2 shown]
	buffer_gl0_inv
	v_lshlrev_b32_e32 v20, 3, v60
	v_lshlrev_b32_e32 v21, 3, v55
	;; [unrolled: 1-line block ×3, first 2 shown]
	ds_load_b64 v[41:42], v15
	ds_load_b64 v[39:40], v16
	;; [unrolled: 1-line block ×8, first 2 shown]
	v_lshlrev_b32_e32 v15, 3, v52
	v_lshlrev_b32_e32 v16, 3, v53
	;; [unrolled: 1-line block ×7, first 2 shown]
	ds_load_b64 v[29:30], v15
	ds_load_b64 v[25:26], v16
	;; [unrolled: 1-line block ×7, first 2 shown]
	s_cmp_eq_u64 s[18:19], 0
	s_waitcnt lgkmcnt(0)
	s_cselect_b32 s35, -1, 0
	s_cmp_lg_u64 s[18:19], 0
	s_barrier
	s_cselect_b32 s15, -1, 0
	s_and_b32 vcc_lo, exec_lo, s17
	buffer_gl0_inv
	s_cbranch_vccz .LBB893_74
; %bb.69:
	s_and_b32 vcc_lo, exec_lo, s15
	s_cbranch_vccz .LBB893_191
; %bb.70:
	v_add_co_u32 v47, vcc_lo, -4, v46
	v_add_co_ci_u32_e32 v48, vcc_lo, -1, v45, vcc_lo
	v_cmp_ne_u32_e32 vcc_lo, v2, v81
	v_cmp_ne_u32_e64 s0, v1, v2
	v_cmp_ne_u32_e64 s1, v4, v1
	flat_load_b32 v47, v[47:48]
	v_lshlrev_b32_e32 v48, 2, v0
	v_cmp_ne_u32_e64 s4, v3, v4
	v_cmp_ne_u32_e64 s5, v6, v3
	;; [unrolled: 1-line block ×11, first 2 shown]
	s_mov_b32 s45, -1
	ds_store_b32 v48, v81
	s_waitcnt vmcnt(0) lgkmcnt(0)
	s_barrier
	buffer_gl0_inv
	s_and_saveexec_b32 s16, s3
	s_cbranch_execz .LBB893_72
; %bb.71:
	v_add_nc_u32_e32 v47, -4, v48
	ds_load_b32 v47, v47
.LBB893_72:
	s_or_b32 exec_lo, exec_lo, s16
	v_cndmask_b32_e64 v89, 0, 1, vcc_lo
	v_cndmask_b32_e64 v82, 0, 1, s0
	v_cndmask_b32_e64 v83, 0, 1, s1
	;; [unrolled: 1-line block ×13, first 2 shown]
	s_waitcnt lgkmcnt(0)
	v_cmp_ne_u32_e64 s0, v47, v13
.LBB893_73:
                                        ; implicit-def: $sgpr1
	s_branch .LBB893_75
.LBB893_74:
	s_mov_b32 s45, 0
                                        ; implicit-def: $sgpr0
                                        ; implicit-def: $vgpr89
                                        ; implicit-def: $vgpr82
                                        ; implicit-def: $vgpr83
                                        ; implicit-def: $vgpr84
                                        ; implicit-def: $vgpr85
                                        ; implicit-def: $vgpr86
                                        ; implicit-def: $vgpr87
                                        ; implicit-def: $vgpr88
                                        ; implicit-def: $vgpr90
                                        ; implicit-def: $vgpr91
                                        ; implicit-def: $vgpr92
                                        ; implicit-def: $vgpr93
                                        ; implicit-def: $vgpr94
                                        ; implicit-def: $vgpr95
                                        ; implicit-def: $sgpr1
	s_cbranch_execnz .LBB893_195
.LBB893_75:
	v_mov_b32_e32 v96, s1
	s_and_saveexec_b32 s1, s45
.LBB893_76:
	s_delay_alu instid0(VALU_DEP_2)
	v_cndmask_b32_e64 v96, 0, 1, s0
.LBB893_77:
	s_or_b32 exec_lo, exec_lo, s1
	s_delay_alu instid0(VALU_DEP_1)
	v_add3_u32 v45, v95, v96, v94
	v_cmp_eq_u32_e64 s13, 0, v95
	v_cmp_eq_u32_e64 s12, 0, v94
	;; [unrolled: 1-line block ×4, first 2 shown]
	v_add3_u32 v99, v45, v93, v92
	v_cmp_eq_u32_e64 s9, 0, v91
	v_cmp_eq_u32_e64 s8, 0, v90
	;; [unrolled: 1-line block ×9, first 2 shown]
	v_cmp_eq_u32_e32 vcc_lo, 0, v89
	v_mbcnt_lo_u32_b32 v97, -1, 0
	s_cmp_eq_u64 s[42:43], 0
	s_cselect_b32 s15, -1, 0
	s_cmp_lg_u32 s44, 0
	s_cbranch_scc0 .LBB893_144
; %bb.78:
	v_cndmask_b32_e64 v45, 0, v41, s13
	v_cndmask_b32_e64 v46, 0, v42, s13
	v_add3_u32 v47, v99, v91, v90
	s_delay_alu instid0(VALU_DEP_3) | instskip(NEXT) | instid1(VALU_DEP_1)
	v_add_co_u32 v45, s14, v45, v39
	v_add_co_ci_u32_e64 v46, s14, v46, v40, s14
	s_delay_alu instid0(VALU_DEP_3) | instskip(NEXT) | instid1(VALU_DEP_3)
	v_add3_u32 v47, v47, v88, v87
	v_cndmask_b32_e64 v45, 0, v45, s12
	s_delay_alu instid0(VALU_DEP_3) | instskip(NEXT) | instid1(VALU_DEP_3)
	v_cndmask_b32_e64 v46, 0, v46, s12
	v_add3_u32 v47, v47, v86, v85
	s_delay_alu instid0(VALU_DEP_3) | instskip(NEXT) | instid1(VALU_DEP_1)
	v_add_co_u32 v45, s14, v45, v37
	v_add_co_ci_u32_e64 v46, s14, v46, v38, s14
	s_delay_alu instid0(VALU_DEP_3) | instskip(NEXT) | instid1(VALU_DEP_3)
	v_add3_u32 v47, v47, v84, v83
	v_cndmask_b32_e64 v45, 0, v45, s11
	s_delay_alu instid0(VALU_DEP_3) | instskip(NEXT) | instid1(VALU_DEP_3)
	v_cndmask_b32_e64 v46, 0, v46, s11
	v_add3_u32 v49, v47, v82, v89
	s_delay_alu instid0(VALU_DEP_3) | instskip(NEXT) | instid1(VALU_DEP_1)
	v_add_co_u32 v45, s14, v45, v35
	v_add_co_ci_u32_e64 v46, s14, v46, v36, s14
	s_delay_alu instid0(VALU_DEP_2) | instskip(NEXT) | instid1(VALU_DEP_2)
	v_cndmask_b32_e64 v45, 0, v45, s10
	v_cndmask_b32_e64 v46, 0, v46, s10
	s_delay_alu instid0(VALU_DEP_2) | instskip(NEXT) | instid1(VALU_DEP_1)
	v_add_co_u32 v45, s14, v45, v33
	v_add_co_ci_u32_e64 v46, s14, v46, v34, s14
	s_delay_alu instid0(VALU_DEP_2) | instskip(NEXT) | instid1(VALU_DEP_2)
	v_cndmask_b32_e64 v45, 0, v45, s9
	v_cndmask_b32_e64 v46, 0, v46, s9
	s_delay_alu instid0(VALU_DEP_2) | instskip(NEXT) | instid1(VALU_DEP_1)
	;; [unrolled: 6-line block ×10, first 2 shown]
	v_add_co_u32 v45, s14, v45, v15
	v_add_co_ci_u32_e64 v46, s14, v46, v16, s14
	s_mov_b32 s14, exec_lo
	s_delay_alu instid0(VALU_DEP_1) | instskip(NEXT) | instid1(VALU_DEP_1)
	v_dual_cndmask_b32 v45, 0, v45 :: v_dual_cndmask_b32 v46, 0, v46
	v_add_co_u32 v47, vcc_lo, v45, v43
	s_delay_alu instid0(VALU_DEP_2) | instskip(SKIP_2) | instid1(VALU_DEP_4)
	v_add_co_ci_u32_e32 v48, vcc_lo, v46, v44, vcc_lo
	v_and_b32_e32 v45, 15, v97
	v_mov_b32_dpp v46, v49 row_shr:1 row_mask:0xf bank_mask:0xf
	v_mov_b32_dpp v50, v47 row_shr:1 row_mask:0xf bank_mask:0xf
	s_delay_alu instid0(VALU_DEP_4) | instskip(NEXT) | instid1(VALU_DEP_4)
	v_mov_b32_dpp v51, v48 row_shr:1 row_mask:0xf bank_mask:0xf
	v_cmpx_ne_u32_e32 0, v45
; %bb.79:
	v_cmp_eq_u32_e32 vcc_lo, 0, v49
	v_add_nc_u32_e32 v49, v46, v49
	s_delay_alu instid0(VALU_DEP_4) | instskip(NEXT) | instid1(VALU_DEP_1)
	v_dual_cndmask_b32 v51, 0, v51 :: v_dual_cndmask_b32 v50, 0, v50
	v_add_co_u32 v47, vcc_lo, v50, v47
	s_delay_alu instid0(VALU_DEP_2)
	v_add_co_ci_u32_e32 v48, vcc_lo, v51, v48, vcc_lo
; %bb.80:
	s_or_b32 exec_lo, exec_lo, s14
	v_mov_b32_dpp v46, v49 row_shr:2 row_mask:0xf bank_mask:0xf
	s_delay_alu instid0(VALU_DEP_3) | instskip(NEXT) | instid1(VALU_DEP_3)
	v_mov_b32_dpp v50, v47 row_shr:2 row_mask:0xf bank_mask:0xf
	v_mov_b32_dpp v51, v48 row_shr:2 row_mask:0xf bank_mask:0xf
	s_mov_b32 s14, exec_lo
	v_cmpx_lt_u32_e32 1, v45
; %bb.81:
	v_cmp_eq_u32_e32 vcc_lo, 0, v49
	v_add_nc_u32_e32 v49, v46, v49
	v_dual_cndmask_b32 v51, 0, v51 :: v_dual_cndmask_b32 v50, 0, v50
	s_delay_alu instid0(VALU_DEP_1) | instskip(NEXT) | instid1(VALU_DEP_2)
	v_add_co_u32 v47, vcc_lo, v50, v47
	v_add_co_ci_u32_e32 v48, vcc_lo, v51, v48, vcc_lo
; %bb.82:
	s_or_b32 exec_lo, exec_lo, s14
	v_mov_b32_dpp v46, v49 row_shr:4 row_mask:0xf bank_mask:0xf
	s_delay_alu instid0(VALU_DEP_3) | instskip(NEXT) | instid1(VALU_DEP_3)
	v_mov_b32_dpp v50, v47 row_shr:4 row_mask:0xf bank_mask:0xf
	v_mov_b32_dpp v51, v48 row_shr:4 row_mask:0xf bank_mask:0xf
	s_mov_b32 s14, exec_lo
	v_cmpx_lt_u32_e32 3, v45
; %bb.83:
	v_cmp_eq_u32_e32 vcc_lo, 0, v49
	v_add_nc_u32_e32 v49, v46, v49
	v_dual_cndmask_b32 v51, 0, v51 :: v_dual_cndmask_b32 v50, 0, v50
	s_delay_alu instid0(VALU_DEP_1) | instskip(NEXT) | instid1(VALU_DEP_2)
	v_add_co_u32 v47, vcc_lo, v50, v47
	;; [unrolled: 15-line block ×3, first 2 shown]
	v_add_co_ci_u32_e32 v48, vcc_lo, v45, v48, vcc_lo
; %bb.86:
	s_or_b32 exec_lo, exec_lo, s14
	ds_swizzle_b32 v45, v49 offset:swizzle(BROADCAST,32,15)
	ds_swizzle_b32 v46, v47 offset:swizzle(BROADCAST,32,15)
	;; [unrolled: 1-line block ×3, first 2 shown]
	v_and_b32_e32 v51, 16, v97
	s_mov_b32 s14, exec_lo
	s_delay_alu instid0(VALU_DEP_1)
	v_cmpx_ne_u32_e32 0, v51
	s_cbranch_execz .LBB893_88
; %bb.87:
	v_cmp_eq_u32_e32 vcc_lo, 0, v49
	s_waitcnt lgkmcnt(1)
	v_dual_cndmask_b32 v46, 0, v46 :: v_dual_add_nc_u32 v49, v45, v49
	s_waitcnt lgkmcnt(0)
	v_cndmask_b32_e32 v50, 0, v50, vcc_lo
	s_delay_alu instid0(VALU_DEP_2) | instskip(NEXT) | instid1(VALU_DEP_2)
	v_add_co_u32 v47, vcc_lo, v46, v47
	v_add_co_ci_u32_e32 v48, vcc_lo, v50, v48, vcc_lo
.LBB893_88:
	s_or_b32 exec_lo, exec_lo, s14
	s_waitcnt lgkmcnt(1)
	v_lshrrev_b32_e32 v46, 5, v0
	v_or_b32_e32 v45, 31, v0
	s_mov_b32 s14, exec_lo
	s_waitcnt lgkmcnt(0)
	s_delay_alu instid0(VALU_DEP_2) | instskip(NEXT) | instid1(VALU_DEP_2)
	v_lshlrev_b32_e32 v50, 4, v46
	v_cmpx_eq_u32_e64 v45, v0
	s_cbranch_execz .LBB893_90
; %bb.89:
	ds_store_b32 v50, v49 offset:2080
	ds_store_b64 v50, v[47:48] offset:2088
.LBB893_90:
	s_or_b32 exec_lo, exec_lo, s14
	s_delay_alu instid0(SALU_CYCLE_1)
	s_mov_b32 s14, exec_lo
	s_waitcnt lgkmcnt(0)
	s_barrier
	buffer_gl0_inv
	v_cmpx_gt_u32_e32 8, v0
	s_cbranch_execz .LBB893_98
; %bb.91:
	v_lshlrev_b32_e32 v51, 4, v0
	v_and_b32_e32 v53, 7, v97
	s_mov_b32 s16, exec_lo
	ds_load_b32 v52, v51 offset:2080
	ds_load_b64 v[45:46], v51 offset:2088
	s_waitcnt lgkmcnt(1)
	v_mov_b32_dpp v54, v52 row_shr:1 row_mask:0xf bank_mask:0xf
	s_waitcnt lgkmcnt(0)
	v_mov_b32_dpp v55, v45 row_shr:1 row_mask:0xf bank_mask:0xf
	v_mov_b32_dpp v56, v46 row_shr:1 row_mask:0xf bank_mask:0xf
	v_cmpx_ne_u32_e32 0, v53
; %bb.92:
	v_cmp_eq_u32_e32 vcc_lo, 0, v52
	v_add_nc_u32_e32 v52, v54, v52
	s_delay_alu instid0(VALU_DEP_4) | instskip(NEXT) | instid1(VALU_DEP_1)
	v_dual_cndmask_b32 v56, 0, v56 :: v_dual_cndmask_b32 v55, 0, v55
	v_add_co_u32 v45, vcc_lo, v55, v45
	s_delay_alu instid0(VALU_DEP_2)
	v_add_co_ci_u32_e32 v46, vcc_lo, v56, v46, vcc_lo
; %bb.93:
	s_or_b32 exec_lo, exec_lo, s16
	v_mov_b32_dpp v54, v52 row_shr:2 row_mask:0xf bank_mask:0xf
	s_delay_alu instid0(VALU_DEP_3) | instskip(NEXT) | instid1(VALU_DEP_3)
	v_mov_b32_dpp v55, v45 row_shr:2 row_mask:0xf bank_mask:0xf
	v_mov_b32_dpp v56, v46 row_shr:2 row_mask:0xf bank_mask:0xf
	s_mov_b32 s16, exec_lo
	v_cmpx_lt_u32_e32 1, v53
; %bb.94:
	v_cmp_eq_u32_e32 vcc_lo, 0, v52
	v_add_nc_u32_e32 v52, v54, v52
	v_dual_cndmask_b32 v56, 0, v56 :: v_dual_cndmask_b32 v55, 0, v55
	s_delay_alu instid0(VALU_DEP_1) | instskip(NEXT) | instid1(VALU_DEP_2)
	v_add_co_u32 v45, vcc_lo, v55, v45
	v_add_co_ci_u32_e32 v46, vcc_lo, v56, v46, vcc_lo
; %bb.95:
	s_or_b32 exec_lo, exec_lo, s16
	v_mov_b32_dpp v54, v52 row_shr:4 row_mask:0xf bank_mask:0xf
	s_delay_alu instid0(VALU_DEP_3) | instskip(NEXT) | instid1(VALU_DEP_3)
	v_mov_b32_dpp v55, v45 row_shr:4 row_mask:0xf bank_mask:0xf
	v_mov_b32_dpp v56, v46 row_shr:4 row_mask:0xf bank_mask:0xf
	s_mov_b32 s16, exec_lo
	v_cmpx_lt_u32_e32 3, v53
; %bb.96:
	v_cmp_eq_u32_e32 vcc_lo, 0, v52
	v_dual_cndmask_b32 v55, 0, v55 :: v_dual_add_nc_u32 v52, v54, v52
	v_cndmask_b32_e32 v53, 0, v56, vcc_lo
	s_delay_alu instid0(VALU_DEP_2) | instskip(NEXT) | instid1(VALU_DEP_2)
	v_add_co_u32 v45, vcc_lo, v55, v45
	v_add_co_ci_u32_e32 v46, vcc_lo, v53, v46, vcc_lo
; %bb.97:
	s_or_b32 exec_lo, exec_lo, s16
	ds_store_b32 v51, v52 offset:2080
	ds_store_b64 v51, v[45:46] offset:2088
.LBB893_98:
	s_or_b32 exec_lo, exec_lo, s14
	v_mov_b32_e32 v45, 0
	v_cmp_gt_u32_e32 vcc_lo, 32, v0
	v_dual_mov_b32 v46, 0 :: v_dual_mov_b32 v55, 0
	s_mov_b32 s16, exec_lo
	s_waitcnt lgkmcnt(0)
	s_barrier
	buffer_gl0_inv
	v_cmpx_lt_u32_e32 31, v0
	s_cbranch_execz .LBB893_100
; %bb.99:
	ds_load_b64 v[45:46], v50 offset:2072
	ds_load_b32 v55, v50 offset:2064
	v_cmp_eq_u32_e64 s14, 0, v49
	s_waitcnt lgkmcnt(1)
	s_delay_alu instid0(VALU_DEP_1) | instskip(SKIP_3) | instid1(VALU_DEP_3)
	v_cndmask_b32_e64 v51, 0, v45, s14
	v_cndmask_b32_e64 v50, 0, v46, s14
	s_waitcnt lgkmcnt(0)
	v_add_nc_u32_e32 v49, v55, v49
	v_add_co_u32 v47, s14, v51, v47
	s_delay_alu instid0(VALU_DEP_1)
	v_add_co_ci_u32_e64 v48, s14, v50, v48, s14
.LBB893_100:
	s_or_b32 exec_lo, exec_lo, s16
	v_add_nc_u32_e32 v50, -1, v97
	s_delay_alu instid0(VALU_DEP_1) | instskip(NEXT) | instid1(VALU_DEP_1)
	v_cmp_gt_i32_e64 s14, 0, v50
	v_cndmask_b32_e64 v50, v50, v97, s14
	v_cmp_eq_u32_e64 s14, 0, v97
	s_delay_alu instid0(VALU_DEP_2)
	v_lshlrev_b32_e32 v50, 2, v50
	ds_bpermute_b32 v58, v50, v49
	ds_bpermute_b32 v57, v50, v47
	;; [unrolled: 1-line block ×3, first 2 shown]
	s_and_saveexec_b32 s16, vcc_lo
	s_cbranch_execz .LBB893_143
; %bb.101:
	v_mov_b32_e32 v51, 0
	ds_load_b32 v59, v51 offset:2192
	ds_load_b64 v[47:48], v51 offset:2200
	s_and_saveexec_b32 s17, s14
	s_cbranch_execz .LBB893_103
; %bb.102:
	s_add_i32 s18, s44, 32
	s_mov_b32 s19, 0
	v_dual_mov_b32 v49, s18 :: v_dual_mov_b32 v50, 1
	s_lshl_b64 s[20:21], s[18:19], 4
	s_delay_alu instid0(SALU_CYCLE_1)
	s_add_u32 s18, s36, s20
	s_addc_u32 s19, s37, s21
	s_waitcnt lgkmcnt(1)
	global_store_b32 v51, v59, s[18:19]
	s_waitcnt lgkmcnt(0)
	global_store_b64 v51, v[47:48], s[18:19] offset:8
	s_waitcnt_vscnt null, 0x0
	buffer_gl1_inv
	buffer_gl0_inv
	global_store_b8 v49, v50, s[40:41]
.LBB893_103:
	s_or_b32 exec_lo, exec_lo, s17
	v_xad_u32 v49, v97, -1, s44
	s_mov_b32 s18, 0
	s_mov_b32 s17, exec_lo
	s_delay_alu instid0(VALU_DEP_1)
	v_add_nc_u32_e32 v50, 32, v49
	global_load_u8 v60, v50, s[40:41] glc
	s_waitcnt vmcnt(0)
	v_cmpx_eq_u16_e32 0, v60
	s_cbranch_execz .LBB893_109
; %bb.104:
	v_add_co_u32 v52, s19, s40, v50
	s_delay_alu instid0(VALU_DEP_1)
	v_add_co_ci_u32_e64 v53, null, s41, 0, s19
	s_mov_b32 s19, 1
.LBB893_105:                            ; =>This Loop Header: Depth=1
                                        ;     Child Loop BB893_106 Depth 2
	s_delay_alu instid0(SALU_CYCLE_1)
	s_max_u32 s20, s19, 1
.LBB893_106:                            ;   Parent Loop BB893_105 Depth=1
                                        ; =>  This Inner Loop Header: Depth=2
	s_delay_alu instid0(SALU_CYCLE_1)
	s_add_i32 s20, s20, -1
	s_sleep 1
	s_cmp_eq_u32 s20, 0
	s_cbranch_scc0 .LBB893_106
; %bb.107:                              ;   in Loop: Header=BB893_105 Depth=1
	global_load_u8 v60, v[52:53], off glc
	s_cmp_lt_u32 s19, 32
	s_cselect_b32 s20, -1, 0
	s_delay_alu instid0(SALU_CYCLE_1) | instskip(SKIP_4) | instid1(SALU_CYCLE_1)
	s_cmp_lg_u32 s20, 0
	s_addc_u32 s19, s19, 0
	s_waitcnt vmcnt(0)
	v_cmp_ne_u16_e32 vcc_lo, 0, v60
	s_or_b32 s18, vcc_lo, s18
	s_and_not1_b32 exec_lo, exec_lo, s18
	s_cbranch_execnz .LBB893_105
; %bb.108:
	s_or_b32 exec_lo, exec_lo, s18
.LBB893_109:
	s_delay_alu instid0(SALU_CYCLE_1)
	s_or_b32 exec_lo, exec_lo, s17
	v_dual_mov_b32 v52, s37 :: v_dual_mov_b32 v53, s36
	v_cmp_eq_u16_e32 vcc_lo, 1, v60
	v_lshlrev_b64 v[50:51], 4, v[50:51]
	s_waitcnt lgkmcnt(0)
	s_waitcnt_vscnt null, 0x0
	buffer_gl1_inv
	buffer_gl0_inv
	v_lshlrev_b32_e64 v62, v97, -1
	s_mov_b32 s17, exec_lo
	v_cndmask_b32_e32 v53, s38, v53, vcc_lo
	v_cndmask_b32_e32 v52, s39, v52, vcc_lo
	s_delay_alu instid0(VALU_DEP_2) | instskip(NEXT) | instid1(VALU_DEP_2)
	v_add_co_u32 v50, vcc_lo, v53, v50
	v_add_co_ci_u32_e32 v51, vcc_lo, v52, v51, vcc_lo
	v_cmp_ne_u32_e32 vcc_lo, 31, v97
	s_clause 0x1
	global_load_b32 v72, v[50:51], off
	global_load_b64 v[53:54], v[50:51], off offset:8
	v_add_co_ci_u32_e32 v50, vcc_lo, 0, v97, vcc_lo
	v_cmp_eq_u16_e32 vcc_lo, 2, v60
	s_delay_alu instid0(VALU_DEP_2) | instskip(SKIP_1) | instid1(VALU_DEP_1)
	v_lshlrev_b32_e32 v61, 2, v50
	v_and_or_b32 v50, vcc_lo, v62, 0x80000000
	v_ctz_i32_b32_e32 v50, v50
	s_waitcnt vmcnt(1)
	ds_bpermute_b32 v51, v61, v72
	s_waitcnt vmcnt(0)
	ds_bpermute_b32 v52, v61, v53
	ds_bpermute_b32 v63, v61, v54
	v_cmpx_lt_u32_e64 v97, v50
	s_cbranch_execz .LBB893_111
; %bb.110:
	v_cmp_eq_u32_e32 vcc_lo, 0, v72
	s_waitcnt lgkmcnt(0)
	v_dual_cndmask_b32 v63, 0, v63 :: v_dual_add_nc_u32 v72, v51, v72
	v_cndmask_b32_e32 v52, 0, v52, vcc_lo
	s_delay_alu instid0(VALU_DEP_1) | instskip(NEXT) | instid1(VALU_DEP_3)
	v_add_co_u32 v53, vcc_lo, v52, v53
	v_add_co_ci_u32_e32 v54, vcc_lo, v63, v54, vcc_lo
.LBB893_111:
	s_or_b32 exec_lo, exec_lo, s17
	v_cmp_gt_u32_e32 vcc_lo, 30, v97
	v_add_nc_u32_e32 v64, 2, v97
	s_mov_b32 s17, exec_lo
	s_waitcnt lgkmcnt(2)
	v_cndmask_b32_e64 v51, 0, 1, vcc_lo
	s_delay_alu instid0(VALU_DEP_1) | instskip(SKIP_1) | instid1(VALU_DEP_1)
	v_lshlrev_b32_e32 v51, 1, v51
	s_waitcnt lgkmcnt(0)
	v_add_lshl_u32 v63, v51, v97, 2
	ds_bpermute_b32 v51, v63, v72
	ds_bpermute_b32 v52, v63, v53
	ds_bpermute_b32 v65, v63, v54
	v_cmpx_le_u32_e64 v64, v50
	s_cbranch_execz .LBB893_113
; %bb.112:
	v_cmp_eq_u32_e32 vcc_lo, 0, v72
	s_waitcnt lgkmcnt(0)
	v_dual_cndmask_b32 v65, 0, v65 :: v_dual_add_nc_u32 v72, v51, v72
	v_cndmask_b32_e32 v52, 0, v52, vcc_lo
	s_delay_alu instid0(VALU_DEP_1) | instskip(NEXT) | instid1(VALU_DEP_3)
	v_add_co_u32 v53, vcc_lo, v52, v53
	v_add_co_ci_u32_e32 v54, vcc_lo, v65, v54, vcc_lo
.LBB893_113:
	s_or_b32 exec_lo, exec_lo, s17
	v_cmp_gt_u32_e32 vcc_lo, 28, v97
	v_add_nc_u32_e32 v66, 4, v97
	s_mov_b32 s17, exec_lo
	s_waitcnt lgkmcnt(2)
	v_cndmask_b32_e64 v51, 0, 1, vcc_lo
	s_delay_alu instid0(VALU_DEP_1) | instskip(SKIP_1) | instid1(VALU_DEP_1)
	v_lshlrev_b32_e32 v51, 2, v51
	s_waitcnt lgkmcnt(0)
	v_add_lshl_u32 v65, v51, v97, 2
	ds_bpermute_b32 v51, v65, v72
	ds_bpermute_b32 v52, v65, v53
	ds_bpermute_b32 v67, v65, v54
	v_cmpx_le_u32_e64 v66, v50
	s_cbranch_execz .LBB893_115
; %bb.114:
	v_cmp_eq_u32_e32 vcc_lo, 0, v72
	s_waitcnt lgkmcnt(0)
	v_dual_cndmask_b32 v67, 0, v67 :: v_dual_add_nc_u32 v72, v51, v72
	v_cndmask_b32_e32 v52, 0, v52, vcc_lo
	s_delay_alu instid0(VALU_DEP_1) | instskip(NEXT) | instid1(VALU_DEP_3)
	v_add_co_u32 v53, vcc_lo, v52, v53
	v_add_co_ci_u32_e32 v54, vcc_lo, v67, v54, vcc_lo
.LBB893_115:
	s_or_b32 exec_lo, exec_lo, s17
	v_cmp_gt_u32_e32 vcc_lo, 24, v97
	v_add_nc_u32_e32 v68, 8, v97
	s_mov_b32 s17, exec_lo
	s_waitcnt lgkmcnt(2)
	v_cndmask_b32_e64 v51, 0, 1, vcc_lo
	s_delay_alu instid0(VALU_DEP_1) | instskip(SKIP_1) | instid1(VALU_DEP_1)
	v_lshlrev_b32_e32 v51, 3, v51
	s_waitcnt lgkmcnt(0)
	v_add_lshl_u32 v67, v51, v97, 2
	ds_bpermute_b32 v51, v67, v72
	ds_bpermute_b32 v52, v67, v53
	ds_bpermute_b32 v69, v67, v54
	v_cmpx_le_u32_e64 v68, v50
	s_cbranch_execz .LBB893_117
; %bb.116:
	v_cmp_eq_u32_e32 vcc_lo, 0, v72
	s_waitcnt lgkmcnt(0)
	v_dual_cndmask_b32 v69, 0, v69 :: v_dual_add_nc_u32 v72, v51, v72
	v_cndmask_b32_e32 v52, 0, v52, vcc_lo
	s_delay_alu instid0(VALU_DEP_1) | instskip(NEXT) | instid1(VALU_DEP_3)
	v_add_co_u32 v53, vcc_lo, v52, v53
	v_add_co_ci_u32_e32 v54, vcc_lo, v69, v54, vcc_lo
.LBB893_117:
	s_or_b32 exec_lo, exec_lo, s17
	v_cmp_gt_u32_e32 vcc_lo, 16, v97
	v_add_nc_u32_e32 v71, 16, v97
	s_mov_b32 s17, exec_lo
	s_waitcnt lgkmcnt(2)
	v_cndmask_b32_e64 v51, 0, 1, vcc_lo
	s_delay_alu instid0(VALU_DEP_1) | instskip(NEXT) | instid1(VALU_DEP_1)
	v_lshlrev_b32_e32 v51, 4, v51
	v_add_lshl_u32 v70, v51, v97, 2
	ds_bpermute_b32 v51, v70, v72
	s_waitcnt lgkmcnt(2)
	ds_bpermute_b32 v52, v70, v53
	s_waitcnt lgkmcnt(2)
	ds_bpermute_b32 v69, v70, v54
	v_cmpx_le_u32_e64 v71, v50
	s_cbranch_execz .LBB893_119
; %bb.118:
	v_cmp_eq_u32_e32 vcc_lo, 0, v72
	s_waitcnt lgkmcnt(2)
	v_add_nc_u32_e32 v72, v51, v72
	s_waitcnt lgkmcnt(1)
	v_cndmask_b32_e32 v52, 0, v52, vcc_lo
	s_waitcnt lgkmcnt(0)
	v_cndmask_b32_e32 v50, 0, v69, vcc_lo
	s_delay_alu instid0(VALU_DEP_2) | instskip(NEXT) | instid1(VALU_DEP_2)
	v_add_co_u32 v53, vcc_lo, v52, v53
	v_add_co_ci_u32_e32 v54, vcc_lo, v50, v54, vcc_lo
.LBB893_119:
	s_or_b32 exec_lo, exec_lo, s17
	v_mov_b32_e32 v50, 0
	s_branch .LBB893_121
.LBB893_120:                            ;   in Loop: Header=BB893_121 Depth=1
	s_or_b32 exec_lo, exec_lo, s17
	v_cmp_eq_u32_e32 vcc_lo, 0, v69
	v_subrev_nc_u32_e32 v49, 32, v49
	v_add_nc_u32_e32 v72, v72, v69
	v_dual_cndmask_b32 v54, 0, v54 :: v_dual_cndmask_b32 v53, 0, v53
	s_delay_alu instid0(VALU_DEP_1) | instskip(NEXT) | instid1(VALU_DEP_2)
	v_add_co_u32 v53, vcc_lo, v53, v51
	v_add_co_ci_u32_e32 v54, vcc_lo, v54, v52, vcc_lo
.LBB893_121:                            ; =>This Loop Header: Depth=1
                                        ;     Child Loop BB893_124 Depth 2
                                        ;       Child Loop BB893_125 Depth 3
	s_waitcnt lgkmcnt(2)
	v_and_b32_e32 v51, 0xff, v60
	s_waitcnt lgkmcnt(0)
	v_mov_b32_e32 v69, v72
	s_delay_alu instid0(VALU_DEP_2) | instskip(SKIP_2) | instid1(VALU_DEP_1)
	v_cmp_ne_u16_e32 vcc_lo, 2, v51
	v_cndmask_b32_e64 v51, 0, 1, vcc_lo
	;;#ASMSTART
	;;#ASMEND
	v_cmp_ne_u32_e32 vcc_lo, 0, v51
	v_dual_mov_b32 v51, v53 :: v_dual_mov_b32 v52, v54
	s_cmp_lg_u32 vcc_lo, exec_lo
	s_cbranch_scc1 .LBB893_138
; %bb.122:                              ;   in Loop: Header=BB893_121 Depth=1
	global_load_u8 v60, v49, s[40:41] glc
	s_mov_b32 s17, exec_lo
	s_waitcnt vmcnt(0)
	v_cmpx_eq_u16_e32 0, v60
	s_cbranch_execz .LBB893_128
; %bb.123:                              ;   in Loop: Header=BB893_121 Depth=1
	v_add_co_u32 v53, s18, s40, v49
	s_delay_alu instid0(VALU_DEP_1)
	v_add_co_ci_u32_e64 v54, null, s41, 0, s18
	s_mov_b32 s19, 1
	s_mov_b32 s18, 0
.LBB893_124:                            ;   Parent Loop BB893_121 Depth=1
                                        ; =>  This Loop Header: Depth=2
                                        ;       Child Loop BB893_125 Depth 3
	s_max_u32 s20, s19, 1
.LBB893_125:                            ;   Parent Loop BB893_121 Depth=1
                                        ;     Parent Loop BB893_124 Depth=2
                                        ; =>    This Inner Loop Header: Depth=3
	s_delay_alu instid0(SALU_CYCLE_1)
	s_add_i32 s20, s20, -1
	s_sleep 1
	s_cmp_eq_u32 s20, 0
	s_cbranch_scc0 .LBB893_125
; %bb.126:                              ;   in Loop: Header=BB893_124 Depth=2
	global_load_u8 v60, v[53:54], off glc
	s_cmp_lt_u32 s19, 32
	s_cselect_b32 s20, -1, 0
	s_delay_alu instid0(SALU_CYCLE_1) | instskip(SKIP_4) | instid1(SALU_CYCLE_1)
	s_cmp_lg_u32 s20, 0
	s_addc_u32 s19, s19, 0
	s_waitcnt vmcnt(0)
	v_cmp_ne_u16_e32 vcc_lo, 0, v60
	s_or_b32 s18, vcc_lo, s18
	s_and_not1_b32 exec_lo, exec_lo, s18
	s_cbranch_execnz .LBB893_124
; %bb.127:                              ;   in Loop: Header=BB893_121 Depth=1
	s_or_b32 exec_lo, exec_lo, s18
.LBB893_128:                            ;   in Loop: Header=BB893_121 Depth=1
	s_delay_alu instid0(SALU_CYCLE_1)
	s_or_b32 exec_lo, exec_lo, s17
	v_dual_mov_b32 v72, s37 :: v_dual_mov_b32 v73, s36
	v_cmp_eq_u16_e32 vcc_lo, 1, v60
	v_lshlrev_b64 v[53:54], 4, v[49:50]
	buffer_gl1_inv
	buffer_gl0_inv
	s_mov_b32 s17, exec_lo
	v_cndmask_b32_e32 v73, s38, v73, vcc_lo
	v_cndmask_b32_e32 v72, s39, v72, vcc_lo
	s_delay_alu instid0(VALU_DEP_2) | instskip(NEXT) | instid1(VALU_DEP_2)
	v_add_co_u32 v53, vcc_lo, v73, v53
	v_add_co_ci_u32_e32 v54, vcc_lo, v72, v54, vcc_lo
	v_cmp_eq_u16_e32 vcc_lo, 2, v60
	s_clause 0x1
	global_load_b32 v72, v[53:54], off
	global_load_b64 v[53:54], v[53:54], off offset:8
	v_and_or_b32 v73, vcc_lo, v62, 0x80000000
	s_delay_alu instid0(VALU_DEP_1)
	v_ctz_i32_b32_e32 v73, v73
	s_waitcnt vmcnt(1)
	ds_bpermute_b32 v74, v61, v72
	s_waitcnt vmcnt(0)
	ds_bpermute_b32 v75, v61, v53
	ds_bpermute_b32 v76, v61, v54
	v_cmpx_lt_u32_e64 v97, v73
	s_cbranch_execz .LBB893_130
; %bb.129:                              ;   in Loop: Header=BB893_121 Depth=1
	v_cmp_eq_u32_e32 vcc_lo, 0, v72
	s_waitcnt lgkmcnt(2)
	v_add_nc_u32_e32 v72, v74, v72
	s_waitcnt lgkmcnt(0)
	v_dual_cndmask_b32 v76, 0, v76 :: v_dual_cndmask_b32 v75, 0, v75
	s_delay_alu instid0(VALU_DEP_1) | instskip(NEXT) | instid1(VALU_DEP_2)
	v_add_co_u32 v53, vcc_lo, v75, v53
	v_add_co_ci_u32_e32 v54, vcc_lo, v76, v54, vcc_lo
.LBB893_130:                            ;   in Loop: Header=BB893_121 Depth=1
	s_or_b32 exec_lo, exec_lo, s17
	s_waitcnt lgkmcnt(2)
	ds_bpermute_b32 v74, v63, v72
	s_waitcnt lgkmcnt(2)
	ds_bpermute_b32 v75, v63, v53
	s_waitcnt lgkmcnt(2)
	ds_bpermute_b32 v76, v63, v54
	s_mov_b32 s17, exec_lo
	v_cmpx_le_u32_e64 v64, v73
	s_cbranch_execz .LBB893_132
; %bb.131:                              ;   in Loop: Header=BB893_121 Depth=1
	v_cmp_eq_u32_e32 vcc_lo, 0, v72
	s_waitcnt lgkmcnt(2)
	v_add_nc_u32_e32 v72, v74, v72
	s_waitcnt lgkmcnt(0)
	v_dual_cndmask_b32 v76, 0, v76 :: v_dual_cndmask_b32 v75, 0, v75
	s_delay_alu instid0(VALU_DEP_1) | instskip(NEXT) | instid1(VALU_DEP_2)
	v_add_co_u32 v53, vcc_lo, v75, v53
	v_add_co_ci_u32_e32 v54, vcc_lo, v76, v54, vcc_lo
.LBB893_132:                            ;   in Loop: Header=BB893_121 Depth=1
	s_or_b32 exec_lo, exec_lo, s17
	s_waitcnt lgkmcnt(2)
	ds_bpermute_b32 v74, v65, v72
	s_waitcnt lgkmcnt(2)
	ds_bpermute_b32 v75, v65, v53
	s_waitcnt lgkmcnt(2)
	ds_bpermute_b32 v76, v65, v54
	s_mov_b32 s17, exec_lo
	v_cmpx_le_u32_e64 v66, v73
	;; [unrolled: 20-line block ×4, first 2 shown]
	s_cbranch_execz .LBB893_120
; %bb.137:                              ;   in Loop: Header=BB893_121 Depth=1
	v_cmp_eq_u32_e32 vcc_lo, 0, v72
	s_waitcnt lgkmcnt(1)
	v_dual_cndmask_b32 v75, 0, v75 :: v_dual_add_nc_u32 v72, v74, v72
	s_waitcnt lgkmcnt(0)
	v_cndmask_b32_e32 v73, 0, v76, vcc_lo
	s_delay_alu instid0(VALU_DEP_2) | instskip(NEXT) | instid1(VALU_DEP_2)
	v_add_co_u32 v53, vcc_lo, v75, v53
	v_add_co_ci_u32_e32 v54, vcc_lo, v73, v54, vcc_lo
	s_branch .LBB893_120
.LBB893_138:                            ;   in Loop: Header=BB893_121 Depth=1
                                        ; implicit-def: $vgpr53_vgpr54
                                        ; implicit-def: $vgpr72
                                        ; implicit-def: $vgpr60
	s_cbranch_execz .LBB893_121
; %bb.139:
	s_and_saveexec_b32 s17, s14
	s_cbranch_execz .LBB893_141
; %bb.140:
	v_cmp_eq_u32_e32 vcc_lo, 0, v59
	s_mov_b32 s19, 0
	s_add_i32 s18, s44, 32
	v_dual_mov_b32 v54, 0 :: v_dual_add_nc_u32 v53, v69, v59
	v_dual_cndmask_b32 v50, 0, v52 :: v_dual_cndmask_b32 v49, 0, v51
	s_lshl_b64 s[20:21], s[18:19], 4
	v_dual_mov_b32 v60, s18 :: v_dual_mov_b32 v61, 2
	s_add_u32 s20, s38, s20
	s_delay_alu instid0(VALU_DEP_2)
	v_add_co_u32 v49, vcc_lo, v49, v47
	v_add_co_ci_u32_e32 v50, vcc_lo, v50, v48, vcc_lo
	s_addc_u32 s21, s39, s21
	s_clause 0x1
	global_store_b32 v54, v53, s[20:21]
	global_store_b64 v54, v[49:50], s[20:21] offset:8
	s_waitcnt lgkmcnt(0)
	s_waitcnt_vscnt null, 0x0
	buffer_gl1_inv
	buffer_gl0_inv
	global_store_b8 v60, v61, s[40:41]
	ds_store_b32 v54, v59 offset:2048
	ds_store_b64 v54, v[47:48] offset:2056
	ds_store_b32 v54, v69 offset:2064
	ds_store_b64 v54, v[51:52] offset:2072
.LBB893_141:
	s_or_b32 exec_lo, exec_lo, s17
	s_delay_alu instid0(SALU_CYCLE_1)
	s_and_b32 exec_lo, exec_lo, s2
	s_cbranch_execz .LBB893_143
; %bb.142:
	v_mov_b32_e32 v47, 0
	ds_store_b32 v47, v69 offset:2192
	ds_store_b64 v47, v[51:52] offset:2200
.LBB893_143:
	s_or_b32 exec_lo, exec_lo, s16
	s_waitcnt lgkmcnt(2)
	v_cndmask_b32_e64 v50, v58, v55, s14
	s_waitcnt lgkmcnt(0)
	s_waitcnt_vscnt null, 0x0
	s_barrier
	buffer_gl0_inv
	v_cndmask_b32_e64 v45, v57, v45, s14
	v_cmp_eq_u32_e32 vcc_lo, 0, v50
	v_mov_b32_e32 v49, 0
	v_cndmask_b32_e64 v46, v56, v46, s14
	v_cndmask_b32_e64 v50, v50, 0, s2
	ds_load_b64 v[47:48], v49 offset:2200
	s_waitcnt lgkmcnt(0)
	v_dual_cndmask_b32 v52, 0, v47 :: v_dual_cndmask_b32 v51, 0, v48
	s_delay_alu instid0(VALU_DEP_1) | instskip(NEXT) | instid1(VALU_DEP_2)
	v_add_co_u32 v45, vcc_lo, v52, v45
	v_add_co_ci_u32_e32 v46, vcc_lo, v51, v46, vcc_lo
	v_cmp_eq_u32_e32 vcc_lo, 0, v96
	s_delay_alu instid0(VALU_DEP_3) | instskip(NEXT) | instid1(VALU_DEP_3)
	v_cndmask_b32_e64 v63, v45, v47, s2
	v_cndmask_b32_e64 v64, v46, v48, s2
	ds_load_b32 v48, v49 offset:2192
	s_waitcnt lgkmcnt(0)
	v_cndmask_b32_e32 v46, 0, v63, vcc_lo
	s_barrier
	v_cndmask_b32_e32 v45, 0, v64, vcc_lo
	buffer_gl0_inv
	ds_load_b64 v[100:101], v49 offset:2056
	v_add_co_u32 v59, vcc_lo, v46, v41
	v_add_co_ci_u32_e32 v60, vcc_lo, v45, v42, vcc_lo
	s_delay_alu instid0(VALU_DEP_2) | instskip(NEXT) | instid1(VALU_DEP_2)
	v_cndmask_b32_e64 v45, 0, v59, s13
	v_cndmask_b32_e64 v46, 0, v60, s13
	s_delay_alu instid0(VALU_DEP_2) | instskip(NEXT) | instid1(VALU_DEP_2)
	v_add_co_u32 v65, vcc_lo, v45, v39
	v_add_co_ci_u32_e32 v66, vcc_lo, v46, v40, vcc_lo
	v_add_nc_u32_e32 v98, v48, v50
	s_delay_alu instid0(VALU_DEP_3) | instskip(NEXT) | instid1(VALU_DEP_3)
	v_cndmask_b32_e64 v45, 0, v65, s12
	v_cndmask_b32_e64 v46, 0, v66, s12
	s_delay_alu instid0(VALU_DEP_2) | instskip(NEXT) | instid1(VALU_DEP_2)
	v_add_co_u32 v69, vcc_lo, v45, v37
	v_add_co_ci_u32_e32 v70, vcc_lo, v46, v38, vcc_lo
	s_delay_alu instid0(VALU_DEP_2) | instskip(NEXT) | instid1(VALU_DEP_2)
	v_cndmask_b32_e64 v45, 0, v69, s11
	v_cndmask_b32_e64 v46, 0, v70, s11
	s_delay_alu instid0(VALU_DEP_2) | instskip(NEXT) | instid1(VALU_DEP_2)
	v_add_co_u32 v51, vcc_lo, v45, v35
	v_add_co_ci_u32_e32 v52, vcc_lo, v46, v36, vcc_lo
	s_delay_alu instid0(VALU_DEP_2) | instskip(NEXT) | instid1(VALU_DEP_2)
	;; [unrolled: 6-line block ×7, first 2 shown]
	v_cndmask_b32_e64 v45, 0, v53, s5
	v_cndmask_b32_e64 v46, 0, v54, s5
	s_delay_alu instid0(VALU_DEP_2) | instskip(NEXT) | instid1(VALU_DEP_2)
	v_add_co_u32 v57, vcc_lo, v45, v25
	v_add_co_ci_u32_e32 v58, vcc_lo, v46, v26, vcc_lo
	ds_load_b32 v45, v49 offset:2048
	v_cndmask_b32_e64 v46, 0, v57, s4
	v_cndmask_b32_e64 v47, 0, v58, s4
	s_delay_alu instid0(VALU_DEP_2) | instskip(NEXT) | instid1(VALU_DEP_2)
	v_add_co_u32 v73, vcc_lo, v46, v21
	v_add_co_ci_u32_e32 v74, vcc_lo, v47, v22, vcc_lo
	ds_load_b64 v[46:47], v49 offset:2072
	v_cndmask_b32_e64 v75, 0, v73, s3
	ds_load_b32 v49, v49 offset:2064
	v_cndmask_b32_e64 v76, 0, v74, s3
	v_add_co_u32 v75, vcc_lo, v75, v19
	s_delay_alu instid0(VALU_DEP_2) | instskip(SKIP_2) | instid1(VALU_DEP_3)
	v_add_co_ci_u32_e32 v76, vcc_lo, v76, v20, vcc_lo
	s_waitcnt lgkmcnt(2)
	v_cmp_eq_u32_e32 vcc_lo, 0, v45
	v_cndmask_b32_e64 v77, 0, v75, s1
	s_delay_alu instid0(VALU_DEP_3) | instskip(NEXT) | instid1(VALU_DEP_2)
	v_cndmask_b32_e64 v78, 0, v76, s1
	v_add_co_u32 v77, s1, v77, v17
	s_delay_alu instid0(VALU_DEP_1)
	v_add_co_ci_u32_e64 v78, s1, v78, v18, s1
	s_waitcnt lgkmcnt(1)
	v_cndmask_b32_e32 v46, 0, v46, vcc_lo
	v_cndmask_b32_e32 v102, 0, v47, vcc_lo
	v_cndmask_b32_e64 v79, 0, v77, s0
	v_cndmask_b32_e64 v80, 0, v78, s0
	s_delay_alu instid0(VALU_DEP_4) | instskip(NEXT) | instid1(VALU_DEP_4)
	v_add_co_u32 v47, vcc_lo, v46, v100
	v_add_co_ci_u32_e32 v48, vcc_lo, v102, v101, vcc_lo
	s_branch .LBB893_172
.LBB893_144:
                                        ; implicit-def: $vgpr45
                                        ; implicit-def: $vgpr47_vgpr48
                                        ; implicit-def: $vgpr49
                                        ; implicit-def: $vgpr63_vgpr64
                                        ; implicit-def: $vgpr59_vgpr60
                                        ; implicit-def: $vgpr65_vgpr66
                                        ; implicit-def: $vgpr69_vgpr70
                                        ; implicit-def: $vgpr51_vgpr52
                                        ; implicit-def: $vgpr55_vgpr56
                                        ; implicit-def: $vgpr61_vgpr62
                                        ; implicit-def: $vgpr67_vgpr68
                                        ; implicit-def: $vgpr71_vgpr72
                                        ; implicit-def: $vgpr53_vgpr54
                                        ; implicit-def: $vgpr57_vgpr58
                                        ; implicit-def: $vgpr73_vgpr74
                                        ; implicit-def: $vgpr75_vgpr76
                                        ; implicit-def: $vgpr77_vgpr78
                                        ; implicit-def: $vgpr79_vgpr80
                                        ; implicit-def: $vgpr98
	s_cbranch_execz .LBB893_172
; %bb.145:
	s_and_b32 s0, s15, exec_lo
	s_waitcnt lgkmcnt(0)
	v_dual_mov_b32 v50, v42 :: v_dual_mov_b32 v49, v41
	s_cselect_b32 s1, 0, s29
	s_cselect_b32 s0, 0, s28
	s_delay_alu instid0(SALU_CYCLE_1)
	s_cmp_eq_u64 s[0:1], 0
	s_cbranch_scc1 .LBB893_147
; %bb.146:
	v_mov_b32_e32 v45, 0
	global_load_b64 v[49:50], v45, s[0:1]
.LBB893_147:
	v_cmp_eq_u32_e64 s12, 0, v95
	v_cmp_eq_u32_e64 s11, 0, v94
	;; [unrolled: 1-line block ×5, first 2 shown]
	v_cndmask_b32_e64 v46, 0, v41, s12
	v_cndmask_b32_e64 v45, 0, v42, s12
	v_cmp_eq_u32_e64 s7, 0, v90
	v_cmp_eq_u32_e64 s6, 0, v88
	;; [unrolled: 1-line block ×3, first 2 shown]
	v_add_co_u32 v46, vcc_lo, v46, v39
	v_add_co_ci_u32_e32 v45, vcc_lo, v45, v40, vcc_lo
	v_cmp_eq_u32_e64 s4, 0, v86
	s_delay_alu instid0(VALU_DEP_3) | instskip(SKIP_1) | instid1(VALU_DEP_4)
	v_cndmask_b32_e64 v46, 0, v46, s11
	v_cmp_eq_u32_e64 s3, 0, v85
	v_cndmask_b32_e64 v45, 0, v45, s11
	v_cmp_eq_u32_e64 s1, 0, v83
	v_add3_u32 v47, v99, v91, v90
	v_add_co_u32 v46, vcc_lo, v46, v37
	s_delay_alu instid0(VALU_DEP_4) | instskip(NEXT) | instid1(VALU_DEP_3)
	v_add_co_ci_u32_e32 v45, vcc_lo, v45, v38, vcc_lo
	v_add3_u32 v47, v47, v88, v87
	s_delay_alu instid0(VALU_DEP_3) | instskip(SKIP_1) | instid1(VALU_DEP_3)
	v_cndmask_b32_e64 v46, 0, v46, s10
	s_mov_b32 s14, exec_lo
	v_cndmask_b32_e64 v45, 0, v45, s10
	s_delay_alu instid0(VALU_DEP_3) | instskip(NEXT) | instid1(VALU_DEP_3)
	v_add3_u32 v47, v47, v86, v85
	v_add_co_u32 v46, vcc_lo, v46, v35
	s_delay_alu instid0(VALU_DEP_3) | instskip(NEXT) | instid1(VALU_DEP_3)
	v_add_co_ci_u32_e32 v45, vcc_lo, v45, v36, vcc_lo
	v_add3_u32 v47, v47, v84, v83
	s_delay_alu instid0(VALU_DEP_3) | instskip(NEXT) | instid1(VALU_DEP_3)
	v_cndmask_b32_e64 v46, 0, v46, s9
	v_cndmask_b32_e64 v45, 0, v45, s9
	s_delay_alu instid0(VALU_DEP_3) | instskip(NEXT) | instid1(VALU_DEP_3)
	v_add3_u32 v47, v47, v82, v89
	v_add_co_u32 v46, vcc_lo, v46, v33
	s_delay_alu instid0(VALU_DEP_3) | instskip(NEXT) | instid1(VALU_DEP_2)
	v_add_co_ci_u32_e32 v45, vcc_lo, v45, v34, vcc_lo
	v_cndmask_b32_e64 v46, 0, v46, s8
	s_delay_alu instid0(VALU_DEP_2) | instskip(NEXT) | instid1(VALU_DEP_2)
	v_cndmask_b32_e64 v45, 0, v45, s8
	v_add_co_u32 v46, vcc_lo, v46, v31
	s_delay_alu instid0(VALU_DEP_2) | instskip(NEXT) | instid1(VALU_DEP_2)
	v_add_co_ci_u32_e32 v45, vcc_lo, v45, v32, vcc_lo
	v_cndmask_b32_e64 v46, 0, v46, s7
	s_delay_alu instid0(VALU_DEP_2) | instskip(NEXT) | instid1(VALU_DEP_2)
	v_cndmask_b32_e64 v45, 0, v45, s7
	v_add_co_u32 v46, vcc_lo, v46, v27
	s_delay_alu instid0(VALU_DEP_2) | instskip(NEXT) | instid1(VALU_DEP_2)
	;; [unrolled: 6-line block ×5, first 2 shown]
	v_add_co_ci_u32_e32 v45, vcc_lo, v45, v26, vcc_lo
	v_cndmask_b32_e64 v46, 0, v46, s3
	s_delay_alu instid0(VALU_DEP_2) | instskip(NEXT) | instid1(VALU_DEP_2)
	v_cndmask_b32_e64 v45, 0, v45, s3
	v_add_co_u32 v46, vcc_lo, v46, v21
	s_delay_alu instid0(VALU_DEP_2) | instskip(SKIP_1) | instid1(VALU_DEP_2)
	v_add_co_ci_u32_e32 v45, vcc_lo, v45, v22, vcc_lo
	v_cmp_eq_u32_e32 vcc_lo, 0, v84
	v_dual_cndmask_b32 v45, 0, v45 :: v_dual_cndmask_b32 v46, 0, v46
	s_delay_alu instid0(VALU_DEP_1) | instskip(NEXT) | instid1(VALU_DEP_1)
	v_add_co_u32 v46, s0, v46, v19
	v_add_co_ci_u32_e64 v45, s0, v45, v20, s0
	s_delay_alu instid0(VALU_DEP_2) | instskip(NEXT) | instid1(VALU_DEP_2)
	v_cndmask_b32_e64 v46, 0, v46, s1
	v_cndmask_b32_e64 v45, 0, v45, s1
	s_delay_alu instid0(VALU_DEP_2) | instskip(NEXT) | instid1(VALU_DEP_1)
	v_add_co_u32 v46, s0, v46, v17
	v_add_co_ci_u32_e64 v45, s0, v45, v18, s0
	v_cmp_eq_u32_e64 s0, 0, v82
	s_delay_alu instid0(VALU_DEP_1) | instskip(NEXT) | instid1(VALU_DEP_3)
	v_cndmask_b32_e64 v46, 0, v46, s0
	v_cndmask_b32_e64 v45, 0, v45, s0
	s_delay_alu instid0(VALU_DEP_2) | instskip(NEXT) | instid1(VALU_DEP_1)
	v_add_co_u32 v46, s13, v46, v15
	v_add_co_ci_u32_e64 v45, s13, v45, v16, s13
	v_cmp_eq_u32_e64 s13, 0, v89
	s_delay_alu instid0(VALU_DEP_1) | instskip(NEXT) | instid1(VALU_DEP_3)
	v_cndmask_b32_e64 v46, 0, v46, s13
	v_cndmask_b32_e64 v45, 0, v45, s13
	s_delay_alu instid0(VALU_DEP_2) | instskip(NEXT) | instid1(VALU_DEP_1)
	v_add_co_u32 v43, s13, v46, v43
	v_add_co_ci_u32_e64 v44, s13, v45, v44, s13
	v_and_b32_e32 v45, 15, v97
	v_mov_b32_dpp v46, v47 row_shr:1 row_mask:0xf bank_mask:0xf
	s_delay_alu instid0(VALU_DEP_4) | instskip(NEXT) | instid1(VALU_DEP_4)
	v_mov_b32_dpp v48, v43 row_shr:1 row_mask:0xf bank_mask:0xf
	v_mov_b32_dpp v51, v44 row_shr:1 row_mask:0xf bank_mask:0xf
	s_delay_alu instid0(VALU_DEP_4)
	v_cmpx_ne_u32_e32 0, v45
; %bb.148:
	v_cmp_eq_u32_e64 s13, 0, v47
	v_add_nc_u32_e32 v47, v46, v47
	s_delay_alu instid0(VALU_DEP_2) | instskip(SKIP_1) | instid1(VALU_DEP_2)
	v_cndmask_b32_e64 v48, 0, v48, s13
	v_cndmask_b32_e64 v51, 0, v51, s13
	v_add_co_u32 v43, s13, v48, v43
	s_delay_alu instid0(VALU_DEP_1)
	v_add_co_ci_u32_e64 v44, s13, v51, v44, s13
; %bb.149:
	s_or_b32 exec_lo, exec_lo, s14
	v_mov_b32_dpp v46, v47 row_shr:2 row_mask:0xf bank_mask:0xf
	s_delay_alu instid0(VALU_DEP_3) | instskip(NEXT) | instid1(VALU_DEP_3)
	v_mov_b32_dpp v48, v43 row_shr:2 row_mask:0xf bank_mask:0xf
	v_mov_b32_dpp v51, v44 row_shr:2 row_mask:0xf bank_mask:0xf
	s_mov_b32 s14, exec_lo
	v_cmpx_lt_u32_e32 1, v45
; %bb.150:
	v_cmp_eq_u32_e64 s13, 0, v47
	v_add_nc_u32_e32 v47, v46, v47
	s_delay_alu instid0(VALU_DEP_2) | instskip(SKIP_1) | instid1(VALU_DEP_2)
	v_cndmask_b32_e64 v48, 0, v48, s13
	v_cndmask_b32_e64 v51, 0, v51, s13
	v_add_co_u32 v43, s13, v48, v43
	s_delay_alu instid0(VALU_DEP_1)
	v_add_co_ci_u32_e64 v44, s13, v51, v44, s13
; %bb.151:
	s_or_b32 exec_lo, exec_lo, s14
	v_mov_b32_dpp v46, v47 row_shr:4 row_mask:0xf bank_mask:0xf
	s_delay_alu instid0(VALU_DEP_3) | instskip(NEXT) | instid1(VALU_DEP_3)
	v_mov_b32_dpp v48, v43 row_shr:4 row_mask:0xf bank_mask:0xf
	v_mov_b32_dpp v51, v44 row_shr:4 row_mask:0xf bank_mask:0xf
	s_mov_b32 s14, exec_lo
	v_cmpx_lt_u32_e32 3, v45
	;; [unrolled: 17-line block ×3, first 2 shown]
; %bb.154:
	v_cmp_eq_u32_e64 s13, 0, v47
	v_add_nc_u32_e32 v47, v46, v47
	s_delay_alu instid0(VALU_DEP_2) | instskip(SKIP_1) | instid1(VALU_DEP_2)
	v_cndmask_b32_e64 v48, 0, v48, s13
	v_cndmask_b32_e64 v45, 0, v51, s13
	v_add_co_u32 v43, s13, v48, v43
	s_delay_alu instid0(VALU_DEP_1)
	v_add_co_ci_u32_e64 v44, s13, v45, v44, s13
; %bb.155:
	s_or_b32 exec_lo, exec_lo, s14
	ds_swizzle_b32 v45, v47 offset:swizzle(BROADCAST,32,15)
	ds_swizzle_b32 v46, v43 offset:swizzle(BROADCAST,32,15)
	;; [unrolled: 1-line block ×3, first 2 shown]
	v_and_b32_e32 v51, 16, v97
	s_mov_b32 s14, exec_lo
	s_delay_alu instid0(VALU_DEP_1)
	v_cmpx_ne_u32_e32 0, v51
	s_cbranch_execz .LBB893_157
; %bb.156:
	v_cmp_eq_u32_e64 s13, 0, v47
	s_waitcnt lgkmcnt(2)
	v_add_nc_u32_e32 v47, v45, v47
	s_waitcnt lgkmcnt(1)
	s_delay_alu instid0(VALU_DEP_2) | instskip(SKIP_2) | instid1(VALU_DEP_2)
	v_cndmask_b32_e64 v46, 0, v46, s13
	s_waitcnt lgkmcnt(0)
	v_cndmask_b32_e64 v48, 0, v48, s13
	v_add_co_u32 v43, s13, v46, v43
	s_delay_alu instid0(VALU_DEP_1)
	v_add_co_ci_u32_e64 v44, s13, v48, v44, s13
.LBB893_157:
	s_or_b32 exec_lo, exec_lo, s14
	s_waitcnt lgkmcnt(2)
	v_or_b32_e32 v45, 31, v0
	s_waitcnt lgkmcnt(0)
	v_lshrrev_b32_e32 v48, 5, v0
	s_mov_b32 s14, exec_lo
	s_delay_alu instid0(VALU_DEP_2)
	v_cmpx_eq_u32_e64 v45, v0
	s_cbranch_execz .LBB893_159
; %bb.158:
	s_delay_alu instid0(VALU_DEP_2)
	v_lshlrev_b32_e32 v45, 4, v48
	ds_store_b32 v45, v47 offset:2080
	ds_store_b64 v45, v[43:44] offset:2088
.LBB893_159:
	s_or_b32 exec_lo, exec_lo, s14
	s_delay_alu instid0(SALU_CYCLE_1)
	s_mov_b32 s14, exec_lo
	s_waitcnt vmcnt(0) lgkmcnt(0)
	s_barrier
	buffer_gl0_inv
	v_cmpx_gt_u32_e32 8, v0
	s_cbranch_execz .LBB893_167
; %bb.160:
	v_lshlrev_b32_e32 v51, 4, v0
	v_and_b32_e32 v53, 7, v97
	s_mov_b32 s16, exec_lo
	ds_load_b32 v52, v51 offset:2080
	ds_load_b64 v[45:46], v51 offset:2088
	s_waitcnt lgkmcnt(1)
	v_mov_b32_dpp v54, v52 row_shr:1 row_mask:0xf bank_mask:0xf
	s_waitcnt lgkmcnt(0)
	v_mov_b32_dpp v55, v45 row_shr:1 row_mask:0xf bank_mask:0xf
	v_mov_b32_dpp v56, v46 row_shr:1 row_mask:0xf bank_mask:0xf
	v_cmpx_ne_u32_e32 0, v53
; %bb.161:
	v_cmp_eq_u32_e64 s13, 0, v52
	v_add_nc_u32_e32 v52, v54, v52
	s_delay_alu instid0(VALU_DEP_2) | instskip(SKIP_1) | instid1(VALU_DEP_2)
	v_cndmask_b32_e64 v55, 0, v55, s13
	v_cndmask_b32_e64 v56, 0, v56, s13
	v_add_co_u32 v45, s13, v55, v45
	s_delay_alu instid0(VALU_DEP_1)
	v_add_co_ci_u32_e64 v46, s13, v56, v46, s13
; %bb.162:
	s_or_b32 exec_lo, exec_lo, s16
	v_mov_b32_dpp v54, v52 row_shr:2 row_mask:0xf bank_mask:0xf
	s_delay_alu instid0(VALU_DEP_3) | instskip(NEXT) | instid1(VALU_DEP_3)
	v_mov_b32_dpp v55, v45 row_shr:2 row_mask:0xf bank_mask:0xf
	v_mov_b32_dpp v56, v46 row_shr:2 row_mask:0xf bank_mask:0xf
	s_mov_b32 s16, exec_lo
	v_cmpx_lt_u32_e32 1, v53
; %bb.163:
	v_cmp_eq_u32_e64 s13, 0, v52
	v_add_nc_u32_e32 v52, v54, v52
	s_delay_alu instid0(VALU_DEP_2) | instskip(SKIP_1) | instid1(VALU_DEP_2)
	v_cndmask_b32_e64 v55, 0, v55, s13
	v_cndmask_b32_e64 v56, 0, v56, s13
	v_add_co_u32 v45, s13, v55, v45
	s_delay_alu instid0(VALU_DEP_1)
	v_add_co_ci_u32_e64 v46, s13, v56, v46, s13
; %bb.164:
	s_or_b32 exec_lo, exec_lo, s16
	v_mov_b32_dpp v54, v52 row_shr:4 row_mask:0xf bank_mask:0xf
	s_delay_alu instid0(VALU_DEP_3) | instskip(NEXT) | instid1(VALU_DEP_3)
	v_mov_b32_dpp v55, v45 row_shr:4 row_mask:0xf bank_mask:0xf
	v_mov_b32_dpp v56, v46 row_shr:4 row_mask:0xf bank_mask:0xf
	s_mov_b32 s16, exec_lo
	v_cmpx_lt_u32_e32 3, v53
; %bb.165:
	v_cmp_eq_u32_e64 s13, 0, v52
	v_add_nc_u32_e32 v52, v54, v52
	s_delay_alu instid0(VALU_DEP_2) | instskip(SKIP_1) | instid1(VALU_DEP_2)
	v_cndmask_b32_e64 v55, 0, v55, s13
	v_cndmask_b32_e64 v53, 0, v56, s13
	v_add_co_u32 v45, s13, v55, v45
	s_delay_alu instid0(VALU_DEP_1)
	v_add_co_ci_u32_e64 v46, s13, v53, v46, s13
; %bb.166:
	s_or_b32 exec_lo, exec_lo, s16
	ds_store_b32 v51, v52 offset:2080
	ds_store_b64 v51, v[45:46] offset:2088
.LBB893_167:
	s_or_b32 exec_lo, exec_lo, s14
	v_mov_b32_e32 v45, v49
	v_dual_mov_b32 v75, 0 :: v_dual_mov_b32 v46, v50
	v_mov_b32_e32 v51, 0
	s_mov_b32 s14, exec_lo
	s_waitcnt lgkmcnt(0)
	s_barrier
	buffer_gl0_inv
	v_cmpx_lt_u32_e32 31, v0
	s_cbranch_execz .LBB893_169
; %bb.168:
	v_lshlrev_b32_e32 v45, 4, v48
	ds_load_b32 v51, v45 offset:2064
	ds_load_b64 v[45:46], v45 offset:2072
	s_waitcnt lgkmcnt(1)
	v_cmp_eq_u32_e64 s13, 0, v51
	s_delay_alu instid0(VALU_DEP_1) | instskip(SKIP_2) | instid1(VALU_DEP_2)
	v_cndmask_b32_e64 v52, 0, v49, s13
	v_cndmask_b32_e64 v48, 0, v50, s13
	s_waitcnt lgkmcnt(0)
	v_add_co_u32 v45, s13, v52, v45
	s_delay_alu instid0(VALU_DEP_1)
	v_add_co_ci_u32_e64 v46, s13, v48, v46, s13
.LBB893_169:
	s_or_b32 exec_lo, exec_lo, s14
	v_add_nc_u32_e32 v48, -1, v97
	v_cmp_eq_u32_e64 s13, 0, v47
	v_add_nc_u32_e32 v47, v51, v47
	s_delay_alu instid0(VALU_DEP_3) | instskip(NEXT) | instid1(VALU_DEP_3)
	v_cmp_gt_i32_e64 s14, 0, v48
	v_cndmask_b32_e64 v53, 0, v45, s13
	v_cndmask_b32_e64 v52, 0, v46, s13
	s_delay_alu instid0(VALU_DEP_3) | instskip(NEXT) | instid1(VALU_DEP_3)
	v_cndmask_b32_e64 v48, v48, v97, s14
	v_add_co_u32 v43, s13, v53, v43
	s_delay_alu instid0(VALU_DEP_1) | instskip(NEXT) | instid1(VALU_DEP_3)
	v_add_co_ci_u32_e64 v44, s13, v52, v44, s13
	v_lshlrev_b32_e32 v48, 2, v48
	v_cmp_eq_u32_e64 s13, 0, v97
	ds_bpermute_b32 v43, v48, v43
	ds_bpermute_b32 v44, v48, v44
	;; [unrolled: 1-line block ×3, first 2 shown]
	s_waitcnt lgkmcnt(2)
	v_cndmask_b32_e64 v63, v43, v45, s13
	s_waitcnt lgkmcnt(1)
	v_cndmask_b32_e64 v64, v44, v46, s13
	;; [unrolled: 2-line block ×3, first 2 shown]
	v_cmp_eq_u32_e64 s13, 0, v96
	ds_load_b32 v45, v75 offset:2192
	v_cndmask_b32_e64 v43, v63, v49, s2
	v_cndmask_b32_e64 v44, v64, v50, s2
	s_delay_alu instid0(VALU_DEP_2) | instskip(NEXT) | instid1(VALU_DEP_2)
	v_cndmask_b32_e64 v43, 0, v43, s13
	v_cndmask_b32_e64 v44, 0, v44, s13
	s_delay_alu instid0(VALU_DEP_2) | instskip(NEXT) | instid1(VALU_DEP_1)
	v_add_co_u32 v59, s13, v43, v41
	v_add_co_ci_u32_e64 v60, s13, v44, v42, s13
	s_delay_alu instid0(VALU_DEP_2) | instskip(NEXT) | instid1(VALU_DEP_2)
	v_cndmask_b32_e64 v41, 0, v59, s12
	v_cndmask_b32_e64 v42, 0, v60, s12
	s_delay_alu instid0(VALU_DEP_2) | instskip(NEXT) | instid1(VALU_DEP_1)
	v_add_co_u32 v65, s12, v41, v39
	v_add_co_ci_u32_e64 v66, s12, v42, v40, s12
	;; [unrolled: 6-line block ×11, first 2 shown]
	ds_load_b64 v[21:22], v75 offset:2200
	v_dual_cndmask_b32 v23, 0, v73 :: v_dual_cndmask_b32 v24, 0, v74
	s_delay_alu instid0(VALU_DEP_1) | instskip(NEXT) | instid1(VALU_DEP_2)
	v_add_co_u32 v75, vcc_lo, v23, v19
	v_add_co_ci_u32_e32 v76, vcc_lo, v24, v20, vcc_lo
	s_waitcnt lgkmcnt(1)
	v_cmp_eq_u32_e32 vcc_lo, 0, v45
	s_delay_alu instid0(VALU_DEP_3) | instskip(NEXT) | instid1(VALU_DEP_3)
	v_cndmask_b32_e64 v19, 0, v75, s1
	v_cndmask_b32_e64 v20, 0, v76, s1
	s_delay_alu instid0(VALU_DEP_2) | instskip(NEXT) | instid1(VALU_DEP_1)
	v_add_co_u32 v77, s1, v19, v17
	v_add_co_ci_u32_e64 v78, s1, v20, v18, s1
	v_dual_cndmask_b32 v18, 0, v49 :: v_dual_cndmask_b32 v17, 0, v50
	s_delay_alu instid0(VALU_DEP_3) | instskip(NEXT) | instid1(VALU_DEP_3)
	v_cndmask_b32_e64 v79, 0, v77, s0
	v_cndmask_b32_e64 v80, 0, v78, s0
	s_waitcnt lgkmcnt(0)
	s_delay_alu instid0(VALU_DEP_3)
	v_add_co_u32 v47, vcc_lo, v18, v21
	v_add_co_ci_u32_e32 v48, vcc_lo, v17, v22, vcc_lo
	s_and_saveexec_b32 s0, s2
	s_cbranch_execz .LBB893_171
; %bb.170:
	v_dual_mov_b32 v98, 0 :: v_dual_mov_b32 v17, 2
	v_dual_mov_b32 v64, v50 :: v_dual_mov_b32 v63, v49
	s_clause 0x1
	global_store_b32 v98, v45, s[38:39] offset:512
	global_store_b64 v98, v[47:48], s[38:39] offset:520
	s_waitcnt_vscnt null, 0x0
	buffer_gl1_inv
	buffer_gl0_inv
	global_store_b8 v98, v17, s[40:41] offset:32
.LBB893_171:
	s_or_b32 exec_lo, exec_lo, s0
	v_mov_b32_e32 v49, 0
.LBB893_172:
	v_mov_b32_e32 v17, 0
	s_and_b32 s0, s15, exec_lo
	v_mov_b32_e32 v18, 0
	s_cselect_b32 s1, 0, s51
	s_cselect_b32 s0, 0, s50
	s_waitcnt lgkmcnt(0)
	s_waitcnt_vscnt null, 0x0
	s_cmp_eq_u64 s[0:1], 0
	s_barrier
	buffer_gl0_inv
	s_cbranch_scc1 .LBB893_174
; %bb.173:
	v_mov_b32_e32 v17, 0
	global_load_b64 v[17:18], v17, s[0:1]
.LBB893_174:
	v_add_nc_u32_e32 v32, v98, v96
	v_cmp_gt_u32_e32 vcc_lo, 0x100, v45
	s_delay_alu instid0(VALU_DEP_2) | instskip(SKIP_1) | instid1(VALU_DEP_1)
	v_add_nc_u32_e32 v31, v32, v95
	s_and_b32 vcc_lo, exec_lo, vcc_lo
	v_add_nc_u32_e32 v30, v31, v94
	s_delay_alu instid0(VALU_DEP_1) | instskip(NEXT) | instid1(VALU_DEP_1)
	v_add_nc_u32_e32 v29, v30, v93
	v_add_nc_u32_e32 v28, v29, v92
	s_delay_alu instid0(VALU_DEP_1) | instskip(NEXT) | instid1(VALU_DEP_1)
	v_add_nc_u32_e32 v27, v28, v91
	;; [unrolled: 3-line block ×5, first 2 shown]
	v_add_nc_u32_e32 v20, v21, v83
	s_delay_alu instid0(VALU_DEP_1)
	v_add_nc_u32_e32 v19, v20, v82
	s_cbranch_vccnz .LBB893_223
; %bb.175:
	v_cmp_eq_u32_e32 vcc_lo, 0, v95
	v_cmp_eq_u32_e64 s0, 0, v83
	v_cmp_eq_u32_e64 s1, 0, v82
	v_cmp_ne_u32_e64 s12, 0, v96
	v_cmp_ne_u32_e64 s3, 0, v84
	v_cndmask_b32_e64 v33, 1, 2, vcc_lo
	v_cmp_eq_u32_e32 vcc_lo, 0, v96
	v_cndmask_b32_e64 v36, 1, 2, s1
	v_cmp_ne_u32_e64 s1, 0, v83
	v_cmp_ne_u32_e64 s4, 0, v85
	;; [unrolled: 1-line block ×3, first 2 shown]
	v_cndmask_b32_e64 v34, 1, 2, vcc_lo
	v_cmp_eq_u32_e32 vcc_lo, 0, v94
	v_cmp_ne_u32_e64 s6, 0, v87
	v_cmp_ne_u32_e64 s7, 0, v88
	;; [unrolled: 1-line block ×3, first 2 shown]
	v_and_b32_e32 v33, v33, v34
	v_cndmask_b32_e64 v35, 1, 2, vcc_lo
	v_cmp_eq_u32_e32 vcc_lo, 0, v93
	v_cmp_ne_u32_e64 s9, 0, v91
	v_cmp_ne_u32_e64 s10, 0, v92
	;; [unrolled: 1-line block ×3, first 2 shown]
	v_and_b32_e32 v33, v33, v35
	v_cndmask_b32_e64 v34, 1, 2, vcc_lo
	v_cmp_eq_u32_e32 vcc_lo, 0, v92
	v_cmp_ne_u32_e64 s13, 0, v94
	v_cmp_ne_u32_e64 s14, 0, v95
	s_mov_b32 s17, 0
	v_and_b32_e32 v33, v33, v34
	v_cndmask_b32_e64 v35, 1, 2, vcc_lo
	v_cmp_eq_u32_e32 vcc_lo, 0, v91
	s_mov_b32 s16, exec_lo
	s_delay_alu instid0(VALU_DEP_2) | instskip(SKIP_2) | instid1(VALU_DEP_2)
	v_and_b32_e32 v33, v33, v35
	v_cndmask_b32_e64 v34, 1, 2, vcc_lo
	v_cmp_eq_u32_e32 vcc_lo, 0, v90
	v_and_b32_e32 v33, v33, v34
	v_cndmask_b32_e64 v35, 1, 2, vcc_lo
	v_cmp_eq_u32_e32 vcc_lo, 0, v88
	s_delay_alu instid0(VALU_DEP_2) | instskip(SKIP_2) | instid1(VALU_DEP_2)
	v_and_b32_e32 v33, v33, v35
	v_cndmask_b32_e64 v34, 1, 2, vcc_lo
	v_cmp_eq_u32_e32 vcc_lo, 0, v87
	v_and_b32_e32 v33, v33, v34
	v_cndmask_b32_e64 v35, 1, 2, vcc_lo
	v_cmp_eq_u32_e32 vcc_lo, 0, v86
	;; [unrolled: 7-line block ×3, first 2 shown]
	s_delay_alu instid0(VALU_DEP_2) | instskip(SKIP_4) | instid1(VALU_DEP_4)
	v_and_b32_e32 v33, v33, v35
	v_cndmask_b32_e64 v34, 1, 2, vcc_lo
	v_cndmask_b32_e64 v35, 1, 2, s0
	v_cmp_eq_u32_e64 s0, 0, v89
	v_cmp_ne_u32_e32 vcc_lo, 0, v89
	v_and_b32_e32 v33, v33, v34
	s_delay_alu instid0(VALU_DEP_3) | instskip(SKIP_1) | instid1(VALU_DEP_3)
	v_cndmask_b32_e64 v34, 1, 2, s0
	v_cmp_ne_u32_e64 s0, 0, v82
	v_and_b32_e32 v33, v33, v35
	s_delay_alu instid0(VALU_DEP_1) | instskip(NEXT) | instid1(VALU_DEP_1)
	v_and_b32_e32 v33, v33, v36
	v_and_b32_e32 v33, v33, v34
	s_delay_alu instid0(VALU_DEP_1)
	v_cmpx_gt_i16_e32 2, v33
	s_cbranch_execz .LBB893_222
; %bb.176:
	v_cmp_ne_u16_e64 s15, 1, v33
	s_delay_alu instid0(VALU_DEP_1) | instskip(NEXT) | instid1(SALU_CYCLE_1)
	s_and_saveexec_b32 s18, s15
	s_xor_b32 s15, exec_lo, s18
	s_cbranch_execz .LBB893_200
; %bb.177:
	s_and_saveexec_b32 s17, s12
	s_cbranch_execz .LBB893_205
; %bb.178:
	v_sub_nc_u32_e32 v33, v98, v49
	s_delay_alu instid0(VALU_DEP_1)
	v_lshlrev_b32_e32 v33, 2, v33
	ds_store_b32 v33, v13
	s_or_b32 exec_lo, exec_lo, s17
	s_and_saveexec_b32 s12, s14
	s_cbranch_execnz .LBB893_206
.LBB893_179:
	s_or_b32 exec_lo, exec_lo, s12
	s_and_saveexec_b32 s12, s13
	s_cbranch_execz .LBB893_207
.LBB893_180:
	v_sub_nc_u32_e32 v13, v31, v49
	s_delay_alu instid0(VALU_DEP_1)
	v_lshlrev_b32_e32 v13, 2, v13
	ds_store_b32 v13, v11
	s_or_b32 exec_lo, exec_lo, s12
	s_and_saveexec_b32 s12, s11
	s_cbranch_execnz .LBB893_208
.LBB893_181:
	s_or_b32 exec_lo, exec_lo, s12
	s_and_saveexec_b32 s11, s10
	s_cbranch_execz .LBB893_209
.LBB893_182:
	v_sub_nc_u32_e32 v11, v29, v49
	s_delay_alu instid0(VALU_DEP_1)
	v_lshlrev_b32_e32 v11, 2, v11
	ds_store_b32 v11, v9
	s_or_b32 exec_lo, exec_lo, s11
	s_and_saveexec_b32 s10, s9
	s_cbranch_execnz .LBB893_210
.LBB893_183:
	s_or_b32 exec_lo, exec_lo, s10
	s_and_saveexec_b32 s9, s8
	s_cbranch_execz .LBB893_211
.LBB893_184:
	v_sub_nc_u32_e32 v9, v27, v49
	s_delay_alu instid0(VALU_DEP_1)
	v_lshlrev_b32_e32 v9, 2, v9
	ds_store_b32 v9, v7
	s_or_b32 exec_lo, exec_lo, s9
	s_and_saveexec_b32 s8, s7
	s_cbranch_execnz .LBB893_212
.LBB893_185:
	s_or_b32 exec_lo, exec_lo, s8
	s_and_saveexec_b32 s7, s6
	s_cbranch_execz .LBB893_213
.LBB893_186:
	v_sub_nc_u32_e32 v7, v25, v49
	s_delay_alu instid0(VALU_DEP_1)
	v_lshlrev_b32_e32 v7, 2, v7
	ds_store_b32 v7, v5
	s_or_b32 exec_lo, exec_lo, s7
	s_and_saveexec_b32 s6, s5
	s_cbranch_execnz .LBB893_214
.LBB893_187:
	s_or_b32 exec_lo, exec_lo, s6
	s_and_saveexec_b32 s5, s4
	s_cbranch_execz .LBB893_215
.LBB893_188:
	v_sub_nc_u32_e32 v5, v23, v49
	s_delay_alu instid0(VALU_DEP_1)
	v_lshlrev_b32_e32 v5, 2, v5
	ds_store_b32 v5, v3
	s_or_b32 exec_lo, exec_lo, s5
	s_and_saveexec_b32 s4, s3
	s_cbranch_execnz .LBB893_216
.LBB893_189:
	s_or_b32 exec_lo, exec_lo, s4
	s_and_saveexec_b32 s3, s1
	s_cbranch_execz .LBB893_217
.LBB893_190:
	v_sub_nc_u32_e32 v3, v21, v49
	s_delay_alu instid0(VALU_DEP_1)
	v_lshlrev_b32_e32 v3, 2, v3
	ds_store_b32 v3, v1
	s_or_b32 exec_lo, exec_lo, s3
	s_and_saveexec_b32 s1, s0
	s_cbranch_execnz .LBB893_218
	s_branch .LBB893_219
.LBB893_191:
	s_mov_b32 s45, 0
                                        ; implicit-def: $sgpr0
                                        ; implicit-def: $vgpr89
                                        ; implicit-def: $vgpr82
                                        ; implicit-def: $vgpr83
                                        ; implicit-def: $vgpr84
                                        ; implicit-def: $vgpr85
                                        ; implicit-def: $vgpr86
                                        ; implicit-def: $vgpr87
                                        ; implicit-def: $vgpr88
                                        ; implicit-def: $vgpr90
                                        ; implicit-def: $vgpr91
                                        ; implicit-def: $vgpr92
                                        ; implicit-def: $vgpr93
                                        ; implicit-def: $vgpr94
                                        ; implicit-def: $vgpr95
	s_cbranch_execz .LBB893_73
; %bb.192:
	v_cmp_ne_u32_e32 vcc_lo, v2, v81
	v_lshlrev_b32_e32 v47, 2, v0
                                        ; implicit-def: $sgpr0
	v_cndmask_b32_e64 v89, 0, 1, vcc_lo
	v_cmp_ne_u32_e32 vcc_lo, v1, v2
	ds_store_b32 v47, v81
	s_waitcnt lgkmcnt(0)
	s_barrier
	buffer_gl0_inv
	v_cndmask_b32_e64 v82, 0, 1, vcc_lo
	v_cmp_ne_u32_e32 vcc_lo, v4, v1
	v_cndmask_b32_e64 v83, 0, 1, vcc_lo
	v_cmp_ne_u32_e32 vcc_lo, v3, v4
	;; [unrolled: 2-line block ×12, first 2 shown]
	v_cndmask_b32_e64 v95, 0, 1, vcc_lo
	s_and_saveexec_b32 s1, s3
	s_delay_alu instid0(SALU_CYCLE_1)
	s_xor_b32 s1, exec_lo, s1
	s_cbranch_execz .LBB893_194
; %bb.193:
	v_add_nc_u32_e32 v47, -4, v47
	s_or_b32 s45, s45, exec_lo
	ds_load_b32 v47, v47
	s_waitcnt lgkmcnt(0)
	v_cmp_ne_u32_e32 vcc_lo, v47, v13
	s_and_b32 s0, vcc_lo, exec_lo
.LBB893_194:
	s_or_b32 exec_lo, exec_lo, s1
	s_mov_b32 s1, 1
	s_branch .LBB893_75
.LBB893_195:
	s_mul_hi_u32 s0, s18, 0xfffff100
	s_mul_i32 s1, s19, 0xfffff100
	s_sub_i32 s0, s0, s18
	s_mul_i32 s4, s18, 0xfffff100
	s_add_i32 s0, s0, s1
	s_add_u32 s30, s4, s48
	s_addc_u32 s31, s0, s49
	s_and_b32 vcc_lo, exec_lo, s15
	s_cbranch_vccz .LBB893_202
; %bb.196:
	v_add_co_u32 v46, vcc_lo, -4, v46
	v_add_co_ci_u32_e32 v47, vcc_lo, -1, v45, vcc_lo
	v_mad_u32_u24 v45, v0, 15, 14
	v_cmp_ne_u32_e64 s8, v2, v81
	v_cmp_ne_u32_e64 s10, v4, v1
	flat_load_b32 v49, v[46:47]
	v_mov_b32_e32 v46, 0
	v_cmp_ne_u32_e64 s12, v6, v3
	v_cmp_ne_u32_e64 s11, v3, v4
	v_lshlrev_b32_e32 v48, 2, v0
	v_mul_u32_u24_e32 v47, 15, v0
	v_cmp_gt_u64_e32 vcc_lo, s[30:31], v[45:46]
	v_mad_u32_u24 v45, v0, 15, 13
	s_mov_b32 s45, -1
	s_mov_b32 s14, 0
	ds_store_b32 v48, v81
	s_waitcnt vmcnt(0) lgkmcnt(0)
	v_cmp_gt_u64_e64 s0, s[30:31], v[45:46]
	v_mad_u32_u24 v45, v0, 15, 12
	s_and_b32 s15, vcc_lo, s8
	v_cmp_ne_u32_e64 s8, v1, v2
	s_barrier
	buffer_gl0_inv
	v_cmp_gt_u64_e64 s1, s[30:31], v[45:46]
	v_mad_u32_u24 v45, v0, 15, 11
	s_and_b32 s16, s0, s8
	v_cmp_ne_u32_e64 s8, v10, v7
	s_delay_alu instid0(VALU_DEP_2) | instskip(SKIP_3) | instid1(VALU_DEP_2)
	v_cmp_gt_u64_e64 s4, s[30:31], v[45:46]
	v_mad_u32_u24 v45, v0, 15, 10
	s_and_b32 s17, s1, s10
	v_cmp_ne_u32_e64 s1, v5, v6
	v_cmp_gt_u64_e64 s5, s[30:31], v[45:46]
	v_mad_u32_u24 v45, v0, 15, 9
	s_and_b32 s11, s4, s11
	v_cmp_ne_u32_e64 s4, v8, v5
	s_delay_alu instid0(VALU_DEP_2) | instskip(SKIP_3) | instid1(VALU_DEP_2)
	v_cmp_gt_u64_e64 s6, s[30:31], v[45:46]
	v_mad_u32_u24 v45, v0, 15, 8
	s_and_b32 s12, s5, s12
	v_cmp_ne_u32_e64 s5, v7, v8
	v_cmp_gt_u64_e64 s7, s[30:31], v[45:46]
	v_mad_u32_u24 v45, v0, 15, 7
	s_and_b32 s18, s6, s1
	v_cmp_ne_u32_e64 s1, v9, v10
	v_cmp_ne_u32_e64 s6, v14, v11
	s_delay_alu instid0(VALU_DEP_3) | instskip(SKIP_3) | instid1(VALU_DEP_2)
	v_cmp_gt_u64_e64 s9, s[30:31], v[45:46]
	v_mad_u32_u24 v45, v0, 15, 6
	s_and_b32 s19, s7, s4
	v_cmp_ne_u32_e64 s4, v12, v9
	v_cmp_gt_u64_e32 vcc_lo, s[30:31], v[45:46]
	v_mad_u32_u24 v45, v0, 15, 5
	s_and_b32 s20, s9, s5
	v_cmp_ne_u32_e64 s5, v11, v12
	s_delay_alu instid0(VALU_DEP_2) | instskip(SKIP_3) | instid1(VALU_DEP_2)
	v_cmp_gt_u64_e64 s13, s[30:31], v[45:46]
	v_mad_u32_u24 v45, v0, 15, 4
	s_and_b32 s9, vcc_lo, s8
	v_cmp_ne_u32_e64 s8, v13, v14
	v_cmp_gt_u64_e64 s0, s[30:31], v[45:46]
	v_mad_u32_u24 v45, v0, 15, 3
	s_and_b32 s13, s13, s1
	s_delay_alu instid0(VALU_DEP_1) | instskip(SKIP_1) | instid1(VALU_DEP_4)
	v_cmp_gt_u64_e64 s10, s[30:31], v[45:46]
	v_mad_u32_u24 v45, v0, 15, 2
	s_and_b32 s0, s0, s4
	s_delay_alu instid0(VALU_DEP_1) | instskip(SKIP_1) | instid1(VALU_DEP_4)
	v_cmp_gt_u64_e32 vcc_lo, s[30:31], v[45:46]
	v_mad_u32_u24 v45, v0, 15, 1
	s_and_b32 s5, s10, s5
	s_delay_alu instid0(VALU_DEP_1) | instskip(SKIP_1) | instid1(VALU_DEP_1)
	v_cmp_gt_u64_e64 s7, s[30:31], v[45:46]
	s_and_b32 s1, vcc_lo, s6
	s_and_b32 s4, s7, s8
	s_and_saveexec_b32 s6, s3
	s_cbranch_execz .LBB893_198
; %bb.197:
	v_add_nc_u32_e32 v45, -4, v48
	ds_load_b32 v49, v45
.LBB893_198:
	s_or_b32 exec_lo, exec_lo, s6
	v_mov_b32_e32 v48, v46
	v_cndmask_b32_e64 v92, 0, 1, s0
	s_waitcnt lgkmcnt(0)
	v_cmp_ne_u32_e64 s0, v49, v13
	v_cndmask_b32_e64 v89, 0, 1, s15
	v_cndmask_b32_e64 v82, 0, 1, s16
	v_cmp_gt_u64_e32 vcc_lo, s[30:31], v[47:48]
	v_cndmask_b32_e64 v83, 0, 1, s17
	v_cndmask_b32_e64 v84, 0, 1, s11
	;; [unrolled: 1-line block ×11, first 2 shown]
	s_and_b32 s0, vcc_lo, s0
	s_and_b32 vcc_lo, exec_lo, s14
	s_cbranch_vccnz .LBB893_203
.LBB893_199:
                                        ; implicit-def: $sgpr1
	v_mov_b32_e32 v96, s1
	s_and_saveexec_b32 s1, s45
	s_cbranch_execnz .LBB893_76
	s_branch .LBB893_77
.LBB893_200:
	s_and_not1_saveexec_b32 s0, s15
	s_cbranch_execz .LBB893_220
.LBB893_201:
	v_sub_nc_u32_e32 v33, v98, v49
	v_sub_nc_u32_e32 v36, v30, v49
	;; [unrolled: 1-line block ×4, first 2 shown]
	s_or_b32 s17, s17, exec_lo
	v_lshlrev_b32_e32 v33, 2, v33
	v_lshlrev_b32_e32 v36, 2, v36
	;; [unrolled: 1-line block ×4, first 2 shown]
	ds_store_b32 v33, v13
	ds_store_b32 v34, v14
	;; [unrolled: 1-line block ×3, first 2 shown]
	v_sub_nc_u32_e32 v11, v29, v49
	ds_store_b32 v36, v12
	v_sub_nc_u32_e32 v12, v28, v49
	v_sub_nc_u32_e32 v13, v27, v49
	;; [unrolled: 1-line block ×3, first 2 shown]
	v_lshlrev_b32_e32 v11, 2, v11
	v_sub_nc_u32_e32 v33, v25, v49
	v_lshlrev_b32_e32 v12, 2, v12
	v_lshlrev_b32_e32 v13, 2, v13
	;; [unrolled: 1-line block ×3, first 2 shown]
	ds_store_b32 v11, v9
	v_lshlrev_b32_e32 v9, 2, v33
	ds_store_b32 v12, v10
	ds_store_b32 v13, v7
	;; [unrolled: 1-line block ×3, first 2 shown]
	v_sub_nc_u32_e32 v7, v24, v49
	v_sub_nc_u32_e32 v10, v20, v49
	;; [unrolled: 1-line block ×3, first 2 shown]
	ds_store_b32 v9, v5
	v_sub_nc_u32_e32 v5, v23, v49
	v_lshlrev_b32_e32 v7, 2, v7
	v_sub_nc_u32_e32 v9, v21, v49
	v_lshlrev_b32_e32 v8, 2, v8
	s_delay_alu instid0(VALU_DEP_4)
	v_lshlrev_b32_e32 v5, 2, v5
	ds_store_b32 v7, v6
	v_lshlrev_b32_e32 v6, 2, v10
	v_lshlrev_b32_e32 v9, 2, v9
	ds_store_b32 v5, v3
	ds_store_b32 v8, v4
	;; [unrolled: 1-line block ×4, first 2 shown]
	s_or_b32 exec_lo, exec_lo, s0
	s_delay_alu instid0(SALU_CYCLE_1)
	s_and_b32 exec_lo, exec_lo, s17
	s_cbranch_execnz .LBB893_221
	s_branch .LBB893_222
.LBB893_202:
                                        ; implicit-def: $sgpr0
                                        ; implicit-def: $vgpr89
                                        ; implicit-def: $vgpr82
                                        ; implicit-def: $vgpr83
                                        ; implicit-def: $vgpr84
                                        ; implicit-def: $vgpr85
                                        ; implicit-def: $vgpr86
                                        ; implicit-def: $vgpr87
                                        ; implicit-def: $vgpr88
                                        ; implicit-def: $vgpr90
                                        ; implicit-def: $vgpr91
                                        ; implicit-def: $vgpr92
                                        ; implicit-def: $vgpr93
                                        ; implicit-def: $vgpr94
                                        ; implicit-def: $vgpr95
	s_cbranch_execz .LBB893_199
.LBB893_203:
	v_mad_u32_u24 v45, v0, 15, 14
	v_dual_mov_b32 v46, 0 :: v_dual_lshlrev_b32 v47, 2, v0
	v_cmp_ne_u32_e64 s7, v1, v2
	v_cmp_ne_u32_e64 s6, v2, v81
	;; [unrolled: 1-line block ×3, first 2 shown]
	s_delay_alu instid0(VALU_DEP_4)
	v_cmp_gt_u64_e32 vcc_lo, s[30:31], v[45:46]
	v_mad_u32_u24 v45, v0, 15, 13
	v_cmp_ne_u32_e64 s10, v3, v4
	v_cmp_ne_u32_e64 s11, v6, v3
	;; [unrolled: 1-line block ×4, first 2 shown]
	v_cmp_gt_u64_e64 s0, s[30:31], v[45:46]
	v_mad_u32_u24 v45, v0, 15, 12
	s_and_b32 s6, vcc_lo, s6
	v_cmp_ne_u32_e64 s15, v7, v8
	v_cmp_ne_u32_e64 s16, v10, v7
	;; [unrolled: 1-line block ×3, first 2 shown]
	v_cmp_gt_u64_e64 s1, s[30:31], v[45:46]
	v_mad_u32_u24 v45, v0, 15, 11
	s_and_b32 s0, s0, s7
	v_cmp_ne_u32_e64 s18, v12, v9
	v_cndmask_b32_e64 v82, 0, 1, s0
	v_cmp_ne_u32_e64 s20, v11, v12
	v_cmp_gt_u64_e64 s4, s[30:31], v[45:46]
	v_mad_u32_u24 v45, v0, 15, 10
	s_and_b32 s0, s1, s8
	v_cmp_ne_u32_e64 s21, v14, v11
	v_cndmask_b32_e64 v83, 0, 1, s0
	v_cmp_ne_u32_e64 s22, v13, v14
	v_cmp_gt_u64_e64 s5, s[30:31], v[45:46]
	v_mad_u32_u24 v45, v0, 15, 9
	s_and_b32 s0, s4, s10
	v_cndmask_b32_e64 v89, 0, 1, s6
	v_cndmask_b32_e64 v84, 0, 1, s0
	ds_store_b32 v47, v81
	v_cmp_gt_u64_e64 s9, s[30:31], v[45:46]
	v_mad_u32_u24 v45, v0, 15, 8
	s_and_b32 s1, s5, s11
	s_waitcnt lgkmcnt(0)
	v_cndmask_b32_e64 v85, 0, 1, s1
	s_barrier
	v_cmp_gt_u64_e64 s14, s[30:31], v[45:46]
	v_mad_u32_u24 v45, v0, 15, 7
	s_and_b32 s1, s9, s12
	buffer_gl0_inv
	v_cndmask_b32_e64 v86, 0, 1, s1
	v_cmp_gt_u64_e64 s19, s[30:31], v[45:46]
	v_mad_u32_u24 v45, v0, 15, 6
	s_and_b32 s4, s14, s13
	s_delay_alu instid0(SALU_CYCLE_1) | instskip(NEXT) | instid1(VALU_DEP_2)
	v_cndmask_b32_e64 v87, 0, 1, s4
	v_cmp_gt_u64_e64 s23, s[30:31], v[45:46]
	v_mad_u32_u24 v45, v0, 15, 5
	s_and_b32 s4, s19, s15
	s_delay_alu instid0(SALU_CYCLE_1) | instskip(NEXT) | instid1(VALU_DEP_2)
	v_cndmask_b32_e64 v88, 0, 1, s4
	v_cmp_gt_u64_e32 vcc_lo, s[30:31], v[45:46]
	v_mad_u32_u24 v45, v0, 15, 4
	s_and_b32 s5, s23, s16
	s_delay_alu instid0(SALU_CYCLE_1) | instskip(NEXT) | instid1(VALU_DEP_2)
	v_cndmask_b32_e64 v90, 0, 1, s5
	v_cmp_gt_u64_e64 s0, s[30:31], v[45:46]
	v_mad_u32_u24 v45, v0, 15, 3
	s_and_b32 s5, vcc_lo, s17
	s_delay_alu instid0(SALU_CYCLE_1) | instskip(NEXT) | instid1(VALU_DEP_2)
	v_cndmask_b32_e64 v91, 0, 1, s5
	v_cmp_gt_u64_e64 s1, s[30:31], v[45:46]
	v_mad_u32_u24 v45, v0, 15, 2
	s_and_b32 s0, s0, s18
	s_delay_alu instid0(SALU_CYCLE_1) | instskip(NEXT) | instid1(VALU_DEP_2)
	v_cndmask_b32_e64 v92, 0, 1, s0
	v_cmp_gt_u64_e64 s4, s[30:31], v[45:46]
	v_mad_u32_u24 v45, v0, 15, 1
	s_and_b32 s0, s1, s20
	s_mov_b32 s1, 1
	v_cndmask_b32_e64 v93, 0, 1, s0
	s_delay_alu instid0(VALU_DEP_2) | instskip(SKIP_1) | instid1(SALU_CYCLE_1)
	v_cmp_gt_u64_e32 vcc_lo, s[30:31], v[45:46]
	s_and_b32 s0, s4, s21
	v_cndmask_b32_e64 v94, 0, 1, s0
	s_and_b32 s0, vcc_lo, s22
	s_delay_alu instid0(SALU_CYCLE_1)
	v_cndmask_b32_e64 v95, 0, 1, s0
                                        ; implicit-def: $sgpr0
	s_and_saveexec_b32 s4, s3
	s_cbranch_execz .LBB893_261
; %bb.204:
	v_add_nc_u32_e32 v45, -4, v47
	s_or_b32 s45, s45, exec_lo
	ds_load_b32 v47, v45
	v_mul_u32_u24_e32 v45, 15, v0
	s_delay_alu instid0(VALU_DEP_1) | instskip(SKIP_2) | instid1(VALU_DEP_1)
	v_cmp_gt_u64_e32 vcc_lo, s[30:31], v[45:46]
	s_waitcnt lgkmcnt(0)
	v_cmp_ne_u32_e64 s0, v47, v13
	s_and_b32 s0, vcc_lo, s0
	s_delay_alu instid0(SALU_CYCLE_1)
	s_and_b32 s0, s0, exec_lo
	s_or_b32 exec_lo, exec_lo, s4
	v_mov_b32_e32 v96, s1
	s_and_saveexec_b32 s1, s45
	s_cbranch_execz .LBB893_77
	s_branch .LBB893_76
.LBB893_205:
	s_or_b32 exec_lo, exec_lo, s17
	s_and_saveexec_b32 s12, s14
	s_cbranch_execz .LBB893_179
.LBB893_206:
	v_sub_nc_u32_e32 v13, v32, v49
	s_delay_alu instid0(VALU_DEP_1)
	v_lshlrev_b32_e32 v13, 2, v13
	ds_store_b32 v13, v14
	s_or_b32 exec_lo, exec_lo, s12
	s_and_saveexec_b32 s12, s13
	s_cbranch_execnz .LBB893_180
.LBB893_207:
	s_or_b32 exec_lo, exec_lo, s12
	s_and_saveexec_b32 s12, s11
	s_cbranch_execz .LBB893_181
.LBB893_208:
	v_sub_nc_u32_e32 v11, v30, v49
	s_delay_alu instid0(VALU_DEP_1)
	v_lshlrev_b32_e32 v11, 2, v11
	ds_store_b32 v11, v12
	s_or_b32 exec_lo, exec_lo, s12
	s_and_saveexec_b32 s11, s10
	s_cbranch_execnz .LBB893_182
.LBB893_209:
	s_or_b32 exec_lo, exec_lo, s11
	s_and_saveexec_b32 s10, s9
	s_cbranch_execz .LBB893_183
.LBB893_210:
	v_sub_nc_u32_e32 v9, v28, v49
	s_delay_alu instid0(VALU_DEP_1)
	v_lshlrev_b32_e32 v9, 2, v9
	ds_store_b32 v9, v10
	s_or_b32 exec_lo, exec_lo, s10
	s_and_saveexec_b32 s9, s8
	s_cbranch_execnz .LBB893_184
.LBB893_211:
	s_or_b32 exec_lo, exec_lo, s9
	s_and_saveexec_b32 s8, s7
	s_cbranch_execz .LBB893_185
.LBB893_212:
	v_sub_nc_u32_e32 v7, v26, v49
	s_delay_alu instid0(VALU_DEP_1)
	v_lshlrev_b32_e32 v7, 2, v7
	ds_store_b32 v7, v8
	s_or_b32 exec_lo, exec_lo, s8
	s_and_saveexec_b32 s7, s6
	s_cbranch_execnz .LBB893_186
.LBB893_213:
	s_or_b32 exec_lo, exec_lo, s7
	s_and_saveexec_b32 s6, s5
	s_cbranch_execz .LBB893_187
.LBB893_214:
	v_sub_nc_u32_e32 v5, v24, v49
	s_delay_alu instid0(VALU_DEP_1)
	v_lshlrev_b32_e32 v5, 2, v5
	ds_store_b32 v5, v6
	s_or_b32 exec_lo, exec_lo, s6
	s_and_saveexec_b32 s5, s4
	s_cbranch_execnz .LBB893_188
.LBB893_215:
	s_or_b32 exec_lo, exec_lo, s5
	s_and_saveexec_b32 s4, s3
	s_cbranch_execz .LBB893_189
.LBB893_216:
	v_sub_nc_u32_e32 v3, v22, v49
	s_delay_alu instid0(VALU_DEP_1)
	v_lshlrev_b32_e32 v3, 2, v3
	ds_store_b32 v3, v4
	s_or_b32 exec_lo, exec_lo, s4
	s_and_saveexec_b32 s3, s1
	s_cbranch_execnz .LBB893_190
.LBB893_217:
	s_or_b32 exec_lo, exec_lo, s3
	s_and_saveexec_b32 s1, s0
	s_cbranch_execz .LBB893_219
.LBB893_218:
	v_sub_nc_u32_e32 v1, v20, v49
	s_delay_alu instid0(VALU_DEP_1)
	v_lshlrev_b32_e32 v1, 2, v1
	ds_store_b32 v1, v2
.LBB893_219:
	s_or_b32 exec_lo, exec_lo, s1
	s_delay_alu instid0(SALU_CYCLE_1)
	s_and_b32 s17, vcc_lo, exec_lo
                                        ; implicit-def: $vgpr13
                                        ; implicit-def: $vgpr11
                                        ; implicit-def: $vgpr9
                                        ; implicit-def: $vgpr7
                                        ; implicit-def: $vgpr5
                                        ; implicit-def: $vgpr3
                                        ; implicit-def: $vgpr1
	s_and_not1_saveexec_b32 s0, s15
	s_cbranch_execnz .LBB893_201
.LBB893_220:
	s_or_b32 exec_lo, exec_lo, s0
	s_delay_alu instid0(SALU_CYCLE_1)
	s_and_b32 exec_lo, exec_lo, s17
	s_cbranch_execz .LBB893_222
.LBB893_221:
	v_sub_nc_u32_e32 v1, v19, v49
	s_delay_alu instid0(VALU_DEP_1)
	v_lshlrev_b32_e32 v1, 2, v1
	ds_store_b32 v1, v81
.LBB893_222:
	s_or_b32 exec_lo, exec_lo, s16
	s_waitcnt vmcnt(0) lgkmcnt(0)
	s_barrier
	buffer_gl0_inv
.LBB893_223:
	s_cmpk_lg_i32 s34, 0xf00
	v_cndmask_b32_e64 v8, 0, 1, s35
	s_cselect_b32 s0, -1, 0
	v_mad_i32_i24 v5, v0, -15, s34
	s_and_b32 s0, s0, s33
	v_add_co_u32 v1, vcc_lo, v79, v15
	v_cndmask_b32_e64 v4, 0, 1, s0
	s_mul_hi_u32 s0, s34, 0x88888889
	s_and_b32 s1, s2, s35
	s_lshr_b32 s0, s0, 3
	v_add_co_ci_u32_e32 v2, vcc_lo, v80, v16, vcc_lo
	v_sub_nc_u32_e32 v3, v45, v8
	v_cndmask_b32_e64 v6, v96, 0, s1
	v_cmp_eq_u32_e32 vcc_lo, s0, v0
	v_cmp_ne_u32_e64 s0, 0, v5
	s_delay_alu instid0(VALU_DEP_4) | instskip(SKIP_2) | instid1(VALU_DEP_2)
	v_dual_mov_b32 v50, 0 :: v_dual_add_nc_u32 v3, v3, v4
	s_mov_b32 s16, -1
	s_and_b32 vcc_lo, vcc_lo, s33
	v_cndmask_b32_e64 v4, 1, v6, s0
	v_cmp_ne_u32_e64 s0, 1, v5
	s_waitcnt vmcnt(0)
	s_barrier
	buffer_gl0_inv
	v_cndmask_b32_e32 v13, v6, v4, vcc_lo
	v_cndmask_b32_e64 v7, 1, v95, s0
	v_cmp_ne_u32_e64 s0, 2, v5
	s_delay_alu instid0(VALU_DEP_3) | instskip(NEXT) | instid1(VALU_DEP_2)
	v_cmp_ne_u32_e64 s14, 0, v13
	v_cndmask_b32_e64 v9, 1, v94, s0
	v_cmp_ne_u32_e64 s0, 14, v5
	s_delay_alu instid0(VALU_DEP_2) | instskip(NEXT) | instid1(VALU_DEP_2)
	v_dual_cndmask_b32 v14, v95, v7 :: v_dual_cndmask_b32 v9, v94, v9
	v_cndmask_b32_e64 v10, 1, v89, s0
	v_cmp_ne_u32_e64 s0, 3, v5
	s_delay_alu instid0(VALU_DEP_3) | instskip(NEXT) | instid1(VALU_DEP_4)
	v_cmp_ne_u32_e64 s13, 0, v14
	v_cmp_ne_u32_e64 s12, 0, v9
	s_delay_alu instid0(VALU_DEP_4) | instskip(NEXT) | instid1(VALU_DEP_4)
	v_cndmask_b32_e32 v10, v89, v10, vcc_lo
	v_cndmask_b32_e64 v11, 1, v93, s0
	v_cmp_ne_u32_e64 s0, 4, v5
	s_delay_alu instid0(VALU_DEP_1) | instskip(SKIP_1) | instid1(VALU_DEP_2)
	v_cndmask_b32_e64 v12, 1, v92, s0
	v_cmp_ne_u32_e64 s0, 5, v5
	v_dual_cndmask_b32 v11, v93, v11 :: v_dual_cndmask_b32 v12, v92, v12
	s_delay_alu instid0(VALU_DEP_2) | instskip(SKIP_1) | instid1(VALU_DEP_3)
	v_cndmask_b32_e64 v4, 1, v91, s0
	v_cmp_ne_u32_e64 s0, 6, v5
	v_cmp_ne_u32_e64 s11, 0, v11
	s_delay_alu instid0(VALU_DEP_4) | instskip(NEXT) | instid1(VALU_DEP_4)
	v_cmp_ne_u32_e64 s10, 0, v12
	v_cndmask_b32_e32 v36, v91, v4, vcc_lo
	s_delay_alu instid0(VALU_DEP_4) | instskip(SKIP_1) | instid1(VALU_DEP_2)
	v_cndmask_b32_e64 v6, 1, v90, s0
	v_cmp_eq_u32_e64 s0, 0, v13
	v_cndmask_b32_e32 v38, v90, v6, vcc_lo
	s_delay_alu instid0(VALU_DEP_2) | instskip(SKIP_1) | instid1(VALU_DEP_3)
	v_cndmask_b32_e64 v7, 1, 2, s0
	v_cmp_eq_u32_e64 s0, 0, v14
	v_cmp_ne_u32_e64 s8, 0, v38
	s_delay_alu instid0(VALU_DEP_2) | instskip(SKIP_1) | instid1(VALU_DEP_2)
	v_cndmask_b32_e64 v15, 1, 2, s0
	v_cmp_ne_u32_e64 s0, 7, v5
	v_and_b32_e32 v7, v15, v7
	s_delay_alu instid0(VALU_DEP_2) | instskip(SKIP_1) | instid1(VALU_DEP_2)
	v_cndmask_b32_e64 v16, 1, v88, s0
	v_cmp_eq_u32_e64 s0, 0, v9
	v_cndmask_b32_e32 v16, v88, v16, vcc_lo
	s_delay_alu instid0(VALU_DEP_2) | instskip(SKIP_1) | instid1(VALU_DEP_3)
	v_cndmask_b32_e64 v15, 1, 2, s0
	v_cmp_ne_u32_e64 s0, 8, v5
	v_cmp_ne_u32_e64 s7, 0, v16
	s_delay_alu instid0(VALU_DEP_3) | instskip(NEXT) | instid1(VALU_DEP_3)
	v_and_b32_e32 v7, v7, v15
	v_cndmask_b32_e64 v33, 1, v87, s0
	v_cmp_ne_u32_e64 s0, 9, v5
	s_delay_alu instid0(VALU_DEP_2) | instskip(NEXT) | instid1(VALU_DEP_2)
	v_cndmask_b32_e32 v33, v87, v33, vcc_lo
	v_cndmask_b32_e64 v34, 1, v86, s0
	v_cmp_eq_u32_e64 s0, 0, v11
	s_delay_alu instid0(VALU_DEP_3) | instskip(NEXT) | instid1(VALU_DEP_3)
	v_cmp_ne_u32_e64 s6, 0, v33
	v_cndmask_b32_e32 v34, v86, v34, vcc_lo
	s_delay_alu instid0(VALU_DEP_3) | instskip(SKIP_1) | instid1(VALU_DEP_3)
	v_cndmask_b32_e64 v15, 1, 2, s0
	v_cmp_ne_u32_e64 s0, 10, v5
	v_cmp_ne_u32_e64 s5, 0, v34
	s_delay_alu instid0(VALU_DEP_3) | instskip(NEXT) | instid1(VALU_DEP_3)
	v_and_b32_e32 v4, v7, v15
	v_cndmask_b32_e64 v35, 1, v85, s0
	v_cmp_eq_u32_e64 s0, 0, v12
	s_delay_alu instid0(VALU_DEP_1) | instskip(SKIP_1) | instid1(VALU_DEP_2)
	v_cndmask_b32_e64 v7, 1, 2, s0
	v_cmp_ne_u32_e64 s0, 11, v5
	v_and_b32_e32 v4, v4, v7
	s_delay_alu instid0(VALU_DEP_2) | instskip(SKIP_1) | instid1(VALU_DEP_2)
	v_cndmask_b32_e64 v15, 1, v84, s0
	v_cmp_ne_u32_e64 s0, 13, v5
	v_cndmask_b32_e32 v15, v84, v15, vcc_lo
	s_delay_alu instid0(VALU_DEP_2) | instskip(NEXT) | instid1(VALU_DEP_2)
	v_cndmask_b32_e64 v37, 1, v82, s0
	v_cmp_ne_u32_e64 s3, 0, v15
	s_delay_alu instid0(VALU_DEP_2) | instskip(SKIP_2) | instid1(VALU_DEP_3)
	v_cndmask_b32_e32 v37, v82, v37, vcc_lo
	v_cmp_eq_u32_e64 s0, 0, v36
	v_cmp_ne_u32_e64 s9, 0, v36
	v_cmp_ne_u32_e64 s1, 0, v37
	s_delay_alu instid0(VALU_DEP_3) | instskip(SKIP_1) | instid1(VALU_DEP_1)
	v_cndmask_b32_e64 v7, 1, 2, s0
	v_cmp_ne_u32_e64 s0, 12, v5
	v_cndmask_b32_e64 v5, 1, v83, s0
	v_cmp_eq_u32_e64 s0, 0, v38
	s_delay_alu instid0(VALU_DEP_2) | instskip(NEXT) | instid1(VALU_DEP_2)
	v_dual_cndmask_b32 v39, v83, v5 :: v_dual_and_b32 v4, v4, v7
	v_cndmask_b32_e64 v6, 1, 2, s0
	v_cmp_eq_u32_e64 s0, 0, v16
	v_cndmask_b32_e32 v35, v85, v35, vcc_lo
	v_cmp_eq_u32_e32 vcc_lo, 0, v33
	v_cmp_ne_u32_e64 s2, 0, v39
	v_and_b32_e32 v40, v4, v6
	v_lshlrev_b64 v[4:5], 3, v[17:18]
	v_cndmask_b32_e64 v41, 1, 2, s0
	v_lshlrev_b64 v[6:7], 3, v[49:50]
	v_cmp_ne_u32_e64 s4, 0, v35
	v_cmp_ne_u32_e64 s0, 0, v10
	s_delay_alu instid0(VALU_DEP_4) | instskip(SKIP_4) | instid1(VALU_DEP_4)
	v_and_b32_e32 v40, v40, v41
	v_cndmask_b32_e64 v41, 1, 2, vcc_lo
	v_add_co_u32 v4, vcc_lo, s24, v4
	v_add_co_ci_u32_e32 v5, vcc_lo, s25, v5, vcc_lo
	v_cmp_eq_u32_e32 vcc_lo, 0, v34
	v_and_b32_e32 v40, v40, v41
	v_cndmask_b32_e64 v41, 1, 2, vcc_lo
	v_add_co_u32 v4, vcc_lo, v4, v6
	v_add_co_ci_u32_e32 v5, vcc_lo, v5, v7, vcc_lo
	v_lshlrev_b32_e32 v6, 3, v8
	v_cmp_eq_u32_e32 vcc_lo, 0, v35
	v_and_b32_e32 v7, v40, v41
	v_add_nc_u32_e32 v8, v49, v8
	v_cndmask_b32_e64 v40, 1, 2, vcc_lo
	v_add_co_u32 v6, vcc_lo, v6, v4
	v_add_co_ci_u32_e32 v41, vcc_lo, 0, v5, vcc_lo
	v_cmp_eq_u32_e32 vcc_lo, 0, v15
	s_delay_alu instid0(VALU_DEP_4) | instskip(SKIP_4) | instid1(VALU_DEP_4)
	v_and_b32_e32 v40, v7, v40
	v_cndmask_b32_e64 v42, 1, 2, vcc_lo
	v_add_co_u32 v6, vcc_lo, v6, -8
	v_add_co_ci_u32_e32 v7, vcc_lo, -1, v41, vcc_lo
	v_cmp_eq_u32_e32 vcc_lo, 0, v39
	v_and_b32_e32 v40, v40, v42
	v_cndmask_b32_e64 v41, 1, 2, vcc_lo
	v_cmp_eq_u32_e32 vcc_lo, 0, v37
	s_delay_alu instid0(VALU_DEP_2) | instskip(SKIP_2) | instid1(VALU_DEP_2)
	v_and_b32_e32 v9, v40, v41
	v_cndmask_b32_e64 v11, 1, 2, vcc_lo
	v_cmp_eq_u32_e32 vcc_lo, 0, v10
	v_and_b32_e32 v9, v9, v11
	v_cndmask_b32_e64 v11, 1, 2, vcc_lo
	v_cmp_gt_u32_e32 vcc_lo, 0x100, v3
	s_delay_alu instid0(VALU_DEP_2) | instskip(NEXT) | instid1(VALU_DEP_1)
	v_and_b32_e32 v9, v9, v11
	v_cmp_gt_i16_e64 s15, 2, v9
	s_cbranch_vccz .LBB893_240
; %bb.224:
	s_delay_alu instid0(VALU_DEP_1)
	s_and_saveexec_b32 s16, s15
	s_cbranch_execz .LBB893_279
; %bb.225:
	s_mov_b32 s17, 0
	s_mov_b32 s15, exec_lo
	v_cmpx_ne_u16_e32 1, v9
	s_xor_b32 s15, exec_lo, s15
	s_cbranch_execz .LBB893_257
; %bb.226:
	s_and_saveexec_b32 s17, s14
	s_cbranch_execz .LBB893_262
; %bb.227:
	v_sub_nc_u32_e32 v10, v98, v8
	v_mov_b32_e32 v11, 0
	s_delay_alu instid0(VALU_DEP_1) | instskip(NEXT) | instid1(VALU_DEP_1)
	v_lshlrev_b64 v[10:11], 3, v[10:11]
	v_add_co_u32 v10, vcc_lo, v6, v10
	s_delay_alu instid0(VALU_DEP_2)
	v_add_co_ci_u32_e32 v11, vcc_lo, v7, v11, vcc_lo
	global_store_b64 v[10:11], v[63:64], off
	s_or_b32 exec_lo, exec_lo, s17
	s_and_saveexec_b32 s17, s13
	s_cbranch_execnz .LBB893_263
.LBB893_228:
	s_or_b32 exec_lo, exec_lo, s17
	s_and_saveexec_b32 s17, s12
	s_cbranch_execz .LBB893_264
.LBB893_229:
	v_sub_nc_u32_e32 v10, v31, v8
	v_mov_b32_e32 v11, 0
	s_delay_alu instid0(VALU_DEP_1) | instskip(NEXT) | instid1(VALU_DEP_1)
	v_lshlrev_b64 v[10:11], 3, v[10:11]
	v_add_co_u32 v10, vcc_lo, v6, v10
	s_delay_alu instid0(VALU_DEP_2)
	v_add_co_ci_u32_e32 v11, vcc_lo, v7, v11, vcc_lo
	global_store_b64 v[10:11], v[65:66], off
	s_or_b32 exec_lo, exec_lo, s17
	s_and_saveexec_b32 s17, s11
	s_cbranch_execnz .LBB893_265
.LBB893_230:
	s_or_b32 exec_lo, exec_lo, s17
	s_and_saveexec_b32 s17, s10
	s_cbranch_execz .LBB893_266
.LBB893_231:
	v_sub_nc_u32_e32 v10, v29, v8
	v_mov_b32_e32 v11, 0
	s_delay_alu instid0(VALU_DEP_1) | instskip(NEXT) | instid1(VALU_DEP_1)
	v_lshlrev_b64 v[10:11], 3, v[10:11]
	v_add_co_u32 v10, vcc_lo, v6, v10
	s_delay_alu instid0(VALU_DEP_2)
	v_add_co_ci_u32_e32 v11, vcc_lo, v7, v11, vcc_lo
	global_store_b64 v[10:11], v[51:52], off
	s_or_b32 exec_lo, exec_lo, s17
	s_and_saveexec_b32 s17, s9
	s_cbranch_execnz .LBB893_267
.LBB893_232:
	s_or_b32 exec_lo, exec_lo, s17
	s_and_saveexec_b32 s17, s8
	s_cbranch_execz .LBB893_268
.LBB893_233:
	v_sub_nc_u32_e32 v10, v27, v8
	v_mov_b32_e32 v11, 0
	s_delay_alu instid0(VALU_DEP_1) | instskip(NEXT) | instid1(VALU_DEP_1)
	v_lshlrev_b64 v[10:11], 3, v[10:11]
	v_add_co_u32 v10, vcc_lo, v6, v10
	s_delay_alu instid0(VALU_DEP_2)
	v_add_co_ci_u32_e32 v11, vcc_lo, v7, v11, vcc_lo
	global_store_b64 v[10:11], v[61:62], off
	s_or_b32 exec_lo, exec_lo, s17
	s_and_saveexec_b32 s17, s7
	s_cbranch_execnz .LBB893_269
.LBB893_234:
	s_or_b32 exec_lo, exec_lo, s17
	s_and_saveexec_b32 s17, s6
	s_cbranch_execz .LBB893_270
.LBB893_235:
	v_sub_nc_u32_e32 v10, v25, v8
	v_mov_b32_e32 v11, 0
	s_delay_alu instid0(VALU_DEP_1) | instskip(NEXT) | instid1(VALU_DEP_1)
	v_lshlrev_b64 v[10:11], 3, v[10:11]
	v_add_co_u32 v10, vcc_lo, v6, v10
	s_delay_alu instid0(VALU_DEP_2)
	v_add_co_ci_u32_e32 v11, vcc_lo, v7, v11, vcc_lo
	global_store_b64 v[10:11], v[71:72], off
	s_or_b32 exec_lo, exec_lo, s17
	s_and_saveexec_b32 s17, s5
	s_cbranch_execnz .LBB893_271
.LBB893_236:
	s_or_b32 exec_lo, exec_lo, s17
	s_and_saveexec_b32 s17, s4
	s_cbranch_execz .LBB893_272
.LBB893_237:
	v_sub_nc_u32_e32 v10, v23, v8
	v_mov_b32_e32 v11, 0
	s_delay_alu instid0(VALU_DEP_1) | instskip(NEXT) | instid1(VALU_DEP_1)
	v_lshlrev_b64 v[10:11], 3, v[10:11]
	v_add_co_u32 v10, vcc_lo, v6, v10
	s_delay_alu instid0(VALU_DEP_2)
	v_add_co_ci_u32_e32 v11, vcc_lo, v7, v11, vcc_lo
	global_store_b64 v[10:11], v[57:58], off
	s_or_b32 exec_lo, exec_lo, s17
	s_and_saveexec_b32 s17, s3
	s_cbranch_execnz .LBB893_273
.LBB893_238:
	s_or_b32 exec_lo, exec_lo, s17
	s_and_saveexec_b32 s17, s2
	s_cbranch_execz .LBB893_274
.LBB893_239:
	v_sub_nc_u32_e32 v10, v21, v8
	v_mov_b32_e32 v11, 0
	s_delay_alu instid0(VALU_DEP_1) | instskip(NEXT) | instid1(VALU_DEP_1)
	v_lshlrev_b64 v[10:11], 3, v[10:11]
	v_add_co_u32 v10, vcc_lo, v6, v10
	s_delay_alu instid0(VALU_DEP_2)
	v_add_co_ci_u32_e32 v11, vcc_lo, v7, v11, vcc_lo
	global_store_b64 v[10:11], v[75:76], off
	s_or_b32 exec_lo, exec_lo, s17
	s_and_saveexec_b32 s17, s1
	s_cbranch_execnz .LBB893_275
	s_branch .LBB893_276
.LBB893_240:
	s_and_b32 vcc_lo, exec_lo, s16
	s_cbranch_vccz .LBB893_280
; %bb.241:
	s_mov_b32 s15, exec_lo
	v_cmpx_gt_i16_e32 2, v9
	s_cbranch_execz .LBB893_298
; %bb.242:
	s_mov_b32 s17, 0
	s_mov_b32 s16, exec_lo
	v_cmpx_ne_u16_e32 1, v9
	s_xor_b32 s16, exec_lo, s16
	s_cbranch_execz .LBB893_259
; %bb.243:
	s_and_saveexec_b32 s17, s14
	s_cbranch_execz .LBB893_281
; %bb.244:
	v_sub_nc_u32_e32 v9, v98, v8
	s_delay_alu instid0(VALU_DEP_1)
	v_lshlrev_b32_e32 v9, 3, v9
	ds_store_b64 v9, v[63:64]
	s_or_b32 exec_lo, exec_lo, s17
	s_and_saveexec_b32 s14, s13
	s_cbranch_execnz .LBB893_282
.LBB893_245:
	s_or_b32 exec_lo, exec_lo, s14
	s_and_saveexec_b32 s13, s12
	s_cbranch_execz .LBB893_283
.LBB893_246:
	v_sub_nc_u32_e32 v9, v31, v8
	s_delay_alu instid0(VALU_DEP_1)
	v_lshlrev_b32_e32 v9, 3, v9
	ds_store_b64 v9, v[65:66]
	s_or_b32 exec_lo, exec_lo, s13
	s_and_saveexec_b32 s12, s11
	s_cbranch_execnz .LBB893_284
.LBB893_247:
	s_or_b32 exec_lo, exec_lo, s12
	s_and_saveexec_b32 s11, s10
	s_cbranch_execz .LBB893_285
.LBB893_248:
	v_sub_nc_u32_e32 v9, v29, v8
	s_delay_alu instid0(VALU_DEP_1)
	v_lshlrev_b32_e32 v9, 3, v9
	ds_store_b64 v9, v[51:52]
	s_or_b32 exec_lo, exec_lo, s11
	s_and_saveexec_b32 s10, s9
	s_cbranch_execnz .LBB893_286
.LBB893_249:
	s_or_b32 exec_lo, exec_lo, s10
	s_and_saveexec_b32 s9, s8
	s_cbranch_execz .LBB893_287
.LBB893_250:
	v_sub_nc_u32_e32 v9, v27, v8
	s_delay_alu instid0(VALU_DEP_1)
	v_lshlrev_b32_e32 v9, 3, v9
	ds_store_b64 v9, v[61:62]
	s_or_b32 exec_lo, exec_lo, s9
	s_and_saveexec_b32 s8, s7
	s_cbranch_execnz .LBB893_288
.LBB893_251:
	s_or_b32 exec_lo, exec_lo, s8
	s_and_saveexec_b32 s7, s6
	s_cbranch_execz .LBB893_289
.LBB893_252:
	v_sub_nc_u32_e32 v9, v25, v8
	s_delay_alu instid0(VALU_DEP_1)
	v_lshlrev_b32_e32 v9, 3, v9
	ds_store_b64 v9, v[71:72]
	s_or_b32 exec_lo, exec_lo, s7
	s_and_saveexec_b32 s6, s5
	s_cbranch_execnz .LBB893_290
.LBB893_253:
	s_or_b32 exec_lo, exec_lo, s6
	s_and_saveexec_b32 s5, s4
	s_cbranch_execz .LBB893_291
.LBB893_254:
	v_sub_nc_u32_e32 v9, v23, v8
	s_delay_alu instid0(VALU_DEP_1)
	v_lshlrev_b32_e32 v9, 3, v9
	ds_store_b64 v9, v[57:58]
	s_or_b32 exec_lo, exec_lo, s5
	s_and_saveexec_b32 s4, s3
	s_cbranch_execnz .LBB893_292
.LBB893_255:
	s_or_b32 exec_lo, exec_lo, s4
	s_and_saveexec_b32 s3, s2
	s_cbranch_execz .LBB893_293
.LBB893_256:
	v_sub_nc_u32_e32 v9, v21, v8
	s_delay_alu instid0(VALU_DEP_1)
	v_lshlrev_b32_e32 v9, 3, v9
	ds_store_b64 v9, v[75:76]
	s_or_b32 exec_lo, exec_lo, s3
	s_and_saveexec_b32 s2, s1
	s_cbranch_execnz .LBB893_294
	s_branch .LBB893_295
.LBB893_257:
	s_and_not1_saveexec_b32 s15, s15
	s_cbranch_execz .LBB893_277
.LBB893_258:
	v_sub_nc_u32_e32 v10, v98, v8
	v_mov_b32_e32 v11, 0
	s_or_b32 s17, s17, exec_lo
	s_delay_alu instid0(VALU_DEP_1) | instskip(SKIP_1) | instid1(VALU_DEP_1)
	v_lshlrev_b64 v[12:13], 3, v[10:11]
	v_sub_nc_u32_e32 v10, v32, v8
	v_lshlrev_b64 v[14:15], 3, v[10:11]
	v_sub_nc_u32_e32 v10, v31, v8
	s_delay_alu instid0(VALU_DEP_4) | instskip(SKIP_1) | instid1(VALU_DEP_3)
	v_add_co_u32 v12, vcc_lo, v6, v12
	v_add_co_ci_u32_e32 v13, vcc_lo, v7, v13, vcc_lo
	v_lshlrev_b64 v[33:34], 3, v[10:11]
	v_sub_nc_u32_e32 v10, v30, v8
	v_add_co_u32 v14, vcc_lo, v6, v14
	v_add_co_ci_u32_e32 v15, vcc_lo, v7, v15, vcc_lo
	global_store_b64 v[12:13], v[63:64], off
	v_lshlrev_b64 v[12:13], 3, v[10:11]
	v_sub_nc_u32_e32 v10, v29, v8
	global_store_b64 v[14:15], v[59:60], off
	v_add_co_u32 v14, vcc_lo, v6, v33
	v_add_co_ci_u32_e32 v15, vcc_lo, v7, v34, vcc_lo
	v_lshlrev_b64 v[33:34], 3, v[10:11]
	v_sub_nc_u32_e32 v10, v28, v8
	v_add_co_u32 v12, vcc_lo, v6, v12
	v_add_co_ci_u32_e32 v13, vcc_lo, v7, v13, vcc_lo
	s_delay_alu instid0(VALU_DEP_3) | instskip(SKIP_3) | instid1(VALU_DEP_3)
	v_lshlrev_b64 v[35:36], 3, v[10:11]
	v_sub_nc_u32_e32 v10, v27, v8
	v_add_co_u32 v33, vcc_lo, v6, v33
	v_add_co_ci_u32_e32 v34, vcc_lo, v7, v34, vcc_lo
	v_lshlrev_b64 v[37:38], 3, v[10:11]
	v_sub_nc_u32_e32 v10, v26, v8
	v_add_co_u32 v35, vcc_lo, v6, v35
	v_add_co_ci_u32_e32 v36, vcc_lo, v7, v36, vcc_lo
	s_clause 0x3
	global_store_b64 v[14:15], v[65:66], off
	global_store_b64 v[12:13], v[69:70], off
	global_store_b64 v[33:34], v[51:52], off
	global_store_b64 v[35:36], v[55:56], off
	v_lshlrev_b64 v[12:13], 3, v[10:11]
	v_sub_nc_u32_e32 v10, v25, v8
	v_add_co_u32 v14, vcc_lo, v6, v37
	v_add_co_ci_u32_e32 v15, vcc_lo, v7, v38, vcc_lo
	s_delay_alu instid0(VALU_DEP_3) | instskip(SKIP_3) | instid1(VALU_DEP_3)
	v_lshlrev_b64 v[33:34], 3, v[10:11]
	v_sub_nc_u32_e32 v10, v24, v8
	v_add_co_u32 v12, vcc_lo, v6, v12
	v_add_co_ci_u32_e32 v13, vcc_lo, v7, v13, vcc_lo
	v_lshlrev_b64 v[35:36], 3, v[10:11]
	v_sub_nc_u32_e32 v10, v23, v8
	v_add_co_u32 v33, vcc_lo, v6, v33
	v_add_co_ci_u32_e32 v34, vcc_lo, v7, v34, vcc_lo
	s_delay_alu instid0(VALU_DEP_3)
	v_lshlrev_b64 v[37:38], 3, v[10:11]
	v_sub_nc_u32_e32 v10, v22, v8
	v_add_co_u32 v35, vcc_lo, v6, v35
	v_add_co_ci_u32_e32 v36, vcc_lo, v7, v36, vcc_lo
	s_clause 0x3
	global_store_b64 v[14:15], v[61:62], off
	global_store_b64 v[12:13], v[67:68], off
	;; [unrolled: 1-line block ×4, first 2 shown]
	v_lshlrev_b64 v[12:13], 3, v[10:11]
	v_sub_nc_u32_e32 v10, v21, v8
	v_add_co_u32 v14, vcc_lo, v6, v37
	v_add_co_ci_u32_e32 v15, vcc_lo, v7, v38, vcc_lo
	s_delay_alu instid0(VALU_DEP_3) | instskip(SKIP_3) | instid1(VALU_DEP_3)
	v_lshlrev_b64 v[33:34], 3, v[10:11]
	v_sub_nc_u32_e32 v10, v20, v8
	v_add_co_u32 v12, vcc_lo, v6, v12
	v_add_co_ci_u32_e32 v13, vcc_lo, v7, v13, vcc_lo
	v_lshlrev_b64 v[10:11], 3, v[10:11]
	v_add_co_u32 v33, vcc_lo, v6, v33
	v_add_co_ci_u32_e32 v34, vcc_lo, v7, v34, vcc_lo
	s_clause 0x2
	global_store_b64 v[14:15], v[57:58], off
	global_store_b64 v[12:13], v[73:74], off
	;; [unrolled: 1-line block ×3, first 2 shown]
	v_add_co_u32 v10, vcc_lo, v6, v10
	v_add_co_ci_u32_e32 v11, vcc_lo, v7, v11, vcc_lo
	global_store_b64 v[10:11], v[77:78], off
	s_or_b32 exec_lo, exec_lo, s15
	s_delay_alu instid0(SALU_CYCLE_1)
	s_and_b32 exec_lo, exec_lo, s17
	s_cbranch_execnz .LBB893_278
	s_branch .LBB893_279
.LBB893_259:
	s_and_not1_saveexec_b32 s0, s16
	s_cbranch_execz .LBB893_296
.LBB893_260:
	v_sub_nc_u32_e32 v9, v98, v8
	v_sub_nc_u32_e32 v10, v32, v8
	v_sub_nc_u32_e32 v11, v31, v8
	v_sub_nc_u32_e32 v12, v30, v8
	v_sub_nc_u32_e32 v13, v25, v8
	v_lshlrev_b32_e32 v9, 3, v9
	v_lshlrev_b32_e32 v10, 3, v10
	;; [unrolled: 1-line block ×4, first 2 shown]
	s_or_b32 s17, s17, exec_lo
	ds_store_b64 v9, v[63:64]
	ds_store_b64 v10, v[59:60]
	ds_store_b64 v11, v[65:66]
	v_sub_nc_u32_e32 v9, v29, v8
	v_sub_nc_u32_e32 v10, v28, v8
	;; [unrolled: 1-line block ×3, first 2 shown]
	ds_store_b64 v12, v[69:70]
	v_sub_nc_u32_e32 v12, v26, v8
	v_lshlrev_b32_e32 v9, 3, v9
	v_lshlrev_b32_e32 v10, 3, v10
	;; [unrolled: 1-line block ×3, first 2 shown]
	s_delay_alu instid0(VALU_DEP_4)
	v_lshlrev_b32_e32 v12, 3, v12
	ds_store_b64 v9, v[51:52]
	v_lshlrev_b32_e32 v9, 3, v13
	ds_store_b64 v10, v[55:56]
	ds_store_b64 v11, v[61:62]
	;; [unrolled: 1-line block ×3, first 2 shown]
	v_sub_nc_u32_e32 v10, v24, v8
	v_sub_nc_u32_e32 v13, v20, v8
	;; [unrolled: 1-line block ×3, first 2 shown]
	ds_store_b64 v9, v[71:72]
	v_sub_nc_u32_e32 v9, v23, v8
	v_lshlrev_b32_e32 v10, 3, v10
	v_sub_nc_u32_e32 v12, v21, v8
	v_lshlrev_b32_e32 v11, 3, v11
	s_delay_alu instid0(VALU_DEP_4)
	v_lshlrev_b32_e32 v9, 3, v9
	ds_store_b64 v10, v[53:54]
	v_lshlrev_b32_e32 v10, 3, v13
	v_lshlrev_b32_e32 v12, 3, v12
	ds_store_b64 v9, v[57:58]
	ds_store_b64 v11, v[73:74]
	;; [unrolled: 1-line block ×4, first 2 shown]
	s_or_b32 exec_lo, exec_lo, s0
	s_delay_alu instid0(SALU_CYCLE_1)
	s_and_b32 exec_lo, exec_lo, s17
	s_cbranch_execnz .LBB893_297
	s_branch .LBB893_298
.LBB893_261:
	s_or_b32 exec_lo, exec_lo, s4
	v_mov_b32_e32 v96, s1
	s_and_saveexec_b32 s1, s45
	s_cbranch_execnz .LBB893_76
	s_branch .LBB893_77
.LBB893_262:
	s_or_b32 exec_lo, exec_lo, s17
	s_and_saveexec_b32 s17, s13
	s_cbranch_execz .LBB893_228
.LBB893_263:
	v_sub_nc_u32_e32 v10, v32, v8
	v_mov_b32_e32 v11, 0
	s_delay_alu instid0(VALU_DEP_1) | instskip(NEXT) | instid1(VALU_DEP_1)
	v_lshlrev_b64 v[10:11], 3, v[10:11]
	v_add_co_u32 v10, vcc_lo, v6, v10
	s_delay_alu instid0(VALU_DEP_2)
	v_add_co_ci_u32_e32 v11, vcc_lo, v7, v11, vcc_lo
	global_store_b64 v[10:11], v[59:60], off
	s_or_b32 exec_lo, exec_lo, s17
	s_and_saveexec_b32 s17, s12
	s_cbranch_execnz .LBB893_229
.LBB893_264:
	s_or_b32 exec_lo, exec_lo, s17
	s_and_saveexec_b32 s17, s11
	s_cbranch_execz .LBB893_230
.LBB893_265:
	v_sub_nc_u32_e32 v10, v30, v8
	v_mov_b32_e32 v11, 0
	s_delay_alu instid0(VALU_DEP_1) | instskip(NEXT) | instid1(VALU_DEP_1)
	v_lshlrev_b64 v[10:11], 3, v[10:11]
	v_add_co_u32 v10, vcc_lo, v6, v10
	s_delay_alu instid0(VALU_DEP_2)
	v_add_co_ci_u32_e32 v11, vcc_lo, v7, v11, vcc_lo
	global_store_b64 v[10:11], v[69:70], off
	s_or_b32 exec_lo, exec_lo, s17
	s_and_saveexec_b32 s17, s10
	s_cbranch_execnz .LBB893_231
.LBB893_266:
	s_or_b32 exec_lo, exec_lo, s17
	s_and_saveexec_b32 s17, s9
	s_cbranch_execz .LBB893_232
.LBB893_267:
	v_sub_nc_u32_e32 v10, v28, v8
	v_mov_b32_e32 v11, 0
	s_delay_alu instid0(VALU_DEP_1) | instskip(NEXT) | instid1(VALU_DEP_1)
	v_lshlrev_b64 v[10:11], 3, v[10:11]
	v_add_co_u32 v10, vcc_lo, v6, v10
	s_delay_alu instid0(VALU_DEP_2)
	v_add_co_ci_u32_e32 v11, vcc_lo, v7, v11, vcc_lo
	global_store_b64 v[10:11], v[55:56], off
	s_or_b32 exec_lo, exec_lo, s17
	s_and_saveexec_b32 s17, s8
	s_cbranch_execnz .LBB893_233
.LBB893_268:
	s_or_b32 exec_lo, exec_lo, s17
	s_and_saveexec_b32 s17, s7
	s_cbranch_execz .LBB893_234
.LBB893_269:
	v_sub_nc_u32_e32 v10, v26, v8
	v_mov_b32_e32 v11, 0
	s_delay_alu instid0(VALU_DEP_1) | instskip(NEXT) | instid1(VALU_DEP_1)
	v_lshlrev_b64 v[10:11], 3, v[10:11]
	v_add_co_u32 v10, vcc_lo, v6, v10
	s_delay_alu instid0(VALU_DEP_2)
	v_add_co_ci_u32_e32 v11, vcc_lo, v7, v11, vcc_lo
	global_store_b64 v[10:11], v[67:68], off
	s_or_b32 exec_lo, exec_lo, s17
	s_and_saveexec_b32 s17, s6
	s_cbranch_execnz .LBB893_235
.LBB893_270:
	s_or_b32 exec_lo, exec_lo, s17
	s_and_saveexec_b32 s17, s5
	s_cbranch_execz .LBB893_236
.LBB893_271:
	v_sub_nc_u32_e32 v10, v24, v8
	v_mov_b32_e32 v11, 0
	s_delay_alu instid0(VALU_DEP_1) | instskip(NEXT) | instid1(VALU_DEP_1)
	v_lshlrev_b64 v[10:11], 3, v[10:11]
	v_add_co_u32 v10, vcc_lo, v6, v10
	s_delay_alu instid0(VALU_DEP_2)
	v_add_co_ci_u32_e32 v11, vcc_lo, v7, v11, vcc_lo
	global_store_b64 v[10:11], v[53:54], off
	s_or_b32 exec_lo, exec_lo, s17
	s_and_saveexec_b32 s17, s4
	s_cbranch_execnz .LBB893_237
.LBB893_272:
	s_or_b32 exec_lo, exec_lo, s17
	s_and_saveexec_b32 s17, s3
	s_cbranch_execz .LBB893_238
.LBB893_273:
	v_sub_nc_u32_e32 v10, v22, v8
	v_mov_b32_e32 v11, 0
	s_delay_alu instid0(VALU_DEP_1) | instskip(NEXT) | instid1(VALU_DEP_1)
	v_lshlrev_b64 v[10:11], 3, v[10:11]
	v_add_co_u32 v10, vcc_lo, v6, v10
	s_delay_alu instid0(VALU_DEP_2)
	v_add_co_ci_u32_e32 v11, vcc_lo, v7, v11, vcc_lo
	global_store_b64 v[10:11], v[73:74], off
	s_or_b32 exec_lo, exec_lo, s17
	s_and_saveexec_b32 s17, s2
	s_cbranch_execnz .LBB893_239
.LBB893_274:
	s_or_b32 exec_lo, exec_lo, s17
	s_and_saveexec_b32 s17, s1
	s_cbranch_execz .LBB893_276
.LBB893_275:
	v_sub_nc_u32_e32 v10, v20, v8
	v_mov_b32_e32 v11, 0
	s_delay_alu instid0(VALU_DEP_1) | instskip(NEXT) | instid1(VALU_DEP_1)
	v_lshlrev_b64 v[10:11], 3, v[10:11]
	v_add_co_u32 v10, vcc_lo, v6, v10
	s_delay_alu instid0(VALU_DEP_2)
	v_add_co_ci_u32_e32 v11, vcc_lo, v7, v11, vcc_lo
	global_store_b64 v[10:11], v[77:78], off
.LBB893_276:
	s_or_b32 exec_lo, exec_lo, s17
	s_delay_alu instid0(SALU_CYCLE_1)
	s_and_b32 s17, s0, exec_lo
	s_and_not1_saveexec_b32 s15, s15
	s_cbranch_execnz .LBB893_258
.LBB893_277:
	s_or_b32 exec_lo, exec_lo, s15
	s_delay_alu instid0(SALU_CYCLE_1)
	s_and_b32 exec_lo, exec_lo, s17
	s_cbranch_execz .LBB893_279
.LBB893_278:
	v_sub_nc_u32_e32 v10, v19, v8
	v_mov_b32_e32 v11, 0
	s_delay_alu instid0(VALU_DEP_1) | instskip(NEXT) | instid1(VALU_DEP_1)
	v_lshlrev_b64 v[10:11], 3, v[10:11]
	v_add_co_u32 v10, vcc_lo, v6, v10
	s_delay_alu instid0(VALU_DEP_2)
	v_add_co_ci_u32_e32 v11, vcc_lo, v7, v11, vcc_lo
	global_store_b64 v[10:11], v[1:2], off
.LBB893_279:
	s_or_b32 exec_lo, exec_lo, s16
.LBB893_280:
	v_cmp_eq_u32_e32 vcc_lo, 0xff, v0
	s_and_b32 s0, vcc_lo, s33
	s_delay_alu instid0(SALU_CYCLE_1)
	s_and_saveexec_b32 s1, s0
	s_cbranch_execnz .LBB893_302
	s_branch .LBB893_304
.LBB893_281:
	s_or_b32 exec_lo, exec_lo, s17
	s_and_saveexec_b32 s14, s13
	s_cbranch_execz .LBB893_245
.LBB893_282:
	v_sub_nc_u32_e32 v9, v32, v8
	s_delay_alu instid0(VALU_DEP_1)
	v_lshlrev_b32_e32 v9, 3, v9
	ds_store_b64 v9, v[59:60]
	s_or_b32 exec_lo, exec_lo, s14
	s_and_saveexec_b32 s13, s12
	s_cbranch_execnz .LBB893_246
.LBB893_283:
	s_or_b32 exec_lo, exec_lo, s13
	s_and_saveexec_b32 s12, s11
	s_cbranch_execz .LBB893_247
.LBB893_284:
	v_sub_nc_u32_e32 v9, v30, v8
	s_delay_alu instid0(VALU_DEP_1)
	v_lshlrev_b32_e32 v9, 3, v9
	ds_store_b64 v9, v[69:70]
	s_or_b32 exec_lo, exec_lo, s12
	s_and_saveexec_b32 s11, s10
	s_cbranch_execnz .LBB893_248
.LBB893_285:
	s_or_b32 exec_lo, exec_lo, s11
	s_and_saveexec_b32 s10, s9
	s_cbranch_execz .LBB893_249
.LBB893_286:
	v_sub_nc_u32_e32 v9, v28, v8
	s_delay_alu instid0(VALU_DEP_1)
	v_lshlrev_b32_e32 v9, 3, v9
	ds_store_b64 v9, v[55:56]
	s_or_b32 exec_lo, exec_lo, s10
	s_and_saveexec_b32 s9, s8
	s_cbranch_execnz .LBB893_250
.LBB893_287:
	s_or_b32 exec_lo, exec_lo, s9
	s_and_saveexec_b32 s8, s7
	s_cbranch_execz .LBB893_251
.LBB893_288:
	v_sub_nc_u32_e32 v9, v26, v8
	s_delay_alu instid0(VALU_DEP_1)
	v_lshlrev_b32_e32 v9, 3, v9
	ds_store_b64 v9, v[67:68]
	s_or_b32 exec_lo, exec_lo, s8
	s_and_saveexec_b32 s7, s6
	s_cbranch_execnz .LBB893_252
.LBB893_289:
	s_or_b32 exec_lo, exec_lo, s7
	s_and_saveexec_b32 s6, s5
	s_cbranch_execz .LBB893_253
.LBB893_290:
	v_sub_nc_u32_e32 v9, v24, v8
	s_delay_alu instid0(VALU_DEP_1)
	v_lshlrev_b32_e32 v9, 3, v9
	ds_store_b64 v9, v[53:54]
	s_or_b32 exec_lo, exec_lo, s6
	s_and_saveexec_b32 s5, s4
	s_cbranch_execnz .LBB893_254
.LBB893_291:
	s_or_b32 exec_lo, exec_lo, s5
	s_and_saveexec_b32 s4, s3
	s_cbranch_execz .LBB893_255
.LBB893_292:
	v_sub_nc_u32_e32 v9, v22, v8
	s_delay_alu instid0(VALU_DEP_1)
	v_lshlrev_b32_e32 v9, 3, v9
	ds_store_b64 v9, v[73:74]
	s_or_b32 exec_lo, exec_lo, s4
	s_and_saveexec_b32 s3, s2
	s_cbranch_execnz .LBB893_256
.LBB893_293:
	s_or_b32 exec_lo, exec_lo, s3
	s_and_saveexec_b32 s2, s1
	s_cbranch_execz .LBB893_295
.LBB893_294:
	v_sub_nc_u32_e32 v9, v20, v8
	s_delay_alu instid0(VALU_DEP_1)
	v_lshlrev_b32_e32 v9, 3, v9
	ds_store_b64 v9, v[77:78]
.LBB893_295:
	s_or_b32 exec_lo, exec_lo, s2
	s_delay_alu instid0(SALU_CYCLE_1)
	s_and_b32 s17, s0, exec_lo
                                        ; implicit-def: $vgpr63_vgpr64
                                        ; implicit-def: $vgpr59_vgpr60
                                        ; implicit-def: $vgpr65_vgpr66
                                        ; implicit-def: $vgpr69_vgpr70
                                        ; implicit-def: $vgpr51_vgpr52
                                        ; implicit-def: $vgpr55_vgpr56
                                        ; implicit-def: $vgpr61_vgpr62
                                        ; implicit-def: $vgpr67_vgpr68
                                        ; implicit-def: $vgpr71_vgpr72
                                        ; implicit-def: $vgpr53_vgpr54
                                        ; implicit-def: $vgpr57_vgpr58
                                        ; implicit-def: $vgpr73_vgpr74
                                        ; implicit-def: $vgpr75_vgpr76
                                        ; implicit-def: $vgpr77_vgpr78
                                        ; implicit-def: $vgpr98
                                        ; implicit-def: $vgpr32
                                        ; implicit-def: $vgpr31
                                        ; implicit-def: $vgpr30
                                        ; implicit-def: $vgpr29
                                        ; implicit-def: $vgpr28
                                        ; implicit-def: $vgpr27
                                        ; implicit-def: $vgpr26
                                        ; implicit-def: $vgpr25
                                        ; implicit-def: $vgpr24
                                        ; implicit-def: $vgpr23
                                        ; implicit-def: $vgpr22
                                        ; implicit-def: $vgpr21
                                        ; implicit-def: $vgpr20
	s_and_not1_saveexec_b32 s0, s16
	s_cbranch_execnz .LBB893_260
.LBB893_296:
	s_or_b32 exec_lo, exec_lo, s0
	s_delay_alu instid0(SALU_CYCLE_1)
	s_and_b32 exec_lo, exec_lo, s17
	s_cbranch_execz .LBB893_298
.LBB893_297:
	v_sub_nc_u32_e32 v8, v19, v8
	s_delay_alu instid0(VALU_DEP_1)
	v_lshlrev_b32_e32 v8, 3, v8
	ds_store_b64 v8, v[1:2]
.LBB893_298:
	s_or_b32 exec_lo, exec_lo, s15
	s_delay_alu instid0(SALU_CYCLE_1)
	s_mov_b32 s1, exec_lo
	s_waitcnt lgkmcnt(0)
	s_waitcnt_vscnt null, 0x0
	s_barrier
	buffer_gl0_inv
	v_cmpx_lt_u32_e64 v0, v3
	s_cbranch_execz .LBB893_301
; %bb.299:
	v_dual_mov_b32 v1, v0 :: v_dual_lshlrev_b32 v8, 3, v0
	v_mov_b32_e32 v2, 0
	s_mov_b32 s2, 0
	.p2align	6
.LBB893_300:                            ; =>This Inner Loop Header: Depth=1
	ds_load_b64 v[9:10], v8
	v_lshlrev_b64 v[11:12], 3, v[1:2]
	v_add_nc_u32_e32 v1, 0x100, v1
	v_add_nc_u32_e32 v8, 0x800, v8
	s_delay_alu instid0(VALU_DEP_2) | instskip(NEXT) | instid1(VALU_DEP_4)
	v_cmp_ge_u32_e32 vcc_lo, v1, v3
	v_add_co_u32 v11, s0, v6, v11
	s_delay_alu instid0(VALU_DEP_1)
	v_add_co_ci_u32_e64 v12, s0, v7, v12, s0
	s_or_b32 s2, vcc_lo, s2
	s_waitcnt lgkmcnt(0)
	global_store_b64 v[11:12], v[9:10], off
	s_and_not1_b32 exec_lo, exec_lo, s2
	s_cbranch_execnz .LBB893_300
.LBB893_301:
	s_or_b32 exec_lo, exec_lo, s1
	v_cmp_eq_u32_e32 vcc_lo, 0xff, v0
	s_and_b32 s0, vcc_lo, s33
	s_delay_alu instid0(SALU_CYCLE_1)
	s_and_saveexec_b32 s1, s0
	s_cbranch_execz .LBB893_304
.LBB893_302:
	v_add_co_u32 v0, s0, v45, v49
	s_delay_alu instid0(VALU_DEP_1) | instskip(SKIP_1) | instid1(VALU_DEP_3)
	v_add_co_ci_u32_e64 v1, null, 0, 0, s0
	v_mov_b32_e32 v46, 0
	v_add_co_u32 v0, vcc_lo, v0, v17
	s_delay_alu instid0(VALU_DEP_3)
	v_add_co_ci_u32_e32 v1, vcc_lo, v1, v18, vcc_lo
	s_cmpk_lg_i32 s34, 0xf00
	global_store_b64 v46, v[0:1], s[26:27]
	s_cbranch_scc1 .LBB893_304
; %bb.303:
	v_lshlrev_b64 v[0:1], 3, v[45:46]
	s_delay_alu instid0(VALU_DEP_1) | instskip(NEXT) | instid1(VALU_DEP_2)
	v_add_co_u32 v0, vcc_lo, v4, v0
	v_add_co_ci_u32_e32 v1, vcc_lo, v5, v1, vcc_lo
	global_store_b64 v[0:1], v[47:48], off offset:-8
	s_nop 0
	s_sendmsg sendmsg(MSG_DEALLOC_VGPRS)
	s_endpgm
.LBB893_304:
	s_nop 0
	s_sendmsg sendmsg(MSG_DEALLOC_VGPRS)
	s_endpgm
	.section	.rodata,"a",@progbits
	.p2align	6, 0x0
	.amdhsa_kernel _ZN7rocprim17ROCPRIM_400000_NS6detail17trampoline_kernelINS0_14default_configENS1_29reduce_by_key_config_selectorIjyN6thrust23THRUST_200600_302600_NS4plusIyEEEEZZNS1_33reduce_by_key_impl_wrapped_configILNS1_25lookback_scan_determinismE0ES3_S9_NS6_6detail15normal_iteratorINS6_10device_ptrIjEEEENSD_INSE_IyEEEENS6_16discard_iteratorINS6_11use_defaultEEESI_PmS8_NS6_8equal_toIjEEEE10hipError_tPvRmT2_T3_mT4_T5_T6_T7_T8_P12ihipStream_tbENKUlT_T0_E_clISt17integral_constantIbLb1EES16_EEDaS11_S12_EUlS11_E_NS1_11comp_targetILNS1_3genE9ELNS1_11target_archE1100ELNS1_3gpuE3ELNS1_3repE0EEENS1_30default_config_static_selectorELNS0_4arch9wavefront6targetE0EEEvT1_
		.amdhsa_group_segment_fixed_size 30720
		.amdhsa_private_segment_fixed_size 0
		.amdhsa_kernarg_size 144
		.amdhsa_user_sgpr_count 15
		.amdhsa_user_sgpr_dispatch_ptr 0
		.amdhsa_user_sgpr_queue_ptr 0
		.amdhsa_user_sgpr_kernarg_segment_ptr 1
		.amdhsa_user_sgpr_dispatch_id 0
		.amdhsa_user_sgpr_private_segment_size 0
		.amdhsa_wavefront_size32 1
		.amdhsa_uses_dynamic_stack 0
		.amdhsa_enable_private_segment 0
		.amdhsa_system_sgpr_workgroup_id_x 1
		.amdhsa_system_sgpr_workgroup_id_y 0
		.amdhsa_system_sgpr_workgroup_id_z 0
		.amdhsa_system_sgpr_workgroup_info 0
		.amdhsa_system_vgpr_workitem_id 0
		.amdhsa_next_free_vgpr 103
		.amdhsa_next_free_sgpr 52
		.amdhsa_reserve_vcc 1
		.amdhsa_float_round_mode_32 0
		.amdhsa_float_round_mode_16_64 0
		.amdhsa_float_denorm_mode_32 3
		.amdhsa_float_denorm_mode_16_64 3
		.amdhsa_dx10_clamp 1
		.amdhsa_ieee_mode 1
		.amdhsa_fp16_overflow 0
		.amdhsa_workgroup_processor_mode 1
		.amdhsa_memory_ordered 1
		.amdhsa_forward_progress 0
		.amdhsa_shared_vgpr_count 0
		.amdhsa_exception_fp_ieee_invalid_op 0
		.amdhsa_exception_fp_denorm_src 0
		.amdhsa_exception_fp_ieee_div_zero 0
		.amdhsa_exception_fp_ieee_overflow 0
		.amdhsa_exception_fp_ieee_underflow 0
		.amdhsa_exception_fp_ieee_inexact 0
		.amdhsa_exception_int_div_zero 0
	.end_amdhsa_kernel
	.section	.text._ZN7rocprim17ROCPRIM_400000_NS6detail17trampoline_kernelINS0_14default_configENS1_29reduce_by_key_config_selectorIjyN6thrust23THRUST_200600_302600_NS4plusIyEEEEZZNS1_33reduce_by_key_impl_wrapped_configILNS1_25lookback_scan_determinismE0ES3_S9_NS6_6detail15normal_iteratorINS6_10device_ptrIjEEEENSD_INSE_IyEEEENS6_16discard_iteratorINS6_11use_defaultEEESI_PmS8_NS6_8equal_toIjEEEE10hipError_tPvRmT2_T3_mT4_T5_T6_T7_T8_P12ihipStream_tbENKUlT_T0_E_clISt17integral_constantIbLb1EES16_EEDaS11_S12_EUlS11_E_NS1_11comp_targetILNS1_3genE9ELNS1_11target_archE1100ELNS1_3gpuE3ELNS1_3repE0EEENS1_30default_config_static_selectorELNS0_4arch9wavefront6targetE0EEEvT1_,"axG",@progbits,_ZN7rocprim17ROCPRIM_400000_NS6detail17trampoline_kernelINS0_14default_configENS1_29reduce_by_key_config_selectorIjyN6thrust23THRUST_200600_302600_NS4plusIyEEEEZZNS1_33reduce_by_key_impl_wrapped_configILNS1_25lookback_scan_determinismE0ES3_S9_NS6_6detail15normal_iteratorINS6_10device_ptrIjEEEENSD_INSE_IyEEEENS6_16discard_iteratorINS6_11use_defaultEEESI_PmS8_NS6_8equal_toIjEEEE10hipError_tPvRmT2_T3_mT4_T5_T6_T7_T8_P12ihipStream_tbENKUlT_T0_E_clISt17integral_constantIbLb1EES16_EEDaS11_S12_EUlS11_E_NS1_11comp_targetILNS1_3genE9ELNS1_11target_archE1100ELNS1_3gpuE3ELNS1_3repE0EEENS1_30default_config_static_selectorELNS0_4arch9wavefront6targetE0EEEvT1_,comdat
.Lfunc_end893:
	.size	_ZN7rocprim17ROCPRIM_400000_NS6detail17trampoline_kernelINS0_14default_configENS1_29reduce_by_key_config_selectorIjyN6thrust23THRUST_200600_302600_NS4plusIyEEEEZZNS1_33reduce_by_key_impl_wrapped_configILNS1_25lookback_scan_determinismE0ES3_S9_NS6_6detail15normal_iteratorINS6_10device_ptrIjEEEENSD_INSE_IyEEEENS6_16discard_iteratorINS6_11use_defaultEEESI_PmS8_NS6_8equal_toIjEEEE10hipError_tPvRmT2_T3_mT4_T5_T6_T7_T8_P12ihipStream_tbENKUlT_T0_E_clISt17integral_constantIbLb1EES16_EEDaS11_S12_EUlS11_E_NS1_11comp_targetILNS1_3genE9ELNS1_11target_archE1100ELNS1_3gpuE3ELNS1_3repE0EEENS1_30default_config_static_selectorELNS0_4arch9wavefront6targetE0EEEvT1_, .Lfunc_end893-_ZN7rocprim17ROCPRIM_400000_NS6detail17trampoline_kernelINS0_14default_configENS1_29reduce_by_key_config_selectorIjyN6thrust23THRUST_200600_302600_NS4plusIyEEEEZZNS1_33reduce_by_key_impl_wrapped_configILNS1_25lookback_scan_determinismE0ES3_S9_NS6_6detail15normal_iteratorINS6_10device_ptrIjEEEENSD_INSE_IyEEEENS6_16discard_iteratorINS6_11use_defaultEEESI_PmS8_NS6_8equal_toIjEEEE10hipError_tPvRmT2_T3_mT4_T5_T6_T7_T8_P12ihipStream_tbENKUlT_T0_E_clISt17integral_constantIbLb1EES16_EEDaS11_S12_EUlS11_E_NS1_11comp_targetILNS1_3genE9ELNS1_11target_archE1100ELNS1_3gpuE3ELNS1_3repE0EEENS1_30default_config_static_selectorELNS0_4arch9wavefront6targetE0EEEvT1_
                                        ; -- End function
	.section	.AMDGPU.csdata,"",@progbits
; Kernel info:
; codeLenInByte = 17864
; NumSgprs: 54
; NumVgprs: 103
; ScratchSize: 0
; MemoryBound: 0
; FloatMode: 240
; IeeeMode: 1
; LDSByteSize: 30720 bytes/workgroup (compile time only)
; SGPRBlocks: 6
; VGPRBlocks: 12
; NumSGPRsForWavesPerEU: 54
; NumVGPRsForWavesPerEU: 103
; Occupancy: 8
; WaveLimiterHint : 1
; COMPUTE_PGM_RSRC2:SCRATCH_EN: 0
; COMPUTE_PGM_RSRC2:USER_SGPR: 15
; COMPUTE_PGM_RSRC2:TRAP_HANDLER: 0
; COMPUTE_PGM_RSRC2:TGID_X_EN: 1
; COMPUTE_PGM_RSRC2:TGID_Y_EN: 0
; COMPUTE_PGM_RSRC2:TGID_Z_EN: 0
; COMPUTE_PGM_RSRC2:TIDIG_COMP_CNT: 0
	.section	.text._ZN7rocprim17ROCPRIM_400000_NS6detail17trampoline_kernelINS0_14default_configENS1_29reduce_by_key_config_selectorIjyN6thrust23THRUST_200600_302600_NS4plusIyEEEEZZNS1_33reduce_by_key_impl_wrapped_configILNS1_25lookback_scan_determinismE0ES3_S9_NS6_6detail15normal_iteratorINS6_10device_ptrIjEEEENSD_INSE_IyEEEENS6_16discard_iteratorINS6_11use_defaultEEESI_PmS8_NS6_8equal_toIjEEEE10hipError_tPvRmT2_T3_mT4_T5_T6_T7_T8_P12ihipStream_tbENKUlT_T0_E_clISt17integral_constantIbLb1EES16_EEDaS11_S12_EUlS11_E_NS1_11comp_targetILNS1_3genE8ELNS1_11target_archE1030ELNS1_3gpuE2ELNS1_3repE0EEENS1_30default_config_static_selectorELNS0_4arch9wavefront6targetE0EEEvT1_,"axG",@progbits,_ZN7rocprim17ROCPRIM_400000_NS6detail17trampoline_kernelINS0_14default_configENS1_29reduce_by_key_config_selectorIjyN6thrust23THRUST_200600_302600_NS4plusIyEEEEZZNS1_33reduce_by_key_impl_wrapped_configILNS1_25lookback_scan_determinismE0ES3_S9_NS6_6detail15normal_iteratorINS6_10device_ptrIjEEEENSD_INSE_IyEEEENS6_16discard_iteratorINS6_11use_defaultEEESI_PmS8_NS6_8equal_toIjEEEE10hipError_tPvRmT2_T3_mT4_T5_T6_T7_T8_P12ihipStream_tbENKUlT_T0_E_clISt17integral_constantIbLb1EES16_EEDaS11_S12_EUlS11_E_NS1_11comp_targetILNS1_3genE8ELNS1_11target_archE1030ELNS1_3gpuE2ELNS1_3repE0EEENS1_30default_config_static_selectorELNS0_4arch9wavefront6targetE0EEEvT1_,comdat
	.protected	_ZN7rocprim17ROCPRIM_400000_NS6detail17trampoline_kernelINS0_14default_configENS1_29reduce_by_key_config_selectorIjyN6thrust23THRUST_200600_302600_NS4plusIyEEEEZZNS1_33reduce_by_key_impl_wrapped_configILNS1_25lookback_scan_determinismE0ES3_S9_NS6_6detail15normal_iteratorINS6_10device_ptrIjEEEENSD_INSE_IyEEEENS6_16discard_iteratorINS6_11use_defaultEEESI_PmS8_NS6_8equal_toIjEEEE10hipError_tPvRmT2_T3_mT4_T5_T6_T7_T8_P12ihipStream_tbENKUlT_T0_E_clISt17integral_constantIbLb1EES16_EEDaS11_S12_EUlS11_E_NS1_11comp_targetILNS1_3genE8ELNS1_11target_archE1030ELNS1_3gpuE2ELNS1_3repE0EEENS1_30default_config_static_selectorELNS0_4arch9wavefront6targetE0EEEvT1_ ; -- Begin function _ZN7rocprim17ROCPRIM_400000_NS6detail17trampoline_kernelINS0_14default_configENS1_29reduce_by_key_config_selectorIjyN6thrust23THRUST_200600_302600_NS4plusIyEEEEZZNS1_33reduce_by_key_impl_wrapped_configILNS1_25lookback_scan_determinismE0ES3_S9_NS6_6detail15normal_iteratorINS6_10device_ptrIjEEEENSD_INSE_IyEEEENS6_16discard_iteratorINS6_11use_defaultEEESI_PmS8_NS6_8equal_toIjEEEE10hipError_tPvRmT2_T3_mT4_T5_T6_T7_T8_P12ihipStream_tbENKUlT_T0_E_clISt17integral_constantIbLb1EES16_EEDaS11_S12_EUlS11_E_NS1_11comp_targetILNS1_3genE8ELNS1_11target_archE1030ELNS1_3gpuE2ELNS1_3repE0EEENS1_30default_config_static_selectorELNS0_4arch9wavefront6targetE0EEEvT1_
	.globl	_ZN7rocprim17ROCPRIM_400000_NS6detail17trampoline_kernelINS0_14default_configENS1_29reduce_by_key_config_selectorIjyN6thrust23THRUST_200600_302600_NS4plusIyEEEEZZNS1_33reduce_by_key_impl_wrapped_configILNS1_25lookback_scan_determinismE0ES3_S9_NS6_6detail15normal_iteratorINS6_10device_ptrIjEEEENSD_INSE_IyEEEENS6_16discard_iteratorINS6_11use_defaultEEESI_PmS8_NS6_8equal_toIjEEEE10hipError_tPvRmT2_T3_mT4_T5_T6_T7_T8_P12ihipStream_tbENKUlT_T0_E_clISt17integral_constantIbLb1EES16_EEDaS11_S12_EUlS11_E_NS1_11comp_targetILNS1_3genE8ELNS1_11target_archE1030ELNS1_3gpuE2ELNS1_3repE0EEENS1_30default_config_static_selectorELNS0_4arch9wavefront6targetE0EEEvT1_
	.p2align	8
	.type	_ZN7rocprim17ROCPRIM_400000_NS6detail17trampoline_kernelINS0_14default_configENS1_29reduce_by_key_config_selectorIjyN6thrust23THRUST_200600_302600_NS4plusIyEEEEZZNS1_33reduce_by_key_impl_wrapped_configILNS1_25lookback_scan_determinismE0ES3_S9_NS6_6detail15normal_iteratorINS6_10device_ptrIjEEEENSD_INSE_IyEEEENS6_16discard_iteratorINS6_11use_defaultEEESI_PmS8_NS6_8equal_toIjEEEE10hipError_tPvRmT2_T3_mT4_T5_T6_T7_T8_P12ihipStream_tbENKUlT_T0_E_clISt17integral_constantIbLb1EES16_EEDaS11_S12_EUlS11_E_NS1_11comp_targetILNS1_3genE8ELNS1_11target_archE1030ELNS1_3gpuE2ELNS1_3repE0EEENS1_30default_config_static_selectorELNS0_4arch9wavefront6targetE0EEEvT1_,@function
_ZN7rocprim17ROCPRIM_400000_NS6detail17trampoline_kernelINS0_14default_configENS1_29reduce_by_key_config_selectorIjyN6thrust23THRUST_200600_302600_NS4plusIyEEEEZZNS1_33reduce_by_key_impl_wrapped_configILNS1_25lookback_scan_determinismE0ES3_S9_NS6_6detail15normal_iteratorINS6_10device_ptrIjEEEENSD_INSE_IyEEEENS6_16discard_iteratorINS6_11use_defaultEEESI_PmS8_NS6_8equal_toIjEEEE10hipError_tPvRmT2_T3_mT4_T5_T6_T7_T8_P12ihipStream_tbENKUlT_T0_E_clISt17integral_constantIbLb1EES16_EEDaS11_S12_EUlS11_E_NS1_11comp_targetILNS1_3genE8ELNS1_11target_archE1030ELNS1_3gpuE2ELNS1_3repE0EEENS1_30default_config_static_selectorELNS0_4arch9wavefront6targetE0EEEvT1_: ; @_ZN7rocprim17ROCPRIM_400000_NS6detail17trampoline_kernelINS0_14default_configENS1_29reduce_by_key_config_selectorIjyN6thrust23THRUST_200600_302600_NS4plusIyEEEEZZNS1_33reduce_by_key_impl_wrapped_configILNS1_25lookback_scan_determinismE0ES3_S9_NS6_6detail15normal_iteratorINS6_10device_ptrIjEEEENSD_INSE_IyEEEENS6_16discard_iteratorINS6_11use_defaultEEESI_PmS8_NS6_8equal_toIjEEEE10hipError_tPvRmT2_T3_mT4_T5_T6_T7_T8_P12ihipStream_tbENKUlT_T0_E_clISt17integral_constantIbLb1EES16_EEDaS11_S12_EUlS11_E_NS1_11comp_targetILNS1_3genE8ELNS1_11target_archE1030ELNS1_3gpuE2ELNS1_3repE0EEENS1_30default_config_static_selectorELNS0_4arch9wavefront6targetE0EEEvT1_
; %bb.0:
	.section	.rodata,"a",@progbits
	.p2align	6, 0x0
	.amdhsa_kernel _ZN7rocprim17ROCPRIM_400000_NS6detail17trampoline_kernelINS0_14default_configENS1_29reduce_by_key_config_selectorIjyN6thrust23THRUST_200600_302600_NS4plusIyEEEEZZNS1_33reduce_by_key_impl_wrapped_configILNS1_25lookback_scan_determinismE0ES3_S9_NS6_6detail15normal_iteratorINS6_10device_ptrIjEEEENSD_INSE_IyEEEENS6_16discard_iteratorINS6_11use_defaultEEESI_PmS8_NS6_8equal_toIjEEEE10hipError_tPvRmT2_T3_mT4_T5_T6_T7_T8_P12ihipStream_tbENKUlT_T0_E_clISt17integral_constantIbLb1EES16_EEDaS11_S12_EUlS11_E_NS1_11comp_targetILNS1_3genE8ELNS1_11target_archE1030ELNS1_3gpuE2ELNS1_3repE0EEENS1_30default_config_static_selectorELNS0_4arch9wavefront6targetE0EEEvT1_
		.amdhsa_group_segment_fixed_size 0
		.amdhsa_private_segment_fixed_size 0
		.amdhsa_kernarg_size 144
		.amdhsa_user_sgpr_count 15
		.amdhsa_user_sgpr_dispatch_ptr 0
		.amdhsa_user_sgpr_queue_ptr 0
		.amdhsa_user_sgpr_kernarg_segment_ptr 1
		.amdhsa_user_sgpr_dispatch_id 0
		.amdhsa_user_sgpr_private_segment_size 0
		.amdhsa_wavefront_size32 1
		.amdhsa_uses_dynamic_stack 0
		.amdhsa_enable_private_segment 0
		.amdhsa_system_sgpr_workgroup_id_x 1
		.amdhsa_system_sgpr_workgroup_id_y 0
		.amdhsa_system_sgpr_workgroup_id_z 0
		.amdhsa_system_sgpr_workgroup_info 0
		.amdhsa_system_vgpr_workitem_id 0
		.amdhsa_next_free_vgpr 1
		.amdhsa_next_free_sgpr 1
		.amdhsa_reserve_vcc 0
		.amdhsa_float_round_mode_32 0
		.amdhsa_float_round_mode_16_64 0
		.amdhsa_float_denorm_mode_32 3
		.amdhsa_float_denorm_mode_16_64 3
		.amdhsa_dx10_clamp 1
		.amdhsa_ieee_mode 1
		.amdhsa_fp16_overflow 0
		.amdhsa_workgroup_processor_mode 1
		.amdhsa_memory_ordered 1
		.amdhsa_forward_progress 0
		.amdhsa_shared_vgpr_count 0
		.amdhsa_exception_fp_ieee_invalid_op 0
		.amdhsa_exception_fp_denorm_src 0
		.amdhsa_exception_fp_ieee_div_zero 0
		.amdhsa_exception_fp_ieee_overflow 0
		.amdhsa_exception_fp_ieee_underflow 0
		.amdhsa_exception_fp_ieee_inexact 0
		.amdhsa_exception_int_div_zero 0
	.end_amdhsa_kernel
	.section	.text._ZN7rocprim17ROCPRIM_400000_NS6detail17trampoline_kernelINS0_14default_configENS1_29reduce_by_key_config_selectorIjyN6thrust23THRUST_200600_302600_NS4plusIyEEEEZZNS1_33reduce_by_key_impl_wrapped_configILNS1_25lookback_scan_determinismE0ES3_S9_NS6_6detail15normal_iteratorINS6_10device_ptrIjEEEENSD_INSE_IyEEEENS6_16discard_iteratorINS6_11use_defaultEEESI_PmS8_NS6_8equal_toIjEEEE10hipError_tPvRmT2_T3_mT4_T5_T6_T7_T8_P12ihipStream_tbENKUlT_T0_E_clISt17integral_constantIbLb1EES16_EEDaS11_S12_EUlS11_E_NS1_11comp_targetILNS1_3genE8ELNS1_11target_archE1030ELNS1_3gpuE2ELNS1_3repE0EEENS1_30default_config_static_selectorELNS0_4arch9wavefront6targetE0EEEvT1_,"axG",@progbits,_ZN7rocprim17ROCPRIM_400000_NS6detail17trampoline_kernelINS0_14default_configENS1_29reduce_by_key_config_selectorIjyN6thrust23THRUST_200600_302600_NS4plusIyEEEEZZNS1_33reduce_by_key_impl_wrapped_configILNS1_25lookback_scan_determinismE0ES3_S9_NS6_6detail15normal_iteratorINS6_10device_ptrIjEEEENSD_INSE_IyEEEENS6_16discard_iteratorINS6_11use_defaultEEESI_PmS8_NS6_8equal_toIjEEEE10hipError_tPvRmT2_T3_mT4_T5_T6_T7_T8_P12ihipStream_tbENKUlT_T0_E_clISt17integral_constantIbLb1EES16_EEDaS11_S12_EUlS11_E_NS1_11comp_targetILNS1_3genE8ELNS1_11target_archE1030ELNS1_3gpuE2ELNS1_3repE0EEENS1_30default_config_static_selectorELNS0_4arch9wavefront6targetE0EEEvT1_,comdat
.Lfunc_end894:
	.size	_ZN7rocprim17ROCPRIM_400000_NS6detail17trampoline_kernelINS0_14default_configENS1_29reduce_by_key_config_selectorIjyN6thrust23THRUST_200600_302600_NS4plusIyEEEEZZNS1_33reduce_by_key_impl_wrapped_configILNS1_25lookback_scan_determinismE0ES3_S9_NS6_6detail15normal_iteratorINS6_10device_ptrIjEEEENSD_INSE_IyEEEENS6_16discard_iteratorINS6_11use_defaultEEESI_PmS8_NS6_8equal_toIjEEEE10hipError_tPvRmT2_T3_mT4_T5_T6_T7_T8_P12ihipStream_tbENKUlT_T0_E_clISt17integral_constantIbLb1EES16_EEDaS11_S12_EUlS11_E_NS1_11comp_targetILNS1_3genE8ELNS1_11target_archE1030ELNS1_3gpuE2ELNS1_3repE0EEENS1_30default_config_static_selectorELNS0_4arch9wavefront6targetE0EEEvT1_, .Lfunc_end894-_ZN7rocprim17ROCPRIM_400000_NS6detail17trampoline_kernelINS0_14default_configENS1_29reduce_by_key_config_selectorIjyN6thrust23THRUST_200600_302600_NS4plusIyEEEEZZNS1_33reduce_by_key_impl_wrapped_configILNS1_25lookback_scan_determinismE0ES3_S9_NS6_6detail15normal_iteratorINS6_10device_ptrIjEEEENSD_INSE_IyEEEENS6_16discard_iteratorINS6_11use_defaultEEESI_PmS8_NS6_8equal_toIjEEEE10hipError_tPvRmT2_T3_mT4_T5_T6_T7_T8_P12ihipStream_tbENKUlT_T0_E_clISt17integral_constantIbLb1EES16_EEDaS11_S12_EUlS11_E_NS1_11comp_targetILNS1_3genE8ELNS1_11target_archE1030ELNS1_3gpuE2ELNS1_3repE0EEENS1_30default_config_static_selectorELNS0_4arch9wavefront6targetE0EEEvT1_
                                        ; -- End function
	.section	.AMDGPU.csdata,"",@progbits
; Kernel info:
; codeLenInByte = 0
; NumSgprs: 0
; NumVgprs: 0
; ScratchSize: 0
; MemoryBound: 0
; FloatMode: 240
; IeeeMode: 1
; LDSByteSize: 0 bytes/workgroup (compile time only)
; SGPRBlocks: 0
; VGPRBlocks: 0
; NumSGPRsForWavesPerEU: 1
; NumVGPRsForWavesPerEU: 1
; Occupancy: 16
; WaveLimiterHint : 0
; COMPUTE_PGM_RSRC2:SCRATCH_EN: 0
; COMPUTE_PGM_RSRC2:USER_SGPR: 15
; COMPUTE_PGM_RSRC2:TRAP_HANDLER: 0
; COMPUTE_PGM_RSRC2:TGID_X_EN: 1
; COMPUTE_PGM_RSRC2:TGID_Y_EN: 0
; COMPUTE_PGM_RSRC2:TGID_Z_EN: 0
; COMPUTE_PGM_RSRC2:TIDIG_COMP_CNT: 0
	.section	.text._ZN7rocprim17ROCPRIM_400000_NS6detail17trampoline_kernelINS0_14default_configENS1_29reduce_by_key_config_selectorIjyN6thrust23THRUST_200600_302600_NS4plusIyEEEEZZNS1_33reduce_by_key_impl_wrapped_configILNS1_25lookback_scan_determinismE0ES3_S9_NS6_6detail15normal_iteratorINS6_10device_ptrIjEEEENSD_INSE_IyEEEENS6_16discard_iteratorINS6_11use_defaultEEESI_PmS8_NS6_8equal_toIjEEEE10hipError_tPvRmT2_T3_mT4_T5_T6_T7_T8_P12ihipStream_tbENKUlT_T0_E_clISt17integral_constantIbLb1EES15_IbLb0EEEEDaS11_S12_EUlS11_E_NS1_11comp_targetILNS1_3genE0ELNS1_11target_archE4294967295ELNS1_3gpuE0ELNS1_3repE0EEENS1_30default_config_static_selectorELNS0_4arch9wavefront6targetE0EEEvT1_,"axG",@progbits,_ZN7rocprim17ROCPRIM_400000_NS6detail17trampoline_kernelINS0_14default_configENS1_29reduce_by_key_config_selectorIjyN6thrust23THRUST_200600_302600_NS4plusIyEEEEZZNS1_33reduce_by_key_impl_wrapped_configILNS1_25lookback_scan_determinismE0ES3_S9_NS6_6detail15normal_iteratorINS6_10device_ptrIjEEEENSD_INSE_IyEEEENS6_16discard_iteratorINS6_11use_defaultEEESI_PmS8_NS6_8equal_toIjEEEE10hipError_tPvRmT2_T3_mT4_T5_T6_T7_T8_P12ihipStream_tbENKUlT_T0_E_clISt17integral_constantIbLb1EES15_IbLb0EEEEDaS11_S12_EUlS11_E_NS1_11comp_targetILNS1_3genE0ELNS1_11target_archE4294967295ELNS1_3gpuE0ELNS1_3repE0EEENS1_30default_config_static_selectorELNS0_4arch9wavefront6targetE0EEEvT1_,comdat
	.protected	_ZN7rocprim17ROCPRIM_400000_NS6detail17trampoline_kernelINS0_14default_configENS1_29reduce_by_key_config_selectorIjyN6thrust23THRUST_200600_302600_NS4plusIyEEEEZZNS1_33reduce_by_key_impl_wrapped_configILNS1_25lookback_scan_determinismE0ES3_S9_NS6_6detail15normal_iteratorINS6_10device_ptrIjEEEENSD_INSE_IyEEEENS6_16discard_iteratorINS6_11use_defaultEEESI_PmS8_NS6_8equal_toIjEEEE10hipError_tPvRmT2_T3_mT4_T5_T6_T7_T8_P12ihipStream_tbENKUlT_T0_E_clISt17integral_constantIbLb1EES15_IbLb0EEEEDaS11_S12_EUlS11_E_NS1_11comp_targetILNS1_3genE0ELNS1_11target_archE4294967295ELNS1_3gpuE0ELNS1_3repE0EEENS1_30default_config_static_selectorELNS0_4arch9wavefront6targetE0EEEvT1_ ; -- Begin function _ZN7rocprim17ROCPRIM_400000_NS6detail17trampoline_kernelINS0_14default_configENS1_29reduce_by_key_config_selectorIjyN6thrust23THRUST_200600_302600_NS4plusIyEEEEZZNS1_33reduce_by_key_impl_wrapped_configILNS1_25lookback_scan_determinismE0ES3_S9_NS6_6detail15normal_iteratorINS6_10device_ptrIjEEEENSD_INSE_IyEEEENS6_16discard_iteratorINS6_11use_defaultEEESI_PmS8_NS6_8equal_toIjEEEE10hipError_tPvRmT2_T3_mT4_T5_T6_T7_T8_P12ihipStream_tbENKUlT_T0_E_clISt17integral_constantIbLb1EES15_IbLb0EEEEDaS11_S12_EUlS11_E_NS1_11comp_targetILNS1_3genE0ELNS1_11target_archE4294967295ELNS1_3gpuE0ELNS1_3repE0EEENS1_30default_config_static_selectorELNS0_4arch9wavefront6targetE0EEEvT1_
	.globl	_ZN7rocprim17ROCPRIM_400000_NS6detail17trampoline_kernelINS0_14default_configENS1_29reduce_by_key_config_selectorIjyN6thrust23THRUST_200600_302600_NS4plusIyEEEEZZNS1_33reduce_by_key_impl_wrapped_configILNS1_25lookback_scan_determinismE0ES3_S9_NS6_6detail15normal_iteratorINS6_10device_ptrIjEEEENSD_INSE_IyEEEENS6_16discard_iteratorINS6_11use_defaultEEESI_PmS8_NS6_8equal_toIjEEEE10hipError_tPvRmT2_T3_mT4_T5_T6_T7_T8_P12ihipStream_tbENKUlT_T0_E_clISt17integral_constantIbLb1EES15_IbLb0EEEEDaS11_S12_EUlS11_E_NS1_11comp_targetILNS1_3genE0ELNS1_11target_archE4294967295ELNS1_3gpuE0ELNS1_3repE0EEENS1_30default_config_static_selectorELNS0_4arch9wavefront6targetE0EEEvT1_
	.p2align	8
	.type	_ZN7rocprim17ROCPRIM_400000_NS6detail17trampoline_kernelINS0_14default_configENS1_29reduce_by_key_config_selectorIjyN6thrust23THRUST_200600_302600_NS4plusIyEEEEZZNS1_33reduce_by_key_impl_wrapped_configILNS1_25lookback_scan_determinismE0ES3_S9_NS6_6detail15normal_iteratorINS6_10device_ptrIjEEEENSD_INSE_IyEEEENS6_16discard_iteratorINS6_11use_defaultEEESI_PmS8_NS6_8equal_toIjEEEE10hipError_tPvRmT2_T3_mT4_T5_T6_T7_T8_P12ihipStream_tbENKUlT_T0_E_clISt17integral_constantIbLb1EES15_IbLb0EEEEDaS11_S12_EUlS11_E_NS1_11comp_targetILNS1_3genE0ELNS1_11target_archE4294967295ELNS1_3gpuE0ELNS1_3repE0EEENS1_30default_config_static_selectorELNS0_4arch9wavefront6targetE0EEEvT1_,@function
_ZN7rocprim17ROCPRIM_400000_NS6detail17trampoline_kernelINS0_14default_configENS1_29reduce_by_key_config_selectorIjyN6thrust23THRUST_200600_302600_NS4plusIyEEEEZZNS1_33reduce_by_key_impl_wrapped_configILNS1_25lookback_scan_determinismE0ES3_S9_NS6_6detail15normal_iteratorINS6_10device_ptrIjEEEENSD_INSE_IyEEEENS6_16discard_iteratorINS6_11use_defaultEEESI_PmS8_NS6_8equal_toIjEEEE10hipError_tPvRmT2_T3_mT4_T5_T6_T7_T8_P12ihipStream_tbENKUlT_T0_E_clISt17integral_constantIbLb1EES15_IbLb0EEEEDaS11_S12_EUlS11_E_NS1_11comp_targetILNS1_3genE0ELNS1_11target_archE4294967295ELNS1_3gpuE0ELNS1_3repE0EEENS1_30default_config_static_selectorELNS0_4arch9wavefront6targetE0EEEvT1_: ; @_ZN7rocprim17ROCPRIM_400000_NS6detail17trampoline_kernelINS0_14default_configENS1_29reduce_by_key_config_selectorIjyN6thrust23THRUST_200600_302600_NS4plusIyEEEEZZNS1_33reduce_by_key_impl_wrapped_configILNS1_25lookback_scan_determinismE0ES3_S9_NS6_6detail15normal_iteratorINS6_10device_ptrIjEEEENSD_INSE_IyEEEENS6_16discard_iteratorINS6_11use_defaultEEESI_PmS8_NS6_8equal_toIjEEEE10hipError_tPvRmT2_T3_mT4_T5_T6_T7_T8_P12ihipStream_tbENKUlT_T0_E_clISt17integral_constantIbLb1EES15_IbLb0EEEEDaS11_S12_EUlS11_E_NS1_11comp_targetILNS1_3genE0ELNS1_11target_archE4294967295ELNS1_3gpuE0ELNS1_3repE0EEENS1_30default_config_static_selectorELNS0_4arch9wavefront6targetE0EEEvT1_
; %bb.0:
	.section	.rodata,"a",@progbits
	.p2align	6, 0x0
	.amdhsa_kernel _ZN7rocprim17ROCPRIM_400000_NS6detail17trampoline_kernelINS0_14default_configENS1_29reduce_by_key_config_selectorIjyN6thrust23THRUST_200600_302600_NS4plusIyEEEEZZNS1_33reduce_by_key_impl_wrapped_configILNS1_25lookback_scan_determinismE0ES3_S9_NS6_6detail15normal_iteratorINS6_10device_ptrIjEEEENSD_INSE_IyEEEENS6_16discard_iteratorINS6_11use_defaultEEESI_PmS8_NS6_8equal_toIjEEEE10hipError_tPvRmT2_T3_mT4_T5_T6_T7_T8_P12ihipStream_tbENKUlT_T0_E_clISt17integral_constantIbLb1EES15_IbLb0EEEEDaS11_S12_EUlS11_E_NS1_11comp_targetILNS1_3genE0ELNS1_11target_archE4294967295ELNS1_3gpuE0ELNS1_3repE0EEENS1_30default_config_static_selectorELNS0_4arch9wavefront6targetE0EEEvT1_
		.amdhsa_group_segment_fixed_size 0
		.amdhsa_private_segment_fixed_size 0
		.amdhsa_kernarg_size 144
		.amdhsa_user_sgpr_count 15
		.amdhsa_user_sgpr_dispatch_ptr 0
		.amdhsa_user_sgpr_queue_ptr 0
		.amdhsa_user_sgpr_kernarg_segment_ptr 1
		.amdhsa_user_sgpr_dispatch_id 0
		.amdhsa_user_sgpr_private_segment_size 0
		.amdhsa_wavefront_size32 1
		.amdhsa_uses_dynamic_stack 0
		.amdhsa_enable_private_segment 0
		.amdhsa_system_sgpr_workgroup_id_x 1
		.amdhsa_system_sgpr_workgroup_id_y 0
		.amdhsa_system_sgpr_workgroup_id_z 0
		.amdhsa_system_sgpr_workgroup_info 0
		.amdhsa_system_vgpr_workitem_id 0
		.amdhsa_next_free_vgpr 1
		.amdhsa_next_free_sgpr 1
		.amdhsa_reserve_vcc 0
		.amdhsa_float_round_mode_32 0
		.amdhsa_float_round_mode_16_64 0
		.amdhsa_float_denorm_mode_32 3
		.amdhsa_float_denorm_mode_16_64 3
		.amdhsa_dx10_clamp 1
		.amdhsa_ieee_mode 1
		.amdhsa_fp16_overflow 0
		.amdhsa_workgroup_processor_mode 1
		.amdhsa_memory_ordered 1
		.amdhsa_forward_progress 0
		.amdhsa_shared_vgpr_count 0
		.amdhsa_exception_fp_ieee_invalid_op 0
		.amdhsa_exception_fp_denorm_src 0
		.amdhsa_exception_fp_ieee_div_zero 0
		.amdhsa_exception_fp_ieee_overflow 0
		.amdhsa_exception_fp_ieee_underflow 0
		.amdhsa_exception_fp_ieee_inexact 0
		.amdhsa_exception_int_div_zero 0
	.end_amdhsa_kernel
	.section	.text._ZN7rocprim17ROCPRIM_400000_NS6detail17trampoline_kernelINS0_14default_configENS1_29reduce_by_key_config_selectorIjyN6thrust23THRUST_200600_302600_NS4plusIyEEEEZZNS1_33reduce_by_key_impl_wrapped_configILNS1_25lookback_scan_determinismE0ES3_S9_NS6_6detail15normal_iteratorINS6_10device_ptrIjEEEENSD_INSE_IyEEEENS6_16discard_iteratorINS6_11use_defaultEEESI_PmS8_NS6_8equal_toIjEEEE10hipError_tPvRmT2_T3_mT4_T5_T6_T7_T8_P12ihipStream_tbENKUlT_T0_E_clISt17integral_constantIbLb1EES15_IbLb0EEEEDaS11_S12_EUlS11_E_NS1_11comp_targetILNS1_3genE0ELNS1_11target_archE4294967295ELNS1_3gpuE0ELNS1_3repE0EEENS1_30default_config_static_selectorELNS0_4arch9wavefront6targetE0EEEvT1_,"axG",@progbits,_ZN7rocprim17ROCPRIM_400000_NS6detail17trampoline_kernelINS0_14default_configENS1_29reduce_by_key_config_selectorIjyN6thrust23THRUST_200600_302600_NS4plusIyEEEEZZNS1_33reduce_by_key_impl_wrapped_configILNS1_25lookback_scan_determinismE0ES3_S9_NS6_6detail15normal_iteratorINS6_10device_ptrIjEEEENSD_INSE_IyEEEENS6_16discard_iteratorINS6_11use_defaultEEESI_PmS8_NS6_8equal_toIjEEEE10hipError_tPvRmT2_T3_mT4_T5_T6_T7_T8_P12ihipStream_tbENKUlT_T0_E_clISt17integral_constantIbLb1EES15_IbLb0EEEEDaS11_S12_EUlS11_E_NS1_11comp_targetILNS1_3genE0ELNS1_11target_archE4294967295ELNS1_3gpuE0ELNS1_3repE0EEENS1_30default_config_static_selectorELNS0_4arch9wavefront6targetE0EEEvT1_,comdat
.Lfunc_end895:
	.size	_ZN7rocprim17ROCPRIM_400000_NS6detail17trampoline_kernelINS0_14default_configENS1_29reduce_by_key_config_selectorIjyN6thrust23THRUST_200600_302600_NS4plusIyEEEEZZNS1_33reduce_by_key_impl_wrapped_configILNS1_25lookback_scan_determinismE0ES3_S9_NS6_6detail15normal_iteratorINS6_10device_ptrIjEEEENSD_INSE_IyEEEENS6_16discard_iteratorINS6_11use_defaultEEESI_PmS8_NS6_8equal_toIjEEEE10hipError_tPvRmT2_T3_mT4_T5_T6_T7_T8_P12ihipStream_tbENKUlT_T0_E_clISt17integral_constantIbLb1EES15_IbLb0EEEEDaS11_S12_EUlS11_E_NS1_11comp_targetILNS1_3genE0ELNS1_11target_archE4294967295ELNS1_3gpuE0ELNS1_3repE0EEENS1_30default_config_static_selectorELNS0_4arch9wavefront6targetE0EEEvT1_, .Lfunc_end895-_ZN7rocprim17ROCPRIM_400000_NS6detail17trampoline_kernelINS0_14default_configENS1_29reduce_by_key_config_selectorIjyN6thrust23THRUST_200600_302600_NS4plusIyEEEEZZNS1_33reduce_by_key_impl_wrapped_configILNS1_25lookback_scan_determinismE0ES3_S9_NS6_6detail15normal_iteratorINS6_10device_ptrIjEEEENSD_INSE_IyEEEENS6_16discard_iteratorINS6_11use_defaultEEESI_PmS8_NS6_8equal_toIjEEEE10hipError_tPvRmT2_T3_mT4_T5_T6_T7_T8_P12ihipStream_tbENKUlT_T0_E_clISt17integral_constantIbLb1EES15_IbLb0EEEEDaS11_S12_EUlS11_E_NS1_11comp_targetILNS1_3genE0ELNS1_11target_archE4294967295ELNS1_3gpuE0ELNS1_3repE0EEENS1_30default_config_static_selectorELNS0_4arch9wavefront6targetE0EEEvT1_
                                        ; -- End function
	.section	.AMDGPU.csdata,"",@progbits
; Kernel info:
; codeLenInByte = 0
; NumSgprs: 0
; NumVgprs: 0
; ScratchSize: 0
; MemoryBound: 0
; FloatMode: 240
; IeeeMode: 1
; LDSByteSize: 0 bytes/workgroup (compile time only)
; SGPRBlocks: 0
; VGPRBlocks: 0
; NumSGPRsForWavesPerEU: 1
; NumVGPRsForWavesPerEU: 1
; Occupancy: 16
; WaveLimiterHint : 0
; COMPUTE_PGM_RSRC2:SCRATCH_EN: 0
; COMPUTE_PGM_RSRC2:USER_SGPR: 15
; COMPUTE_PGM_RSRC2:TRAP_HANDLER: 0
; COMPUTE_PGM_RSRC2:TGID_X_EN: 1
; COMPUTE_PGM_RSRC2:TGID_Y_EN: 0
; COMPUTE_PGM_RSRC2:TGID_Z_EN: 0
; COMPUTE_PGM_RSRC2:TIDIG_COMP_CNT: 0
	.section	.text._ZN7rocprim17ROCPRIM_400000_NS6detail17trampoline_kernelINS0_14default_configENS1_29reduce_by_key_config_selectorIjyN6thrust23THRUST_200600_302600_NS4plusIyEEEEZZNS1_33reduce_by_key_impl_wrapped_configILNS1_25lookback_scan_determinismE0ES3_S9_NS6_6detail15normal_iteratorINS6_10device_ptrIjEEEENSD_INSE_IyEEEENS6_16discard_iteratorINS6_11use_defaultEEESI_PmS8_NS6_8equal_toIjEEEE10hipError_tPvRmT2_T3_mT4_T5_T6_T7_T8_P12ihipStream_tbENKUlT_T0_E_clISt17integral_constantIbLb1EES15_IbLb0EEEEDaS11_S12_EUlS11_E_NS1_11comp_targetILNS1_3genE5ELNS1_11target_archE942ELNS1_3gpuE9ELNS1_3repE0EEENS1_30default_config_static_selectorELNS0_4arch9wavefront6targetE0EEEvT1_,"axG",@progbits,_ZN7rocprim17ROCPRIM_400000_NS6detail17trampoline_kernelINS0_14default_configENS1_29reduce_by_key_config_selectorIjyN6thrust23THRUST_200600_302600_NS4plusIyEEEEZZNS1_33reduce_by_key_impl_wrapped_configILNS1_25lookback_scan_determinismE0ES3_S9_NS6_6detail15normal_iteratorINS6_10device_ptrIjEEEENSD_INSE_IyEEEENS6_16discard_iteratorINS6_11use_defaultEEESI_PmS8_NS6_8equal_toIjEEEE10hipError_tPvRmT2_T3_mT4_T5_T6_T7_T8_P12ihipStream_tbENKUlT_T0_E_clISt17integral_constantIbLb1EES15_IbLb0EEEEDaS11_S12_EUlS11_E_NS1_11comp_targetILNS1_3genE5ELNS1_11target_archE942ELNS1_3gpuE9ELNS1_3repE0EEENS1_30default_config_static_selectorELNS0_4arch9wavefront6targetE0EEEvT1_,comdat
	.protected	_ZN7rocprim17ROCPRIM_400000_NS6detail17trampoline_kernelINS0_14default_configENS1_29reduce_by_key_config_selectorIjyN6thrust23THRUST_200600_302600_NS4plusIyEEEEZZNS1_33reduce_by_key_impl_wrapped_configILNS1_25lookback_scan_determinismE0ES3_S9_NS6_6detail15normal_iteratorINS6_10device_ptrIjEEEENSD_INSE_IyEEEENS6_16discard_iteratorINS6_11use_defaultEEESI_PmS8_NS6_8equal_toIjEEEE10hipError_tPvRmT2_T3_mT4_T5_T6_T7_T8_P12ihipStream_tbENKUlT_T0_E_clISt17integral_constantIbLb1EES15_IbLb0EEEEDaS11_S12_EUlS11_E_NS1_11comp_targetILNS1_3genE5ELNS1_11target_archE942ELNS1_3gpuE9ELNS1_3repE0EEENS1_30default_config_static_selectorELNS0_4arch9wavefront6targetE0EEEvT1_ ; -- Begin function _ZN7rocprim17ROCPRIM_400000_NS6detail17trampoline_kernelINS0_14default_configENS1_29reduce_by_key_config_selectorIjyN6thrust23THRUST_200600_302600_NS4plusIyEEEEZZNS1_33reduce_by_key_impl_wrapped_configILNS1_25lookback_scan_determinismE0ES3_S9_NS6_6detail15normal_iteratorINS6_10device_ptrIjEEEENSD_INSE_IyEEEENS6_16discard_iteratorINS6_11use_defaultEEESI_PmS8_NS6_8equal_toIjEEEE10hipError_tPvRmT2_T3_mT4_T5_T6_T7_T8_P12ihipStream_tbENKUlT_T0_E_clISt17integral_constantIbLb1EES15_IbLb0EEEEDaS11_S12_EUlS11_E_NS1_11comp_targetILNS1_3genE5ELNS1_11target_archE942ELNS1_3gpuE9ELNS1_3repE0EEENS1_30default_config_static_selectorELNS0_4arch9wavefront6targetE0EEEvT1_
	.globl	_ZN7rocprim17ROCPRIM_400000_NS6detail17trampoline_kernelINS0_14default_configENS1_29reduce_by_key_config_selectorIjyN6thrust23THRUST_200600_302600_NS4plusIyEEEEZZNS1_33reduce_by_key_impl_wrapped_configILNS1_25lookback_scan_determinismE0ES3_S9_NS6_6detail15normal_iteratorINS6_10device_ptrIjEEEENSD_INSE_IyEEEENS6_16discard_iteratorINS6_11use_defaultEEESI_PmS8_NS6_8equal_toIjEEEE10hipError_tPvRmT2_T3_mT4_T5_T6_T7_T8_P12ihipStream_tbENKUlT_T0_E_clISt17integral_constantIbLb1EES15_IbLb0EEEEDaS11_S12_EUlS11_E_NS1_11comp_targetILNS1_3genE5ELNS1_11target_archE942ELNS1_3gpuE9ELNS1_3repE0EEENS1_30default_config_static_selectorELNS0_4arch9wavefront6targetE0EEEvT1_
	.p2align	8
	.type	_ZN7rocprim17ROCPRIM_400000_NS6detail17trampoline_kernelINS0_14default_configENS1_29reduce_by_key_config_selectorIjyN6thrust23THRUST_200600_302600_NS4plusIyEEEEZZNS1_33reduce_by_key_impl_wrapped_configILNS1_25lookback_scan_determinismE0ES3_S9_NS6_6detail15normal_iteratorINS6_10device_ptrIjEEEENSD_INSE_IyEEEENS6_16discard_iteratorINS6_11use_defaultEEESI_PmS8_NS6_8equal_toIjEEEE10hipError_tPvRmT2_T3_mT4_T5_T6_T7_T8_P12ihipStream_tbENKUlT_T0_E_clISt17integral_constantIbLb1EES15_IbLb0EEEEDaS11_S12_EUlS11_E_NS1_11comp_targetILNS1_3genE5ELNS1_11target_archE942ELNS1_3gpuE9ELNS1_3repE0EEENS1_30default_config_static_selectorELNS0_4arch9wavefront6targetE0EEEvT1_,@function
_ZN7rocprim17ROCPRIM_400000_NS6detail17trampoline_kernelINS0_14default_configENS1_29reduce_by_key_config_selectorIjyN6thrust23THRUST_200600_302600_NS4plusIyEEEEZZNS1_33reduce_by_key_impl_wrapped_configILNS1_25lookback_scan_determinismE0ES3_S9_NS6_6detail15normal_iteratorINS6_10device_ptrIjEEEENSD_INSE_IyEEEENS6_16discard_iteratorINS6_11use_defaultEEESI_PmS8_NS6_8equal_toIjEEEE10hipError_tPvRmT2_T3_mT4_T5_T6_T7_T8_P12ihipStream_tbENKUlT_T0_E_clISt17integral_constantIbLb1EES15_IbLb0EEEEDaS11_S12_EUlS11_E_NS1_11comp_targetILNS1_3genE5ELNS1_11target_archE942ELNS1_3gpuE9ELNS1_3repE0EEENS1_30default_config_static_selectorELNS0_4arch9wavefront6targetE0EEEvT1_: ; @_ZN7rocprim17ROCPRIM_400000_NS6detail17trampoline_kernelINS0_14default_configENS1_29reduce_by_key_config_selectorIjyN6thrust23THRUST_200600_302600_NS4plusIyEEEEZZNS1_33reduce_by_key_impl_wrapped_configILNS1_25lookback_scan_determinismE0ES3_S9_NS6_6detail15normal_iteratorINS6_10device_ptrIjEEEENSD_INSE_IyEEEENS6_16discard_iteratorINS6_11use_defaultEEESI_PmS8_NS6_8equal_toIjEEEE10hipError_tPvRmT2_T3_mT4_T5_T6_T7_T8_P12ihipStream_tbENKUlT_T0_E_clISt17integral_constantIbLb1EES15_IbLb0EEEEDaS11_S12_EUlS11_E_NS1_11comp_targetILNS1_3genE5ELNS1_11target_archE942ELNS1_3gpuE9ELNS1_3repE0EEENS1_30default_config_static_selectorELNS0_4arch9wavefront6targetE0EEEvT1_
; %bb.0:
	.section	.rodata,"a",@progbits
	.p2align	6, 0x0
	.amdhsa_kernel _ZN7rocprim17ROCPRIM_400000_NS6detail17trampoline_kernelINS0_14default_configENS1_29reduce_by_key_config_selectorIjyN6thrust23THRUST_200600_302600_NS4plusIyEEEEZZNS1_33reduce_by_key_impl_wrapped_configILNS1_25lookback_scan_determinismE0ES3_S9_NS6_6detail15normal_iteratorINS6_10device_ptrIjEEEENSD_INSE_IyEEEENS6_16discard_iteratorINS6_11use_defaultEEESI_PmS8_NS6_8equal_toIjEEEE10hipError_tPvRmT2_T3_mT4_T5_T6_T7_T8_P12ihipStream_tbENKUlT_T0_E_clISt17integral_constantIbLb1EES15_IbLb0EEEEDaS11_S12_EUlS11_E_NS1_11comp_targetILNS1_3genE5ELNS1_11target_archE942ELNS1_3gpuE9ELNS1_3repE0EEENS1_30default_config_static_selectorELNS0_4arch9wavefront6targetE0EEEvT1_
		.amdhsa_group_segment_fixed_size 0
		.amdhsa_private_segment_fixed_size 0
		.amdhsa_kernarg_size 144
		.amdhsa_user_sgpr_count 15
		.amdhsa_user_sgpr_dispatch_ptr 0
		.amdhsa_user_sgpr_queue_ptr 0
		.amdhsa_user_sgpr_kernarg_segment_ptr 1
		.amdhsa_user_sgpr_dispatch_id 0
		.amdhsa_user_sgpr_private_segment_size 0
		.amdhsa_wavefront_size32 1
		.amdhsa_uses_dynamic_stack 0
		.amdhsa_enable_private_segment 0
		.amdhsa_system_sgpr_workgroup_id_x 1
		.amdhsa_system_sgpr_workgroup_id_y 0
		.amdhsa_system_sgpr_workgroup_id_z 0
		.amdhsa_system_sgpr_workgroup_info 0
		.amdhsa_system_vgpr_workitem_id 0
		.amdhsa_next_free_vgpr 1
		.amdhsa_next_free_sgpr 1
		.amdhsa_reserve_vcc 0
		.amdhsa_float_round_mode_32 0
		.amdhsa_float_round_mode_16_64 0
		.amdhsa_float_denorm_mode_32 3
		.amdhsa_float_denorm_mode_16_64 3
		.amdhsa_dx10_clamp 1
		.amdhsa_ieee_mode 1
		.amdhsa_fp16_overflow 0
		.amdhsa_workgroup_processor_mode 1
		.amdhsa_memory_ordered 1
		.amdhsa_forward_progress 0
		.amdhsa_shared_vgpr_count 0
		.amdhsa_exception_fp_ieee_invalid_op 0
		.amdhsa_exception_fp_denorm_src 0
		.amdhsa_exception_fp_ieee_div_zero 0
		.amdhsa_exception_fp_ieee_overflow 0
		.amdhsa_exception_fp_ieee_underflow 0
		.amdhsa_exception_fp_ieee_inexact 0
		.amdhsa_exception_int_div_zero 0
	.end_amdhsa_kernel
	.section	.text._ZN7rocprim17ROCPRIM_400000_NS6detail17trampoline_kernelINS0_14default_configENS1_29reduce_by_key_config_selectorIjyN6thrust23THRUST_200600_302600_NS4plusIyEEEEZZNS1_33reduce_by_key_impl_wrapped_configILNS1_25lookback_scan_determinismE0ES3_S9_NS6_6detail15normal_iteratorINS6_10device_ptrIjEEEENSD_INSE_IyEEEENS6_16discard_iteratorINS6_11use_defaultEEESI_PmS8_NS6_8equal_toIjEEEE10hipError_tPvRmT2_T3_mT4_T5_T6_T7_T8_P12ihipStream_tbENKUlT_T0_E_clISt17integral_constantIbLb1EES15_IbLb0EEEEDaS11_S12_EUlS11_E_NS1_11comp_targetILNS1_3genE5ELNS1_11target_archE942ELNS1_3gpuE9ELNS1_3repE0EEENS1_30default_config_static_selectorELNS0_4arch9wavefront6targetE0EEEvT1_,"axG",@progbits,_ZN7rocprim17ROCPRIM_400000_NS6detail17trampoline_kernelINS0_14default_configENS1_29reduce_by_key_config_selectorIjyN6thrust23THRUST_200600_302600_NS4plusIyEEEEZZNS1_33reduce_by_key_impl_wrapped_configILNS1_25lookback_scan_determinismE0ES3_S9_NS6_6detail15normal_iteratorINS6_10device_ptrIjEEEENSD_INSE_IyEEEENS6_16discard_iteratorINS6_11use_defaultEEESI_PmS8_NS6_8equal_toIjEEEE10hipError_tPvRmT2_T3_mT4_T5_T6_T7_T8_P12ihipStream_tbENKUlT_T0_E_clISt17integral_constantIbLb1EES15_IbLb0EEEEDaS11_S12_EUlS11_E_NS1_11comp_targetILNS1_3genE5ELNS1_11target_archE942ELNS1_3gpuE9ELNS1_3repE0EEENS1_30default_config_static_selectorELNS0_4arch9wavefront6targetE0EEEvT1_,comdat
.Lfunc_end896:
	.size	_ZN7rocprim17ROCPRIM_400000_NS6detail17trampoline_kernelINS0_14default_configENS1_29reduce_by_key_config_selectorIjyN6thrust23THRUST_200600_302600_NS4plusIyEEEEZZNS1_33reduce_by_key_impl_wrapped_configILNS1_25lookback_scan_determinismE0ES3_S9_NS6_6detail15normal_iteratorINS6_10device_ptrIjEEEENSD_INSE_IyEEEENS6_16discard_iteratorINS6_11use_defaultEEESI_PmS8_NS6_8equal_toIjEEEE10hipError_tPvRmT2_T3_mT4_T5_T6_T7_T8_P12ihipStream_tbENKUlT_T0_E_clISt17integral_constantIbLb1EES15_IbLb0EEEEDaS11_S12_EUlS11_E_NS1_11comp_targetILNS1_3genE5ELNS1_11target_archE942ELNS1_3gpuE9ELNS1_3repE0EEENS1_30default_config_static_selectorELNS0_4arch9wavefront6targetE0EEEvT1_, .Lfunc_end896-_ZN7rocprim17ROCPRIM_400000_NS6detail17trampoline_kernelINS0_14default_configENS1_29reduce_by_key_config_selectorIjyN6thrust23THRUST_200600_302600_NS4plusIyEEEEZZNS1_33reduce_by_key_impl_wrapped_configILNS1_25lookback_scan_determinismE0ES3_S9_NS6_6detail15normal_iteratorINS6_10device_ptrIjEEEENSD_INSE_IyEEEENS6_16discard_iteratorINS6_11use_defaultEEESI_PmS8_NS6_8equal_toIjEEEE10hipError_tPvRmT2_T3_mT4_T5_T6_T7_T8_P12ihipStream_tbENKUlT_T0_E_clISt17integral_constantIbLb1EES15_IbLb0EEEEDaS11_S12_EUlS11_E_NS1_11comp_targetILNS1_3genE5ELNS1_11target_archE942ELNS1_3gpuE9ELNS1_3repE0EEENS1_30default_config_static_selectorELNS0_4arch9wavefront6targetE0EEEvT1_
                                        ; -- End function
	.section	.AMDGPU.csdata,"",@progbits
; Kernel info:
; codeLenInByte = 0
; NumSgprs: 0
; NumVgprs: 0
; ScratchSize: 0
; MemoryBound: 0
; FloatMode: 240
; IeeeMode: 1
; LDSByteSize: 0 bytes/workgroup (compile time only)
; SGPRBlocks: 0
; VGPRBlocks: 0
; NumSGPRsForWavesPerEU: 1
; NumVGPRsForWavesPerEU: 1
; Occupancy: 16
; WaveLimiterHint : 0
; COMPUTE_PGM_RSRC2:SCRATCH_EN: 0
; COMPUTE_PGM_RSRC2:USER_SGPR: 15
; COMPUTE_PGM_RSRC2:TRAP_HANDLER: 0
; COMPUTE_PGM_RSRC2:TGID_X_EN: 1
; COMPUTE_PGM_RSRC2:TGID_Y_EN: 0
; COMPUTE_PGM_RSRC2:TGID_Z_EN: 0
; COMPUTE_PGM_RSRC2:TIDIG_COMP_CNT: 0
	.section	.text._ZN7rocprim17ROCPRIM_400000_NS6detail17trampoline_kernelINS0_14default_configENS1_29reduce_by_key_config_selectorIjyN6thrust23THRUST_200600_302600_NS4plusIyEEEEZZNS1_33reduce_by_key_impl_wrapped_configILNS1_25lookback_scan_determinismE0ES3_S9_NS6_6detail15normal_iteratorINS6_10device_ptrIjEEEENSD_INSE_IyEEEENS6_16discard_iteratorINS6_11use_defaultEEESI_PmS8_NS6_8equal_toIjEEEE10hipError_tPvRmT2_T3_mT4_T5_T6_T7_T8_P12ihipStream_tbENKUlT_T0_E_clISt17integral_constantIbLb1EES15_IbLb0EEEEDaS11_S12_EUlS11_E_NS1_11comp_targetILNS1_3genE4ELNS1_11target_archE910ELNS1_3gpuE8ELNS1_3repE0EEENS1_30default_config_static_selectorELNS0_4arch9wavefront6targetE0EEEvT1_,"axG",@progbits,_ZN7rocprim17ROCPRIM_400000_NS6detail17trampoline_kernelINS0_14default_configENS1_29reduce_by_key_config_selectorIjyN6thrust23THRUST_200600_302600_NS4plusIyEEEEZZNS1_33reduce_by_key_impl_wrapped_configILNS1_25lookback_scan_determinismE0ES3_S9_NS6_6detail15normal_iteratorINS6_10device_ptrIjEEEENSD_INSE_IyEEEENS6_16discard_iteratorINS6_11use_defaultEEESI_PmS8_NS6_8equal_toIjEEEE10hipError_tPvRmT2_T3_mT4_T5_T6_T7_T8_P12ihipStream_tbENKUlT_T0_E_clISt17integral_constantIbLb1EES15_IbLb0EEEEDaS11_S12_EUlS11_E_NS1_11comp_targetILNS1_3genE4ELNS1_11target_archE910ELNS1_3gpuE8ELNS1_3repE0EEENS1_30default_config_static_selectorELNS0_4arch9wavefront6targetE0EEEvT1_,comdat
	.protected	_ZN7rocprim17ROCPRIM_400000_NS6detail17trampoline_kernelINS0_14default_configENS1_29reduce_by_key_config_selectorIjyN6thrust23THRUST_200600_302600_NS4plusIyEEEEZZNS1_33reduce_by_key_impl_wrapped_configILNS1_25lookback_scan_determinismE0ES3_S9_NS6_6detail15normal_iteratorINS6_10device_ptrIjEEEENSD_INSE_IyEEEENS6_16discard_iteratorINS6_11use_defaultEEESI_PmS8_NS6_8equal_toIjEEEE10hipError_tPvRmT2_T3_mT4_T5_T6_T7_T8_P12ihipStream_tbENKUlT_T0_E_clISt17integral_constantIbLb1EES15_IbLb0EEEEDaS11_S12_EUlS11_E_NS1_11comp_targetILNS1_3genE4ELNS1_11target_archE910ELNS1_3gpuE8ELNS1_3repE0EEENS1_30default_config_static_selectorELNS0_4arch9wavefront6targetE0EEEvT1_ ; -- Begin function _ZN7rocprim17ROCPRIM_400000_NS6detail17trampoline_kernelINS0_14default_configENS1_29reduce_by_key_config_selectorIjyN6thrust23THRUST_200600_302600_NS4plusIyEEEEZZNS1_33reduce_by_key_impl_wrapped_configILNS1_25lookback_scan_determinismE0ES3_S9_NS6_6detail15normal_iteratorINS6_10device_ptrIjEEEENSD_INSE_IyEEEENS6_16discard_iteratorINS6_11use_defaultEEESI_PmS8_NS6_8equal_toIjEEEE10hipError_tPvRmT2_T3_mT4_T5_T6_T7_T8_P12ihipStream_tbENKUlT_T0_E_clISt17integral_constantIbLb1EES15_IbLb0EEEEDaS11_S12_EUlS11_E_NS1_11comp_targetILNS1_3genE4ELNS1_11target_archE910ELNS1_3gpuE8ELNS1_3repE0EEENS1_30default_config_static_selectorELNS0_4arch9wavefront6targetE0EEEvT1_
	.globl	_ZN7rocprim17ROCPRIM_400000_NS6detail17trampoline_kernelINS0_14default_configENS1_29reduce_by_key_config_selectorIjyN6thrust23THRUST_200600_302600_NS4plusIyEEEEZZNS1_33reduce_by_key_impl_wrapped_configILNS1_25lookback_scan_determinismE0ES3_S9_NS6_6detail15normal_iteratorINS6_10device_ptrIjEEEENSD_INSE_IyEEEENS6_16discard_iteratorINS6_11use_defaultEEESI_PmS8_NS6_8equal_toIjEEEE10hipError_tPvRmT2_T3_mT4_T5_T6_T7_T8_P12ihipStream_tbENKUlT_T0_E_clISt17integral_constantIbLb1EES15_IbLb0EEEEDaS11_S12_EUlS11_E_NS1_11comp_targetILNS1_3genE4ELNS1_11target_archE910ELNS1_3gpuE8ELNS1_3repE0EEENS1_30default_config_static_selectorELNS0_4arch9wavefront6targetE0EEEvT1_
	.p2align	8
	.type	_ZN7rocprim17ROCPRIM_400000_NS6detail17trampoline_kernelINS0_14default_configENS1_29reduce_by_key_config_selectorIjyN6thrust23THRUST_200600_302600_NS4plusIyEEEEZZNS1_33reduce_by_key_impl_wrapped_configILNS1_25lookback_scan_determinismE0ES3_S9_NS6_6detail15normal_iteratorINS6_10device_ptrIjEEEENSD_INSE_IyEEEENS6_16discard_iteratorINS6_11use_defaultEEESI_PmS8_NS6_8equal_toIjEEEE10hipError_tPvRmT2_T3_mT4_T5_T6_T7_T8_P12ihipStream_tbENKUlT_T0_E_clISt17integral_constantIbLb1EES15_IbLb0EEEEDaS11_S12_EUlS11_E_NS1_11comp_targetILNS1_3genE4ELNS1_11target_archE910ELNS1_3gpuE8ELNS1_3repE0EEENS1_30default_config_static_selectorELNS0_4arch9wavefront6targetE0EEEvT1_,@function
_ZN7rocprim17ROCPRIM_400000_NS6detail17trampoline_kernelINS0_14default_configENS1_29reduce_by_key_config_selectorIjyN6thrust23THRUST_200600_302600_NS4plusIyEEEEZZNS1_33reduce_by_key_impl_wrapped_configILNS1_25lookback_scan_determinismE0ES3_S9_NS6_6detail15normal_iteratorINS6_10device_ptrIjEEEENSD_INSE_IyEEEENS6_16discard_iteratorINS6_11use_defaultEEESI_PmS8_NS6_8equal_toIjEEEE10hipError_tPvRmT2_T3_mT4_T5_T6_T7_T8_P12ihipStream_tbENKUlT_T0_E_clISt17integral_constantIbLb1EES15_IbLb0EEEEDaS11_S12_EUlS11_E_NS1_11comp_targetILNS1_3genE4ELNS1_11target_archE910ELNS1_3gpuE8ELNS1_3repE0EEENS1_30default_config_static_selectorELNS0_4arch9wavefront6targetE0EEEvT1_: ; @_ZN7rocprim17ROCPRIM_400000_NS6detail17trampoline_kernelINS0_14default_configENS1_29reduce_by_key_config_selectorIjyN6thrust23THRUST_200600_302600_NS4plusIyEEEEZZNS1_33reduce_by_key_impl_wrapped_configILNS1_25lookback_scan_determinismE0ES3_S9_NS6_6detail15normal_iteratorINS6_10device_ptrIjEEEENSD_INSE_IyEEEENS6_16discard_iteratorINS6_11use_defaultEEESI_PmS8_NS6_8equal_toIjEEEE10hipError_tPvRmT2_T3_mT4_T5_T6_T7_T8_P12ihipStream_tbENKUlT_T0_E_clISt17integral_constantIbLb1EES15_IbLb0EEEEDaS11_S12_EUlS11_E_NS1_11comp_targetILNS1_3genE4ELNS1_11target_archE910ELNS1_3gpuE8ELNS1_3repE0EEENS1_30default_config_static_selectorELNS0_4arch9wavefront6targetE0EEEvT1_
; %bb.0:
	.section	.rodata,"a",@progbits
	.p2align	6, 0x0
	.amdhsa_kernel _ZN7rocprim17ROCPRIM_400000_NS6detail17trampoline_kernelINS0_14default_configENS1_29reduce_by_key_config_selectorIjyN6thrust23THRUST_200600_302600_NS4plusIyEEEEZZNS1_33reduce_by_key_impl_wrapped_configILNS1_25lookback_scan_determinismE0ES3_S9_NS6_6detail15normal_iteratorINS6_10device_ptrIjEEEENSD_INSE_IyEEEENS6_16discard_iteratorINS6_11use_defaultEEESI_PmS8_NS6_8equal_toIjEEEE10hipError_tPvRmT2_T3_mT4_T5_T6_T7_T8_P12ihipStream_tbENKUlT_T0_E_clISt17integral_constantIbLb1EES15_IbLb0EEEEDaS11_S12_EUlS11_E_NS1_11comp_targetILNS1_3genE4ELNS1_11target_archE910ELNS1_3gpuE8ELNS1_3repE0EEENS1_30default_config_static_selectorELNS0_4arch9wavefront6targetE0EEEvT1_
		.amdhsa_group_segment_fixed_size 0
		.amdhsa_private_segment_fixed_size 0
		.amdhsa_kernarg_size 144
		.amdhsa_user_sgpr_count 15
		.amdhsa_user_sgpr_dispatch_ptr 0
		.amdhsa_user_sgpr_queue_ptr 0
		.amdhsa_user_sgpr_kernarg_segment_ptr 1
		.amdhsa_user_sgpr_dispatch_id 0
		.amdhsa_user_sgpr_private_segment_size 0
		.amdhsa_wavefront_size32 1
		.amdhsa_uses_dynamic_stack 0
		.amdhsa_enable_private_segment 0
		.amdhsa_system_sgpr_workgroup_id_x 1
		.amdhsa_system_sgpr_workgroup_id_y 0
		.amdhsa_system_sgpr_workgroup_id_z 0
		.amdhsa_system_sgpr_workgroup_info 0
		.amdhsa_system_vgpr_workitem_id 0
		.amdhsa_next_free_vgpr 1
		.amdhsa_next_free_sgpr 1
		.amdhsa_reserve_vcc 0
		.amdhsa_float_round_mode_32 0
		.amdhsa_float_round_mode_16_64 0
		.amdhsa_float_denorm_mode_32 3
		.amdhsa_float_denorm_mode_16_64 3
		.amdhsa_dx10_clamp 1
		.amdhsa_ieee_mode 1
		.amdhsa_fp16_overflow 0
		.amdhsa_workgroup_processor_mode 1
		.amdhsa_memory_ordered 1
		.amdhsa_forward_progress 0
		.amdhsa_shared_vgpr_count 0
		.amdhsa_exception_fp_ieee_invalid_op 0
		.amdhsa_exception_fp_denorm_src 0
		.amdhsa_exception_fp_ieee_div_zero 0
		.amdhsa_exception_fp_ieee_overflow 0
		.amdhsa_exception_fp_ieee_underflow 0
		.amdhsa_exception_fp_ieee_inexact 0
		.amdhsa_exception_int_div_zero 0
	.end_amdhsa_kernel
	.section	.text._ZN7rocprim17ROCPRIM_400000_NS6detail17trampoline_kernelINS0_14default_configENS1_29reduce_by_key_config_selectorIjyN6thrust23THRUST_200600_302600_NS4plusIyEEEEZZNS1_33reduce_by_key_impl_wrapped_configILNS1_25lookback_scan_determinismE0ES3_S9_NS6_6detail15normal_iteratorINS6_10device_ptrIjEEEENSD_INSE_IyEEEENS6_16discard_iteratorINS6_11use_defaultEEESI_PmS8_NS6_8equal_toIjEEEE10hipError_tPvRmT2_T3_mT4_T5_T6_T7_T8_P12ihipStream_tbENKUlT_T0_E_clISt17integral_constantIbLb1EES15_IbLb0EEEEDaS11_S12_EUlS11_E_NS1_11comp_targetILNS1_3genE4ELNS1_11target_archE910ELNS1_3gpuE8ELNS1_3repE0EEENS1_30default_config_static_selectorELNS0_4arch9wavefront6targetE0EEEvT1_,"axG",@progbits,_ZN7rocprim17ROCPRIM_400000_NS6detail17trampoline_kernelINS0_14default_configENS1_29reduce_by_key_config_selectorIjyN6thrust23THRUST_200600_302600_NS4plusIyEEEEZZNS1_33reduce_by_key_impl_wrapped_configILNS1_25lookback_scan_determinismE0ES3_S9_NS6_6detail15normal_iteratorINS6_10device_ptrIjEEEENSD_INSE_IyEEEENS6_16discard_iteratorINS6_11use_defaultEEESI_PmS8_NS6_8equal_toIjEEEE10hipError_tPvRmT2_T3_mT4_T5_T6_T7_T8_P12ihipStream_tbENKUlT_T0_E_clISt17integral_constantIbLb1EES15_IbLb0EEEEDaS11_S12_EUlS11_E_NS1_11comp_targetILNS1_3genE4ELNS1_11target_archE910ELNS1_3gpuE8ELNS1_3repE0EEENS1_30default_config_static_selectorELNS0_4arch9wavefront6targetE0EEEvT1_,comdat
.Lfunc_end897:
	.size	_ZN7rocprim17ROCPRIM_400000_NS6detail17trampoline_kernelINS0_14default_configENS1_29reduce_by_key_config_selectorIjyN6thrust23THRUST_200600_302600_NS4plusIyEEEEZZNS1_33reduce_by_key_impl_wrapped_configILNS1_25lookback_scan_determinismE0ES3_S9_NS6_6detail15normal_iteratorINS6_10device_ptrIjEEEENSD_INSE_IyEEEENS6_16discard_iteratorINS6_11use_defaultEEESI_PmS8_NS6_8equal_toIjEEEE10hipError_tPvRmT2_T3_mT4_T5_T6_T7_T8_P12ihipStream_tbENKUlT_T0_E_clISt17integral_constantIbLb1EES15_IbLb0EEEEDaS11_S12_EUlS11_E_NS1_11comp_targetILNS1_3genE4ELNS1_11target_archE910ELNS1_3gpuE8ELNS1_3repE0EEENS1_30default_config_static_selectorELNS0_4arch9wavefront6targetE0EEEvT1_, .Lfunc_end897-_ZN7rocprim17ROCPRIM_400000_NS6detail17trampoline_kernelINS0_14default_configENS1_29reduce_by_key_config_selectorIjyN6thrust23THRUST_200600_302600_NS4plusIyEEEEZZNS1_33reduce_by_key_impl_wrapped_configILNS1_25lookback_scan_determinismE0ES3_S9_NS6_6detail15normal_iteratorINS6_10device_ptrIjEEEENSD_INSE_IyEEEENS6_16discard_iteratorINS6_11use_defaultEEESI_PmS8_NS6_8equal_toIjEEEE10hipError_tPvRmT2_T3_mT4_T5_T6_T7_T8_P12ihipStream_tbENKUlT_T0_E_clISt17integral_constantIbLb1EES15_IbLb0EEEEDaS11_S12_EUlS11_E_NS1_11comp_targetILNS1_3genE4ELNS1_11target_archE910ELNS1_3gpuE8ELNS1_3repE0EEENS1_30default_config_static_selectorELNS0_4arch9wavefront6targetE0EEEvT1_
                                        ; -- End function
	.section	.AMDGPU.csdata,"",@progbits
; Kernel info:
; codeLenInByte = 0
; NumSgprs: 0
; NumVgprs: 0
; ScratchSize: 0
; MemoryBound: 0
; FloatMode: 240
; IeeeMode: 1
; LDSByteSize: 0 bytes/workgroup (compile time only)
; SGPRBlocks: 0
; VGPRBlocks: 0
; NumSGPRsForWavesPerEU: 1
; NumVGPRsForWavesPerEU: 1
; Occupancy: 16
; WaveLimiterHint : 0
; COMPUTE_PGM_RSRC2:SCRATCH_EN: 0
; COMPUTE_PGM_RSRC2:USER_SGPR: 15
; COMPUTE_PGM_RSRC2:TRAP_HANDLER: 0
; COMPUTE_PGM_RSRC2:TGID_X_EN: 1
; COMPUTE_PGM_RSRC2:TGID_Y_EN: 0
; COMPUTE_PGM_RSRC2:TGID_Z_EN: 0
; COMPUTE_PGM_RSRC2:TIDIG_COMP_CNT: 0
	.section	.text._ZN7rocprim17ROCPRIM_400000_NS6detail17trampoline_kernelINS0_14default_configENS1_29reduce_by_key_config_selectorIjyN6thrust23THRUST_200600_302600_NS4plusIyEEEEZZNS1_33reduce_by_key_impl_wrapped_configILNS1_25lookback_scan_determinismE0ES3_S9_NS6_6detail15normal_iteratorINS6_10device_ptrIjEEEENSD_INSE_IyEEEENS6_16discard_iteratorINS6_11use_defaultEEESI_PmS8_NS6_8equal_toIjEEEE10hipError_tPvRmT2_T3_mT4_T5_T6_T7_T8_P12ihipStream_tbENKUlT_T0_E_clISt17integral_constantIbLb1EES15_IbLb0EEEEDaS11_S12_EUlS11_E_NS1_11comp_targetILNS1_3genE3ELNS1_11target_archE908ELNS1_3gpuE7ELNS1_3repE0EEENS1_30default_config_static_selectorELNS0_4arch9wavefront6targetE0EEEvT1_,"axG",@progbits,_ZN7rocprim17ROCPRIM_400000_NS6detail17trampoline_kernelINS0_14default_configENS1_29reduce_by_key_config_selectorIjyN6thrust23THRUST_200600_302600_NS4plusIyEEEEZZNS1_33reduce_by_key_impl_wrapped_configILNS1_25lookback_scan_determinismE0ES3_S9_NS6_6detail15normal_iteratorINS6_10device_ptrIjEEEENSD_INSE_IyEEEENS6_16discard_iteratorINS6_11use_defaultEEESI_PmS8_NS6_8equal_toIjEEEE10hipError_tPvRmT2_T3_mT4_T5_T6_T7_T8_P12ihipStream_tbENKUlT_T0_E_clISt17integral_constantIbLb1EES15_IbLb0EEEEDaS11_S12_EUlS11_E_NS1_11comp_targetILNS1_3genE3ELNS1_11target_archE908ELNS1_3gpuE7ELNS1_3repE0EEENS1_30default_config_static_selectorELNS0_4arch9wavefront6targetE0EEEvT1_,comdat
	.protected	_ZN7rocprim17ROCPRIM_400000_NS6detail17trampoline_kernelINS0_14default_configENS1_29reduce_by_key_config_selectorIjyN6thrust23THRUST_200600_302600_NS4plusIyEEEEZZNS1_33reduce_by_key_impl_wrapped_configILNS1_25lookback_scan_determinismE0ES3_S9_NS6_6detail15normal_iteratorINS6_10device_ptrIjEEEENSD_INSE_IyEEEENS6_16discard_iteratorINS6_11use_defaultEEESI_PmS8_NS6_8equal_toIjEEEE10hipError_tPvRmT2_T3_mT4_T5_T6_T7_T8_P12ihipStream_tbENKUlT_T0_E_clISt17integral_constantIbLb1EES15_IbLb0EEEEDaS11_S12_EUlS11_E_NS1_11comp_targetILNS1_3genE3ELNS1_11target_archE908ELNS1_3gpuE7ELNS1_3repE0EEENS1_30default_config_static_selectorELNS0_4arch9wavefront6targetE0EEEvT1_ ; -- Begin function _ZN7rocprim17ROCPRIM_400000_NS6detail17trampoline_kernelINS0_14default_configENS1_29reduce_by_key_config_selectorIjyN6thrust23THRUST_200600_302600_NS4plusIyEEEEZZNS1_33reduce_by_key_impl_wrapped_configILNS1_25lookback_scan_determinismE0ES3_S9_NS6_6detail15normal_iteratorINS6_10device_ptrIjEEEENSD_INSE_IyEEEENS6_16discard_iteratorINS6_11use_defaultEEESI_PmS8_NS6_8equal_toIjEEEE10hipError_tPvRmT2_T3_mT4_T5_T6_T7_T8_P12ihipStream_tbENKUlT_T0_E_clISt17integral_constantIbLb1EES15_IbLb0EEEEDaS11_S12_EUlS11_E_NS1_11comp_targetILNS1_3genE3ELNS1_11target_archE908ELNS1_3gpuE7ELNS1_3repE0EEENS1_30default_config_static_selectorELNS0_4arch9wavefront6targetE0EEEvT1_
	.globl	_ZN7rocprim17ROCPRIM_400000_NS6detail17trampoline_kernelINS0_14default_configENS1_29reduce_by_key_config_selectorIjyN6thrust23THRUST_200600_302600_NS4plusIyEEEEZZNS1_33reduce_by_key_impl_wrapped_configILNS1_25lookback_scan_determinismE0ES3_S9_NS6_6detail15normal_iteratorINS6_10device_ptrIjEEEENSD_INSE_IyEEEENS6_16discard_iteratorINS6_11use_defaultEEESI_PmS8_NS6_8equal_toIjEEEE10hipError_tPvRmT2_T3_mT4_T5_T6_T7_T8_P12ihipStream_tbENKUlT_T0_E_clISt17integral_constantIbLb1EES15_IbLb0EEEEDaS11_S12_EUlS11_E_NS1_11comp_targetILNS1_3genE3ELNS1_11target_archE908ELNS1_3gpuE7ELNS1_3repE0EEENS1_30default_config_static_selectorELNS0_4arch9wavefront6targetE0EEEvT1_
	.p2align	8
	.type	_ZN7rocprim17ROCPRIM_400000_NS6detail17trampoline_kernelINS0_14default_configENS1_29reduce_by_key_config_selectorIjyN6thrust23THRUST_200600_302600_NS4plusIyEEEEZZNS1_33reduce_by_key_impl_wrapped_configILNS1_25lookback_scan_determinismE0ES3_S9_NS6_6detail15normal_iteratorINS6_10device_ptrIjEEEENSD_INSE_IyEEEENS6_16discard_iteratorINS6_11use_defaultEEESI_PmS8_NS6_8equal_toIjEEEE10hipError_tPvRmT2_T3_mT4_T5_T6_T7_T8_P12ihipStream_tbENKUlT_T0_E_clISt17integral_constantIbLb1EES15_IbLb0EEEEDaS11_S12_EUlS11_E_NS1_11comp_targetILNS1_3genE3ELNS1_11target_archE908ELNS1_3gpuE7ELNS1_3repE0EEENS1_30default_config_static_selectorELNS0_4arch9wavefront6targetE0EEEvT1_,@function
_ZN7rocprim17ROCPRIM_400000_NS6detail17trampoline_kernelINS0_14default_configENS1_29reduce_by_key_config_selectorIjyN6thrust23THRUST_200600_302600_NS4plusIyEEEEZZNS1_33reduce_by_key_impl_wrapped_configILNS1_25lookback_scan_determinismE0ES3_S9_NS6_6detail15normal_iteratorINS6_10device_ptrIjEEEENSD_INSE_IyEEEENS6_16discard_iteratorINS6_11use_defaultEEESI_PmS8_NS6_8equal_toIjEEEE10hipError_tPvRmT2_T3_mT4_T5_T6_T7_T8_P12ihipStream_tbENKUlT_T0_E_clISt17integral_constantIbLb1EES15_IbLb0EEEEDaS11_S12_EUlS11_E_NS1_11comp_targetILNS1_3genE3ELNS1_11target_archE908ELNS1_3gpuE7ELNS1_3repE0EEENS1_30default_config_static_selectorELNS0_4arch9wavefront6targetE0EEEvT1_: ; @_ZN7rocprim17ROCPRIM_400000_NS6detail17trampoline_kernelINS0_14default_configENS1_29reduce_by_key_config_selectorIjyN6thrust23THRUST_200600_302600_NS4plusIyEEEEZZNS1_33reduce_by_key_impl_wrapped_configILNS1_25lookback_scan_determinismE0ES3_S9_NS6_6detail15normal_iteratorINS6_10device_ptrIjEEEENSD_INSE_IyEEEENS6_16discard_iteratorINS6_11use_defaultEEESI_PmS8_NS6_8equal_toIjEEEE10hipError_tPvRmT2_T3_mT4_T5_T6_T7_T8_P12ihipStream_tbENKUlT_T0_E_clISt17integral_constantIbLb1EES15_IbLb0EEEEDaS11_S12_EUlS11_E_NS1_11comp_targetILNS1_3genE3ELNS1_11target_archE908ELNS1_3gpuE7ELNS1_3repE0EEENS1_30default_config_static_selectorELNS0_4arch9wavefront6targetE0EEEvT1_
; %bb.0:
	.section	.rodata,"a",@progbits
	.p2align	6, 0x0
	.amdhsa_kernel _ZN7rocprim17ROCPRIM_400000_NS6detail17trampoline_kernelINS0_14default_configENS1_29reduce_by_key_config_selectorIjyN6thrust23THRUST_200600_302600_NS4plusIyEEEEZZNS1_33reduce_by_key_impl_wrapped_configILNS1_25lookback_scan_determinismE0ES3_S9_NS6_6detail15normal_iteratorINS6_10device_ptrIjEEEENSD_INSE_IyEEEENS6_16discard_iteratorINS6_11use_defaultEEESI_PmS8_NS6_8equal_toIjEEEE10hipError_tPvRmT2_T3_mT4_T5_T6_T7_T8_P12ihipStream_tbENKUlT_T0_E_clISt17integral_constantIbLb1EES15_IbLb0EEEEDaS11_S12_EUlS11_E_NS1_11comp_targetILNS1_3genE3ELNS1_11target_archE908ELNS1_3gpuE7ELNS1_3repE0EEENS1_30default_config_static_selectorELNS0_4arch9wavefront6targetE0EEEvT1_
		.amdhsa_group_segment_fixed_size 0
		.amdhsa_private_segment_fixed_size 0
		.amdhsa_kernarg_size 144
		.amdhsa_user_sgpr_count 15
		.amdhsa_user_sgpr_dispatch_ptr 0
		.amdhsa_user_sgpr_queue_ptr 0
		.amdhsa_user_sgpr_kernarg_segment_ptr 1
		.amdhsa_user_sgpr_dispatch_id 0
		.amdhsa_user_sgpr_private_segment_size 0
		.amdhsa_wavefront_size32 1
		.amdhsa_uses_dynamic_stack 0
		.amdhsa_enable_private_segment 0
		.amdhsa_system_sgpr_workgroup_id_x 1
		.amdhsa_system_sgpr_workgroup_id_y 0
		.amdhsa_system_sgpr_workgroup_id_z 0
		.amdhsa_system_sgpr_workgroup_info 0
		.amdhsa_system_vgpr_workitem_id 0
		.amdhsa_next_free_vgpr 1
		.amdhsa_next_free_sgpr 1
		.amdhsa_reserve_vcc 0
		.amdhsa_float_round_mode_32 0
		.amdhsa_float_round_mode_16_64 0
		.amdhsa_float_denorm_mode_32 3
		.amdhsa_float_denorm_mode_16_64 3
		.amdhsa_dx10_clamp 1
		.amdhsa_ieee_mode 1
		.amdhsa_fp16_overflow 0
		.amdhsa_workgroup_processor_mode 1
		.amdhsa_memory_ordered 1
		.amdhsa_forward_progress 0
		.amdhsa_shared_vgpr_count 0
		.amdhsa_exception_fp_ieee_invalid_op 0
		.amdhsa_exception_fp_denorm_src 0
		.amdhsa_exception_fp_ieee_div_zero 0
		.amdhsa_exception_fp_ieee_overflow 0
		.amdhsa_exception_fp_ieee_underflow 0
		.amdhsa_exception_fp_ieee_inexact 0
		.amdhsa_exception_int_div_zero 0
	.end_amdhsa_kernel
	.section	.text._ZN7rocprim17ROCPRIM_400000_NS6detail17trampoline_kernelINS0_14default_configENS1_29reduce_by_key_config_selectorIjyN6thrust23THRUST_200600_302600_NS4plusIyEEEEZZNS1_33reduce_by_key_impl_wrapped_configILNS1_25lookback_scan_determinismE0ES3_S9_NS6_6detail15normal_iteratorINS6_10device_ptrIjEEEENSD_INSE_IyEEEENS6_16discard_iteratorINS6_11use_defaultEEESI_PmS8_NS6_8equal_toIjEEEE10hipError_tPvRmT2_T3_mT4_T5_T6_T7_T8_P12ihipStream_tbENKUlT_T0_E_clISt17integral_constantIbLb1EES15_IbLb0EEEEDaS11_S12_EUlS11_E_NS1_11comp_targetILNS1_3genE3ELNS1_11target_archE908ELNS1_3gpuE7ELNS1_3repE0EEENS1_30default_config_static_selectorELNS0_4arch9wavefront6targetE0EEEvT1_,"axG",@progbits,_ZN7rocprim17ROCPRIM_400000_NS6detail17trampoline_kernelINS0_14default_configENS1_29reduce_by_key_config_selectorIjyN6thrust23THRUST_200600_302600_NS4plusIyEEEEZZNS1_33reduce_by_key_impl_wrapped_configILNS1_25lookback_scan_determinismE0ES3_S9_NS6_6detail15normal_iteratorINS6_10device_ptrIjEEEENSD_INSE_IyEEEENS6_16discard_iteratorINS6_11use_defaultEEESI_PmS8_NS6_8equal_toIjEEEE10hipError_tPvRmT2_T3_mT4_T5_T6_T7_T8_P12ihipStream_tbENKUlT_T0_E_clISt17integral_constantIbLb1EES15_IbLb0EEEEDaS11_S12_EUlS11_E_NS1_11comp_targetILNS1_3genE3ELNS1_11target_archE908ELNS1_3gpuE7ELNS1_3repE0EEENS1_30default_config_static_selectorELNS0_4arch9wavefront6targetE0EEEvT1_,comdat
.Lfunc_end898:
	.size	_ZN7rocprim17ROCPRIM_400000_NS6detail17trampoline_kernelINS0_14default_configENS1_29reduce_by_key_config_selectorIjyN6thrust23THRUST_200600_302600_NS4plusIyEEEEZZNS1_33reduce_by_key_impl_wrapped_configILNS1_25lookback_scan_determinismE0ES3_S9_NS6_6detail15normal_iteratorINS6_10device_ptrIjEEEENSD_INSE_IyEEEENS6_16discard_iteratorINS6_11use_defaultEEESI_PmS8_NS6_8equal_toIjEEEE10hipError_tPvRmT2_T3_mT4_T5_T6_T7_T8_P12ihipStream_tbENKUlT_T0_E_clISt17integral_constantIbLb1EES15_IbLb0EEEEDaS11_S12_EUlS11_E_NS1_11comp_targetILNS1_3genE3ELNS1_11target_archE908ELNS1_3gpuE7ELNS1_3repE0EEENS1_30default_config_static_selectorELNS0_4arch9wavefront6targetE0EEEvT1_, .Lfunc_end898-_ZN7rocprim17ROCPRIM_400000_NS6detail17trampoline_kernelINS0_14default_configENS1_29reduce_by_key_config_selectorIjyN6thrust23THRUST_200600_302600_NS4plusIyEEEEZZNS1_33reduce_by_key_impl_wrapped_configILNS1_25lookback_scan_determinismE0ES3_S9_NS6_6detail15normal_iteratorINS6_10device_ptrIjEEEENSD_INSE_IyEEEENS6_16discard_iteratorINS6_11use_defaultEEESI_PmS8_NS6_8equal_toIjEEEE10hipError_tPvRmT2_T3_mT4_T5_T6_T7_T8_P12ihipStream_tbENKUlT_T0_E_clISt17integral_constantIbLb1EES15_IbLb0EEEEDaS11_S12_EUlS11_E_NS1_11comp_targetILNS1_3genE3ELNS1_11target_archE908ELNS1_3gpuE7ELNS1_3repE0EEENS1_30default_config_static_selectorELNS0_4arch9wavefront6targetE0EEEvT1_
                                        ; -- End function
	.section	.AMDGPU.csdata,"",@progbits
; Kernel info:
; codeLenInByte = 0
; NumSgprs: 0
; NumVgprs: 0
; ScratchSize: 0
; MemoryBound: 0
; FloatMode: 240
; IeeeMode: 1
; LDSByteSize: 0 bytes/workgroup (compile time only)
; SGPRBlocks: 0
; VGPRBlocks: 0
; NumSGPRsForWavesPerEU: 1
; NumVGPRsForWavesPerEU: 1
; Occupancy: 16
; WaveLimiterHint : 0
; COMPUTE_PGM_RSRC2:SCRATCH_EN: 0
; COMPUTE_PGM_RSRC2:USER_SGPR: 15
; COMPUTE_PGM_RSRC2:TRAP_HANDLER: 0
; COMPUTE_PGM_RSRC2:TGID_X_EN: 1
; COMPUTE_PGM_RSRC2:TGID_Y_EN: 0
; COMPUTE_PGM_RSRC2:TGID_Z_EN: 0
; COMPUTE_PGM_RSRC2:TIDIG_COMP_CNT: 0
	.section	.text._ZN7rocprim17ROCPRIM_400000_NS6detail17trampoline_kernelINS0_14default_configENS1_29reduce_by_key_config_selectorIjyN6thrust23THRUST_200600_302600_NS4plusIyEEEEZZNS1_33reduce_by_key_impl_wrapped_configILNS1_25lookback_scan_determinismE0ES3_S9_NS6_6detail15normal_iteratorINS6_10device_ptrIjEEEENSD_INSE_IyEEEENS6_16discard_iteratorINS6_11use_defaultEEESI_PmS8_NS6_8equal_toIjEEEE10hipError_tPvRmT2_T3_mT4_T5_T6_T7_T8_P12ihipStream_tbENKUlT_T0_E_clISt17integral_constantIbLb1EES15_IbLb0EEEEDaS11_S12_EUlS11_E_NS1_11comp_targetILNS1_3genE2ELNS1_11target_archE906ELNS1_3gpuE6ELNS1_3repE0EEENS1_30default_config_static_selectorELNS0_4arch9wavefront6targetE0EEEvT1_,"axG",@progbits,_ZN7rocprim17ROCPRIM_400000_NS6detail17trampoline_kernelINS0_14default_configENS1_29reduce_by_key_config_selectorIjyN6thrust23THRUST_200600_302600_NS4plusIyEEEEZZNS1_33reduce_by_key_impl_wrapped_configILNS1_25lookback_scan_determinismE0ES3_S9_NS6_6detail15normal_iteratorINS6_10device_ptrIjEEEENSD_INSE_IyEEEENS6_16discard_iteratorINS6_11use_defaultEEESI_PmS8_NS6_8equal_toIjEEEE10hipError_tPvRmT2_T3_mT4_T5_T6_T7_T8_P12ihipStream_tbENKUlT_T0_E_clISt17integral_constantIbLb1EES15_IbLb0EEEEDaS11_S12_EUlS11_E_NS1_11comp_targetILNS1_3genE2ELNS1_11target_archE906ELNS1_3gpuE6ELNS1_3repE0EEENS1_30default_config_static_selectorELNS0_4arch9wavefront6targetE0EEEvT1_,comdat
	.protected	_ZN7rocprim17ROCPRIM_400000_NS6detail17trampoline_kernelINS0_14default_configENS1_29reduce_by_key_config_selectorIjyN6thrust23THRUST_200600_302600_NS4plusIyEEEEZZNS1_33reduce_by_key_impl_wrapped_configILNS1_25lookback_scan_determinismE0ES3_S9_NS6_6detail15normal_iteratorINS6_10device_ptrIjEEEENSD_INSE_IyEEEENS6_16discard_iteratorINS6_11use_defaultEEESI_PmS8_NS6_8equal_toIjEEEE10hipError_tPvRmT2_T3_mT4_T5_T6_T7_T8_P12ihipStream_tbENKUlT_T0_E_clISt17integral_constantIbLb1EES15_IbLb0EEEEDaS11_S12_EUlS11_E_NS1_11comp_targetILNS1_3genE2ELNS1_11target_archE906ELNS1_3gpuE6ELNS1_3repE0EEENS1_30default_config_static_selectorELNS0_4arch9wavefront6targetE0EEEvT1_ ; -- Begin function _ZN7rocprim17ROCPRIM_400000_NS6detail17trampoline_kernelINS0_14default_configENS1_29reduce_by_key_config_selectorIjyN6thrust23THRUST_200600_302600_NS4plusIyEEEEZZNS1_33reduce_by_key_impl_wrapped_configILNS1_25lookback_scan_determinismE0ES3_S9_NS6_6detail15normal_iteratorINS6_10device_ptrIjEEEENSD_INSE_IyEEEENS6_16discard_iteratorINS6_11use_defaultEEESI_PmS8_NS6_8equal_toIjEEEE10hipError_tPvRmT2_T3_mT4_T5_T6_T7_T8_P12ihipStream_tbENKUlT_T0_E_clISt17integral_constantIbLb1EES15_IbLb0EEEEDaS11_S12_EUlS11_E_NS1_11comp_targetILNS1_3genE2ELNS1_11target_archE906ELNS1_3gpuE6ELNS1_3repE0EEENS1_30default_config_static_selectorELNS0_4arch9wavefront6targetE0EEEvT1_
	.globl	_ZN7rocprim17ROCPRIM_400000_NS6detail17trampoline_kernelINS0_14default_configENS1_29reduce_by_key_config_selectorIjyN6thrust23THRUST_200600_302600_NS4plusIyEEEEZZNS1_33reduce_by_key_impl_wrapped_configILNS1_25lookback_scan_determinismE0ES3_S9_NS6_6detail15normal_iteratorINS6_10device_ptrIjEEEENSD_INSE_IyEEEENS6_16discard_iteratorINS6_11use_defaultEEESI_PmS8_NS6_8equal_toIjEEEE10hipError_tPvRmT2_T3_mT4_T5_T6_T7_T8_P12ihipStream_tbENKUlT_T0_E_clISt17integral_constantIbLb1EES15_IbLb0EEEEDaS11_S12_EUlS11_E_NS1_11comp_targetILNS1_3genE2ELNS1_11target_archE906ELNS1_3gpuE6ELNS1_3repE0EEENS1_30default_config_static_selectorELNS0_4arch9wavefront6targetE0EEEvT1_
	.p2align	8
	.type	_ZN7rocprim17ROCPRIM_400000_NS6detail17trampoline_kernelINS0_14default_configENS1_29reduce_by_key_config_selectorIjyN6thrust23THRUST_200600_302600_NS4plusIyEEEEZZNS1_33reduce_by_key_impl_wrapped_configILNS1_25lookback_scan_determinismE0ES3_S9_NS6_6detail15normal_iteratorINS6_10device_ptrIjEEEENSD_INSE_IyEEEENS6_16discard_iteratorINS6_11use_defaultEEESI_PmS8_NS6_8equal_toIjEEEE10hipError_tPvRmT2_T3_mT4_T5_T6_T7_T8_P12ihipStream_tbENKUlT_T0_E_clISt17integral_constantIbLb1EES15_IbLb0EEEEDaS11_S12_EUlS11_E_NS1_11comp_targetILNS1_3genE2ELNS1_11target_archE906ELNS1_3gpuE6ELNS1_3repE0EEENS1_30default_config_static_selectorELNS0_4arch9wavefront6targetE0EEEvT1_,@function
_ZN7rocprim17ROCPRIM_400000_NS6detail17trampoline_kernelINS0_14default_configENS1_29reduce_by_key_config_selectorIjyN6thrust23THRUST_200600_302600_NS4plusIyEEEEZZNS1_33reduce_by_key_impl_wrapped_configILNS1_25lookback_scan_determinismE0ES3_S9_NS6_6detail15normal_iteratorINS6_10device_ptrIjEEEENSD_INSE_IyEEEENS6_16discard_iteratorINS6_11use_defaultEEESI_PmS8_NS6_8equal_toIjEEEE10hipError_tPvRmT2_T3_mT4_T5_T6_T7_T8_P12ihipStream_tbENKUlT_T0_E_clISt17integral_constantIbLb1EES15_IbLb0EEEEDaS11_S12_EUlS11_E_NS1_11comp_targetILNS1_3genE2ELNS1_11target_archE906ELNS1_3gpuE6ELNS1_3repE0EEENS1_30default_config_static_selectorELNS0_4arch9wavefront6targetE0EEEvT1_: ; @_ZN7rocprim17ROCPRIM_400000_NS6detail17trampoline_kernelINS0_14default_configENS1_29reduce_by_key_config_selectorIjyN6thrust23THRUST_200600_302600_NS4plusIyEEEEZZNS1_33reduce_by_key_impl_wrapped_configILNS1_25lookback_scan_determinismE0ES3_S9_NS6_6detail15normal_iteratorINS6_10device_ptrIjEEEENSD_INSE_IyEEEENS6_16discard_iteratorINS6_11use_defaultEEESI_PmS8_NS6_8equal_toIjEEEE10hipError_tPvRmT2_T3_mT4_T5_T6_T7_T8_P12ihipStream_tbENKUlT_T0_E_clISt17integral_constantIbLb1EES15_IbLb0EEEEDaS11_S12_EUlS11_E_NS1_11comp_targetILNS1_3genE2ELNS1_11target_archE906ELNS1_3gpuE6ELNS1_3repE0EEENS1_30default_config_static_selectorELNS0_4arch9wavefront6targetE0EEEvT1_
; %bb.0:
	.section	.rodata,"a",@progbits
	.p2align	6, 0x0
	.amdhsa_kernel _ZN7rocprim17ROCPRIM_400000_NS6detail17trampoline_kernelINS0_14default_configENS1_29reduce_by_key_config_selectorIjyN6thrust23THRUST_200600_302600_NS4plusIyEEEEZZNS1_33reduce_by_key_impl_wrapped_configILNS1_25lookback_scan_determinismE0ES3_S9_NS6_6detail15normal_iteratorINS6_10device_ptrIjEEEENSD_INSE_IyEEEENS6_16discard_iteratorINS6_11use_defaultEEESI_PmS8_NS6_8equal_toIjEEEE10hipError_tPvRmT2_T3_mT4_T5_T6_T7_T8_P12ihipStream_tbENKUlT_T0_E_clISt17integral_constantIbLb1EES15_IbLb0EEEEDaS11_S12_EUlS11_E_NS1_11comp_targetILNS1_3genE2ELNS1_11target_archE906ELNS1_3gpuE6ELNS1_3repE0EEENS1_30default_config_static_selectorELNS0_4arch9wavefront6targetE0EEEvT1_
		.amdhsa_group_segment_fixed_size 0
		.amdhsa_private_segment_fixed_size 0
		.amdhsa_kernarg_size 144
		.amdhsa_user_sgpr_count 15
		.amdhsa_user_sgpr_dispatch_ptr 0
		.amdhsa_user_sgpr_queue_ptr 0
		.amdhsa_user_sgpr_kernarg_segment_ptr 1
		.amdhsa_user_sgpr_dispatch_id 0
		.amdhsa_user_sgpr_private_segment_size 0
		.amdhsa_wavefront_size32 1
		.amdhsa_uses_dynamic_stack 0
		.amdhsa_enable_private_segment 0
		.amdhsa_system_sgpr_workgroup_id_x 1
		.amdhsa_system_sgpr_workgroup_id_y 0
		.amdhsa_system_sgpr_workgroup_id_z 0
		.amdhsa_system_sgpr_workgroup_info 0
		.amdhsa_system_vgpr_workitem_id 0
		.amdhsa_next_free_vgpr 1
		.amdhsa_next_free_sgpr 1
		.amdhsa_reserve_vcc 0
		.amdhsa_float_round_mode_32 0
		.amdhsa_float_round_mode_16_64 0
		.amdhsa_float_denorm_mode_32 3
		.amdhsa_float_denorm_mode_16_64 3
		.amdhsa_dx10_clamp 1
		.amdhsa_ieee_mode 1
		.amdhsa_fp16_overflow 0
		.amdhsa_workgroup_processor_mode 1
		.amdhsa_memory_ordered 1
		.amdhsa_forward_progress 0
		.amdhsa_shared_vgpr_count 0
		.amdhsa_exception_fp_ieee_invalid_op 0
		.amdhsa_exception_fp_denorm_src 0
		.amdhsa_exception_fp_ieee_div_zero 0
		.amdhsa_exception_fp_ieee_overflow 0
		.amdhsa_exception_fp_ieee_underflow 0
		.amdhsa_exception_fp_ieee_inexact 0
		.amdhsa_exception_int_div_zero 0
	.end_amdhsa_kernel
	.section	.text._ZN7rocprim17ROCPRIM_400000_NS6detail17trampoline_kernelINS0_14default_configENS1_29reduce_by_key_config_selectorIjyN6thrust23THRUST_200600_302600_NS4plusIyEEEEZZNS1_33reduce_by_key_impl_wrapped_configILNS1_25lookback_scan_determinismE0ES3_S9_NS6_6detail15normal_iteratorINS6_10device_ptrIjEEEENSD_INSE_IyEEEENS6_16discard_iteratorINS6_11use_defaultEEESI_PmS8_NS6_8equal_toIjEEEE10hipError_tPvRmT2_T3_mT4_T5_T6_T7_T8_P12ihipStream_tbENKUlT_T0_E_clISt17integral_constantIbLb1EES15_IbLb0EEEEDaS11_S12_EUlS11_E_NS1_11comp_targetILNS1_3genE2ELNS1_11target_archE906ELNS1_3gpuE6ELNS1_3repE0EEENS1_30default_config_static_selectorELNS0_4arch9wavefront6targetE0EEEvT1_,"axG",@progbits,_ZN7rocprim17ROCPRIM_400000_NS6detail17trampoline_kernelINS0_14default_configENS1_29reduce_by_key_config_selectorIjyN6thrust23THRUST_200600_302600_NS4plusIyEEEEZZNS1_33reduce_by_key_impl_wrapped_configILNS1_25lookback_scan_determinismE0ES3_S9_NS6_6detail15normal_iteratorINS6_10device_ptrIjEEEENSD_INSE_IyEEEENS6_16discard_iteratorINS6_11use_defaultEEESI_PmS8_NS6_8equal_toIjEEEE10hipError_tPvRmT2_T3_mT4_T5_T6_T7_T8_P12ihipStream_tbENKUlT_T0_E_clISt17integral_constantIbLb1EES15_IbLb0EEEEDaS11_S12_EUlS11_E_NS1_11comp_targetILNS1_3genE2ELNS1_11target_archE906ELNS1_3gpuE6ELNS1_3repE0EEENS1_30default_config_static_selectorELNS0_4arch9wavefront6targetE0EEEvT1_,comdat
.Lfunc_end899:
	.size	_ZN7rocprim17ROCPRIM_400000_NS6detail17trampoline_kernelINS0_14default_configENS1_29reduce_by_key_config_selectorIjyN6thrust23THRUST_200600_302600_NS4plusIyEEEEZZNS1_33reduce_by_key_impl_wrapped_configILNS1_25lookback_scan_determinismE0ES3_S9_NS6_6detail15normal_iteratorINS6_10device_ptrIjEEEENSD_INSE_IyEEEENS6_16discard_iteratorINS6_11use_defaultEEESI_PmS8_NS6_8equal_toIjEEEE10hipError_tPvRmT2_T3_mT4_T5_T6_T7_T8_P12ihipStream_tbENKUlT_T0_E_clISt17integral_constantIbLb1EES15_IbLb0EEEEDaS11_S12_EUlS11_E_NS1_11comp_targetILNS1_3genE2ELNS1_11target_archE906ELNS1_3gpuE6ELNS1_3repE0EEENS1_30default_config_static_selectorELNS0_4arch9wavefront6targetE0EEEvT1_, .Lfunc_end899-_ZN7rocprim17ROCPRIM_400000_NS6detail17trampoline_kernelINS0_14default_configENS1_29reduce_by_key_config_selectorIjyN6thrust23THRUST_200600_302600_NS4plusIyEEEEZZNS1_33reduce_by_key_impl_wrapped_configILNS1_25lookback_scan_determinismE0ES3_S9_NS6_6detail15normal_iteratorINS6_10device_ptrIjEEEENSD_INSE_IyEEEENS6_16discard_iteratorINS6_11use_defaultEEESI_PmS8_NS6_8equal_toIjEEEE10hipError_tPvRmT2_T3_mT4_T5_T6_T7_T8_P12ihipStream_tbENKUlT_T0_E_clISt17integral_constantIbLb1EES15_IbLb0EEEEDaS11_S12_EUlS11_E_NS1_11comp_targetILNS1_3genE2ELNS1_11target_archE906ELNS1_3gpuE6ELNS1_3repE0EEENS1_30default_config_static_selectorELNS0_4arch9wavefront6targetE0EEEvT1_
                                        ; -- End function
	.section	.AMDGPU.csdata,"",@progbits
; Kernel info:
; codeLenInByte = 0
; NumSgprs: 0
; NumVgprs: 0
; ScratchSize: 0
; MemoryBound: 0
; FloatMode: 240
; IeeeMode: 1
; LDSByteSize: 0 bytes/workgroup (compile time only)
; SGPRBlocks: 0
; VGPRBlocks: 0
; NumSGPRsForWavesPerEU: 1
; NumVGPRsForWavesPerEU: 1
; Occupancy: 16
; WaveLimiterHint : 0
; COMPUTE_PGM_RSRC2:SCRATCH_EN: 0
; COMPUTE_PGM_RSRC2:USER_SGPR: 15
; COMPUTE_PGM_RSRC2:TRAP_HANDLER: 0
; COMPUTE_PGM_RSRC2:TGID_X_EN: 1
; COMPUTE_PGM_RSRC2:TGID_Y_EN: 0
; COMPUTE_PGM_RSRC2:TGID_Z_EN: 0
; COMPUTE_PGM_RSRC2:TIDIG_COMP_CNT: 0
	.section	.text._ZN7rocprim17ROCPRIM_400000_NS6detail17trampoline_kernelINS0_14default_configENS1_29reduce_by_key_config_selectorIjyN6thrust23THRUST_200600_302600_NS4plusIyEEEEZZNS1_33reduce_by_key_impl_wrapped_configILNS1_25lookback_scan_determinismE0ES3_S9_NS6_6detail15normal_iteratorINS6_10device_ptrIjEEEENSD_INSE_IyEEEENS6_16discard_iteratorINS6_11use_defaultEEESI_PmS8_NS6_8equal_toIjEEEE10hipError_tPvRmT2_T3_mT4_T5_T6_T7_T8_P12ihipStream_tbENKUlT_T0_E_clISt17integral_constantIbLb1EES15_IbLb0EEEEDaS11_S12_EUlS11_E_NS1_11comp_targetILNS1_3genE10ELNS1_11target_archE1201ELNS1_3gpuE5ELNS1_3repE0EEENS1_30default_config_static_selectorELNS0_4arch9wavefront6targetE0EEEvT1_,"axG",@progbits,_ZN7rocprim17ROCPRIM_400000_NS6detail17trampoline_kernelINS0_14default_configENS1_29reduce_by_key_config_selectorIjyN6thrust23THRUST_200600_302600_NS4plusIyEEEEZZNS1_33reduce_by_key_impl_wrapped_configILNS1_25lookback_scan_determinismE0ES3_S9_NS6_6detail15normal_iteratorINS6_10device_ptrIjEEEENSD_INSE_IyEEEENS6_16discard_iteratorINS6_11use_defaultEEESI_PmS8_NS6_8equal_toIjEEEE10hipError_tPvRmT2_T3_mT4_T5_T6_T7_T8_P12ihipStream_tbENKUlT_T0_E_clISt17integral_constantIbLb1EES15_IbLb0EEEEDaS11_S12_EUlS11_E_NS1_11comp_targetILNS1_3genE10ELNS1_11target_archE1201ELNS1_3gpuE5ELNS1_3repE0EEENS1_30default_config_static_selectorELNS0_4arch9wavefront6targetE0EEEvT1_,comdat
	.protected	_ZN7rocprim17ROCPRIM_400000_NS6detail17trampoline_kernelINS0_14default_configENS1_29reduce_by_key_config_selectorIjyN6thrust23THRUST_200600_302600_NS4plusIyEEEEZZNS1_33reduce_by_key_impl_wrapped_configILNS1_25lookback_scan_determinismE0ES3_S9_NS6_6detail15normal_iteratorINS6_10device_ptrIjEEEENSD_INSE_IyEEEENS6_16discard_iteratorINS6_11use_defaultEEESI_PmS8_NS6_8equal_toIjEEEE10hipError_tPvRmT2_T3_mT4_T5_T6_T7_T8_P12ihipStream_tbENKUlT_T0_E_clISt17integral_constantIbLb1EES15_IbLb0EEEEDaS11_S12_EUlS11_E_NS1_11comp_targetILNS1_3genE10ELNS1_11target_archE1201ELNS1_3gpuE5ELNS1_3repE0EEENS1_30default_config_static_selectorELNS0_4arch9wavefront6targetE0EEEvT1_ ; -- Begin function _ZN7rocprim17ROCPRIM_400000_NS6detail17trampoline_kernelINS0_14default_configENS1_29reduce_by_key_config_selectorIjyN6thrust23THRUST_200600_302600_NS4plusIyEEEEZZNS1_33reduce_by_key_impl_wrapped_configILNS1_25lookback_scan_determinismE0ES3_S9_NS6_6detail15normal_iteratorINS6_10device_ptrIjEEEENSD_INSE_IyEEEENS6_16discard_iteratorINS6_11use_defaultEEESI_PmS8_NS6_8equal_toIjEEEE10hipError_tPvRmT2_T3_mT4_T5_T6_T7_T8_P12ihipStream_tbENKUlT_T0_E_clISt17integral_constantIbLb1EES15_IbLb0EEEEDaS11_S12_EUlS11_E_NS1_11comp_targetILNS1_3genE10ELNS1_11target_archE1201ELNS1_3gpuE5ELNS1_3repE0EEENS1_30default_config_static_selectorELNS0_4arch9wavefront6targetE0EEEvT1_
	.globl	_ZN7rocprim17ROCPRIM_400000_NS6detail17trampoline_kernelINS0_14default_configENS1_29reduce_by_key_config_selectorIjyN6thrust23THRUST_200600_302600_NS4plusIyEEEEZZNS1_33reduce_by_key_impl_wrapped_configILNS1_25lookback_scan_determinismE0ES3_S9_NS6_6detail15normal_iteratorINS6_10device_ptrIjEEEENSD_INSE_IyEEEENS6_16discard_iteratorINS6_11use_defaultEEESI_PmS8_NS6_8equal_toIjEEEE10hipError_tPvRmT2_T3_mT4_T5_T6_T7_T8_P12ihipStream_tbENKUlT_T0_E_clISt17integral_constantIbLb1EES15_IbLb0EEEEDaS11_S12_EUlS11_E_NS1_11comp_targetILNS1_3genE10ELNS1_11target_archE1201ELNS1_3gpuE5ELNS1_3repE0EEENS1_30default_config_static_selectorELNS0_4arch9wavefront6targetE0EEEvT1_
	.p2align	8
	.type	_ZN7rocprim17ROCPRIM_400000_NS6detail17trampoline_kernelINS0_14default_configENS1_29reduce_by_key_config_selectorIjyN6thrust23THRUST_200600_302600_NS4plusIyEEEEZZNS1_33reduce_by_key_impl_wrapped_configILNS1_25lookback_scan_determinismE0ES3_S9_NS6_6detail15normal_iteratorINS6_10device_ptrIjEEEENSD_INSE_IyEEEENS6_16discard_iteratorINS6_11use_defaultEEESI_PmS8_NS6_8equal_toIjEEEE10hipError_tPvRmT2_T3_mT4_T5_T6_T7_T8_P12ihipStream_tbENKUlT_T0_E_clISt17integral_constantIbLb1EES15_IbLb0EEEEDaS11_S12_EUlS11_E_NS1_11comp_targetILNS1_3genE10ELNS1_11target_archE1201ELNS1_3gpuE5ELNS1_3repE0EEENS1_30default_config_static_selectorELNS0_4arch9wavefront6targetE0EEEvT1_,@function
_ZN7rocprim17ROCPRIM_400000_NS6detail17trampoline_kernelINS0_14default_configENS1_29reduce_by_key_config_selectorIjyN6thrust23THRUST_200600_302600_NS4plusIyEEEEZZNS1_33reduce_by_key_impl_wrapped_configILNS1_25lookback_scan_determinismE0ES3_S9_NS6_6detail15normal_iteratorINS6_10device_ptrIjEEEENSD_INSE_IyEEEENS6_16discard_iteratorINS6_11use_defaultEEESI_PmS8_NS6_8equal_toIjEEEE10hipError_tPvRmT2_T3_mT4_T5_T6_T7_T8_P12ihipStream_tbENKUlT_T0_E_clISt17integral_constantIbLb1EES15_IbLb0EEEEDaS11_S12_EUlS11_E_NS1_11comp_targetILNS1_3genE10ELNS1_11target_archE1201ELNS1_3gpuE5ELNS1_3repE0EEENS1_30default_config_static_selectorELNS0_4arch9wavefront6targetE0EEEvT1_: ; @_ZN7rocprim17ROCPRIM_400000_NS6detail17trampoline_kernelINS0_14default_configENS1_29reduce_by_key_config_selectorIjyN6thrust23THRUST_200600_302600_NS4plusIyEEEEZZNS1_33reduce_by_key_impl_wrapped_configILNS1_25lookback_scan_determinismE0ES3_S9_NS6_6detail15normal_iteratorINS6_10device_ptrIjEEEENSD_INSE_IyEEEENS6_16discard_iteratorINS6_11use_defaultEEESI_PmS8_NS6_8equal_toIjEEEE10hipError_tPvRmT2_T3_mT4_T5_T6_T7_T8_P12ihipStream_tbENKUlT_T0_E_clISt17integral_constantIbLb1EES15_IbLb0EEEEDaS11_S12_EUlS11_E_NS1_11comp_targetILNS1_3genE10ELNS1_11target_archE1201ELNS1_3gpuE5ELNS1_3repE0EEENS1_30default_config_static_selectorELNS0_4arch9wavefront6targetE0EEEvT1_
; %bb.0:
	.section	.rodata,"a",@progbits
	.p2align	6, 0x0
	.amdhsa_kernel _ZN7rocprim17ROCPRIM_400000_NS6detail17trampoline_kernelINS0_14default_configENS1_29reduce_by_key_config_selectorIjyN6thrust23THRUST_200600_302600_NS4plusIyEEEEZZNS1_33reduce_by_key_impl_wrapped_configILNS1_25lookback_scan_determinismE0ES3_S9_NS6_6detail15normal_iteratorINS6_10device_ptrIjEEEENSD_INSE_IyEEEENS6_16discard_iteratorINS6_11use_defaultEEESI_PmS8_NS6_8equal_toIjEEEE10hipError_tPvRmT2_T3_mT4_T5_T6_T7_T8_P12ihipStream_tbENKUlT_T0_E_clISt17integral_constantIbLb1EES15_IbLb0EEEEDaS11_S12_EUlS11_E_NS1_11comp_targetILNS1_3genE10ELNS1_11target_archE1201ELNS1_3gpuE5ELNS1_3repE0EEENS1_30default_config_static_selectorELNS0_4arch9wavefront6targetE0EEEvT1_
		.amdhsa_group_segment_fixed_size 0
		.amdhsa_private_segment_fixed_size 0
		.amdhsa_kernarg_size 144
		.amdhsa_user_sgpr_count 15
		.amdhsa_user_sgpr_dispatch_ptr 0
		.amdhsa_user_sgpr_queue_ptr 0
		.amdhsa_user_sgpr_kernarg_segment_ptr 1
		.amdhsa_user_sgpr_dispatch_id 0
		.amdhsa_user_sgpr_private_segment_size 0
		.amdhsa_wavefront_size32 1
		.amdhsa_uses_dynamic_stack 0
		.amdhsa_enable_private_segment 0
		.amdhsa_system_sgpr_workgroup_id_x 1
		.amdhsa_system_sgpr_workgroup_id_y 0
		.amdhsa_system_sgpr_workgroup_id_z 0
		.amdhsa_system_sgpr_workgroup_info 0
		.amdhsa_system_vgpr_workitem_id 0
		.amdhsa_next_free_vgpr 1
		.amdhsa_next_free_sgpr 1
		.amdhsa_reserve_vcc 0
		.amdhsa_float_round_mode_32 0
		.amdhsa_float_round_mode_16_64 0
		.amdhsa_float_denorm_mode_32 3
		.amdhsa_float_denorm_mode_16_64 3
		.amdhsa_dx10_clamp 1
		.amdhsa_ieee_mode 1
		.amdhsa_fp16_overflow 0
		.amdhsa_workgroup_processor_mode 1
		.amdhsa_memory_ordered 1
		.amdhsa_forward_progress 0
		.amdhsa_shared_vgpr_count 0
		.amdhsa_exception_fp_ieee_invalid_op 0
		.amdhsa_exception_fp_denorm_src 0
		.amdhsa_exception_fp_ieee_div_zero 0
		.amdhsa_exception_fp_ieee_overflow 0
		.amdhsa_exception_fp_ieee_underflow 0
		.amdhsa_exception_fp_ieee_inexact 0
		.amdhsa_exception_int_div_zero 0
	.end_amdhsa_kernel
	.section	.text._ZN7rocprim17ROCPRIM_400000_NS6detail17trampoline_kernelINS0_14default_configENS1_29reduce_by_key_config_selectorIjyN6thrust23THRUST_200600_302600_NS4plusIyEEEEZZNS1_33reduce_by_key_impl_wrapped_configILNS1_25lookback_scan_determinismE0ES3_S9_NS6_6detail15normal_iteratorINS6_10device_ptrIjEEEENSD_INSE_IyEEEENS6_16discard_iteratorINS6_11use_defaultEEESI_PmS8_NS6_8equal_toIjEEEE10hipError_tPvRmT2_T3_mT4_T5_T6_T7_T8_P12ihipStream_tbENKUlT_T0_E_clISt17integral_constantIbLb1EES15_IbLb0EEEEDaS11_S12_EUlS11_E_NS1_11comp_targetILNS1_3genE10ELNS1_11target_archE1201ELNS1_3gpuE5ELNS1_3repE0EEENS1_30default_config_static_selectorELNS0_4arch9wavefront6targetE0EEEvT1_,"axG",@progbits,_ZN7rocprim17ROCPRIM_400000_NS6detail17trampoline_kernelINS0_14default_configENS1_29reduce_by_key_config_selectorIjyN6thrust23THRUST_200600_302600_NS4plusIyEEEEZZNS1_33reduce_by_key_impl_wrapped_configILNS1_25lookback_scan_determinismE0ES3_S9_NS6_6detail15normal_iteratorINS6_10device_ptrIjEEEENSD_INSE_IyEEEENS6_16discard_iteratorINS6_11use_defaultEEESI_PmS8_NS6_8equal_toIjEEEE10hipError_tPvRmT2_T3_mT4_T5_T6_T7_T8_P12ihipStream_tbENKUlT_T0_E_clISt17integral_constantIbLb1EES15_IbLb0EEEEDaS11_S12_EUlS11_E_NS1_11comp_targetILNS1_3genE10ELNS1_11target_archE1201ELNS1_3gpuE5ELNS1_3repE0EEENS1_30default_config_static_selectorELNS0_4arch9wavefront6targetE0EEEvT1_,comdat
.Lfunc_end900:
	.size	_ZN7rocprim17ROCPRIM_400000_NS6detail17trampoline_kernelINS0_14default_configENS1_29reduce_by_key_config_selectorIjyN6thrust23THRUST_200600_302600_NS4plusIyEEEEZZNS1_33reduce_by_key_impl_wrapped_configILNS1_25lookback_scan_determinismE0ES3_S9_NS6_6detail15normal_iteratorINS6_10device_ptrIjEEEENSD_INSE_IyEEEENS6_16discard_iteratorINS6_11use_defaultEEESI_PmS8_NS6_8equal_toIjEEEE10hipError_tPvRmT2_T3_mT4_T5_T6_T7_T8_P12ihipStream_tbENKUlT_T0_E_clISt17integral_constantIbLb1EES15_IbLb0EEEEDaS11_S12_EUlS11_E_NS1_11comp_targetILNS1_3genE10ELNS1_11target_archE1201ELNS1_3gpuE5ELNS1_3repE0EEENS1_30default_config_static_selectorELNS0_4arch9wavefront6targetE0EEEvT1_, .Lfunc_end900-_ZN7rocprim17ROCPRIM_400000_NS6detail17trampoline_kernelINS0_14default_configENS1_29reduce_by_key_config_selectorIjyN6thrust23THRUST_200600_302600_NS4plusIyEEEEZZNS1_33reduce_by_key_impl_wrapped_configILNS1_25lookback_scan_determinismE0ES3_S9_NS6_6detail15normal_iteratorINS6_10device_ptrIjEEEENSD_INSE_IyEEEENS6_16discard_iteratorINS6_11use_defaultEEESI_PmS8_NS6_8equal_toIjEEEE10hipError_tPvRmT2_T3_mT4_T5_T6_T7_T8_P12ihipStream_tbENKUlT_T0_E_clISt17integral_constantIbLb1EES15_IbLb0EEEEDaS11_S12_EUlS11_E_NS1_11comp_targetILNS1_3genE10ELNS1_11target_archE1201ELNS1_3gpuE5ELNS1_3repE0EEENS1_30default_config_static_selectorELNS0_4arch9wavefront6targetE0EEEvT1_
                                        ; -- End function
	.section	.AMDGPU.csdata,"",@progbits
; Kernel info:
; codeLenInByte = 0
; NumSgprs: 0
; NumVgprs: 0
; ScratchSize: 0
; MemoryBound: 0
; FloatMode: 240
; IeeeMode: 1
; LDSByteSize: 0 bytes/workgroup (compile time only)
; SGPRBlocks: 0
; VGPRBlocks: 0
; NumSGPRsForWavesPerEU: 1
; NumVGPRsForWavesPerEU: 1
; Occupancy: 16
; WaveLimiterHint : 0
; COMPUTE_PGM_RSRC2:SCRATCH_EN: 0
; COMPUTE_PGM_RSRC2:USER_SGPR: 15
; COMPUTE_PGM_RSRC2:TRAP_HANDLER: 0
; COMPUTE_PGM_RSRC2:TGID_X_EN: 1
; COMPUTE_PGM_RSRC2:TGID_Y_EN: 0
; COMPUTE_PGM_RSRC2:TGID_Z_EN: 0
; COMPUTE_PGM_RSRC2:TIDIG_COMP_CNT: 0
	.section	.text._ZN7rocprim17ROCPRIM_400000_NS6detail17trampoline_kernelINS0_14default_configENS1_29reduce_by_key_config_selectorIjyN6thrust23THRUST_200600_302600_NS4plusIyEEEEZZNS1_33reduce_by_key_impl_wrapped_configILNS1_25lookback_scan_determinismE0ES3_S9_NS6_6detail15normal_iteratorINS6_10device_ptrIjEEEENSD_INSE_IyEEEENS6_16discard_iteratorINS6_11use_defaultEEESI_PmS8_NS6_8equal_toIjEEEE10hipError_tPvRmT2_T3_mT4_T5_T6_T7_T8_P12ihipStream_tbENKUlT_T0_E_clISt17integral_constantIbLb1EES15_IbLb0EEEEDaS11_S12_EUlS11_E_NS1_11comp_targetILNS1_3genE10ELNS1_11target_archE1200ELNS1_3gpuE4ELNS1_3repE0EEENS1_30default_config_static_selectorELNS0_4arch9wavefront6targetE0EEEvT1_,"axG",@progbits,_ZN7rocprim17ROCPRIM_400000_NS6detail17trampoline_kernelINS0_14default_configENS1_29reduce_by_key_config_selectorIjyN6thrust23THRUST_200600_302600_NS4plusIyEEEEZZNS1_33reduce_by_key_impl_wrapped_configILNS1_25lookback_scan_determinismE0ES3_S9_NS6_6detail15normal_iteratorINS6_10device_ptrIjEEEENSD_INSE_IyEEEENS6_16discard_iteratorINS6_11use_defaultEEESI_PmS8_NS6_8equal_toIjEEEE10hipError_tPvRmT2_T3_mT4_T5_T6_T7_T8_P12ihipStream_tbENKUlT_T0_E_clISt17integral_constantIbLb1EES15_IbLb0EEEEDaS11_S12_EUlS11_E_NS1_11comp_targetILNS1_3genE10ELNS1_11target_archE1200ELNS1_3gpuE4ELNS1_3repE0EEENS1_30default_config_static_selectorELNS0_4arch9wavefront6targetE0EEEvT1_,comdat
	.protected	_ZN7rocprim17ROCPRIM_400000_NS6detail17trampoline_kernelINS0_14default_configENS1_29reduce_by_key_config_selectorIjyN6thrust23THRUST_200600_302600_NS4plusIyEEEEZZNS1_33reduce_by_key_impl_wrapped_configILNS1_25lookback_scan_determinismE0ES3_S9_NS6_6detail15normal_iteratorINS6_10device_ptrIjEEEENSD_INSE_IyEEEENS6_16discard_iteratorINS6_11use_defaultEEESI_PmS8_NS6_8equal_toIjEEEE10hipError_tPvRmT2_T3_mT4_T5_T6_T7_T8_P12ihipStream_tbENKUlT_T0_E_clISt17integral_constantIbLb1EES15_IbLb0EEEEDaS11_S12_EUlS11_E_NS1_11comp_targetILNS1_3genE10ELNS1_11target_archE1200ELNS1_3gpuE4ELNS1_3repE0EEENS1_30default_config_static_selectorELNS0_4arch9wavefront6targetE0EEEvT1_ ; -- Begin function _ZN7rocprim17ROCPRIM_400000_NS6detail17trampoline_kernelINS0_14default_configENS1_29reduce_by_key_config_selectorIjyN6thrust23THRUST_200600_302600_NS4plusIyEEEEZZNS1_33reduce_by_key_impl_wrapped_configILNS1_25lookback_scan_determinismE0ES3_S9_NS6_6detail15normal_iteratorINS6_10device_ptrIjEEEENSD_INSE_IyEEEENS6_16discard_iteratorINS6_11use_defaultEEESI_PmS8_NS6_8equal_toIjEEEE10hipError_tPvRmT2_T3_mT4_T5_T6_T7_T8_P12ihipStream_tbENKUlT_T0_E_clISt17integral_constantIbLb1EES15_IbLb0EEEEDaS11_S12_EUlS11_E_NS1_11comp_targetILNS1_3genE10ELNS1_11target_archE1200ELNS1_3gpuE4ELNS1_3repE0EEENS1_30default_config_static_selectorELNS0_4arch9wavefront6targetE0EEEvT1_
	.globl	_ZN7rocprim17ROCPRIM_400000_NS6detail17trampoline_kernelINS0_14default_configENS1_29reduce_by_key_config_selectorIjyN6thrust23THRUST_200600_302600_NS4plusIyEEEEZZNS1_33reduce_by_key_impl_wrapped_configILNS1_25lookback_scan_determinismE0ES3_S9_NS6_6detail15normal_iteratorINS6_10device_ptrIjEEEENSD_INSE_IyEEEENS6_16discard_iteratorINS6_11use_defaultEEESI_PmS8_NS6_8equal_toIjEEEE10hipError_tPvRmT2_T3_mT4_T5_T6_T7_T8_P12ihipStream_tbENKUlT_T0_E_clISt17integral_constantIbLb1EES15_IbLb0EEEEDaS11_S12_EUlS11_E_NS1_11comp_targetILNS1_3genE10ELNS1_11target_archE1200ELNS1_3gpuE4ELNS1_3repE0EEENS1_30default_config_static_selectorELNS0_4arch9wavefront6targetE0EEEvT1_
	.p2align	8
	.type	_ZN7rocprim17ROCPRIM_400000_NS6detail17trampoline_kernelINS0_14default_configENS1_29reduce_by_key_config_selectorIjyN6thrust23THRUST_200600_302600_NS4plusIyEEEEZZNS1_33reduce_by_key_impl_wrapped_configILNS1_25lookback_scan_determinismE0ES3_S9_NS6_6detail15normal_iteratorINS6_10device_ptrIjEEEENSD_INSE_IyEEEENS6_16discard_iteratorINS6_11use_defaultEEESI_PmS8_NS6_8equal_toIjEEEE10hipError_tPvRmT2_T3_mT4_T5_T6_T7_T8_P12ihipStream_tbENKUlT_T0_E_clISt17integral_constantIbLb1EES15_IbLb0EEEEDaS11_S12_EUlS11_E_NS1_11comp_targetILNS1_3genE10ELNS1_11target_archE1200ELNS1_3gpuE4ELNS1_3repE0EEENS1_30default_config_static_selectorELNS0_4arch9wavefront6targetE0EEEvT1_,@function
_ZN7rocprim17ROCPRIM_400000_NS6detail17trampoline_kernelINS0_14default_configENS1_29reduce_by_key_config_selectorIjyN6thrust23THRUST_200600_302600_NS4plusIyEEEEZZNS1_33reduce_by_key_impl_wrapped_configILNS1_25lookback_scan_determinismE0ES3_S9_NS6_6detail15normal_iteratorINS6_10device_ptrIjEEEENSD_INSE_IyEEEENS6_16discard_iteratorINS6_11use_defaultEEESI_PmS8_NS6_8equal_toIjEEEE10hipError_tPvRmT2_T3_mT4_T5_T6_T7_T8_P12ihipStream_tbENKUlT_T0_E_clISt17integral_constantIbLb1EES15_IbLb0EEEEDaS11_S12_EUlS11_E_NS1_11comp_targetILNS1_3genE10ELNS1_11target_archE1200ELNS1_3gpuE4ELNS1_3repE0EEENS1_30default_config_static_selectorELNS0_4arch9wavefront6targetE0EEEvT1_: ; @_ZN7rocprim17ROCPRIM_400000_NS6detail17trampoline_kernelINS0_14default_configENS1_29reduce_by_key_config_selectorIjyN6thrust23THRUST_200600_302600_NS4plusIyEEEEZZNS1_33reduce_by_key_impl_wrapped_configILNS1_25lookback_scan_determinismE0ES3_S9_NS6_6detail15normal_iteratorINS6_10device_ptrIjEEEENSD_INSE_IyEEEENS6_16discard_iteratorINS6_11use_defaultEEESI_PmS8_NS6_8equal_toIjEEEE10hipError_tPvRmT2_T3_mT4_T5_T6_T7_T8_P12ihipStream_tbENKUlT_T0_E_clISt17integral_constantIbLb1EES15_IbLb0EEEEDaS11_S12_EUlS11_E_NS1_11comp_targetILNS1_3genE10ELNS1_11target_archE1200ELNS1_3gpuE4ELNS1_3repE0EEENS1_30default_config_static_selectorELNS0_4arch9wavefront6targetE0EEEvT1_
; %bb.0:
	.section	.rodata,"a",@progbits
	.p2align	6, 0x0
	.amdhsa_kernel _ZN7rocprim17ROCPRIM_400000_NS6detail17trampoline_kernelINS0_14default_configENS1_29reduce_by_key_config_selectorIjyN6thrust23THRUST_200600_302600_NS4plusIyEEEEZZNS1_33reduce_by_key_impl_wrapped_configILNS1_25lookback_scan_determinismE0ES3_S9_NS6_6detail15normal_iteratorINS6_10device_ptrIjEEEENSD_INSE_IyEEEENS6_16discard_iteratorINS6_11use_defaultEEESI_PmS8_NS6_8equal_toIjEEEE10hipError_tPvRmT2_T3_mT4_T5_T6_T7_T8_P12ihipStream_tbENKUlT_T0_E_clISt17integral_constantIbLb1EES15_IbLb0EEEEDaS11_S12_EUlS11_E_NS1_11comp_targetILNS1_3genE10ELNS1_11target_archE1200ELNS1_3gpuE4ELNS1_3repE0EEENS1_30default_config_static_selectorELNS0_4arch9wavefront6targetE0EEEvT1_
		.amdhsa_group_segment_fixed_size 0
		.amdhsa_private_segment_fixed_size 0
		.amdhsa_kernarg_size 144
		.amdhsa_user_sgpr_count 15
		.amdhsa_user_sgpr_dispatch_ptr 0
		.amdhsa_user_sgpr_queue_ptr 0
		.amdhsa_user_sgpr_kernarg_segment_ptr 1
		.amdhsa_user_sgpr_dispatch_id 0
		.amdhsa_user_sgpr_private_segment_size 0
		.amdhsa_wavefront_size32 1
		.amdhsa_uses_dynamic_stack 0
		.amdhsa_enable_private_segment 0
		.amdhsa_system_sgpr_workgroup_id_x 1
		.amdhsa_system_sgpr_workgroup_id_y 0
		.amdhsa_system_sgpr_workgroup_id_z 0
		.amdhsa_system_sgpr_workgroup_info 0
		.amdhsa_system_vgpr_workitem_id 0
		.amdhsa_next_free_vgpr 1
		.amdhsa_next_free_sgpr 1
		.amdhsa_reserve_vcc 0
		.amdhsa_float_round_mode_32 0
		.amdhsa_float_round_mode_16_64 0
		.amdhsa_float_denorm_mode_32 3
		.amdhsa_float_denorm_mode_16_64 3
		.amdhsa_dx10_clamp 1
		.amdhsa_ieee_mode 1
		.amdhsa_fp16_overflow 0
		.amdhsa_workgroup_processor_mode 1
		.amdhsa_memory_ordered 1
		.amdhsa_forward_progress 0
		.amdhsa_shared_vgpr_count 0
		.amdhsa_exception_fp_ieee_invalid_op 0
		.amdhsa_exception_fp_denorm_src 0
		.amdhsa_exception_fp_ieee_div_zero 0
		.amdhsa_exception_fp_ieee_overflow 0
		.amdhsa_exception_fp_ieee_underflow 0
		.amdhsa_exception_fp_ieee_inexact 0
		.amdhsa_exception_int_div_zero 0
	.end_amdhsa_kernel
	.section	.text._ZN7rocprim17ROCPRIM_400000_NS6detail17trampoline_kernelINS0_14default_configENS1_29reduce_by_key_config_selectorIjyN6thrust23THRUST_200600_302600_NS4plusIyEEEEZZNS1_33reduce_by_key_impl_wrapped_configILNS1_25lookback_scan_determinismE0ES3_S9_NS6_6detail15normal_iteratorINS6_10device_ptrIjEEEENSD_INSE_IyEEEENS6_16discard_iteratorINS6_11use_defaultEEESI_PmS8_NS6_8equal_toIjEEEE10hipError_tPvRmT2_T3_mT4_T5_T6_T7_T8_P12ihipStream_tbENKUlT_T0_E_clISt17integral_constantIbLb1EES15_IbLb0EEEEDaS11_S12_EUlS11_E_NS1_11comp_targetILNS1_3genE10ELNS1_11target_archE1200ELNS1_3gpuE4ELNS1_3repE0EEENS1_30default_config_static_selectorELNS0_4arch9wavefront6targetE0EEEvT1_,"axG",@progbits,_ZN7rocprim17ROCPRIM_400000_NS6detail17trampoline_kernelINS0_14default_configENS1_29reduce_by_key_config_selectorIjyN6thrust23THRUST_200600_302600_NS4plusIyEEEEZZNS1_33reduce_by_key_impl_wrapped_configILNS1_25lookback_scan_determinismE0ES3_S9_NS6_6detail15normal_iteratorINS6_10device_ptrIjEEEENSD_INSE_IyEEEENS6_16discard_iteratorINS6_11use_defaultEEESI_PmS8_NS6_8equal_toIjEEEE10hipError_tPvRmT2_T3_mT4_T5_T6_T7_T8_P12ihipStream_tbENKUlT_T0_E_clISt17integral_constantIbLb1EES15_IbLb0EEEEDaS11_S12_EUlS11_E_NS1_11comp_targetILNS1_3genE10ELNS1_11target_archE1200ELNS1_3gpuE4ELNS1_3repE0EEENS1_30default_config_static_selectorELNS0_4arch9wavefront6targetE0EEEvT1_,comdat
.Lfunc_end901:
	.size	_ZN7rocprim17ROCPRIM_400000_NS6detail17trampoline_kernelINS0_14default_configENS1_29reduce_by_key_config_selectorIjyN6thrust23THRUST_200600_302600_NS4plusIyEEEEZZNS1_33reduce_by_key_impl_wrapped_configILNS1_25lookback_scan_determinismE0ES3_S9_NS6_6detail15normal_iteratorINS6_10device_ptrIjEEEENSD_INSE_IyEEEENS6_16discard_iteratorINS6_11use_defaultEEESI_PmS8_NS6_8equal_toIjEEEE10hipError_tPvRmT2_T3_mT4_T5_T6_T7_T8_P12ihipStream_tbENKUlT_T0_E_clISt17integral_constantIbLb1EES15_IbLb0EEEEDaS11_S12_EUlS11_E_NS1_11comp_targetILNS1_3genE10ELNS1_11target_archE1200ELNS1_3gpuE4ELNS1_3repE0EEENS1_30default_config_static_selectorELNS0_4arch9wavefront6targetE0EEEvT1_, .Lfunc_end901-_ZN7rocprim17ROCPRIM_400000_NS6detail17trampoline_kernelINS0_14default_configENS1_29reduce_by_key_config_selectorIjyN6thrust23THRUST_200600_302600_NS4plusIyEEEEZZNS1_33reduce_by_key_impl_wrapped_configILNS1_25lookback_scan_determinismE0ES3_S9_NS6_6detail15normal_iteratorINS6_10device_ptrIjEEEENSD_INSE_IyEEEENS6_16discard_iteratorINS6_11use_defaultEEESI_PmS8_NS6_8equal_toIjEEEE10hipError_tPvRmT2_T3_mT4_T5_T6_T7_T8_P12ihipStream_tbENKUlT_T0_E_clISt17integral_constantIbLb1EES15_IbLb0EEEEDaS11_S12_EUlS11_E_NS1_11comp_targetILNS1_3genE10ELNS1_11target_archE1200ELNS1_3gpuE4ELNS1_3repE0EEENS1_30default_config_static_selectorELNS0_4arch9wavefront6targetE0EEEvT1_
                                        ; -- End function
	.section	.AMDGPU.csdata,"",@progbits
; Kernel info:
; codeLenInByte = 0
; NumSgprs: 0
; NumVgprs: 0
; ScratchSize: 0
; MemoryBound: 0
; FloatMode: 240
; IeeeMode: 1
; LDSByteSize: 0 bytes/workgroup (compile time only)
; SGPRBlocks: 0
; VGPRBlocks: 0
; NumSGPRsForWavesPerEU: 1
; NumVGPRsForWavesPerEU: 1
; Occupancy: 16
; WaveLimiterHint : 0
; COMPUTE_PGM_RSRC2:SCRATCH_EN: 0
; COMPUTE_PGM_RSRC2:USER_SGPR: 15
; COMPUTE_PGM_RSRC2:TRAP_HANDLER: 0
; COMPUTE_PGM_RSRC2:TGID_X_EN: 1
; COMPUTE_PGM_RSRC2:TGID_Y_EN: 0
; COMPUTE_PGM_RSRC2:TGID_Z_EN: 0
; COMPUTE_PGM_RSRC2:TIDIG_COMP_CNT: 0
	.section	.text._ZN7rocprim17ROCPRIM_400000_NS6detail17trampoline_kernelINS0_14default_configENS1_29reduce_by_key_config_selectorIjyN6thrust23THRUST_200600_302600_NS4plusIyEEEEZZNS1_33reduce_by_key_impl_wrapped_configILNS1_25lookback_scan_determinismE0ES3_S9_NS6_6detail15normal_iteratorINS6_10device_ptrIjEEEENSD_INSE_IyEEEENS6_16discard_iteratorINS6_11use_defaultEEESI_PmS8_NS6_8equal_toIjEEEE10hipError_tPvRmT2_T3_mT4_T5_T6_T7_T8_P12ihipStream_tbENKUlT_T0_E_clISt17integral_constantIbLb1EES15_IbLb0EEEEDaS11_S12_EUlS11_E_NS1_11comp_targetILNS1_3genE9ELNS1_11target_archE1100ELNS1_3gpuE3ELNS1_3repE0EEENS1_30default_config_static_selectorELNS0_4arch9wavefront6targetE0EEEvT1_,"axG",@progbits,_ZN7rocprim17ROCPRIM_400000_NS6detail17trampoline_kernelINS0_14default_configENS1_29reduce_by_key_config_selectorIjyN6thrust23THRUST_200600_302600_NS4plusIyEEEEZZNS1_33reduce_by_key_impl_wrapped_configILNS1_25lookback_scan_determinismE0ES3_S9_NS6_6detail15normal_iteratorINS6_10device_ptrIjEEEENSD_INSE_IyEEEENS6_16discard_iteratorINS6_11use_defaultEEESI_PmS8_NS6_8equal_toIjEEEE10hipError_tPvRmT2_T3_mT4_T5_T6_T7_T8_P12ihipStream_tbENKUlT_T0_E_clISt17integral_constantIbLb1EES15_IbLb0EEEEDaS11_S12_EUlS11_E_NS1_11comp_targetILNS1_3genE9ELNS1_11target_archE1100ELNS1_3gpuE3ELNS1_3repE0EEENS1_30default_config_static_selectorELNS0_4arch9wavefront6targetE0EEEvT1_,comdat
	.protected	_ZN7rocprim17ROCPRIM_400000_NS6detail17trampoline_kernelINS0_14default_configENS1_29reduce_by_key_config_selectorIjyN6thrust23THRUST_200600_302600_NS4plusIyEEEEZZNS1_33reduce_by_key_impl_wrapped_configILNS1_25lookback_scan_determinismE0ES3_S9_NS6_6detail15normal_iteratorINS6_10device_ptrIjEEEENSD_INSE_IyEEEENS6_16discard_iteratorINS6_11use_defaultEEESI_PmS8_NS6_8equal_toIjEEEE10hipError_tPvRmT2_T3_mT4_T5_T6_T7_T8_P12ihipStream_tbENKUlT_T0_E_clISt17integral_constantIbLb1EES15_IbLb0EEEEDaS11_S12_EUlS11_E_NS1_11comp_targetILNS1_3genE9ELNS1_11target_archE1100ELNS1_3gpuE3ELNS1_3repE0EEENS1_30default_config_static_selectorELNS0_4arch9wavefront6targetE0EEEvT1_ ; -- Begin function _ZN7rocprim17ROCPRIM_400000_NS6detail17trampoline_kernelINS0_14default_configENS1_29reduce_by_key_config_selectorIjyN6thrust23THRUST_200600_302600_NS4plusIyEEEEZZNS1_33reduce_by_key_impl_wrapped_configILNS1_25lookback_scan_determinismE0ES3_S9_NS6_6detail15normal_iteratorINS6_10device_ptrIjEEEENSD_INSE_IyEEEENS6_16discard_iteratorINS6_11use_defaultEEESI_PmS8_NS6_8equal_toIjEEEE10hipError_tPvRmT2_T3_mT4_T5_T6_T7_T8_P12ihipStream_tbENKUlT_T0_E_clISt17integral_constantIbLb1EES15_IbLb0EEEEDaS11_S12_EUlS11_E_NS1_11comp_targetILNS1_3genE9ELNS1_11target_archE1100ELNS1_3gpuE3ELNS1_3repE0EEENS1_30default_config_static_selectorELNS0_4arch9wavefront6targetE0EEEvT1_
	.globl	_ZN7rocprim17ROCPRIM_400000_NS6detail17trampoline_kernelINS0_14default_configENS1_29reduce_by_key_config_selectorIjyN6thrust23THRUST_200600_302600_NS4plusIyEEEEZZNS1_33reduce_by_key_impl_wrapped_configILNS1_25lookback_scan_determinismE0ES3_S9_NS6_6detail15normal_iteratorINS6_10device_ptrIjEEEENSD_INSE_IyEEEENS6_16discard_iteratorINS6_11use_defaultEEESI_PmS8_NS6_8equal_toIjEEEE10hipError_tPvRmT2_T3_mT4_T5_T6_T7_T8_P12ihipStream_tbENKUlT_T0_E_clISt17integral_constantIbLb1EES15_IbLb0EEEEDaS11_S12_EUlS11_E_NS1_11comp_targetILNS1_3genE9ELNS1_11target_archE1100ELNS1_3gpuE3ELNS1_3repE0EEENS1_30default_config_static_selectorELNS0_4arch9wavefront6targetE0EEEvT1_
	.p2align	8
	.type	_ZN7rocprim17ROCPRIM_400000_NS6detail17trampoline_kernelINS0_14default_configENS1_29reduce_by_key_config_selectorIjyN6thrust23THRUST_200600_302600_NS4plusIyEEEEZZNS1_33reduce_by_key_impl_wrapped_configILNS1_25lookback_scan_determinismE0ES3_S9_NS6_6detail15normal_iteratorINS6_10device_ptrIjEEEENSD_INSE_IyEEEENS6_16discard_iteratorINS6_11use_defaultEEESI_PmS8_NS6_8equal_toIjEEEE10hipError_tPvRmT2_T3_mT4_T5_T6_T7_T8_P12ihipStream_tbENKUlT_T0_E_clISt17integral_constantIbLb1EES15_IbLb0EEEEDaS11_S12_EUlS11_E_NS1_11comp_targetILNS1_3genE9ELNS1_11target_archE1100ELNS1_3gpuE3ELNS1_3repE0EEENS1_30default_config_static_selectorELNS0_4arch9wavefront6targetE0EEEvT1_,@function
_ZN7rocprim17ROCPRIM_400000_NS6detail17trampoline_kernelINS0_14default_configENS1_29reduce_by_key_config_selectorIjyN6thrust23THRUST_200600_302600_NS4plusIyEEEEZZNS1_33reduce_by_key_impl_wrapped_configILNS1_25lookback_scan_determinismE0ES3_S9_NS6_6detail15normal_iteratorINS6_10device_ptrIjEEEENSD_INSE_IyEEEENS6_16discard_iteratorINS6_11use_defaultEEESI_PmS8_NS6_8equal_toIjEEEE10hipError_tPvRmT2_T3_mT4_T5_T6_T7_T8_P12ihipStream_tbENKUlT_T0_E_clISt17integral_constantIbLb1EES15_IbLb0EEEEDaS11_S12_EUlS11_E_NS1_11comp_targetILNS1_3genE9ELNS1_11target_archE1100ELNS1_3gpuE3ELNS1_3repE0EEENS1_30default_config_static_selectorELNS0_4arch9wavefront6targetE0EEEvT1_: ; @_ZN7rocprim17ROCPRIM_400000_NS6detail17trampoline_kernelINS0_14default_configENS1_29reduce_by_key_config_selectorIjyN6thrust23THRUST_200600_302600_NS4plusIyEEEEZZNS1_33reduce_by_key_impl_wrapped_configILNS1_25lookback_scan_determinismE0ES3_S9_NS6_6detail15normal_iteratorINS6_10device_ptrIjEEEENSD_INSE_IyEEEENS6_16discard_iteratorINS6_11use_defaultEEESI_PmS8_NS6_8equal_toIjEEEE10hipError_tPvRmT2_T3_mT4_T5_T6_T7_T8_P12ihipStream_tbENKUlT_T0_E_clISt17integral_constantIbLb1EES15_IbLb0EEEEDaS11_S12_EUlS11_E_NS1_11comp_targetILNS1_3genE9ELNS1_11target_archE1100ELNS1_3gpuE3ELNS1_3repE0EEENS1_30default_config_static_selectorELNS0_4arch9wavefront6targetE0EEEvT1_
; %bb.0:
	s_clause 0x2
	s_load_b128 s[4:7], s[0:1], 0x0
	s_load_b512 s[36:51], s[0:1], 0x40
	s_load_b64 s[8:9], s[0:1], 0x10
	s_mov_b32 s3, 0
	s_mul_i32 s2, s15, 0xf00
	s_waitcnt lgkmcnt(0)
	s_lshl_b64 s[10:11], s[6:7], 2
	s_mul_i32 s12, s44, s43
	s_add_u32 s10, s4, s10
	s_addc_u32 s11, s5, s11
	s_lshl_b64 s[4:5], s[6:7], 3
	s_mul_hi_u32 s13, s44, s42
	s_add_u32 s7, s8, s4
	s_mul_i32 s6, s45, s42
	s_addc_u32 s8, s9, s5
	s_add_i32 s9, s13, s12
	s_lshl_b64 s[4:5], s[2:3], 2
	s_add_i32 s9, s9, s6
	s_add_u32 s20, s10, s4
	s_addc_u32 s17, s11, s5
	s_lshl_b64 s[4:5], s[2:3], 3
	s_mul_i32 s2, s44, s42
	s_add_u32 s22, s7, s4
	s_addc_u32 s24, s8, s5
	s_add_u32 s18, s2, s15
	s_addc_u32 s19, s9, 0
	s_add_u32 s4, s46, -1
	s_addc_u32 s5, s47, -1
	s_mul_i32 s33, s4, 0xfffff100
	s_cmp_eq_u64 s[18:19], s[4:5]
	s_cselect_b32 s23, -1, 0
	s_cmp_lg_u64 s[18:19], s[4:5]
	s_cselect_b32 s21, -1, 0
	s_and_b32 vcc_lo, exec_lo, s23
	s_cbranch_vccnz .LBB902_2
; %bb.1:
	v_lshlrev_b32_e32 v5, 2, v0
	v_mul_u32_u24_e32 v47, 15, v0
	v_mad_u32_u24 v58, v0, 15, 1
	v_mad_u32_u24 v53, v0, 15, 2
	;; [unrolled: 1-line block ×3, first 2 shown]
	v_add_co_u32 v1, s2, s20, v5
	s_delay_alu instid0(VALU_DEP_1) | instskip(SKIP_1) | instid1(VALU_DEP_3)
	v_add_co_ci_u32_e64 v2, null, s17, 0, s2
	v_mad_u32_u24 v45, v0, 56, v5
	v_add_co_u32 v3, vcc_lo, 0x1000, v1
	s_delay_alu instid0(VALU_DEP_3)
	v_add_co_ci_u32_e32 v4, vcc_lo, 0, v2, vcc_lo
	s_clause 0x7
	flat_load_b32 v6, v[1:2]
	flat_load_b32 v7, v[1:2] offset:1024
	flat_load_b32 v8, v[1:2] offset:2048
	;; [unrolled: 1-line block ×3, first 2 shown]
	flat_load_b32 v10, v[3:4]
	flat_load_b32 v11, v[3:4] offset:1024
	flat_load_b32 v12, v[3:4] offset:2048
	;; [unrolled: 1-line block ×3, first 2 shown]
	v_add_co_u32 v3, vcc_lo, 0x2000, v1
	v_add_co_ci_u32_e32 v4, vcc_lo, 0, v2, vcc_lo
	v_add_co_u32 v1, vcc_lo, 0x3000, v1
	v_add_co_ci_u32_e32 v2, vcc_lo, 0, v2, vcc_lo
	s_clause 0x6
	flat_load_b32 v14, v[3:4]
	flat_load_b32 v31, v[3:4] offset:1024
	flat_load_b32 v32, v[3:4] offset:2048
	;; [unrolled: 1-line block ×3, first 2 shown]
	flat_load_b32 v4, v[1:2]
	flat_load_b32 v33, v[1:2] offset:1024
	flat_load_b32 v1, v[1:2] offset:2048
	v_lshlrev_b32_e32 v2, 3, v0
	v_mad_u32_u24 v52, v0, 15, 4
	v_mad_u32_u24 v56, v0, 15, 5
	;; [unrolled: 1-line block ×4, first 2 shown]
	v_add_co_u32 v15, s2, s22, v2
	s_delay_alu instid0(VALU_DEP_1) | instskip(SKIP_1) | instid1(VALU_DEP_3)
	v_add_co_ci_u32_e64 v16, null, s24, 0, s2
	v_mad_u32_u24 v48, v0, 15, 8
	v_add_co_u32 v17, vcc_lo, 0x1000, v15
	s_delay_alu instid0(VALU_DEP_3)
	v_add_co_ci_u32_e32 v18, vcc_lo, 0, v16, vcc_lo
	v_add_co_u32 v19, vcc_lo, 0x2000, v15
	v_add_co_ci_u32_e32 v20, vcc_lo, 0, v16, vcc_lo
	v_add_co_u32 v21, vcc_lo, 0x3000, v15
	;; [unrolled: 2-line block ×6, first 2 shown]
	v_add_co_ci_u32_e32 v30, vcc_lo, 0, v16, vcc_lo
	v_mad_u32_u24 v49, v0, 15, 9
	v_mad_u32_u24 v46, v0, 15, 10
	v_mad_i32_i24 v60, 0xffffffcc, v0, v45
	v_mad_u32_u24 v59, v0, 15, 11
	v_mad_u32_u24 v54, v0, 15, 12
	;; [unrolled: 1-line block ×3, first 2 shown]
	s_waitcnt vmcnt(13) lgkmcnt(13)
	ds_store_2addr_stride64_b32 v5, v6, v7 offset1:4
	s_waitcnt vmcnt(11) lgkmcnt(12)
	ds_store_2addr_stride64_b32 v5, v8, v9 offset0:8 offset1:12
	s_waitcnt vmcnt(9) lgkmcnt(11)
	ds_store_2addr_stride64_b32 v5, v10, v11 offset0:16 offset1:20
	;; [unrolled: 2-line block ×6, first 2 shown]
	s_waitcnt vmcnt(0) lgkmcnt(7)
	ds_store_b32 v5, v1 offset:14336
	s_waitcnt lgkmcnt(0)
	s_barrier
	buffer_gl0_inv
	ds_load_2addr_b32 v[13:14], v45 offset1:1
	ds_load_2addr_b32 v[11:12], v45 offset0:2 offset1:3
	ds_load_2addr_b32 v[9:10], v45 offset0:4 offset1:5
	;; [unrolled: 1-line block ×6, first 2 shown]
	ds_load_b32 v81, v45 offset:56
	s_waitcnt lgkmcnt(0)
	s_barrier
	buffer_gl0_inv
	s_clause 0xe
	flat_load_b64 v[31:32], v[15:16]
	flat_load_b64 v[15:16], v[15:16] offset:2048
	flat_load_b64 v[33:34], v[17:18]
	flat_load_b64 v[17:18], v[17:18] offset:2048
	flat_load_b64 v[35:36], v[19:20]
	flat_load_b64 v[19:20], v[19:20] offset:2048
	flat_load_b64 v[37:38], v[21:22]
	flat_load_b64 v[21:22], v[21:22] offset:2048
	flat_load_b64 v[39:40], v[23:24]
	flat_load_b64 v[23:24], v[23:24] offset:2048
	flat_load_b64 v[41:42], v[25:26]
	flat_load_b64 v[25:26], v[25:26] offset:2048
	flat_load_b64 v[43:44], v[27:28]
	flat_load_b64 v[27:28], v[27:28] offset:2048
	flat_load_b64 v[29:30], v[29:30]
	v_mad_u32_u24 v45, v0, 15, 14
	s_waitcnt vmcnt(13) lgkmcnt(13)
	ds_store_2addr_stride64_b64 v60, v[31:32], v[15:16] offset1:4
	s_waitcnt vmcnt(11) lgkmcnt(12)
	ds_store_2addr_stride64_b64 v60, v[33:34], v[17:18] offset0:8 offset1:12
	s_waitcnt vmcnt(9) lgkmcnt(11)
	ds_store_2addr_stride64_b64 v60, v[35:36], v[19:20] offset0:16 offset1:20
	;; [unrolled: 2-line block ×6, first 2 shown]
	s_waitcnt vmcnt(0) lgkmcnt(7)
	ds_store_b64 v60, v[29:30] offset:28672
	s_waitcnt lgkmcnt(0)
	s_barrier
	s_load_b64 s[28:29], s[0:1], 0x80
	s_and_not1_b32 vcc_lo, exec_lo, s3
	s_add_i32 s33, s33, s48
	s_cbranch_vccz .LBB902_3
	s_branch .LBB902_64
.LBB902_2:
                                        ; implicit-def: $vgpr45
                                        ; implicit-def: $vgpr50
                                        ; implicit-def: $vgpr54
                                        ; implicit-def: $vgpr59
                                        ; implicit-def: $vgpr46
                                        ; implicit-def: $vgpr49
                                        ; implicit-def: $vgpr48
                                        ; implicit-def: $vgpr55
                                        ; implicit-def: $vgpr51
                                        ; implicit-def: $vgpr56
                                        ; implicit-def: $vgpr52
                                        ; implicit-def: $vgpr57
                                        ; implicit-def: $vgpr53
                                        ; implicit-def: $vgpr58
                                        ; implicit-def: $vgpr47
                                        ; implicit-def: $vgpr13
                                        ; implicit-def: $vgpr11
                                        ; implicit-def: $vgpr9
                                        ; implicit-def: $vgpr7
                                        ; implicit-def: $vgpr5
                                        ; implicit-def: $vgpr3
                                        ; implicit-def: $vgpr1
                                        ; implicit-def: $vgpr81
	s_load_b64 s[28:29], s[0:1], 0x80
	s_add_i32 s33, s33, s48
.LBB902_3:
	s_delay_alu instid0(SALU_CYCLE_1)
	v_cmp_gt_u32_e32 vcc_lo, s33, v0
                                        ; implicit-def: $vgpr1
	s_and_saveexec_b32 s2, vcc_lo
	s_cbranch_execz .LBB902_5
; %bb.4:
	v_lshlrev_b32_e32 v1, 2, v0
	s_delay_alu instid0(VALU_DEP_1) | instskip(NEXT) | instid1(VALU_DEP_1)
	v_add_co_u32 v1, s3, s20, v1
	v_add_co_ci_u32_e64 v2, null, s17, 0, s3
	flat_load_b32 v1, v[1:2]
.LBB902_5:
	s_or_b32 exec_lo, exec_lo, s2
	v_or_b32_e32 v2, 0x100, v0
	s_delay_alu instid0(VALU_DEP_1) | instskip(NEXT) | instid1(VALU_DEP_1)
	v_cmp_gt_u32_e64 s2, s33, v2
                                        ; implicit-def: $vgpr2
	s_and_saveexec_b32 s3, s2
	s_cbranch_execz .LBB902_7
; %bb.6:
	v_lshlrev_b32_e32 v2, 2, v0
	s_delay_alu instid0(VALU_DEP_1) | instskip(NEXT) | instid1(VALU_DEP_1)
	v_add_co_u32 v2, s4, s20, v2
	v_add_co_ci_u32_e64 v3, null, s17, 0, s4
	flat_load_b32 v2, v[2:3] offset:1024
.LBB902_7:
	s_or_b32 exec_lo, exec_lo, s3
	v_or_b32_e32 v21, 0x200, v0
                                        ; implicit-def: $vgpr3
	s_delay_alu instid0(VALU_DEP_1) | instskip(NEXT) | instid1(VALU_DEP_1)
	v_cmp_gt_u32_e64 s3, s33, v21
	s_and_saveexec_b32 s4, s3
	s_cbranch_execz .LBB902_9
; %bb.8:
	v_lshlrev_b32_e32 v3, 2, v0
	s_delay_alu instid0(VALU_DEP_1) | instskip(NEXT) | instid1(VALU_DEP_1)
	v_add_co_u32 v3, s5, s20, v3
	v_add_co_ci_u32_e64 v4, null, s17, 0, s5
	flat_load_b32 v3, v[3:4] offset:2048
.LBB902_9:
	s_or_b32 exec_lo, exec_lo, s4
	v_or_b32_e32 v23, 0x300, v0
                                        ; implicit-def: $vgpr4
	s_delay_alu instid0(VALU_DEP_1) | instskip(NEXT) | instid1(VALU_DEP_1)
	v_cmp_gt_u32_e64 s4, s33, v23
	s_and_saveexec_b32 s5, s4
	s_cbranch_execz .LBB902_11
; %bb.10:
	v_lshlrev_b32_e32 v4, 2, v0
	s_delay_alu instid0(VALU_DEP_1) | instskip(NEXT) | instid1(VALU_DEP_1)
	v_add_co_u32 v4, s6, s20, v4
	v_add_co_ci_u32_e64 v5, null, s17, 0, s6
	flat_load_b32 v4, v[4:5] offset:3072
.LBB902_11:
	s_or_b32 exec_lo, exec_lo, s5
	v_or_b32_e32 v25, 0x400, v0
                                        ; implicit-def: $vgpr5
	s_delay_alu instid0(VALU_DEP_1) | instskip(NEXT) | instid1(VALU_DEP_1)
	v_cmp_gt_u32_e64 s5, s33, v25
	s_and_saveexec_b32 s6, s5
	s_cbranch_execz .LBB902_13
; %bb.12:
	v_lshlrev_b32_e32 v5, 2, v25
	s_delay_alu instid0(VALU_DEP_1) | instskip(NEXT) | instid1(VALU_DEP_1)
	v_add_co_u32 v5, s7, s20, v5
	v_add_co_ci_u32_e64 v6, null, s17, 0, s7
	flat_load_b32 v5, v[5:6]
.LBB902_13:
	s_or_b32 exec_lo, exec_lo, s6
	v_or_b32_e32 v27, 0x500, v0
                                        ; implicit-def: $vgpr6
	s_delay_alu instid0(VALU_DEP_1) | instskip(NEXT) | instid1(VALU_DEP_1)
	v_cmp_gt_u32_e64 s6, s33, v27
	s_and_saveexec_b32 s7, s6
	s_cbranch_execz .LBB902_15
; %bb.14:
	v_lshlrev_b32_e32 v6, 2, v27
	s_delay_alu instid0(VALU_DEP_1) | instskip(NEXT) | instid1(VALU_DEP_1)
	v_add_co_u32 v6, s8, s20, v6
	v_add_co_ci_u32_e64 v7, null, s17, 0, s8
	flat_load_b32 v6, v[6:7]
.LBB902_15:
	s_or_b32 exec_lo, exec_lo, s7
	v_or_b32_e32 v29, 0x600, v0
                                        ; implicit-def: $vgpr7
	s_delay_alu instid0(VALU_DEP_1) | instskip(NEXT) | instid1(VALU_DEP_1)
	v_cmp_gt_u32_e64 s7, s33, v29
	s_and_saveexec_b32 s8, s7
	s_cbranch_execz .LBB902_17
; %bb.16:
	v_lshlrev_b32_e32 v7, 2, v29
	s_delay_alu instid0(VALU_DEP_1) | instskip(NEXT) | instid1(VALU_DEP_1)
	v_add_co_u32 v7, s9, s20, v7
	v_add_co_ci_u32_e64 v8, null, s17, 0, s9
	flat_load_b32 v7, v[7:8]
.LBB902_17:
	s_or_b32 exec_lo, exec_lo, s8
	v_or_b32_e32 v31, 0x700, v0
                                        ; implicit-def: $vgpr8
	s_delay_alu instid0(VALU_DEP_1) | instskip(NEXT) | instid1(VALU_DEP_1)
	v_cmp_gt_u32_e64 s8, s33, v31
	s_and_saveexec_b32 s9, s8
	s_cbranch_execz .LBB902_19
; %bb.18:
	v_lshlrev_b32_e32 v8, 2, v31
	s_delay_alu instid0(VALU_DEP_1) | instskip(NEXT) | instid1(VALU_DEP_1)
	v_add_co_u32 v8, s10, s20, v8
	v_add_co_ci_u32_e64 v9, null, s17, 0, s10
	flat_load_b32 v8, v[8:9]
.LBB902_19:
	s_or_b32 exec_lo, exec_lo, s9
	v_or_b32_e32 v33, 0x800, v0
                                        ; implicit-def: $vgpr9
	s_delay_alu instid0(VALU_DEP_1) | instskip(NEXT) | instid1(VALU_DEP_1)
	v_cmp_gt_u32_e64 s9, s33, v33
	s_and_saveexec_b32 s10, s9
	s_cbranch_execz .LBB902_21
; %bb.20:
	v_lshlrev_b32_e32 v9, 2, v33
	s_delay_alu instid0(VALU_DEP_1) | instskip(NEXT) | instid1(VALU_DEP_1)
	v_add_co_u32 v9, s11, s20, v9
	v_add_co_ci_u32_e64 v10, null, s17, 0, s11
	flat_load_b32 v9, v[9:10]
.LBB902_21:
	s_or_b32 exec_lo, exec_lo, s10
	v_or_b32_e32 v35, 0x900, v0
                                        ; implicit-def: $vgpr10
	s_delay_alu instid0(VALU_DEP_1) | instskip(NEXT) | instid1(VALU_DEP_1)
	v_cmp_gt_u32_e64 s10, s33, v35
	s_and_saveexec_b32 s11, s10
	s_cbranch_execz .LBB902_23
; %bb.22:
	v_lshlrev_b32_e32 v10, 2, v35
	s_delay_alu instid0(VALU_DEP_1) | instskip(NEXT) | instid1(VALU_DEP_1)
	v_add_co_u32 v10, s12, s20, v10
	v_add_co_ci_u32_e64 v11, null, s17, 0, s12
	flat_load_b32 v10, v[10:11]
.LBB902_23:
	s_or_b32 exec_lo, exec_lo, s11
	v_or_b32_e32 v37, 0xa00, v0
                                        ; implicit-def: $vgpr11
	s_delay_alu instid0(VALU_DEP_1) | instskip(NEXT) | instid1(VALU_DEP_1)
	v_cmp_gt_u32_e64 s11, s33, v37
	s_and_saveexec_b32 s12, s11
	s_cbranch_execz .LBB902_25
; %bb.24:
	v_lshlrev_b32_e32 v11, 2, v37
	s_delay_alu instid0(VALU_DEP_1) | instskip(NEXT) | instid1(VALU_DEP_1)
	v_add_co_u32 v11, s13, s20, v11
	v_add_co_ci_u32_e64 v12, null, s17, 0, s13
	flat_load_b32 v11, v[11:12]
.LBB902_25:
	s_or_b32 exec_lo, exec_lo, s12
	v_or_b32_e32 v39, 0xb00, v0
                                        ; implicit-def: $vgpr12
	s_delay_alu instid0(VALU_DEP_1) | instskip(NEXT) | instid1(VALU_DEP_1)
	v_cmp_gt_u32_e64 s12, s33, v39
	s_and_saveexec_b32 s13, s12
	s_cbranch_execz .LBB902_27
; %bb.26:
	v_lshlrev_b32_e32 v12, 2, v39
	s_delay_alu instid0(VALU_DEP_1) | instskip(NEXT) | instid1(VALU_DEP_1)
	v_add_co_u32 v12, s14, s20, v12
	v_add_co_ci_u32_e64 v13, null, s17, 0, s14
	flat_load_b32 v12, v[12:13]
.LBB902_27:
	s_or_b32 exec_lo, exec_lo, s13
	v_or_b32_e32 v41, 0xc00, v0
                                        ; implicit-def: $vgpr13
	s_delay_alu instid0(VALU_DEP_1) | instskip(NEXT) | instid1(VALU_DEP_1)
	v_cmp_gt_u32_e64 s13, s33, v41
	s_and_saveexec_b32 s14, s13
	s_cbranch_execz .LBB902_29
; %bb.28:
	v_lshlrev_b32_e32 v13, 2, v41
	s_delay_alu instid0(VALU_DEP_1) | instskip(NEXT) | instid1(VALU_DEP_1)
	v_add_co_u32 v13, s16, s20, v13
	v_add_co_ci_u32_e64 v14, null, s17, 0, s16
	flat_load_b32 v13, v[13:14]
.LBB902_29:
	s_or_b32 exec_lo, exec_lo, s14
	v_or_b32_e32 v43, 0xd00, v0
                                        ; implicit-def: $vgpr14
	s_delay_alu instid0(VALU_DEP_1) | instskip(NEXT) | instid1(VALU_DEP_1)
	v_cmp_gt_u32_e64 s14, s33, v43
	s_and_saveexec_b32 s16, s14
	s_cbranch_execz .LBB902_31
; %bb.30:
	v_lshlrev_b32_e32 v14, 2, v43
	s_delay_alu instid0(VALU_DEP_1) | instskip(NEXT) | instid1(VALU_DEP_1)
	v_add_co_u32 v14, s25, s20, v14
	v_add_co_ci_u32_e64 v15, null, s17, 0, s25
	flat_load_b32 v14, v[14:15]
.LBB902_31:
	s_or_b32 exec_lo, exec_lo, s16
	v_or_b32_e32 v46, 0xe00, v0
                                        ; implicit-def: $vgpr15
	s_delay_alu instid0(VALU_DEP_1) | instskip(NEXT) | instid1(VALU_DEP_1)
	v_cmp_gt_u32_e64 s16, s33, v46
	s_and_saveexec_b32 s25, s16
	s_cbranch_execz .LBB902_33
; %bb.32:
	v_lshlrev_b32_e32 v15, 2, v46
	s_delay_alu instid0(VALU_DEP_1) | instskip(NEXT) | instid1(VALU_DEP_1)
	v_add_co_u32 v15, s26, s20, v15
	v_add_co_ci_u32_e64 v16, null, s17, 0, s26
	flat_load_b32 v15, v[15:16]
.LBB902_33:
	s_or_b32 exec_lo, exec_lo, s25
	v_lshlrev_b32_e32 v16, 2, v0
	s_waitcnt vmcnt(0) lgkmcnt(0)
	ds_store_2addr_stride64_b32 v16, v1, v2 offset1:4
	ds_store_2addr_stride64_b32 v16, v3, v4 offset0:8 offset1:12
	ds_store_2addr_stride64_b32 v16, v5, v6 offset0:16 offset1:20
	;; [unrolled: 1-line block ×6, first 2 shown]
	v_mad_u32_u24 v45, v0, 56, v16
	ds_store_b32 v16, v15 offset:14336
	s_waitcnt lgkmcnt(0)
	s_barrier
	buffer_gl0_inv
	ds_load_2addr_b32 v[13:14], v45 offset1:1
	ds_load_2addr_b32 v[11:12], v45 offset0:2 offset1:3
	ds_load_2addr_b32 v[9:10], v45 offset0:4 offset1:5
	;; [unrolled: 1-line block ×6, first 2 shown]
	ds_load_b32 v81, v45 offset:56
	s_waitcnt lgkmcnt(0)
	s_barrier
	buffer_gl0_inv
                                        ; implicit-def: $vgpr15_vgpr16
	s_and_saveexec_b32 s25, vcc_lo
	s_cbranch_execz .LBB902_47
; %bb.34:
	v_lshlrev_b32_e32 v15, 3, v0
	s_delay_alu instid0(VALU_DEP_1) | instskip(NEXT) | instid1(VALU_DEP_1)
	v_add_co_u32 v15, s26, s22, v15
	v_add_co_ci_u32_e64 v16, null, s24, 0, s26
	flat_load_b64 v[15:16], v[15:16]
	s_or_b32 exec_lo, exec_lo, s25
                                        ; implicit-def: $vgpr17_vgpr18
	s_and_saveexec_b32 s25, s2
	s_cbranch_execnz .LBB902_48
.LBB902_35:
	s_or_b32 exec_lo, exec_lo, s25
                                        ; implicit-def: $vgpr19_vgpr20
	s_and_saveexec_b32 s2, s3
	s_cbranch_execz .LBB902_49
.LBB902_36:
	v_lshlrev_b32_e32 v19, 3, v21
	s_delay_alu instid0(VALU_DEP_1) | instskip(NEXT) | instid1(VALU_DEP_1)
	v_add_co_u32 v19, s3, s22, v19
	v_add_co_ci_u32_e64 v20, null, s24, 0, s3
	flat_load_b64 v[19:20], v[19:20]
	s_or_b32 exec_lo, exec_lo, s2
                                        ; implicit-def: $vgpr21_vgpr22
	s_and_saveexec_b32 s2, s4
	s_cbranch_execnz .LBB902_50
.LBB902_37:
	s_or_b32 exec_lo, exec_lo, s2
                                        ; implicit-def: $vgpr23_vgpr24
	s_and_saveexec_b32 s2, s5
	s_cbranch_execz .LBB902_51
.LBB902_38:
	v_lshlrev_b32_e32 v23, 3, v25
	s_delay_alu instid0(VALU_DEP_1) | instskip(NEXT) | instid1(VALU_DEP_1)
	v_add_co_u32 v23, s3, s22, v23
	v_add_co_ci_u32_e64 v24, null, s24, 0, s3
	flat_load_b64 v[23:24], v[23:24]
	s_or_b32 exec_lo, exec_lo, s2
                                        ; implicit-def: $vgpr25_vgpr26
	s_and_saveexec_b32 s2, s6
	s_cbranch_execnz .LBB902_52
.LBB902_39:
	s_or_b32 exec_lo, exec_lo, s2
                                        ; implicit-def: $vgpr27_vgpr28
	s_and_saveexec_b32 s2, s7
	s_cbranch_execz .LBB902_53
.LBB902_40:
	v_lshlrev_b32_e32 v27, 3, v29
	s_delay_alu instid0(VALU_DEP_1) | instskip(NEXT) | instid1(VALU_DEP_1)
	v_add_co_u32 v27, s3, s22, v27
	v_add_co_ci_u32_e64 v28, null, s24, 0, s3
	flat_load_b64 v[27:28], v[27:28]
	s_or_b32 exec_lo, exec_lo, s2
                                        ; implicit-def: $vgpr29_vgpr30
	s_and_saveexec_b32 s2, s8
	s_cbranch_execnz .LBB902_54
.LBB902_41:
	s_or_b32 exec_lo, exec_lo, s2
                                        ; implicit-def: $vgpr31_vgpr32
	s_and_saveexec_b32 s2, s9
	s_cbranch_execz .LBB902_55
.LBB902_42:
	v_lshlrev_b32_e32 v31, 3, v33
	s_delay_alu instid0(VALU_DEP_1) | instskip(NEXT) | instid1(VALU_DEP_1)
	v_add_co_u32 v31, s3, s22, v31
	v_add_co_ci_u32_e64 v32, null, s24, 0, s3
	flat_load_b64 v[31:32], v[31:32]
	s_or_b32 exec_lo, exec_lo, s2
                                        ; implicit-def: $vgpr33_vgpr34
	s_and_saveexec_b32 s2, s10
	s_cbranch_execnz .LBB902_56
.LBB902_43:
	s_or_b32 exec_lo, exec_lo, s2
                                        ; implicit-def: $vgpr35_vgpr36
	s_and_saveexec_b32 s2, s11
	s_cbranch_execz .LBB902_57
.LBB902_44:
	v_lshlrev_b32_e32 v35, 3, v37
	s_delay_alu instid0(VALU_DEP_1) | instskip(NEXT) | instid1(VALU_DEP_1)
	v_add_co_u32 v35, s3, s22, v35
	v_add_co_ci_u32_e64 v36, null, s24, 0, s3
	flat_load_b64 v[35:36], v[35:36]
	s_or_b32 exec_lo, exec_lo, s2
                                        ; implicit-def: $vgpr37_vgpr38
	s_and_saveexec_b32 s2, s12
	s_cbranch_execnz .LBB902_58
.LBB902_45:
	s_or_b32 exec_lo, exec_lo, s2
                                        ; implicit-def: $vgpr39_vgpr40
	s_and_saveexec_b32 s2, s13
	s_cbranch_execz .LBB902_59
.LBB902_46:
	v_lshlrev_b32_e32 v39, 3, v41
	s_delay_alu instid0(VALU_DEP_1) | instskip(NEXT) | instid1(VALU_DEP_1)
	v_add_co_u32 v39, s3, s22, v39
	v_add_co_ci_u32_e64 v40, null, s24, 0, s3
	flat_load_b64 v[39:40], v[39:40]
	s_or_b32 exec_lo, exec_lo, s2
                                        ; implicit-def: $vgpr41_vgpr42
	s_and_saveexec_b32 s2, s14
	s_cbranch_execz .LBB902_61
	s_branch .LBB902_60
.LBB902_47:
	s_or_b32 exec_lo, exec_lo, s25
                                        ; implicit-def: $vgpr17_vgpr18
	s_and_saveexec_b32 s25, s2
	s_cbranch_execz .LBB902_35
.LBB902_48:
	v_lshlrev_b32_e32 v17, 3, v0
	s_delay_alu instid0(VALU_DEP_1) | instskip(NEXT) | instid1(VALU_DEP_1)
	v_add_co_u32 v17, s2, s22, v17
	v_add_co_ci_u32_e64 v18, null, s24, 0, s2
	flat_load_b64 v[17:18], v[17:18] offset:2048
	s_or_b32 exec_lo, exec_lo, s25
                                        ; implicit-def: $vgpr19_vgpr20
	s_and_saveexec_b32 s2, s3
	s_cbranch_execnz .LBB902_36
.LBB902_49:
	s_or_b32 exec_lo, exec_lo, s2
                                        ; implicit-def: $vgpr21_vgpr22
	s_and_saveexec_b32 s2, s4
	s_cbranch_execz .LBB902_37
.LBB902_50:
	v_lshlrev_b32_e32 v21, 3, v23
	s_delay_alu instid0(VALU_DEP_1) | instskip(NEXT) | instid1(VALU_DEP_1)
	v_add_co_u32 v21, s3, s22, v21
	v_add_co_ci_u32_e64 v22, null, s24, 0, s3
	flat_load_b64 v[21:22], v[21:22]
	s_or_b32 exec_lo, exec_lo, s2
                                        ; implicit-def: $vgpr23_vgpr24
	s_and_saveexec_b32 s2, s5
	s_cbranch_execnz .LBB902_38
.LBB902_51:
	s_or_b32 exec_lo, exec_lo, s2
                                        ; implicit-def: $vgpr25_vgpr26
	s_and_saveexec_b32 s2, s6
	s_cbranch_execz .LBB902_39
.LBB902_52:
	v_lshlrev_b32_e32 v25, 3, v27
	s_delay_alu instid0(VALU_DEP_1) | instskip(NEXT) | instid1(VALU_DEP_1)
	v_add_co_u32 v25, s3, s22, v25
	v_add_co_ci_u32_e64 v26, null, s24, 0, s3
	flat_load_b64 v[25:26], v[25:26]
	s_or_b32 exec_lo, exec_lo, s2
                                        ; implicit-def: $vgpr27_vgpr28
	s_and_saveexec_b32 s2, s7
	s_cbranch_execnz .LBB902_40
.LBB902_53:
	s_or_b32 exec_lo, exec_lo, s2
                                        ; implicit-def: $vgpr29_vgpr30
	s_and_saveexec_b32 s2, s8
	s_cbranch_execz .LBB902_41
.LBB902_54:
	v_lshlrev_b32_e32 v29, 3, v31
	s_delay_alu instid0(VALU_DEP_1) | instskip(NEXT) | instid1(VALU_DEP_1)
	v_add_co_u32 v29, s3, s22, v29
	v_add_co_ci_u32_e64 v30, null, s24, 0, s3
	flat_load_b64 v[29:30], v[29:30]
	s_or_b32 exec_lo, exec_lo, s2
                                        ; implicit-def: $vgpr31_vgpr32
	s_and_saveexec_b32 s2, s9
	s_cbranch_execnz .LBB902_42
.LBB902_55:
	s_or_b32 exec_lo, exec_lo, s2
                                        ; implicit-def: $vgpr33_vgpr34
	s_and_saveexec_b32 s2, s10
	s_cbranch_execz .LBB902_43
.LBB902_56:
	v_lshlrev_b32_e32 v33, 3, v35
	s_delay_alu instid0(VALU_DEP_1) | instskip(NEXT) | instid1(VALU_DEP_1)
	v_add_co_u32 v33, s3, s22, v33
	v_add_co_ci_u32_e64 v34, null, s24, 0, s3
	flat_load_b64 v[33:34], v[33:34]
	s_or_b32 exec_lo, exec_lo, s2
                                        ; implicit-def: $vgpr35_vgpr36
	s_and_saveexec_b32 s2, s11
	s_cbranch_execnz .LBB902_44
.LBB902_57:
	s_or_b32 exec_lo, exec_lo, s2
                                        ; implicit-def: $vgpr37_vgpr38
	s_and_saveexec_b32 s2, s12
	s_cbranch_execz .LBB902_45
.LBB902_58:
	v_lshlrev_b32_e32 v37, 3, v39
	s_delay_alu instid0(VALU_DEP_1) | instskip(NEXT) | instid1(VALU_DEP_1)
	v_add_co_u32 v37, s3, s22, v37
	v_add_co_ci_u32_e64 v38, null, s24, 0, s3
	flat_load_b64 v[37:38], v[37:38]
	s_or_b32 exec_lo, exec_lo, s2
                                        ; implicit-def: $vgpr39_vgpr40
	s_and_saveexec_b32 s2, s13
	s_cbranch_execnz .LBB902_46
.LBB902_59:
	s_or_b32 exec_lo, exec_lo, s2
                                        ; implicit-def: $vgpr41_vgpr42
	s_and_saveexec_b32 s2, s14
	s_cbranch_execz .LBB902_61
.LBB902_60:
	v_lshlrev_b32_e32 v41, 3, v43
	s_delay_alu instid0(VALU_DEP_1) | instskip(NEXT) | instid1(VALU_DEP_1)
	v_add_co_u32 v41, s3, s22, v41
	v_add_co_ci_u32_e64 v42, null, s24, 0, s3
	flat_load_b64 v[41:42], v[41:42]
.LBB902_61:
	s_or_b32 exec_lo, exec_lo, s2
	v_mul_u32_u24_e32 v47, 15, v0
                                        ; implicit-def: $vgpr43_vgpr44
	s_and_saveexec_b32 s2, s16
	s_cbranch_execz .LBB902_63
; %bb.62:
	v_lshlrev_b32_e32 v43, 3, v46
	s_delay_alu instid0(VALU_DEP_1) | instskip(NEXT) | instid1(VALU_DEP_1)
	v_add_co_u32 v43, s3, s22, v43
	v_add_co_ci_u32_e64 v44, null, s24, 0, s3
	flat_load_b64 v[43:44], v[43:44]
.LBB902_63:
	s_or_b32 exec_lo, exec_lo, s2
	s_delay_alu instid0(VALU_DEP_1)
	v_add_nc_u32_e32 v58, 1, v47
	v_add_nc_u32_e32 v53, 2, v47
	v_add_nc_u32_e32 v57, 3, v47
	v_add_nc_u32_e32 v52, 4, v47
	v_add_nc_u32_e32 v56, 5, v47
	v_add_nc_u32_e32 v51, 6, v47
	v_add_nc_u32_e32 v55, 7, v47
	v_add_nc_u32_e32 v48, 8, v47
	v_add_nc_u32_e32 v49, 9, v47
	v_add_nc_u32_e32 v46, 10, v47
	v_mad_i32_i24 v60, 0xffffffcc, v0, v45
	v_add_nc_u32_e32 v59, 11, v47
	v_add_nc_u32_e32 v54, 12, v47
	;; [unrolled: 1-line block ×4, first 2 shown]
	s_waitcnt vmcnt(0) lgkmcnt(0)
	ds_store_2addr_stride64_b64 v60, v[15:16], v[17:18] offset1:4
	ds_store_2addr_stride64_b64 v60, v[19:20], v[21:22] offset0:8 offset1:12
	ds_store_2addr_stride64_b64 v60, v[23:24], v[25:26] offset0:16 offset1:20
	;; [unrolled: 1-line block ×6, first 2 shown]
	ds_store_b64 v60, v[43:44] offset:28672
	s_waitcnt lgkmcnt(0)
	s_barrier
.LBB902_64:
	v_lshlrev_b32_e32 v15, 3, v47
	v_lshlrev_b32_e32 v16, 3, v58
	;; [unrolled: 1-line block ×5, first 2 shown]
	s_waitcnt lgkmcnt(0)
	buffer_gl0_inv
	v_lshlrev_b32_e32 v20, 3, v56
	v_lshlrev_b32_e32 v21, 3, v51
	;; [unrolled: 1-line block ×3, first 2 shown]
	ds_load_b64 v[41:42], v15
	ds_load_b64 v[39:40], v16
	;; [unrolled: 1-line block ×8, first 2 shown]
	v_lshlrev_b32_e32 v15, 3, v48
	v_lshlrev_b32_e32 v16, 3, v49
	v_lshlrev_b32_e32 v17, 3, v46
	v_lshlrev_b32_e32 v18, 3, v59
	v_lshlrev_b32_e32 v43, 3, v54
	v_lshlrev_b32_e32 v44, 3, v50
	v_lshlrev_b32_e32 v45, 3, v45
	ds_load_b64 v[29:30], v15
	ds_load_b64 v[25:26], v16
	;; [unrolled: 1-line block ×7, first 2 shown]
	s_load_b128 s[24:27], s[0:1], 0x28
	s_cmp_eq_u64 s[18:19], 0
	s_waitcnt lgkmcnt(0)
	s_cselect_b32 s34, -1, 0
	s_cmp_lg_u64 s[18:19], 0
	s_barrier
	s_cselect_b32 s14, -1, 0
	s_and_b32 vcc_lo, exec_lo, s21
	buffer_gl0_inv
	s_cbranch_vccz .LBB902_70
; %bb.65:
	s_and_b32 vcc_lo, exec_lo, s14
	s_cbranch_vccz .LBB902_187
; %bb.66:
	v_add_co_u32 v45, s0, -4, s20
	s_delay_alu instid0(VALU_DEP_1)
	v_add_co_ci_u32_e64 v46, null, -1, s17, s0
	v_cmp_ne_u32_e32 vcc_lo, v2, v81
	v_cmp_ne_u32_e64 s0, v1, v2
	v_cmp_ne_u32_e64 s1, v4, v1
	flat_load_b32 v45, v[45:46]
	v_lshlrev_b32_e32 v46, 2, v0
	v_cmp_ne_u32_e64 s2, v3, v4
	v_cmp_ne_u32_e64 s3, v6, v3
	v_cmp_ne_u32_e64 s4, v5, v6
	v_cmp_ne_u32_e64 s5, v8, v5
	v_cmp_ne_u32_e64 s6, v7, v8
	v_cmp_ne_u32_e64 s7, v10, v7
	v_cmp_ne_u32_e64 s8, v9, v10
	v_cmp_ne_u32_e64 s9, v12, v9
	v_cmp_ne_u32_e64 s10, v11, v12
	v_cmp_ne_u32_e64 s11, v14, v11
	v_cmp_ne_u32_e64 s12, v13, v14
	s_mov_b32 s35, -1
	s_mov_b32 s16, 0
	s_mov_b32 s21, exec_lo
	ds_store_b32 v46, v81
	s_waitcnt vmcnt(0) lgkmcnt(0)
	s_barrier
	buffer_gl0_inv
	v_cmpx_ne_u32_e32 0, v0
	s_cbranch_execz .LBB902_68
; %bb.67:
	v_add_nc_u32_e32 v45, -4, v46
	ds_load_b32 v45, v45
.LBB902_68:
	s_or_b32 exec_lo, exec_lo, s21
	v_cndmask_b32_e64 v89, 0, 1, vcc_lo
	v_cndmask_b32_e64 v82, 0, 1, s0
	v_cndmask_b32_e64 v83, 0, 1, s1
	;; [unrolled: 1-line block ×13, first 2 shown]
	s_waitcnt lgkmcnt(0)
	v_cmp_ne_u32_e64 s0, v45, v13
	s_and_b32 vcc_lo, exec_lo, s16
	s_cbranch_vccnz .LBB902_188
.LBB902_69:
                                        ; implicit-def: $sgpr1
	s_branch .LBB902_71
.LBB902_70:
	s_mov_b32 s35, 0
                                        ; implicit-def: $sgpr0
                                        ; implicit-def: $vgpr89
                                        ; implicit-def: $vgpr82
                                        ; implicit-def: $vgpr83
                                        ; implicit-def: $vgpr84
                                        ; implicit-def: $vgpr85
                                        ; implicit-def: $vgpr86
                                        ; implicit-def: $vgpr87
                                        ; implicit-def: $vgpr88
                                        ; implicit-def: $vgpr90
                                        ; implicit-def: $vgpr91
                                        ; implicit-def: $vgpr92
                                        ; implicit-def: $vgpr93
                                        ; implicit-def: $vgpr94
                                        ; implicit-def: $vgpr95
                                        ; implicit-def: $sgpr1
	s_cbranch_execnz .LBB902_191
.LBB902_71:
	v_mov_b32_e32 v96, s1
	s_and_saveexec_b32 s1, s35
.LBB902_72:
	v_cndmask_b32_e64 v96, 0, 1, s0
.LBB902_73:
	s_or_b32 exec_lo, exec_lo, s1
	s_delay_alu instid0(VALU_DEP_1)
	v_add3_u32 v45, v95, v96, v94
	v_cmp_eq_u32_e64 s12, 0, v95
	v_cmp_eq_u32_e64 s11, 0, v94
	;; [unrolled: 1-line block ×4, first 2 shown]
	v_add3_u32 v99, v45, v93, v92
	v_cmp_eq_u32_e64 s8, 0, v91
	v_cmp_eq_u32_e64 s7, 0, v90
	;; [unrolled: 1-line block ×9, first 2 shown]
	v_cmp_eq_u32_e32 vcc_lo, 0, v89
	v_mbcnt_lo_u32_b32 v97, -1, 0
	s_cmp_eq_u64 s[42:43], 0
	s_cselect_b32 s14, -1, 0
	s_cmp_lg_u32 s15, 0
	s_cbranch_scc0 .LBB902_140
; %bb.74:
	v_cndmask_b32_e64 v45, 0, v41, s12
	v_cndmask_b32_e64 v46, 0, v42, s12
	v_add3_u32 v47, v99, v91, v90
	s_delay_alu instid0(VALU_DEP_3) | instskip(NEXT) | instid1(VALU_DEP_1)
	v_add_co_u32 v45, s13, v45, v39
	v_add_co_ci_u32_e64 v46, s13, v46, v40, s13
	s_delay_alu instid0(VALU_DEP_3) | instskip(NEXT) | instid1(VALU_DEP_3)
	v_add3_u32 v47, v47, v88, v87
	v_cndmask_b32_e64 v45, 0, v45, s11
	s_delay_alu instid0(VALU_DEP_3) | instskip(NEXT) | instid1(VALU_DEP_3)
	v_cndmask_b32_e64 v46, 0, v46, s11
	v_add3_u32 v47, v47, v86, v85
	s_delay_alu instid0(VALU_DEP_3) | instskip(NEXT) | instid1(VALU_DEP_1)
	v_add_co_u32 v45, s13, v45, v37
	v_add_co_ci_u32_e64 v46, s13, v46, v38, s13
	s_delay_alu instid0(VALU_DEP_3) | instskip(NEXT) | instid1(VALU_DEP_3)
	v_add3_u32 v47, v47, v84, v83
	v_cndmask_b32_e64 v45, 0, v45, s10
	s_delay_alu instid0(VALU_DEP_3) | instskip(NEXT) | instid1(VALU_DEP_3)
	v_cndmask_b32_e64 v46, 0, v46, s10
	v_add3_u32 v49, v47, v82, v89
	s_delay_alu instid0(VALU_DEP_3) | instskip(NEXT) | instid1(VALU_DEP_1)
	v_add_co_u32 v45, s13, v45, v35
	v_add_co_ci_u32_e64 v46, s13, v46, v36, s13
	s_delay_alu instid0(VALU_DEP_2) | instskip(NEXT) | instid1(VALU_DEP_2)
	v_cndmask_b32_e64 v45, 0, v45, s9
	v_cndmask_b32_e64 v46, 0, v46, s9
	s_delay_alu instid0(VALU_DEP_2) | instskip(NEXT) | instid1(VALU_DEP_1)
	v_add_co_u32 v45, s13, v45, v33
	v_add_co_ci_u32_e64 v46, s13, v46, v34, s13
	s_delay_alu instid0(VALU_DEP_2) | instskip(NEXT) | instid1(VALU_DEP_2)
	v_cndmask_b32_e64 v45, 0, v45, s8
	v_cndmask_b32_e64 v46, 0, v46, s8
	s_delay_alu instid0(VALU_DEP_2) | instskip(NEXT) | instid1(VALU_DEP_1)
	;; [unrolled: 6-line block ×10, first 2 shown]
	v_add_co_u32 v45, s13, v45, v15
	v_add_co_ci_u32_e64 v46, s13, v46, v16, s13
	s_mov_b32 s13, exec_lo
	s_delay_alu instid0(VALU_DEP_1) | instskip(NEXT) | instid1(VALU_DEP_1)
	v_dual_cndmask_b32 v45, 0, v45 :: v_dual_cndmask_b32 v46, 0, v46
	v_add_co_u32 v47, vcc_lo, v45, v43
	s_delay_alu instid0(VALU_DEP_2) | instskip(SKIP_2) | instid1(VALU_DEP_4)
	v_add_co_ci_u32_e32 v48, vcc_lo, v46, v44, vcc_lo
	v_and_b32_e32 v45, 15, v97
	v_mov_b32_dpp v46, v49 row_shr:1 row_mask:0xf bank_mask:0xf
	v_mov_b32_dpp v50, v47 row_shr:1 row_mask:0xf bank_mask:0xf
	s_delay_alu instid0(VALU_DEP_4) | instskip(NEXT) | instid1(VALU_DEP_4)
	v_mov_b32_dpp v51, v48 row_shr:1 row_mask:0xf bank_mask:0xf
	v_cmpx_ne_u32_e32 0, v45
; %bb.75:
	v_cmp_eq_u32_e32 vcc_lo, 0, v49
	v_add_nc_u32_e32 v49, v46, v49
	s_delay_alu instid0(VALU_DEP_4) | instskip(NEXT) | instid1(VALU_DEP_1)
	v_dual_cndmask_b32 v51, 0, v51 :: v_dual_cndmask_b32 v50, 0, v50
	v_add_co_u32 v47, vcc_lo, v50, v47
	s_delay_alu instid0(VALU_DEP_2)
	v_add_co_ci_u32_e32 v48, vcc_lo, v51, v48, vcc_lo
; %bb.76:
	s_or_b32 exec_lo, exec_lo, s13
	v_mov_b32_dpp v46, v49 row_shr:2 row_mask:0xf bank_mask:0xf
	s_delay_alu instid0(VALU_DEP_3) | instskip(NEXT) | instid1(VALU_DEP_3)
	v_mov_b32_dpp v50, v47 row_shr:2 row_mask:0xf bank_mask:0xf
	v_mov_b32_dpp v51, v48 row_shr:2 row_mask:0xf bank_mask:0xf
	s_mov_b32 s13, exec_lo
	v_cmpx_lt_u32_e32 1, v45
; %bb.77:
	v_cmp_eq_u32_e32 vcc_lo, 0, v49
	v_add_nc_u32_e32 v49, v46, v49
	v_dual_cndmask_b32 v51, 0, v51 :: v_dual_cndmask_b32 v50, 0, v50
	s_delay_alu instid0(VALU_DEP_1) | instskip(NEXT) | instid1(VALU_DEP_2)
	v_add_co_u32 v47, vcc_lo, v50, v47
	v_add_co_ci_u32_e32 v48, vcc_lo, v51, v48, vcc_lo
; %bb.78:
	s_or_b32 exec_lo, exec_lo, s13
	v_mov_b32_dpp v46, v49 row_shr:4 row_mask:0xf bank_mask:0xf
	s_delay_alu instid0(VALU_DEP_3) | instskip(NEXT) | instid1(VALU_DEP_3)
	v_mov_b32_dpp v50, v47 row_shr:4 row_mask:0xf bank_mask:0xf
	v_mov_b32_dpp v51, v48 row_shr:4 row_mask:0xf bank_mask:0xf
	s_mov_b32 s13, exec_lo
	v_cmpx_lt_u32_e32 3, v45
; %bb.79:
	v_cmp_eq_u32_e32 vcc_lo, 0, v49
	v_add_nc_u32_e32 v49, v46, v49
	v_dual_cndmask_b32 v51, 0, v51 :: v_dual_cndmask_b32 v50, 0, v50
	s_delay_alu instid0(VALU_DEP_1) | instskip(NEXT) | instid1(VALU_DEP_2)
	v_add_co_u32 v47, vcc_lo, v50, v47
	;; [unrolled: 15-line block ×3, first 2 shown]
	v_add_co_ci_u32_e32 v48, vcc_lo, v45, v48, vcc_lo
; %bb.82:
	s_or_b32 exec_lo, exec_lo, s13
	ds_swizzle_b32 v45, v49 offset:swizzle(BROADCAST,32,15)
	ds_swizzle_b32 v46, v47 offset:swizzle(BROADCAST,32,15)
	;; [unrolled: 1-line block ×3, first 2 shown]
	v_and_b32_e32 v51, 16, v97
	s_mov_b32 s13, exec_lo
	s_delay_alu instid0(VALU_DEP_1)
	v_cmpx_ne_u32_e32 0, v51
	s_cbranch_execz .LBB902_84
; %bb.83:
	v_cmp_eq_u32_e32 vcc_lo, 0, v49
	s_waitcnt lgkmcnt(1)
	v_dual_cndmask_b32 v46, 0, v46 :: v_dual_add_nc_u32 v49, v45, v49
	s_waitcnt lgkmcnt(0)
	v_cndmask_b32_e32 v50, 0, v50, vcc_lo
	s_delay_alu instid0(VALU_DEP_2) | instskip(NEXT) | instid1(VALU_DEP_2)
	v_add_co_u32 v47, vcc_lo, v46, v47
	v_add_co_ci_u32_e32 v48, vcc_lo, v50, v48, vcc_lo
.LBB902_84:
	s_or_b32 exec_lo, exec_lo, s13
	s_waitcnt lgkmcnt(1)
	v_lshrrev_b32_e32 v46, 5, v0
	v_or_b32_e32 v45, 31, v0
	s_mov_b32 s13, exec_lo
	s_waitcnt lgkmcnt(0)
	s_delay_alu instid0(VALU_DEP_2) | instskip(NEXT) | instid1(VALU_DEP_2)
	v_lshlrev_b32_e32 v50, 4, v46
	v_cmpx_eq_u32_e64 v45, v0
	s_cbranch_execz .LBB902_86
; %bb.85:
	ds_store_b32 v50, v49 offset:2080
	ds_store_b64 v50, v[47:48] offset:2088
.LBB902_86:
	s_or_b32 exec_lo, exec_lo, s13
	s_delay_alu instid0(SALU_CYCLE_1)
	s_mov_b32 s13, exec_lo
	s_waitcnt lgkmcnt(0)
	s_barrier
	buffer_gl0_inv
	v_cmpx_gt_u32_e32 8, v0
	s_cbranch_execz .LBB902_94
; %bb.87:
	v_lshlrev_b32_e32 v51, 4, v0
	v_and_b32_e32 v53, 7, v97
	s_mov_b32 s16, exec_lo
	ds_load_b32 v52, v51 offset:2080
	ds_load_b64 v[45:46], v51 offset:2088
	s_waitcnt lgkmcnt(1)
	v_mov_b32_dpp v54, v52 row_shr:1 row_mask:0xf bank_mask:0xf
	s_waitcnt lgkmcnt(0)
	v_mov_b32_dpp v55, v45 row_shr:1 row_mask:0xf bank_mask:0xf
	v_mov_b32_dpp v56, v46 row_shr:1 row_mask:0xf bank_mask:0xf
	v_cmpx_ne_u32_e32 0, v53
; %bb.88:
	v_cmp_eq_u32_e32 vcc_lo, 0, v52
	v_add_nc_u32_e32 v52, v54, v52
	s_delay_alu instid0(VALU_DEP_4) | instskip(NEXT) | instid1(VALU_DEP_1)
	v_dual_cndmask_b32 v56, 0, v56 :: v_dual_cndmask_b32 v55, 0, v55
	v_add_co_u32 v45, vcc_lo, v55, v45
	s_delay_alu instid0(VALU_DEP_2)
	v_add_co_ci_u32_e32 v46, vcc_lo, v56, v46, vcc_lo
; %bb.89:
	s_or_b32 exec_lo, exec_lo, s16
	v_mov_b32_dpp v54, v52 row_shr:2 row_mask:0xf bank_mask:0xf
	s_delay_alu instid0(VALU_DEP_3) | instskip(NEXT) | instid1(VALU_DEP_3)
	v_mov_b32_dpp v55, v45 row_shr:2 row_mask:0xf bank_mask:0xf
	v_mov_b32_dpp v56, v46 row_shr:2 row_mask:0xf bank_mask:0xf
	s_mov_b32 s16, exec_lo
	v_cmpx_lt_u32_e32 1, v53
; %bb.90:
	v_cmp_eq_u32_e32 vcc_lo, 0, v52
	v_add_nc_u32_e32 v52, v54, v52
	v_dual_cndmask_b32 v56, 0, v56 :: v_dual_cndmask_b32 v55, 0, v55
	s_delay_alu instid0(VALU_DEP_1) | instskip(NEXT) | instid1(VALU_DEP_2)
	v_add_co_u32 v45, vcc_lo, v55, v45
	v_add_co_ci_u32_e32 v46, vcc_lo, v56, v46, vcc_lo
; %bb.91:
	s_or_b32 exec_lo, exec_lo, s16
	v_mov_b32_dpp v54, v52 row_shr:4 row_mask:0xf bank_mask:0xf
	s_delay_alu instid0(VALU_DEP_3) | instskip(NEXT) | instid1(VALU_DEP_3)
	v_mov_b32_dpp v55, v45 row_shr:4 row_mask:0xf bank_mask:0xf
	v_mov_b32_dpp v56, v46 row_shr:4 row_mask:0xf bank_mask:0xf
	s_mov_b32 s16, exec_lo
	v_cmpx_lt_u32_e32 3, v53
; %bb.92:
	v_cmp_eq_u32_e32 vcc_lo, 0, v52
	v_dual_cndmask_b32 v55, 0, v55 :: v_dual_add_nc_u32 v52, v54, v52
	v_cndmask_b32_e32 v53, 0, v56, vcc_lo
	s_delay_alu instid0(VALU_DEP_2) | instskip(NEXT) | instid1(VALU_DEP_2)
	v_add_co_u32 v45, vcc_lo, v55, v45
	v_add_co_ci_u32_e32 v46, vcc_lo, v53, v46, vcc_lo
; %bb.93:
	s_or_b32 exec_lo, exec_lo, s16
	ds_store_b32 v51, v52 offset:2080
	ds_store_b64 v51, v[45:46] offset:2088
.LBB902_94:
	s_or_b32 exec_lo, exec_lo, s13
	v_mov_b32_e32 v45, 0
	v_cmp_gt_u32_e32 vcc_lo, 32, v0
	v_dual_mov_b32 v46, 0 :: v_dual_mov_b32 v55, 0
	s_mov_b32 s16, exec_lo
	s_waitcnt lgkmcnt(0)
	s_barrier
	buffer_gl0_inv
	v_cmpx_lt_u32_e32 31, v0
	s_cbranch_execz .LBB902_96
; %bb.95:
	ds_load_b64 v[45:46], v50 offset:2072
	ds_load_b32 v55, v50 offset:2064
	v_cmp_eq_u32_e64 s13, 0, v49
	s_waitcnt lgkmcnt(1)
	s_delay_alu instid0(VALU_DEP_1) | instskip(SKIP_3) | instid1(VALU_DEP_3)
	v_cndmask_b32_e64 v51, 0, v45, s13
	v_cndmask_b32_e64 v50, 0, v46, s13
	s_waitcnt lgkmcnt(0)
	v_add_nc_u32_e32 v49, v55, v49
	v_add_co_u32 v47, s13, v51, v47
	s_delay_alu instid0(VALU_DEP_1)
	v_add_co_ci_u32_e64 v48, s13, v50, v48, s13
.LBB902_96:
	s_or_b32 exec_lo, exec_lo, s16
	v_add_nc_u32_e32 v50, -1, v97
	s_delay_alu instid0(VALU_DEP_1) | instskip(NEXT) | instid1(VALU_DEP_1)
	v_cmp_gt_i32_e64 s13, 0, v50
	v_cndmask_b32_e64 v50, v50, v97, s13
	v_cmp_eq_u32_e64 s13, 0, v97
	s_delay_alu instid0(VALU_DEP_2)
	v_lshlrev_b32_e32 v50, 2, v50
	ds_bpermute_b32 v58, v50, v49
	ds_bpermute_b32 v57, v50, v47
	;; [unrolled: 1-line block ×3, first 2 shown]
	s_and_saveexec_b32 s16, vcc_lo
	s_cbranch_execz .LBB902_139
; %bb.97:
	v_mov_b32_e32 v51, 0
	ds_load_b32 v59, v51 offset:2192
	ds_load_b64 v[47:48], v51 offset:2200
	s_and_saveexec_b32 s17, s13
	s_cbranch_execz .LBB902_99
; %bb.98:
	s_add_i32 s18, s15, 32
	s_mov_b32 s19, 0
	v_dual_mov_b32 v49, s18 :: v_dual_mov_b32 v50, 1
	s_lshl_b64 s[20:21], s[18:19], 4
	s_delay_alu instid0(SALU_CYCLE_1)
	s_add_u32 s18, s36, s20
	s_addc_u32 s19, s37, s21
	s_waitcnt lgkmcnt(1)
	global_store_b32 v51, v59, s[18:19]
	s_waitcnt lgkmcnt(0)
	global_store_b64 v51, v[47:48], s[18:19] offset:8
	s_waitcnt_vscnt null, 0x0
	buffer_gl1_inv
	buffer_gl0_inv
	global_store_b8 v49, v50, s[40:41]
.LBB902_99:
	s_or_b32 exec_lo, exec_lo, s17
	v_xad_u32 v49, v97, -1, s15
	s_mov_b32 s18, 0
	s_mov_b32 s17, exec_lo
	s_delay_alu instid0(VALU_DEP_1)
	v_add_nc_u32_e32 v50, 32, v49
	global_load_u8 v60, v50, s[40:41] glc
	s_waitcnt vmcnt(0)
	v_cmpx_eq_u16_e32 0, v60
	s_cbranch_execz .LBB902_105
; %bb.100:
	v_add_co_u32 v52, s19, s40, v50
	s_delay_alu instid0(VALU_DEP_1)
	v_add_co_ci_u32_e64 v53, null, s41, 0, s19
	s_mov_b32 s19, 1
.LBB902_101:                            ; =>This Loop Header: Depth=1
                                        ;     Child Loop BB902_102 Depth 2
	s_delay_alu instid0(SALU_CYCLE_1)
	s_max_u32 s20, s19, 1
.LBB902_102:                            ;   Parent Loop BB902_101 Depth=1
                                        ; =>  This Inner Loop Header: Depth=2
	s_delay_alu instid0(SALU_CYCLE_1)
	s_add_i32 s20, s20, -1
	s_sleep 1
	s_cmp_eq_u32 s20, 0
	s_cbranch_scc0 .LBB902_102
; %bb.103:                              ;   in Loop: Header=BB902_101 Depth=1
	global_load_u8 v60, v[52:53], off glc
	s_cmp_lt_u32 s19, 32
	s_cselect_b32 s20, -1, 0
	s_delay_alu instid0(SALU_CYCLE_1) | instskip(SKIP_4) | instid1(SALU_CYCLE_1)
	s_cmp_lg_u32 s20, 0
	s_addc_u32 s19, s19, 0
	s_waitcnt vmcnt(0)
	v_cmp_ne_u16_e32 vcc_lo, 0, v60
	s_or_b32 s18, vcc_lo, s18
	s_and_not1_b32 exec_lo, exec_lo, s18
	s_cbranch_execnz .LBB902_101
; %bb.104:
	s_or_b32 exec_lo, exec_lo, s18
.LBB902_105:
	s_delay_alu instid0(SALU_CYCLE_1)
	s_or_b32 exec_lo, exec_lo, s17
	v_dual_mov_b32 v52, s37 :: v_dual_mov_b32 v53, s36
	v_cmp_eq_u16_e32 vcc_lo, 1, v60
	v_lshlrev_b64 v[50:51], 4, v[50:51]
	s_waitcnt lgkmcnt(0)
	s_waitcnt_vscnt null, 0x0
	buffer_gl1_inv
	buffer_gl0_inv
	v_lshlrev_b32_e64 v62, v97, -1
	s_mov_b32 s17, exec_lo
	v_cndmask_b32_e32 v53, s38, v53, vcc_lo
	v_cndmask_b32_e32 v52, s39, v52, vcc_lo
	s_delay_alu instid0(VALU_DEP_2) | instskip(NEXT) | instid1(VALU_DEP_2)
	v_add_co_u32 v50, vcc_lo, v53, v50
	v_add_co_ci_u32_e32 v51, vcc_lo, v52, v51, vcc_lo
	v_cmp_ne_u32_e32 vcc_lo, 31, v97
	s_clause 0x1
	global_load_b32 v72, v[50:51], off
	global_load_b64 v[53:54], v[50:51], off offset:8
	v_add_co_ci_u32_e32 v50, vcc_lo, 0, v97, vcc_lo
	v_cmp_eq_u16_e32 vcc_lo, 2, v60
	s_delay_alu instid0(VALU_DEP_2) | instskip(SKIP_1) | instid1(VALU_DEP_1)
	v_lshlrev_b32_e32 v61, 2, v50
	v_and_or_b32 v50, vcc_lo, v62, 0x80000000
	v_ctz_i32_b32_e32 v50, v50
	s_waitcnt vmcnt(1)
	ds_bpermute_b32 v51, v61, v72
	s_waitcnt vmcnt(0)
	ds_bpermute_b32 v52, v61, v53
	ds_bpermute_b32 v63, v61, v54
	v_cmpx_lt_u32_e64 v97, v50
	s_cbranch_execz .LBB902_107
; %bb.106:
	v_cmp_eq_u32_e32 vcc_lo, 0, v72
	s_waitcnt lgkmcnt(0)
	v_dual_cndmask_b32 v63, 0, v63 :: v_dual_add_nc_u32 v72, v51, v72
	v_cndmask_b32_e32 v52, 0, v52, vcc_lo
	s_delay_alu instid0(VALU_DEP_1) | instskip(NEXT) | instid1(VALU_DEP_3)
	v_add_co_u32 v53, vcc_lo, v52, v53
	v_add_co_ci_u32_e32 v54, vcc_lo, v63, v54, vcc_lo
.LBB902_107:
	s_or_b32 exec_lo, exec_lo, s17
	v_cmp_gt_u32_e32 vcc_lo, 30, v97
	v_add_nc_u32_e32 v64, 2, v97
	s_mov_b32 s17, exec_lo
	s_waitcnt lgkmcnt(2)
	v_cndmask_b32_e64 v51, 0, 1, vcc_lo
	s_delay_alu instid0(VALU_DEP_1) | instskip(SKIP_1) | instid1(VALU_DEP_1)
	v_lshlrev_b32_e32 v51, 1, v51
	s_waitcnt lgkmcnt(0)
	v_add_lshl_u32 v63, v51, v97, 2
	ds_bpermute_b32 v51, v63, v72
	ds_bpermute_b32 v52, v63, v53
	ds_bpermute_b32 v65, v63, v54
	v_cmpx_le_u32_e64 v64, v50
	s_cbranch_execz .LBB902_109
; %bb.108:
	v_cmp_eq_u32_e32 vcc_lo, 0, v72
	s_waitcnt lgkmcnt(0)
	v_dual_cndmask_b32 v65, 0, v65 :: v_dual_add_nc_u32 v72, v51, v72
	v_cndmask_b32_e32 v52, 0, v52, vcc_lo
	s_delay_alu instid0(VALU_DEP_1) | instskip(NEXT) | instid1(VALU_DEP_3)
	v_add_co_u32 v53, vcc_lo, v52, v53
	v_add_co_ci_u32_e32 v54, vcc_lo, v65, v54, vcc_lo
.LBB902_109:
	s_or_b32 exec_lo, exec_lo, s17
	v_cmp_gt_u32_e32 vcc_lo, 28, v97
	v_add_nc_u32_e32 v66, 4, v97
	s_mov_b32 s17, exec_lo
	s_waitcnt lgkmcnt(2)
	v_cndmask_b32_e64 v51, 0, 1, vcc_lo
	s_delay_alu instid0(VALU_DEP_1) | instskip(SKIP_1) | instid1(VALU_DEP_1)
	v_lshlrev_b32_e32 v51, 2, v51
	s_waitcnt lgkmcnt(0)
	v_add_lshl_u32 v65, v51, v97, 2
	ds_bpermute_b32 v51, v65, v72
	ds_bpermute_b32 v52, v65, v53
	ds_bpermute_b32 v67, v65, v54
	v_cmpx_le_u32_e64 v66, v50
	;; [unrolled: 24-line block ×3, first 2 shown]
	s_cbranch_execz .LBB902_113
; %bb.112:
	v_cmp_eq_u32_e32 vcc_lo, 0, v72
	s_waitcnt lgkmcnt(0)
	v_dual_cndmask_b32 v69, 0, v69 :: v_dual_add_nc_u32 v72, v51, v72
	v_cndmask_b32_e32 v52, 0, v52, vcc_lo
	s_delay_alu instid0(VALU_DEP_1) | instskip(NEXT) | instid1(VALU_DEP_3)
	v_add_co_u32 v53, vcc_lo, v52, v53
	v_add_co_ci_u32_e32 v54, vcc_lo, v69, v54, vcc_lo
.LBB902_113:
	s_or_b32 exec_lo, exec_lo, s17
	v_cmp_gt_u32_e32 vcc_lo, 16, v97
	v_add_nc_u32_e32 v71, 16, v97
	s_mov_b32 s17, exec_lo
	s_waitcnt lgkmcnt(2)
	v_cndmask_b32_e64 v51, 0, 1, vcc_lo
	s_delay_alu instid0(VALU_DEP_1) | instskip(NEXT) | instid1(VALU_DEP_1)
	v_lshlrev_b32_e32 v51, 4, v51
	v_add_lshl_u32 v70, v51, v97, 2
	ds_bpermute_b32 v51, v70, v72
	s_waitcnt lgkmcnt(2)
	ds_bpermute_b32 v52, v70, v53
	s_waitcnt lgkmcnt(2)
	ds_bpermute_b32 v69, v70, v54
	v_cmpx_le_u32_e64 v71, v50
	s_cbranch_execz .LBB902_115
; %bb.114:
	v_cmp_eq_u32_e32 vcc_lo, 0, v72
	s_waitcnt lgkmcnt(2)
	v_add_nc_u32_e32 v72, v51, v72
	s_waitcnt lgkmcnt(1)
	v_cndmask_b32_e32 v52, 0, v52, vcc_lo
	s_waitcnt lgkmcnt(0)
	v_cndmask_b32_e32 v50, 0, v69, vcc_lo
	s_delay_alu instid0(VALU_DEP_2) | instskip(NEXT) | instid1(VALU_DEP_2)
	v_add_co_u32 v53, vcc_lo, v52, v53
	v_add_co_ci_u32_e32 v54, vcc_lo, v50, v54, vcc_lo
.LBB902_115:
	s_or_b32 exec_lo, exec_lo, s17
	v_mov_b32_e32 v50, 0
	s_branch .LBB902_117
.LBB902_116:                            ;   in Loop: Header=BB902_117 Depth=1
	s_or_b32 exec_lo, exec_lo, s17
	v_cmp_eq_u32_e32 vcc_lo, 0, v69
	v_subrev_nc_u32_e32 v49, 32, v49
	v_add_nc_u32_e32 v72, v72, v69
	v_dual_cndmask_b32 v54, 0, v54 :: v_dual_cndmask_b32 v53, 0, v53
	s_delay_alu instid0(VALU_DEP_1) | instskip(NEXT) | instid1(VALU_DEP_2)
	v_add_co_u32 v53, vcc_lo, v53, v51
	v_add_co_ci_u32_e32 v54, vcc_lo, v54, v52, vcc_lo
.LBB902_117:                            ; =>This Loop Header: Depth=1
                                        ;     Child Loop BB902_120 Depth 2
                                        ;       Child Loop BB902_121 Depth 3
	s_waitcnt lgkmcnt(2)
	v_and_b32_e32 v51, 0xff, v60
	s_waitcnt lgkmcnt(0)
	v_mov_b32_e32 v69, v72
	s_delay_alu instid0(VALU_DEP_2) | instskip(SKIP_2) | instid1(VALU_DEP_1)
	v_cmp_ne_u16_e32 vcc_lo, 2, v51
	v_cndmask_b32_e64 v51, 0, 1, vcc_lo
	;;#ASMSTART
	;;#ASMEND
	v_cmp_ne_u32_e32 vcc_lo, 0, v51
	v_dual_mov_b32 v51, v53 :: v_dual_mov_b32 v52, v54
	s_cmp_lg_u32 vcc_lo, exec_lo
	s_cbranch_scc1 .LBB902_134
; %bb.118:                              ;   in Loop: Header=BB902_117 Depth=1
	global_load_u8 v60, v49, s[40:41] glc
	s_mov_b32 s17, exec_lo
	s_waitcnt vmcnt(0)
	v_cmpx_eq_u16_e32 0, v60
	s_cbranch_execz .LBB902_124
; %bb.119:                              ;   in Loop: Header=BB902_117 Depth=1
	v_add_co_u32 v53, s18, s40, v49
	s_delay_alu instid0(VALU_DEP_1)
	v_add_co_ci_u32_e64 v54, null, s41, 0, s18
	s_mov_b32 s19, 1
	s_mov_b32 s18, 0
.LBB902_120:                            ;   Parent Loop BB902_117 Depth=1
                                        ; =>  This Loop Header: Depth=2
                                        ;       Child Loop BB902_121 Depth 3
	s_max_u32 s20, s19, 1
.LBB902_121:                            ;   Parent Loop BB902_117 Depth=1
                                        ;     Parent Loop BB902_120 Depth=2
                                        ; =>    This Inner Loop Header: Depth=3
	s_delay_alu instid0(SALU_CYCLE_1)
	s_add_i32 s20, s20, -1
	s_sleep 1
	s_cmp_eq_u32 s20, 0
	s_cbranch_scc0 .LBB902_121
; %bb.122:                              ;   in Loop: Header=BB902_120 Depth=2
	global_load_u8 v60, v[53:54], off glc
	s_cmp_lt_u32 s19, 32
	s_cselect_b32 s20, -1, 0
	s_delay_alu instid0(SALU_CYCLE_1) | instskip(SKIP_4) | instid1(SALU_CYCLE_1)
	s_cmp_lg_u32 s20, 0
	s_addc_u32 s19, s19, 0
	s_waitcnt vmcnt(0)
	v_cmp_ne_u16_e32 vcc_lo, 0, v60
	s_or_b32 s18, vcc_lo, s18
	s_and_not1_b32 exec_lo, exec_lo, s18
	s_cbranch_execnz .LBB902_120
; %bb.123:                              ;   in Loop: Header=BB902_117 Depth=1
	s_or_b32 exec_lo, exec_lo, s18
.LBB902_124:                            ;   in Loop: Header=BB902_117 Depth=1
	s_delay_alu instid0(SALU_CYCLE_1)
	s_or_b32 exec_lo, exec_lo, s17
	v_dual_mov_b32 v72, s37 :: v_dual_mov_b32 v73, s36
	v_cmp_eq_u16_e32 vcc_lo, 1, v60
	v_lshlrev_b64 v[53:54], 4, v[49:50]
	buffer_gl1_inv
	buffer_gl0_inv
	s_mov_b32 s17, exec_lo
	v_cndmask_b32_e32 v73, s38, v73, vcc_lo
	v_cndmask_b32_e32 v72, s39, v72, vcc_lo
	s_delay_alu instid0(VALU_DEP_2) | instskip(NEXT) | instid1(VALU_DEP_2)
	v_add_co_u32 v53, vcc_lo, v73, v53
	v_add_co_ci_u32_e32 v54, vcc_lo, v72, v54, vcc_lo
	v_cmp_eq_u16_e32 vcc_lo, 2, v60
	s_clause 0x1
	global_load_b32 v72, v[53:54], off
	global_load_b64 v[53:54], v[53:54], off offset:8
	v_and_or_b32 v73, vcc_lo, v62, 0x80000000
	s_delay_alu instid0(VALU_DEP_1)
	v_ctz_i32_b32_e32 v73, v73
	s_waitcnt vmcnt(1)
	ds_bpermute_b32 v74, v61, v72
	s_waitcnt vmcnt(0)
	ds_bpermute_b32 v75, v61, v53
	ds_bpermute_b32 v76, v61, v54
	v_cmpx_lt_u32_e64 v97, v73
	s_cbranch_execz .LBB902_126
; %bb.125:                              ;   in Loop: Header=BB902_117 Depth=1
	v_cmp_eq_u32_e32 vcc_lo, 0, v72
	s_waitcnt lgkmcnt(2)
	v_add_nc_u32_e32 v72, v74, v72
	s_waitcnt lgkmcnt(0)
	v_dual_cndmask_b32 v76, 0, v76 :: v_dual_cndmask_b32 v75, 0, v75
	s_delay_alu instid0(VALU_DEP_1) | instskip(NEXT) | instid1(VALU_DEP_2)
	v_add_co_u32 v53, vcc_lo, v75, v53
	v_add_co_ci_u32_e32 v54, vcc_lo, v76, v54, vcc_lo
.LBB902_126:                            ;   in Loop: Header=BB902_117 Depth=1
	s_or_b32 exec_lo, exec_lo, s17
	s_waitcnt lgkmcnt(2)
	ds_bpermute_b32 v74, v63, v72
	s_waitcnt lgkmcnt(2)
	ds_bpermute_b32 v75, v63, v53
	s_waitcnt lgkmcnt(2)
	ds_bpermute_b32 v76, v63, v54
	s_mov_b32 s17, exec_lo
	v_cmpx_le_u32_e64 v64, v73
	s_cbranch_execz .LBB902_128
; %bb.127:                              ;   in Loop: Header=BB902_117 Depth=1
	v_cmp_eq_u32_e32 vcc_lo, 0, v72
	s_waitcnt lgkmcnt(2)
	v_add_nc_u32_e32 v72, v74, v72
	s_waitcnt lgkmcnt(0)
	v_dual_cndmask_b32 v76, 0, v76 :: v_dual_cndmask_b32 v75, 0, v75
	s_delay_alu instid0(VALU_DEP_1) | instskip(NEXT) | instid1(VALU_DEP_2)
	v_add_co_u32 v53, vcc_lo, v75, v53
	v_add_co_ci_u32_e32 v54, vcc_lo, v76, v54, vcc_lo
.LBB902_128:                            ;   in Loop: Header=BB902_117 Depth=1
	s_or_b32 exec_lo, exec_lo, s17
	s_waitcnt lgkmcnt(2)
	ds_bpermute_b32 v74, v65, v72
	s_waitcnt lgkmcnt(2)
	ds_bpermute_b32 v75, v65, v53
	s_waitcnt lgkmcnt(2)
	ds_bpermute_b32 v76, v65, v54
	s_mov_b32 s17, exec_lo
	v_cmpx_le_u32_e64 v66, v73
	;; [unrolled: 20-line block ×4, first 2 shown]
	s_cbranch_execz .LBB902_116
; %bb.133:                              ;   in Loop: Header=BB902_117 Depth=1
	v_cmp_eq_u32_e32 vcc_lo, 0, v72
	s_waitcnt lgkmcnt(1)
	v_dual_cndmask_b32 v75, 0, v75 :: v_dual_add_nc_u32 v72, v74, v72
	s_waitcnt lgkmcnt(0)
	v_cndmask_b32_e32 v73, 0, v76, vcc_lo
	s_delay_alu instid0(VALU_DEP_2) | instskip(NEXT) | instid1(VALU_DEP_2)
	v_add_co_u32 v53, vcc_lo, v75, v53
	v_add_co_ci_u32_e32 v54, vcc_lo, v73, v54, vcc_lo
	s_branch .LBB902_116
.LBB902_134:                            ;   in Loop: Header=BB902_117 Depth=1
                                        ; implicit-def: $vgpr53_vgpr54
                                        ; implicit-def: $vgpr72
                                        ; implicit-def: $vgpr60
	s_cbranch_execz .LBB902_117
; %bb.135:
	s_and_saveexec_b32 s17, s13
	s_cbranch_execz .LBB902_137
; %bb.136:
	v_cmp_eq_u32_e32 vcc_lo, 0, v59
	s_mov_b32 s19, 0
	s_add_i32 s18, s15, 32
	v_dual_mov_b32 v54, 0 :: v_dual_add_nc_u32 v53, v69, v59
	v_dual_cndmask_b32 v50, 0, v52 :: v_dual_cndmask_b32 v49, 0, v51
	s_lshl_b64 s[20:21], s[18:19], 4
	v_dual_mov_b32 v60, s18 :: v_dual_mov_b32 v61, 2
	s_add_u32 s20, s38, s20
	s_delay_alu instid0(VALU_DEP_2)
	v_add_co_u32 v49, vcc_lo, v49, v47
	v_add_co_ci_u32_e32 v50, vcc_lo, v50, v48, vcc_lo
	s_addc_u32 s21, s39, s21
	s_clause 0x1
	global_store_b32 v54, v53, s[20:21]
	global_store_b64 v54, v[49:50], s[20:21] offset:8
	s_waitcnt lgkmcnt(0)
	s_waitcnt_vscnt null, 0x0
	buffer_gl1_inv
	buffer_gl0_inv
	global_store_b8 v60, v61, s[40:41]
	ds_store_b32 v54, v59 offset:2048
	ds_store_b64 v54, v[47:48] offset:2056
	ds_store_b32 v54, v69 offset:2064
	ds_store_b64 v54, v[51:52] offset:2072
.LBB902_137:
	s_or_b32 exec_lo, exec_lo, s17
	v_cmp_eq_u32_e32 vcc_lo, 0, v0
	s_and_b32 exec_lo, exec_lo, vcc_lo
	s_cbranch_execz .LBB902_139
; %bb.138:
	v_mov_b32_e32 v47, 0
	ds_store_b32 v47, v69 offset:2192
	ds_store_b64 v47, v[51:52] offset:2200
.LBB902_139:
	s_or_b32 exec_lo, exec_lo, s16
	s_waitcnt lgkmcnt(2)
	v_cndmask_b32_e64 v50, v58, v55, s13
	s_waitcnt lgkmcnt(0)
	s_waitcnt_vscnt null, 0x0
	s_barrier
	buffer_gl0_inv
	v_cndmask_b32_e64 v45, v57, v45, s13
	v_cmp_eq_u32_e32 vcc_lo, 0, v50
	v_mov_b32_e32 v49, 0
	v_cndmask_b32_e64 v46, v56, v46, s13
	ds_load_b64 v[47:48], v49 offset:2200
	s_waitcnt lgkmcnt(0)
	v_dual_cndmask_b32 v52, 0, v47 :: v_dual_cndmask_b32 v51, 0, v48
	s_delay_alu instid0(VALU_DEP_1) | instskip(NEXT) | instid1(VALU_DEP_2)
	v_add_co_u32 v45, vcc_lo, v52, v45
	v_add_co_ci_u32_e32 v46, vcc_lo, v51, v46, vcc_lo
	v_cmp_eq_u32_e32 vcc_lo, 0, v0
	v_cndmask_b32_e64 v50, v50, 0, vcc_lo
	s_delay_alu instid0(VALU_DEP_3)
	v_dual_cndmask_b32 v62, v46, v48 :: v_dual_cndmask_b32 v61, v45, v47
	v_cmp_eq_u32_e32 vcc_lo, 0, v96
	ds_load_b32 v48, v49 offset:2192
	s_waitcnt lgkmcnt(0)
	s_barrier
	buffer_gl0_inv
	v_dual_cndmask_b32 v46, 0, v61 :: v_dual_cndmask_b32 v45, 0, v62
	ds_load_b64 v[100:101], v49 offset:2056
	v_add_co_u32 v59, vcc_lo, v46, v41
	v_add_co_ci_u32_e32 v60, vcc_lo, v45, v42, vcc_lo
	s_delay_alu instid0(VALU_DEP_2) | instskip(NEXT) | instid1(VALU_DEP_2)
	v_cndmask_b32_e64 v45, 0, v59, s12
	v_cndmask_b32_e64 v46, 0, v60, s12
	s_delay_alu instid0(VALU_DEP_2) | instskip(NEXT) | instid1(VALU_DEP_2)
	v_add_co_u32 v65, vcc_lo, v45, v39
	v_add_co_ci_u32_e32 v66, vcc_lo, v46, v40, vcc_lo
	v_add_nc_u32_e32 v98, v48, v50
	s_delay_alu instid0(VALU_DEP_3) | instskip(NEXT) | instid1(VALU_DEP_3)
	v_cndmask_b32_e64 v45, 0, v65, s11
	v_cndmask_b32_e64 v46, 0, v66, s11
	s_delay_alu instid0(VALU_DEP_2) | instskip(NEXT) | instid1(VALU_DEP_2)
	v_add_co_u32 v69, vcc_lo, v45, v37
	v_add_co_ci_u32_e32 v70, vcc_lo, v46, v38, vcc_lo
	s_delay_alu instid0(VALU_DEP_2) | instskip(NEXT) | instid1(VALU_DEP_2)
	v_cndmask_b32_e64 v45, 0, v69, s10
	v_cndmask_b32_e64 v46, 0, v70, s10
	s_delay_alu instid0(VALU_DEP_2) | instskip(NEXT) | instid1(VALU_DEP_2)
	v_add_co_u32 v51, vcc_lo, v45, v35
	v_add_co_ci_u32_e32 v52, vcc_lo, v46, v36, vcc_lo
	s_delay_alu instid0(VALU_DEP_2) | instskip(NEXT) | instid1(VALU_DEP_2)
	;; [unrolled: 6-line block ×7, first 2 shown]
	v_cndmask_b32_e64 v45, 0, v53, s4
	v_cndmask_b32_e64 v46, 0, v54, s4
	s_delay_alu instid0(VALU_DEP_2) | instskip(NEXT) | instid1(VALU_DEP_2)
	v_add_co_u32 v57, vcc_lo, v45, v25
	v_add_co_ci_u32_e32 v58, vcc_lo, v46, v26, vcc_lo
	ds_load_b32 v45, v49 offset:2048
	v_cndmask_b32_e64 v46, 0, v57, s3
	v_cndmask_b32_e64 v47, 0, v58, s3
	s_delay_alu instid0(VALU_DEP_2) | instskip(NEXT) | instid1(VALU_DEP_2)
	v_add_co_u32 v73, vcc_lo, v46, v21
	v_add_co_ci_u32_e32 v74, vcc_lo, v47, v22, vcc_lo
	ds_load_b64 v[46:47], v49 offset:2072
	v_cndmask_b32_e64 v75, 0, v73, s2
	ds_load_b32 v49, v49 offset:2064
	v_cndmask_b32_e64 v76, 0, v74, s2
	v_add_co_u32 v77, vcc_lo, v75, v19
	s_delay_alu instid0(VALU_DEP_2) | instskip(SKIP_2) | instid1(VALU_DEP_3)
	v_add_co_ci_u32_e32 v78, vcc_lo, v76, v20, vcc_lo
	s_waitcnt lgkmcnt(2)
	v_cmp_eq_u32_e32 vcc_lo, 0, v45
	v_cndmask_b32_e64 v75, 0, v77, s1
	s_delay_alu instid0(VALU_DEP_3) | instskip(NEXT) | instid1(VALU_DEP_2)
	v_cndmask_b32_e64 v76, 0, v78, s1
	v_add_co_u32 v75, s1, v75, v17
	s_delay_alu instid0(VALU_DEP_1)
	v_add_co_ci_u32_e64 v76, s1, v76, v18, s1
	s_waitcnt lgkmcnt(1)
	v_cndmask_b32_e32 v46, 0, v46, vcc_lo
	v_cndmask_b32_e32 v102, 0, v47, vcc_lo
	v_cndmask_b32_e64 v79, 0, v75, s0
	v_cndmask_b32_e64 v80, 0, v76, s0
	s_delay_alu instid0(VALU_DEP_4) | instskip(NEXT) | instid1(VALU_DEP_4)
	v_add_co_u32 v47, vcc_lo, v46, v100
	v_add_co_ci_u32_e32 v48, vcc_lo, v102, v101, vcc_lo
	s_branch .LBB902_168
.LBB902_140:
                                        ; implicit-def: $vgpr45
                                        ; implicit-def: $vgpr47_vgpr48
                                        ; implicit-def: $vgpr49
                                        ; implicit-def: $vgpr61_vgpr62
                                        ; implicit-def: $vgpr59_vgpr60
                                        ; implicit-def: $vgpr65_vgpr66
                                        ; implicit-def: $vgpr69_vgpr70
                                        ; implicit-def: $vgpr51_vgpr52
                                        ; implicit-def: $vgpr55_vgpr56
                                        ; implicit-def: $vgpr63_vgpr64
                                        ; implicit-def: $vgpr67_vgpr68
                                        ; implicit-def: $vgpr71_vgpr72
                                        ; implicit-def: $vgpr53_vgpr54
                                        ; implicit-def: $vgpr57_vgpr58
                                        ; implicit-def: $vgpr73_vgpr74
                                        ; implicit-def: $vgpr77_vgpr78
                                        ; implicit-def: $vgpr75_vgpr76
                                        ; implicit-def: $vgpr79_vgpr80
                                        ; implicit-def: $vgpr98
	s_cbranch_execz .LBB902_168
; %bb.141:
	s_and_b32 s0, s14, exec_lo
	s_waitcnt lgkmcnt(0)
	v_dual_mov_b32 v50, v42 :: v_dual_mov_b32 v49, v41
	s_cselect_b32 s1, 0, s29
	s_cselect_b32 s0, 0, s28
	s_delay_alu instid0(SALU_CYCLE_1)
	s_cmp_eq_u64 s[0:1], 0
	s_cbranch_scc1 .LBB902_143
; %bb.142:
	v_mov_b32_e32 v45, 0
	global_load_b64 v[49:50], v45, s[0:1]
.LBB902_143:
	v_cmp_eq_u32_e64 s11, 0, v95
	v_cmp_eq_u32_e64 s10, 0, v94
	;; [unrolled: 1-line block ×5, first 2 shown]
	v_cndmask_b32_e64 v46, 0, v41, s11
	v_cndmask_b32_e64 v45, 0, v42, s11
	v_cmp_eq_u32_e64 s6, 0, v90
	v_cmp_eq_u32_e64 s5, 0, v88
	;; [unrolled: 1-line block ×3, first 2 shown]
	v_add_co_u32 v46, vcc_lo, v46, v39
	v_add_co_ci_u32_e32 v45, vcc_lo, v45, v40, vcc_lo
	v_cmp_eq_u32_e64 s3, 0, v86
	s_delay_alu instid0(VALU_DEP_3) | instskip(SKIP_1) | instid1(VALU_DEP_4)
	v_cndmask_b32_e64 v46, 0, v46, s10
	v_cmp_eq_u32_e64 s2, 0, v85
	v_cndmask_b32_e64 v45, 0, v45, s10
	v_cmp_eq_u32_e64 s1, 0, v83
	v_add3_u32 v47, v99, v91, v90
	v_add_co_u32 v46, vcc_lo, v46, v37
	s_delay_alu instid0(VALU_DEP_4) | instskip(NEXT) | instid1(VALU_DEP_3)
	v_add_co_ci_u32_e32 v45, vcc_lo, v45, v38, vcc_lo
	v_add3_u32 v47, v47, v88, v87
	s_delay_alu instid0(VALU_DEP_3) | instskip(SKIP_1) | instid1(VALU_DEP_3)
	v_cndmask_b32_e64 v46, 0, v46, s9
	s_mov_b32 s13, exec_lo
	v_cndmask_b32_e64 v45, 0, v45, s9
	s_delay_alu instid0(VALU_DEP_3) | instskip(NEXT) | instid1(VALU_DEP_3)
	v_add3_u32 v47, v47, v86, v85
	v_add_co_u32 v46, vcc_lo, v46, v35
	s_delay_alu instid0(VALU_DEP_3) | instskip(NEXT) | instid1(VALU_DEP_3)
	v_add_co_ci_u32_e32 v45, vcc_lo, v45, v36, vcc_lo
	v_add3_u32 v47, v47, v84, v83
	s_delay_alu instid0(VALU_DEP_3) | instskip(NEXT) | instid1(VALU_DEP_3)
	v_cndmask_b32_e64 v46, 0, v46, s8
	v_cndmask_b32_e64 v45, 0, v45, s8
	s_delay_alu instid0(VALU_DEP_3) | instskip(NEXT) | instid1(VALU_DEP_3)
	v_add3_u32 v47, v47, v82, v89
	v_add_co_u32 v46, vcc_lo, v46, v33
	s_delay_alu instid0(VALU_DEP_3) | instskip(NEXT) | instid1(VALU_DEP_2)
	v_add_co_ci_u32_e32 v45, vcc_lo, v45, v34, vcc_lo
	v_cndmask_b32_e64 v46, 0, v46, s7
	s_delay_alu instid0(VALU_DEP_2) | instskip(NEXT) | instid1(VALU_DEP_2)
	v_cndmask_b32_e64 v45, 0, v45, s7
	v_add_co_u32 v46, vcc_lo, v46, v31
	s_delay_alu instid0(VALU_DEP_2) | instskip(NEXT) | instid1(VALU_DEP_2)
	v_add_co_ci_u32_e32 v45, vcc_lo, v45, v32, vcc_lo
	v_cndmask_b32_e64 v46, 0, v46, s6
	s_delay_alu instid0(VALU_DEP_2) | instskip(NEXT) | instid1(VALU_DEP_2)
	v_cndmask_b32_e64 v45, 0, v45, s6
	v_add_co_u32 v46, vcc_lo, v46, v27
	s_delay_alu instid0(VALU_DEP_2) | instskip(NEXT) | instid1(VALU_DEP_2)
	;; [unrolled: 6-line block ×5, first 2 shown]
	v_add_co_ci_u32_e32 v45, vcc_lo, v45, v26, vcc_lo
	v_cndmask_b32_e64 v46, 0, v46, s2
	s_delay_alu instid0(VALU_DEP_2) | instskip(NEXT) | instid1(VALU_DEP_2)
	v_cndmask_b32_e64 v45, 0, v45, s2
	v_add_co_u32 v46, vcc_lo, v46, v21
	s_delay_alu instid0(VALU_DEP_2) | instskip(SKIP_1) | instid1(VALU_DEP_2)
	v_add_co_ci_u32_e32 v45, vcc_lo, v45, v22, vcc_lo
	v_cmp_eq_u32_e32 vcc_lo, 0, v84
	v_dual_cndmask_b32 v45, 0, v45 :: v_dual_cndmask_b32 v46, 0, v46
	s_delay_alu instid0(VALU_DEP_1) | instskip(NEXT) | instid1(VALU_DEP_1)
	v_add_co_u32 v46, s0, v46, v19
	v_add_co_ci_u32_e64 v45, s0, v45, v20, s0
	s_delay_alu instid0(VALU_DEP_2) | instskip(NEXT) | instid1(VALU_DEP_2)
	v_cndmask_b32_e64 v46, 0, v46, s1
	v_cndmask_b32_e64 v45, 0, v45, s1
	s_delay_alu instid0(VALU_DEP_2) | instskip(NEXT) | instid1(VALU_DEP_1)
	v_add_co_u32 v46, s0, v46, v17
	v_add_co_ci_u32_e64 v45, s0, v45, v18, s0
	v_cmp_eq_u32_e64 s0, 0, v82
	s_delay_alu instid0(VALU_DEP_1) | instskip(NEXT) | instid1(VALU_DEP_3)
	v_cndmask_b32_e64 v46, 0, v46, s0
	v_cndmask_b32_e64 v45, 0, v45, s0
	s_delay_alu instid0(VALU_DEP_2) | instskip(NEXT) | instid1(VALU_DEP_1)
	v_add_co_u32 v46, s12, v46, v15
	v_add_co_ci_u32_e64 v45, s12, v45, v16, s12
	v_cmp_eq_u32_e64 s12, 0, v89
	s_delay_alu instid0(VALU_DEP_1) | instskip(NEXT) | instid1(VALU_DEP_3)
	v_cndmask_b32_e64 v46, 0, v46, s12
	v_cndmask_b32_e64 v45, 0, v45, s12
	s_delay_alu instid0(VALU_DEP_2) | instskip(NEXT) | instid1(VALU_DEP_1)
	v_add_co_u32 v43, s12, v46, v43
	v_add_co_ci_u32_e64 v44, s12, v45, v44, s12
	v_and_b32_e32 v45, 15, v97
	v_mov_b32_dpp v46, v47 row_shr:1 row_mask:0xf bank_mask:0xf
	s_delay_alu instid0(VALU_DEP_4) | instskip(NEXT) | instid1(VALU_DEP_4)
	v_mov_b32_dpp v48, v43 row_shr:1 row_mask:0xf bank_mask:0xf
	v_mov_b32_dpp v51, v44 row_shr:1 row_mask:0xf bank_mask:0xf
	s_delay_alu instid0(VALU_DEP_4)
	v_cmpx_ne_u32_e32 0, v45
; %bb.144:
	v_cmp_eq_u32_e64 s12, 0, v47
	v_add_nc_u32_e32 v47, v46, v47
	s_delay_alu instid0(VALU_DEP_2) | instskip(SKIP_1) | instid1(VALU_DEP_2)
	v_cndmask_b32_e64 v48, 0, v48, s12
	v_cndmask_b32_e64 v51, 0, v51, s12
	v_add_co_u32 v43, s12, v48, v43
	s_delay_alu instid0(VALU_DEP_1)
	v_add_co_ci_u32_e64 v44, s12, v51, v44, s12
; %bb.145:
	s_or_b32 exec_lo, exec_lo, s13
	v_mov_b32_dpp v46, v47 row_shr:2 row_mask:0xf bank_mask:0xf
	s_delay_alu instid0(VALU_DEP_3) | instskip(NEXT) | instid1(VALU_DEP_3)
	v_mov_b32_dpp v48, v43 row_shr:2 row_mask:0xf bank_mask:0xf
	v_mov_b32_dpp v51, v44 row_shr:2 row_mask:0xf bank_mask:0xf
	s_mov_b32 s13, exec_lo
	v_cmpx_lt_u32_e32 1, v45
; %bb.146:
	v_cmp_eq_u32_e64 s12, 0, v47
	v_add_nc_u32_e32 v47, v46, v47
	s_delay_alu instid0(VALU_DEP_2) | instskip(SKIP_1) | instid1(VALU_DEP_2)
	v_cndmask_b32_e64 v48, 0, v48, s12
	v_cndmask_b32_e64 v51, 0, v51, s12
	v_add_co_u32 v43, s12, v48, v43
	s_delay_alu instid0(VALU_DEP_1)
	v_add_co_ci_u32_e64 v44, s12, v51, v44, s12
; %bb.147:
	s_or_b32 exec_lo, exec_lo, s13
	v_mov_b32_dpp v46, v47 row_shr:4 row_mask:0xf bank_mask:0xf
	s_delay_alu instid0(VALU_DEP_3) | instskip(NEXT) | instid1(VALU_DEP_3)
	v_mov_b32_dpp v48, v43 row_shr:4 row_mask:0xf bank_mask:0xf
	v_mov_b32_dpp v51, v44 row_shr:4 row_mask:0xf bank_mask:0xf
	s_mov_b32 s13, exec_lo
	v_cmpx_lt_u32_e32 3, v45
	;; [unrolled: 17-line block ×3, first 2 shown]
; %bb.150:
	v_cmp_eq_u32_e64 s12, 0, v47
	v_add_nc_u32_e32 v47, v46, v47
	s_delay_alu instid0(VALU_DEP_2) | instskip(SKIP_1) | instid1(VALU_DEP_2)
	v_cndmask_b32_e64 v48, 0, v48, s12
	v_cndmask_b32_e64 v45, 0, v51, s12
	v_add_co_u32 v43, s12, v48, v43
	s_delay_alu instid0(VALU_DEP_1)
	v_add_co_ci_u32_e64 v44, s12, v45, v44, s12
; %bb.151:
	s_or_b32 exec_lo, exec_lo, s13
	ds_swizzle_b32 v45, v47 offset:swizzle(BROADCAST,32,15)
	ds_swizzle_b32 v46, v43 offset:swizzle(BROADCAST,32,15)
	;; [unrolled: 1-line block ×3, first 2 shown]
	v_and_b32_e32 v51, 16, v97
	s_mov_b32 s13, exec_lo
	s_delay_alu instid0(VALU_DEP_1)
	v_cmpx_ne_u32_e32 0, v51
	s_cbranch_execz .LBB902_153
; %bb.152:
	v_cmp_eq_u32_e64 s12, 0, v47
	s_waitcnt lgkmcnt(2)
	v_add_nc_u32_e32 v47, v45, v47
	s_waitcnt lgkmcnt(1)
	s_delay_alu instid0(VALU_DEP_2) | instskip(SKIP_2) | instid1(VALU_DEP_2)
	v_cndmask_b32_e64 v46, 0, v46, s12
	s_waitcnt lgkmcnt(0)
	v_cndmask_b32_e64 v48, 0, v48, s12
	v_add_co_u32 v43, s12, v46, v43
	s_delay_alu instid0(VALU_DEP_1)
	v_add_co_ci_u32_e64 v44, s12, v48, v44, s12
.LBB902_153:
	s_or_b32 exec_lo, exec_lo, s13
	s_waitcnt lgkmcnt(2)
	v_or_b32_e32 v45, 31, v0
	s_waitcnt lgkmcnt(0)
	v_lshrrev_b32_e32 v48, 5, v0
	s_mov_b32 s13, exec_lo
	s_delay_alu instid0(VALU_DEP_2)
	v_cmpx_eq_u32_e64 v45, v0
	s_cbranch_execz .LBB902_155
; %bb.154:
	s_delay_alu instid0(VALU_DEP_2)
	v_lshlrev_b32_e32 v45, 4, v48
	ds_store_b32 v45, v47 offset:2080
	ds_store_b64 v45, v[43:44] offset:2088
.LBB902_155:
	s_or_b32 exec_lo, exec_lo, s13
	s_delay_alu instid0(SALU_CYCLE_1)
	s_mov_b32 s13, exec_lo
	s_waitcnt vmcnt(0) lgkmcnt(0)
	s_barrier
	buffer_gl0_inv
	v_cmpx_gt_u32_e32 8, v0
	s_cbranch_execz .LBB902_163
; %bb.156:
	v_lshlrev_b32_e32 v51, 4, v0
	v_and_b32_e32 v53, 7, v97
	s_mov_b32 s15, exec_lo
	ds_load_b32 v52, v51 offset:2080
	ds_load_b64 v[45:46], v51 offset:2088
	s_waitcnt lgkmcnt(1)
	v_mov_b32_dpp v54, v52 row_shr:1 row_mask:0xf bank_mask:0xf
	s_waitcnt lgkmcnt(0)
	v_mov_b32_dpp v55, v45 row_shr:1 row_mask:0xf bank_mask:0xf
	v_mov_b32_dpp v56, v46 row_shr:1 row_mask:0xf bank_mask:0xf
	v_cmpx_ne_u32_e32 0, v53
; %bb.157:
	v_cmp_eq_u32_e64 s12, 0, v52
	v_add_nc_u32_e32 v52, v54, v52
	s_delay_alu instid0(VALU_DEP_2) | instskip(SKIP_1) | instid1(VALU_DEP_2)
	v_cndmask_b32_e64 v55, 0, v55, s12
	v_cndmask_b32_e64 v56, 0, v56, s12
	v_add_co_u32 v45, s12, v55, v45
	s_delay_alu instid0(VALU_DEP_1)
	v_add_co_ci_u32_e64 v46, s12, v56, v46, s12
; %bb.158:
	s_or_b32 exec_lo, exec_lo, s15
	v_mov_b32_dpp v54, v52 row_shr:2 row_mask:0xf bank_mask:0xf
	s_delay_alu instid0(VALU_DEP_3) | instskip(NEXT) | instid1(VALU_DEP_3)
	v_mov_b32_dpp v55, v45 row_shr:2 row_mask:0xf bank_mask:0xf
	v_mov_b32_dpp v56, v46 row_shr:2 row_mask:0xf bank_mask:0xf
	s_mov_b32 s15, exec_lo
	v_cmpx_lt_u32_e32 1, v53
; %bb.159:
	v_cmp_eq_u32_e64 s12, 0, v52
	v_add_nc_u32_e32 v52, v54, v52
	s_delay_alu instid0(VALU_DEP_2) | instskip(SKIP_1) | instid1(VALU_DEP_2)
	v_cndmask_b32_e64 v55, 0, v55, s12
	v_cndmask_b32_e64 v56, 0, v56, s12
	v_add_co_u32 v45, s12, v55, v45
	s_delay_alu instid0(VALU_DEP_1)
	v_add_co_ci_u32_e64 v46, s12, v56, v46, s12
; %bb.160:
	s_or_b32 exec_lo, exec_lo, s15
	v_mov_b32_dpp v54, v52 row_shr:4 row_mask:0xf bank_mask:0xf
	s_delay_alu instid0(VALU_DEP_3) | instskip(NEXT) | instid1(VALU_DEP_3)
	v_mov_b32_dpp v55, v45 row_shr:4 row_mask:0xf bank_mask:0xf
	v_mov_b32_dpp v56, v46 row_shr:4 row_mask:0xf bank_mask:0xf
	s_mov_b32 s15, exec_lo
	v_cmpx_lt_u32_e32 3, v53
; %bb.161:
	v_cmp_eq_u32_e64 s12, 0, v52
	v_add_nc_u32_e32 v52, v54, v52
	s_delay_alu instid0(VALU_DEP_2) | instskip(SKIP_1) | instid1(VALU_DEP_2)
	v_cndmask_b32_e64 v55, 0, v55, s12
	v_cndmask_b32_e64 v53, 0, v56, s12
	v_add_co_u32 v45, s12, v55, v45
	s_delay_alu instid0(VALU_DEP_1)
	v_add_co_ci_u32_e64 v46, s12, v53, v46, s12
; %bb.162:
	s_or_b32 exec_lo, exec_lo, s15
	ds_store_b32 v51, v52 offset:2080
	ds_store_b64 v51, v[45:46] offset:2088
.LBB902_163:
	s_or_b32 exec_lo, exec_lo, s13
	v_mov_b32_e32 v45, v49
	v_dual_mov_b32 v75, 0 :: v_dual_mov_b32 v46, v50
	v_mov_b32_e32 v51, 0
	s_mov_b32 s13, exec_lo
	s_waitcnt lgkmcnt(0)
	s_barrier
	buffer_gl0_inv
	v_cmpx_lt_u32_e32 31, v0
	s_cbranch_execz .LBB902_165
; %bb.164:
	v_lshlrev_b32_e32 v45, 4, v48
	ds_load_b32 v51, v45 offset:2064
	ds_load_b64 v[45:46], v45 offset:2072
	s_waitcnt lgkmcnt(1)
	v_cmp_eq_u32_e64 s12, 0, v51
	s_delay_alu instid0(VALU_DEP_1) | instskip(SKIP_2) | instid1(VALU_DEP_2)
	v_cndmask_b32_e64 v52, 0, v49, s12
	v_cndmask_b32_e64 v48, 0, v50, s12
	s_waitcnt lgkmcnt(0)
	v_add_co_u32 v45, s12, v52, v45
	s_delay_alu instid0(VALU_DEP_1)
	v_add_co_ci_u32_e64 v46, s12, v48, v46, s12
.LBB902_165:
	s_or_b32 exec_lo, exec_lo, s13
	v_add_nc_u32_e32 v48, -1, v97
	v_cmp_eq_u32_e64 s12, 0, v47
	v_add_nc_u32_e32 v47, v51, v47
	s_delay_alu instid0(VALU_DEP_3) | instskip(NEXT) | instid1(VALU_DEP_3)
	v_cmp_gt_i32_e64 s13, 0, v48
	v_cndmask_b32_e64 v53, 0, v45, s12
	v_cndmask_b32_e64 v52, 0, v46, s12
	s_delay_alu instid0(VALU_DEP_3) | instskip(NEXT) | instid1(VALU_DEP_3)
	v_cndmask_b32_e64 v48, v48, v97, s13
	v_add_co_u32 v43, s12, v53, v43
	s_delay_alu instid0(VALU_DEP_1) | instskip(NEXT) | instid1(VALU_DEP_3)
	v_add_co_ci_u32_e64 v44, s12, v52, v44, s12
	v_lshlrev_b32_e32 v48, 2, v48
	v_cmp_eq_u32_e64 s12, 0, v97
	v_cmp_eq_u32_e64 s13, 0, v96
	ds_bpermute_b32 v47, v48, v47
	ds_bpermute_b32 v44, v48, v44
	;; [unrolled: 1-line block ×3, first 2 shown]
	s_waitcnt lgkmcnt(2)
	v_cndmask_b32_e64 v98, v47, v51, s12
	s_waitcnt lgkmcnt(1)
	v_cndmask_b32_e64 v62, v44, v46, s12
	;; [unrolled: 2-line block ×3, first 2 shown]
	v_cmp_eq_u32_e64 s12, 0, v0
	ds_load_b32 v45, v75 offset:2192
	v_cndmask_b32_e64 v43, v61, v49, s12
	v_cndmask_b32_e64 v44, v62, v50, s12
	s_delay_alu instid0(VALU_DEP_2) | instskip(NEXT) | instid1(VALU_DEP_2)
	v_cndmask_b32_e64 v43, 0, v43, s13
	v_cndmask_b32_e64 v44, 0, v44, s13
	s_delay_alu instid0(VALU_DEP_2) | instskip(NEXT) | instid1(VALU_DEP_1)
	v_add_co_u32 v59, s13, v43, v41
	v_add_co_ci_u32_e64 v60, s13, v44, v42, s13
	s_delay_alu instid0(VALU_DEP_2) | instskip(NEXT) | instid1(VALU_DEP_2)
	v_cndmask_b32_e64 v41, 0, v59, s11
	v_cndmask_b32_e64 v42, 0, v60, s11
	s_delay_alu instid0(VALU_DEP_2) | instskip(NEXT) | instid1(VALU_DEP_1)
	v_add_co_u32 v65, s11, v41, v39
	v_add_co_ci_u32_e64 v66, s11, v42, v40, s11
	;; [unrolled: 6-line block ×11, first 2 shown]
	ds_load_b64 v[21:22], v75 offset:2200
	v_dual_cndmask_b32 v23, 0, v73 :: v_dual_cndmask_b32 v24, 0, v74
	s_delay_alu instid0(VALU_DEP_1) | instskip(NEXT) | instid1(VALU_DEP_2)
	v_add_co_u32 v77, vcc_lo, v23, v19
	v_add_co_ci_u32_e32 v78, vcc_lo, v24, v20, vcc_lo
	s_waitcnt lgkmcnt(1)
	v_cmp_eq_u32_e32 vcc_lo, 0, v45
	s_delay_alu instid0(VALU_DEP_3) | instskip(NEXT) | instid1(VALU_DEP_3)
	v_cndmask_b32_e64 v19, 0, v77, s1
	v_cndmask_b32_e64 v20, 0, v78, s1
	s_delay_alu instid0(VALU_DEP_2) | instskip(NEXT) | instid1(VALU_DEP_1)
	v_add_co_u32 v75, s1, v19, v17
	v_add_co_ci_u32_e64 v76, s1, v20, v18, s1
	v_dual_cndmask_b32 v18, 0, v49 :: v_dual_cndmask_b32 v17, 0, v50
	s_delay_alu instid0(VALU_DEP_3) | instskip(NEXT) | instid1(VALU_DEP_3)
	v_cndmask_b32_e64 v79, 0, v75, s0
	v_cndmask_b32_e64 v80, 0, v76, s0
	s_waitcnt lgkmcnt(0)
	s_delay_alu instid0(VALU_DEP_3)
	v_add_co_u32 v47, vcc_lo, v18, v21
	v_add_co_ci_u32_e32 v48, vcc_lo, v17, v22, vcc_lo
	s_and_saveexec_b32 s0, s12
	s_cbranch_execz .LBB902_167
; %bb.166:
	v_dual_mov_b32 v98, 0 :: v_dual_mov_b32 v17, 2
	v_dual_mov_b32 v62, v50 :: v_dual_mov_b32 v61, v49
	s_clause 0x1
	global_store_b32 v98, v45, s[38:39] offset:512
	global_store_b64 v98, v[47:48], s[38:39] offset:520
	s_waitcnt_vscnt null, 0x0
	buffer_gl1_inv
	buffer_gl0_inv
	global_store_b8 v98, v17, s[40:41] offset:32
.LBB902_167:
	s_or_b32 exec_lo, exec_lo, s0
	v_mov_b32_e32 v49, 0
.LBB902_168:
	v_mov_b32_e32 v17, 0
	s_and_b32 s0, s14, exec_lo
	v_mov_b32_e32 v18, 0
	s_cselect_b32 s1, 0, s51
	s_cselect_b32 s0, 0, s50
	s_waitcnt lgkmcnt(0)
	s_waitcnt_vscnt null, 0x0
	s_cmp_eq_u64 s[0:1], 0
	s_barrier
	buffer_gl0_inv
	s_cbranch_scc1 .LBB902_170
; %bb.169:
	v_mov_b32_e32 v17, 0
	global_load_b64 v[17:18], v17, s[0:1]
.LBB902_170:
	v_add_nc_u32_e32 v32, v98, v96
	v_cmp_gt_u32_e32 vcc_lo, 0x100, v45
	s_delay_alu instid0(VALU_DEP_2) | instskip(SKIP_1) | instid1(VALU_DEP_1)
	v_add_nc_u32_e32 v31, v32, v95
	s_and_b32 vcc_lo, exec_lo, vcc_lo
	v_add_nc_u32_e32 v30, v31, v94
	s_delay_alu instid0(VALU_DEP_1) | instskip(NEXT) | instid1(VALU_DEP_1)
	v_add_nc_u32_e32 v29, v30, v93
	v_add_nc_u32_e32 v28, v29, v92
	s_delay_alu instid0(VALU_DEP_1) | instskip(NEXT) | instid1(VALU_DEP_1)
	v_add_nc_u32_e32 v27, v28, v91
	;; [unrolled: 3-line block ×5, first 2 shown]
	v_add_nc_u32_e32 v20, v21, v83
	s_delay_alu instid0(VALU_DEP_1)
	v_add_nc_u32_e32 v19, v20, v82
	s_cbranch_vccnz .LBB902_219
; %bb.171:
	v_cmp_eq_u32_e32 vcc_lo, 0, v95
	v_cmp_eq_u32_e64 s0, 0, v83
	v_cmp_eq_u32_e64 s1, 0, v82
	v_cmp_ne_u32_e64 s11, 0, v96
	v_cmp_ne_u32_e64 s2, 0, v84
	v_cndmask_b32_e64 v33, 1, 2, vcc_lo
	v_cmp_eq_u32_e32 vcc_lo, 0, v96
	v_cndmask_b32_e64 v36, 1, 2, s1
	v_cmp_ne_u32_e64 s1, 0, v83
	v_cmp_ne_u32_e64 s3, 0, v85
	;; [unrolled: 1-line block ×3, first 2 shown]
	v_cndmask_b32_e64 v34, 1, 2, vcc_lo
	v_cmp_eq_u32_e32 vcc_lo, 0, v94
	v_cmp_ne_u32_e64 s5, 0, v87
	v_cmp_ne_u32_e64 s6, 0, v88
	;; [unrolled: 1-line block ×3, first 2 shown]
	v_and_b32_e32 v33, v33, v34
	v_cndmask_b32_e64 v35, 1, 2, vcc_lo
	v_cmp_eq_u32_e32 vcc_lo, 0, v93
	v_cmp_ne_u32_e64 s8, 0, v91
	v_cmp_ne_u32_e64 s9, 0, v92
	;; [unrolled: 1-line block ×3, first 2 shown]
	v_and_b32_e32 v33, v33, v35
	v_cndmask_b32_e64 v34, 1, 2, vcc_lo
	v_cmp_eq_u32_e32 vcc_lo, 0, v92
	v_cmp_ne_u32_e64 s12, 0, v94
	v_cmp_ne_u32_e64 s13, 0, v95
	s_mov_b32 s16, 0
	v_and_b32_e32 v33, v33, v34
	v_cndmask_b32_e64 v35, 1, 2, vcc_lo
	v_cmp_eq_u32_e32 vcc_lo, 0, v91
	s_mov_b32 s15, exec_lo
	s_delay_alu instid0(VALU_DEP_2) | instskip(SKIP_2) | instid1(VALU_DEP_2)
	v_and_b32_e32 v33, v33, v35
	v_cndmask_b32_e64 v34, 1, 2, vcc_lo
	v_cmp_eq_u32_e32 vcc_lo, 0, v90
	v_and_b32_e32 v33, v33, v34
	v_cndmask_b32_e64 v35, 1, 2, vcc_lo
	v_cmp_eq_u32_e32 vcc_lo, 0, v88
	s_delay_alu instid0(VALU_DEP_2) | instskip(SKIP_2) | instid1(VALU_DEP_2)
	v_and_b32_e32 v33, v33, v35
	v_cndmask_b32_e64 v34, 1, 2, vcc_lo
	v_cmp_eq_u32_e32 vcc_lo, 0, v87
	v_and_b32_e32 v33, v33, v34
	v_cndmask_b32_e64 v35, 1, 2, vcc_lo
	v_cmp_eq_u32_e32 vcc_lo, 0, v86
	s_delay_alu instid0(VALU_DEP_2) | instskip(SKIP_2) | instid1(VALU_DEP_2)
	v_and_b32_e32 v33, v33, v35
	v_cndmask_b32_e64 v34, 1, 2, vcc_lo
	v_cmp_eq_u32_e32 vcc_lo, 0, v85
	v_and_b32_e32 v33, v33, v34
	v_cndmask_b32_e64 v35, 1, 2, vcc_lo
	v_cmp_eq_u32_e32 vcc_lo, 0, v84
	s_delay_alu instid0(VALU_DEP_2) | instskip(SKIP_4) | instid1(VALU_DEP_4)
	v_and_b32_e32 v33, v33, v35
	v_cndmask_b32_e64 v34, 1, 2, vcc_lo
	v_cndmask_b32_e64 v35, 1, 2, s0
	v_cmp_eq_u32_e64 s0, 0, v89
	v_cmp_ne_u32_e32 vcc_lo, 0, v89
	v_and_b32_e32 v33, v33, v34
	s_delay_alu instid0(VALU_DEP_3) | instskip(SKIP_1) | instid1(VALU_DEP_3)
	v_cndmask_b32_e64 v34, 1, 2, s0
	v_cmp_ne_u32_e64 s0, 0, v82
	v_and_b32_e32 v33, v33, v35
	s_delay_alu instid0(VALU_DEP_1) | instskip(NEXT) | instid1(VALU_DEP_1)
	v_and_b32_e32 v33, v33, v36
	v_and_b32_e32 v33, v33, v34
	s_delay_alu instid0(VALU_DEP_1)
	v_cmpx_gt_i16_e32 2, v33
	s_cbranch_execz .LBB902_218
; %bb.172:
	v_cmp_ne_u16_e64 s14, 1, v33
	s_delay_alu instid0(VALU_DEP_1) | instskip(NEXT) | instid1(SALU_CYCLE_1)
	s_and_saveexec_b32 s17, s14
	s_xor_b32 s14, exec_lo, s17
	s_cbranch_execz .LBB902_196
; %bb.173:
	s_and_saveexec_b32 s16, s11
	s_cbranch_execz .LBB902_201
; %bb.174:
	v_sub_nc_u32_e32 v33, v98, v49
	s_delay_alu instid0(VALU_DEP_1)
	v_lshlrev_b32_e32 v33, 2, v33
	ds_store_b32 v33, v13
	s_or_b32 exec_lo, exec_lo, s16
	s_and_saveexec_b32 s11, s13
	s_cbranch_execnz .LBB902_202
.LBB902_175:
	s_or_b32 exec_lo, exec_lo, s11
	s_and_saveexec_b32 s11, s12
	s_cbranch_execz .LBB902_203
.LBB902_176:
	v_sub_nc_u32_e32 v13, v31, v49
	s_delay_alu instid0(VALU_DEP_1)
	v_lshlrev_b32_e32 v13, 2, v13
	ds_store_b32 v13, v11
	s_or_b32 exec_lo, exec_lo, s11
	s_and_saveexec_b32 s11, s10
	s_cbranch_execnz .LBB902_204
.LBB902_177:
	s_or_b32 exec_lo, exec_lo, s11
	s_and_saveexec_b32 s10, s9
	s_cbranch_execz .LBB902_205
.LBB902_178:
	v_sub_nc_u32_e32 v11, v29, v49
	s_delay_alu instid0(VALU_DEP_1)
	v_lshlrev_b32_e32 v11, 2, v11
	ds_store_b32 v11, v9
	s_or_b32 exec_lo, exec_lo, s10
	s_and_saveexec_b32 s9, s8
	s_cbranch_execnz .LBB902_206
.LBB902_179:
	s_or_b32 exec_lo, exec_lo, s9
	s_and_saveexec_b32 s8, s7
	s_cbranch_execz .LBB902_207
.LBB902_180:
	v_sub_nc_u32_e32 v9, v27, v49
	s_delay_alu instid0(VALU_DEP_1)
	v_lshlrev_b32_e32 v9, 2, v9
	ds_store_b32 v9, v7
	s_or_b32 exec_lo, exec_lo, s8
	s_and_saveexec_b32 s7, s6
	s_cbranch_execnz .LBB902_208
.LBB902_181:
	s_or_b32 exec_lo, exec_lo, s7
	s_and_saveexec_b32 s6, s5
	s_cbranch_execz .LBB902_209
.LBB902_182:
	v_sub_nc_u32_e32 v7, v25, v49
	s_delay_alu instid0(VALU_DEP_1)
	v_lshlrev_b32_e32 v7, 2, v7
	ds_store_b32 v7, v5
	s_or_b32 exec_lo, exec_lo, s6
	s_and_saveexec_b32 s5, s4
	s_cbranch_execnz .LBB902_210
.LBB902_183:
	s_or_b32 exec_lo, exec_lo, s5
	s_and_saveexec_b32 s4, s3
	s_cbranch_execz .LBB902_211
.LBB902_184:
	v_sub_nc_u32_e32 v5, v23, v49
	s_delay_alu instid0(VALU_DEP_1)
	v_lshlrev_b32_e32 v5, 2, v5
	ds_store_b32 v5, v3
	s_or_b32 exec_lo, exec_lo, s4
	s_and_saveexec_b32 s3, s2
	s_cbranch_execnz .LBB902_212
.LBB902_185:
	s_or_b32 exec_lo, exec_lo, s3
	s_and_saveexec_b32 s2, s1
	s_cbranch_execz .LBB902_213
.LBB902_186:
	v_sub_nc_u32_e32 v3, v21, v49
	s_delay_alu instid0(VALU_DEP_1)
	v_lshlrev_b32_e32 v3, 2, v3
	ds_store_b32 v3, v1
	s_or_b32 exec_lo, exec_lo, s2
	s_and_saveexec_b32 s1, s0
	s_cbranch_execnz .LBB902_214
	s_branch .LBB902_215
.LBB902_187:
	s_mov_b32 s35, 0
                                        ; implicit-def: $sgpr0
                                        ; implicit-def: $vgpr89
                                        ; implicit-def: $vgpr82
                                        ; implicit-def: $vgpr83
                                        ; implicit-def: $vgpr84
                                        ; implicit-def: $vgpr85
                                        ; implicit-def: $vgpr86
                                        ; implicit-def: $vgpr87
                                        ; implicit-def: $vgpr88
                                        ; implicit-def: $vgpr90
                                        ; implicit-def: $vgpr91
                                        ; implicit-def: $vgpr92
                                        ; implicit-def: $vgpr93
                                        ; implicit-def: $vgpr94
                                        ; implicit-def: $vgpr95
	s_cbranch_execz .LBB902_69
.LBB902_188:
	v_cmp_ne_u32_e32 vcc_lo, v2, v81
	v_lshlrev_b32_e32 v45, 2, v0
	s_mov_b32 s1, exec_lo
                                        ; implicit-def: $sgpr0
	v_cndmask_b32_e64 v89, 0, 1, vcc_lo
	v_cmp_ne_u32_e32 vcc_lo, v1, v2
	ds_store_b32 v45, v81
	s_waitcnt lgkmcnt(0)
	s_barrier
	buffer_gl0_inv
	v_cndmask_b32_e64 v82, 0, 1, vcc_lo
	v_cmp_ne_u32_e32 vcc_lo, v4, v1
	v_cndmask_b32_e64 v83, 0, 1, vcc_lo
	v_cmp_ne_u32_e32 vcc_lo, v3, v4
	v_cndmask_b32_e64 v84, 0, 1, vcc_lo
	v_cmp_ne_u32_e32 vcc_lo, v6, v3
	v_cndmask_b32_e64 v85, 0, 1, vcc_lo
	v_cmp_ne_u32_e32 vcc_lo, v5, v6
	v_cndmask_b32_e64 v86, 0, 1, vcc_lo
	v_cmp_ne_u32_e32 vcc_lo, v8, v5
	v_cndmask_b32_e64 v87, 0, 1, vcc_lo
	v_cmp_ne_u32_e32 vcc_lo, v7, v8
	v_cndmask_b32_e64 v88, 0, 1, vcc_lo
	v_cmp_ne_u32_e32 vcc_lo, v10, v7
	v_cndmask_b32_e64 v90, 0, 1, vcc_lo
	v_cmp_ne_u32_e32 vcc_lo, v9, v10
	v_cndmask_b32_e64 v91, 0, 1, vcc_lo
	v_cmp_ne_u32_e32 vcc_lo, v12, v9
	v_cndmask_b32_e64 v92, 0, 1, vcc_lo
	v_cmp_ne_u32_e32 vcc_lo, v11, v12
	v_cndmask_b32_e64 v93, 0, 1, vcc_lo
	v_cmp_ne_u32_e32 vcc_lo, v14, v11
	v_cndmask_b32_e64 v94, 0, 1, vcc_lo
	v_cmp_ne_u32_e32 vcc_lo, v13, v14
	v_cndmask_b32_e64 v95, 0, 1, vcc_lo
	v_cmpx_ne_u32_e32 0, v0
	s_xor_b32 s1, exec_lo, s1
	s_cbranch_execz .LBB902_190
; %bb.189:
	v_add_nc_u32_e32 v45, -4, v45
	s_or_b32 s35, s35, exec_lo
	ds_load_b32 v45, v45
	s_waitcnt lgkmcnt(0)
	v_cmp_ne_u32_e32 vcc_lo, v45, v13
	s_and_b32 s0, vcc_lo, exec_lo
.LBB902_190:
	s_or_b32 exec_lo, exec_lo, s1
	s_mov_b32 s1, 1
	s_branch .LBB902_71
.LBB902_191:
	s_mul_hi_u32 s0, s18, 0xfffff100
	s_mul_i32 s1, s19, 0xfffff100
	s_sub_i32 s0, s0, s18
	s_mul_i32 s2, s18, 0xfffff100
	s_add_i32 s0, s0, s1
	s_add_u32 s30, s2, s48
	s_addc_u32 s31, s0, s49
	s_and_b32 vcc_lo, exec_lo, s14
	s_cbranch_vccz .LBB902_198
; %bb.192:
	v_add_co_u32 v45, s0, -4, s20
	s_delay_alu instid0(VALU_DEP_1)
	v_add_co_ci_u32_e64 v46, null, -1, s17, s0
	v_cmp_ne_u32_e64 s6, v2, v81
	v_cmp_ne_u32_e64 s8, v1, v2
	v_lshlrev_b32_e32 v48, 2, v0
	flat_load_b32 v49, v[45:46]
	v_mad_u32_u24 v45, v0, 15, 14
	v_mov_b32_e32 v46, 0
	v_mul_u32_u24_e32 v47, 15, v0
	s_mov_b32 s35, -1
	s_mov_b32 s10, 0
	ds_store_b32 v48, v81
	v_cmp_gt_u64_e32 vcc_lo, s[30:31], v[45:46]
	v_mad_u32_u24 v45, v0, 15, 13
	s_waitcnt vmcnt(0) lgkmcnt(0)
	s_barrier
	buffer_gl0_inv
	v_cmp_gt_u64_e64 s0, s[30:31], v[45:46]
	v_mad_u32_u24 v45, v0, 15, 12
	s_and_b32 s11, vcc_lo, s6
	v_cmp_ne_u32_e64 s6, v3, v4
	s_delay_alu instid0(VALU_DEP_2) | instskip(SKIP_4) | instid1(VALU_DEP_3)
	v_cmp_gt_u64_e64 s1, s[30:31], v[45:46]
	v_mad_u32_u24 v45, v0, 15, 11
	s_and_b32 s12, s0, s8
	v_cmp_ne_u32_e64 s0, v4, v1
	v_cmp_ne_u32_e64 s8, v6, v3
	v_cmp_gt_u64_e64 s2, s[30:31], v[45:46]
	v_mad_u32_u24 v45, v0, 15, 10
	s_delay_alu instid0(VALU_DEP_4) | instskip(SKIP_1) | instid1(VALU_DEP_2)
	s_and_b32 s13, s1, s0
	v_cmp_ne_u32_e64 s0, v5, v6
	v_cmp_gt_u64_e64 s3, s[30:31], v[45:46]
	v_mad_u32_u24 v45, v0, 15, 9
	s_and_b32 s14, s2, s6
	v_cmp_ne_u32_e64 s2, v7, v8
	v_cmp_ne_u32_e64 s6, v13, v14
	s_delay_alu instid0(VALU_DEP_3) | instskip(SKIP_3) | instid1(VALU_DEP_2)
	v_cmp_gt_u64_e64 s4, s[30:31], v[45:46]
	v_mad_u32_u24 v45, v0, 15, 8
	s_and_b32 s8, s3, s8
	v_cmp_ne_u32_e64 s3, v10, v7
	v_cmp_gt_u64_e64 s5, s[30:31], v[45:46]
	v_mad_u32_u24 v45, v0, 15, 7
	s_and_b32 s16, s4, s0
	v_cmp_ne_u32_e64 s0, v8, v5
	s_delay_alu instid0(VALU_DEP_2) | instskip(SKIP_1) | instid1(VALU_DEP_3)
	v_cmp_gt_u64_e64 s7, s[30:31], v[45:46]
	v_mad_u32_u24 v45, v0, 15, 6
	s_and_b32 s17, s5, s0
	v_cmp_ne_u32_e64 s0, v9, v10
	s_delay_alu instid0(VALU_DEP_2) | instskip(SKIP_3) | instid1(VALU_DEP_2)
	v_cmp_gt_u64_e32 vcc_lo, s[30:31], v[45:46]
	v_mad_u32_u24 v45, v0, 15, 5
	s_and_b32 s18, s7, s2
	v_cmp_ne_u32_e64 s2, v11, v12
	v_cmp_gt_u64_e64 s9, s[30:31], v[45:46]
	v_mad_u32_u24 v45, v0, 15, 4
	s_and_b32 s7, vcc_lo, s3
	v_cmp_ne_u32_e64 s3, v14, v11
	s_delay_alu instid0(VALU_DEP_2) | instskip(SKIP_3) | instid1(VALU_DEP_2)
	v_cmp_gt_u64_e64 s1, s[30:31], v[45:46]
	v_mad_u32_u24 v45, v0, 15, 3
	s_and_b32 s9, s9, s0
	v_cmp_ne_u32_e64 s0, v12, v9
	v_cmp_gt_u64_e64 s4, s[30:31], v[45:46]
	v_mad_u32_u24 v45, v0, 15, 2
	s_delay_alu instid0(VALU_DEP_3) | instskip(NEXT) | instid1(VALU_DEP_1)
	s_and_b32 s0, s1, s0
	v_cmp_gt_u64_e32 vcc_lo, s[30:31], v[45:46]
	v_mad_u32_u24 v45, v0, 15, 1
	s_delay_alu instid0(VALU_DEP_4) | instskip(SKIP_1) | instid1(VALU_DEP_1)
	s_and_b32 s2, s4, s2
	s_mov_b32 s4, exec_lo
	v_cmp_gt_u64_e64 s5, s[30:31], v[45:46]
	s_and_b32 s1, vcc_lo, s3
	s_delay_alu instid0(VALU_DEP_1)
	s_and_b32 s3, s5, s6
	v_cmpx_ne_u32_e32 0, v0
	s_cbranch_execz .LBB902_194
; %bb.193:
	v_add_nc_u32_e32 v45, -4, v48
	ds_load_b32 v49, v45
.LBB902_194:
	s_or_b32 exec_lo, exec_lo, s4
	v_mov_b32_e32 v48, v46
	v_cndmask_b32_e64 v92, 0, 1, s0
	s_waitcnt lgkmcnt(0)
	v_cmp_ne_u32_e64 s0, v49, v13
	v_cndmask_b32_e64 v89, 0, 1, s11
	v_cndmask_b32_e64 v82, 0, 1, s12
	v_cmp_gt_u64_e32 vcc_lo, s[30:31], v[47:48]
	v_cndmask_b32_e64 v83, 0, 1, s13
	v_cndmask_b32_e64 v84, 0, 1, s14
	;; [unrolled: 1-line block ×11, first 2 shown]
	s_and_b32 s0, vcc_lo, s0
	s_and_b32 vcc_lo, exec_lo, s10
	s_cbranch_vccnz .LBB902_199
.LBB902_195:
                                        ; implicit-def: $sgpr1
	v_mov_b32_e32 v96, s1
	s_and_saveexec_b32 s1, s35
	s_cbranch_execnz .LBB902_72
	s_branch .LBB902_73
.LBB902_196:
	s_and_not1_saveexec_b32 s0, s14
	s_cbranch_execz .LBB902_216
.LBB902_197:
	v_sub_nc_u32_e32 v33, v98, v49
	v_sub_nc_u32_e32 v36, v30, v49
	;; [unrolled: 1-line block ×4, first 2 shown]
	s_or_b32 s16, s16, exec_lo
	v_lshlrev_b32_e32 v33, 2, v33
	v_lshlrev_b32_e32 v36, 2, v36
	;; [unrolled: 1-line block ×4, first 2 shown]
	ds_store_b32 v33, v13
	ds_store_b32 v34, v14
	;; [unrolled: 1-line block ×3, first 2 shown]
	v_sub_nc_u32_e32 v11, v29, v49
	ds_store_b32 v36, v12
	v_sub_nc_u32_e32 v12, v28, v49
	v_sub_nc_u32_e32 v13, v27, v49
	;; [unrolled: 1-line block ×3, first 2 shown]
	v_lshlrev_b32_e32 v11, 2, v11
	v_sub_nc_u32_e32 v33, v25, v49
	v_lshlrev_b32_e32 v12, 2, v12
	v_lshlrev_b32_e32 v13, 2, v13
	;; [unrolled: 1-line block ×3, first 2 shown]
	ds_store_b32 v11, v9
	v_lshlrev_b32_e32 v9, 2, v33
	ds_store_b32 v12, v10
	ds_store_b32 v13, v7
	;; [unrolled: 1-line block ×3, first 2 shown]
	v_sub_nc_u32_e32 v7, v24, v49
	v_sub_nc_u32_e32 v10, v20, v49
	;; [unrolled: 1-line block ×3, first 2 shown]
	ds_store_b32 v9, v5
	v_sub_nc_u32_e32 v5, v23, v49
	v_lshlrev_b32_e32 v7, 2, v7
	v_sub_nc_u32_e32 v9, v21, v49
	v_lshlrev_b32_e32 v8, 2, v8
	s_delay_alu instid0(VALU_DEP_4)
	v_lshlrev_b32_e32 v5, 2, v5
	ds_store_b32 v7, v6
	v_lshlrev_b32_e32 v6, 2, v10
	v_lshlrev_b32_e32 v9, 2, v9
	ds_store_b32 v5, v3
	ds_store_b32 v8, v4
	;; [unrolled: 1-line block ×4, first 2 shown]
	s_or_b32 exec_lo, exec_lo, s0
	s_delay_alu instid0(SALU_CYCLE_1)
	s_and_b32 exec_lo, exec_lo, s16
	s_cbranch_execnz .LBB902_217
	s_branch .LBB902_218
.LBB902_198:
                                        ; implicit-def: $sgpr0
                                        ; implicit-def: $vgpr89
                                        ; implicit-def: $vgpr82
                                        ; implicit-def: $vgpr83
                                        ; implicit-def: $vgpr84
                                        ; implicit-def: $vgpr85
                                        ; implicit-def: $vgpr86
                                        ; implicit-def: $vgpr87
                                        ; implicit-def: $vgpr88
                                        ; implicit-def: $vgpr90
                                        ; implicit-def: $vgpr91
                                        ; implicit-def: $vgpr92
                                        ; implicit-def: $vgpr93
                                        ; implicit-def: $vgpr94
                                        ; implicit-def: $vgpr95
	s_cbranch_execz .LBB902_195
.LBB902_199:
	v_mad_u32_u24 v45, v0, 15, 14
	v_dual_mov_b32 v46, 0 :: v_dual_lshlrev_b32 v47, 2, v0
	v_cmp_ne_u32_e64 s5, v1, v2
	v_cmp_ne_u32_e64 s4, v2, v81
	;; [unrolled: 1-line block ×3, first 2 shown]
	s_delay_alu instid0(VALU_DEP_4)
	v_cmp_gt_u64_e32 vcc_lo, s[30:31], v[45:46]
	v_mad_u32_u24 v45, v0, 15, 13
	v_cmp_ne_u32_e64 s8, v3, v4
	v_cmp_ne_u32_e64 s9, v6, v3
	;; [unrolled: 1-line block ×4, first 2 shown]
	v_cmp_gt_u64_e64 s0, s[30:31], v[45:46]
	v_mad_u32_u24 v45, v0, 15, 12
	s_and_b32 s4, vcc_lo, s4
	v_cmp_ne_u32_e64 s13, v7, v8
	v_cmp_ne_u32_e64 s14, v10, v7
	v_cmp_ne_u32_e64 s16, v9, v10
	v_cmp_gt_u64_e64 s1, s[30:31], v[45:46]
	v_mad_u32_u24 v45, v0, 15, 11
	s_and_b32 s0, s0, s5
	v_cmp_ne_u32_e64 s17, v12, v9
	v_cndmask_b32_e64 v82, 0, 1, s0
	v_cmp_ne_u32_e64 s19, v11, v12
	v_cmp_gt_u64_e64 s2, s[30:31], v[45:46]
	v_mad_u32_u24 v45, v0, 15, 10
	s_and_b32 s0, s1, s6
	v_cmp_ne_u32_e64 s20, v14, v11
	v_cndmask_b32_e64 v83, 0, 1, s0
	v_cmp_ne_u32_e64 s21, v13, v14
	v_cmp_gt_u64_e64 s3, s[30:31], v[45:46]
	v_mad_u32_u24 v45, v0, 15, 9
	s_and_b32 s0, s2, s8
	v_cndmask_b32_e64 v89, 0, 1, s4
	v_cndmask_b32_e64 v84, 0, 1, s0
	ds_store_b32 v47, v81
	v_cmp_gt_u64_e64 s7, s[30:31], v[45:46]
	v_mad_u32_u24 v45, v0, 15, 8
	s_and_b32 s1, s3, s9
	s_waitcnt lgkmcnt(0)
	v_cndmask_b32_e64 v85, 0, 1, s1
	s_barrier
	v_cmp_gt_u64_e64 s12, s[30:31], v[45:46]
	v_mad_u32_u24 v45, v0, 15, 7
	s_and_b32 s1, s7, s10
	buffer_gl0_inv
	v_cndmask_b32_e64 v86, 0, 1, s1
	v_cmp_gt_u64_e64 s18, s[30:31], v[45:46]
	v_mad_u32_u24 v45, v0, 15, 6
	s_and_b32 s2, s12, s11
	s_delay_alu instid0(SALU_CYCLE_1) | instskip(NEXT) | instid1(VALU_DEP_2)
	v_cndmask_b32_e64 v87, 0, 1, s2
	v_cmp_gt_u64_e64 s22, s[30:31], v[45:46]
	v_mad_u32_u24 v45, v0, 15, 5
	s_and_b32 s2, s18, s13
	s_delay_alu instid0(SALU_CYCLE_1) | instskip(NEXT) | instid1(VALU_DEP_2)
	v_cndmask_b32_e64 v88, 0, 1, s2
	v_cmp_gt_u64_e32 vcc_lo, s[30:31], v[45:46]
	v_mad_u32_u24 v45, v0, 15, 4
	s_and_b32 s3, s22, s14
	s_delay_alu instid0(SALU_CYCLE_1) | instskip(NEXT) | instid1(VALU_DEP_2)
	v_cndmask_b32_e64 v90, 0, 1, s3
	v_cmp_gt_u64_e64 s0, s[30:31], v[45:46]
	v_mad_u32_u24 v45, v0, 15, 3
	s_and_b32 s3, vcc_lo, s16
	s_delay_alu instid0(SALU_CYCLE_1) | instskip(NEXT) | instid1(VALU_DEP_2)
	v_cndmask_b32_e64 v91, 0, 1, s3
	v_cmp_gt_u64_e64 s1, s[30:31], v[45:46]
	v_mad_u32_u24 v45, v0, 15, 2
	s_and_b32 s0, s0, s17
	s_delay_alu instid0(SALU_CYCLE_1) | instskip(NEXT) | instid1(VALU_DEP_2)
	v_cndmask_b32_e64 v92, 0, 1, s0
	v_cmp_gt_u64_e64 s2, s[30:31], v[45:46]
	v_mad_u32_u24 v45, v0, 15, 1
	s_and_b32 s0, s1, s19
	s_mov_b32 s1, 1
	v_cndmask_b32_e64 v93, 0, 1, s0
	s_delay_alu instid0(VALU_DEP_2) | instskip(SKIP_4) | instid1(SALU_CYCLE_1)
	v_cmp_gt_u64_e32 vcc_lo, s[30:31], v[45:46]
	s_and_b32 s0, s2, s20
	s_mov_b32 s2, exec_lo
	v_cndmask_b32_e64 v94, 0, 1, s0
	s_and_b32 s0, vcc_lo, s21
	v_cndmask_b32_e64 v95, 0, 1, s0
                                        ; implicit-def: $sgpr0
	v_cmpx_ne_u32_e32 0, v0
	s_cbranch_execz .LBB902_257
; %bb.200:
	v_add_nc_u32_e32 v45, -4, v47
	s_or_b32 s35, s35, exec_lo
	ds_load_b32 v47, v45
	v_mul_u32_u24_e32 v45, 15, v0
	s_delay_alu instid0(VALU_DEP_1) | instskip(SKIP_2) | instid1(VALU_DEP_1)
	v_cmp_gt_u64_e32 vcc_lo, s[30:31], v[45:46]
	s_waitcnt lgkmcnt(0)
	v_cmp_ne_u32_e64 s0, v47, v13
	s_and_b32 s0, vcc_lo, s0
	s_delay_alu instid0(SALU_CYCLE_1)
	s_and_b32 s0, s0, exec_lo
	s_or_b32 exec_lo, exec_lo, s2
	v_mov_b32_e32 v96, s1
	s_and_saveexec_b32 s1, s35
	s_cbranch_execz .LBB902_73
	s_branch .LBB902_72
.LBB902_201:
	s_or_b32 exec_lo, exec_lo, s16
	s_and_saveexec_b32 s11, s13
	s_cbranch_execz .LBB902_175
.LBB902_202:
	v_sub_nc_u32_e32 v13, v32, v49
	s_delay_alu instid0(VALU_DEP_1)
	v_lshlrev_b32_e32 v13, 2, v13
	ds_store_b32 v13, v14
	s_or_b32 exec_lo, exec_lo, s11
	s_and_saveexec_b32 s11, s12
	s_cbranch_execnz .LBB902_176
.LBB902_203:
	s_or_b32 exec_lo, exec_lo, s11
	s_and_saveexec_b32 s11, s10
	s_cbranch_execz .LBB902_177
.LBB902_204:
	v_sub_nc_u32_e32 v11, v30, v49
	s_delay_alu instid0(VALU_DEP_1)
	v_lshlrev_b32_e32 v11, 2, v11
	ds_store_b32 v11, v12
	s_or_b32 exec_lo, exec_lo, s11
	s_and_saveexec_b32 s10, s9
	s_cbranch_execnz .LBB902_178
.LBB902_205:
	s_or_b32 exec_lo, exec_lo, s10
	s_and_saveexec_b32 s9, s8
	s_cbranch_execz .LBB902_179
.LBB902_206:
	v_sub_nc_u32_e32 v9, v28, v49
	s_delay_alu instid0(VALU_DEP_1)
	v_lshlrev_b32_e32 v9, 2, v9
	ds_store_b32 v9, v10
	s_or_b32 exec_lo, exec_lo, s9
	s_and_saveexec_b32 s8, s7
	s_cbranch_execnz .LBB902_180
.LBB902_207:
	s_or_b32 exec_lo, exec_lo, s8
	s_and_saveexec_b32 s7, s6
	s_cbranch_execz .LBB902_181
.LBB902_208:
	v_sub_nc_u32_e32 v7, v26, v49
	s_delay_alu instid0(VALU_DEP_1)
	v_lshlrev_b32_e32 v7, 2, v7
	ds_store_b32 v7, v8
	s_or_b32 exec_lo, exec_lo, s7
	s_and_saveexec_b32 s6, s5
	s_cbranch_execnz .LBB902_182
.LBB902_209:
	s_or_b32 exec_lo, exec_lo, s6
	s_and_saveexec_b32 s5, s4
	s_cbranch_execz .LBB902_183
.LBB902_210:
	v_sub_nc_u32_e32 v5, v24, v49
	s_delay_alu instid0(VALU_DEP_1)
	v_lshlrev_b32_e32 v5, 2, v5
	ds_store_b32 v5, v6
	s_or_b32 exec_lo, exec_lo, s5
	s_and_saveexec_b32 s4, s3
	s_cbranch_execnz .LBB902_184
.LBB902_211:
	s_or_b32 exec_lo, exec_lo, s4
	s_and_saveexec_b32 s3, s2
	s_cbranch_execz .LBB902_185
.LBB902_212:
	v_sub_nc_u32_e32 v3, v22, v49
	s_delay_alu instid0(VALU_DEP_1)
	v_lshlrev_b32_e32 v3, 2, v3
	ds_store_b32 v3, v4
	s_or_b32 exec_lo, exec_lo, s3
	s_and_saveexec_b32 s2, s1
	s_cbranch_execnz .LBB902_186
.LBB902_213:
	s_or_b32 exec_lo, exec_lo, s2
	s_and_saveexec_b32 s1, s0
	s_cbranch_execz .LBB902_215
.LBB902_214:
	v_sub_nc_u32_e32 v1, v20, v49
	s_delay_alu instid0(VALU_DEP_1)
	v_lshlrev_b32_e32 v1, 2, v1
	ds_store_b32 v1, v2
.LBB902_215:
	s_or_b32 exec_lo, exec_lo, s1
	s_delay_alu instid0(SALU_CYCLE_1)
	s_and_b32 s16, vcc_lo, exec_lo
                                        ; implicit-def: $vgpr13
                                        ; implicit-def: $vgpr11
                                        ; implicit-def: $vgpr9
                                        ; implicit-def: $vgpr7
                                        ; implicit-def: $vgpr5
                                        ; implicit-def: $vgpr3
                                        ; implicit-def: $vgpr1
	s_and_not1_saveexec_b32 s0, s14
	s_cbranch_execnz .LBB902_197
.LBB902_216:
	s_or_b32 exec_lo, exec_lo, s0
	s_delay_alu instid0(SALU_CYCLE_1)
	s_and_b32 exec_lo, exec_lo, s16
	s_cbranch_execz .LBB902_218
.LBB902_217:
	v_sub_nc_u32_e32 v1, v19, v49
	s_delay_alu instid0(VALU_DEP_1)
	v_lshlrev_b32_e32 v1, 2, v1
	ds_store_b32 v1, v81
.LBB902_218:
	s_or_b32 exec_lo, exec_lo, s15
	s_waitcnt vmcnt(0) lgkmcnt(0)
	s_barrier
	buffer_gl0_inv
.LBB902_219:
	v_add_co_u32 v1, vcc_lo, v79, v15
	s_cmpk_lg_i32 s33, 0xf00
	v_add_co_ci_u32_e32 v2, vcc_lo, v80, v16, vcc_lo
	s_cselect_b32 s0, -1, 0
	v_cmp_eq_u32_e32 vcc_lo, 0, v0
	s_and_b32 s0, s23, s0
	v_cndmask_b32_e64 v8, 0, 1, s34
	v_mad_i32_i24 v5, v0, -15, s33
	v_cndmask_b32_e64 v4, 0, 1, s0
	s_mul_hi_u32 s0, s33, 0x88888889
	s_and_b32 s1, vcc_lo, s34
	s_lshr_b32 s0, s0, 3
	v_sub_nc_u32_e32 v3, v45, v8
	v_cndmask_b32_e64 v6, v96, 0, s1
	v_cmp_eq_u32_e32 vcc_lo, s0, v0
	v_cmp_ne_u32_e64 s0, 0, v5
	s_delay_alu instid0(VALU_DEP_4) | instskip(SKIP_2) | instid1(VALU_DEP_2)
	v_dual_mov_b32 v50, 0 :: v_dual_add_nc_u32 v3, v3, v4
	s_mov_b32 s16, -1
	s_and_b32 vcc_lo, s23, vcc_lo
	v_cndmask_b32_e64 v4, 1, v6, s0
	v_cmp_ne_u32_e64 s0, 1, v5
	s_waitcnt vmcnt(0)
	s_barrier
	buffer_gl0_inv
	v_cndmask_b32_e32 v13, v6, v4, vcc_lo
	v_cndmask_b32_e64 v7, 1, v95, s0
	v_cmp_ne_u32_e64 s0, 2, v5
	s_delay_alu instid0(VALU_DEP_3) | instskip(NEXT) | instid1(VALU_DEP_2)
	v_cmp_ne_u32_e64 s14, 0, v13
	v_cndmask_b32_e64 v9, 1, v94, s0
	v_cmp_ne_u32_e64 s0, 14, v5
	s_delay_alu instid0(VALU_DEP_2) | instskip(NEXT) | instid1(VALU_DEP_2)
	v_dual_cndmask_b32 v14, v95, v7 :: v_dual_cndmask_b32 v9, v94, v9
	v_cndmask_b32_e64 v10, 1, v89, s0
	v_cmp_ne_u32_e64 s0, 3, v5
	s_delay_alu instid0(VALU_DEP_3) | instskip(NEXT) | instid1(VALU_DEP_4)
	v_cmp_ne_u32_e64 s13, 0, v14
	v_cmp_ne_u32_e64 s12, 0, v9
	s_delay_alu instid0(VALU_DEP_4) | instskip(NEXT) | instid1(VALU_DEP_4)
	v_cndmask_b32_e32 v10, v89, v10, vcc_lo
	v_cndmask_b32_e64 v11, 1, v93, s0
	v_cmp_ne_u32_e64 s0, 4, v5
	s_delay_alu instid0(VALU_DEP_1) | instskip(SKIP_1) | instid1(VALU_DEP_2)
	v_cndmask_b32_e64 v12, 1, v92, s0
	v_cmp_ne_u32_e64 s0, 5, v5
	v_dual_cndmask_b32 v11, v93, v11 :: v_dual_cndmask_b32 v12, v92, v12
	s_delay_alu instid0(VALU_DEP_2) | instskip(SKIP_1) | instid1(VALU_DEP_3)
	v_cndmask_b32_e64 v4, 1, v91, s0
	v_cmp_ne_u32_e64 s0, 6, v5
	v_cmp_ne_u32_e64 s11, 0, v11
	s_delay_alu instid0(VALU_DEP_4) | instskip(NEXT) | instid1(VALU_DEP_4)
	v_cmp_ne_u32_e64 s10, 0, v12
	v_cndmask_b32_e32 v36, v91, v4, vcc_lo
	s_delay_alu instid0(VALU_DEP_4) | instskip(SKIP_1) | instid1(VALU_DEP_2)
	v_cndmask_b32_e64 v6, 1, v90, s0
	v_cmp_eq_u32_e64 s0, 0, v13
	v_cndmask_b32_e32 v38, v90, v6, vcc_lo
	s_delay_alu instid0(VALU_DEP_2) | instskip(SKIP_1) | instid1(VALU_DEP_3)
	v_cndmask_b32_e64 v7, 1, 2, s0
	v_cmp_eq_u32_e64 s0, 0, v14
	v_cmp_ne_u32_e64 s8, 0, v38
	s_delay_alu instid0(VALU_DEP_2) | instskip(SKIP_1) | instid1(VALU_DEP_2)
	v_cndmask_b32_e64 v15, 1, 2, s0
	v_cmp_ne_u32_e64 s0, 7, v5
	v_and_b32_e32 v7, v15, v7
	s_delay_alu instid0(VALU_DEP_2) | instskip(SKIP_1) | instid1(VALU_DEP_2)
	v_cndmask_b32_e64 v16, 1, v88, s0
	v_cmp_eq_u32_e64 s0, 0, v9
	v_cndmask_b32_e32 v16, v88, v16, vcc_lo
	s_delay_alu instid0(VALU_DEP_2) | instskip(SKIP_1) | instid1(VALU_DEP_3)
	v_cndmask_b32_e64 v15, 1, 2, s0
	v_cmp_ne_u32_e64 s0, 8, v5
	v_cmp_ne_u32_e64 s7, 0, v16
	s_delay_alu instid0(VALU_DEP_3) | instskip(NEXT) | instid1(VALU_DEP_3)
	v_and_b32_e32 v7, v7, v15
	v_cndmask_b32_e64 v33, 1, v87, s0
	v_cmp_ne_u32_e64 s0, 9, v5
	s_delay_alu instid0(VALU_DEP_2) | instskip(NEXT) | instid1(VALU_DEP_2)
	v_cndmask_b32_e32 v33, v87, v33, vcc_lo
	v_cndmask_b32_e64 v34, 1, v86, s0
	v_cmp_eq_u32_e64 s0, 0, v11
	s_delay_alu instid0(VALU_DEP_3) | instskip(NEXT) | instid1(VALU_DEP_3)
	v_cmp_ne_u32_e64 s6, 0, v33
	v_cndmask_b32_e32 v34, v86, v34, vcc_lo
	s_delay_alu instid0(VALU_DEP_3) | instskip(SKIP_1) | instid1(VALU_DEP_3)
	v_cndmask_b32_e64 v15, 1, 2, s0
	v_cmp_ne_u32_e64 s0, 10, v5
	v_cmp_ne_u32_e64 s5, 0, v34
	s_delay_alu instid0(VALU_DEP_3) | instskip(NEXT) | instid1(VALU_DEP_3)
	v_and_b32_e32 v4, v7, v15
	v_cndmask_b32_e64 v35, 1, v85, s0
	v_cmp_eq_u32_e64 s0, 0, v12
	s_delay_alu instid0(VALU_DEP_1) | instskip(SKIP_1) | instid1(VALU_DEP_2)
	v_cndmask_b32_e64 v7, 1, 2, s0
	v_cmp_ne_u32_e64 s0, 11, v5
	v_and_b32_e32 v4, v4, v7
	s_delay_alu instid0(VALU_DEP_2) | instskip(SKIP_1) | instid1(VALU_DEP_2)
	v_cndmask_b32_e64 v15, 1, v84, s0
	v_cmp_ne_u32_e64 s0, 13, v5
	v_cndmask_b32_e32 v15, v84, v15, vcc_lo
	s_delay_alu instid0(VALU_DEP_2) | instskip(NEXT) | instid1(VALU_DEP_2)
	v_cndmask_b32_e64 v37, 1, v82, s0
	v_cmp_ne_u32_e64 s3, 0, v15
	s_delay_alu instid0(VALU_DEP_2) | instskip(SKIP_2) | instid1(VALU_DEP_3)
	v_cndmask_b32_e32 v37, v82, v37, vcc_lo
	v_cmp_eq_u32_e64 s0, 0, v36
	v_cmp_ne_u32_e64 s9, 0, v36
	v_cmp_ne_u32_e64 s1, 0, v37
	s_delay_alu instid0(VALU_DEP_3) | instskip(SKIP_1) | instid1(VALU_DEP_1)
	v_cndmask_b32_e64 v7, 1, 2, s0
	v_cmp_ne_u32_e64 s0, 12, v5
	v_cndmask_b32_e64 v5, 1, v83, s0
	v_cmp_eq_u32_e64 s0, 0, v38
	s_delay_alu instid0(VALU_DEP_2) | instskip(NEXT) | instid1(VALU_DEP_2)
	v_dual_cndmask_b32 v39, v83, v5 :: v_dual_and_b32 v4, v4, v7
	v_cndmask_b32_e64 v6, 1, 2, s0
	v_cmp_eq_u32_e64 s0, 0, v16
	v_cndmask_b32_e32 v35, v85, v35, vcc_lo
	v_cmp_eq_u32_e32 vcc_lo, 0, v33
	v_cmp_ne_u32_e64 s2, 0, v39
	v_and_b32_e32 v40, v4, v6
	v_lshlrev_b64 v[4:5], 3, v[17:18]
	v_cndmask_b32_e64 v41, 1, 2, s0
	v_lshlrev_b64 v[6:7], 3, v[49:50]
	v_cmp_ne_u32_e64 s4, 0, v35
	v_cmp_ne_u32_e64 s0, 0, v10
	s_delay_alu instid0(VALU_DEP_4) | instskip(SKIP_4) | instid1(VALU_DEP_4)
	v_and_b32_e32 v40, v40, v41
	v_cndmask_b32_e64 v41, 1, 2, vcc_lo
	v_add_co_u32 v4, vcc_lo, s24, v4
	v_add_co_ci_u32_e32 v5, vcc_lo, s25, v5, vcc_lo
	v_cmp_eq_u32_e32 vcc_lo, 0, v34
	v_and_b32_e32 v40, v40, v41
	v_cndmask_b32_e64 v41, 1, 2, vcc_lo
	v_add_co_u32 v4, vcc_lo, v4, v6
	v_add_co_ci_u32_e32 v5, vcc_lo, v5, v7, vcc_lo
	v_lshlrev_b32_e32 v6, 3, v8
	v_cmp_eq_u32_e32 vcc_lo, 0, v35
	v_and_b32_e32 v7, v40, v41
	v_add_nc_u32_e32 v8, v49, v8
	v_cndmask_b32_e64 v40, 1, 2, vcc_lo
	v_add_co_u32 v6, vcc_lo, v6, v4
	v_add_co_ci_u32_e32 v41, vcc_lo, 0, v5, vcc_lo
	v_cmp_eq_u32_e32 vcc_lo, 0, v15
	s_delay_alu instid0(VALU_DEP_4) | instskip(SKIP_4) | instid1(VALU_DEP_4)
	v_and_b32_e32 v40, v7, v40
	v_cndmask_b32_e64 v42, 1, 2, vcc_lo
	v_add_co_u32 v6, vcc_lo, v6, -8
	v_add_co_ci_u32_e32 v7, vcc_lo, -1, v41, vcc_lo
	v_cmp_eq_u32_e32 vcc_lo, 0, v39
	v_and_b32_e32 v40, v40, v42
	v_cndmask_b32_e64 v41, 1, 2, vcc_lo
	v_cmp_eq_u32_e32 vcc_lo, 0, v37
	s_delay_alu instid0(VALU_DEP_2) | instskip(SKIP_2) | instid1(VALU_DEP_2)
	v_and_b32_e32 v9, v40, v41
	v_cndmask_b32_e64 v11, 1, 2, vcc_lo
	v_cmp_eq_u32_e32 vcc_lo, 0, v10
	v_and_b32_e32 v9, v9, v11
	v_cndmask_b32_e64 v11, 1, 2, vcc_lo
	v_cmp_gt_u32_e32 vcc_lo, 0x100, v3
	s_delay_alu instid0(VALU_DEP_2) | instskip(NEXT) | instid1(VALU_DEP_1)
	v_and_b32_e32 v9, v9, v11
	v_cmp_gt_i16_e64 s15, 2, v9
	s_cbranch_vccz .LBB902_236
; %bb.220:
	s_delay_alu instid0(VALU_DEP_1)
	s_and_saveexec_b32 s16, s15
	s_cbranch_execz .LBB902_275
; %bb.221:
	s_mov_b32 s17, 0
	s_mov_b32 s15, exec_lo
	v_cmpx_ne_u16_e32 1, v9
	s_xor_b32 s15, exec_lo, s15
	s_cbranch_execz .LBB902_253
; %bb.222:
	s_and_saveexec_b32 s17, s14
	s_cbranch_execz .LBB902_258
; %bb.223:
	v_sub_nc_u32_e32 v10, v98, v8
	v_mov_b32_e32 v11, 0
	s_delay_alu instid0(VALU_DEP_1) | instskip(NEXT) | instid1(VALU_DEP_1)
	v_lshlrev_b64 v[10:11], 3, v[10:11]
	v_add_co_u32 v10, vcc_lo, v6, v10
	s_delay_alu instid0(VALU_DEP_2)
	v_add_co_ci_u32_e32 v11, vcc_lo, v7, v11, vcc_lo
	global_store_b64 v[10:11], v[61:62], off
	s_or_b32 exec_lo, exec_lo, s17
	s_and_saveexec_b32 s17, s13
	s_cbranch_execnz .LBB902_259
.LBB902_224:
	s_or_b32 exec_lo, exec_lo, s17
	s_and_saveexec_b32 s17, s12
	s_cbranch_execz .LBB902_260
.LBB902_225:
	v_sub_nc_u32_e32 v10, v31, v8
	v_mov_b32_e32 v11, 0
	s_delay_alu instid0(VALU_DEP_1) | instskip(NEXT) | instid1(VALU_DEP_1)
	v_lshlrev_b64 v[10:11], 3, v[10:11]
	v_add_co_u32 v10, vcc_lo, v6, v10
	s_delay_alu instid0(VALU_DEP_2)
	v_add_co_ci_u32_e32 v11, vcc_lo, v7, v11, vcc_lo
	global_store_b64 v[10:11], v[65:66], off
	s_or_b32 exec_lo, exec_lo, s17
	s_and_saveexec_b32 s17, s11
	s_cbranch_execnz .LBB902_261
.LBB902_226:
	s_or_b32 exec_lo, exec_lo, s17
	s_and_saveexec_b32 s17, s10
	s_cbranch_execz .LBB902_262
.LBB902_227:
	v_sub_nc_u32_e32 v10, v29, v8
	v_mov_b32_e32 v11, 0
	s_delay_alu instid0(VALU_DEP_1) | instskip(NEXT) | instid1(VALU_DEP_1)
	v_lshlrev_b64 v[10:11], 3, v[10:11]
	v_add_co_u32 v10, vcc_lo, v6, v10
	s_delay_alu instid0(VALU_DEP_2)
	v_add_co_ci_u32_e32 v11, vcc_lo, v7, v11, vcc_lo
	global_store_b64 v[10:11], v[51:52], off
	s_or_b32 exec_lo, exec_lo, s17
	s_and_saveexec_b32 s17, s9
	s_cbranch_execnz .LBB902_263
.LBB902_228:
	s_or_b32 exec_lo, exec_lo, s17
	s_and_saveexec_b32 s17, s8
	s_cbranch_execz .LBB902_264
.LBB902_229:
	v_sub_nc_u32_e32 v10, v27, v8
	v_mov_b32_e32 v11, 0
	s_delay_alu instid0(VALU_DEP_1) | instskip(NEXT) | instid1(VALU_DEP_1)
	v_lshlrev_b64 v[10:11], 3, v[10:11]
	v_add_co_u32 v10, vcc_lo, v6, v10
	s_delay_alu instid0(VALU_DEP_2)
	v_add_co_ci_u32_e32 v11, vcc_lo, v7, v11, vcc_lo
	global_store_b64 v[10:11], v[63:64], off
	s_or_b32 exec_lo, exec_lo, s17
	s_and_saveexec_b32 s17, s7
	s_cbranch_execnz .LBB902_265
.LBB902_230:
	s_or_b32 exec_lo, exec_lo, s17
	s_and_saveexec_b32 s17, s6
	s_cbranch_execz .LBB902_266
.LBB902_231:
	v_sub_nc_u32_e32 v10, v25, v8
	v_mov_b32_e32 v11, 0
	s_delay_alu instid0(VALU_DEP_1) | instskip(NEXT) | instid1(VALU_DEP_1)
	v_lshlrev_b64 v[10:11], 3, v[10:11]
	v_add_co_u32 v10, vcc_lo, v6, v10
	s_delay_alu instid0(VALU_DEP_2)
	v_add_co_ci_u32_e32 v11, vcc_lo, v7, v11, vcc_lo
	global_store_b64 v[10:11], v[71:72], off
	s_or_b32 exec_lo, exec_lo, s17
	s_and_saveexec_b32 s17, s5
	s_cbranch_execnz .LBB902_267
.LBB902_232:
	s_or_b32 exec_lo, exec_lo, s17
	s_and_saveexec_b32 s17, s4
	s_cbranch_execz .LBB902_268
.LBB902_233:
	v_sub_nc_u32_e32 v10, v23, v8
	v_mov_b32_e32 v11, 0
	s_delay_alu instid0(VALU_DEP_1) | instskip(NEXT) | instid1(VALU_DEP_1)
	v_lshlrev_b64 v[10:11], 3, v[10:11]
	v_add_co_u32 v10, vcc_lo, v6, v10
	s_delay_alu instid0(VALU_DEP_2)
	v_add_co_ci_u32_e32 v11, vcc_lo, v7, v11, vcc_lo
	global_store_b64 v[10:11], v[57:58], off
	s_or_b32 exec_lo, exec_lo, s17
	s_and_saveexec_b32 s17, s3
	s_cbranch_execnz .LBB902_269
.LBB902_234:
	s_or_b32 exec_lo, exec_lo, s17
	s_and_saveexec_b32 s17, s2
	s_cbranch_execz .LBB902_270
.LBB902_235:
	v_sub_nc_u32_e32 v10, v21, v8
	v_mov_b32_e32 v11, 0
	s_delay_alu instid0(VALU_DEP_1) | instskip(NEXT) | instid1(VALU_DEP_1)
	v_lshlrev_b64 v[10:11], 3, v[10:11]
	v_add_co_u32 v10, vcc_lo, v6, v10
	s_delay_alu instid0(VALU_DEP_2)
	v_add_co_ci_u32_e32 v11, vcc_lo, v7, v11, vcc_lo
	global_store_b64 v[10:11], v[77:78], off
	s_or_b32 exec_lo, exec_lo, s17
	s_and_saveexec_b32 s17, s1
	s_cbranch_execnz .LBB902_271
	s_branch .LBB902_272
.LBB902_236:
	s_and_b32 vcc_lo, exec_lo, s16
	s_cbranch_vccz .LBB902_276
; %bb.237:
	s_mov_b32 s15, exec_lo
	v_cmpx_gt_i16_e32 2, v9
	s_cbranch_execz .LBB902_294
; %bb.238:
	s_mov_b32 s17, 0
	s_mov_b32 s16, exec_lo
	v_cmpx_ne_u16_e32 1, v9
	s_xor_b32 s16, exec_lo, s16
	s_cbranch_execz .LBB902_255
; %bb.239:
	s_and_saveexec_b32 s17, s14
	s_cbranch_execz .LBB902_277
; %bb.240:
	v_sub_nc_u32_e32 v9, v98, v8
	s_delay_alu instid0(VALU_DEP_1)
	v_lshlrev_b32_e32 v9, 3, v9
	ds_store_b64 v9, v[61:62]
	s_or_b32 exec_lo, exec_lo, s17
	s_and_saveexec_b32 s14, s13
	s_cbranch_execnz .LBB902_278
.LBB902_241:
	s_or_b32 exec_lo, exec_lo, s14
	s_and_saveexec_b32 s13, s12
	s_cbranch_execz .LBB902_279
.LBB902_242:
	v_sub_nc_u32_e32 v9, v31, v8
	s_delay_alu instid0(VALU_DEP_1)
	v_lshlrev_b32_e32 v9, 3, v9
	ds_store_b64 v9, v[65:66]
	s_or_b32 exec_lo, exec_lo, s13
	s_and_saveexec_b32 s12, s11
	s_cbranch_execnz .LBB902_280
.LBB902_243:
	s_or_b32 exec_lo, exec_lo, s12
	s_and_saveexec_b32 s11, s10
	s_cbranch_execz .LBB902_281
.LBB902_244:
	v_sub_nc_u32_e32 v9, v29, v8
	s_delay_alu instid0(VALU_DEP_1)
	v_lshlrev_b32_e32 v9, 3, v9
	ds_store_b64 v9, v[51:52]
	s_or_b32 exec_lo, exec_lo, s11
	s_and_saveexec_b32 s10, s9
	s_cbranch_execnz .LBB902_282
.LBB902_245:
	s_or_b32 exec_lo, exec_lo, s10
	s_and_saveexec_b32 s9, s8
	s_cbranch_execz .LBB902_283
.LBB902_246:
	v_sub_nc_u32_e32 v9, v27, v8
	s_delay_alu instid0(VALU_DEP_1)
	v_lshlrev_b32_e32 v9, 3, v9
	ds_store_b64 v9, v[63:64]
	s_or_b32 exec_lo, exec_lo, s9
	s_and_saveexec_b32 s8, s7
	s_cbranch_execnz .LBB902_284
.LBB902_247:
	s_or_b32 exec_lo, exec_lo, s8
	s_and_saveexec_b32 s7, s6
	s_cbranch_execz .LBB902_285
.LBB902_248:
	v_sub_nc_u32_e32 v9, v25, v8
	s_delay_alu instid0(VALU_DEP_1)
	v_lshlrev_b32_e32 v9, 3, v9
	ds_store_b64 v9, v[71:72]
	s_or_b32 exec_lo, exec_lo, s7
	s_and_saveexec_b32 s6, s5
	s_cbranch_execnz .LBB902_286
.LBB902_249:
	s_or_b32 exec_lo, exec_lo, s6
	s_and_saveexec_b32 s5, s4
	s_cbranch_execz .LBB902_287
.LBB902_250:
	v_sub_nc_u32_e32 v9, v23, v8
	s_delay_alu instid0(VALU_DEP_1)
	v_lshlrev_b32_e32 v9, 3, v9
	ds_store_b64 v9, v[57:58]
	s_or_b32 exec_lo, exec_lo, s5
	s_and_saveexec_b32 s4, s3
	s_cbranch_execnz .LBB902_288
.LBB902_251:
	s_or_b32 exec_lo, exec_lo, s4
	s_and_saveexec_b32 s3, s2
	s_cbranch_execz .LBB902_289
.LBB902_252:
	v_sub_nc_u32_e32 v9, v21, v8
	s_delay_alu instid0(VALU_DEP_1)
	v_lshlrev_b32_e32 v9, 3, v9
	ds_store_b64 v9, v[77:78]
	s_or_b32 exec_lo, exec_lo, s3
	s_and_saveexec_b32 s2, s1
	s_cbranch_execnz .LBB902_290
	s_branch .LBB902_291
.LBB902_253:
	s_and_not1_saveexec_b32 s15, s15
	s_cbranch_execz .LBB902_273
.LBB902_254:
	v_sub_nc_u32_e32 v10, v98, v8
	v_mov_b32_e32 v11, 0
	s_or_b32 s17, s17, exec_lo
	s_delay_alu instid0(VALU_DEP_1) | instskip(SKIP_1) | instid1(VALU_DEP_1)
	v_lshlrev_b64 v[12:13], 3, v[10:11]
	v_sub_nc_u32_e32 v10, v32, v8
	v_lshlrev_b64 v[14:15], 3, v[10:11]
	v_sub_nc_u32_e32 v10, v31, v8
	s_delay_alu instid0(VALU_DEP_4) | instskip(SKIP_1) | instid1(VALU_DEP_3)
	v_add_co_u32 v12, vcc_lo, v6, v12
	v_add_co_ci_u32_e32 v13, vcc_lo, v7, v13, vcc_lo
	v_lshlrev_b64 v[33:34], 3, v[10:11]
	v_sub_nc_u32_e32 v10, v30, v8
	v_add_co_u32 v14, vcc_lo, v6, v14
	v_add_co_ci_u32_e32 v15, vcc_lo, v7, v15, vcc_lo
	global_store_b64 v[12:13], v[61:62], off
	v_lshlrev_b64 v[12:13], 3, v[10:11]
	v_sub_nc_u32_e32 v10, v29, v8
	global_store_b64 v[14:15], v[59:60], off
	v_add_co_u32 v14, vcc_lo, v6, v33
	v_add_co_ci_u32_e32 v15, vcc_lo, v7, v34, vcc_lo
	v_lshlrev_b64 v[33:34], 3, v[10:11]
	v_sub_nc_u32_e32 v10, v28, v8
	v_add_co_u32 v12, vcc_lo, v6, v12
	v_add_co_ci_u32_e32 v13, vcc_lo, v7, v13, vcc_lo
	s_delay_alu instid0(VALU_DEP_3) | instskip(SKIP_3) | instid1(VALU_DEP_3)
	v_lshlrev_b64 v[35:36], 3, v[10:11]
	v_sub_nc_u32_e32 v10, v27, v8
	v_add_co_u32 v33, vcc_lo, v6, v33
	v_add_co_ci_u32_e32 v34, vcc_lo, v7, v34, vcc_lo
	v_lshlrev_b64 v[37:38], 3, v[10:11]
	v_sub_nc_u32_e32 v10, v26, v8
	v_add_co_u32 v35, vcc_lo, v6, v35
	v_add_co_ci_u32_e32 v36, vcc_lo, v7, v36, vcc_lo
	s_clause 0x3
	global_store_b64 v[14:15], v[65:66], off
	global_store_b64 v[12:13], v[69:70], off
	global_store_b64 v[33:34], v[51:52], off
	global_store_b64 v[35:36], v[55:56], off
	v_lshlrev_b64 v[12:13], 3, v[10:11]
	v_sub_nc_u32_e32 v10, v25, v8
	v_add_co_u32 v14, vcc_lo, v6, v37
	v_add_co_ci_u32_e32 v15, vcc_lo, v7, v38, vcc_lo
	s_delay_alu instid0(VALU_DEP_3) | instskip(SKIP_3) | instid1(VALU_DEP_3)
	v_lshlrev_b64 v[33:34], 3, v[10:11]
	v_sub_nc_u32_e32 v10, v24, v8
	v_add_co_u32 v12, vcc_lo, v6, v12
	v_add_co_ci_u32_e32 v13, vcc_lo, v7, v13, vcc_lo
	v_lshlrev_b64 v[35:36], 3, v[10:11]
	v_sub_nc_u32_e32 v10, v23, v8
	v_add_co_u32 v33, vcc_lo, v6, v33
	v_add_co_ci_u32_e32 v34, vcc_lo, v7, v34, vcc_lo
	s_delay_alu instid0(VALU_DEP_3)
	v_lshlrev_b64 v[37:38], 3, v[10:11]
	v_sub_nc_u32_e32 v10, v22, v8
	v_add_co_u32 v35, vcc_lo, v6, v35
	v_add_co_ci_u32_e32 v36, vcc_lo, v7, v36, vcc_lo
	s_clause 0x3
	global_store_b64 v[14:15], v[63:64], off
	global_store_b64 v[12:13], v[67:68], off
	global_store_b64 v[33:34], v[71:72], off
	global_store_b64 v[35:36], v[53:54], off
	v_lshlrev_b64 v[12:13], 3, v[10:11]
	v_sub_nc_u32_e32 v10, v21, v8
	v_add_co_u32 v14, vcc_lo, v6, v37
	v_add_co_ci_u32_e32 v15, vcc_lo, v7, v38, vcc_lo
	s_delay_alu instid0(VALU_DEP_3) | instskip(SKIP_3) | instid1(VALU_DEP_3)
	v_lshlrev_b64 v[33:34], 3, v[10:11]
	v_sub_nc_u32_e32 v10, v20, v8
	v_add_co_u32 v12, vcc_lo, v6, v12
	v_add_co_ci_u32_e32 v13, vcc_lo, v7, v13, vcc_lo
	v_lshlrev_b64 v[10:11], 3, v[10:11]
	v_add_co_u32 v33, vcc_lo, v6, v33
	v_add_co_ci_u32_e32 v34, vcc_lo, v7, v34, vcc_lo
	s_clause 0x2
	global_store_b64 v[14:15], v[57:58], off
	global_store_b64 v[12:13], v[73:74], off
	global_store_b64 v[33:34], v[77:78], off
	v_add_co_u32 v10, vcc_lo, v6, v10
	v_add_co_ci_u32_e32 v11, vcc_lo, v7, v11, vcc_lo
	global_store_b64 v[10:11], v[75:76], off
	s_or_b32 exec_lo, exec_lo, s15
	s_delay_alu instid0(SALU_CYCLE_1)
	s_and_b32 exec_lo, exec_lo, s17
	s_cbranch_execnz .LBB902_274
	s_branch .LBB902_275
.LBB902_255:
	s_and_not1_saveexec_b32 s0, s16
	s_cbranch_execz .LBB902_292
.LBB902_256:
	v_sub_nc_u32_e32 v9, v98, v8
	v_sub_nc_u32_e32 v10, v32, v8
	;; [unrolled: 1-line block ×5, first 2 shown]
	v_lshlrev_b32_e32 v9, 3, v9
	v_lshlrev_b32_e32 v10, 3, v10
	;; [unrolled: 1-line block ×4, first 2 shown]
	s_or_b32 s17, s17, exec_lo
	ds_store_b64 v9, v[61:62]
	ds_store_b64 v10, v[59:60]
	;; [unrolled: 1-line block ×3, first 2 shown]
	v_sub_nc_u32_e32 v9, v29, v8
	v_sub_nc_u32_e32 v10, v28, v8
	;; [unrolled: 1-line block ×3, first 2 shown]
	ds_store_b64 v12, v[69:70]
	v_sub_nc_u32_e32 v12, v26, v8
	v_lshlrev_b32_e32 v9, 3, v9
	v_lshlrev_b32_e32 v10, 3, v10
	;; [unrolled: 1-line block ×3, first 2 shown]
	s_delay_alu instid0(VALU_DEP_4)
	v_lshlrev_b32_e32 v12, 3, v12
	ds_store_b64 v9, v[51:52]
	v_lshlrev_b32_e32 v9, 3, v13
	ds_store_b64 v10, v[55:56]
	ds_store_b64 v11, v[63:64]
	ds_store_b64 v12, v[67:68]
	v_sub_nc_u32_e32 v10, v24, v8
	v_sub_nc_u32_e32 v13, v20, v8
	;; [unrolled: 1-line block ×3, first 2 shown]
	ds_store_b64 v9, v[71:72]
	v_sub_nc_u32_e32 v9, v23, v8
	v_lshlrev_b32_e32 v10, 3, v10
	v_sub_nc_u32_e32 v12, v21, v8
	v_lshlrev_b32_e32 v11, 3, v11
	s_delay_alu instid0(VALU_DEP_4)
	v_lshlrev_b32_e32 v9, 3, v9
	ds_store_b64 v10, v[53:54]
	v_lshlrev_b32_e32 v10, 3, v13
	v_lshlrev_b32_e32 v12, 3, v12
	ds_store_b64 v9, v[57:58]
	ds_store_b64 v11, v[73:74]
	;; [unrolled: 1-line block ×4, first 2 shown]
	s_or_b32 exec_lo, exec_lo, s0
	s_delay_alu instid0(SALU_CYCLE_1)
	s_and_b32 exec_lo, exec_lo, s17
	s_cbranch_execnz .LBB902_293
	s_branch .LBB902_294
.LBB902_257:
	s_or_b32 exec_lo, exec_lo, s2
	v_mov_b32_e32 v96, s1
	s_and_saveexec_b32 s1, s35
	s_cbranch_execnz .LBB902_72
	s_branch .LBB902_73
.LBB902_258:
	s_or_b32 exec_lo, exec_lo, s17
	s_and_saveexec_b32 s17, s13
	s_cbranch_execz .LBB902_224
.LBB902_259:
	v_sub_nc_u32_e32 v10, v32, v8
	v_mov_b32_e32 v11, 0
	s_delay_alu instid0(VALU_DEP_1) | instskip(NEXT) | instid1(VALU_DEP_1)
	v_lshlrev_b64 v[10:11], 3, v[10:11]
	v_add_co_u32 v10, vcc_lo, v6, v10
	s_delay_alu instid0(VALU_DEP_2)
	v_add_co_ci_u32_e32 v11, vcc_lo, v7, v11, vcc_lo
	global_store_b64 v[10:11], v[59:60], off
	s_or_b32 exec_lo, exec_lo, s17
	s_and_saveexec_b32 s17, s12
	s_cbranch_execnz .LBB902_225
.LBB902_260:
	s_or_b32 exec_lo, exec_lo, s17
	s_and_saveexec_b32 s17, s11
	s_cbranch_execz .LBB902_226
.LBB902_261:
	v_sub_nc_u32_e32 v10, v30, v8
	v_mov_b32_e32 v11, 0
	s_delay_alu instid0(VALU_DEP_1) | instskip(NEXT) | instid1(VALU_DEP_1)
	v_lshlrev_b64 v[10:11], 3, v[10:11]
	v_add_co_u32 v10, vcc_lo, v6, v10
	s_delay_alu instid0(VALU_DEP_2)
	v_add_co_ci_u32_e32 v11, vcc_lo, v7, v11, vcc_lo
	global_store_b64 v[10:11], v[69:70], off
	s_or_b32 exec_lo, exec_lo, s17
	s_and_saveexec_b32 s17, s10
	s_cbranch_execnz .LBB902_227
.LBB902_262:
	s_or_b32 exec_lo, exec_lo, s17
	s_and_saveexec_b32 s17, s9
	s_cbranch_execz .LBB902_228
.LBB902_263:
	v_sub_nc_u32_e32 v10, v28, v8
	v_mov_b32_e32 v11, 0
	s_delay_alu instid0(VALU_DEP_1) | instskip(NEXT) | instid1(VALU_DEP_1)
	v_lshlrev_b64 v[10:11], 3, v[10:11]
	v_add_co_u32 v10, vcc_lo, v6, v10
	s_delay_alu instid0(VALU_DEP_2)
	v_add_co_ci_u32_e32 v11, vcc_lo, v7, v11, vcc_lo
	global_store_b64 v[10:11], v[55:56], off
	s_or_b32 exec_lo, exec_lo, s17
	s_and_saveexec_b32 s17, s8
	s_cbranch_execnz .LBB902_229
.LBB902_264:
	s_or_b32 exec_lo, exec_lo, s17
	s_and_saveexec_b32 s17, s7
	s_cbranch_execz .LBB902_230
.LBB902_265:
	v_sub_nc_u32_e32 v10, v26, v8
	v_mov_b32_e32 v11, 0
	s_delay_alu instid0(VALU_DEP_1) | instskip(NEXT) | instid1(VALU_DEP_1)
	v_lshlrev_b64 v[10:11], 3, v[10:11]
	v_add_co_u32 v10, vcc_lo, v6, v10
	s_delay_alu instid0(VALU_DEP_2)
	v_add_co_ci_u32_e32 v11, vcc_lo, v7, v11, vcc_lo
	global_store_b64 v[10:11], v[67:68], off
	s_or_b32 exec_lo, exec_lo, s17
	s_and_saveexec_b32 s17, s6
	s_cbranch_execnz .LBB902_231
.LBB902_266:
	s_or_b32 exec_lo, exec_lo, s17
	s_and_saveexec_b32 s17, s5
	s_cbranch_execz .LBB902_232
.LBB902_267:
	v_sub_nc_u32_e32 v10, v24, v8
	v_mov_b32_e32 v11, 0
	s_delay_alu instid0(VALU_DEP_1) | instskip(NEXT) | instid1(VALU_DEP_1)
	v_lshlrev_b64 v[10:11], 3, v[10:11]
	v_add_co_u32 v10, vcc_lo, v6, v10
	s_delay_alu instid0(VALU_DEP_2)
	v_add_co_ci_u32_e32 v11, vcc_lo, v7, v11, vcc_lo
	global_store_b64 v[10:11], v[53:54], off
	s_or_b32 exec_lo, exec_lo, s17
	s_and_saveexec_b32 s17, s4
	s_cbranch_execnz .LBB902_233
.LBB902_268:
	s_or_b32 exec_lo, exec_lo, s17
	s_and_saveexec_b32 s17, s3
	s_cbranch_execz .LBB902_234
.LBB902_269:
	v_sub_nc_u32_e32 v10, v22, v8
	v_mov_b32_e32 v11, 0
	s_delay_alu instid0(VALU_DEP_1) | instskip(NEXT) | instid1(VALU_DEP_1)
	v_lshlrev_b64 v[10:11], 3, v[10:11]
	v_add_co_u32 v10, vcc_lo, v6, v10
	s_delay_alu instid0(VALU_DEP_2)
	v_add_co_ci_u32_e32 v11, vcc_lo, v7, v11, vcc_lo
	global_store_b64 v[10:11], v[73:74], off
	s_or_b32 exec_lo, exec_lo, s17
	s_and_saveexec_b32 s17, s2
	s_cbranch_execnz .LBB902_235
.LBB902_270:
	s_or_b32 exec_lo, exec_lo, s17
	s_and_saveexec_b32 s17, s1
	s_cbranch_execz .LBB902_272
.LBB902_271:
	v_sub_nc_u32_e32 v10, v20, v8
	v_mov_b32_e32 v11, 0
	s_delay_alu instid0(VALU_DEP_1) | instskip(NEXT) | instid1(VALU_DEP_1)
	v_lshlrev_b64 v[10:11], 3, v[10:11]
	v_add_co_u32 v10, vcc_lo, v6, v10
	s_delay_alu instid0(VALU_DEP_2)
	v_add_co_ci_u32_e32 v11, vcc_lo, v7, v11, vcc_lo
	global_store_b64 v[10:11], v[75:76], off
.LBB902_272:
	s_or_b32 exec_lo, exec_lo, s17
	s_delay_alu instid0(SALU_CYCLE_1)
	s_and_b32 s17, s0, exec_lo
	s_and_not1_saveexec_b32 s15, s15
	s_cbranch_execnz .LBB902_254
.LBB902_273:
	s_or_b32 exec_lo, exec_lo, s15
	s_delay_alu instid0(SALU_CYCLE_1)
	s_and_b32 exec_lo, exec_lo, s17
	s_cbranch_execz .LBB902_275
.LBB902_274:
	v_sub_nc_u32_e32 v10, v19, v8
	v_mov_b32_e32 v11, 0
	s_delay_alu instid0(VALU_DEP_1) | instskip(NEXT) | instid1(VALU_DEP_1)
	v_lshlrev_b64 v[10:11], 3, v[10:11]
	v_add_co_u32 v10, vcc_lo, v6, v10
	s_delay_alu instid0(VALU_DEP_2)
	v_add_co_ci_u32_e32 v11, vcc_lo, v7, v11, vcc_lo
	global_store_b64 v[10:11], v[1:2], off
.LBB902_275:
	s_or_b32 exec_lo, exec_lo, s16
.LBB902_276:
	v_cmp_eq_u32_e32 vcc_lo, 0xff, v0
	s_and_b32 s0, vcc_lo, s23
	s_delay_alu instid0(SALU_CYCLE_1)
	s_and_saveexec_b32 s1, s0
	s_cbranch_execnz .LBB902_298
	s_branch .LBB902_300
.LBB902_277:
	s_or_b32 exec_lo, exec_lo, s17
	s_and_saveexec_b32 s14, s13
	s_cbranch_execz .LBB902_241
.LBB902_278:
	v_sub_nc_u32_e32 v9, v32, v8
	s_delay_alu instid0(VALU_DEP_1)
	v_lshlrev_b32_e32 v9, 3, v9
	ds_store_b64 v9, v[59:60]
	s_or_b32 exec_lo, exec_lo, s14
	s_and_saveexec_b32 s13, s12
	s_cbranch_execnz .LBB902_242
.LBB902_279:
	s_or_b32 exec_lo, exec_lo, s13
	s_and_saveexec_b32 s12, s11
	s_cbranch_execz .LBB902_243
.LBB902_280:
	v_sub_nc_u32_e32 v9, v30, v8
	s_delay_alu instid0(VALU_DEP_1)
	v_lshlrev_b32_e32 v9, 3, v9
	ds_store_b64 v9, v[69:70]
	s_or_b32 exec_lo, exec_lo, s12
	s_and_saveexec_b32 s11, s10
	s_cbranch_execnz .LBB902_244
.LBB902_281:
	s_or_b32 exec_lo, exec_lo, s11
	s_and_saveexec_b32 s10, s9
	s_cbranch_execz .LBB902_245
.LBB902_282:
	v_sub_nc_u32_e32 v9, v28, v8
	s_delay_alu instid0(VALU_DEP_1)
	v_lshlrev_b32_e32 v9, 3, v9
	ds_store_b64 v9, v[55:56]
	s_or_b32 exec_lo, exec_lo, s10
	s_and_saveexec_b32 s9, s8
	s_cbranch_execnz .LBB902_246
.LBB902_283:
	s_or_b32 exec_lo, exec_lo, s9
	s_and_saveexec_b32 s8, s7
	s_cbranch_execz .LBB902_247
.LBB902_284:
	v_sub_nc_u32_e32 v9, v26, v8
	s_delay_alu instid0(VALU_DEP_1)
	v_lshlrev_b32_e32 v9, 3, v9
	ds_store_b64 v9, v[67:68]
	s_or_b32 exec_lo, exec_lo, s8
	s_and_saveexec_b32 s7, s6
	s_cbranch_execnz .LBB902_248
.LBB902_285:
	s_or_b32 exec_lo, exec_lo, s7
	s_and_saveexec_b32 s6, s5
	s_cbranch_execz .LBB902_249
.LBB902_286:
	v_sub_nc_u32_e32 v9, v24, v8
	s_delay_alu instid0(VALU_DEP_1)
	v_lshlrev_b32_e32 v9, 3, v9
	ds_store_b64 v9, v[53:54]
	s_or_b32 exec_lo, exec_lo, s6
	s_and_saveexec_b32 s5, s4
	s_cbranch_execnz .LBB902_250
.LBB902_287:
	s_or_b32 exec_lo, exec_lo, s5
	s_and_saveexec_b32 s4, s3
	s_cbranch_execz .LBB902_251
.LBB902_288:
	v_sub_nc_u32_e32 v9, v22, v8
	s_delay_alu instid0(VALU_DEP_1)
	v_lshlrev_b32_e32 v9, 3, v9
	ds_store_b64 v9, v[73:74]
	s_or_b32 exec_lo, exec_lo, s4
	s_and_saveexec_b32 s3, s2
	s_cbranch_execnz .LBB902_252
.LBB902_289:
	s_or_b32 exec_lo, exec_lo, s3
	s_and_saveexec_b32 s2, s1
	s_cbranch_execz .LBB902_291
.LBB902_290:
	v_sub_nc_u32_e32 v9, v20, v8
	s_delay_alu instid0(VALU_DEP_1)
	v_lshlrev_b32_e32 v9, 3, v9
	ds_store_b64 v9, v[75:76]
.LBB902_291:
	s_or_b32 exec_lo, exec_lo, s2
	s_delay_alu instid0(SALU_CYCLE_1)
	s_and_b32 s17, s0, exec_lo
                                        ; implicit-def: $vgpr61_vgpr62
                                        ; implicit-def: $vgpr59_vgpr60
                                        ; implicit-def: $vgpr65_vgpr66
                                        ; implicit-def: $vgpr69_vgpr70
                                        ; implicit-def: $vgpr51_vgpr52
                                        ; implicit-def: $vgpr55_vgpr56
                                        ; implicit-def: $vgpr63_vgpr64
                                        ; implicit-def: $vgpr67_vgpr68
                                        ; implicit-def: $vgpr71_vgpr72
                                        ; implicit-def: $vgpr53_vgpr54
                                        ; implicit-def: $vgpr57_vgpr58
                                        ; implicit-def: $vgpr73_vgpr74
                                        ; implicit-def: $vgpr77_vgpr78
                                        ; implicit-def: $vgpr75_vgpr76
                                        ; implicit-def: $vgpr98
                                        ; implicit-def: $vgpr32
                                        ; implicit-def: $vgpr31
                                        ; implicit-def: $vgpr30
                                        ; implicit-def: $vgpr29
                                        ; implicit-def: $vgpr28
                                        ; implicit-def: $vgpr27
                                        ; implicit-def: $vgpr26
                                        ; implicit-def: $vgpr25
                                        ; implicit-def: $vgpr24
                                        ; implicit-def: $vgpr23
                                        ; implicit-def: $vgpr22
                                        ; implicit-def: $vgpr21
                                        ; implicit-def: $vgpr20
	s_and_not1_saveexec_b32 s0, s16
	s_cbranch_execnz .LBB902_256
.LBB902_292:
	s_or_b32 exec_lo, exec_lo, s0
	s_delay_alu instid0(SALU_CYCLE_1)
	s_and_b32 exec_lo, exec_lo, s17
	s_cbranch_execz .LBB902_294
.LBB902_293:
	v_sub_nc_u32_e32 v8, v19, v8
	s_delay_alu instid0(VALU_DEP_1)
	v_lshlrev_b32_e32 v8, 3, v8
	ds_store_b64 v8, v[1:2]
.LBB902_294:
	s_or_b32 exec_lo, exec_lo, s15
	s_delay_alu instid0(SALU_CYCLE_1)
	s_mov_b32 s1, exec_lo
	s_waitcnt lgkmcnt(0)
	s_waitcnt_vscnt null, 0x0
	s_barrier
	buffer_gl0_inv
	v_cmpx_lt_u32_e64 v0, v3
	s_cbranch_execz .LBB902_297
; %bb.295:
	v_dual_mov_b32 v1, v0 :: v_dual_lshlrev_b32 v8, 3, v0
	v_mov_b32_e32 v2, 0
	s_mov_b32 s2, 0
	.p2align	6
.LBB902_296:                            ; =>This Inner Loop Header: Depth=1
	ds_load_b64 v[9:10], v8
	v_lshlrev_b64 v[11:12], 3, v[1:2]
	v_add_nc_u32_e32 v1, 0x100, v1
	v_add_nc_u32_e32 v8, 0x800, v8
	s_delay_alu instid0(VALU_DEP_2) | instskip(NEXT) | instid1(VALU_DEP_4)
	v_cmp_ge_u32_e32 vcc_lo, v1, v3
	v_add_co_u32 v11, s0, v6, v11
	s_delay_alu instid0(VALU_DEP_1)
	v_add_co_ci_u32_e64 v12, s0, v7, v12, s0
	s_or_b32 s2, vcc_lo, s2
	s_waitcnt lgkmcnt(0)
	global_store_b64 v[11:12], v[9:10], off
	s_and_not1_b32 exec_lo, exec_lo, s2
	s_cbranch_execnz .LBB902_296
.LBB902_297:
	s_or_b32 exec_lo, exec_lo, s1
	v_cmp_eq_u32_e32 vcc_lo, 0xff, v0
	s_and_b32 s0, vcc_lo, s23
	s_delay_alu instid0(SALU_CYCLE_1)
	s_and_saveexec_b32 s1, s0
	s_cbranch_execz .LBB902_300
.LBB902_298:
	v_add_co_u32 v0, s0, v45, v49
	s_delay_alu instid0(VALU_DEP_1) | instskip(SKIP_1) | instid1(VALU_DEP_3)
	v_add_co_ci_u32_e64 v1, null, 0, 0, s0
	v_mov_b32_e32 v46, 0
	v_add_co_u32 v0, vcc_lo, v0, v17
	s_delay_alu instid0(VALU_DEP_3)
	v_add_co_ci_u32_e32 v1, vcc_lo, v1, v18, vcc_lo
	s_cmpk_lg_i32 s33, 0xf00
	global_store_b64 v46, v[0:1], s[26:27]
	s_cbranch_scc1 .LBB902_300
; %bb.299:
	v_lshlrev_b64 v[0:1], 3, v[45:46]
	s_delay_alu instid0(VALU_DEP_1) | instskip(NEXT) | instid1(VALU_DEP_2)
	v_add_co_u32 v0, vcc_lo, v4, v0
	v_add_co_ci_u32_e32 v1, vcc_lo, v5, v1, vcc_lo
	global_store_b64 v[0:1], v[47:48], off offset:-8
	s_nop 0
	s_sendmsg sendmsg(MSG_DEALLOC_VGPRS)
	s_endpgm
.LBB902_300:
	s_nop 0
	s_sendmsg sendmsg(MSG_DEALLOC_VGPRS)
	s_endpgm
	.section	.rodata,"a",@progbits
	.p2align	6, 0x0
	.amdhsa_kernel _ZN7rocprim17ROCPRIM_400000_NS6detail17trampoline_kernelINS0_14default_configENS1_29reduce_by_key_config_selectorIjyN6thrust23THRUST_200600_302600_NS4plusIyEEEEZZNS1_33reduce_by_key_impl_wrapped_configILNS1_25lookback_scan_determinismE0ES3_S9_NS6_6detail15normal_iteratorINS6_10device_ptrIjEEEENSD_INSE_IyEEEENS6_16discard_iteratorINS6_11use_defaultEEESI_PmS8_NS6_8equal_toIjEEEE10hipError_tPvRmT2_T3_mT4_T5_T6_T7_T8_P12ihipStream_tbENKUlT_T0_E_clISt17integral_constantIbLb1EES15_IbLb0EEEEDaS11_S12_EUlS11_E_NS1_11comp_targetILNS1_3genE9ELNS1_11target_archE1100ELNS1_3gpuE3ELNS1_3repE0EEENS1_30default_config_static_selectorELNS0_4arch9wavefront6targetE0EEEvT1_
		.amdhsa_group_segment_fixed_size 30720
		.amdhsa_private_segment_fixed_size 0
		.amdhsa_kernarg_size 144
		.amdhsa_user_sgpr_count 15
		.amdhsa_user_sgpr_dispatch_ptr 0
		.amdhsa_user_sgpr_queue_ptr 0
		.amdhsa_user_sgpr_kernarg_segment_ptr 1
		.amdhsa_user_sgpr_dispatch_id 0
		.amdhsa_user_sgpr_private_segment_size 0
		.amdhsa_wavefront_size32 1
		.amdhsa_uses_dynamic_stack 0
		.amdhsa_enable_private_segment 0
		.amdhsa_system_sgpr_workgroup_id_x 1
		.amdhsa_system_sgpr_workgroup_id_y 0
		.amdhsa_system_sgpr_workgroup_id_z 0
		.amdhsa_system_sgpr_workgroup_info 0
		.amdhsa_system_vgpr_workitem_id 0
		.amdhsa_next_free_vgpr 103
		.amdhsa_next_free_sgpr 52
		.amdhsa_reserve_vcc 1
		.amdhsa_float_round_mode_32 0
		.amdhsa_float_round_mode_16_64 0
		.amdhsa_float_denorm_mode_32 3
		.amdhsa_float_denorm_mode_16_64 3
		.amdhsa_dx10_clamp 1
		.amdhsa_ieee_mode 1
		.amdhsa_fp16_overflow 0
		.amdhsa_workgroup_processor_mode 1
		.amdhsa_memory_ordered 1
		.amdhsa_forward_progress 0
		.amdhsa_shared_vgpr_count 0
		.amdhsa_exception_fp_ieee_invalid_op 0
		.amdhsa_exception_fp_denorm_src 0
		.amdhsa_exception_fp_ieee_div_zero 0
		.amdhsa_exception_fp_ieee_overflow 0
		.amdhsa_exception_fp_ieee_underflow 0
		.amdhsa_exception_fp_ieee_inexact 0
		.amdhsa_exception_int_div_zero 0
	.end_amdhsa_kernel
	.section	.text._ZN7rocprim17ROCPRIM_400000_NS6detail17trampoline_kernelINS0_14default_configENS1_29reduce_by_key_config_selectorIjyN6thrust23THRUST_200600_302600_NS4plusIyEEEEZZNS1_33reduce_by_key_impl_wrapped_configILNS1_25lookback_scan_determinismE0ES3_S9_NS6_6detail15normal_iteratorINS6_10device_ptrIjEEEENSD_INSE_IyEEEENS6_16discard_iteratorINS6_11use_defaultEEESI_PmS8_NS6_8equal_toIjEEEE10hipError_tPvRmT2_T3_mT4_T5_T6_T7_T8_P12ihipStream_tbENKUlT_T0_E_clISt17integral_constantIbLb1EES15_IbLb0EEEEDaS11_S12_EUlS11_E_NS1_11comp_targetILNS1_3genE9ELNS1_11target_archE1100ELNS1_3gpuE3ELNS1_3repE0EEENS1_30default_config_static_selectorELNS0_4arch9wavefront6targetE0EEEvT1_,"axG",@progbits,_ZN7rocprim17ROCPRIM_400000_NS6detail17trampoline_kernelINS0_14default_configENS1_29reduce_by_key_config_selectorIjyN6thrust23THRUST_200600_302600_NS4plusIyEEEEZZNS1_33reduce_by_key_impl_wrapped_configILNS1_25lookback_scan_determinismE0ES3_S9_NS6_6detail15normal_iteratorINS6_10device_ptrIjEEEENSD_INSE_IyEEEENS6_16discard_iteratorINS6_11use_defaultEEESI_PmS8_NS6_8equal_toIjEEEE10hipError_tPvRmT2_T3_mT4_T5_T6_T7_T8_P12ihipStream_tbENKUlT_T0_E_clISt17integral_constantIbLb1EES15_IbLb0EEEEDaS11_S12_EUlS11_E_NS1_11comp_targetILNS1_3genE9ELNS1_11target_archE1100ELNS1_3gpuE3ELNS1_3repE0EEENS1_30default_config_static_selectorELNS0_4arch9wavefront6targetE0EEEvT1_,comdat
.Lfunc_end902:
	.size	_ZN7rocprim17ROCPRIM_400000_NS6detail17trampoline_kernelINS0_14default_configENS1_29reduce_by_key_config_selectorIjyN6thrust23THRUST_200600_302600_NS4plusIyEEEEZZNS1_33reduce_by_key_impl_wrapped_configILNS1_25lookback_scan_determinismE0ES3_S9_NS6_6detail15normal_iteratorINS6_10device_ptrIjEEEENSD_INSE_IyEEEENS6_16discard_iteratorINS6_11use_defaultEEESI_PmS8_NS6_8equal_toIjEEEE10hipError_tPvRmT2_T3_mT4_T5_T6_T7_T8_P12ihipStream_tbENKUlT_T0_E_clISt17integral_constantIbLb1EES15_IbLb0EEEEDaS11_S12_EUlS11_E_NS1_11comp_targetILNS1_3genE9ELNS1_11target_archE1100ELNS1_3gpuE3ELNS1_3repE0EEENS1_30default_config_static_selectorELNS0_4arch9wavefront6targetE0EEEvT1_, .Lfunc_end902-_ZN7rocprim17ROCPRIM_400000_NS6detail17trampoline_kernelINS0_14default_configENS1_29reduce_by_key_config_selectorIjyN6thrust23THRUST_200600_302600_NS4plusIyEEEEZZNS1_33reduce_by_key_impl_wrapped_configILNS1_25lookback_scan_determinismE0ES3_S9_NS6_6detail15normal_iteratorINS6_10device_ptrIjEEEENSD_INSE_IyEEEENS6_16discard_iteratorINS6_11use_defaultEEESI_PmS8_NS6_8equal_toIjEEEE10hipError_tPvRmT2_T3_mT4_T5_T6_T7_T8_P12ihipStream_tbENKUlT_T0_E_clISt17integral_constantIbLb1EES15_IbLb0EEEEDaS11_S12_EUlS11_E_NS1_11comp_targetILNS1_3genE9ELNS1_11target_archE1100ELNS1_3gpuE3ELNS1_3repE0EEENS1_30default_config_static_selectorELNS0_4arch9wavefront6targetE0EEEvT1_
                                        ; -- End function
	.section	.AMDGPU.csdata,"",@progbits
; Kernel info:
; codeLenInByte = 17796
; NumSgprs: 54
; NumVgprs: 103
; ScratchSize: 0
; MemoryBound: 0
; FloatMode: 240
; IeeeMode: 1
; LDSByteSize: 30720 bytes/workgroup (compile time only)
; SGPRBlocks: 6
; VGPRBlocks: 12
; NumSGPRsForWavesPerEU: 54
; NumVGPRsForWavesPerEU: 103
; Occupancy: 8
; WaveLimiterHint : 1
; COMPUTE_PGM_RSRC2:SCRATCH_EN: 0
; COMPUTE_PGM_RSRC2:USER_SGPR: 15
; COMPUTE_PGM_RSRC2:TRAP_HANDLER: 0
; COMPUTE_PGM_RSRC2:TGID_X_EN: 1
; COMPUTE_PGM_RSRC2:TGID_Y_EN: 0
; COMPUTE_PGM_RSRC2:TGID_Z_EN: 0
; COMPUTE_PGM_RSRC2:TIDIG_COMP_CNT: 0
	.section	.text._ZN7rocprim17ROCPRIM_400000_NS6detail17trampoline_kernelINS0_14default_configENS1_29reduce_by_key_config_selectorIjyN6thrust23THRUST_200600_302600_NS4plusIyEEEEZZNS1_33reduce_by_key_impl_wrapped_configILNS1_25lookback_scan_determinismE0ES3_S9_NS6_6detail15normal_iteratorINS6_10device_ptrIjEEEENSD_INSE_IyEEEENS6_16discard_iteratorINS6_11use_defaultEEESI_PmS8_NS6_8equal_toIjEEEE10hipError_tPvRmT2_T3_mT4_T5_T6_T7_T8_P12ihipStream_tbENKUlT_T0_E_clISt17integral_constantIbLb1EES15_IbLb0EEEEDaS11_S12_EUlS11_E_NS1_11comp_targetILNS1_3genE8ELNS1_11target_archE1030ELNS1_3gpuE2ELNS1_3repE0EEENS1_30default_config_static_selectorELNS0_4arch9wavefront6targetE0EEEvT1_,"axG",@progbits,_ZN7rocprim17ROCPRIM_400000_NS6detail17trampoline_kernelINS0_14default_configENS1_29reduce_by_key_config_selectorIjyN6thrust23THRUST_200600_302600_NS4plusIyEEEEZZNS1_33reduce_by_key_impl_wrapped_configILNS1_25lookback_scan_determinismE0ES3_S9_NS6_6detail15normal_iteratorINS6_10device_ptrIjEEEENSD_INSE_IyEEEENS6_16discard_iteratorINS6_11use_defaultEEESI_PmS8_NS6_8equal_toIjEEEE10hipError_tPvRmT2_T3_mT4_T5_T6_T7_T8_P12ihipStream_tbENKUlT_T0_E_clISt17integral_constantIbLb1EES15_IbLb0EEEEDaS11_S12_EUlS11_E_NS1_11comp_targetILNS1_3genE8ELNS1_11target_archE1030ELNS1_3gpuE2ELNS1_3repE0EEENS1_30default_config_static_selectorELNS0_4arch9wavefront6targetE0EEEvT1_,comdat
	.protected	_ZN7rocprim17ROCPRIM_400000_NS6detail17trampoline_kernelINS0_14default_configENS1_29reduce_by_key_config_selectorIjyN6thrust23THRUST_200600_302600_NS4plusIyEEEEZZNS1_33reduce_by_key_impl_wrapped_configILNS1_25lookback_scan_determinismE0ES3_S9_NS6_6detail15normal_iteratorINS6_10device_ptrIjEEEENSD_INSE_IyEEEENS6_16discard_iteratorINS6_11use_defaultEEESI_PmS8_NS6_8equal_toIjEEEE10hipError_tPvRmT2_T3_mT4_T5_T6_T7_T8_P12ihipStream_tbENKUlT_T0_E_clISt17integral_constantIbLb1EES15_IbLb0EEEEDaS11_S12_EUlS11_E_NS1_11comp_targetILNS1_3genE8ELNS1_11target_archE1030ELNS1_3gpuE2ELNS1_3repE0EEENS1_30default_config_static_selectorELNS0_4arch9wavefront6targetE0EEEvT1_ ; -- Begin function _ZN7rocprim17ROCPRIM_400000_NS6detail17trampoline_kernelINS0_14default_configENS1_29reduce_by_key_config_selectorIjyN6thrust23THRUST_200600_302600_NS4plusIyEEEEZZNS1_33reduce_by_key_impl_wrapped_configILNS1_25lookback_scan_determinismE0ES3_S9_NS6_6detail15normal_iteratorINS6_10device_ptrIjEEEENSD_INSE_IyEEEENS6_16discard_iteratorINS6_11use_defaultEEESI_PmS8_NS6_8equal_toIjEEEE10hipError_tPvRmT2_T3_mT4_T5_T6_T7_T8_P12ihipStream_tbENKUlT_T0_E_clISt17integral_constantIbLb1EES15_IbLb0EEEEDaS11_S12_EUlS11_E_NS1_11comp_targetILNS1_3genE8ELNS1_11target_archE1030ELNS1_3gpuE2ELNS1_3repE0EEENS1_30default_config_static_selectorELNS0_4arch9wavefront6targetE0EEEvT1_
	.globl	_ZN7rocprim17ROCPRIM_400000_NS6detail17trampoline_kernelINS0_14default_configENS1_29reduce_by_key_config_selectorIjyN6thrust23THRUST_200600_302600_NS4plusIyEEEEZZNS1_33reduce_by_key_impl_wrapped_configILNS1_25lookback_scan_determinismE0ES3_S9_NS6_6detail15normal_iteratorINS6_10device_ptrIjEEEENSD_INSE_IyEEEENS6_16discard_iteratorINS6_11use_defaultEEESI_PmS8_NS6_8equal_toIjEEEE10hipError_tPvRmT2_T3_mT4_T5_T6_T7_T8_P12ihipStream_tbENKUlT_T0_E_clISt17integral_constantIbLb1EES15_IbLb0EEEEDaS11_S12_EUlS11_E_NS1_11comp_targetILNS1_3genE8ELNS1_11target_archE1030ELNS1_3gpuE2ELNS1_3repE0EEENS1_30default_config_static_selectorELNS0_4arch9wavefront6targetE0EEEvT1_
	.p2align	8
	.type	_ZN7rocprim17ROCPRIM_400000_NS6detail17trampoline_kernelINS0_14default_configENS1_29reduce_by_key_config_selectorIjyN6thrust23THRUST_200600_302600_NS4plusIyEEEEZZNS1_33reduce_by_key_impl_wrapped_configILNS1_25lookback_scan_determinismE0ES3_S9_NS6_6detail15normal_iteratorINS6_10device_ptrIjEEEENSD_INSE_IyEEEENS6_16discard_iteratorINS6_11use_defaultEEESI_PmS8_NS6_8equal_toIjEEEE10hipError_tPvRmT2_T3_mT4_T5_T6_T7_T8_P12ihipStream_tbENKUlT_T0_E_clISt17integral_constantIbLb1EES15_IbLb0EEEEDaS11_S12_EUlS11_E_NS1_11comp_targetILNS1_3genE8ELNS1_11target_archE1030ELNS1_3gpuE2ELNS1_3repE0EEENS1_30default_config_static_selectorELNS0_4arch9wavefront6targetE0EEEvT1_,@function
_ZN7rocprim17ROCPRIM_400000_NS6detail17trampoline_kernelINS0_14default_configENS1_29reduce_by_key_config_selectorIjyN6thrust23THRUST_200600_302600_NS4plusIyEEEEZZNS1_33reduce_by_key_impl_wrapped_configILNS1_25lookback_scan_determinismE0ES3_S9_NS6_6detail15normal_iteratorINS6_10device_ptrIjEEEENSD_INSE_IyEEEENS6_16discard_iteratorINS6_11use_defaultEEESI_PmS8_NS6_8equal_toIjEEEE10hipError_tPvRmT2_T3_mT4_T5_T6_T7_T8_P12ihipStream_tbENKUlT_T0_E_clISt17integral_constantIbLb1EES15_IbLb0EEEEDaS11_S12_EUlS11_E_NS1_11comp_targetILNS1_3genE8ELNS1_11target_archE1030ELNS1_3gpuE2ELNS1_3repE0EEENS1_30default_config_static_selectorELNS0_4arch9wavefront6targetE0EEEvT1_: ; @_ZN7rocprim17ROCPRIM_400000_NS6detail17trampoline_kernelINS0_14default_configENS1_29reduce_by_key_config_selectorIjyN6thrust23THRUST_200600_302600_NS4plusIyEEEEZZNS1_33reduce_by_key_impl_wrapped_configILNS1_25lookback_scan_determinismE0ES3_S9_NS6_6detail15normal_iteratorINS6_10device_ptrIjEEEENSD_INSE_IyEEEENS6_16discard_iteratorINS6_11use_defaultEEESI_PmS8_NS6_8equal_toIjEEEE10hipError_tPvRmT2_T3_mT4_T5_T6_T7_T8_P12ihipStream_tbENKUlT_T0_E_clISt17integral_constantIbLb1EES15_IbLb0EEEEDaS11_S12_EUlS11_E_NS1_11comp_targetILNS1_3genE8ELNS1_11target_archE1030ELNS1_3gpuE2ELNS1_3repE0EEENS1_30default_config_static_selectorELNS0_4arch9wavefront6targetE0EEEvT1_
; %bb.0:
	.section	.rodata,"a",@progbits
	.p2align	6, 0x0
	.amdhsa_kernel _ZN7rocprim17ROCPRIM_400000_NS6detail17trampoline_kernelINS0_14default_configENS1_29reduce_by_key_config_selectorIjyN6thrust23THRUST_200600_302600_NS4plusIyEEEEZZNS1_33reduce_by_key_impl_wrapped_configILNS1_25lookback_scan_determinismE0ES3_S9_NS6_6detail15normal_iteratorINS6_10device_ptrIjEEEENSD_INSE_IyEEEENS6_16discard_iteratorINS6_11use_defaultEEESI_PmS8_NS6_8equal_toIjEEEE10hipError_tPvRmT2_T3_mT4_T5_T6_T7_T8_P12ihipStream_tbENKUlT_T0_E_clISt17integral_constantIbLb1EES15_IbLb0EEEEDaS11_S12_EUlS11_E_NS1_11comp_targetILNS1_3genE8ELNS1_11target_archE1030ELNS1_3gpuE2ELNS1_3repE0EEENS1_30default_config_static_selectorELNS0_4arch9wavefront6targetE0EEEvT1_
		.amdhsa_group_segment_fixed_size 0
		.amdhsa_private_segment_fixed_size 0
		.amdhsa_kernarg_size 144
		.amdhsa_user_sgpr_count 15
		.amdhsa_user_sgpr_dispatch_ptr 0
		.amdhsa_user_sgpr_queue_ptr 0
		.amdhsa_user_sgpr_kernarg_segment_ptr 1
		.amdhsa_user_sgpr_dispatch_id 0
		.amdhsa_user_sgpr_private_segment_size 0
		.amdhsa_wavefront_size32 1
		.amdhsa_uses_dynamic_stack 0
		.amdhsa_enable_private_segment 0
		.amdhsa_system_sgpr_workgroup_id_x 1
		.amdhsa_system_sgpr_workgroup_id_y 0
		.amdhsa_system_sgpr_workgroup_id_z 0
		.amdhsa_system_sgpr_workgroup_info 0
		.amdhsa_system_vgpr_workitem_id 0
		.amdhsa_next_free_vgpr 1
		.amdhsa_next_free_sgpr 1
		.amdhsa_reserve_vcc 0
		.amdhsa_float_round_mode_32 0
		.amdhsa_float_round_mode_16_64 0
		.amdhsa_float_denorm_mode_32 3
		.amdhsa_float_denorm_mode_16_64 3
		.amdhsa_dx10_clamp 1
		.amdhsa_ieee_mode 1
		.amdhsa_fp16_overflow 0
		.amdhsa_workgroup_processor_mode 1
		.amdhsa_memory_ordered 1
		.amdhsa_forward_progress 0
		.amdhsa_shared_vgpr_count 0
		.amdhsa_exception_fp_ieee_invalid_op 0
		.amdhsa_exception_fp_denorm_src 0
		.amdhsa_exception_fp_ieee_div_zero 0
		.amdhsa_exception_fp_ieee_overflow 0
		.amdhsa_exception_fp_ieee_underflow 0
		.amdhsa_exception_fp_ieee_inexact 0
		.amdhsa_exception_int_div_zero 0
	.end_amdhsa_kernel
	.section	.text._ZN7rocprim17ROCPRIM_400000_NS6detail17trampoline_kernelINS0_14default_configENS1_29reduce_by_key_config_selectorIjyN6thrust23THRUST_200600_302600_NS4plusIyEEEEZZNS1_33reduce_by_key_impl_wrapped_configILNS1_25lookback_scan_determinismE0ES3_S9_NS6_6detail15normal_iteratorINS6_10device_ptrIjEEEENSD_INSE_IyEEEENS6_16discard_iteratorINS6_11use_defaultEEESI_PmS8_NS6_8equal_toIjEEEE10hipError_tPvRmT2_T3_mT4_T5_T6_T7_T8_P12ihipStream_tbENKUlT_T0_E_clISt17integral_constantIbLb1EES15_IbLb0EEEEDaS11_S12_EUlS11_E_NS1_11comp_targetILNS1_3genE8ELNS1_11target_archE1030ELNS1_3gpuE2ELNS1_3repE0EEENS1_30default_config_static_selectorELNS0_4arch9wavefront6targetE0EEEvT1_,"axG",@progbits,_ZN7rocprim17ROCPRIM_400000_NS6detail17trampoline_kernelINS0_14default_configENS1_29reduce_by_key_config_selectorIjyN6thrust23THRUST_200600_302600_NS4plusIyEEEEZZNS1_33reduce_by_key_impl_wrapped_configILNS1_25lookback_scan_determinismE0ES3_S9_NS6_6detail15normal_iteratorINS6_10device_ptrIjEEEENSD_INSE_IyEEEENS6_16discard_iteratorINS6_11use_defaultEEESI_PmS8_NS6_8equal_toIjEEEE10hipError_tPvRmT2_T3_mT4_T5_T6_T7_T8_P12ihipStream_tbENKUlT_T0_E_clISt17integral_constantIbLb1EES15_IbLb0EEEEDaS11_S12_EUlS11_E_NS1_11comp_targetILNS1_3genE8ELNS1_11target_archE1030ELNS1_3gpuE2ELNS1_3repE0EEENS1_30default_config_static_selectorELNS0_4arch9wavefront6targetE0EEEvT1_,comdat
.Lfunc_end903:
	.size	_ZN7rocprim17ROCPRIM_400000_NS6detail17trampoline_kernelINS0_14default_configENS1_29reduce_by_key_config_selectorIjyN6thrust23THRUST_200600_302600_NS4plusIyEEEEZZNS1_33reduce_by_key_impl_wrapped_configILNS1_25lookback_scan_determinismE0ES3_S9_NS6_6detail15normal_iteratorINS6_10device_ptrIjEEEENSD_INSE_IyEEEENS6_16discard_iteratorINS6_11use_defaultEEESI_PmS8_NS6_8equal_toIjEEEE10hipError_tPvRmT2_T3_mT4_T5_T6_T7_T8_P12ihipStream_tbENKUlT_T0_E_clISt17integral_constantIbLb1EES15_IbLb0EEEEDaS11_S12_EUlS11_E_NS1_11comp_targetILNS1_3genE8ELNS1_11target_archE1030ELNS1_3gpuE2ELNS1_3repE0EEENS1_30default_config_static_selectorELNS0_4arch9wavefront6targetE0EEEvT1_, .Lfunc_end903-_ZN7rocprim17ROCPRIM_400000_NS6detail17trampoline_kernelINS0_14default_configENS1_29reduce_by_key_config_selectorIjyN6thrust23THRUST_200600_302600_NS4plusIyEEEEZZNS1_33reduce_by_key_impl_wrapped_configILNS1_25lookback_scan_determinismE0ES3_S9_NS6_6detail15normal_iteratorINS6_10device_ptrIjEEEENSD_INSE_IyEEEENS6_16discard_iteratorINS6_11use_defaultEEESI_PmS8_NS6_8equal_toIjEEEE10hipError_tPvRmT2_T3_mT4_T5_T6_T7_T8_P12ihipStream_tbENKUlT_T0_E_clISt17integral_constantIbLb1EES15_IbLb0EEEEDaS11_S12_EUlS11_E_NS1_11comp_targetILNS1_3genE8ELNS1_11target_archE1030ELNS1_3gpuE2ELNS1_3repE0EEENS1_30default_config_static_selectorELNS0_4arch9wavefront6targetE0EEEvT1_
                                        ; -- End function
	.section	.AMDGPU.csdata,"",@progbits
; Kernel info:
; codeLenInByte = 0
; NumSgprs: 0
; NumVgprs: 0
; ScratchSize: 0
; MemoryBound: 0
; FloatMode: 240
; IeeeMode: 1
; LDSByteSize: 0 bytes/workgroup (compile time only)
; SGPRBlocks: 0
; VGPRBlocks: 0
; NumSGPRsForWavesPerEU: 1
; NumVGPRsForWavesPerEU: 1
; Occupancy: 16
; WaveLimiterHint : 0
; COMPUTE_PGM_RSRC2:SCRATCH_EN: 0
; COMPUTE_PGM_RSRC2:USER_SGPR: 15
; COMPUTE_PGM_RSRC2:TRAP_HANDLER: 0
; COMPUTE_PGM_RSRC2:TGID_X_EN: 1
; COMPUTE_PGM_RSRC2:TGID_Y_EN: 0
; COMPUTE_PGM_RSRC2:TGID_Z_EN: 0
; COMPUTE_PGM_RSRC2:TIDIG_COMP_CNT: 0
	.section	.text._ZN7rocprim17ROCPRIM_400000_NS6detail17trampoline_kernelINS0_14default_configENS1_29reduce_by_key_config_selectorIjyN6thrust23THRUST_200600_302600_NS4plusIyEEEEZZNS1_33reduce_by_key_impl_wrapped_configILNS1_25lookback_scan_determinismE0ES3_S9_NS6_6detail15normal_iteratorINS6_10device_ptrIjEEEENSD_INSE_IyEEEENS6_16discard_iteratorINS6_11use_defaultEEESI_PmS8_NS6_8equal_toIjEEEE10hipError_tPvRmT2_T3_mT4_T5_T6_T7_T8_P12ihipStream_tbENKUlT_T0_E_clISt17integral_constantIbLb0EES15_IbLb1EEEEDaS11_S12_EUlS11_E_NS1_11comp_targetILNS1_3genE0ELNS1_11target_archE4294967295ELNS1_3gpuE0ELNS1_3repE0EEENS1_30default_config_static_selectorELNS0_4arch9wavefront6targetE0EEEvT1_,"axG",@progbits,_ZN7rocprim17ROCPRIM_400000_NS6detail17trampoline_kernelINS0_14default_configENS1_29reduce_by_key_config_selectorIjyN6thrust23THRUST_200600_302600_NS4plusIyEEEEZZNS1_33reduce_by_key_impl_wrapped_configILNS1_25lookback_scan_determinismE0ES3_S9_NS6_6detail15normal_iteratorINS6_10device_ptrIjEEEENSD_INSE_IyEEEENS6_16discard_iteratorINS6_11use_defaultEEESI_PmS8_NS6_8equal_toIjEEEE10hipError_tPvRmT2_T3_mT4_T5_T6_T7_T8_P12ihipStream_tbENKUlT_T0_E_clISt17integral_constantIbLb0EES15_IbLb1EEEEDaS11_S12_EUlS11_E_NS1_11comp_targetILNS1_3genE0ELNS1_11target_archE4294967295ELNS1_3gpuE0ELNS1_3repE0EEENS1_30default_config_static_selectorELNS0_4arch9wavefront6targetE0EEEvT1_,comdat
	.protected	_ZN7rocprim17ROCPRIM_400000_NS6detail17trampoline_kernelINS0_14default_configENS1_29reduce_by_key_config_selectorIjyN6thrust23THRUST_200600_302600_NS4plusIyEEEEZZNS1_33reduce_by_key_impl_wrapped_configILNS1_25lookback_scan_determinismE0ES3_S9_NS6_6detail15normal_iteratorINS6_10device_ptrIjEEEENSD_INSE_IyEEEENS6_16discard_iteratorINS6_11use_defaultEEESI_PmS8_NS6_8equal_toIjEEEE10hipError_tPvRmT2_T3_mT4_T5_T6_T7_T8_P12ihipStream_tbENKUlT_T0_E_clISt17integral_constantIbLb0EES15_IbLb1EEEEDaS11_S12_EUlS11_E_NS1_11comp_targetILNS1_3genE0ELNS1_11target_archE4294967295ELNS1_3gpuE0ELNS1_3repE0EEENS1_30default_config_static_selectorELNS0_4arch9wavefront6targetE0EEEvT1_ ; -- Begin function _ZN7rocprim17ROCPRIM_400000_NS6detail17trampoline_kernelINS0_14default_configENS1_29reduce_by_key_config_selectorIjyN6thrust23THRUST_200600_302600_NS4plusIyEEEEZZNS1_33reduce_by_key_impl_wrapped_configILNS1_25lookback_scan_determinismE0ES3_S9_NS6_6detail15normal_iteratorINS6_10device_ptrIjEEEENSD_INSE_IyEEEENS6_16discard_iteratorINS6_11use_defaultEEESI_PmS8_NS6_8equal_toIjEEEE10hipError_tPvRmT2_T3_mT4_T5_T6_T7_T8_P12ihipStream_tbENKUlT_T0_E_clISt17integral_constantIbLb0EES15_IbLb1EEEEDaS11_S12_EUlS11_E_NS1_11comp_targetILNS1_3genE0ELNS1_11target_archE4294967295ELNS1_3gpuE0ELNS1_3repE0EEENS1_30default_config_static_selectorELNS0_4arch9wavefront6targetE0EEEvT1_
	.globl	_ZN7rocprim17ROCPRIM_400000_NS6detail17trampoline_kernelINS0_14default_configENS1_29reduce_by_key_config_selectorIjyN6thrust23THRUST_200600_302600_NS4plusIyEEEEZZNS1_33reduce_by_key_impl_wrapped_configILNS1_25lookback_scan_determinismE0ES3_S9_NS6_6detail15normal_iteratorINS6_10device_ptrIjEEEENSD_INSE_IyEEEENS6_16discard_iteratorINS6_11use_defaultEEESI_PmS8_NS6_8equal_toIjEEEE10hipError_tPvRmT2_T3_mT4_T5_T6_T7_T8_P12ihipStream_tbENKUlT_T0_E_clISt17integral_constantIbLb0EES15_IbLb1EEEEDaS11_S12_EUlS11_E_NS1_11comp_targetILNS1_3genE0ELNS1_11target_archE4294967295ELNS1_3gpuE0ELNS1_3repE0EEENS1_30default_config_static_selectorELNS0_4arch9wavefront6targetE0EEEvT1_
	.p2align	8
	.type	_ZN7rocprim17ROCPRIM_400000_NS6detail17trampoline_kernelINS0_14default_configENS1_29reduce_by_key_config_selectorIjyN6thrust23THRUST_200600_302600_NS4plusIyEEEEZZNS1_33reduce_by_key_impl_wrapped_configILNS1_25lookback_scan_determinismE0ES3_S9_NS6_6detail15normal_iteratorINS6_10device_ptrIjEEEENSD_INSE_IyEEEENS6_16discard_iteratorINS6_11use_defaultEEESI_PmS8_NS6_8equal_toIjEEEE10hipError_tPvRmT2_T3_mT4_T5_T6_T7_T8_P12ihipStream_tbENKUlT_T0_E_clISt17integral_constantIbLb0EES15_IbLb1EEEEDaS11_S12_EUlS11_E_NS1_11comp_targetILNS1_3genE0ELNS1_11target_archE4294967295ELNS1_3gpuE0ELNS1_3repE0EEENS1_30default_config_static_selectorELNS0_4arch9wavefront6targetE0EEEvT1_,@function
_ZN7rocprim17ROCPRIM_400000_NS6detail17trampoline_kernelINS0_14default_configENS1_29reduce_by_key_config_selectorIjyN6thrust23THRUST_200600_302600_NS4plusIyEEEEZZNS1_33reduce_by_key_impl_wrapped_configILNS1_25lookback_scan_determinismE0ES3_S9_NS6_6detail15normal_iteratorINS6_10device_ptrIjEEEENSD_INSE_IyEEEENS6_16discard_iteratorINS6_11use_defaultEEESI_PmS8_NS6_8equal_toIjEEEE10hipError_tPvRmT2_T3_mT4_T5_T6_T7_T8_P12ihipStream_tbENKUlT_T0_E_clISt17integral_constantIbLb0EES15_IbLb1EEEEDaS11_S12_EUlS11_E_NS1_11comp_targetILNS1_3genE0ELNS1_11target_archE4294967295ELNS1_3gpuE0ELNS1_3repE0EEENS1_30default_config_static_selectorELNS0_4arch9wavefront6targetE0EEEvT1_: ; @_ZN7rocprim17ROCPRIM_400000_NS6detail17trampoline_kernelINS0_14default_configENS1_29reduce_by_key_config_selectorIjyN6thrust23THRUST_200600_302600_NS4plusIyEEEEZZNS1_33reduce_by_key_impl_wrapped_configILNS1_25lookback_scan_determinismE0ES3_S9_NS6_6detail15normal_iteratorINS6_10device_ptrIjEEEENSD_INSE_IyEEEENS6_16discard_iteratorINS6_11use_defaultEEESI_PmS8_NS6_8equal_toIjEEEE10hipError_tPvRmT2_T3_mT4_T5_T6_T7_T8_P12ihipStream_tbENKUlT_T0_E_clISt17integral_constantIbLb0EES15_IbLb1EEEEDaS11_S12_EUlS11_E_NS1_11comp_targetILNS1_3genE0ELNS1_11target_archE4294967295ELNS1_3gpuE0ELNS1_3repE0EEENS1_30default_config_static_selectorELNS0_4arch9wavefront6targetE0EEEvT1_
; %bb.0:
	.section	.rodata,"a",@progbits
	.p2align	6, 0x0
	.amdhsa_kernel _ZN7rocprim17ROCPRIM_400000_NS6detail17trampoline_kernelINS0_14default_configENS1_29reduce_by_key_config_selectorIjyN6thrust23THRUST_200600_302600_NS4plusIyEEEEZZNS1_33reduce_by_key_impl_wrapped_configILNS1_25lookback_scan_determinismE0ES3_S9_NS6_6detail15normal_iteratorINS6_10device_ptrIjEEEENSD_INSE_IyEEEENS6_16discard_iteratorINS6_11use_defaultEEESI_PmS8_NS6_8equal_toIjEEEE10hipError_tPvRmT2_T3_mT4_T5_T6_T7_T8_P12ihipStream_tbENKUlT_T0_E_clISt17integral_constantIbLb0EES15_IbLb1EEEEDaS11_S12_EUlS11_E_NS1_11comp_targetILNS1_3genE0ELNS1_11target_archE4294967295ELNS1_3gpuE0ELNS1_3repE0EEENS1_30default_config_static_selectorELNS0_4arch9wavefront6targetE0EEEvT1_
		.amdhsa_group_segment_fixed_size 0
		.amdhsa_private_segment_fixed_size 0
		.amdhsa_kernarg_size 144
		.amdhsa_user_sgpr_count 15
		.amdhsa_user_sgpr_dispatch_ptr 0
		.amdhsa_user_sgpr_queue_ptr 0
		.amdhsa_user_sgpr_kernarg_segment_ptr 1
		.amdhsa_user_sgpr_dispatch_id 0
		.amdhsa_user_sgpr_private_segment_size 0
		.amdhsa_wavefront_size32 1
		.amdhsa_uses_dynamic_stack 0
		.amdhsa_enable_private_segment 0
		.amdhsa_system_sgpr_workgroup_id_x 1
		.amdhsa_system_sgpr_workgroup_id_y 0
		.amdhsa_system_sgpr_workgroup_id_z 0
		.amdhsa_system_sgpr_workgroup_info 0
		.amdhsa_system_vgpr_workitem_id 0
		.amdhsa_next_free_vgpr 1
		.amdhsa_next_free_sgpr 1
		.amdhsa_reserve_vcc 0
		.amdhsa_float_round_mode_32 0
		.amdhsa_float_round_mode_16_64 0
		.amdhsa_float_denorm_mode_32 3
		.amdhsa_float_denorm_mode_16_64 3
		.amdhsa_dx10_clamp 1
		.amdhsa_ieee_mode 1
		.amdhsa_fp16_overflow 0
		.amdhsa_workgroup_processor_mode 1
		.amdhsa_memory_ordered 1
		.amdhsa_forward_progress 0
		.amdhsa_shared_vgpr_count 0
		.amdhsa_exception_fp_ieee_invalid_op 0
		.amdhsa_exception_fp_denorm_src 0
		.amdhsa_exception_fp_ieee_div_zero 0
		.amdhsa_exception_fp_ieee_overflow 0
		.amdhsa_exception_fp_ieee_underflow 0
		.amdhsa_exception_fp_ieee_inexact 0
		.amdhsa_exception_int_div_zero 0
	.end_amdhsa_kernel
	.section	.text._ZN7rocprim17ROCPRIM_400000_NS6detail17trampoline_kernelINS0_14default_configENS1_29reduce_by_key_config_selectorIjyN6thrust23THRUST_200600_302600_NS4plusIyEEEEZZNS1_33reduce_by_key_impl_wrapped_configILNS1_25lookback_scan_determinismE0ES3_S9_NS6_6detail15normal_iteratorINS6_10device_ptrIjEEEENSD_INSE_IyEEEENS6_16discard_iteratorINS6_11use_defaultEEESI_PmS8_NS6_8equal_toIjEEEE10hipError_tPvRmT2_T3_mT4_T5_T6_T7_T8_P12ihipStream_tbENKUlT_T0_E_clISt17integral_constantIbLb0EES15_IbLb1EEEEDaS11_S12_EUlS11_E_NS1_11comp_targetILNS1_3genE0ELNS1_11target_archE4294967295ELNS1_3gpuE0ELNS1_3repE0EEENS1_30default_config_static_selectorELNS0_4arch9wavefront6targetE0EEEvT1_,"axG",@progbits,_ZN7rocprim17ROCPRIM_400000_NS6detail17trampoline_kernelINS0_14default_configENS1_29reduce_by_key_config_selectorIjyN6thrust23THRUST_200600_302600_NS4plusIyEEEEZZNS1_33reduce_by_key_impl_wrapped_configILNS1_25lookback_scan_determinismE0ES3_S9_NS6_6detail15normal_iteratorINS6_10device_ptrIjEEEENSD_INSE_IyEEEENS6_16discard_iteratorINS6_11use_defaultEEESI_PmS8_NS6_8equal_toIjEEEE10hipError_tPvRmT2_T3_mT4_T5_T6_T7_T8_P12ihipStream_tbENKUlT_T0_E_clISt17integral_constantIbLb0EES15_IbLb1EEEEDaS11_S12_EUlS11_E_NS1_11comp_targetILNS1_3genE0ELNS1_11target_archE4294967295ELNS1_3gpuE0ELNS1_3repE0EEENS1_30default_config_static_selectorELNS0_4arch9wavefront6targetE0EEEvT1_,comdat
.Lfunc_end904:
	.size	_ZN7rocprim17ROCPRIM_400000_NS6detail17trampoline_kernelINS0_14default_configENS1_29reduce_by_key_config_selectorIjyN6thrust23THRUST_200600_302600_NS4plusIyEEEEZZNS1_33reduce_by_key_impl_wrapped_configILNS1_25lookback_scan_determinismE0ES3_S9_NS6_6detail15normal_iteratorINS6_10device_ptrIjEEEENSD_INSE_IyEEEENS6_16discard_iteratorINS6_11use_defaultEEESI_PmS8_NS6_8equal_toIjEEEE10hipError_tPvRmT2_T3_mT4_T5_T6_T7_T8_P12ihipStream_tbENKUlT_T0_E_clISt17integral_constantIbLb0EES15_IbLb1EEEEDaS11_S12_EUlS11_E_NS1_11comp_targetILNS1_3genE0ELNS1_11target_archE4294967295ELNS1_3gpuE0ELNS1_3repE0EEENS1_30default_config_static_selectorELNS0_4arch9wavefront6targetE0EEEvT1_, .Lfunc_end904-_ZN7rocprim17ROCPRIM_400000_NS6detail17trampoline_kernelINS0_14default_configENS1_29reduce_by_key_config_selectorIjyN6thrust23THRUST_200600_302600_NS4plusIyEEEEZZNS1_33reduce_by_key_impl_wrapped_configILNS1_25lookback_scan_determinismE0ES3_S9_NS6_6detail15normal_iteratorINS6_10device_ptrIjEEEENSD_INSE_IyEEEENS6_16discard_iteratorINS6_11use_defaultEEESI_PmS8_NS6_8equal_toIjEEEE10hipError_tPvRmT2_T3_mT4_T5_T6_T7_T8_P12ihipStream_tbENKUlT_T0_E_clISt17integral_constantIbLb0EES15_IbLb1EEEEDaS11_S12_EUlS11_E_NS1_11comp_targetILNS1_3genE0ELNS1_11target_archE4294967295ELNS1_3gpuE0ELNS1_3repE0EEENS1_30default_config_static_selectorELNS0_4arch9wavefront6targetE0EEEvT1_
                                        ; -- End function
	.section	.AMDGPU.csdata,"",@progbits
; Kernel info:
; codeLenInByte = 0
; NumSgprs: 0
; NumVgprs: 0
; ScratchSize: 0
; MemoryBound: 0
; FloatMode: 240
; IeeeMode: 1
; LDSByteSize: 0 bytes/workgroup (compile time only)
; SGPRBlocks: 0
; VGPRBlocks: 0
; NumSGPRsForWavesPerEU: 1
; NumVGPRsForWavesPerEU: 1
; Occupancy: 16
; WaveLimiterHint : 0
; COMPUTE_PGM_RSRC2:SCRATCH_EN: 0
; COMPUTE_PGM_RSRC2:USER_SGPR: 15
; COMPUTE_PGM_RSRC2:TRAP_HANDLER: 0
; COMPUTE_PGM_RSRC2:TGID_X_EN: 1
; COMPUTE_PGM_RSRC2:TGID_Y_EN: 0
; COMPUTE_PGM_RSRC2:TGID_Z_EN: 0
; COMPUTE_PGM_RSRC2:TIDIG_COMP_CNT: 0
	.section	.text._ZN7rocprim17ROCPRIM_400000_NS6detail17trampoline_kernelINS0_14default_configENS1_29reduce_by_key_config_selectorIjyN6thrust23THRUST_200600_302600_NS4plusIyEEEEZZNS1_33reduce_by_key_impl_wrapped_configILNS1_25lookback_scan_determinismE0ES3_S9_NS6_6detail15normal_iteratorINS6_10device_ptrIjEEEENSD_INSE_IyEEEENS6_16discard_iteratorINS6_11use_defaultEEESI_PmS8_NS6_8equal_toIjEEEE10hipError_tPvRmT2_T3_mT4_T5_T6_T7_T8_P12ihipStream_tbENKUlT_T0_E_clISt17integral_constantIbLb0EES15_IbLb1EEEEDaS11_S12_EUlS11_E_NS1_11comp_targetILNS1_3genE5ELNS1_11target_archE942ELNS1_3gpuE9ELNS1_3repE0EEENS1_30default_config_static_selectorELNS0_4arch9wavefront6targetE0EEEvT1_,"axG",@progbits,_ZN7rocprim17ROCPRIM_400000_NS6detail17trampoline_kernelINS0_14default_configENS1_29reduce_by_key_config_selectorIjyN6thrust23THRUST_200600_302600_NS4plusIyEEEEZZNS1_33reduce_by_key_impl_wrapped_configILNS1_25lookback_scan_determinismE0ES3_S9_NS6_6detail15normal_iteratorINS6_10device_ptrIjEEEENSD_INSE_IyEEEENS6_16discard_iteratorINS6_11use_defaultEEESI_PmS8_NS6_8equal_toIjEEEE10hipError_tPvRmT2_T3_mT4_T5_T6_T7_T8_P12ihipStream_tbENKUlT_T0_E_clISt17integral_constantIbLb0EES15_IbLb1EEEEDaS11_S12_EUlS11_E_NS1_11comp_targetILNS1_3genE5ELNS1_11target_archE942ELNS1_3gpuE9ELNS1_3repE0EEENS1_30default_config_static_selectorELNS0_4arch9wavefront6targetE0EEEvT1_,comdat
	.protected	_ZN7rocprim17ROCPRIM_400000_NS6detail17trampoline_kernelINS0_14default_configENS1_29reduce_by_key_config_selectorIjyN6thrust23THRUST_200600_302600_NS4plusIyEEEEZZNS1_33reduce_by_key_impl_wrapped_configILNS1_25lookback_scan_determinismE0ES3_S9_NS6_6detail15normal_iteratorINS6_10device_ptrIjEEEENSD_INSE_IyEEEENS6_16discard_iteratorINS6_11use_defaultEEESI_PmS8_NS6_8equal_toIjEEEE10hipError_tPvRmT2_T3_mT4_T5_T6_T7_T8_P12ihipStream_tbENKUlT_T0_E_clISt17integral_constantIbLb0EES15_IbLb1EEEEDaS11_S12_EUlS11_E_NS1_11comp_targetILNS1_3genE5ELNS1_11target_archE942ELNS1_3gpuE9ELNS1_3repE0EEENS1_30default_config_static_selectorELNS0_4arch9wavefront6targetE0EEEvT1_ ; -- Begin function _ZN7rocprim17ROCPRIM_400000_NS6detail17trampoline_kernelINS0_14default_configENS1_29reduce_by_key_config_selectorIjyN6thrust23THRUST_200600_302600_NS4plusIyEEEEZZNS1_33reduce_by_key_impl_wrapped_configILNS1_25lookback_scan_determinismE0ES3_S9_NS6_6detail15normal_iteratorINS6_10device_ptrIjEEEENSD_INSE_IyEEEENS6_16discard_iteratorINS6_11use_defaultEEESI_PmS8_NS6_8equal_toIjEEEE10hipError_tPvRmT2_T3_mT4_T5_T6_T7_T8_P12ihipStream_tbENKUlT_T0_E_clISt17integral_constantIbLb0EES15_IbLb1EEEEDaS11_S12_EUlS11_E_NS1_11comp_targetILNS1_3genE5ELNS1_11target_archE942ELNS1_3gpuE9ELNS1_3repE0EEENS1_30default_config_static_selectorELNS0_4arch9wavefront6targetE0EEEvT1_
	.globl	_ZN7rocprim17ROCPRIM_400000_NS6detail17trampoline_kernelINS0_14default_configENS1_29reduce_by_key_config_selectorIjyN6thrust23THRUST_200600_302600_NS4plusIyEEEEZZNS1_33reduce_by_key_impl_wrapped_configILNS1_25lookback_scan_determinismE0ES3_S9_NS6_6detail15normal_iteratorINS6_10device_ptrIjEEEENSD_INSE_IyEEEENS6_16discard_iteratorINS6_11use_defaultEEESI_PmS8_NS6_8equal_toIjEEEE10hipError_tPvRmT2_T3_mT4_T5_T6_T7_T8_P12ihipStream_tbENKUlT_T0_E_clISt17integral_constantIbLb0EES15_IbLb1EEEEDaS11_S12_EUlS11_E_NS1_11comp_targetILNS1_3genE5ELNS1_11target_archE942ELNS1_3gpuE9ELNS1_3repE0EEENS1_30default_config_static_selectorELNS0_4arch9wavefront6targetE0EEEvT1_
	.p2align	8
	.type	_ZN7rocprim17ROCPRIM_400000_NS6detail17trampoline_kernelINS0_14default_configENS1_29reduce_by_key_config_selectorIjyN6thrust23THRUST_200600_302600_NS4plusIyEEEEZZNS1_33reduce_by_key_impl_wrapped_configILNS1_25lookback_scan_determinismE0ES3_S9_NS6_6detail15normal_iteratorINS6_10device_ptrIjEEEENSD_INSE_IyEEEENS6_16discard_iteratorINS6_11use_defaultEEESI_PmS8_NS6_8equal_toIjEEEE10hipError_tPvRmT2_T3_mT4_T5_T6_T7_T8_P12ihipStream_tbENKUlT_T0_E_clISt17integral_constantIbLb0EES15_IbLb1EEEEDaS11_S12_EUlS11_E_NS1_11comp_targetILNS1_3genE5ELNS1_11target_archE942ELNS1_3gpuE9ELNS1_3repE0EEENS1_30default_config_static_selectorELNS0_4arch9wavefront6targetE0EEEvT1_,@function
_ZN7rocprim17ROCPRIM_400000_NS6detail17trampoline_kernelINS0_14default_configENS1_29reduce_by_key_config_selectorIjyN6thrust23THRUST_200600_302600_NS4plusIyEEEEZZNS1_33reduce_by_key_impl_wrapped_configILNS1_25lookback_scan_determinismE0ES3_S9_NS6_6detail15normal_iteratorINS6_10device_ptrIjEEEENSD_INSE_IyEEEENS6_16discard_iteratorINS6_11use_defaultEEESI_PmS8_NS6_8equal_toIjEEEE10hipError_tPvRmT2_T3_mT4_T5_T6_T7_T8_P12ihipStream_tbENKUlT_T0_E_clISt17integral_constantIbLb0EES15_IbLb1EEEEDaS11_S12_EUlS11_E_NS1_11comp_targetILNS1_3genE5ELNS1_11target_archE942ELNS1_3gpuE9ELNS1_3repE0EEENS1_30default_config_static_selectorELNS0_4arch9wavefront6targetE0EEEvT1_: ; @_ZN7rocprim17ROCPRIM_400000_NS6detail17trampoline_kernelINS0_14default_configENS1_29reduce_by_key_config_selectorIjyN6thrust23THRUST_200600_302600_NS4plusIyEEEEZZNS1_33reduce_by_key_impl_wrapped_configILNS1_25lookback_scan_determinismE0ES3_S9_NS6_6detail15normal_iteratorINS6_10device_ptrIjEEEENSD_INSE_IyEEEENS6_16discard_iteratorINS6_11use_defaultEEESI_PmS8_NS6_8equal_toIjEEEE10hipError_tPvRmT2_T3_mT4_T5_T6_T7_T8_P12ihipStream_tbENKUlT_T0_E_clISt17integral_constantIbLb0EES15_IbLb1EEEEDaS11_S12_EUlS11_E_NS1_11comp_targetILNS1_3genE5ELNS1_11target_archE942ELNS1_3gpuE9ELNS1_3repE0EEENS1_30default_config_static_selectorELNS0_4arch9wavefront6targetE0EEEvT1_
; %bb.0:
	.section	.rodata,"a",@progbits
	.p2align	6, 0x0
	.amdhsa_kernel _ZN7rocprim17ROCPRIM_400000_NS6detail17trampoline_kernelINS0_14default_configENS1_29reduce_by_key_config_selectorIjyN6thrust23THRUST_200600_302600_NS4plusIyEEEEZZNS1_33reduce_by_key_impl_wrapped_configILNS1_25lookback_scan_determinismE0ES3_S9_NS6_6detail15normal_iteratorINS6_10device_ptrIjEEEENSD_INSE_IyEEEENS6_16discard_iteratorINS6_11use_defaultEEESI_PmS8_NS6_8equal_toIjEEEE10hipError_tPvRmT2_T3_mT4_T5_T6_T7_T8_P12ihipStream_tbENKUlT_T0_E_clISt17integral_constantIbLb0EES15_IbLb1EEEEDaS11_S12_EUlS11_E_NS1_11comp_targetILNS1_3genE5ELNS1_11target_archE942ELNS1_3gpuE9ELNS1_3repE0EEENS1_30default_config_static_selectorELNS0_4arch9wavefront6targetE0EEEvT1_
		.amdhsa_group_segment_fixed_size 0
		.amdhsa_private_segment_fixed_size 0
		.amdhsa_kernarg_size 144
		.amdhsa_user_sgpr_count 15
		.amdhsa_user_sgpr_dispatch_ptr 0
		.amdhsa_user_sgpr_queue_ptr 0
		.amdhsa_user_sgpr_kernarg_segment_ptr 1
		.amdhsa_user_sgpr_dispatch_id 0
		.amdhsa_user_sgpr_private_segment_size 0
		.amdhsa_wavefront_size32 1
		.amdhsa_uses_dynamic_stack 0
		.amdhsa_enable_private_segment 0
		.amdhsa_system_sgpr_workgroup_id_x 1
		.amdhsa_system_sgpr_workgroup_id_y 0
		.amdhsa_system_sgpr_workgroup_id_z 0
		.amdhsa_system_sgpr_workgroup_info 0
		.amdhsa_system_vgpr_workitem_id 0
		.amdhsa_next_free_vgpr 1
		.amdhsa_next_free_sgpr 1
		.amdhsa_reserve_vcc 0
		.amdhsa_float_round_mode_32 0
		.amdhsa_float_round_mode_16_64 0
		.amdhsa_float_denorm_mode_32 3
		.amdhsa_float_denorm_mode_16_64 3
		.amdhsa_dx10_clamp 1
		.amdhsa_ieee_mode 1
		.amdhsa_fp16_overflow 0
		.amdhsa_workgroup_processor_mode 1
		.amdhsa_memory_ordered 1
		.amdhsa_forward_progress 0
		.amdhsa_shared_vgpr_count 0
		.amdhsa_exception_fp_ieee_invalid_op 0
		.amdhsa_exception_fp_denorm_src 0
		.amdhsa_exception_fp_ieee_div_zero 0
		.amdhsa_exception_fp_ieee_overflow 0
		.amdhsa_exception_fp_ieee_underflow 0
		.amdhsa_exception_fp_ieee_inexact 0
		.amdhsa_exception_int_div_zero 0
	.end_amdhsa_kernel
	.section	.text._ZN7rocprim17ROCPRIM_400000_NS6detail17trampoline_kernelINS0_14default_configENS1_29reduce_by_key_config_selectorIjyN6thrust23THRUST_200600_302600_NS4plusIyEEEEZZNS1_33reduce_by_key_impl_wrapped_configILNS1_25lookback_scan_determinismE0ES3_S9_NS6_6detail15normal_iteratorINS6_10device_ptrIjEEEENSD_INSE_IyEEEENS6_16discard_iteratorINS6_11use_defaultEEESI_PmS8_NS6_8equal_toIjEEEE10hipError_tPvRmT2_T3_mT4_T5_T6_T7_T8_P12ihipStream_tbENKUlT_T0_E_clISt17integral_constantIbLb0EES15_IbLb1EEEEDaS11_S12_EUlS11_E_NS1_11comp_targetILNS1_3genE5ELNS1_11target_archE942ELNS1_3gpuE9ELNS1_3repE0EEENS1_30default_config_static_selectorELNS0_4arch9wavefront6targetE0EEEvT1_,"axG",@progbits,_ZN7rocprim17ROCPRIM_400000_NS6detail17trampoline_kernelINS0_14default_configENS1_29reduce_by_key_config_selectorIjyN6thrust23THRUST_200600_302600_NS4plusIyEEEEZZNS1_33reduce_by_key_impl_wrapped_configILNS1_25lookback_scan_determinismE0ES3_S9_NS6_6detail15normal_iteratorINS6_10device_ptrIjEEEENSD_INSE_IyEEEENS6_16discard_iteratorINS6_11use_defaultEEESI_PmS8_NS6_8equal_toIjEEEE10hipError_tPvRmT2_T3_mT4_T5_T6_T7_T8_P12ihipStream_tbENKUlT_T0_E_clISt17integral_constantIbLb0EES15_IbLb1EEEEDaS11_S12_EUlS11_E_NS1_11comp_targetILNS1_3genE5ELNS1_11target_archE942ELNS1_3gpuE9ELNS1_3repE0EEENS1_30default_config_static_selectorELNS0_4arch9wavefront6targetE0EEEvT1_,comdat
.Lfunc_end905:
	.size	_ZN7rocprim17ROCPRIM_400000_NS6detail17trampoline_kernelINS0_14default_configENS1_29reduce_by_key_config_selectorIjyN6thrust23THRUST_200600_302600_NS4plusIyEEEEZZNS1_33reduce_by_key_impl_wrapped_configILNS1_25lookback_scan_determinismE0ES3_S9_NS6_6detail15normal_iteratorINS6_10device_ptrIjEEEENSD_INSE_IyEEEENS6_16discard_iteratorINS6_11use_defaultEEESI_PmS8_NS6_8equal_toIjEEEE10hipError_tPvRmT2_T3_mT4_T5_T6_T7_T8_P12ihipStream_tbENKUlT_T0_E_clISt17integral_constantIbLb0EES15_IbLb1EEEEDaS11_S12_EUlS11_E_NS1_11comp_targetILNS1_3genE5ELNS1_11target_archE942ELNS1_3gpuE9ELNS1_3repE0EEENS1_30default_config_static_selectorELNS0_4arch9wavefront6targetE0EEEvT1_, .Lfunc_end905-_ZN7rocprim17ROCPRIM_400000_NS6detail17trampoline_kernelINS0_14default_configENS1_29reduce_by_key_config_selectorIjyN6thrust23THRUST_200600_302600_NS4plusIyEEEEZZNS1_33reduce_by_key_impl_wrapped_configILNS1_25lookback_scan_determinismE0ES3_S9_NS6_6detail15normal_iteratorINS6_10device_ptrIjEEEENSD_INSE_IyEEEENS6_16discard_iteratorINS6_11use_defaultEEESI_PmS8_NS6_8equal_toIjEEEE10hipError_tPvRmT2_T3_mT4_T5_T6_T7_T8_P12ihipStream_tbENKUlT_T0_E_clISt17integral_constantIbLb0EES15_IbLb1EEEEDaS11_S12_EUlS11_E_NS1_11comp_targetILNS1_3genE5ELNS1_11target_archE942ELNS1_3gpuE9ELNS1_3repE0EEENS1_30default_config_static_selectorELNS0_4arch9wavefront6targetE0EEEvT1_
                                        ; -- End function
	.section	.AMDGPU.csdata,"",@progbits
; Kernel info:
; codeLenInByte = 0
; NumSgprs: 0
; NumVgprs: 0
; ScratchSize: 0
; MemoryBound: 0
; FloatMode: 240
; IeeeMode: 1
; LDSByteSize: 0 bytes/workgroup (compile time only)
; SGPRBlocks: 0
; VGPRBlocks: 0
; NumSGPRsForWavesPerEU: 1
; NumVGPRsForWavesPerEU: 1
; Occupancy: 16
; WaveLimiterHint : 0
; COMPUTE_PGM_RSRC2:SCRATCH_EN: 0
; COMPUTE_PGM_RSRC2:USER_SGPR: 15
; COMPUTE_PGM_RSRC2:TRAP_HANDLER: 0
; COMPUTE_PGM_RSRC2:TGID_X_EN: 1
; COMPUTE_PGM_RSRC2:TGID_Y_EN: 0
; COMPUTE_PGM_RSRC2:TGID_Z_EN: 0
; COMPUTE_PGM_RSRC2:TIDIG_COMP_CNT: 0
	.section	.text._ZN7rocprim17ROCPRIM_400000_NS6detail17trampoline_kernelINS0_14default_configENS1_29reduce_by_key_config_selectorIjyN6thrust23THRUST_200600_302600_NS4plusIyEEEEZZNS1_33reduce_by_key_impl_wrapped_configILNS1_25lookback_scan_determinismE0ES3_S9_NS6_6detail15normal_iteratorINS6_10device_ptrIjEEEENSD_INSE_IyEEEENS6_16discard_iteratorINS6_11use_defaultEEESI_PmS8_NS6_8equal_toIjEEEE10hipError_tPvRmT2_T3_mT4_T5_T6_T7_T8_P12ihipStream_tbENKUlT_T0_E_clISt17integral_constantIbLb0EES15_IbLb1EEEEDaS11_S12_EUlS11_E_NS1_11comp_targetILNS1_3genE4ELNS1_11target_archE910ELNS1_3gpuE8ELNS1_3repE0EEENS1_30default_config_static_selectorELNS0_4arch9wavefront6targetE0EEEvT1_,"axG",@progbits,_ZN7rocprim17ROCPRIM_400000_NS6detail17trampoline_kernelINS0_14default_configENS1_29reduce_by_key_config_selectorIjyN6thrust23THRUST_200600_302600_NS4plusIyEEEEZZNS1_33reduce_by_key_impl_wrapped_configILNS1_25lookback_scan_determinismE0ES3_S9_NS6_6detail15normal_iteratorINS6_10device_ptrIjEEEENSD_INSE_IyEEEENS6_16discard_iteratorINS6_11use_defaultEEESI_PmS8_NS6_8equal_toIjEEEE10hipError_tPvRmT2_T3_mT4_T5_T6_T7_T8_P12ihipStream_tbENKUlT_T0_E_clISt17integral_constantIbLb0EES15_IbLb1EEEEDaS11_S12_EUlS11_E_NS1_11comp_targetILNS1_3genE4ELNS1_11target_archE910ELNS1_3gpuE8ELNS1_3repE0EEENS1_30default_config_static_selectorELNS0_4arch9wavefront6targetE0EEEvT1_,comdat
	.protected	_ZN7rocprim17ROCPRIM_400000_NS6detail17trampoline_kernelINS0_14default_configENS1_29reduce_by_key_config_selectorIjyN6thrust23THRUST_200600_302600_NS4plusIyEEEEZZNS1_33reduce_by_key_impl_wrapped_configILNS1_25lookback_scan_determinismE0ES3_S9_NS6_6detail15normal_iteratorINS6_10device_ptrIjEEEENSD_INSE_IyEEEENS6_16discard_iteratorINS6_11use_defaultEEESI_PmS8_NS6_8equal_toIjEEEE10hipError_tPvRmT2_T3_mT4_T5_T6_T7_T8_P12ihipStream_tbENKUlT_T0_E_clISt17integral_constantIbLb0EES15_IbLb1EEEEDaS11_S12_EUlS11_E_NS1_11comp_targetILNS1_3genE4ELNS1_11target_archE910ELNS1_3gpuE8ELNS1_3repE0EEENS1_30default_config_static_selectorELNS0_4arch9wavefront6targetE0EEEvT1_ ; -- Begin function _ZN7rocprim17ROCPRIM_400000_NS6detail17trampoline_kernelINS0_14default_configENS1_29reduce_by_key_config_selectorIjyN6thrust23THRUST_200600_302600_NS4plusIyEEEEZZNS1_33reduce_by_key_impl_wrapped_configILNS1_25lookback_scan_determinismE0ES3_S9_NS6_6detail15normal_iteratorINS6_10device_ptrIjEEEENSD_INSE_IyEEEENS6_16discard_iteratorINS6_11use_defaultEEESI_PmS8_NS6_8equal_toIjEEEE10hipError_tPvRmT2_T3_mT4_T5_T6_T7_T8_P12ihipStream_tbENKUlT_T0_E_clISt17integral_constantIbLb0EES15_IbLb1EEEEDaS11_S12_EUlS11_E_NS1_11comp_targetILNS1_3genE4ELNS1_11target_archE910ELNS1_3gpuE8ELNS1_3repE0EEENS1_30default_config_static_selectorELNS0_4arch9wavefront6targetE0EEEvT1_
	.globl	_ZN7rocprim17ROCPRIM_400000_NS6detail17trampoline_kernelINS0_14default_configENS1_29reduce_by_key_config_selectorIjyN6thrust23THRUST_200600_302600_NS4plusIyEEEEZZNS1_33reduce_by_key_impl_wrapped_configILNS1_25lookback_scan_determinismE0ES3_S9_NS6_6detail15normal_iteratorINS6_10device_ptrIjEEEENSD_INSE_IyEEEENS6_16discard_iteratorINS6_11use_defaultEEESI_PmS8_NS6_8equal_toIjEEEE10hipError_tPvRmT2_T3_mT4_T5_T6_T7_T8_P12ihipStream_tbENKUlT_T0_E_clISt17integral_constantIbLb0EES15_IbLb1EEEEDaS11_S12_EUlS11_E_NS1_11comp_targetILNS1_3genE4ELNS1_11target_archE910ELNS1_3gpuE8ELNS1_3repE0EEENS1_30default_config_static_selectorELNS0_4arch9wavefront6targetE0EEEvT1_
	.p2align	8
	.type	_ZN7rocprim17ROCPRIM_400000_NS6detail17trampoline_kernelINS0_14default_configENS1_29reduce_by_key_config_selectorIjyN6thrust23THRUST_200600_302600_NS4plusIyEEEEZZNS1_33reduce_by_key_impl_wrapped_configILNS1_25lookback_scan_determinismE0ES3_S9_NS6_6detail15normal_iteratorINS6_10device_ptrIjEEEENSD_INSE_IyEEEENS6_16discard_iteratorINS6_11use_defaultEEESI_PmS8_NS6_8equal_toIjEEEE10hipError_tPvRmT2_T3_mT4_T5_T6_T7_T8_P12ihipStream_tbENKUlT_T0_E_clISt17integral_constantIbLb0EES15_IbLb1EEEEDaS11_S12_EUlS11_E_NS1_11comp_targetILNS1_3genE4ELNS1_11target_archE910ELNS1_3gpuE8ELNS1_3repE0EEENS1_30default_config_static_selectorELNS0_4arch9wavefront6targetE0EEEvT1_,@function
_ZN7rocprim17ROCPRIM_400000_NS6detail17trampoline_kernelINS0_14default_configENS1_29reduce_by_key_config_selectorIjyN6thrust23THRUST_200600_302600_NS4plusIyEEEEZZNS1_33reduce_by_key_impl_wrapped_configILNS1_25lookback_scan_determinismE0ES3_S9_NS6_6detail15normal_iteratorINS6_10device_ptrIjEEEENSD_INSE_IyEEEENS6_16discard_iteratorINS6_11use_defaultEEESI_PmS8_NS6_8equal_toIjEEEE10hipError_tPvRmT2_T3_mT4_T5_T6_T7_T8_P12ihipStream_tbENKUlT_T0_E_clISt17integral_constantIbLb0EES15_IbLb1EEEEDaS11_S12_EUlS11_E_NS1_11comp_targetILNS1_3genE4ELNS1_11target_archE910ELNS1_3gpuE8ELNS1_3repE0EEENS1_30default_config_static_selectorELNS0_4arch9wavefront6targetE0EEEvT1_: ; @_ZN7rocprim17ROCPRIM_400000_NS6detail17trampoline_kernelINS0_14default_configENS1_29reduce_by_key_config_selectorIjyN6thrust23THRUST_200600_302600_NS4plusIyEEEEZZNS1_33reduce_by_key_impl_wrapped_configILNS1_25lookback_scan_determinismE0ES3_S9_NS6_6detail15normal_iteratorINS6_10device_ptrIjEEEENSD_INSE_IyEEEENS6_16discard_iteratorINS6_11use_defaultEEESI_PmS8_NS6_8equal_toIjEEEE10hipError_tPvRmT2_T3_mT4_T5_T6_T7_T8_P12ihipStream_tbENKUlT_T0_E_clISt17integral_constantIbLb0EES15_IbLb1EEEEDaS11_S12_EUlS11_E_NS1_11comp_targetILNS1_3genE4ELNS1_11target_archE910ELNS1_3gpuE8ELNS1_3repE0EEENS1_30default_config_static_selectorELNS0_4arch9wavefront6targetE0EEEvT1_
; %bb.0:
	.section	.rodata,"a",@progbits
	.p2align	6, 0x0
	.amdhsa_kernel _ZN7rocprim17ROCPRIM_400000_NS6detail17trampoline_kernelINS0_14default_configENS1_29reduce_by_key_config_selectorIjyN6thrust23THRUST_200600_302600_NS4plusIyEEEEZZNS1_33reduce_by_key_impl_wrapped_configILNS1_25lookback_scan_determinismE0ES3_S9_NS6_6detail15normal_iteratorINS6_10device_ptrIjEEEENSD_INSE_IyEEEENS6_16discard_iteratorINS6_11use_defaultEEESI_PmS8_NS6_8equal_toIjEEEE10hipError_tPvRmT2_T3_mT4_T5_T6_T7_T8_P12ihipStream_tbENKUlT_T0_E_clISt17integral_constantIbLb0EES15_IbLb1EEEEDaS11_S12_EUlS11_E_NS1_11comp_targetILNS1_3genE4ELNS1_11target_archE910ELNS1_3gpuE8ELNS1_3repE0EEENS1_30default_config_static_selectorELNS0_4arch9wavefront6targetE0EEEvT1_
		.amdhsa_group_segment_fixed_size 0
		.amdhsa_private_segment_fixed_size 0
		.amdhsa_kernarg_size 144
		.amdhsa_user_sgpr_count 15
		.amdhsa_user_sgpr_dispatch_ptr 0
		.amdhsa_user_sgpr_queue_ptr 0
		.amdhsa_user_sgpr_kernarg_segment_ptr 1
		.amdhsa_user_sgpr_dispatch_id 0
		.amdhsa_user_sgpr_private_segment_size 0
		.amdhsa_wavefront_size32 1
		.amdhsa_uses_dynamic_stack 0
		.amdhsa_enable_private_segment 0
		.amdhsa_system_sgpr_workgroup_id_x 1
		.amdhsa_system_sgpr_workgroup_id_y 0
		.amdhsa_system_sgpr_workgroup_id_z 0
		.amdhsa_system_sgpr_workgroup_info 0
		.amdhsa_system_vgpr_workitem_id 0
		.amdhsa_next_free_vgpr 1
		.amdhsa_next_free_sgpr 1
		.amdhsa_reserve_vcc 0
		.amdhsa_float_round_mode_32 0
		.amdhsa_float_round_mode_16_64 0
		.amdhsa_float_denorm_mode_32 3
		.amdhsa_float_denorm_mode_16_64 3
		.amdhsa_dx10_clamp 1
		.amdhsa_ieee_mode 1
		.amdhsa_fp16_overflow 0
		.amdhsa_workgroup_processor_mode 1
		.amdhsa_memory_ordered 1
		.amdhsa_forward_progress 0
		.amdhsa_shared_vgpr_count 0
		.amdhsa_exception_fp_ieee_invalid_op 0
		.amdhsa_exception_fp_denorm_src 0
		.amdhsa_exception_fp_ieee_div_zero 0
		.amdhsa_exception_fp_ieee_overflow 0
		.amdhsa_exception_fp_ieee_underflow 0
		.amdhsa_exception_fp_ieee_inexact 0
		.amdhsa_exception_int_div_zero 0
	.end_amdhsa_kernel
	.section	.text._ZN7rocprim17ROCPRIM_400000_NS6detail17trampoline_kernelINS0_14default_configENS1_29reduce_by_key_config_selectorIjyN6thrust23THRUST_200600_302600_NS4plusIyEEEEZZNS1_33reduce_by_key_impl_wrapped_configILNS1_25lookback_scan_determinismE0ES3_S9_NS6_6detail15normal_iteratorINS6_10device_ptrIjEEEENSD_INSE_IyEEEENS6_16discard_iteratorINS6_11use_defaultEEESI_PmS8_NS6_8equal_toIjEEEE10hipError_tPvRmT2_T3_mT4_T5_T6_T7_T8_P12ihipStream_tbENKUlT_T0_E_clISt17integral_constantIbLb0EES15_IbLb1EEEEDaS11_S12_EUlS11_E_NS1_11comp_targetILNS1_3genE4ELNS1_11target_archE910ELNS1_3gpuE8ELNS1_3repE0EEENS1_30default_config_static_selectorELNS0_4arch9wavefront6targetE0EEEvT1_,"axG",@progbits,_ZN7rocprim17ROCPRIM_400000_NS6detail17trampoline_kernelINS0_14default_configENS1_29reduce_by_key_config_selectorIjyN6thrust23THRUST_200600_302600_NS4plusIyEEEEZZNS1_33reduce_by_key_impl_wrapped_configILNS1_25lookback_scan_determinismE0ES3_S9_NS6_6detail15normal_iteratorINS6_10device_ptrIjEEEENSD_INSE_IyEEEENS6_16discard_iteratorINS6_11use_defaultEEESI_PmS8_NS6_8equal_toIjEEEE10hipError_tPvRmT2_T3_mT4_T5_T6_T7_T8_P12ihipStream_tbENKUlT_T0_E_clISt17integral_constantIbLb0EES15_IbLb1EEEEDaS11_S12_EUlS11_E_NS1_11comp_targetILNS1_3genE4ELNS1_11target_archE910ELNS1_3gpuE8ELNS1_3repE0EEENS1_30default_config_static_selectorELNS0_4arch9wavefront6targetE0EEEvT1_,comdat
.Lfunc_end906:
	.size	_ZN7rocprim17ROCPRIM_400000_NS6detail17trampoline_kernelINS0_14default_configENS1_29reduce_by_key_config_selectorIjyN6thrust23THRUST_200600_302600_NS4plusIyEEEEZZNS1_33reduce_by_key_impl_wrapped_configILNS1_25lookback_scan_determinismE0ES3_S9_NS6_6detail15normal_iteratorINS6_10device_ptrIjEEEENSD_INSE_IyEEEENS6_16discard_iteratorINS6_11use_defaultEEESI_PmS8_NS6_8equal_toIjEEEE10hipError_tPvRmT2_T3_mT4_T5_T6_T7_T8_P12ihipStream_tbENKUlT_T0_E_clISt17integral_constantIbLb0EES15_IbLb1EEEEDaS11_S12_EUlS11_E_NS1_11comp_targetILNS1_3genE4ELNS1_11target_archE910ELNS1_3gpuE8ELNS1_3repE0EEENS1_30default_config_static_selectorELNS0_4arch9wavefront6targetE0EEEvT1_, .Lfunc_end906-_ZN7rocprim17ROCPRIM_400000_NS6detail17trampoline_kernelINS0_14default_configENS1_29reduce_by_key_config_selectorIjyN6thrust23THRUST_200600_302600_NS4plusIyEEEEZZNS1_33reduce_by_key_impl_wrapped_configILNS1_25lookback_scan_determinismE0ES3_S9_NS6_6detail15normal_iteratorINS6_10device_ptrIjEEEENSD_INSE_IyEEEENS6_16discard_iteratorINS6_11use_defaultEEESI_PmS8_NS6_8equal_toIjEEEE10hipError_tPvRmT2_T3_mT4_T5_T6_T7_T8_P12ihipStream_tbENKUlT_T0_E_clISt17integral_constantIbLb0EES15_IbLb1EEEEDaS11_S12_EUlS11_E_NS1_11comp_targetILNS1_3genE4ELNS1_11target_archE910ELNS1_3gpuE8ELNS1_3repE0EEENS1_30default_config_static_selectorELNS0_4arch9wavefront6targetE0EEEvT1_
                                        ; -- End function
	.section	.AMDGPU.csdata,"",@progbits
; Kernel info:
; codeLenInByte = 0
; NumSgprs: 0
; NumVgprs: 0
; ScratchSize: 0
; MemoryBound: 0
; FloatMode: 240
; IeeeMode: 1
; LDSByteSize: 0 bytes/workgroup (compile time only)
; SGPRBlocks: 0
; VGPRBlocks: 0
; NumSGPRsForWavesPerEU: 1
; NumVGPRsForWavesPerEU: 1
; Occupancy: 16
; WaveLimiterHint : 0
; COMPUTE_PGM_RSRC2:SCRATCH_EN: 0
; COMPUTE_PGM_RSRC2:USER_SGPR: 15
; COMPUTE_PGM_RSRC2:TRAP_HANDLER: 0
; COMPUTE_PGM_RSRC2:TGID_X_EN: 1
; COMPUTE_PGM_RSRC2:TGID_Y_EN: 0
; COMPUTE_PGM_RSRC2:TGID_Z_EN: 0
; COMPUTE_PGM_RSRC2:TIDIG_COMP_CNT: 0
	.section	.text._ZN7rocprim17ROCPRIM_400000_NS6detail17trampoline_kernelINS0_14default_configENS1_29reduce_by_key_config_selectorIjyN6thrust23THRUST_200600_302600_NS4plusIyEEEEZZNS1_33reduce_by_key_impl_wrapped_configILNS1_25lookback_scan_determinismE0ES3_S9_NS6_6detail15normal_iteratorINS6_10device_ptrIjEEEENSD_INSE_IyEEEENS6_16discard_iteratorINS6_11use_defaultEEESI_PmS8_NS6_8equal_toIjEEEE10hipError_tPvRmT2_T3_mT4_T5_T6_T7_T8_P12ihipStream_tbENKUlT_T0_E_clISt17integral_constantIbLb0EES15_IbLb1EEEEDaS11_S12_EUlS11_E_NS1_11comp_targetILNS1_3genE3ELNS1_11target_archE908ELNS1_3gpuE7ELNS1_3repE0EEENS1_30default_config_static_selectorELNS0_4arch9wavefront6targetE0EEEvT1_,"axG",@progbits,_ZN7rocprim17ROCPRIM_400000_NS6detail17trampoline_kernelINS0_14default_configENS1_29reduce_by_key_config_selectorIjyN6thrust23THRUST_200600_302600_NS4plusIyEEEEZZNS1_33reduce_by_key_impl_wrapped_configILNS1_25lookback_scan_determinismE0ES3_S9_NS6_6detail15normal_iteratorINS6_10device_ptrIjEEEENSD_INSE_IyEEEENS6_16discard_iteratorINS6_11use_defaultEEESI_PmS8_NS6_8equal_toIjEEEE10hipError_tPvRmT2_T3_mT4_T5_T6_T7_T8_P12ihipStream_tbENKUlT_T0_E_clISt17integral_constantIbLb0EES15_IbLb1EEEEDaS11_S12_EUlS11_E_NS1_11comp_targetILNS1_3genE3ELNS1_11target_archE908ELNS1_3gpuE7ELNS1_3repE0EEENS1_30default_config_static_selectorELNS0_4arch9wavefront6targetE0EEEvT1_,comdat
	.protected	_ZN7rocprim17ROCPRIM_400000_NS6detail17trampoline_kernelINS0_14default_configENS1_29reduce_by_key_config_selectorIjyN6thrust23THRUST_200600_302600_NS4plusIyEEEEZZNS1_33reduce_by_key_impl_wrapped_configILNS1_25lookback_scan_determinismE0ES3_S9_NS6_6detail15normal_iteratorINS6_10device_ptrIjEEEENSD_INSE_IyEEEENS6_16discard_iteratorINS6_11use_defaultEEESI_PmS8_NS6_8equal_toIjEEEE10hipError_tPvRmT2_T3_mT4_T5_T6_T7_T8_P12ihipStream_tbENKUlT_T0_E_clISt17integral_constantIbLb0EES15_IbLb1EEEEDaS11_S12_EUlS11_E_NS1_11comp_targetILNS1_3genE3ELNS1_11target_archE908ELNS1_3gpuE7ELNS1_3repE0EEENS1_30default_config_static_selectorELNS0_4arch9wavefront6targetE0EEEvT1_ ; -- Begin function _ZN7rocprim17ROCPRIM_400000_NS6detail17trampoline_kernelINS0_14default_configENS1_29reduce_by_key_config_selectorIjyN6thrust23THRUST_200600_302600_NS4plusIyEEEEZZNS1_33reduce_by_key_impl_wrapped_configILNS1_25lookback_scan_determinismE0ES3_S9_NS6_6detail15normal_iteratorINS6_10device_ptrIjEEEENSD_INSE_IyEEEENS6_16discard_iteratorINS6_11use_defaultEEESI_PmS8_NS6_8equal_toIjEEEE10hipError_tPvRmT2_T3_mT4_T5_T6_T7_T8_P12ihipStream_tbENKUlT_T0_E_clISt17integral_constantIbLb0EES15_IbLb1EEEEDaS11_S12_EUlS11_E_NS1_11comp_targetILNS1_3genE3ELNS1_11target_archE908ELNS1_3gpuE7ELNS1_3repE0EEENS1_30default_config_static_selectorELNS0_4arch9wavefront6targetE0EEEvT1_
	.globl	_ZN7rocprim17ROCPRIM_400000_NS6detail17trampoline_kernelINS0_14default_configENS1_29reduce_by_key_config_selectorIjyN6thrust23THRUST_200600_302600_NS4plusIyEEEEZZNS1_33reduce_by_key_impl_wrapped_configILNS1_25lookback_scan_determinismE0ES3_S9_NS6_6detail15normal_iteratorINS6_10device_ptrIjEEEENSD_INSE_IyEEEENS6_16discard_iteratorINS6_11use_defaultEEESI_PmS8_NS6_8equal_toIjEEEE10hipError_tPvRmT2_T3_mT4_T5_T6_T7_T8_P12ihipStream_tbENKUlT_T0_E_clISt17integral_constantIbLb0EES15_IbLb1EEEEDaS11_S12_EUlS11_E_NS1_11comp_targetILNS1_3genE3ELNS1_11target_archE908ELNS1_3gpuE7ELNS1_3repE0EEENS1_30default_config_static_selectorELNS0_4arch9wavefront6targetE0EEEvT1_
	.p2align	8
	.type	_ZN7rocprim17ROCPRIM_400000_NS6detail17trampoline_kernelINS0_14default_configENS1_29reduce_by_key_config_selectorIjyN6thrust23THRUST_200600_302600_NS4plusIyEEEEZZNS1_33reduce_by_key_impl_wrapped_configILNS1_25lookback_scan_determinismE0ES3_S9_NS6_6detail15normal_iteratorINS6_10device_ptrIjEEEENSD_INSE_IyEEEENS6_16discard_iteratorINS6_11use_defaultEEESI_PmS8_NS6_8equal_toIjEEEE10hipError_tPvRmT2_T3_mT4_T5_T6_T7_T8_P12ihipStream_tbENKUlT_T0_E_clISt17integral_constantIbLb0EES15_IbLb1EEEEDaS11_S12_EUlS11_E_NS1_11comp_targetILNS1_3genE3ELNS1_11target_archE908ELNS1_3gpuE7ELNS1_3repE0EEENS1_30default_config_static_selectorELNS0_4arch9wavefront6targetE0EEEvT1_,@function
_ZN7rocprim17ROCPRIM_400000_NS6detail17trampoline_kernelINS0_14default_configENS1_29reduce_by_key_config_selectorIjyN6thrust23THRUST_200600_302600_NS4plusIyEEEEZZNS1_33reduce_by_key_impl_wrapped_configILNS1_25lookback_scan_determinismE0ES3_S9_NS6_6detail15normal_iteratorINS6_10device_ptrIjEEEENSD_INSE_IyEEEENS6_16discard_iteratorINS6_11use_defaultEEESI_PmS8_NS6_8equal_toIjEEEE10hipError_tPvRmT2_T3_mT4_T5_T6_T7_T8_P12ihipStream_tbENKUlT_T0_E_clISt17integral_constantIbLb0EES15_IbLb1EEEEDaS11_S12_EUlS11_E_NS1_11comp_targetILNS1_3genE3ELNS1_11target_archE908ELNS1_3gpuE7ELNS1_3repE0EEENS1_30default_config_static_selectorELNS0_4arch9wavefront6targetE0EEEvT1_: ; @_ZN7rocprim17ROCPRIM_400000_NS6detail17trampoline_kernelINS0_14default_configENS1_29reduce_by_key_config_selectorIjyN6thrust23THRUST_200600_302600_NS4plusIyEEEEZZNS1_33reduce_by_key_impl_wrapped_configILNS1_25lookback_scan_determinismE0ES3_S9_NS6_6detail15normal_iteratorINS6_10device_ptrIjEEEENSD_INSE_IyEEEENS6_16discard_iteratorINS6_11use_defaultEEESI_PmS8_NS6_8equal_toIjEEEE10hipError_tPvRmT2_T3_mT4_T5_T6_T7_T8_P12ihipStream_tbENKUlT_T0_E_clISt17integral_constantIbLb0EES15_IbLb1EEEEDaS11_S12_EUlS11_E_NS1_11comp_targetILNS1_3genE3ELNS1_11target_archE908ELNS1_3gpuE7ELNS1_3repE0EEENS1_30default_config_static_selectorELNS0_4arch9wavefront6targetE0EEEvT1_
; %bb.0:
	.section	.rodata,"a",@progbits
	.p2align	6, 0x0
	.amdhsa_kernel _ZN7rocprim17ROCPRIM_400000_NS6detail17trampoline_kernelINS0_14default_configENS1_29reduce_by_key_config_selectorIjyN6thrust23THRUST_200600_302600_NS4plusIyEEEEZZNS1_33reduce_by_key_impl_wrapped_configILNS1_25lookback_scan_determinismE0ES3_S9_NS6_6detail15normal_iteratorINS6_10device_ptrIjEEEENSD_INSE_IyEEEENS6_16discard_iteratorINS6_11use_defaultEEESI_PmS8_NS6_8equal_toIjEEEE10hipError_tPvRmT2_T3_mT4_T5_T6_T7_T8_P12ihipStream_tbENKUlT_T0_E_clISt17integral_constantIbLb0EES15_IbLb1EEEEDaS11_S12_EUlS11_E_NS1_11comp_targetILNS1_3genE3ELNS1_11target_archE908ELNS1_3gpuE7ELNS1_3repE0EEENS1_30default_config_static_selectorELNS0_4arch9wavefront6targetE0EEEvT1_
		.amdhsa_group_segment_fixed_size 0
		.amdhsa_private_segment_fixed_size 0
		.amdhsa_kernarg_size 144
		.amdhsa_user_sgpr_count 15
		.amdhsa_user_sgpr_dispatch_ptr 0
		.amdhsa_user_sgpr_queue_ptr 0
		.amdhsa_user_sgpr_kernarg_segment_ptr 1
		.amdhsa_user_sgpr_dispatch_id 0
		.amdhsa_user_sgpr_private_segment_size 0
		.amdhsa_wavefront_size32 1
		.amdhsa_uses_dynamic_stack 0
		.amdhsa_enable_private_segment 0
		.amdhsa_system_sgpr_workgroup_id_x 1
		.amdhsa_system_sgpr_workgroup_id_y 0
		.amdhsa_system_sgpr_workgroup_id_z 0
		.amdhsa_system_sgpr_workgroup_info 0
		.amdhsa_system_vgpr_workitem_id 0
		.amdhsa_next_free_vgpr 1
		.amdhsa_next_free_sgpr 1
		.amdhsa_reserve_vcc 0
		.amdhsa_float_round_mode_32 0
		.amdhsa_float_round_mode_16_64 0
		.amdhsa_float_denorm_mode_32 3
		.amdhsa_float_denorm_mode_16_64 3
		.amdhsa_dx10_clamp 1
		.amdhsa_ieee_mode 1
		.amdhsa_fp16_overflow 0
		.amdhsa_workgroup_processor_mode 1
		.amdhsa_memory_ordered 1
		.amdhsa_forward_progress 0
		.amdhsa_shared_vgpr_count 0
		.amdhsa_exception_fp_ieee_invalid_op 0
		.amdhsa_exception_fp_denorm_src 0
		.amdhsa_exception_fp_ieee_div_zero 0
		.amdhsa_exception_fp_ieee_overflow 0
		.amdhsa_exception_fp_ieee_underflow 0
		.amdhsa_exception_fp_ieee_inexact 0
		.amdhsa_exception_int_div_zero 0
	.end_amdhsa_kernel
	.section	.text._ZN7rocprim17ROCPRIM_400000_NS6detail17trampoline_kernelINS0_14default_configENS1_29reduce_by_key_config_selectorIjyN6thrust23THRUST_200600_302600_NS4plusIyEEEEZZNS1_33reduce_by_key_impl_wrapped_configILNS1_25lookback_scan_determinismE0ES3_S9_NS6_6detail15normal_iteratorINS6_10device_ptrIjEEEENSD_INSE_IyEEEENS6_16discard_iteratorINS6_11use_defaultEEESI_PmS8_NS6_8equal_toIjEEEE10hipError_tPvRmT2_T3_mT4_T5_T6_T7_T8_P12ihipStream_tbENKUlT_T0_E_clISt17integral_constantIbLb0EES15_IbLb1EEEEDaS11_S12_EUlS11_E_NS1_11comp_targetILNS1_3genE3ELNS1_11target_archE908ELNS1_3gpuE7ELNS1_3repE0EEENS1_30default_config_static_selectorELNS0_4arch9wavefront6targetE0EEEvT1_,"axG",@progbits,_ZN7rocprim17ROCPRIM_400000_NS6detail17trampoline_kernelINS0_14default_configENS1_29reduce_by_key_config_selectorIjyN6thrust23THRUST_200600_302600_NS4plusIyEEEEZZNS1_33reduce_by_key_impl_wrapped_configILNS1_25lookback_scan_determinismE0ES3_S9_NS6_6detail15normal_iteratorINS6_10device_ptrIjEEEENSD_INSE_IyEEEENS6_16discard_iteratorINS6_11use_defaultEEESI_PmS8_NS6_8equal_toIjEEEE10hipError_tPvRmT2_T3_mT4_T5_T6_T7_T8_P12ihipStream_tbENKUlT_T0_E_clISt17integral_constantIbLb0EES15_IbLb1EEEEDaS11_S12_EUlS11_E_NS1_11comp_targetILNS1_3genE3ELNS1_11target_archE908ELNS1_3gpuE7ELNS1_3repE0EEENS1_30default_config_static_selectorELNS0_4arch9wavefront6targetE0EEEvT1_,comdat
.Lfunc_end907:
	.size	_ZN7rocprim17ROCPRIM_400000_NS6detail17trampoline_kernelINS0_14default_configENS1_29reduce_by_key_config_selectorIjyN6thrust23THRUST_200600_302600_NS4plusIyEEEEZZNS1_33reduce_by_key_impl_wrapped_configILNS1_25lookback_scan_determinismE0ES3_S9_NS6_6detail15normal_iteratorINS6_10device_ptrIjEEEENSD_INSE_IyEEEENS6_16discard_iteratorINS6_11use_defaultEEESI_PmS8_NS6_8equal_toIjEEEE10hipError_tPvRmT2_T3_mT4_T5_T6_T7_T8_P12ihipStream_tbENKUlT_T0_E_clISt17integral_constantIbLb0EES15_IbLb1EEEEDaS11_S12_EUlS11_E_NS1_11comp_targetILNS1_3genE3ELNS1_11target_archE908ELNS1_3gpuE7ELNS1_3repE0EEENS1_30default_config_static_selectorELNS0_4arch9wavefront6targetE0EEEvT1_, .Lfunc_end907-_ZN7rocprim17ROCPRIM_400000_NS6detail17trampoline_kernelINS0_14default_configENS1_29reduce_by_key_config_selectorIjyN6thrust23THRUST_200600_302600_NS4plusIyEEEEZZNS1_33reduce_by_key_impl_wrapped_configILNS1_25lookback_scan_determinismE0ES3_S9_NS6_6detail15normal_iteratorINS6_10device_ptrIjEEEENSD_INSE_IyEEEENS6_16discard_iteratorINS6_11use_defaultEEESI_PmS8_NS6_8equal_toIjEEEE10hipError_tPvRmT2_T3_mT4_T5_T6_T7_T8_P12ihipStream_tbENKUlT_T0_E_clISt17integral_constantIbLb0EES15_IbLb1EEEEDaS11_S12_EUlS11_E_NS1_11comp_targetILNS1_3genE3ELNS1_11target_archE908ELNS1_3gpuE7ELNS1_3repE0EEENS1_30default_config_static_selectorELNS0_4arch9wavefront6targetE0EEEvT1_
                                        ; -- End function
	.section	.AMDGPU.csdata,"",@progbits
; Kernel info:
; codeLenInByte = 0
; NumSgprs: 0
; NumVgprs: 0
; ScratchSize: 0
; MemoryBound: 0
; FloatMode: 240
; IeeeMode: 1
; LDSByteSize: 0 bytes/workgroup (compile time only)
; SGPRBlocks: 0
; VGPRBlocks: 0
; NumSGPRsForWavesPerEU: 1
; NumVGPRsForWavesPerEU: 1
; Occupancy: 16
; WaveLimiterHint : 0
; COMPUTE_PGM_RSRC2:SCRATCH_EN: 0
; COMPUTE_PGM_RSRC2:USER_SGPR: 15
; COMPUTE_PGM_RSRC2:TRAP_HANDLER: 0
; COMPUTE_PGM_RSRC2:TGID_X_EN: 1
; COMPUTE_PGM_RSRC2:TGID_Y_EN: 0
; COMPUTE_PGM_RSRC2:TGID_Z_EN: 0
; COMPUTE_PGM_RSRC2:TIDIG_COMP_CNT: 0
	.section	.text._ZN7rocprim17ROCPRIM_400000_NS6detail17trampoline_kernelINS0_14default_configENS1_29reduce_by_key_config_selectorIjyN6thrust23THRUST_200600_302600_NS4plusIyEEEEZZNS1_33reduce_by_key_impl_wrapped_configILNS1_25lookback_scan_determinismE0ES3_S9_NS6_6detail15normal_iteratorINS6_10device_ptrIjEEEENSD_INSE_IyEEEENS6_16discard_iteratorINS6_11use_defaultEEESI_PmS8_NS6_8equal_toIjEEEE10hipError_tPvRmT2_T3_mT4_T5_T6_T7_T8_P12ihipStream_tbENKUlT_T0_E_clISt17integral_constantIbLb0EES15_IbLb1EEEEDaS11_S12_EUlS11_E_NS1_11comp_targetILNS1_3genE2ELNS1_11target_archE906ELNS1_3gpuE6ELNS1_3repE0EEENS1_30default_config_static_selectorELNS0_4arch9wavefront6targetE0EEEvT1_,"axG",@progbits,_ZN7rocprim17ROCPRIM_400000_NS6detail17trampoline_kernelINS0_14default_configENS1_29reduce_by_key_config_selectorIjyN6thrust23THRUST_200600_302600_NS4plusIyEEEEZZNS1_33reduce_by_key_impl_wrapped_configILNS1_25lookback_scan_determinismE0ES3_S9_NS6_6detail15normal_iteratorINS6_10device_ptrIjEEEENSD_INSE_IyEEEENS6_16discard_iteratorINS6_11use_defaultEEESI_PmS8_NS6_8equal_toIjEEEE10hipError_tPvRmT2_T3_mT4_T5_T6_T7_T8_P12ihipStream_tbENKUlT_T0_E_clISt17integral_constantIbLb0EES15_IbLb1EEEEDaS11_S12_EUlS11_E_NS1_11comp_targetILNS1_3genE2ELNS1_11target_archE906ELNS1_3gpuE6ELNS1_3repE0EEENS1_30default_config_static_selectorELNS0_4arch9wavefront6targetE0EEEvT1_,comdat
	.protected	_ZN7rocprim17ROCPRIM_400000_NS6detail17trampoline_kernelINS0_14default_configENS1_29reduce_by_key_config_selectorIjyN6thrust23THRUST_200600_302600_NS4plusIyEEEEZZNS1_33reduce_by_key_impl_wrapped_configILNS1_25lookback_scan_determinismE0ES3_S9_NS6_6detail15normal_iteratorINS6_10device_ptrIjEEEENSD_INSE_IyEEEENS6_16discard_iteratorINS6_11use_defaultEEESI_PmS8_NS6_8equal_toIjEEEE10hipError_tPvRmT2_T3_mT4_T5_T6_T7_T8_P12ihipStream_tbENKUlT_T0_E_clISt17integral_constantIbLb0EES15_IbLb1EEEEDaS11_S12_EUlS11_E_NS1_11comp_targetILNS1_3genE2ELNS1_11target_archE906ELNS1_3gpuE6ELNS1_3repE0EEENS1_30default_config_static_selectorELNS0_4arch9wavefront6targetE0EEEvT1_ ; -- Begin function _ZN7rocprim17ROCPRIM_400000_NS6detail17trampoline_kernelINS0_14default_configENS1_29reduce_by_key_config_selectorIjyN6thrust23THRUST_200600_302600_NS4plusIyEEEEZZNS1_33reduce_by_key_impl_wrapped_configILNS1_25lookback_scan_determinismE0ES3_S9_NS6_6detail15normal_iteratorINS6_10device_ptrIjEEEENSD_INSE_IyEEEENS6_16discard_iteratorINS6_11use_defaultEEESI_PmS8_NS6_8equal_toIjEEEE10hipError_tPvRmT2_T3_mT4_T5_T6_T7_T8_P12ihipStream_tbENKUlT_T0_E_clISt17integral_constantIbLb0EES15_IbLb1EEEEDaS11_S12_EUlS11_E_NS1_11comp_targetILNS1_3genE2ELNS1_11target_archE906ELNS1_3gpuE6ELNS1_3repE0EEENS1_30default_config_static_selectorELNS0_4arch9wavefront6targetE0EEEvT1_
	.globl	_ZN7rocprim17ROCPRIM_400000_NS6detail17trampoline_kernelINS0_14default_configENS1_29reduce_by_key_config_selectorIjyN6thrust23THRUST_200600_302600_NS4plusIyEEEEZZNS1_33reduce_by_key_impl_wrapped_configILNS1_25lookback_scan_determinismE0ES3_S9_NS6_6detail15normal_iteratorINS6_10device_ptrIjEEEENSD_INSE_IyEEEENS6_16discard_iteratorINS6_11use_defaultEEESI_PmS8_NS6_8equal_toIjEEEE10hipError_tPvRmT2_T3_mT4_T5_T6_T7_T8_P12ihipStream_tbENKUlT_T0_E_clISt17integral_constantIbLb0EES15_IbLb1EEEEDaS11_S12_EUlS11_E_NS1_11comp_targetILNS1_3genE2ELNS1_11target_archE906ELNS1_3gpuE6ELNS1_3repE0EEENS1_30default_config_static_selectorELNS0_4arch9wavefront6targetE0EEEvT1_
	.p2align	8
	.type	_ZN7rocprim17ROCPRIM_400000_NS6detail17trampoline_kernelINS0_14default_configENS1_29reduce_by_key_config_selectorIjyN6thrust23THRUST_200600_302600_NS4plusIyEEEEZZNS1_33reduce_by_key_impl_wrapped_configILNS1_25lookback_scan_determinismE0ES3_S9_NS6_6detail15normal_iteratorINS6_10device_ptrIjEEEENSD_INSE_IyEEEENS6_16discard_iteratorINS6_11use_defaultEEESI_PmS8_NS6_8equal_toIjEEEE10hipError_tPvRmT2_T3_mT4_T5_T6_T7_T8_P12ihipStream_tbENKUlT_T0_E_clISt17integral_constantIbLb0EES15_IbLb1EEEEDaS11_S12_EUlS11_E_NS1_11comp_targetILNS1_3genE2ELNS1_11target_archE906ELNS1_3gpuE6ELNS1_3repE0EEENS1_30default_config_static_selectorELNS0_4arch9wavefront6targetE0EEEvT1_,@function
_ZN7rocprim17ROCPRIM_400000_NS6detail17trampoline_kernelINS0_14default_configENS1_29reduce_by_key_config_selectorIjyN6thrust23THRUST_200600_302600_NS4plusIyEEEEZZNS1_33reduce_by_key_impl_wrapped_configILNS1_25lookback_scan_determinismE0ES3_S9_NS6_6detail15normal_iteratorINS6_10device_ptrIjEEEENSD_INSE_IyEEEENS6_16discard_iteratorINS6_11use_defaultEEESI_PmS8_NS6_8equal_toIjEEEE10hipError_tPvRmT2_T3_mT4_T5_T6_T7_T8_P12ihipStream_tbENKUlT_T0_E_clISt17integral_constantIbLb0EES15_IbLb1EEEEDaS11_S12_EUlS11_E_NS1_11comp_targetILNS1_3genE2ELNS1_11target_archE906ELNS1_3gpuE6ELNS1_3repE0EEENS1_30default_config_static_selectorELNS0_4arch9wavefront6targetE0EEEvT1_: ; @_ZN7rocprim17ROCPRIM_400000_NS6detail17trampoline_kernelINS0_14default_configENS1_29reduce_by_key_config_selectorIjyN6thrust23THRUST_200600_302600_NS4plusIyEEEEZZNS1_33reduce_by_key_impl_wrapped_configILNS1_25lookback_scan_determinismE0ES3_S9_NS6_6detail15normal_iteratorINS6_10device_ptrIjEEEENSD_INSE_IyEEEENS6_16discard_iteratorINS6_11use_defaultEEESI_PmS8_NS6_8equal_toIjEEEE10hipError_tPvRmT2_T3_mT4_T5_T6_T7_T8_P12ihipStream_tbENKUlT_T0_E_clISt17integral_constantIbLb0EES15_IbLb1EEEEDaS11_S12_EUlS11_E_NS1_11comp_targetILNS1_3genE2ELNS1_11target_archE906ELNS1_3gpuE6ELNS1_3repE0EEENS1_30default_config_static_selectorELNS0_4arch9wavefront6targetE0EEEvT1_
; %bb.0:
	.section	.rodata,"a",@progbits
	.p2align	6, 0x0
	.amdhsa_kernel _ZN7rocprim17ROCPRIM_400000_NS6detail17trampoline_kernelINS0_14default_configENS1_29reduce_by_key_config_selectorIjyN6thrust23THRUST_200600_302600_NS4plusIyEEEEZZNS1_33reduce_by_key_impl_wrapped_configILNS1_25lookback_scan_determinismE0ES3_S9_NS6_6detail15normal_iteratorINS6_10device_ptrIjEEEENSD_INSE_IyEEEENS6_16discard_iteratorINS6_11use_defaultEEESI_PmS8_NS6_8equal_toIjEEEE10hipError_tPvRmT2_T3_mT4_T5_T6_T7_T8_P12ihipStream_tbENKUlT_T0_E_clISt17integral_constantIbLb0EES15_IbLb1EEEEDaS11_S12_EUlS11_E_NS1_11comp_targetILNS1_3genE2ELNS1_11target_archE906ELNS1_3gpuE6ELNS1_3repE0EEENS1_30default_config_static_selectorELNS0_4arch9wavefront6targetE0EEEvT1_
		.amdhsa_group_segment_fixed_size 0
		.amdhsa_private_segment_fixed_size 0
		.amdhsa_kernarg_size 144
		.amdhsa_user_sgpr_count 15
		.amdhsa_user_sgpr_dispatch_ptr 0
		.amdhsa_user_sgpr_queue_ptr 0
		.amdhsa_user_sgpr_kernarg_segment_ptr 1
		.amdhsa_user_sgpr_dispatch_id 0
		.amdhsa_user_sgpr_private_segment_size 0
		.amdhsa_wavefront_size32 1
		.amdhsa_uses_dynamic_stack 0
		.amdhsa_enable_private_segment 0
		.amdhsa_system_sgpr_workgroup_id_x 1
		.amdhsa_system_sgpr_workgroup_id_y 0
		.amdhsa_system_sgpr_workgroup_id_z 0
		.amdhsa_system_sgpr_workgroup_info 0
		.amdhsa_system_vgpr_workitem_id 0
		.amdhsa_next_free_vgpr 1
		.amdhsa_next_free_sgpr 1
		.amdhsa_reserve_vcc 0
		.amdhsa_float_round_mode_32 0
		.amdhsa_float_round_mode_16_64 0
		.amdhsa_float_denorm_mode_32 3
		.amdhsa_float_denorm_mode_16_64 3
		.amdhsa_dx10_clamp 1
		.amdhsa_ieee_mode 1
		.amdhsa_fp16_overflow 0
		.amdhsa_workgroup_processor_mode 1
		.amdhsa_memory_ordered 1
		.amdhsa_forward_progress 0
		.amdhsa_shared_vgpr_count 0
		.amdhsa_exception_fp_ieee_invalid_op 0
		.amdhsa_exception_fp_denorm_src 0
		.amdhsa_exception_fp_ieee_div_zero 0
		.amdhsa_exception_fp_ieee_overflow 0
		.amdhsa_exception_fp_ieee_underflow 0
		.amdhsa_exception_fp_ieee_inexact 0
		.amdhsa_exception_int_div_zero 0
	.end_amdhsa_kernel
	.section	.text._ZN7rocprim17ROCPRIM_400000_NS6detail17trampoline_kernelINS0_14default_configENS1_29reduce_by_key_config_selectorIjyN6thrust23THRUST_200600_302600_NS4plusIyEEEEZZNS1_33reduce_by_key_impl_wrapped_configILNS1_25lookback_scan_determinismE0ES3_S9_NS6_6detail15normal_iteratorINS6_10device_ptrIjEEEENSD_INSE_IyEEEENS6_16discard_iteratorINS6_11use_defaultEEESI_PmS8_NS6_8equal_toIjEEEE10hipError_tPvRmT2_T3_mT4_T5_T6_T7_T8_P12ihipStream_tbENKUlT_T0_E_clISt17integral_constantIbLb0EES15_IbLb1EEEEDaS11_S12_EUlS11_E_NS1_11comp_targetILNS1_3genE2ELNS1_11target_archE906ELNS1_3gpuE6ELNS1_3repE0EEENS1_30default_config_static_selectorELNS0_4arch9wavefront6targetE0EEEvT1_,"axG",@progbits,_ZN7rocprim17ROCPRIM_400000_NS6detail17trampoline_kernelINS0_14default_configENS1_29reduce_by_key_config_selectorIjyN6thrust23THRUST_200600_302600_NS4plusIyEEEEZZNS1_33reduce_by_key_impl_wrapped_configILNS1_25lookback_scan_determinismE0ES3_S9_NS6_6detail15normal_iteratorINS6_10device_ptrIjEEEENSD_INSE_IyEEEENS6_16discard_iteratorINS6_11use_defaultEEESI_PmS8_NS6_8equal_toIjEEEE10hipError_tPvRmT2_T3_mT4_T5_T6_T7_T8_P12ihipStream_tbENKUlT_T0_E_clISt17integral_constantIbLb0EES15_IbLb1EEEEDaS11_S12_EUlS11_E_NS1_11comp_targetILNS1_3genE2ELNS1_11target_archE906ELNS1_3gpuE6ELNS1_3repE0EEENS1_30default_config_static_selectorELNS0_4arch9wavefront6targetE0EEEvT1_,comdat
.Lfunc_end908:
	.size	_ZN7rocprim17ROCPRIM_400000_NS6detail17trampoline_kernelINS0_14default_configENS1_29reduce_by_key_config_selectorIjyN6thrust23THRUST_200600_302600_NS4plusIyEEEEZZNS1_33reduce_by_key_impl_wrapped_configILNS1_25lookback_scan_determinismE0ES3_S9_NS6_6detail15normal_iteratorINS6_10device_ptrIjEEEENSD_INSE_IyEEEENS6_16discard_iteratorINS6_11use_defaultEEESI_PmS8_NS6_8equal_toIjEEEE10hipError_tPvRmT2_T3_mT4_T5_T6_T7_T8_P12ihipStream_tbENKUlT_T0_E_clISt17integral_constantIbLb0EES15_IbLb1EEEEDaS11_S12_EUlS11_E_NS1_11comp_targetILNS1_3genE2ELNS1_11target_archE906ELNS1_3gpuE6ELNS1_3repE0EEENS1_30default_config_static_selectorELNS0_4arch9wavefront6targetE0EEEvT1_, .Lfunc_end908-_ZN7rocprim17ROCPRIM_400000_NS6detail17trampoline_kernelINS0_14default_configENS1_29reduce_by_key_config_selectorIjyN6thrust23THRUST_200600_302600_NS4plusIyEEEEZZNS1_33reduce_by_key_impl_wrapped_configILNS1_25lookback_scan_determinismE0ES3_S9_NS6_6detail15normal_iteratorINS6_10device_ptrIjEEEENSD_INSE_IyEEEENS6_16discard_iteratorINS6_11use_defaultEEESI_PmS8_NS6_8equal_toIjEEEE10hipError_tPvRmT2_T3_mT4_T5_T6_T7_T8_P12ihipStream_tbENKUlT_T0_E_clISt17integral_constantIbLb0EES15_IbLb1EEEEDaS11_S12_EUlS11_E_NS1_11comp_targetILNS1_3genE2ELNS1_11target_archE906ELNS1_3gpuE6ELNS1_3repE0EEENS1_30default_config_static_selectorELNS0_4arch9wavefront6targetE0EEEvT1_
                                        ; -- End function
	.section	.AMDGPU.csdata,"",@progbits
; Kernel info:
; codeLenInByte = 0
; NumSgprs: 0
; NumVgprs: 0
; ScratchSize: 0
; MemoryBound: 0
; FloatMode: 240
; IeeeMode: 1
; LDSByteSize: 0 bytes/workgroup (compile time only)
; SGPRBlocks: 0
; VGPRBlocks: 0
; NumSGPRsForWavesPerEU: 1
; NumVGPRsForWavesPerEU: 1
; Occupancy: 16
; WaveLimiterHint : 0
; COMPUTE_PGM_RSRC2:SCRATCH_EN: 0
; COMPUTE_PGM_RSRC2:USER_SGPR: 15
; COMPUTE_PGM_RSRC2:TRAP_HANDLER: 0
; COMPUTE_PGM_RSRC2:TGID_X_EN: 1
; COMPUTE_PGM_RSRC2:TGID_Y_EN: 0
; COMPUTE_PGM_RSRC2:TGID_Z_EN: 0
; COMPUTE_PGM_RSRC2:TIDIG_COMP_CNT: 0
	.section	.text._ZN7rocprim17ROCPRIM_400000_NS6detail17trampoline_kernelINS0_14default_configENS1_29reduce_by_key_config_selectorIjyN6thrust23THRUST_200600_302600_NS4plusIyEEEEZZNS1_33reduce_by_key_impl_wrapped_configILNS1_25lookback_scan_determinismE0ES3_S9_NS6_6detail15normal_iteratorINS6_10device_ptrIjEEEENSD_INSE_IyEEEENS6_16discard_iteratorINS6_11use_defaultEEESI_PmS8_NS6_8equal_toIjEEEE10hipError_tPvRmT2_T3_mT4_T5_T6_T7_T8_P12ihipStream_tbENKUlT_T0_E_clISt17integral_constantIbLb0EES15_IbLb1EEEEDaS11_S12_EUlS11_E_NS1_11comp_targetILNS1_3genE10ELNS1_11target_archE1201ELNS1_3gpuE5ELNS1_3repE0EEENS1_30default_config_static_selectorELNS0_4arch9wavefront6targetE0EEEvT1_,"axG",@progbits,_ZN7rocprim17ROCPRIM_400000_NS6detail17trampoline_kernelINS0_14default_configENS1_29reduce_by_key_config_selectorIjyN6thrust23THRUST_200600_302600_NS4plusIyEEEEZZNS1_33reduce_by_key_impl_wrapped_configILNS1_25lookback_scan_determinismE0ES3_S9_NS6_6detail15normal_iteratorINS6_10device_ptrIjEEEENSD_INSE_IyEEEENS6_16discard_iteratorINS6_11use_defaultEEESI_PmS8_NS6_8equal_toIjEEEE10hipError_tPvRmT2_T3_mT4_T5_T6_T7_T8_P12ihipStream_tbENKUlT_T0_E_clISt17integral_constantIbLb0EES15_IbLb1EEEEDaS11_S12_EUlS11_E_NS1_11comp_targetILNS1_3genE10ELNS1_11target_archE1201ELNS1_3gpuE5ELNS1_3repE0EEENS1_30default_config_static_selectorELNS0_4arch9wavefront6targetE0EEEvT1_,comdat
	.protected	_ZN7rocprim17ROCPRIM_400000_NS6detail17trampoline_kernelINS0_14default_configENS1_29reduce_by_key_config_selectorIjyN6thrust23THRUST_200600_302600_NS4plusIyEEEEZZNS1_33reduce_by_key_impl_wrapped_configILNS1_25lookback_scan_determinismE0ES3_S9_NS6_6detail15normal_iteratorINS6_10device_ptrIjEEEENSD_INSE_IyEEEENS6_16discard_iteratorINS6_11use_defaultEEESI_PmS8_NS6_8equal_toIjEEEE10hipError_tPvRmT2_T3_mT4_T5_T6_T7_T8_P12ihipStream_tbENKUlT_T0_E_clISt17integral_constantIbLb0EES15_IbLb1EEEEDaS11_S12_EUlS11_E_NS1_11comp_targetILNS1_3genE10ELNS1_11target_archE1201ELNS1_3gpuE5ELNS1_3repE0EEENS1_30default_config_static_selectorELNS0_4arch9wavefront6targetE0EEEvT1_ ; -- Begin function _ZN7rocprim17ROCPRIM_400000_NS6detail17trampoline_kernelINS0_14default_configENS1_29reduce_by_key_config_selectorIjyN6thrust23THRUST_200600_302600_NS4plusIyEEEEZZNS1_33reduce_by_key_impl_wrapped_configILNS1_25lookback_scan_determinismE0ES3_S9_NS6_6detail15normal_iteratorINS6_10device_ptrIjEEEENSD_INSE_IyEEEENS6_16discard_iteratorINS6_11use_defaultEEESI_PmS8_NS6_8equal_toIjEEEE10hipError_tPvRmT2_T3_mT4_T5_T6_T7_T8_P12ihipStream_tbENKUlT_T0_E_clISt17integral_constantIbLb0EES15_IbLb1EEEEDaS11_S12_EUlS11_E_NS1_11comp_targetILNS1_3genE10ELNS1_11target_archE1201ELNS1_3gpuE5ELNS1_3repE0EEENS1_30default_config_static_selectorELNS0_4arch9wavefront6targetE0EEEvT1_
	.globl	_ZN7rocprim17ROCPRIM_400000_NS6detail17trampoline_kernelINS0_14default_configENS1_29reduce_by_key_config_selectorIjyN6thrust23THRUST_200600_302600_NS4plusIyEEEEZZNS1_33reduce_by_key_impl_wrapped_configILNS1_25lookback_scan_determinismE0ES3_S9_NS6_6detail15normal_iteratorINS6_10device_ptrIjEEEENSD_INSE_IyEEEENS6_16discard_iteratorINS6_11use_defaultEEESI_PmS8_NS6_8equal_toIjEEEE10hipError_tPvRmT2_T3_mT4_T5_T6_T7_T8_P12ihipStream_tbENKUlT_T0_E_clISt17integral_constantIbLb0EES15_IbLb1EEEEDaS11_S12_EUlS11_E_NS1_11comp_targetILNS1_3genE10ELNS1_11target_archE1201ELNS1_3gpuE5ELNS1_3repE0EEENS1_30default_config_static_selectorELNS0_4arch9wavefront6targetE0EEEvT1_
	.p2align	8
	.type	_ZN7rocprim17ROCPRIM_400000_NS6detail17trampoline_kernelINS0_14default_configENS1_29reduce_by_key_config_selectorIjyN6thrust23THRUST_200600_302600_NS4plusIyEEEEZZNS1_33reduce_by_key_impl_wrapped_configILNS1_25lookback_scan_determinismE0ES3_S9_NS6_6detail15normal_iteratorINS6_10device_ptrIjEEEENSD_INSE_IyEEEENS6_16discard_iteratorINS6_11use_defaultEEESI_PmS8_NS6_8equal_toIjEEEE10hipError_tPvRmT2_T3_mT4_T5_T6_T7_T8_P12ihipStream_tbENKUlT_T0_E_clISt17integral_constantIbLb0EES15_IbLb1EEEEDaS11_S12_EUlS11_E_NS1_11comp_targetILNS1_3genE10ELNS1_11target_archE1201ELNS1_3gpuE5ELNS1_3repE0EEENS1_30default_config_static_selectorELNS0_4arch9wavefront6targetE0EEEvT1_,@function
_ZN7rocprim17ROCPRIM_400000_NS6detail17trampoline_kernelINS0_14default_configENS1_29reduce_by_key_config_selectorIjyN6thrust23THRUST_200600_302600_NS4plusIyEEEEZZNS1_33reduce_by_key_impl_wrapped_configILNS1_25lookback_scan_determinismE0ES3_S9_NS6_6detail15normal_iteratorINS6_10device_ptrIjEEEENSD_INSE_IyEEEENS6_16discard_iteratorINS6_11use_defaultEEESI_PmS8_NS6_8equal_toIjEEEE10hipError_tPvRmT2_T3_mT4_T5_T6_T7_T8_P12ihipStream_tbENKUlT_T0_E_clISt17integral_constantIbLb0EES15_IbLb1EEEEDaS11_S12_EUlS11_E_NS1_11comp_targetILNS1_3genE10ELNS1_11target_archE1201ELNS1_3gpuE5ELNS1_3repE0EEENS1_30default_config_static_selectorELNS0_4arch9wavefront6targetE0EEEvT1_: ; @_ZN7rocprim17ROCPRIM_400000_NS6detail17trampoline_kernelINS0_14default_configENS1_29reduce_by_key_config_selectorIjyN6thrust23THRUST_200600_302600_NS4plusIyEEEEZZNS1_33reduce_by_key_impl_wrapped_configILNS1_25lookback_scan_determinismE0ES3_S9_NS6_6detail15normal_iteratorINS6_10device_ptrIjEEEENSD_INSE_IyEEEENS6_16discard_iteratorINS6_11use_defaultEEESI_PmS8_NS6_8equal_toIjEEEE10hipError_tPvRmT2_T3_mT4_T5_T6_T7_T8_P12ihipStream_tbENKUlT_T0_E_clISt17integral_constantIbLb0EES15_IbLb1EEEEDaS11_S12_EUlS11_E_NS1_11comp_targetILNS1_3genE10ELNS1_11target_archE1201ELNS1_3gpuE5ELNS1_3repE0EEENS1_30default_config_static_selectorELNS0_4arch9wavefront6targetE0EEEvT1_
; %bb.0:
	.section	.rodata,"a",@progbits
	.p2align	6, 0x0
	.amdhsa_kernel _ZN7rocprim17ROCPRIM_400000_NS6detail17trampoline_kernelINS0_14default_configENS1_29reduce_by_key_config_selectorIjyN6thrust23THRUST_200600_302600_NS4plusIyEEEEZZNS1_33reduce_by_key_impl_wrapped_configILNS1_25lookback_scan_determinismE0ES3_S9_NS6_6detail15normal_iteratorINS6_10device_ptrIjEEEENSD_INSE_IyEEEENS6_16discard_iteratorINS6_11use_defaultEEESI_PmS8_NS6_8equal_toIjEEEE10hipError_tPvRmT2_T3_mT4_T5_T6_T7_T8_P12ihipStream_tbENKUlT_T0_E_clISt17integral_constantIbLb0EES15_IbLb1EEEEDaS11_S12_EUlS11_E_NS1_11comp_targetILNS1_3genE10ELNS1_11target_archE1201ELNS1_3gpuE5ELNS1_3repE0EEENS1_30default_config_static_selectorELNS0_4arch9wavefront6targetE0EEEvT1_
		.amdhsa_group_segment_fixed_size 0
		.amdhsa_private_segment_fixed_size 0
		.amdhsa_kernarg_size 144
		.amdhsa_user_sgpr_count 15
		.amdhsa_user_sgpr_dispatch_ptr 0
		.amdhsa_user_sgpr_queue_ptr 0
		.amdhsa_user_sgpr_kernarg_segment_ptr 1
		.amdhsa_user_sgpr_dispatch_id 0
		.amdhsa_user_sgpr_private_segment_size 0
		.amdhsa_wavefront_size32 1
		.amdhsa_uses_dynamic_stack 0
		.amdhsa_enable_private_segment 0
		.amdhsa_system_sgpr_workgroup_id_x 1
		.amdhsa_system_sgpr_workgroup_id_y 0
		.amdhsa_system_sgpr_workgroup_id_z 0
		.amdhsa_system_sgpr_workgroup_info 0
		.amdhsa_system_vgpr_workitem_id 0
		.amdhsa_next_free_vgpr 1
		.amdhsa_next_free_sgpr 1
		.amdhsa_reserve_vcc 0
		.amdhsa_float_round_mode_32 0
		.amdhsa_float_round_mode_16_64 0
		.amdhsa_float_denorm_mode_32 3
		.amdhsa_float_denorm_mode_16_64 3
		.amdhsa_dx10_clamp 1
		.amdhsa_ieee_mode 1
		.amdhsa_fp16_overflow 0
		.amdhsa_workgroup_processor_mode 1
		.amdhsa_memory_ordered 1
		.amdhsa_forward_progress 0
		.amdhsa_shared_vgpr_count 0
		.amdhsa_exception_fp_ieee_invalid_op 0
		.amdhsa_exception_fp_denorm_src 0
		.amdhsa_exception_fp_ieee_div_zero 0
		.amdhsa_exception_fp_ieee_overflow 0
		.amdhsa_exception_fp_ieee_underflow 0
		.amdhsa_exception_fp_ieee_inexact 0
		.amdhsa_exception_int_div_zero 0
	.end_amdhsa_kernel
	.section	.text._ZN7rocprim17ROCPRIM_400000_NS6detail17trampoline_kernelINS0_14default_configENS1_29reduce_by_key_config_selectorIjyN6thrust23THRUST_200600_302600_NS4plusIyEEEEZZNS1_33reduce_by_key_impl_wrapped_configILNS1_25lookback_scan_determinismE0ES3_S9_NS6_6detail15normal_iteratorINS6_10device_ptrIjEEEENSD_INSE_IyEEEENS6_16discard_iteratorINS6_11use_defaultEEESI_PmS8_NS6_8equal_toIjEEEE10hipError_tPvRmT2_T3_mT4_T5_T6_T7_T8_P12ihipStream_tbENKUlT_T0_E_clISt17integral_constantIbLb0EES15_IbLb1EEEEDaS11_S12_EUlS11_E_NS1_11comp_targetILNS1_3genE10ELNS1_11target_archE1201ELNS1_3gpuE5ELNS1_3repE0EEENS1_30default_config_static_selectorELNS0_4arch9wavefront6targetE0EEEvT1_,"axG",@progbits,_ZN7rocprim17ROCPRIM_400000_NS6detail17trampoline_kernelINS0_14default_configENS1_29reduce_by_key_config_selectorIjyN6thrust23THRUST_200600_302600_NS4plusIyEEEEZZNS1_33reduce_by_key_impl_wrapped_configILNS1_25lookback_scan_determinismE0ES3_S9_NS6_6detail15normal_iteratorINS6_10device_ptrIjEEEENSD_INSE_IyEEEENS6_16discard_iteratorINS6_11use_defaultEEESI_PmS8_NS6_8equal_toIjEEEE10hipError_tPvRmT2_T3_mT4_T5_T6_T7_T8_P12ihipStream_tbENKUlT_T0_E_clISt17integral_constantIbLb0EES15_IbLb1EEEEDaS11_S12_EUlS11_E_NS1_11comp_targetILNS1_3genE10ELNS1_11target_archE1201ELNS1_3gpuE5ELNS1_3repE0EEENS1_30default_config_static_selectorELNS0_4arch9wavefront6targetE0EEEvT1_,comdat
.Lfunc_end909:
	.size	_ZN7rocprim17ROCPRIM_400000_NS6detail17trampoline_kernelINS0_14default_configENS1_29reduce_by_key_config_selectorIjyN6thrust23THRUST_200600_302600_NS4plusIyEEEEZZNS1_33reduce_by_key_impl_wrapped_configILNS1_25lookback_scan_determinismE0ES3_S9_NS6_6detail15normal_iteratorINS6_10device_ptrIjEEEENSD_INSE_IyEEEENS6_16discard_iteratorINS6_11use_defaultEEESI_PmS8_NS6_8equal_toIjEEEE10hipError_tPvRmT2_T3_mT4_T5_T6_T7_T8_P12ihipStream_tbENKUlT_T0_E_clISt17integral_constantIbLb0EES15_IbLb1EEEEDaS11_S12_EUlS11_E_NS1_11comp_targetILNS1_3genE10ELNS1_11target_archE1201ELNS1_3gpuE5ELNS1_3repE0EEENS1_30default_config_static_selectorELNS0_4arch9wavefront6targetE0EEEvT1_, .Lfunc_end909-_ZN7rocprim17ROCPRIM_400000_NS6detail17trampoline_kernelINS0_14default_configENS1_29reduce_by_key_config_selectorIjyN6thrust23THRUST_200600_302600_NS4plusIyEEEEZZNS1_33reduce_by_key_impl_wrapped_configILNS1_25lookback_scan_determinismE0ES3_S9_NS6_6detail15normal_iteratorINS6_10device_ptrIjEEEENSD_INSE_IyEEEENS6_16discard_iteratorINS6_11use_defaultEEESI_PmS8_NS6_8equal_toIjEEEE10hipError_tPvRmT2_T3_mT4_T5_T6_T7_T8_P12ihipStream_tbENKUlT_T0_E_clISt17integral_constantIbLb0EES15_IbLb1EEEEDaS11_S12_EUlS11_E_NS1_11comp_targetILNS1_3genE10ELNS1_11target_archE1201ELNS1_3gpuE5ELNS1_3repE0EEENS1_30default_config_static_selectorELNS0_4arch9wavefront6targetE0EEEvT1_
                                        ; -- End function
	.section	.AMDGPU.csdata,"",@progbits
; Kernel info:
; codeLenInByte = 0
; NumSgprs: 0
; NumVgprs: 0
; ScratchSize: 0
; MemoryBound: 0
; FloatMode: 240
; IeeeMode: 1
; LDSByteSize: 0 bytes/workgroup (compile time only)
; SGPRBlocks: 0
; VGPRBlocks: 0
; NumSGPRsForWavesPerEU: 1
; NumVGPRsForWavesPerEU: 1
; Occupancy: 16
; WaveLimiterHint : 0
; COMPUTE_PGM_RSRC2:SCRATCH_EN: 0
; COMPUTE_PGM_RSRC2:USER_SGPR: 15
; COMPUTE_PGM_RSRC2:TRAP_HANDLER: 0
; COMPUTE_PGM_RSRC2:TGID_X_EN: 1
; COMPUTE_PGM_RSRC2:TGID_Y_EN: 0
; COMPUTE_PGM_RSRC2:TGID_Z_EN: 0
; COMPUTE_PGM_RSRC2:TIDIG_COMP_CNT: 0
	.section	.text._ZN7rocprim17ROCPRIM_400000_NS6detail17trampoline_kernelINS0_14default_configENS1_29reduce_by_key_config_selectorIjyN6thrust23THRUST_200600_302600_NS4plusIyEEEEZZNS1_33reduce_by_key_impl_wrapped_configILNS1_25lookback_scan_determinismE0ES3_S9_NS6_6detail15normal_iteratorINS6_10device_ptrIjEEEENSD_INSE_IyEEEENS6_16discard_iteratorINS6_11use_defaultEEESI_PmS8_NS6_8equal_toIjEEEE10hipError_tPvRmT2_T3_mT4_T5_T6_T7_T8_P12ihipStream_tbENKUlT_T0_E_clISt17integral_constantIbLb0EES15_IbLb1EEEEDaS11_S12_EUlS11_E_NS1_11comp_targetILNS1_3genE10ELNS1_11target_archE1200ELNS1_3gpuE4ELNS1_3repE0EEENS1_30default_config_static_selectorELNS0_4arch9wavefront6targetE0EEEvT1_,"axG",@progbits,_ZN7rocprim17ROCPRIM_400000_NS6detail17trampoline_kernelINS0_14default_configENS1_29reduce_by_key_config_selectorIjyN6thrust23THRUST_200600_302600_NS4plusIyEEEEZZNS1_33reduce_by_key_impl_wrapped_configILNS1_25lookback_scan_determinismE0ES3_S9_NS6_6detail15normal_iteratorINS6_10device_ptrIjEEEENSD_INSE_IyEEEENS6_16discard_iteratorINS6_11use_defaultEEESI_PmS8_NS6_8equal_toIjEEEE10hipError_tPvRmT2_T3_mT4_T5_T6_T7_T8_P12ihipStream_tbENKUlT_T0_E_clISt17integral_constantIbLb0EES15_IbLb1EEEEDaS11_S12_EUlS11_E_NS1_11comp_targetILNS1_3genE10ELNS1_11target_archE1200ELNS1_3gpuE4ELNS1_3repE0EEENS1_30default_config_static_selectorELNS0_4arch9wavefront6targetE0EEEvT1_,comdat
	.protected	_ZN7rocprim17ROCPRIM_400000_NS6detail17trampoline_kernelINS0_14default_configENS1_29reduce_by_key_config_selectorIjyN6thrust23THRUST_200600_302600_NS4plusIyEEEEZZNS1_33reduce_by_key_impl_wrapped_configILNS1_25lookback_scan_determinismE0ES3_S9_NS6_6detail15normal_iteratorINS6_10device_ptrIjEEEENSD_INSE_IyEEEENS6_16discard_iteratorINS6_11use_defaultEEESI_PmS8_NS6_8equal_toIjEEEE10hipError_tPvRmT2_T3_mT4_T5_T6_T7_T8_P12ihipStream_tbENKUlT_T0_E_clISt17integral_constantIbLb0EES15_IbLb1EEEEDaS11_S12_EUlS11_E_NS1_11comp_targetILNS1_3genE10ELNS1_11target_archE1200ELNS1_3gpuE4ELNS1_3repE0EEENS1_30default_config_static_selectorELNS0_4arch9wavefront6targetE0EEEvT1_ ; -- Begin function _ZN7rocprim17ROCPRIM_400000_NS6detail17trampoline_kernelINS0_14default_configENS1_29reduce_by_key_config_selectorIjyN6thrust23THRUST_200600_302600_NS4plusIyEEEEZZNS1_33reduce_by_key_impl_wrapped_configILNS1_25lookback_scan_determinismE0ES3_S9_NS6_6detail15normal_iteratorINS6_10device_ptrIjEEEENSD_INSE_IyEEEENS6_16discard_iteratorINS6_11use_defaultEEESI_PmS8_NS6_8equal_toIjEEEE10hipError_tPvRmT2_T3_mT4_T5_T6_T7_T8_P12ihipStream_tbENKUlT_T0_E_clISt17integral_constantIbLb0EES15_IbLb1EEEEDaS11_S12_EUlS11_E_NS1_11comp_targetILNS1_3genE10ELNS1_11target_archE1200ELNS1_3gpuE4ELNS1_3repE0EEENS1_30default_config_static_selectorELNS0_4arch9wavefront6targetE0EEEvT1_
	.globl	_ZN7rocprim17ROCPRIM_400000_NS6detail17trampoline_kernelINS0_14default_configENS1_29reduce_by_key_config_selectorIjyN6thrust23THRUST_200600_302600_NS4plusIyEEEEZZNS1_33reduce_by_key_impl_wrapped_configILNS1_25lookback_scan_determinismE0ES3_S9_NS6_6detail15normal_iteratorINS6_10device_ptrIjEEEENSD_INSE_IyEEEENS6_16discard_iteratorINS6_11use_defaultEEESI_PmS8_NS6_8equal_toIjEEEE10hipError_tPvRmT2_T3_mT4_T5_T6_T7_T8_P12ihipStream_tbENKUlT_T0_E_clISt17integral_constantIbLb0EES15_IbLb1EEEEDaS11_S12_EUlS11_E_NS1_11comp_targetILNS1_3genE10ELNS1_11target_archE1200ELNS1_3gpuE4ELNS1_3repE0EEENS1_30default_config_static_selectorELNS0_4arch9wavefront6targetE0EEEvT1_
	.p2align	8
	.type	_ZN7rocprim17ROCPRIM_400000_NS6detail17trampoline_kernelINS0_14default_configENS1_29reduce_by_key_config_selectorIjyN6thrust23THRUST_200600_302600_NS4plusIyEEEEZZNS1_33reduce_by_key_impl_wrapped_configILNS1_25lookback_scan_determinismE0ES3_S9_NS6_6detail15normal_iteratorINS6_10device_ptrIjEEEENSD_INSE_IyEEEENS6_16discard_iteratorINS6_11use_defaultEEESI_PmS8_NS6_8equal_toIjEEEE10hipError_tPvRmT2_T3_mT4_T5_T6_T7_T8_P12ihipStream_tbENKUlT_T0_E_clISt17integral_constantIbLb0EES15_IbLb1EEEEDaS11_S12_EUlS11_E_NS1_11comp_targetILNS1_3genE10ELNS1_11target_archE1200ELNS1_3gpuE4ELNS1_3repE0EEENS1_30default_config_static_selectorELNS0_4arch9wavefront6targetE0EEEvT1_,@function
_ZN7rocprim17ROCPRIM_400000_NS6detail17trampoline_kernelINS0_14default_configENS1_29reduce_by_key_config_selectorIjyN6thrust23THRUST_200600_302600_NS4plusIyEEEEZZNS1_33reduce_by_key_impl_wrapped_configILNS1_25lookback_scan_determinismE0ES3_S9_NS6_6detail15normal_iteratorINS6_10device_ptrIjEEEENSD_INSE_IyEEEENS6_16discard_iteratorINS6_11use_defaultEEESI_PmS8_NS6_8equal_toIjEEEE10hipError_tPvRmT2_T3_mT4_T5_T6_T7_T8_P12ihipStream_tbENKUlT_T0_E_clISt17integral_constantIbLb0EES15_IbLb1EEEEDaS11_S12_EUlS11_E_NS1_11comp_targetILNS1_3genE10ELNS1_11target_archE1200ELNS1_3gpuE4ELNS1_3repE0EEENS1_30default_config_static_selectorELNS0_4arch9wavefront6targetE0EEEvT1_: ; @_ZN7rocprim17ROCPRIM_400000_NS6detail17trampoline_kernelINS0_14default_configENS1_29reduce_by_key_config_selectorIjyN6thrust23THRUST_200600_302600_NS4plusIyEEEEZZNS1_33reduce_by_key_impl_wrapped_configILNS1_25lookback_scan_determinismE0ES3_S9_NS6_6detail15normal_iteratorINS6_10device_ptrIjEEEENSD_INSE_IyEEEENS6_16discard_iteratorINS6_11use_defaultEEESI_PmS8_NS6_8equal_toIjEEEE10hipError_tPvRmT2_T3_mT4_T5_T6_T7_T8_P12ihipStream_tbENKUlT_T0_E_clISt17integral_constantIbLb0EES15_IbLb1EEEEDaS11_S12_EUlS11_E_NS1_11comp_targetILNS1_3genE10ELNS1_11target_archE1200ELNS1_3gpuE4ELNS1_3repE0EEENS1_30default_config_static_selectorELNS0_4arch9wavefront6targetE0EEEvT1_
; %bb.0:
	.section	.rodata,"a",@progbits
	.p2align	6, 0x0
	.amdhsa_kernel _ZN7rocprim17ROCPRIM_400000_NS6detail17trampoline_kernelINS0_14default_configENS1_29reduce_by_key_config_selectorIjyN6thrust23THRUST_200600_302600_NS4plusIyEEEEZZNS1_33reduce_by_key_impl_wrapped_configILNS1_25lookback_scan_determinismE0ES3_S9_NS6_6detail15normal_iteratorINS6_10device_ptrIjEEEENSD_INSE_IyEEEENS6_16discard_iteratorINS6_11use_defaultEEESI_PmS8_NS6_8equal_toIjEEEE10hipError_tPvRmT2_T3_mT4_T5_T6_T7_T8_P12ihipStream_tbENKUlT_T0_E_clISt17integral_constantIbLb0EES15_IbLb1EEEEDaS11_S12_EUlS11_E_NS1_11comp_targetILNS1_3genE10ELNS1_11target_archE1200ELNS1_3gpuE4ELNS1_3repE0EEENS1_30default_config_static_selectorELNS0_4arch9wavefront6targetE0EEEvT1_
		.amdhsa_group_segment_fixed_size 0
		.amdhsa_private_segment_fixed_size 0
		.amdhsa_kernarg_size 144
		.amdhsa_user_sgpr_count 15
		.amdhsa_user_sgpr_dispatch_ptr 0
		.amdhsa_user_sgpr_queue_ptr 0
		.amdhsa_user_sgpr_kernarg_segment_ptr 1
		.amdhsa_user_sgpr_dispatch_id 0
		.amdhsa_user_sgpr_private_segment_size 0
		.amdhsa_wavefront_size32 1
		.amdhsa_uses_dynamic_stack 0
		.amdhsa_enable_private_segment 0
		.amdhsa_system_sgpr_workgroup_id_x 1
		.amdhsa_system_sgpr_workgroup_id_y 0
		.amdhsa_system_sgpr_workgroup_id_z 0
		.amdhsa_system_sgpr_workgroup_info 0
		.amdhsa_system_vgpr_workitem_id 0
		.amdhsa_next_free_vgpr 1
		.amdhsa_next_free_sgpr 1
		.amdhsa_reserve_vcc 0
		.amdhsa_float_round_mode_32 0
		.amdhsa_float_round_mode_16_64 0
		.amdhsa_float_denorm_mode_32 3
		.amdhsa_float_denorm_mode_16_64 3
		.amdhsa_dx10_clamp 1
		.amdhsa_ieee_mode 1
		.amdhsa_fp16_overflow 0
		.amdhsa_workgroup_processor_mode 1
		.amdhsa_memory_ordered 1
		.amdhsa_forward_progress 0
		.amdhsa_shared_vgpr_count 0
		.amdhsa_exception_fp_ieee_invalid_op 0
		.amdhsa_exception_fp_denorm_src 0
		.amdhsa_exception_fp_ieee_div_zero 0
		.amdhsa_exception_fp_ieee_overflow 0
		.amdhsa_exception_fp_ieee_underflow 0
		.amdhsa_exception_fp_ieee_inexact 0
		.amdhsa_exception_int_div_zero 0
	.end_amdhsa_kernel
	.section	.text._ZN7rocprim17ROCPRIM_400000_NS6detail17trampoline_kernelINS0_14default_configENS1_29reduce_by_key_config_selectorIjyN6thrust23THRUST_200600_302600_NS4plusIyEEEEZZNS1_33reduce_by_key_impl_wrapped_configILNS1_25lookback_scan_determinismE0ES3_S9_NS6_6detail15normal_iteratorINS6_10device_ptrIjEEEENSD_INSE_IyEEEENS6_16discard_iteratorINS6_11use_defaultEEESI_PmS8_NS6_8equal_toIjEEEE10hipError_tPvRmT2_T3_mT4_T5_T6_T7_T8_P12ihipStream_tbENKUlT_T0_E_clISt17integral_constantIbLb0EES15_IbLb1EEEEDaS11_S12_EUlS11_E_NS1_11comp_targetILNS1_3genE10ELNS1_11target_archE1200ELNS1_3gpuE4ELNS1_3repE0EEENS1_30default_config_static_selectorELNS0_4arch9wavefront6targetE0EEEvT1_,"axG",@progbits,_ZN7rocprim17ROCPRIM_400000_NS6detail17trampoline_kernelINS0_14default_configENS1_29reduce_by_key_config_selectorIjyN6thrust23THRUST_200600_302600_NS4plusIyEEEEZZNS1_33reduce_by_key_impl_wrapped_configILNS1_25lookback_scan_determinismE0ES3_S9_NS6_6detail15normal_iteratorINS6_10device_ptrIjEEEENSD_INSE_IyEEEENS6_16discard_iteratorINS6_11use_defaultEEESI_PmS8_NS6_8equal_toIjEEEE10hipError_tPvRmT2_T3_mT4_T5_T6_T7_T8_P12ihipStream_tbENKUlT_T0_E_clISt17integral_constantIbLb0EES15_IbLb1EEEEDaS11_S12_EUlS11_E_NS1_11comp_targetILNS1_3genE10ELNS1_11target_archE1200ELNS1_3gpuE4ELNS1_3repE0EEENS1_30default_config_static_selectorELNS0_4arch9wavefront6targetE0EEEvT1_,comdat
.Lfunc_end910:
	.size	_ZN7rocprim17ROCPRIM_400000_NS6detail17trampoline_kernelINS0_14default_configENS1_29reduce_by_key_config_selectorIjyN6thrust23THRUST_200600_302600_NS4plusIyEEEEZZNS1_33reduce_by_key_impl_wrapped_configILNS1_25lookback_scan_determinismE0ES3_S9_NS6_6detail15normal_iteratorINS6_10device_ptrIjEEEENSD_INSE_IyEEEENS6_16discard_iteratorINS6_11use_defaultEEESI_PmS8_NS6_8equal_toIjEEEE10hipError_tPvRmT2_T3_mT4_T5_T6_T7_T8_P12ihipStream_tbENKUlT_T0_E_clISt17integral_constantIbLb0EES15_IbLb1EEEEDaS11_S12_EUlS11_E_NS1_11comp_targetILNS1_3genE10ELNS1_11target_archE1200ELNS1_3gpuE4ELNS1_3repE0EEENS1_30default_config_static_selectorELNS0_4arch9wavefront6targetE0EEEvT1_, .Lfunc_end910-_ZN7rocprim17ROCPRIM_400000_NS6detail17trampoline_kernelINS0_14default_configENS1_29reduce_by_key_config_selectorIjyN6thrust23THRUST_200600_302600_NS4plusIyEEEEZZNS1_33reduce_by_key_impl_wrapped_configILNS1_25lookback_scan_determinismE0ES3_S9_NS6_6detail15normal_iteratorINS6_10device_ptrIjEEEENSD_INSE_IyEEEENS6_16discard_iteratorINS6_11use_defaultEEESI_PmS8_NS6_8equal_toIjEEEE10hipError_tPvRmT2_T3_mT4_T5_T6_T7_T8_P12ihipStream_tbENKUlT_T0_E_clISt17integral_constantIbLb0EES15_IbLb1EEEEDaS11_S12_EUlS11_E_NS1_11comp_targetILNS1_3genE10ELNS1_11target_archE1200ELNS1_3gpuE4ELNS1_3repE0EEENS1_30default_config_static_selectorELNS0_4arch9wavefront6targetE0EEEvT1_
                                        ; -- End function
	.section	.AMDGPU.csdata,"",@progbits
; Kernel info:
; codeLenInByte = 0
; NumSgprs: 0
; NumVgprs: 0
; ScratchSize: 0
; MemoryBound: 0
; FloatMode: 240
; IeeeMode: 1
; LDSByteSize: 0 bytes/workgroup (compile time only)
; SGPRBlocks: 0
; VGPRBlocks: 0
; NumSGPRsForWavesPerEU: 1
; NumVGPRsForWavesPerEU: 1
; Occupancy: 16
; WaveLimiterHint : 0
; COMPUTE_PGM_RSRC2:SCRATCH_EN: 0
; COMPUTE_PGM_RSRC2:USER_SGPR: 15
; COMPUTE_PGM_RSRC2:TRAP_HANDLER: 0
; COMPUTE_PGM_RSRC2:TGID_X_EN: 1
; COMPUTE_PGM_RSRC2:TGID_Y_EN: 0
; COMPUTE_PGM_RSRC2:TGID_Z_EN: 0
; COMPUTE_PGM_RSRC2:TIDIG_COMP_CNT: 0
	.section	.text._ZN7rocprim17ROCPRIM_400000_NS6detail17trampoline_kernelINS0_14default_configENS1_29reduce_by_key_config_selectorIjyN6thrust23THRUST_200600_302600_NS4plusIyEEEEZZNS1_33reduce_by_key_impl_wrapped_configILNS1_25lookback_scan_determinismE0ES3_S9_NS6_6detail15normal_iteratorINS6_10device_ptrIjEEEENSD_INSE_IyEEEENS6_16discard_iteratorINS6_11use_defaultEEESI_PmS8_NS6_8equal_toIjEEEE10hipError_tPvRmT2_T3_mT4_T5_T6_T7_T8_P12ihipStream_tbENKUlT_T0_E_clISt17integral_constantIbLb0EES15_IbLb1EEEEDaS11_S12_EUlS11_E_NS1_11comp_targetILNS1_3genE9ELNS1_11target_archE1100ELNS1_3gpuE3ELNS1_3repE0EEENS1_30default_config_static_selectorELNS0_4arch9wavefront6targetE0EEEvT1_,"axG",@progbits,_ZN7rocprim17ROCPRIM_400000_NS6detail17trampoline_kernelINS0_14default_configENS1_29reduce_by_key_config_selectorIjyN6thrust23THRUST_200600_302600_NS4plusIyEEEEZZNS1_33reduce_by_key_impl_wrapped_configILNS1_25lookback_scan_determinismE0ES3_S9_NS6_6detail15normal_iteratorINS6_10device_ptrIjEEEENSD_INSE_IyEEEENS6_16discard_iteratorINS6_11use_defaultEEESI_PmS8_NS6_8equal_toIjEEEE10hipError_tPvRmT2_T3_mT4_T5_T6_T7_T8_P12ihipStream_tbENKUlT_T0_E_clISt17integral_constantIbLb0EES15_IbLb1EEEEDaS11_S12_EUlS11_E_NS1_11comp_targetILNS1_3genE9ELNS1_11target_archE1100ELNS1_3gpuE3ELNS1_3repE0EEENS1_30default_config_static_selectorELNS0_4arch9wavefront6targetE0EEEvT1_,comdat
	.protected	_ZN7rocprim17ROCPRIM_400000_NS6detail17trampoline_kernelINS0_14default_configENS1_29reduce_by_key_config_selectorIjyN6thrust23THRUST_200600_302600_NS4plusIyEEEEZZNS1_33reduce_by_key_impl_wrapped_configILNS1_25lookback_scan_determinismE0ES3_S9_NS6_6detail15normal_iteratorINS6_10device_ptrIjEEEENSD_INSE_IyEEEENS6_16discard_iteratorINS6_11use_defaultEEESI_PmS8_NS6_8equal_toIjEEEE10hipError_tPvRmT2_T3_mT4_T5_T6_T7_T8_P12ihipStream_tbENKUlT_T0_E_clISt17integral_constantIbLb0EES15_IbLb1EEEEDaS11_S12_EUlS11_E_NS1_11comp_targetILNS1_3genE9ELNS1_11target_archE1100ELNS1_3gpuE3ELNS1_3repE0EEENS1_30default_config_static_selectorELNS0_4arch9wavefront6targetE0EEEvT1_ ; -- Begin function _ZN7rocprim17ROCPRIM_400000_NS6detail17trampoline_kernelINS0_14default_configENS1_29reduce_by_key_config_selectorIjyN6thrust23THRUST_200600_302600_NS4plusIyEEEEZZNS1_33reduce_by_key_impl_wrapped_configILNS1_25lookback_scan_determinismE0ES3_S9_NS6_6detail15normal_iteratorINS6_10device_ptrIjEEEENSD_INSE_IyEEEENS6_16discard_iteratorINS6_11use_defaultEEESI_PmS8_NS6_8equal_toIjEEEE10hipError_tPvRmT2_T3_mT4_T5_T6_T7_T8_P12ihipStream_tbENKUlT_T0_E_clISt17integral_constantIbLb0EES15_IbLb1EEEEDaS11_S12_EUlS11_E_NS1_11comp_targetILNS1_3genE9ELNS1_11target_archE1100ELNS1_3gpuE3ELNS1_3repE0EEENS1_30default_config_static_selectorELNS0_4arch9wavefront6targetE0EEEvT1_
	.globl	_ZN7rocprim17ROCPRIM_400000_NS6detail17trampoline_kernelINS0_14default_configENS1_29reduce_by_key_config_selectorIjyN6thrust23THRUST_200600_302600_NS4plusIyEEEEZZNS1_33reduce_by_key_impl_wrapped_configILNS1_25lookback_scan_determinismE0ES3_S9_NS6_6detail15normal_iteratorINS6_10device_ptrIjEEEENSD_INSE_IyEEEENS6_16discard_iteratorINS6_11use_defaultEEESI_PmS8_NS6_8equal_toIjEEEE10hipError_tPvRmT2_T3_mT4_T5_T6_T7_T8_P12ihipStream_tbENKUlT_T0_E_clISt17integral_constantIbLb0EES15_IbLb1EEEEDaS11_S12_EUlS11_E_NS1_11comp_targetILNS1_3genE9ELNS1_11target_archE1100ELNS1_3gpuE3ELNS1_3repE0EEENS1_30default_config_static_selectorELNS0_4arch9wavefront6targetE0EEEvT1_
	.p2align	8
	.type	_ZN7rocprim17ROCPRIM_400000_NS6detail17trampoline_kernelINS0_14default_configENS1_29reduce_by_key_config_selectorIjyN6thrust23THRUST_200600_302600_NS4plusIyEEEEZZNS1_33reduce_by_key_impl_wrapped_configILNS1_25lookback_scan_determinismE0ES3_S9_NS6_6detail15normal_iteratorINS6_10device_ptrIjEEEENSD_INSE_IyEEEENS6_16discard_iteratorINS6_11use_defaultEEESI_PmS8_NS6_8equal_toIjEEEE10hipError_tPvRmT2_T3_mT4_T5_T6_T7_T8_P12ihipStream_tbENKUlT_T0_E_clISt17integral_constantIbLb0EES15_IbLb1EEEEDaS11_S12_EUlS11_E_NS1_11comp_targetILNS1_3genE9ELNS1_11target_archE1100ELNS1_3gpuE3ELNS1_3repE0EEENS1_30default_config_static_selectorELNS0_4arch9wavefront6targetE0EEEvT1_,@function
_ZN7rocprim17ROCPRIM_400000_NS6detail17trampoline_kernelINS0_14default_configENS1_29reduce_by_key_config_selectorIjyN6thrust23THRUST_200600_302600_NS4plusIyEEEEZZNS1_33reduce_by_key_impl_wrapped_configILNS1_25lookback_scan_determinismE0ES3_S9_NS6_6detail15normal_iteratorINS6_10device_ptrIjEEEENSD_INSE_IyEEEENS6_16discard_iteratorINS6_11use_defaultEEESI_PmS8_NS6_8equal_toIjEEEE10hipError_tPvRmT2_T3_mT4_T5_T6_T7_T8_P12ihipStream_tbENKUlT_T0_E_clISt17integral_constantIbLb0EES15_IbLb1EEEEDaS11_S12_EUlS11_E_NS1_11comp_targetILNS1_3genE9ELNS1_11target_archE1100ELNS1_3gpuE3ELNS1_3repE0EEENS1_30default_config_static_selectorELNS0_4arch9wavefront6targetE0EEEvT1_: ; @_ZN7rocprim17ROCPRIM_400000_NS6detail17trampoline_kernelINS0_14default_configENS1_29reduce_by_key_config_selectorIjyN6thrust23THRUST_200600_302600_NS4plusIyEEEEZZNS1_33reduce_by_key_impl_wrapped_configILNS1_25lookback_scan_determinismE0ES3_S9_NS6_6detail15normal_iteratorINS6_10device_ptrIjEEEENSD_INSE_IyEEEENS6_16discard_iteratorINS6_11use_defaultEEESI_PmS8_NS6_8equal_toIjEEEE10hipError_tPvRmT2_T3_mT4_T5_T6_T7_T8_P12ihipStream_tbENKUlT_T0_E_clISt17integral_constantIbLb0EES15_IbLb1EEEEDaS11_S12_EUlS11_E_NS1_11comp_targetILNS1_3genE9ELNS1_11target_archE1100ELNS1_3gpuE3ELNS1_3repE0EEENS1_30default_config_static_selectorELNS0_4arch9wavefront6targetE0EEEvT1_
; %bb.0:
	s_clause 0x2
	s_load_b128 s[4:7], s[0:1], 0x0
	s_load_b64 s[8:9], s[0:1], 0x10
	s_load_b64 s[18:19], s[0:1], 0x80
	v_cmp_ne_u32_e64 s3, 0, v0
	v_cmp_eq_u32_e64 s2, 0, v0
	s_delay_alu instid0(VALU_DEP_1)
	s_and_saveexec_b32 s10, s2
	s_cbranch_execz .LBB911_4
; %bb.1:
	s_mov_b32 s12, exec_lo
	s_mov_b32 s11, exec_lo
	v_mbcnt_lo_u32_b32 v1, s12, 0
                                        ; implicit-def: $vgpr2
	s_delay_alu instid0(VALU_DEP_1)
	v_cmpx_eq_u32_e32 0, v1
	s_cbranch_execz .LBB911_3
; %bb.2:
	s_load_b64 s[14:15], s[0:1], 0x88
	s_bcnt1_i32_b32 s12, s12
	s_delay_alu instid0(SALU_CYCLE_1)
	v_dual_mov_b32 v2, 0 :: v_dual_mov_b32 v3, s12
	s_waitcnt lgkmcnt(0)
	global_atomic_add_u32 v2, v2, v3, s[14:15] glc
.LBB911_3:
	s_or_b32 exec_lo, exec_lo, s11
	s_waitcnt vmcnt(0)
	v_readfirstlane_b32 s11, v2
	s_delay_alu instid0(VALU_DEP_1)
	v_dual_mov_b32 v2, 0 :: v_dual_add_nc_u32 v1, s11, v1
	ds_store_b32 v2, v1
.LBB911_4:
	s_or_b32 exec_lo, exec_lo, s10
	v_mov_b32_e32 v2, 0
	s_clause 0x1
	s_load_b128 s[20:23], s[0:1], 0x28
	s_load_b512 s[36:51], s[0:1], 0x40
	s_waitcnt lgkmcnt(0)
	s_barrier
	buffer_gl0_inv
	ds_load_b32 v1, v2
	s_lshl_b64 s[0:1], s[6:7], 2
	v_lshlrev_b32_e32 v74, 2, v0
	s_add_u32 s14, s4, s0
	s_addc_u32 s1, s5, s1
	s_lshl_b64 s[4:5], s[6:7], 3
	v_mad_u32_u24 v47, v0, 15, 1
	s_add_u32 s6, s8, s4
	s_addc_u32 s7, s9, s5
	v_mad_u32_u24 v49, v0, 15, 2
	v_mad_u32_u24 v51, v0, 15, 3
	;; [unrolled: 1-line block ×7, first 2 shown]
	s_mul_i32 s10, s44, s43
	s_mul_hi_u32 s11, s44, s42
	s_mul_i32 s12, s45, s42
	s_add_i32 s4, s11, s10
	s_waitcnt lgkmcnt(0)
	v_readfirstlane_b32 s28, v1
	v_mul_lo_u32 v1, 0xf00, v1
	s_mul_i32 s13, s44, s42
	s_add_i32 s4, s4, s12
	v_mad_u32_u24 v63, v0, 15, 9
	s_add_u32 s24, s13, s28
	s_addc_u32 s25, s4, 0
	s_add_u32 s4, s46, -1
	s_addc_u32 s5, s47, -1
	v_lshlrev_b64 v[3:4], 2, v[1:2]
	v_lshlrev_b64 v[1:2], 3, v[1:2]
	s_cmp_eq_u64 s[24:25], s[4:5]
	v_mad_u32_u24 v65, v0, 15, 10
	v_mad_u32_u24 v67, v0, 15, 11
	;; [unrolled: 1-line block ×3, first 2 shown]
	v_add_co_u32 v48, vcc_lo, s14, v3
	v_add_co_ci_u32_e32 v46, vcc_lo, s1, v4, vcc_lo
	v_add_co_u32 v50, vcc_lo, s6, v1
	v_add_co_ci_u32_e32 v52, vcc_lo, s7, v2, vcc_lo
	v_mad_u32_u24 v71, v0, 15, 13
	v_mad_u32_u24 v45, v0, 15, 14
	s_cselect_b32 s17, -1, 0
	s_cmp_lg_u64 s[24:25], s[4:5]
	s_mov_b32 s0, 0
	s_cselect_b32 s29, -1, 0
	s_and_b32 vcc_lo, exec_lo, s17
	s_mul_i32 s26, s4, 0xfffff100
	s_barrier
	buffer_gl0_inv
	s_cbranch_vccnz .LBB911_6
; %bb.5:
	v_add_co_u32 v1, vcc_lo, v48, v74
	v_add_co_ci_u32_e32 v2, vcc_lo, 0, v46, vcc_lo
	v_mad_u32_u24 v54, v0, 56, v74
	s_delay_alu instid0(VALU_DEP_3) | instskip(NEXT) | instid1(VALU_DEP_3)
	v_add_co_u32 v3, vcc_lo, 0x1000, v1
	v_add_co_ci_u32_e32 v4, vcc_lo, 0, v2, vcc_lo
	s_clause 0x7
	flat_load_b32 v5, v[1:2]
	flat_load_b32 v6, v[1:2] offset:1024
	flat_load_b32 v7, v[1:2] offset:2048
	;; [unrolled: 1-line block ×3, first 2 shown]
	flat_load_b32 v9, v[3:4]
	flat_load_b32 v10, v[3:4] offset:1024
	flat_load_b32 v11, v[3:4] offset:2048
	;; [unrolled: 1-line block ×3, first 2 shown]
	v_add_co_u32 v3, vcc_lo, 0x2000, v1
	v_add_co_ci_u32_e32 v4, vcc_lo, 0, v2, vcc_lo
	v_add_co_u32 v1, vcc_lo, 0x3000, v1
	v_add_co_ci_u32_e32 v2, vcc_lo, 0, v2, vcc_lo
	s_clause 0x6
	flat_load_b32 v13, v[3:4]
	flat_load_b32 v14, v[3:4] offset:1024
	flat_load_b32 v31, v[3:4] offset:2048
	;; [unrolled: 1-line block ×3, first 2 shown]
	flat_load_b32 v4, v[1:2]
	flat_load_b32 v32, v[1:2] offset:1024
	flat_load_b32 v1, v[1:2] offset:2048
	v_lshlrev_b32_e32 v2, 3, v0
	v_mul_u32_u24_e32 v58, 15, v0
	s_waitcnt vmcnt(13) lgkmcnt(13)
	ds_store_2addr_stride64_b32 v74, v5, v6 offset1:4
	s_waitcnt vmcnt(11) lgkmcnt(12)
	ds_store_2addr_stride64_b32 v74, v7, v8 offset0:8 offset1:12
	s_waitcnt vmcnt(9) lgkmcnt(11)
	ds_store_2addr_stride64_b32 v74, v9, v10 offset0:16 offset1:20
	;; [unrolled: 2-line block ×6, first 2 shown]
	s_waitcnt vmcnt(0) lgkmcnt(7)
	ds_store_b32 v74, v1 offset:14336
	v_add_co_u32 v15, vcc_lo, v50, v2
	v_add_co_ci_u32_e32 v16, vcc_lo, 0, v52, vcc_lo
	s_waitcnt lgkmcnt(0)
	s_delay_alu instid0(VALU_DEP_2) | instskip(NEXT) | instid1(VALU_DEP_2)
	v_add_co_u32 v17, vcc_lo, 0x1000, v15
	v_add_co_ci_u32_e32 v18, vcc_lo, 0, v16, vcc_lo
	v_add_co_u32 v19, vcc_lo, 0x2000, v15
	v_add_co_ci_u32_e32 v20, vcc_lo, 0, v16, vcc_lo
	v_add_co_u32 v21, vcc_lo, 0x3000, v15
	v_add_co_ci_u32_e32 v22, vcc_lo, 0, v16, vcc_lo
	v_add_co_u32 v23, vcc_lo, 0x4000, v15
	v_add_co_ci_u32_e32 v24, vcc_lo, 0, v16, vcc_lo
	v_add_co_u32 v25, vcc_lo, 0x5000, v15
	v_add_co_ci_u32_e32 v26, vcc_lo, 0, v16, vcc_lo
	v_add_co_u32 v27, vcc_lo, 0x6000, v15
	v_add_co_ci_u32_e32 v28, vcc_lo, 0, v16, vcc_lo
	v_add_co_u32 v29, vcc_lo, 0x7000, v15
	v_add_co_ci_u32_e32 v30, vcc_lo, 0, v16, vcc_lo
	s_barrier
	buffer_gl0_inv
	ds_load_2addr_b32 v[13:14], v54 offset1:1
	ds_load_2addr_b32 v[11:12], v54 offset0:2 offset1:3
	ds_load_2addr_b32 v[9:10], v54 offset0:4 offset1:5
	;; [unrolled: 1-line block ×6, first 2 shown]
	ds_load_b32 v81, v54 offset:56
	s_waitcnt lgkmcnt(0)
	s_barrier
	buffer_gl0_inv
	s_clause 0xe
	flat_load_b64 v[31:32], v[15:16]
	flat_load_b64 v[15:16], v[15:16] offset:2048
	flat_load_b64 v[33:34], v[17:18]
	flat_load_b64 v[17:18], v[17:18] offset:2048
	flat_load_b64 v[35:36], v[19:20]
	flat_load_b64 v[19:20], v[19:20] offset:2048
	flat_load_b64 v[37:38], v[21:22]
	flat_load_b64 v[21:22], v[21:22] offset:2048
	flat_load_b64 v[39:40], v[23:24]
	flat_load_b64 v[23:24], v[23:24] offset:2048
	flat_load_b64 v[41:42], v[25:26]
	flat_load_b64 v[25:26], v[25:26] offset:2048
	flat_load_b64 v[43:44], v[27:28]
	flat_load_b64 v[27:28], v[27:28] offset:2048
	flat_load_b64 v[29:30], v[29:30]
	v_mad_i32_i24 v54, 0xffffffcc, v0, v54
	s_waitcnt vmcnt(13) lgkmcnt(13)
	ds_store_2addr_stride64_b64 v54, v[31:32], v[15:16] offset1:4
	s_waitcnt vmcnt(11) lgkmcnt(12)
	ds_store_2addr_stride64_b64 v54, v[33:34], v[17:18] offset0:8 offset1:12
	s_waitcnt vmcnt(9) lgkmcnt(11)
	ds_store_2addr_stride64_b64 v54, v[35:36], v[19:20] offset0:16 offset1:20
	;; [unrolled: 2-line block ×6, first 2 shown]
	s_waitcnt vmcnt(0) lgkmcnt(7)
	ds_store_b64 v54, v[29:30] offset:28672
	s_waitcnt lgkmcnt(0)
	s_barrier
	s_branch .LBB911_7
.LBB911_6:
	s_mov_b32 s0, -1
                                        ; implicit-def: $vgpr58
                                        ; implicit-def: $vgpr13
                                        ; implicit-def: $vgpr11
                                        ; implicit-def: $vgpr9
                                        ; implicit-def: $vgpr7
                                        ; implicit-def: $vgpr5
                                        ; implicit-def: $vgpr3
                                        ; implicit-def: $vgpr1
                                        ; implicit-def: $vgpr81
.LBB911_7:
	v_dual_mov_b32 v54, v45 :: v_dual_mov_b32 v73, v55
	v_dual_mov_b32 v60, v71 :: v_dual_mov_b32 v75, v53
	v_mov_b32_e32 v66, v69
	v_dual_mov_b32 v68, v67 :: v_dual_mov_b32 v77, v49
	v_mov_b32_e32 v56, v65
	v_mov_b32_e32 v62, v63
	;; [unrolled: 1-line block ×7, first 2 shown]
	s_and_not1_b32 vcc_lo, exec_lo, s0
	s_add_i32 s26, s26, s48
	s_cbranch_vccnz .LBB911_69
; %bb.8:
	v_cmp_gt_u32_e32 vcc_lo, s26, v0
                                        ; implicit-def: $vgpr1
	s_and_saveexec_b32 s1, vcc_lo
	s_cbranch_execz .LBB911_10
; %bb.9:
	v_add_co_u32 v1, s0, v48, v74
	s_delay_alu instid0(VALU_DEP_1)
	v_add_co_ci_u32_e64 v2, s0, 0, v46, s0
	flat_load_b32 v1, v[1:2]
.LBB911_10:
	s_or_b32 exec_lo, exec_lo, s1
	v_or_b32_e32 v2, 0x100, v0
	s_delay_alu instid0(VALU_DEP_1) | instskip(NEXT) | instid1(VALU_DEP_1)
	v_cmp_gt_u32_e64 s0, s26, v2
                                        ; implicit-def: $vgpr2
	s_and_saveexec_b32 s4, s0
	s_cbranch_execz .LBB911_12
; %bb.11:
	v_add_co_u32 v2, s1, v48, v74
	s_delay_alu instid0(VALU_DEP_1)
	v_add_co_ci_u32_e64 v3, s1, 0, v46, s1
	flat_load_b32 v2, v[2:3] offset:1024
.LBB911_12:
	s_or_b32 exec_lo, exec_lo, s4
	v_or_b32_e32 v21, 0x200, v0
                                        ; implicit-def: $vgpr3
	s_delay_alu instid0(VALU_DEP_1) | instskip(NEXT) | instid1(VALU_DEP_1)
	v_cmp_gt_u32_e64 s1, s26, v21
	s_and_saveexec_b32 s5, s1
	s_cbranch_execz .LBB911_14
; %bb.13:
	v_add_co_u32 v3, s4, v48, v74
	s_delay_alu instid0(VALU_DEP_1)
	v_add_co_ci_u32_e64 v4, s4, 0, v46, s4
	flat_load_b32 v3, v[3:4] offset:2048
.LBB911_14:
	s_or_b32 exec_lo, exec_lo, s5
	v_or_b32_e32 v23, 0x300, v0
                                        ; implicit-def: $vgpr4
	s_delay_alu instid0(VALU_DEP_1) | instskip(NEXT) | instid1(VALU_DEP_1)
	v_cmp_gt_u32_e64 s4, s26, v23
	s_and_saveexec_b32 s6, s4
	s_cbranch_execz .LBB911_16
; %bb.15:
	v_add_co_u32 v4, s5, v48, v74
	s_delay_alu instid0(VALU_DEP_1)
	v_add_co_ci_u32_e64 v5, s5, 0, v46, s5
	flat_load_b32 v4, v[4:5] offset:3072
.LBB911_16:
	s_or_b32 exec_lo, exec_lo, s6
	v_or_b32_e32 v25, 0x400, v0
                                        ; implicit-def: $vgpr5
	s_delay_alu instid0(VALU_DEP_1) | instskip(NEXT) | instid1(VALU_DEP_1)
	v_cmp_gt_u32_e64 s5, s26, v25
	s_and_saveexec_b32 s7, s5
	s_cbranch_execz .LBB911_18
; %bb.17:
	v_lshlrev_b32_e32 v5, 2, v25
	s_delay_alu instid0(VALU_DEP_1) | instskip(NEXT) | instid1(VALU_DEP_1)
	v_add_co_u32 v5, s6, v48, v5
	v_add_co_ci_u32_e64 v6, s6, 0, v46, s6
	flat_load_b32 v5, v[5:6]
.LBB911_18:
	s_or_b32 exec_lo, exec_lo, s7
	v_or_b32_e32 v27, 0x500, v0
                                        ; implicit-def: $vgpr6
	s_delay_alu instid0(VALU_DEP_1) | instskip(NEXT) | instid1(VALU_DEP_1)
	v_cmp_gt_u32_e64 s6, s26, v27
	s_and_saveexec_b32 s8, s6
	s_cbranch_execz .LBB911_20
; %bb.19:
	v_lshlrev_b32_e32 v6, 2, v27
	s_delay_alu instid0(VALU_DEP_1) | instskip(NEXT) | instid1(VALU_DEP_1)
	v_add_co_u32 v6, s7, v48, v6
	v_add_co_ci_u32_e64 v7, s7, 0, v46, s7
	flat_load_b32 v6, v[6:7]
.LBB911_20:
	s_or_b32 exec_lo, exec_lo, s8
	v_or_b32_e32 v29, 0x600, v0
                                        ; implicit-def: $vgpr7
	s_delay_alu instid0(VALU_DEP_1) | instskip(NEXT) | instid1(VALU_DEP_1)
	v_cmp_gt_u32_e64 s7, s26, v29
	s_and_saveexec_b32 s9, s7
	s_cbranch_execz .LBB911_22
; %bb.21:
	v_lshlrev_b32_e32 v7, 2, v29
	s_delay_alu instid0(VALU_DEP_1) | instskip(NEXT) | instid1(VALU_DEP_1)
	v_add_co_u32 v7, s8, v48, v7
	v_add_co_ci_u32_e64 v8, s8, 0, v46, s8
	flat_load_b32 v7, v[7:8]
.LBB911_22:
	s_or_b32 exec_lo, exec_lo, s9
	v_or_b32_e32 v31, 0x700, v0
                                        ; implicit-def: $vgpr8
	s_delay_alu instid0(VALU_DEP_1) | instskip(NEXT) | instid1(VALU_DEP_1)
	v_cmp_gt_u32_e64 s8, s26, v31
	s_and_saveexec_b32 s10, s8
	s_cbranch_execz .LBB911_24
; %bb.23:
	v_lshlrev_b32_e32 v8, 2, v31
	s_delay_alu instid0(VALU_DEP_1) | instskip(NEXT) | instid1(VALU_DEP_1)
	v_add_co_u32 v8, s9, v48, v8
	v_add_co_ci_u32_e64 v9, s9, 0, v46, s9
	flat_load_b32 v8, v[8:9]
.LBB911_24:
	s_or_b32 exec_lo, exec_lo, s10
	v_or_b32_e32 v33, 0x800, v0
                                        ; implicit-def: $vgpr9
	s_delay_alu instid0(VALU_DEP_1) | instskip(NEXT) | instid1(VALU_DEP_1)
	v_cmp_gt_u32_e64 s9, s26, v33
	s_and_saveexec_b32 s11, s9
	s_cbranch_execz .LBB911_26
; %bb.25:
	v_lshlrev_b32_e32 v9, 2, v33
	s_delay_alu instid0(VALU_DEP_1) | instskip(NEXT) | instid1(VALU_DEP_1)
	v_add_co_u32 v9, s10, v48, v9
	v_add_co_ci_u32_e64 v10, s10, 0, v46, s10
	flat_load_b32 v9, v[9:10]
.LBB911_26:
	s_or_b32 exec_lo, exec_lo, s11
	v_or_b32_e32 v35, 0x900, v0
                                        ; implicit-def: $vgpr10
	s_delay_alu instid0(VALU_DEP_1) | instskip(NEXT) | instid1(VALU_DEP_1)
	v_cmp_gt_u32_e64 s10, s26, v35
	s_and_saveexec_b32 s12, s10
	s_cbranch_execz .LBB911_28
; %bb.27:
	v_lshlrev_b32_e32 v10, 2, v35
	s_delay_alu instid0(VALU_DEP_1) | instskip(NEXT) | instid1(VALU_DEP_1)
	v_add_co_u32 v10, s11, v48, v10
	v_add_co_ci_u32_e64 v11, s11, 0, v46, s11
	flat_load_b32 v10, v[10:11]
.LBB911_28:
	s_or_b32 exec_lo, exec_lo, s12
	v_or_b32_e32 v37, 0xa00, v0
                                        ; implicit-def: $vgpr11
	s_delay_alu instid0(VALU_DEP_1) | instskip(NEXT) | instid1(VALU_DEP_1)
	v_cmp_gt_u32_e64 s11, s26, v37
	s_and_saveexec_b32 s13, s11
	s_cbranch_execz .LBB911_30
; %bb.29:
	v_lshlrev_b32_e32 v11, 2, v37
	s_delay_alu instid0(VALU_DEP_1) | instskip(NEXT) | instid1(VALU_DEP_1)
	v_add_co_u32 v11, s12, v48, v11
	v_add_co_ci_u32_e64 v12, s12, 0, v46, s12
	flat_load_b32 v11, v[11:12]
.LBB911_30:
	s_or_b32 exec_lo, exec_lo, s13
	v_or_b32_e32 v39, 0xb00, v0
                                        ; implicit-def: $vgpr12
	s_delay_alu instid0(VALU_DEP_1) | instskip(NEXT) | instid1(VALU_DEP_1)
	v_cmp_gt_u32_e64 s12, s26, v39
	s_and_saveexec_b32 s14, s12
	s_cbranch_execz .LBB911_32
; %bb.31:
	v_lshlrev_b32_e32 v12, 2, v39
	s_delay_alu instid0(VALU_DEP_1) | instskip(NEXT) | instid1(VALU_DEP_1)
	v_add_co_u32 v12, s13, v48, v12
	v_add_co_ci_u32_e64 v13, s13, 0, v46, s13
	flat_load_b32 v12, v[12:13]
.LBB911_32:
	s_or_b32 exec_lo, exec_lo, s14
	v_or_b32_e32 v41, 0xc00, v0
                                        ; implicit-def: $vgpr13
	s_delay_alu instid0(VALU_DEP_1) | instskip(NEXT) | instid1(VALU_DEP_1)
	v_cmp_gt_u32_e64 s13, s26, v41
	s_and_saveexec_b32 s15, s13
	s_cbranch_execz .LBB911_34
; %bb.33:
	v_lshlrev_b32_e32 v13, 2, v41
	s_delay_alu instid0(VALU_DEP_1) | instskip(NEXT) | instid1(VALU_DEP_1)
	v_add_co_u32 v13, s14, v48, v13
	v_add_co_ci_u32_e64 v14, s14, 0, v46, s14
	flat_load_b32 v13, v[13:14]
.LBB911_34:
	s_or_b32 exec_lo, exec_lo, s15
	v_or_b32_e32 v43, 0xd00, v0
                                        ; implicit-def: $vgpr14
	s_delay_alu instid0(VALU_DEP_1) | instskip(NEXT) | instid1(VALU_DEP_1)
	v_cmp_gt_u32_e64 s14, s26, v43
	s_and_saveexec_b32 s16, s14
	s_cbranch_execz .LBB911_36
; %bb.35:
	v_lshlrev_b32_e32 v14, 2, v43
	s_delay_alu instid0(VALU_DEP_1) | instskip(NEXT) | instid1(VALU_DEP_1)
	v_add_co_u32 v14, s15, v48, v14
	v_add_co_ci_u32_e64 v15, s15, 0, v46, s15
	flat_load_b32 v14, v[14:15]
.LBB911_36:
	s_or_b32 exec_lo, exec_lo, s16
	v_or_b32_e32 v56, 0xe00, v0
                                        ; implicit-def: $vgpr15
	s_delay_alu instid0(VALU_DEP_1) | instskip(NEXT) | instid1(VALU_DEP_1)
	v_cmp_gt_u32_e64 s15, s26, v56
	s_and_saveexec_b32 s27, s15
	s_cbranch_execz .LBB911_38
; %bb.37:
	v_lshlrev_b32_e32 v15, 2, v56
	s_delay_alu instid0(VALU_DEP_1) | instskip(NEXT) | instid1(VALU_DEP_1)
	v_add_co_u32 v15, s16, v48, v15
	v_add_co_ci_u32_e64 v16, s16, 0, v46, s16
	flat_load_b32 v15, v[15:16]
.LBB911_38:
	s_or_b32 exec_lo, exec_lo, s27
	v_mad_u32_u24 v54, v0, 56, v74
	s_waitcnt vmcnt(0) lgkmcnt(0)
	ds_store_2addr_stride64_b32 v74, v1, v2 offset1:4
	ds_store_2addr_stride64_b32 v74, v3, v4 offset0:8 offset1:12
	ds_store_2addr_stride64_b32 v74, v5, v6 offset0:16 offset1:20
	;; [unrolled: 1-line block ×6, first 2 shown]
	ds_store_b32 v74, v15 offset:14336
	s_waitcnt lgkmcnt(0)
	s_barrier
	buffer_gl0_inv
	ds_load_2addr_b32 v[13:14], v54 offset1:1
	ds_load_2addr_b32 v[11:12], v54 offset0:2 offset1:3
	ds_load_2addr_b32 v[9:10], v54 offset0:4 offset1:5
	;; [unrolled: 1-line block ×6, first 2 shown]
	ds_load_b32 v81, v54 offset:56
	s_waitcnt lgkmcnt(0)
	s_barrier
	buffer_gl0_inv
                                        ; implicit-def: $vgpr15_vgpr16
	s_and_saveexec_b32 s16, vcc_lo
	s_cbranch_execz .LBB911_52
; %bb.39:
	v_lshlrev_b32_e32 v15, 3, v0
	s_delay_alu instid0(VALU_DEP_1)
	v_add_co_u32 v15, vcc_lo, v50, v15
	v_add_co_ci_u32_e32 v16, vcc_lo, 0, v52, vcc_lo
	flat_load_b64 v[15:16], v[15:16]
	s_or_b32 exec_lo, exec_lo, s16
                                        ; implicit-def: $vgpr17_vgpr18
	s_and_saveexec_b32 s16, s0
	s_cbranch_execnz .LBB911_53
.LBB911_40:
	s_or_b32 exec_lo, exec_lo, s16
                                        ; implicit-def: $vgpr19_vgpr20
	s_and_saveexec_b32 s0, s1
	s_cbranch_execz .LBB911_54
.LBB911_41:
	v_lshlrev_b32_e32 v19, 3, v21
	s_delay_alu instid0(VALU_DEP_1)
	v_add_co_u32 v19, vcc_lo, v50, v19
	v_add_co_ci_u32_e32 v20, vcc_lo, 0, v52, vcc_lo
	flat_load_b64 v[19:20], v[19:20]
	s_or_b32 exec_lo, exec_lo, s0
                                        ; implicit-def: $vgpr21_vgpr22
	s_and_saveexec_b32 s0, s4
	s_cbranch_execnz .LBB911_55
.LBB911_42:
	s_or_b32 exec_lo, exec_lo, s0
                                        ; implicit-def: $vgpr23_vgpr24
	s_and_saveexec_b32 s0, s5
	s_cbranch_execz .LBB911_56
.LBB911_43:
	v_lshlrev_b32_e32 v23, 3, v25
	s_delay_alu instid0(VALU_DEP_1)
	v_add_co_u32 v23, vcc_lo, v50, v23
	v_add_co_ci_u32_e32 v24, vcc_lo, 0, v52, vcc_lo
	flat_load_b64 v[23:24], v[23:24]
	s_or_b32 exec_lo, exec_lo, s0
                                        ; implicit-def: $vgpr25_vgpr26
	s_and_saveexec_b32 s0, s6
	s_cbranch_execnz .LBB911_57
.LBB911_44:
	s_or_b32 exec_lo, exec_lo, s0
                                        ; implicit-def: $vgpr27_vgpr28
	s_and_saveexec_b32 s0, s7
	s_cbranch_execz .LBB911_58
.LBB911_45:
	v_lshlrev_b32_e32 v27, 3, v29
	s_delay_alu instid0(VALU_DEP_1)
	v_add_co_u32 v27, vcc_lo, v50, v27
	v_add_co_ci_u32_e32 v28, vcc_lo, 0, v52, vcc_lo
	flat_load_b64 v[27:28], v[27:28]
	s_or_b32 exec_lo, exec_lo, s0
                                        ; implicit-def: $vgpr29_vgpr30
	s_and_saveexec_b32 s0, s8
	s_cbranch_execnz .LBB911_59
.LBB911_46:
	s_or_b32 exec_lo, exec_lo, s0
                                        ; implicit-def: $vgpr31_vgpr32
	s_and_saveexec_b32 s0, s9
	s_cbranch_execz .LBB911_60
.LBB911_47:
	v_lshlrev_b32_e32 v31, 3, v33
	s_delay_alu instid0(VALU_DEP_1)
	v_add_co_u32 v31, vcc_lo, v50, v31
	v_add_co_ci_u32_e32 v32, vcc_lo, 0, v52, vcc_lo
	flat_load_b64 v[31:32], v[31:32]
	s_or_b32 exec_lo, exec_lo, s0
                                        ; implicit-def: $vgpr33_vgpr34
	s_and_saveexec_b32 s0, s10
	s_cbranch_execnz .LBB911_61
.LBB911_48:
	s_or_b32 exec_lo, exec_lo, s0
                                        ; implicit-def: $vgpr35_vgpr36
	s_and_saveexec_b32 s0, s11
	s_cbranch_execz .LBB911_62
.LBB911_49:
	v_lshlrev_b32_e32 v35, 3, v37
	s_delay_alu instid0(VALU_DEP_1)
	v_add_co_u32 v35, vcc_lo, v50, v35
	v_add_co_ci_u32_e32 v36, vcc_lo, 0, v52, vcc_lo
	flat_load_b64 v[35:36], v[35:36]
	s_or_b32 exec_lo, exec_lo, s0
                                        ; implicit-def: $vgpr37_vgpr38
	s_and_saveexec_b32 s0, s12
	s_cbranch_execnz .LBB911_63
.LBB911_50:
	s_or_b32 exec_lo, exec_lo, s0
                                        ; implicit-def: $vgpr39_vgpr40
	s_and_saveexec_b32 s0, s13
	s_cbranch_execz .LBB911_64
.LBB911_51:
	v_lshlrev_b32_e32 v39, 3, v41
	s_delay_alu instid0(VALU_DEP_1)
	v_add_co_u32 v39, vcc_lo, v50, v39
	v_add_co_ci_u32_e32 v40, vcc_lo, 0, v52, vcc_lo
	flat_load_b64 v[39:40], v[39:40]
	s_or_b32 exec_lo, exec_lo, s0
                                        ; implicit-def: $vgpr41_vgpr42
	s_and_saveexec_b32 s0, s14
	s_cbranch_execz .LBB911_66
	s_branch .LBB911_65
.LBB911_52:
	s_or_b32 exec_lo, exec_lo, s16
                                        ; implicit-def: $vgpr17_vgpr18
	s_and_saveexec_b32 s16, s0
	s_cbranch_execz .LBB911_40
.LBB911_53:
	v_lshlrev_b32_e32 v17, 3, v0
	s_delay_alu instid0(VALU_DEP_1)
	v_add_co_u32 v17, vcc_lo, v50, v17
	v_add_co_ci_u32_e32 v18, vcc_lo, 0, v52, vcc_lo
	flat_load_b64 v[17:18], v[17:18] offset:2048
	s_or_b32 exec_lo, exec_lo, s16
                                        ; implicit-def: $vgpr19_vgpr20
	s_and_saveexec_b32 s0, s1
	s_cbranch_execnz .LBB911_41
.LBB911_54:
	s_or_b32 exec_lo, exec_lo, s0
                                        ; implicit-def: $vgpr21_vgpr22
	s_and_saveexec_b32 s0, s4
	s_cbranch_execz .LBB911_42
.LBB911_55:
	v_lshlrev_b32_e32 v21, 3, v23
	s_delay_alu instid0(VALU_DEP_1)
	v_add_co_u32 v21, vcc_lo, v50, v21
	v_add_co_ci_u32_e32 v22, vcc_lo, 0, v52, vcc_lo
	flat_load_b64 v[21:22], v[21:22]
	s_or_b32 exec_lo, exec_lo, s0
                                        ; implicit-def: $vgpr23_vgpr24
	s_and_saveexec_b32 s0, s5
	s_cbranch_execnz .LBB911_43
.LBB911_56:
	s_or_b32 exec_lo, exec_lo, s0
                                        ; implicit-def: $vgpr25_vgpr26
	s_and_saveexec_b32 s0, s6
	s_cbranch_execz .LBB911_44
.LBB911_57:
	v_lshlrev_b32_e32 v25, 3, v27
	s_delay_alu instid0(VALU_DEP_1)
	v_add_co_u32 v25, vcc_lo, v50, v25
	v_add_co_ci_u32_e32 v26, vcc_lo, 0, v52, vcc_lo
	flat_load_b64 v[25:26], v[25:26]
	s_or_b32 exec_lo, exec_lo, s0
                                        ; implicit-def: $vgpr27_vgpr28
	s_and_saveexec_b32 s0, s7
	s_cbranch_execnz .LBB911_45
.LBB911_58:
	s_or_b32 exec_lo, exec_lo, s0
                                        ; implicit-def: $vgpr29_vgpr30
	s_and_saveexec_b32 s0, s8
	s_cbranch_execz .LBB911_46
.LBB911_59:
	v_lshlrev_b32_e32 v29, 3, v31
	s_delay_alu instid0(VALU_DEP_1)
	v_add_co_u32 v29, vcc_lo, v50, v29
	v_add_co_ci_u32_e32 v30, vcc_lo, 0, v52, vcc_lo
	flat_load_b64 v[29:30], v[29:30]
	s_or_b32 exec_lo, exec_lo, s0
                                        ; implicit-def: $vgpr31_vgpr32
	s_and_saveexec_b32 s0, s9
	s_cbranch_execnz .LBB911_47
.LBB911_60:
	s_or_b32 exec_lo, exec_lo, s0
                                        ; implicit-def: $vgpr33_vgpr34
	s_and_saveexec_b32 s0, s10
	s_cbranch_execz .LBB911_48
.LBB911_61:
	v_lshlrev_b32_e32 v33, 3, v35
	s_delay_alu instid0(VALU_DEP_1)
	v_add_co_u32 v33, vcc_lo, v50, v33
	v_add_co_ci_u32_e32 v34, vcc_lo, 0, v52, vcc_lo
	flat_load_b64 v[33:34], v[33:34]
	s_or_b32 exec_lo, exec_lo, s0
                                        ; implicit-def: $vgpr35_vgpr36
	s_and_saveexec_b32 s0, s11
	s_cbranch_execnz .LBB911_49
.LBB911_62:
	s_or_b32 exec_lo, exec_lo, s0
                                        ; implicit-def: $vgpr37_vgpr38
	s_and_saveexec_b32 s0, s12
	s_cbranch_execz .LBB911_50
.LBB911_63:
	v_lshlrev_b32_e32 v37, 3, v39
	s_delay_alu instid0(VALU_DEP_1)
	v_add_co_u32 v37, vcc_lo, v50, v37
	v_add_co_ci_u32_e32 v38, vcc_lo, 0, v52, vcc_lo
	flat_load_b64 v[37:38], v[37:38]
	s_or_b32 exec_lo, exec_lo, s0
                                        ; implicit-def: $vgpr39_vgpr40
	s_and_saveexec_b32 s0, s13
	s_cbranch_execnz .LBB911_51
.LBB911_64:
	s_or_b32 exec_lo, exec_lo, s0
                                        ; implicit-def: $vgpr41_vgpr42
	s_and_saveexec_b32 s0, s14
	s_cbranch_execz .LBB911_66
.LBB911_65:
	v_lshlrev_b32_e32 v41, 3, v43
	s_delay_alu instid0(VALU_DEP_1)
	v_add_co_u32 v41, vcc_lo, v50, v41
	v_add_co_ci_u32_e32 v42, vcc_lo, 0, v52, vcc_lo
	flat_load_b64 v[41:42], v[41:42]
.LBB911_66:
	s_or_b32 exec_lo, exec_lo, s0
	v_mul_u32_u24_e32 v58, 15, v0
                                        ; implicit-def: $vgpr43_vgpr44
	s_and_saveexec_b32 s0, s15
	s_cbranch_execz .LBB911_68
; %bb.67:
	v_lshlrev_b32_e32 v43, 3, v56
	s_delay_alu instid0(VALU_DEP_1)
	v_add_co_u32 v43, vcc_lo, v50, v43
	v_add_co_ci_u32_e32 v44, vcc_lo, 0, v52, vcc_lo
	flat_load_b64 v[43:44], v[43:44]
.LBB911_68:
	s_or_b32 exec_lo, exec_lo, s0
	s_delay_alu instid0(VALU_DEP_1)
	v_add_nc_u32_e32 v78, 1, v58
	v_add_nc_u32_e32 v77, 2, v58
	;; [unrolled: 1-line block ×10, first 2 shown]
	v_mad_i32_i24 v50, 0xffffffcc, v0, v54
	v_add_nc_u32_e32 v68, 11, v58
	v_add_nc_u32_e32 v66, 12, v58
	;; [unrolled: 1-line block ×4, first 2 shown]
	s_waitcnt vmcnt(0) lgkmcnt(0)
	ds_store_2addr_stride64_b64 v50, v[15:16], v[17:18] offset1:4
	ds_store_2addr_stride64_b64 v50, v[19:20], v[21:22] offset0:8 offset1:12
	ds_store_2addr_stride64_b64 v50, v[23:24], v[25:26] offset0:16 offset1:20
	;; [unrolled: 1-line block ×6, first 2 shown]
	ds_store_b64 v50, v[43:44] offset:28672
	s_waitcnt lgkmcnt(0)
	s_barrier
.LBB911_69:
	v_lshlrev_b32_e32 v15, 3, v58
	v_lshlrev_b32_e32 v16, 3, v78
	;; [unrolled: 1-line block ×5, first 2 shown]
	buffer_gl0_inv
	v_lshlrev_b32_e32 v20, 3, v73
	v_lshlrev_b32_e32 v21, 3, v72
	;; [unrolled: 1-line block ×3, first 2 shown]
	ds_load_b64 v[41:42], v15
	ds_load_b64 v[39:40], v16
	;; [unrolled: 1-line block ×8, first 2 shown]
	v_lshlrev_b32_e32 v15, 3, v64
	v_lshlrev_b32_e32 v16, 3, v62
	;; [unrolled: 1-line block ×7, first 2 shown]
	ds_load_b64 v[29:30], v15
	ds_load_b64 v[25:26], v16
	;; [unrolled: 1-line block ×7, first 2 shown]
	s_cmp_eq_u64 s[24:25], 0
	s_waitcnt lgkmcnt(0)
	s_cselect_b32 s27, -1, 0
	s_cmp_lg_u64 s[24:25], 0
	s_barrier
	s_cselect_b32 s15, -1, 0
	s_and_b32 vcc_lo, exec_lo, s29
	buffer_gl0_inv
	s_cbranch_vccz .LBB911_75
; %bb.70:
	s_and_b32 vcc_lo, exec_lo, s15
	s_cbranch_vccz .LBB911_188
; %bb.71:
	v_add_co_u32 v72, vcc_lo, -4, v48
	v_add_co_ci_u32_e32 v73, vcc_lo, -1, v46, vcc_lo
	v_cmp_ne_u32_e32 vcc_lo, v2, v81
	v_cmp_ne_u32_e64 s0, v1, v2
	v_cmp_ne_u32_e64 s1, v4, v1
	flat_load_b32 v50, v[72:73]
	v_cmp_ne_u32_e64 s4, v3, v4
	v_cmp_ne_u32_e64 s5, v6, v3
	;; [unrolled: 1-line block ×11, first 2 shown]
	s_mov_b32 s29, -1
	ds_store_b32 v74, v81
	s_waitcnt vmcnt(0) lgkmcnt(0)
	s_barrier
	buffer_gl0_inv
	s_and_saveexec_b32 s16, s3
	s_cbranch_execz .LBB911_73
; %bb.72:
	v_add_nc_u32_e32 v50, -4, v74
	ds_load_b32 v50, v50
.LBB911_73:
	s_or_b32 exec_lo, exec_lo, s16
	v_cndmask_b32_e64 v88, 0, 1, vcc_lo
	v_cndmask_b32_e64 v82, 0, 1, s0
	v_cndmask_b32_e64 v83, 0, 1, s1
	;; [unrolled: 1-line block ×13, first 2 shown]
	s_waitcnt lgkmcnt(0)
	v_cmp_ne_u32_e64 s0, v50, v13
.LBB911_74:
                                        ; implicit-def: $sgpr1
	s_branch .LBB911_76
.LBB911_75:
	s_mov_b32 s29, 0
                                        ; implicit-def: $sgpr0
                                        ; implicit-def: $vgpr88
                                        ; implicit-def: $vgpr82
                                        ; implicit-def: $vgpr83
                                        ; implicit-def: $vgpr84
                                        ; implicit-def: $vgpr85
                                        ; implicit-def: $vgpr86
                                        ; implicit-def: $vgpr87
                                        ; implicit-def: $vgpr89
                                        ; implicit-def: $vgpr90
                                        ; implicit-def: $vgpr91
                                        ; implicit-def: $vgpr92
                                        ; implicit-def: $vgpr93
                                        ; implicit-def: $vgpr94
                                        ; implicit-def: $vgpr95
                                        ; implicit-def: $sgpr1
	s_cbranch_execnz .LBB911_192
.LBB911_76:
	v_mov_b32_e32 v96, s1
	s_and_saveexec_b32 s1, s29
.LBB911_77:
	s_delay_alu instid0(VALU_DEP_2)
	v_cndmask_b32_e64 v96, 0, 1, s0
.LBB911_78:
	s_or_b32 exec_lo, exec_lo, s1
	s_delay_alu instid0(VALU_DEP_1)
	v_add3_u32 v45, v95, v96, v94
	v_cmp_eq_u32_e64 s13, 0, v95
	v_cmp_eq_u32_e64 s12, 0, v94
	;; [unrolled: 1-line block ×4, first 2 shown]
	v_add3_u32 v99, v45, v93, v92
	v_cmp_eq_u32_e64 s9, 0, v91
	v_cmp_eq_u32_e64 s8, 0, v90
	;; [unrolled: 1-line block ×9, first 2 shown]
	v_cmp_eq_u32_e32 vcc_lo, 0, v88
	v_mbcnt_lo_u32_b32 v97, -1, 0
	s_cmp_eq_u64 s[42:43], 0
	s_cselect_b32 s15, -1, 0
	s_cmp_lg_u32 s28, 0
	s_cbranch_scc0 .LBB911_141
; %bb.79:
	v_cndmask_b32_e64 v45, 0, v41, s13
	v_cndmask_b32_e64 v46, 0, v42, s13
	v_add3_u32 v47, v99, v91, v90
	s_delay_alu instid0(VALU_DEP_3) | instskip(NEXT) | instid1(VALU_DEP_1)
	v_add_co_u32 v45, s14, v45, v39
	v_add_co_ci_u32_e64 v46, s14, v46, v40, s14
	s_delay_alu instid0(VALU_DEP_3) | instskip(NEXT) | instid1(VALU_DEP_3)
	v_add3_u32 v47, v47, v89, v87
	v_cndmask_b32_e64 v45, 0, v45, s12
	s_delay_alu instid0(VALU_DEP_3) | instskip(NEXT) | instid1(VALU_DEP_3)
	v_cndmask_b32_e64 v46, 0, v46, s12
	v_add3_u32 v47, v47, v86, v85
	s_delay_alu instid0(VALU_DEP_3) | instskip(NEXT) | instid1(VALU_DEP_1)
	v_add_co_u32 v45, s14, v45, v37
	v_add_co_ci_u32_e64 v46, s14, v46, v38, s14
	s_delay_alu instid0(VALU_DEP_3) | instskip(NEXT) | instid1(VALU_DEP_3)
	v_add3_u32 v47, v47, v84, v83
	v_cndmask_b32_e64 v45, 0, v45, s11
	s_delay_alu instid0(VALU_DEP_3) | instskip(NEXT) | instid1(VALU_DEP_3)
	v_cndmask_b32_e64 v46, 0, v46, s11
	v_add3_u32 v49, v47, v82, v88
	s_delay_alu instid0(VALU_DEP_3) | instskip(NEXT) | instid1(VALU_DEP_1)
	v_add_co_u32 v45, s14, v45, v35
	v_add_co_ci_u32_e64 v46, s14, v46, v36, s14
	s_delay_alu instid0(VALU_DEP_2) | instskip(NEXT) | instid1(VALU_DEP_2)
	v_cndmask_b32_e64 v45, 0, v45, s10
	v_cndmask_b32_e64 v46, 0, v46, s10
	s_delay_alu instid0(VALU_DEP_2) | instskip(NEXT) | instid1(VALU_DEP_1)
	v_add_co_u32 v45, s14, v45, v33
	v_add_co_ci_u32_e64 v46, s14, v46, v34, s14
	s_delay_alu instid0(VALU_DEP_2) | instskip(NEXT) | instid1(VALU_DEP_2)
	v_cndmask_b32_e64 v45, 0, v45, s9
	v_cndmask_b32_e64 v46, 0, v46, s9
	s_delay_alu instid0(VALU_DEP_2) | instskip(NEXT) | instid1(VALU_DEP_1)
	;; [unrolled: 6-line block ×10, first 2 shown]
	v_add_co_u32 v45, s14, v45, v15
	v_add_co_ci_u32_e64 v46, s14, v46, v16, s14
	s_mov_b32 s14, exec_lo
	s_delay_alu instid0(VALU_DEP_1) | instskip(NEXT) | instid1(VALU_DEP_1)
	v_dual_cndmask_b32 v45, 0, v45 :: v_dual_cndmask_b32 v46, 0, v46
	v_add_co_u32 v47, vcc_lo, v45, v43
	s_delay_alu instid0(VALU_DEP_2) | instskip(SKIP_2) | instid1(VALU_DEP_4)
	v_add_co_ci_u32_e32 v48, vcc_lo, v46, v44, vcc_lo
	v_and_b32_e32 v45, 15, v97
	v_mov_b32_dpp v46, v49 row_shr:1 row_mask:0xf bank_mask:0xf
	v_mov_b32_dpp v50, v47 row_shr:1 row_mask:0xf bank_mask:0xf
	s_delay_alu instid0(VALU_DEP_4) | instskip(NEXT) | instid1(VALU_DEP_4)
	v_mov_b32_dpp v51, v48 row_shr:1 row_mask:0xf bank_mask:0xf
	v_cmpx_ne_u32_e32 0, v45
; %bb.80:
	v_cmp_eq_u32_e32 vcc_lo, 0, v49
	v_add_nc_u32_e32 v49, v46, v49
	s_delay_alu instid0(VALU_DEP_4) | instskip(NEXT) | instid1(VALU_DEP_1)
	v_dual_cndmask_b32 v51, 0, v51 :: v_dual_cndmask_b32 v50, 0, v50
	v_add_co_u32 v47, vcc_lo, v50, v47
	s_delay_alu instid0(VALU_DEP_2)
	v_add_co_ci_u32_e32 v48, vcc_lo, v51, v48, vcc_lo
; %bb.81:
	s_or_b32 exec_lo, exec_lo, s14
	v_mov_b32_dpp v46, v49 row_shr:2 row_mask:0xf bank_mask:0xf
	s_delay_alu instid0(VALU_DEP_3) | instskip(NEXT) | instid1(VALU_DEP_3)
	v_mov_b32_dpp v50, v47 row_shr:2 row_mask:0xf bank_mask:0xf
	v_mov_b32_dpp v51, v48 row_shr:2 row_mask:0xf bank_mask:0xf
	s_mov_b32 s14, exec_lo
	v_cmpx_lt_u32_e32 1, v45
; %bb.82:
	v_cmp_eq_u32_e32 vcc_lo, 0, v49
	v_add_nc_u32_e32 v49, v46, v49
	v_dual_cndmask_b32 v51, 0, v51 :: v_dual_cndmask_b32 v50, 0, v50
	s_delay_alu instid0(VALU_DEP_1) | instskip(NEXT) | instid1(VALU_DEP_2)
	v_add_co_u32 v47, vcc_lo, v50, v47
	v_add_co_ci_u32_e32 v48, vcc_lo, v51, v48, vcc_lo
; %bb.83:
	s_or_b32 exec_lo, exec_lo, s14
	v_mov_b32_dpp v46, v49 row_shr:4 row_mask:0xf bank_mask:0xf
	s_delay_alu instid0(VALU_DEP_3) | instskip(NEXT) | instid1(VALU_DEP_3)
	v_mov_b32_dpp v50, v47 row_shr:4 row_mask:0xf bank_mask:0xf
	v_mov_b32_dpp v51, v48 row_shr:4 row_mask:0xf bank_mask:0xf
	s_mov_b32 s14, exec_lo
	v_cmpx_lt_u32_e32 3, v45
; %bb.84:
	v_cmp_eq_u32_e32 vcc_lo, 0, v49
	v_add_nc_u32_e32 v49, v46, v49
	v_dual_cndmask_b32 v51, 0, v51 :: v_dual_cndmask_b32 v50, 0, v50
	s_delay_alu instid0(VALU_DEP_1) | instskip(NEXT) | instid1(VALU_DEP_2)
	v_add_co_u32 v47, vcc_lo, v50, v47
	v_add_co_ci_u32_e32 v48, vcc_lo, v51, v48, vcc_lo
; %bb.85:
	s_or_b32 exec_lo, exec_lo, s14
	v_mov_b32_dpp v46, v49 row_shr:8 row_mask:0xf bank_mask:0xf
	s_delay_alu instid0(VALU_DEP_3) | instskip(NEXT) | instid1(VALU_DEP_3)
	v_mov_b32_dpp v50, v47 row_shr:8 row_mask:0xf bank_mask:0xf
	v_mov_b32_dpp v51, v48 row_shr:8 row_mask:0xf bank_mask:0xf
	s_mov_b32 s14, exec_lo
	v_cmpx_lt_u32_e32 7, v45
; %bb.86:
	v_cmp_eq_u32_e32 vcc_lo, 0, v49
	v_add_nc_u32_e32 v49, v46, v49
	v_dual_cndmask_b32 v45, 0, v51 :: v_dual_cndmask_b32 v50, 0, v50
	s_delay_alu instid0(VALU_DEP_1) | instskip(NEXT) | instid1(VALU_DEP_2)
	v_add_co_u32 v47, vcc_lo, v50, v47
	v_add_co_ci_u32_e32 v48, vcc_lo, v45, v48, vcc_lo
; %bb.87:
	s_or_b32 exec_lo, exec_lo, s14
	ds_swizzle_b32 v45, v49 offset:swizzle(BROADCAST,32,15)
	ds_swizzle_b32 v46, v47 offset:swizzle(BROADCAST,32,15)
	;; [unrolled: 1-line block ×3, first 2 shown]
	v_and_b32_e32 v51, 16, v97
	s_mov_b32 s14, exec_lo
	s_delay_alu instid0(VALU_DEP_1)
	v_cmpx_ne_u32_e32 0, v51
	s_cbranch_execz .LBB911_89
; %bb.88:
	v_cmp_eq_u32_e32 vcc_lo, 0, v49
	s_waitcnt lgkmcnt(1)
	v_dual_cndmask_b32 v46, 0, v46 :: v_dual_add_nc_u32 v49, v45, v49
	s_waitcnt lgkmcnt(0)
	v_cndmask_b32_e32 v50, 0, v50, vcc_lo
	s_delay_alu instid0(VALU_DEP_2) | instskip(NEXT) | instid1(VALU_DEP_2)
	v_add_co_u32 v47, vcc_lo, v46, v47
	v_add_co_ci_u32_e32 v48, vcc_lo, v50, v48, vcc_lo
.LBB911_89:
	s_or_b32 exec_lo, exec_lo, s14
	s_waitcnt lgkmcnt(1)
	v_lshrrev_b32_e32 v46, 5, v0
	v_or_b32_e32 v45, 31, v0
	s_mov_b32 s14, exec_lo
	s_waitcnt lgkmcnt(0)
	s_delay_alu instid0(VALU_DEP_2) | instskip(NEXT) | instid1(VALU_DEP_2)
	v_lshlrev_b32_e32 v50, 4, v46
	v_cmpx_eq_u32_e64 v45, v0
	s_cbranch_execz .LBB911_91
; %bb.90:
	ds_store_b32 v50, v49 offset:2080
	ds_store_b64 v50, v[47:48] offset:2088
.LBB911_91:
	s_or_b32 exec_lo, exec_lo, s14
	s_delay_alu instid0(SALU_CYCLE_1)
	s_mov_b32 s14, exec_lo
	s_waitcnt lgkmcnt(0)
	s_barrier
	buffer_gl0_inv
	v_cmpx_gt_u32_e32 8, v0
	s_cbranch_execz .LBB911_99
; %bb.92:
	v_lshlrev_b32_e32 v51, 4, v0
	v_and_b32_e32 v53, 7, v97
	s_mov_b32 s16, exec_lo
	ds_load_b32 v52, v51 offset:2080
	ds_load_b64 v[45:46], v51 offset:2088
	s_waitcnt lgkmcnt(1)
	v_mov_b32_dpp v54, v52 row_shr:1 row_mask:0xf bank_mask:0xf
	s_waitcnt lgkmcnt(0)
	v_mov_b32_dpp v55, v45 row_shr:1 row_mask:0xf bank_mask:0xf
	v_mov_b32_dpp v56, v46 row_shr:1 row_mask:0xf bank_mask:0xf
	v_cmpx_ne_u32_e32 0, v53
; %bb.93:
	v_cmp_eq_u32_e32 vcc_lo, 0, v52
	v_add_nc_u32_e32 v52, v54, v52
	s_delay_alu instid0(VALU_DEP_4) | instskip(NEXT) | instid1(VALU_DEP_1)
	v_dual_cndmask_b32 v56, 0, v56 :: v_dual_cndmask_b32 v55, 0, v55
	v_add_co_u32 v45, vcc_lo, v55, v45
	s_delay_alu instid0(VALU_DEP_2)
	v_add_co_ci_u32_e32 v46, vcc_lo, v56, v46, vcc_lo
; %bb.94:
	s_or_b32 exec_lo, exec_lo, s16
	v_mov_b32_dpp v54, v52 row_shr:2 row_mask:0xf bank_mask:0xf
	s_delay_alu instid0(VALU_DEP_3) | instskip(NEXT) | instid1(VALU_DEP_3)
	v_mov_b32_dpp v55, v45 row_shr:2 row_mask:0xf bank_mask:0xf
	v_mov_b32_dpp v56, v46 row_shr:2 row_mask:0xf bank_mask:0xf
	s_mov_b32 s16, exec_lo
	v_cmpx_lt_u32_e32 1, v53
; %bb.95:
	v_cmp_eq_u32_e32 vcc_lo, 0, v52
	v_add_nc_u32_e32 v52, v54, v52
	v_dual_cndmask_b32 v56, 0, v56 :: v_dual_cndmask_b32 v55, 0, v55
	s_delay_alu instid0(VALU_DEP_1) | instskip(NEXT) | instid1(VALU_DEP_2)
	v_add_co_u32 v45, vcc_lo, v55, v45
	v_add_co_ci_u32_e32 v46, vcc_lo, v56, v46, vcc_lo
; %bb.96:
	s_or_b32 exec_lo, exec_lo, s16
	v_mov_b32_dpp v54, v52 row_shr:4 row_mask:0xf bank_mask:0xf
	s_delay_alu instid0(VALU_DEP_3) | instskip(NEXT) | instid1(VALU_DEP_3)
	v_mov_b32_dpp v55, v45 row_shr:4 row_mask:0xf bank_mask:0xf
	v_mov_b32_dpp v56, v46 row_shr:4 row_mask:0xf bank_mask:0xf
	s_mov_b32 s16, exec_lo
	v_cmpx_lt_u32_e32 3, v53
; %bb.97:
	v_cmp_eq_u32_e32 vcc_lo, 0, v52
	v_dual_cndmask_b32 v55, 0, v55 :: v_dual_add_nc_u32 v52, v54, v52
	v_cndmask_b32_e32 v53, 0, v56, vcc_lo
	s_delay_alu instid0(VALU_DEP_2) | instskip(NEXT) | instid1(VALU_DEP_2)
	v_add_co_u32 v45, vcc_lo, v55, v45
	v_add_co_ci_u32_e32 v46, vcc_lo, v53, v46, vcc_lo
; %bb.98:
	s_or_b32 exec_lo, exec_lo, s16
	ds_store_b32 v51, v52 offset:2080
	ds_store_b64 v51, v[45:46] offset:2088
.LBB911_99:
	s_or_b32 exec_lo, exec_lo, s14
	v_mov_b32_e32 v45, 0
	v_cmp_gt_u32_e32 vcc_lo, 32, v0
	v_dual_mov_b32 v46, 0 :: v_dual_mov_b32 v55, 0
	s_mov_b32 s16, exec_lo
	s_waitcnt lgkmcnt(0)
	s_barrier
	buffer_gl0_inv
	v_cmpx_lt_u32_e32 31, v0
	s_cbranch_execz .LBB911_101
; %bb.100:
	ds_load_b64 v[45:46], v50 offset:2072
	ds_load_b32 v55, v50 offset:2064
	v_cmp_eq_u32_e64 s14, 0, v49
	s_waitcnt lgkmcnt(1)
	s_delay_alu instid0(VALU_DEP_1) | instskip(SKIP_3) | instid1(VALU_DEP_3)
	v_cndmask_b32_e64 v51, 0, v45, s14
	v_cndmask_b32_e64 v50, 0, v46, s14
	s_waitcnt lgkmcnt(0)
	v_add_nc_u32_e32 v49, v55, v49
	v_add_co_u32 v47, s14, v51, v47
	s_delay_alu instid0(VALU_DEP_1)
	v_add_co_ci_u32_e64 v48, s14, v50, v48, s14
.LBB911_101:
	s_or_b32 exec_lo, exec_lo, s16
	v_add_nc_u32_e32 v50, -1, v97
	s_delay_alu instid0(VALU_DEP_1) | instskip(NEXT) | instid1(VALU_DEP_1)
	v_cmp_gt_i32_e64 s14, 0, v50
	v_cndmask_b32_e64 v50, v50, v97, s14
	v_cmp_eq_u32_e64 s14, 0, v97
	s_delay_alu instid0(VALU_DEP_2)
	v_lshlrev_b32_e32 v50, 2, v50
	ds_bpermute_b32 v58, v50, v49
	ds_bpermute_b32 v57, v50, v47
	;; [unrolled: 1-line block ×3, first 2 shown]
	s_and_saveexec_b32 s16, vcc_lo
	s_cbranch_execz .LBB911_140
; %bb.102:
	v_mov_b32_e32 v51, 0
	ds_load_b32 v59, v51 offset:2192
	ds_load_b64 v[47:48], v51 offset:2200
	s_and_saveexec_b32 s24, s14
	s_cbranch_execz .LBB911_104
; %bb.103:
	s_add_i32 s30, s28, 32
	s_mov_b32 s31, 0
	v_dual_mov_b32 v49, s30 :: v_dual_mov_b32 v50, 1
	s_lshl_b64 s[34:35], s[30:31], 4
	s_delay_alu instid0(SALU_CYCLE_1)
	s_add_u32 s30, s36, s34
	s_addc_u32 s31, s37, s35
	s_waitcnt lgkmcnt(1)
	global_store_b32 v51, v59, s[30:31]
	s_waitcnt lgkmcnt(0)
	global_store_b64 v51, v[47:48], s[30:31] offset:8
	s_waitcnt_vscnt null, 0x0
	buffer_gl1_inv
	buffer_gl0_inv
	global_store_b8 v49, v50, s[40:41]
.LBB911_104:
	s_or_b32 exec_lo, exec_lo, s24
	v_xad_u32 v49, v97, -1, s28
	s_mov_b32 s25, 0
	s_mov_b32 s24, exec_lo
	s_delay_alu instid0(VALU_DEP_1)
	v_add_nc_u32_e32 v50, 32, v49
	global_load_u8 v60, v50, s[40:41] glc
	s_waitcnt vmcnt(0)
	v_cmpx_eq_u16_e32 0, v60
	s_cbranch_execz .LBB911_108
; %bb.105:
	v_add_co_u32 v52, s29, s40, v50
	s_delay_alu instid0(VALU_DEP_1)
	v_add_co_ci_u32_e64 v53, null, s41, 0, s29
.LBB911_106:                            ; =>This Inner Loop Header: Depth=1
	global_load_u8 v60, v[52:53], off glc
	s_waitcnt vmcnt(0)
	v_cmp_ne_u16_e32 vcc_lo, 0, v60
	s_or_b32 s25, vcc_lo, s25
	s_delay_alu instid0(SALU_CYCLE_1)
	s_and_not1_b32 exec_lo, exec_lo, s25
	s_cbranch_execnz .LBB911_106
; %bb.107:
	s_or_b32 exec_lo, exec_lo, s25
.LBB911_108:
	s_delay_alu instid0(SALU_CYCLE_1)
	s_or_b32 exec_lo, exec_lo, s24
	v_dual_mov_b32 v52, s37 :: v_dual_mov_b32 v53, s36
	v_cmp_eq_u16_e32 vcc_lo, 1, v60
	v_lshlrev_b64 v[50:51], 4, v[50:51]
	s_waitcnt lgkmcnt(0)
	s_waitcnt_vscnt null, 0x0
	buffer_gl1_inv
	buffer_gl0_inv
	v_lshlrev_b32_e64 v62, v97, -1
	s_mov_b32 s24, exec_lo
	v_cndmask_b32_e32 v53, s38, v53, vcc_lo
	v_cndmask_b32_e32 v52, s39, v52, vcc_lo
	s_delay_alu instid0(VALU_DEP_2) | instskip(NEXT) | instid1(VALU_DEP_2)
	v_add_co_u32 v50, vcc_lo, v53, v50
	v_add_co_ci_u32_e32 v51, vcc_lo, v52, v51, vcc_lo
	v_cmp_ne_u32_e32 vcc_lo, 31, v97
	s_clause 0x1
	global_load_b32 v72, v[50:51], off
	global_load_b64 v[53:54], v[50:51], off offset:8
	v_add_co_ci_u32_e32 v50, vcc_lo, 0, v97, vcc_lo
	v_cmp_eq_u16_e32 vcc_lo, 2, v60
	s_delay_alu instid0(VALU_DEP_2) | instskip(SKIP_1) | instid1(VALU_DEP_1)
	v_lshlrev_b32_e32 v61, 2, v50
	v_and_or_b32 v50, vcc_lo, v62, 0x80000000
	v_ctz_i32_b32_e32 v50, v50
	s_waitcnt vmcnt(1)
	ds_bpermute_b32 v51, v61, v72
	s_waitcnt vmcnt(0)
	ds_bpermute_b32 v52, v61, v53
	ds_bpermute_b32 v63, v61, v54
	v_cmpx_lt_u32_e64 v97, v50
	s_cbranch_execz .LBB911_110
; %bb.109:
	v_cmp_eq_u32_e32 vcc_lo, 0, v72
	s_waitcnt lgkmcnt(0)
	v_dual_cndmask_b32 v63, 0, v63 :: v_dual_add_nc_u32 v72, v51, v72
	v_cndmask_b32_e32 v52, 0, v52, vcc_lo
	s_delay_alu instid0(VALU_DEP_1) | instskip(NEXT) | instid1(VALU_DEP_3)
	v_add_co_u32 v53, vcc_lo, v52, v53
	v_add_co_ci_u32_e32 v54, vcc_lo, v63, v54, vcc_lo
.LBB911_110:
	s_or_b32 exec_lo, exec_lo, s24
	v_cmp_gt_u32_e32 vcc_lo, 30, v97
	v_add_nc_u32_e32 v64, 2, v97
	s_mov_b32 s24, exec_lo
	s_waitcnt lgkmcnt(2)
	v_cndmask_b32_e64 v51, 0, 1, vcc_lo
	s_delay_alu instid0(VALU_DEP_1) | instskip(SKIP_1) | instid1(VALU_DEP_1)
	v_lshlrev_b32_e32 v51, 1, v51
	s_waitcnt lgkmcnt(0)
	v_add_lshl_u32 v63, v51, v97, 2
	ds_bpermute_b32 v51, v63, v72
	ds_bpermute_b32 v52, v63, v53
	ds_bpermute_b32 v65, v63, v54
	v_cmpx_le_u32_e64 v64, v50
	s_cbranch_execz .LBB911_112
; %bb.111:
	v_cmp_eq_u32_e32 vcc_lo, 0, v72
	s_waitcnt lgkmcnt(0)
	v_dual_cndmask_b32 v65, 0, v65 :: v_dual_add_nc_u32 v72, v51, v72
	v_cndmask_b32_e32 v52, 0, v52, vcc_lo
	s_delay_alu instid0(VALU_DEP_1) | instskip(NEXT) | instid1(VALU_DEP_3)
	v_add_co_u32 v53, vcc_lo, v52, v53
	v_add_co_ci_u32_e32 v54, vcc_lo, v65, v54, vcc_lo
.LBB911_112:
	s_or_b32 exec_lo, exec_lo, s24
	v_cmp_gt_u32_e32 vcc_lo, 28, v97
	v_add_nc_u32_e32 v66, 4, v97
	s_mov_b32 s24, exec_lo
	s_waitcnt lgkmcnt(2)
	v_cndmask_b32_e64 v51, 0, 1, vcc_lo
	s_delay_alu instid0(VALU_DEP_1) | instskip(SKIP_1) | instid1(VALU_DEP_1)
	v_lshlrev_b32_e32 v51, 2, v51
	s_waitcnt lgkmcnt(0)
	v_add_lshl_u32 v65, v51, v97, 2
	ds_bpermute_b32 v51, v65, v72
	ds_bpermute_b32 v52, v65, v53
	ds_bpermute_b32 v67, v65, v54
	v_cmpx_le_u32_e64 v66, v50
	;; [unrolled: 24-line block ×3, first 2 shown]
	s_cbranch_execz .LBB911_116
; %bb.115:
	v_cmp_eq_u32_e32 vcc_lo, 0, v72
	s_waitcnt lgkmcnt(0)
	v_dual_cndmask_b32 v69, 0, v69 :: v_dual_add_nc_u32 v72, v51, v72
	v_cndmask_b32_e32 v52, 0, v52, vcc_lo
	s_delay_alu instid0(VALU_DEP_1) | instskip(NEXT) | instid1(VALU_DEP_3)
	v_add_co_u32 v53, vcc_lo, v52, v53
	v_add_co_ci_u32_e32 v54, vcc_lo, v69, v54, vcc_lo
.LBB911_116:
	s_or_b32 exec_lo, exec_lo, s24
	v_cmp_gt_u32_e32 vcc_lo, 16, v97
	v_add_nc_u32_e32 v71, 16, v97
	s_mov_b32 s24, exec_lo
	s_waitcnt lgkmcnt(2)
	v_cndmask_b32_e64 v51, 0, 1, vcc_lo
	s_delay_alu instid0(VALU_DEP_1) | instskip(NEXT) | instid1(VALU_DEP_1)
	v_lshlrev_b32_e32 v51, 4, v51
	v_add_lshl_u32 v70, v51, v97, 2
	ds_bpermute_b32 v51, v70, v72
	s_waitcnt lgkmcnt(2)
	ds_bpermute_b32 v52, v70, v53
	s_waitcnt lgkmcnt(2)
	ds_bpermute_b32 v69, v70, v54
	v_cmpx_le_u32_e64 v71, v50
	s_cbranch_execz .LBB911_118
; %bb.117:
	v_cmp_eq_u32_e32 vcc_lo, 0, v72
	s_waitcnt lgkmcnt(2)
	v_add_nc_u32_e32 v72, v51, v72
	s_waitcnt lgkmcnt(1)
	v_cndmask_b32_e32 v52, 0, v52, vcc_lo
	s_waitcnt lgkmcnt(0)
	v_cndmask_b32_e32 v50, 0, v69, vcc_lo
	s_delay_alu instid0(VALU_DEP_2) | instskip(NEXT) | instid1(VALU_DEP_2)
	v_add_co_u32 v53, vcc_lo, v52, v53
	v_add_co_ci_u32_e32 v54, vcc_lo, v50, v54, vcc_lo
.LBB911_118:
	s_or_b32 exec_lo, exec_lo, s24
	v_mov_b32_e32 v50, 0
	s_branch .LBB911_120
.LBB911_119:                            ;   in Loop: Header=BB911_120 Depth=1
	s_or_b32 exec_lo, exec_lo, s24
	v_cmp_eq_u32_e32 vcc_lo, 0, v69
	v_subrev_nc_u32_e32 v49, 32, v49
	v_add_nc_u32_e32 v72, v72, v69
	v_dual_cndmask_b32 v54, 0, v54 :: v_dual_cndmask_b32 v53, 0, v53
	s_delay_alu instid0(VALU_DEP_1) | instskip(NEXT) | instid1(VALU_DEP_2)
	v_add_co_u32 v53, vcc_lo, v53, v51
	v_add_co_ci_u32_e32 v54, vcc_lo, v54, v52, vcc_lo
.LBB911_120:                            ; =>This Loop Header: Depth=1
                                        ;     Child Loop BB911_123 Depth 2
	s_waitcnt lgkmcnt(2)
	v_and_b32_e32 v51, 0xff, v60
	s_waitcnt lgkmcnt(0)
	v_mov_b32_e32 v69, v72
	s_delay_alu instid0(VALU_DEP_2) | instskip(SKIP_2) | instid1(VALU_DEP_1)
	v_cmp_ne_u16_e32 vcc_lo, 2, v51
	v_cndmask_b32_e64 v51, 0, 1, vcc_lo
	;;#ASMSTART
	;;#ASMEND
	v_cmp_ne_u32_e32 vcc_lo, 0, v51
	v_dual_mov_b32 v51, v53 :: v_dual_mov_b32 v52, v54
	s_cmp_lg_u32 vcc_lo, exec_lo
	s_cbranch_scc1 .LBB911_135
; %bb.121:                              ;   in Loop: Header=BB911_120 Depth=1
	global_load_u8 v60, v49, s[40:41] glc
	s_mov_b32 s24, exec_lo
	s_waitcnt vmcnt(0)
	v_cmpx_eq_u16_e32 0, v60
	s_cbranch_execz .LBB911_125
; %bb.122:                              ;   in Loop: Header=BB911_120 Depth=1
	v_add_co_u32 v53, s25, s40, v49
	s_delay_alu instid0(VALU_DEP_1)
	v_add_co_ci_u32_e64 v54, null, s41, 0, s25
	s_mov_b32 s25, 0
.LBB911_123:                            ;   Parent Loop BB911_120 Depth=1
                                        ; =>  This Inner Loop Header: Depth=2
	global_load_u8 v60, v[53:54], off glc
	s_waitcnt vmcnt(0)
	v_cmp_ne_u16_e32 vcc_lo, 0, v60
	s_or_b32 s25, vcc_lo, s25
	s_delay_alu instid0(SALU_CYCLE_1)
	s_and_not1_b32 exec_lo, exec_lo, s25
	s_cbranch_execnz .LBB911_123
; %bb.124:                              ;   in Loop: Header=BB911_120 Depth=1
	s_or_b32 exec_lo, exec_lo, s25
.LBB911_125:                            ;   in Loop: Header=BB911_120 Depth=1
	s_delay_alu instid0(SALU_CYCLE_1)
	s_or_b32 exec_lo, exec_lo, s24
	v_dual_mov_b32 v72, s37 :: v_dual_mov_b32 v73, s36
	v_cmp_eq_u16_e32 vcc_lo, 1, v60
	v_lshlrev_b64 v[53:54], 4, v[49:50]
	buffer_gl1_inv
	buffer_gl0_inv
	s_mov_b32 s24, exec_lo
	v_cndmask_b32_e32 v73, s38, v73, vcc_lo
	v_cndmask_b32_e32 v72, s39, v72, vcc_lo
	s_delay_alu instid0(VALU_DEP_2) | instskip(NEXT) | instid1(VALU_DEP_2)
	v_add_co_u32 v53, vcc_lo, v73, v53
	v_add_co_ci_u32_e32 v54, vcc_lo, v72, v54, vcc_lo
	v_cmp_eq_u16_e32 vcc_lo, 2, v60
	s_clause 0x1
	global_load_b32 v72, v[53:54], off
	global_load_b64 v[53:54], v[53:54], off offset:8
	v_and_or_b32 v73, vcc_lo, v62, 0x80000000
	s_delay_alu instid0(VALU_DEP_1)
	v_ctz_i32_b32_e32 v73, v73
	s_waitcnt vmcnt(1)
	ds_bpermute_b32 v74, v61, v72
	s_waitcnt vmcnt(0)
	ds_bpermute_b32 v75, v61, v53
	ds_bpermute_b32 v76, v61, v54
	v_cmpx_lt_u32_e64 v97, v73
	s_cbranch_execz .LBB911_127
; %bb.126:                              ;   in Loop: Header=BB911_120 Depth=1
	v_cmp_eq_u32_e32 vcc_lo, 0, v72
	s_waitcnt lgkmcnt(2)
	v_add_nc_u32_e32 v72, v74, v72
	s_waitcnt lgkmcnt(0)
	v_dual_cndmask_b32 v76, 0, v76 :: v_dual_cndmask_b32 v75, 0, v75
	s_delay_alu instid0(VALU_DEP_1) | instskip(NEXT) | instid1(VALU_DEP_2)
	v_add_co_u32 v53, vcc_lo, v75, v53
	v_add_co_ci_u32_e32 v54, vcc_lo, v76, v54, vcc_lo
.LBB911_127:                            ;   in Loop: Header=BB911_120 Depth=1
	s_or_b32 exec_lo, exec_lo, s24
	s_waitcnt lgkmcnt(2)
	ds_bpermute_b32 v74, v63, v72
	s_waitcnt lgkmcnt(2)
	ds_bpermute_b32 v75, v63, v53
	s_waitcnt lgkmcnt(2)
	ds_bpermute_b32 v76, v63, v54
	s_mov_b32 s24, exec_lo
	v_cmpx_le_u32_e64 v64, v73
	s_cbranch_execz .LBB911_129
; %bb.128:                              ;   in Loop: Header=BB911_120 Depth=1
	v_cmp_eq_u32_e32 vcc_lo, 0, v72
	s_waitcnt lgkmcnt(2)
	v_add_nc_u32_e32 v72, v74, v72
	s_waitcnt lgkmcnt(0)
	v_dual_cndmask_b32 v76, 0, v76 :: v_dual_cndmask_b32 v75, 0, v75
	s_delay_alu instid0(VALU_DEP_1) | instskip(NEXT) | instid1(VALU_DEP_2)
	v_add_co_u32 v53, vcc_lo, v75, v53
	v_add_co_ci_u32_e32 v54, vcc_lo, v76, v54, vcc_lo
.LBB911_129:                            ;   in Loop: Header=BB911_120 Depth=1
	s_or_b32 exec_lo, exec_lo, s24
	s_waitcnt lgkmcnt(2)
	ds_bpermute_b32 v74, v65, v72
	s_waitcnt lgkmcnt(2)
	ds_bpermute_b32 v75, v65, v53
	s_waitcnt lgkmcnt(2)
	ds_bpermute_b32 v76, v65, v54
	s_mov_b32 s24, exec_lo
	v_cmpx_le_u32_e64 v66, v73
	s_cbranch_execz .LBB911_131
; %bb.130:                              ;   in Loop: Header=BB911_120 Depth=1
	v_cmp_eq_u32_e32 vcc_lo, 0, v72
	s_waitcnt lgkmcnt(2)
	v_add_nc_u32_e32 v72, v74, v72
	s_waitcnt lgkmcnt(0)
	v_dual_cndmask_b32 v76, 0, v76 :: v_dual_cndmask_b32 v75, 0, v75
	s_delay_alu instid0(VALU_DEP_1) | instskip(NEXT) | instid1(VALU_DEP_2)
	v_add_co_u32 v53, vcc_lo, v75, v53
	v_add_co_ci_u32_e32 v54, vcc_lo, v76, v54, vcc_lo
.LBB911_131:                            ;   in Loop: Header=BB911_120 Depth=1
	s_or_b32 exec_lo, exec_lo, s24
	s_waitcnt lgkmcnt(2)
	ds_bpermute_b32 v74, v67, v72
	s_waitcnt lgkmcnt(2)
	ds_bpermute_b32 v75, v67, v53
	s_waitcnt lgkmcnt(2)
	ds_bpermute_b32 v76, v67, v54
	s_mov_b32 s24, exec_lo
	v_cmpx_le_u32_e64 v68, v73
	s_cbranch_execz .LBB911_133
; %bb.132:                              ;   in Loop: Header=BB911_120 Depth=1
	v_cmp_eq_u32_e32 vcc_lo, 0, v72
	s_waitcnt lgkmcnt(2)
	v_add_nc_u32_e32 v72, v74, v72
	s_waitcnt lgkmcnt(0)
	v_dual_cndmask_b32 v76, 0, v76 :: v_dual_cndmask_b32 v75, 0, v75
	s_delay_alu instid0(VALU_DEP_1) | instskip(NEXT) | instid1(VALU_DEP_2)
	v_add_co_u32 v53, vcc_lo, v75, v53
	v_add_co_ci_u32_e32 v54, vcc_lo, v76, v54, vcc_lo
.LBB911_133:                            ;   in Loop: Header=BB911_120 Depth=1
	s_or_b32 exec_lo, exec_lo, s24
	s_waitcnt lgkmcnt(2)
	ds_bpermute_b32 v74, v70, v72
	s_waitcnt lgkmcnt(2)
	ds_bpermute_b32 v75, v70, v53
	s_waitcnt lgkmcnt(2)
	ds_bpermute_b32 v76, v70, v54
	s_mov_b32 s24, exec_lo
	v_cmpx_le_u32_e64 v71, v73
	s_cbranch_execz .LBB911_119
; %bb.134:                              ;   in Loop: Header=BB911_120 Depth=1
	v_cmp_eq_u32_e32 vcc_lo, 0, v72
	s_waitcnt lgkmcnt(1)
	v_dual_cndmask_b32 v75, 0, v75 :: v_dual_add_nc_u32 v72, v74, v72
	s_waitcnt lgkmcnt(0)
	v_cndmask_b32_e32 v73, 0, v76, vcc_lo
	s_delay_alu instid0(VALU_DEP_2) | instskip(NEXT) | instid1(VALU_DEP_2)
	v_add_co_u32 v53, vcc_lo, v75, v53
	v_add_co_ci_u32_e32 v54, vcc_lo, v73, v54, vcc_lo
	s_branch .LBB911_119
.LBB911_135:                            ;   in Loop: Header=BB911_120 Depth=1
                                        ; implicit-def: $vgpr53_vgpr54
                                        ; implicit-def: $vgpr72
                                        ; implicit-def: $vgpr60
	s_cbranch_execz .LBB911_120
; %bb.136:
	s_and_saveexec_b32 s24, s14
	s_cbranch_execz .LBB911_138
; %bb.137:
	v_cmp_eq_u32_e32 vcc_lo, 0, v59
	s_mov_b32 s29, 0
	s_add_i32 s28, s28, 32
	v_dual_mov_b32 v54, 0 :: v_dual_add_nc_u32 v53, v69, v59
	v_dual_cndmask_b32 v50, 0, v52 :: v_dual_cndmask_b32 v49, 0, v51
	s_lshl_b64 s[30:31], s[28:29], 4
	v_dual_mov_b32 v60, s28 :: v_dual_mov_b32 v61, 2
	s_add_u32 s30, s38, s30
	s_delay_alu instid0(VALU_DEP_2)
	v_add_co_u32 v49, vcc_lo, v49, v47
	v_add_co_ci_u32_e32 v50, vcc_lo, v50, v48, vcc_lo
	s_addc_u32 s31, s39, s31
	s_clause 0x1
	global_store_b32 v54, v53, s[30:31]
	global_store_b64 v54, v[49:50], s[30:31] offset:8
	s_waitcnt lgkmcnt(0)
	s_waitcnt_vscnt null, 0x0
	buffer_gl1_inv
	buffer_gl0_inv
	global_store_b8 v60, v61, s[40:41]
	ds_store_b32 v54, v59 offset:2048
	ds_store_b64 v54, v[47:48] offset:2056
	ds_store_b32 v54, v69 offset:2064
	ds_store_b64 v54, v[51:52] offset:2072
.LBB911_138:
	s_or_b32 exec_lo, exec_lo, s24
	s_delay_alu instid0(SALU_CYCLE_1)
	s_and_b32 exec_lo, exec_lo, s2
	s_cbranch_execz .LBB911_140
; %bb.139:
	v_mov_b32_e32 v47, 0
	ds_store_b32 v47, v69 offset:2192
	ds_store_b64 v47, v[51:52] offset:2200
.LBB911_140:
	s_or_b32 exec_lo, exec_lo, s16
	s_waitcnt lgkmcnt(2)
	v_cndmask_b32_e64 v50, v58, v55, s14
	s_waitcnt lgkmcnt(0)
	s_waitcnt_vscnt null, 0x0
	s_barrier
	buffer_gl0_inv
	v_cndmask_b32_e64 v45, v57, v45, s14
	v_cmp_eq_u32_e32 vcc_lo, 0, v50
	v_mov_b32_e32 v49, 0
	v_cndmask_b32_e64 v46, v56, v46, s14
	v_cndmask_b32_e64 v50, v50, 0, s2
	ds_load_b64 v[47:48], v49 offset:2200
	s_waitcnt lgkmcnt(0)
	v_dual_cndmask_b32 v52, 0, v47 :: v_dual_cndmask_b32 v51, 0, v48
	s_delay_alu instid0(VALU_DEP_1) | instskip(NEXT) | instid1(VALU_DEP_2)
	v_add_co_u32 v45, vcc_lo, v52, v45
	v_add_co_ci_u32_e32 v46, vcc_lo, v51, v46, vcc_lo
	v_cmp_eq_u32_e32 vcc_lo, 0, v96
	s_delay_alu instid0(VALU_DEP_3) | instskip(NEXT) | instid1(VALU_DEP_3)
	v_cndmask_b32_e64 v63, v45, v47, s2
	v_cndmask_b32_e64 v64, v46, v48, s2
	ds_load_b32 v48, v49 offset:2192
	s_waitcnt lgkmcnt(0)
	v_cndmask_b32_e32 v46, 0, v63, vcc_lo
	s_barrier
	v_cndmask_b32_e32 v45, 0, v64, vcc_lo
	buffer_gl0_inv
	ds_load_b64 v[100:101], v49 offset:2056
	v_add_co_u32 v59, vcc_lo, v46, v41
	v_add_co_ci_u32_e32 v60, vcc_lo, v45, v42, vcc_lo
	s_delay_alu instid0(VALU_DEP_2) | instskip(NEXT) | instid1(VALU_DEP_2)
	v_cndmask_b32_e64 v45, 0, v59, s13
	v_cndmask_b32_e64 v46, 0, v60, s13
	s_delay_alu instid0(VALU_DEP_2) | instskip(NEXT) | instid1(VALU_DEP_2)
	v_add_co_u32 v65, vcc_lo, v45, v39
	v_add_co_ci_u32_e32 v66, vcc_lo, v46, v40, vcc_lo
	v_add_nc_u32_e32 v98, v48, v50
	s_delay_alu instid0(VALU_DEP_3) | instskip(NEXT) | instid1(VALU_DEP_3)
	v_cndmask_b32_e64 v45, 0, v65, s12
	v_cndmask_b32_e64 v46, 0, v66, s12
	s_delay_alu instid0(VALU_DEP_2) | instskip(NEXT) | instid1(VALU_DEP_2)
	v_add_co_u32 v69, vcc_lo, v45, v37
	v_add_co_ci_u32_e32 v70, vcc_lo, v46, v38, vcc_lo
	s_delay_alu instid0(VALU_DEP_2) | instskip(NEXT) | instid1(VALU_DEP_2)
	v_cndmask_b32_e64 v45, 0, v69, s11
	v_cndmask_b32_e64 v46, 0, v70, s11
	s_delay_alu instid0(VALU_DEP_2) | instskip(NEXT) | instid1(VALU_DEP_2)
	v_add_co_u32 v51, vcc_lo, v45, v35
	v_add_co_ci_u32_e32 v52, vcc_lo, v46, v36, vcc_lo
	s_delay_alu instid0(VALU_DEP_2) | instskip(NEXT) | instid1(VALU_DEP_2)
	;; [unrolled: 6-line block ×7, first 2 shown]
	v_cndmask_b32_e64 v45, 0, v53, s5
	v_cndmask_b32_e64 v46, 0, v54, s5
	s_delay_alu instid0(VALU_DEP_2) | instskip(NEXT) | instid1(VALU_DEP_2)
	v_add_co_u32 v57, vcc_lo, v45, v25
	v_add_co_ci_u32_e32 v58, vcc_lo, v46, v26, vcc_lo
	ds_load_b32 v45, v49 offset:2048
	v_cndmask_b32_e64 v46, 0, v57, s4
	v_cndmask_b32_e64 v47, 0, v58, s4
	s_delay_alu instid0(VALU_DEP_2) | instskip(NEXT) | instid1(VALU_DEP_2)
	v_add_co_u32 v73, vcc_lo, v46, v21
	v_add_co_ci_u32_e32 v74, vcc_lo, v47, v22, vcc_lo
	ds_load_b64 v[46:47], v49 offset:2072
	v_cndmask_b32_e64 v75, 0, v73, s3
	ds_load_b32 v49, v49 offset:2064
	v_cndmask_b32_e64 v76, 0, v74, s3
	v_add_co_u32 v75, vcc_lo, v75, v19
	s_delay_alu instid0(VALU_DEP_2) | instskip(SKIP_2) | instid1(VALU_DEP_3)
	v_add_co_ci_u32_e32 v76, vcc_lo, v76, v20, vcc_lo
	s_waitcnt lgkmcnt(2)
	v_cmp_eq_u32_e32 vcc_lo, 0, v45
	v_cndmask_b32_e64 v77, 0, v75, s1
	s_delay_alu instid0(VALU_DEP_3) | instskip(NEXT) | instid1(VALU_DEP_2)
	v_cndmask_b32_e64 v78, 0, v76, s1
	v_add_co_u32 v77, s1, v77, v17
	s_delay_alu instid0(VALU_DEP_1)
	v_add_co_ci_u32_e64 v78, s1, v78, v18, s1
	s_waitcnt lgkmcnt(1)
	v_cndmask_b32_e32 v46, 0, v46, vcc_lo
	v_cndmask_b32_e32 v102, 0, v47, vcc_lo
	v_cndmask_b32_e64 v79, 0, v77, s0
	v_cndmask_b32_e64 v80, 0, v78, s0
	s_delay_alu instid0(VALU_DEP_4) | instskip(NEXT) | instid1(VALU_DEP_4)
	v_add_co_u32 v47, vcc_lo, v46, v100
	v_add_co_ci_u32_e32 v48, vcc_lo, v102, v101, vcc_lo
	s_branch .LBB911_169
.LBB911_141:
                                        ; implicit-def: $vgpr45
                                        ; implicit-def: $vgpr47_vgpr48
                                        ; implicit-def: $vgpr49
                                        ; implicit-def: $vgpr63_vgpr64
                                        ; implicit-def: $vgpr59_vgpr60
                                        ; implicit-def: $vgpr65_vgpr66
                                        ; implicit-def: $vgpr69_vgpr70
                                        ; implicit-def: $vgpr51_vgpr52
                                        ; implicit-def: $vgpr55_vgpr56
                                        ; implicit-def: $vgpr61_vgpr62
                                        ; implicit-def: $vgpr67_vgpr68
                                        ; implicit-def: $vgpr71_vgpr72
                                        ; implicit-def: $vgpr53_vgpr54
                                        ; implicit-def: $vgpr57_vgpr58
                                        ; implicit-def: $vgpr73_vgpr74
                                        ; implicit-def: $vgpr75_vgpr76
                                        ; implicit-def: $vgpr77_vgpr78
                                        ; implicit-def: $vgpr79_vgpr80
                                        ; implicit-def: $vgpr98
	s_cbranch_execz .LBB911_169
; %bb.142:
	s_and_b32 s0, s15, exec_lo
	s_waitcnt lgkmcnt(0)
	v_dual_mov_b32 v50, v42 :: v_dual_mov_b32 v49, v41
	s_cselect_b32 s1, 0, s19
	s_cselect_b32 s0, 0, s18
	s_delay_alu instid0(SALU_CYCLE_1)
	s_cmp_eq_u64 s[0:1], 0
	s_cbranch_scc1 .LBB911_144
; %bb.143:
	v_mov_b32_e32 v45, 0
	global_load_b64 v[49:50], v45, s[0:1]
.LBB911_144:
	v_cmp_eq_u32_e64 s12, 0, v95
	v_cmp_eq_u32_e64 s11, 0, v94
	;; [unrolled: 1-line block ×5, first 2 shown]
	v_cndmask_b32_e64 v46, 0, v41, s12
	v_cndmask_b32_e64 v45, 0, v42, s12
	v_cmp_eq_u32_e64 s7, 0, v90
	v_cmp_eq_u32_e64 s6, 0, v89
	;; [unrolled: 1-line block ×3, first 2 shown]
	v_add_co_u32 v46, vcc_lo, v46, v39
	v_add_co_ci_u32_e32 v45, vcc_lo, v45, v40, vcc_lo
	v_cmp_eq_u32_e64 s4, 0, v86
	s_delay_alu instid0(VALU_DEP_3) | instskip(SKIP_1) | instid1(VALU_DEP_4)
	v_cndmask_b32_e64 v46, 0, v46, s11
	v_cmp_eq_u32_e64 s3, 0, v85
	v_cndmask_b32_e64 v45, 0, v45, s11
	v_cmp_eq_u32_e64 s1, 0, v83
	v_add3_u32 v47, v99, v91, v90
	v_add_co_u32 v46, vcc_lo, v46, v37
	s_delay_alu instid0(VALU_DEP_4) | instskip(NEXT) | instid1(VALU_DEP_3)
	v_add_co_ci_u32_e32 v45, vcc_lo, v45, v38, vcc_lo
	v_add3_u32 v47, v47, v89, v87
	s_delay_alu instid0(VALU_DEP_3) | instskip(SKIP_1) | instid1(VALU_DEP_3)
	v_cndmask_b32_e64 v46, 0, v46, s10
	s_mov_b32 s14, exec_lo
	v_cndmask_b32_e64 v45, 0, v45, s10
	s_delay_alu instid0(VALU_DEP_3) | instskip(NEXT) | instid1(VALU_DEP_3)
	v_add3_u32 v47, v47, v86, v85
	v_add_co_u32 v46, vcc_lo, v46, v35
	s_delay_alu instid0(VALU_DEP_3) | instskip(NEXT) | instid1(VALU_DEP_3)
	v_add_co_ci_u32_e32 v45, vcc_lo, v45, v36, vcc_lo
	v_add3_u32 v47, v47, v84, v83
	s_delay_alu instid0(VALU_DEP_3) | instskip(NEXT) | instid1(VALU_DEP_3)
	v_cndmask_b32_e64 v46, 0, v46, s9
	v_cndmask_b32_e64 v45, 0, v45, s9
	s_delay_alu instid0(VALU_DEP_3) | instskip(NEXT) | instid1(VALU_DEP_3)
	v_add3_u32 v47, v47, v82, v88
	v_add_co_u32 v46, vcc_lo, v46, v33
	s_delay_alu instid0(VALU_DEP_3) | instskip(NEXT) | instid1(VALU_DEP_2)
	v_add_co_ci_u32_e32 v45, vcc_lo, v45, v34, vcc_lo
	v_cndmask_b32_e64 v46, 0, v46, s8
	s_delay_alu instid0(VALU_DEP_2) | instskip(NEXT) | instid1(VALU_DEP_2)
	v_cndmask_b32_e64 v45, 0, v45, s8
	v_add_co_u32 v46, vcc_lo, v46, v31
	s_delay_alu instid0(VALU_DEP_2) | instskip(NEXT) | instid1(VALU_DEP_2)
	v_add_co_ci_u32_e32 v45, vcc_lo, v45, v32, vcc_lo
	v_cndmask_b32_e64 v46, 0, v46, s7
	s_delay_alu instid0(VALU_DEP_2) | instskip(NEXT) | instid1(VALU_DEP_2)
	v_cndmask_b32_e64 v45, 0, v45, s7
	v_add_co_u32 v46, vcc_lo, v46, v27
	s_delay_alu instid0(VALU_DEP_2) | instskip(NEXT) | instid1(VALU_DEP_2)
	;; [unrolled: 6-line block ×5, first 2 shown]
	v_add_co_ci_u32_e32 v45, vcc_lo, v45, v26, vcc_lo
	v_cndmask_b32_e64 v46, 0, v46, s3
	s_delay_alu instid0(VALU_DEP_2) | instskip(NEXT) | instid1(VALU_DEP_2)
	v_cndmask_b32_e64 v45, 0, v45, s3
	v_add_co_u32 v46, vcc_lo, v46, v21
	s_delay_alu instid0(VALU_DEP_2) | instskip(SKIP_1) | instid1(VALU_DEP_2)
	v_add_co_ci_u32_e32 v45, vcc_lo, v45, v22, vcc_lo
	v_cmp_eq_u32_e32 vcc_lo, 0, v84
	v_dual_cndmask_b32 v45, 0, v45 :: v_dual_cndmask_b32 v46, 0, v46
	s_delay_alu instid0(VALU_DEP_1) | instskip(NEXT) | instid1(VALU_DEP_1)
	v_add_co_u32 v46, s0, v46, v19
	v_add_co_ci_u32_e64 v45, s0, v45, v20, s0
	s_delay_alu instid0(VALU_DEP_2) | instskip(NEXT) | instid1(VALU_DEP_2)
	v_cndmask_b32_e64 v46, 0, v46, s1
	v_cndmask_b32_e64 v45, 0, v45, s1
	s_delay_alu instid0(VALU_DEP_2) | instskip(NEXT) | instid1(VALU_DEP_1)
	v_add_co_u32 v46, s0, v46, v17
	v_add_co_ci_u32_e64 v45, s0, v45, v18, s0
	v_cmp_eq_u32_e64 s0, 0, v82
	s_delay_alu instid0(VALU_DEP_1) | instskip(NEXT) | instid1(VALU_DEP_3)
	v_cndmask_b32_e64 v46, 0, v46, s0
	v_cndmask_b32_e64 v45, 0, v45, s0
	s_delay_alu instid0(VALU_DEP_2) | instskip(NEXT) | instid1(VALU_DEP_1)
	v_add_co_u32 v46, s13, v46, v15
	v_add_co_ci_u32_e64 v45, s13, v45, v16, s13
	v_cmp_eq_u32_e64 s13, 0, v88
	s_delay_alu instid0(VALU_DEP_1) | instskip(NEXT) | instid1(VALU_DEP_3)
	v_cndmask_b32_e64 v46, 0, v46, s13
	v_cndmask_b32_e64 v45, 0, v45, s13
	s_delay_alu instid0(VALU_DEP_2) | instskip(NEXT) | instid1(VALU_DEP_1)
	v_add_co_u32 v43, s13, v46, v43
	v_add_co_ci_u32_e64 v44, s13, v45, v44, s13
	v_and_b32_e32 v45, 15, v97
	v_mov_b32_dpp v46, v47 row_shr:1 row_mask:0xf bank_mask:0xf
	s_delay_alu instid0(VALU_DEP_4) | instskip(NEXT) | instid1(VALU_DEP_4)
	v_mov_b32_dpp v48, v43 row_shr:1 row_mask:0xf bank_mask:0xf
	v_mov_b32_dpp v51, v44 row_shr:1 row_mask:0xf bank_mask:0xf
	s_delay_alu instid0(VALU_DEP_4)
	v_cmpx_ne_u32_e32 0, v45
; %bb.145:
	v_cmp_eq_u32_e64 s13, 0, v47
	v_add_nc_u32_e32 v47, v46, v47
	s_delay_alu instid0(VALU_DEP_2) | instskip(SKIP_1) | instid1(VALU_DEP_2)
	v_cndmask_b32_e64 v48, 0, v48, s13
	v_cndmask_b32_e64 v51, 0, v51, s13
	v_add_co_u32 v43, s13, v48, v43
	s_delay_alu instid0(VALU_DEP_1)
	v_add_co_ci_u32_e64 v44, s13, v51, v44, s13
; %bb.146:
	s_or_b32 exec_lo, exec_lo, s14
	v_mov_b32_dpp v46, v47 row_shr:2 row_mask:0xf bank_mask:0xf
	s_delay_alu instid0(VALU_DEP_3) | instskip(NEXT) | instid1(VALU_DEP_3)
	v_mov_b32_dpp v48, v43 row_shr:2 row_mask:0xf bank_mask:0xf
	v_mov_b32_dpp v51, v44 row_shr:2 row_mask:0xf bank_mask:0xf
	s_mov_b32 s14, exec_lo
	v_cmpx_lt_u32_e32 1, v45
; %bb.147:
	v_cmp_eq_u32_e64 s13, 0, v47
	v_add_nc_u32_e32 v47, v46, v47
	s_delay_alu instid0(VALU_DEP_2) | instskip(SKIP_1) | instid1(VALU_DEP_2)
	v_cndmask_b32_e64 v48, 0, v48, s13
	v_cndmask_b32_e64 v51, 0, v51, s13
	v_add_co_u32 v43, s13, v48, v43
	s_delay_alu instid0(VALU_DEP_1)
	v_add_co_ci_u32_e64 v44, s13, v51, v44, s13
; %bb.148:
	s_or_b32 exec_lo, exec_lo, s14
	v_mov_b32_dpp v46, v47 row_shr:4 row_mask:0xf bank_mask:0xf
	s_delay_alu instid0(VALU_DEP_3) | instskip(NEXT) | instid1(VALU_DEP_3)
	v_mov_b32_dpp v48, v43 row_shr:4 row_mask:0xf bank_mask:0xf
	v_mov_b32_dpp v51, v44 row_shr:4 row_mask:0xf bank_mask:0xf
	s_mov_b32 s14, exec_lo
	v_cmpx_lt_u32_e32 3, v45
	;; [unrolled: 17-line block ×3, first 2 shown]
; %bb.151:
	v_cmp_eq_u32_e64 s13, 0, v47
	v_add_nc_u32_e32 v47, v46, v47
	s_delay_alu instid0(VALU_DEP_2) | instskip(SKIP_1) | instid1(VALU_DEP_2)
	v_cndmask_b32_e64 v48, 0, v48, s13
	v_cndmask_b32_e64 v45, 0, v51, s13
	v_add_co_u32 v43, s13, v48, v43
	s_delay_alu instid0(VALU_DEP_1)
	v_add_co_ci_u32_e64 v44, s13, v45, v44, s13
; %bb.152:
	s_or_b32 exec_lo, exec_lo, s14
	ds_swizzle_b32 v45, v47 offset:swizzle(BROADCAST,32,15)
	ds_swizzle_b32 v46, v43 offset:swizzle(BROADCAST,32,15)
	;; [unrolled: 1-line block ×3, first 2 shown]
	v_and_b32_e32 v51, 16, v97
	s_mov_b32 s14, exec_lo
	s_delay_alu instid0(VALU_DEP_1)
	v_cmpx_ne_u32_e32 0, v51
	s_cbranch_execz .LBB911_154
; %bb.153:
	v_cmp_eq_u32_e64 s13, 0, v47
	s_waitcnt lgkmcnt(2)
	v_add_nc_u32_e32 v47, v45, v47
	s_waitcnt lgkmcnt(1)
	s_delay_alu instid0(VALU_DEP_2) | instskip(SKIP_2) | instid1(VALU_DEP_2)
	v_cndmask_b32_e64 v46, 0, v46, s13
	s_waitcnt lgkmcnt(0)
	v_cndmask_b32_e64 v48, 0, v48, s13
	v_add_co_u32 v43, s13, v46, v43
	s_delay_alu instid0(VALU_DEP_1)
	v_add_co_ci_u32_e64 v44, s13, v48, v44, s13
.LBB911_154:
	s_or_b32 exec_lo, exec_lo, s14
	s_waitcnt lgkmcnt(1)
	v_lshrrev_b32_e32 v46, 5, v0
	v_or_b32_e32 v45, 31, v0
	s_mov_b32 s14, exec_lo
	s_waitcnt lgkmcnt(0)
	s_delay_alu instid0(VALU_DEP_2) | instskip(NEXT) | instid1(VALU_DEP_2)
	v_lshlrev_b32_e32 v48, 4, v46
	v_cmpx_eq_u32_e64 v45, v0
	s_cbranch_execz .LBB911_156
; %bb.155:
	ds_store_b32 v48, v47 offset:2080
	ds_store_b64 v48, v[43:44] offset:2088
.LBB911_156:
	s_or_b32 exec_lo, exec_lo, s14
	s_delay_alu instid0(SALU_CYCLE_1)
	s_mov_b32 s14, exec_lo
	s_waitcnt vmcnt(0) lgkmcnt(0)
	s_barrier
	buffer_gl0_inv
	v_cmpx_gt_u32_e32 8, v0
	s_cbranch_execz .LBB911_164
; %bb.157:
	v_lshlrev_b32_e32 v51, 4, v0
	v_and_b32_e32 v53, 7, v97
	s_mov_b32 s16, exec_lo
	ds_load_b32 v52, v51 offset:2080
	ds_load_b64 v[45:46], v51 offset:2088
	s_waitcnt lgkmcnt(1)
	v_mov_b32_dpp v54, v52 row_shr:1 row_mask:0xf bank_mask:0xf
	s_waitcnt lgkmcnt(0)
	v_mov_b32_dpp v55, v45 row_shr:1 row_mask:0xf bank_mask:0xf
	v_mov_b32_dpp v56, v46 row_shr:1 row_mask:0xf bank_mask:0xf
	v_cmpx_ne_u32_e32 0, v53
; %bb.158:
	v_cmp_eq_u32_e64 s13, 0, v52
	v_add_nc_u32_e32 v52, v54, v52
	s_delay_alu instid0(VALU_DEP_2) | instskip(SKIP_1) | instid1(VALU_DEP_2)
	v_cndmask_b32_e64 v55, 0, v55, s13
	v_cndmask_b32_e64 v56, 0, v56, s13
	v_add_co_u32 v45, s13, v55, v45
	s_delay_alu instid0(VALU_DEP_1)
	v_add_co_ci_u32_e64 v46, s13, v56, v46, s13
; %bb.159:
	s_or_b32 exec_lo, exec_lo, s16
	v_mov_b32_dpp v54, v52 row_shr:2 row_mask:0xf bank_mask:0xf
	s_delay_alu instid0(VALU_DEP_3) | instskip(NEXT) | instid1(VALU_DEP_3)
	v_mov_b32_dpp v55, v45 row_shr:2 row_mask:0xf bank_mask:0xf
	v_mov_b32_dpp v56, v46 row_shr:2 row_mask:0xf bank_mask:0xf
	s_mov_b32 s16, exec_lo
	v_cmpx_lt_u32_e32 1, v53
; %bb.160:
	v_cmp_eq_u32_e64 s13, 0, v52
	v_add_nc_u32_e32 v52, v54, v52
	s_delay_alu instid0(VALU_DEP_2) | instskip(SKIP_1) | instid1(VALU_DEP_2)
	v_cndmask_b32_e64 v55, 0, v55, s13
	v_cndmask_b32_e64 v56, 0, v56, s13
	v_add_co_u32 v45, s13, v55, v45
	s_delay_alu instid0(VALU_DEP_1)
	v_add_co_ci_u32_e64 v46, s13, v56, v46, s13
; %bb.161:
	s_or_b32 exec_lo, exec_lo, s16
	v_mov_b32_dpp v54, v52 row_shr:4 row_mask:0xf bank_mask:0xf
	s_delay_alu instid0(VALU_DEP_3) | instskip(NEXT) | instid1(VALU_DEP_3)
	v_mov_b32_dpp v55, v45 row_shr:4 row_mask:0xf bank_mask:0xf
	v_mov_b32_dpp v56, v46 row_shr:4 row_mask:0xf bank_mask:0xf
	s_mov_b32 s16, exec_lo
	v_cmpx_lt_u32_e32 3, v53
; %bb.162:
	v_cmp_eq_u32_e64 s13, 0, v52
	v_add_nc_u32_e32 v52, v54, v52
	s_delay_alu instid0(VALU_DEP_2) | instskip(SKIP_1) | instid1(VALU_DEP_2)
	v_cndmask_b32_e64 v55, 0, v55, s13
	v_cndmask_b32_e64 v53, 0, v56, s13
	v_add_co_u32 v45, s13, v55, v45
	s_delay_alu instid0(VALU_DEP_1)
	v_add_co_ci_u32_e64 v46, s13, v53, v46, s13
; %bb.163:
	s_or_b32 exec_lo, exec_lo, s16
	ds_store_b32 v51, v52 offset:2080
	ds_store_b64 v51, v[45:46] offset:2088
.LBB911_164:
	s_or_b32 exec_lo, exec_lo, s14
	v_mov_b32_e32 v45, v49
	v_dual_mov_b32 v75, 0 :: v_dual_mov_b32 v46, v50
	v_mov_b32_e32 v51, 0
	s_mov_b32 s14, exec_lo
	s_waitcnt lgkmcnt(0)
	s_barrier
	buffer_gl0_inv
	v_cmpx_lt_u32_e32 31, v0
	s_cbranch_execz .LBB911_166
; %bb.165:
	ds_load_b32 v51, v48 offset:2064
	ds_load_b64 v[45:46], v48 offset:2072
	s_waitcnt lgkmcnt(1)
	v_cmp_eq_u32_e64 s13, 0, v51
	s_delay_alu instid0(VALU_DEP_1) | instskip(SKIP_2) | instid1(VALU_DEP_2)
	v_cndmask_b32_e64 v52, 0, v49, s13
	v_cndmask_b32_e64 v48, 0, v50, s13
	s_waitcnt lgkmcnt(0)
	v_add_co_u32 v45, s13, v52, v45
	s_delay_alu instid0(VALU_DEP_1)
	v_add_co_ci_u32_e64 v46, s13, v48, v46, s13
.LBB911_166:
	s_or_b32 exec_lo, exec_lo, s14
	v_add_nc_u32_e32 v48, -1, v97
	v_cmp_eq_u32_e64 s13, 0, v47
	v_add_nc_u32_e32 v47, v51, v47
	s_delay_alu instid0(VALU_DEP_3) | instskip(NEXT) | instid1(VALU_DEP_3)
	v_cmp_gt_i32_e64 s14, 0, v48
	v_cndmask_b32_e64 v53, 0, v45, s13
	v_cndmask_b32_e64 v52, 0, v46, s13
	s_delay_alu instid0(VALU_DEP_3) | instskip(NEXT) | instid1(VALU_DEP_3)
	v_cndmask_b32_e64 v48, v48, v97, s14
	v_add_co_u32 v43, s13, v53, v43
	s_delay_alu instid0(VALU_DEP_1) | instskip(NEXT) | instid1(VALU_DEP_3)
	v_add_co_ci_u32_e64 v44, s13, v52, v44, s13
	v_lshlrev_b32_e32 v48, 2, v48
	v_cmp_eq_u32_e64 s13, 0, v97
	ds_bpermute_b32 v43, v48, v43
	ds_bpermute_b32 v44, v48, v44
	;; [unrolled: 1-line block ×3, first 2 shown]
	s_waitcnt lgkmcnt(2)
	v_cndmask_b32_e64 v63, v43, v45, s13
	s_waitcnt lgkmcnt(1)
	v_cndmask_b32_e64 v64, v44, v46, s13
	;; [unrolled: 2-line block ×3, first 2 shown]
	v_cmp_eq_u32_e64 s13, 0, v96
	ds_load_b32 v45, v75 offset:2192
	v_cndmask_b32_e64 v43, v63, v49, s2
	v_cndmask_b32_e64 v44, v64, v50, s2
	s_delay_alu instid0(VALU_DEP_2) | instskip(NEXT) | instid1(VALU_DEP_2)
	v_cndmask_b32_e64 v43, 0, v43, s13
	v_cndmask_b32_e64 v44, 0, v44, s13
	s_delay_alu instid0(VALU_DEP_2) | instskip(NEXT) | instid1(VALU_DEP_1)
	v_add_co_u32 v59, s13, v43, v41
	v_add_co_ci_u32_e64 v60, s13, v44, v42, s13
	s_delay_alu instid0(VALU_DEP_2) | instskip(NEXT) | instid1(VALU_DEP_2)
	v_cndmask_b32_e64 v41, 0, v59, s12
	v_cndmask_b32_e64 v42, 0, v60, s12
	s_delay_alu instid0(VALU_DEP_2) | instskip(NEXT) | instid1(VALU_DEP_1)
	v_add_co_u32 v65, s12, v41, v39
	v_add_co_ci_u32_e64 v66, s12, v42, v40, s12
	;; [unrolled: 6-line block ×11, first 2 shown]
	ds_load_b64 v[21:22], v75 offset:2200
	v_dual_cndmask_b32 v23, 0, v73 :: v_dual_cndmask_b32 v24, 0, v74
	s_delay_alu instid0(VALU_DEP_1) | instskip(NEXT) | instid1(VALU_DEP_2)
	v_add_co_u32 v75, vcc_lo, v23, v19
	v_add_co_ci_u32_e32 v76, vcc_lo, v24, v20, vcc_lo
	s_waitcnt lgkmcnt(1)
	v_cmp_eq_u32_e32 vcc_lo, 0, v45
	s_delay_alu instid0(VALU_DEP_3) | instskip(NEXT) | instid1(VALU_DEP_3)
	v_cndmask_b32_e64 v19, 0, v75, s1
	v_cndmask_b32_e64 v20, 0, v76, s1
	s_delay_alu instid0(VALU_DEP_2) | instskip(NEXT) | instid1(VALU_DEP_1)
	v_add_co_u32 v77, s1, v19, v17
	v_add_co_ci_u32_e64 v78, s1, v20, v18, s1
	v_dual_cndmask_b32 v18, 0, v49 :: v_dual_cndmask_b32 v17, 0, v50
	s_delay_alu instid0(VALU_DEP_3) | instskip(NEXT) | instid1(VALU_DEP_3)
	v_cndmask_b32_e64 v79, 0, v77, s0
	v_cndmask_b32_e64 v80, 0, v78, s0
	s_waitcnt lgkmcnt(0)
	s_delay_alu instid0(VALU_DEP_3)
	v_add_co_u32 v47, vcc_lo, v18, v21
	v_add_co_ci_u32_e32 v48, vcc_lo, v17, v22, vcc_lo
	s_and_saveexec_b32 s0, s2
	s_cbranch_execz .LBB911_168
; %bb.167:
	v_dual_mov_b32 v98, 0 :: v_dual_mov_b32 v17, 2
	v_dual_mov_b32 v64, v50 :: v_dual_mov_b32 v63, v49
	s_clause 0x1
	global_store_b32 v98, v45, s[38:39] offset:512
	global_store_b64 v98, v[47:48], s[38:39] offset:520
	s_waitcnt_vscnt null, 0x0
	buffer_gl1_inv
	buffer_gl0_inv
	global_store_b8 v98, v17, s[40:41] offset:32
.LBB911_168:
	s_or_b32 exec_lo, exec_lo, s0
	v_mov_b32_e32 v49, 0
.LBB911_169:
	v_mov_b32_e32 v17, 0
	s_and_b32 s0, s15, exec_lo
	v_mov_b32_e32 v18, 0
	s_cselect_b32 s1, 0, s51
	s_cselect_b32 s0, 0, s50
	s_waitcnt lgkmcnt(0)
	s_waitcnt_vscnt null, 0x0
	s_cmp_eq_u64 s[0:1], 0
	s_barrier
	buffer_gl0_inv
	s_cbranch_scc1 .LBB911_171
; %bb.170:
	v_mov_b32_e32 v17, 0
	global_load_b64 v[17:18], v17, s[0:1]
.LBB911_171:
	v_add_nc_u32_e32 v32, v98, v96
	v_cmp_gt_u32_e32 vcc_lo, 0x100, v45
	s_delay_alu instid0(VALU_DEP_2) | instskip(SKIP_1) | instid1(VALU_DEP_1)
	v_add_nc_u32_e32 v31, v32, v95
	s_and_b32 vcc_lo, exec_lo, vcc_lo
	v_add_nc_u32_e32 v30, v31, v94
	s_delay_alu instid0(VALU_DEP_1) | instskip(NEXT) | instid1(VALU_DEP_1)
	v_add_nc_u32_e32 v29, v30, v93
	v_add_nc_u32_e32 v28, v29, v92
	s_delay_alu instid0(VALU_DEP_1) | instskip(NEXT) | instid1(VALU_DEP_1)
	v_add_nc_u32_e32 v27, v28, v91
	;; [unrolled: 3-line block ×5, first 2 shown]
	v_add_nc_u32_e32 v20, v21, v83
	s_delay_alu instid0(VALU_DEP_1)
	v_add_nc_u32_e32 v19, v20, v82
	s_cbranch_vccnz .LBB911_220
; %bb.172:
	v_cmp_eq_u32_e32 vcc_lo, 0, v95
	v_cmp_eq_u32_e64 s0, 0, v83
	v_cmp_eq_u32_e64 s1, 0, v82
	v_cmp_ne_u32_e64 s12, 0, v96
	v_cmp_ne_u32_e64 s3, 0, v84
	v_cndmask_b32_e64 v33, 1, 2, vcc_lo
	v_cmp_eq_u32_e32 vcc_lo, 0, v96
	v_cndmask_b32_e64 v36, 1, 2, s1
	v_cmp_ne_u32_e64 s1, 0, v83
	v_cmp_ne_u32_e64 s4, 0, v85
	;; [unrolled: 1-line block ×3, first 2 shown]
	v_cndmask_b32_e64 v34, 1, 2, vcc_lo
	v_cmp_eq_u32_e32 vcc_lo, 0, v94
	v_cmp_ne_u32_e64 s6, 0, v87
	v_cmp_ne_u32_e64 s7, 0, v89
	;; [unrolled: 1-line block ×3, first 2 shown]
	v_and_b32_e32 v33, v33, v34
	v_cndmask_b32_e64 v35, 1, 2, vcc_lo
	v_cmp_eq_u32_e32 vcc_lo, 0, v93
	v_cmp_ne_u32_e64 s9, 0, v91
	v_cmp_ne_u32_e64 s10, 0, v92
	;; [unrolled: 1-line block ×3, first 2 shown]
	v_and_b32_e32 v33, v33, v35
	v_cndmask_b32_e64 v34, 1, 2, vcc_lo
	v_cmp_eq_u32_e32 vcc_lo, 0, v92
	v_cmp_ne_u32_e64 s13, 0, v94
	v_cmp_ne_u32_e64 s14, 0, v95
	s_mov_b32 s18, 0
	v_and_b32_e32 v33, v33, v34
	v_cndmask_b32_e64 v35, 1, 2, vcc_lo
	v_cmp_eq_u32_e32 vcc_lo, 0, v91
	s_mov_b32 s16, exec_lo
	s_delay_alu instid0(VALU_DEP_2) | instskip(SKIP_2) | instid1(VALU_DEP_2)
	v_and_b32_e32 v33, v33, v35
	v_cndmask_b32_e64 v34, 1, 2, vcc_lo
	v_cmp_eq_u32_e32 vcc_lo, 0, v90
	v_and_b32_e32 v33, v33, v34
	v_cndmask_b32_e64 v35, 1, 2, vcc_lo
	v_cmp_eq_u32_e32 vcc_lo, 0, v89
	s_delay_alu instid0(VALU_DEP_2) | instskip(SKIP_2) | instid1(VALU_DEP_2)
	v_and_b32_e32 v33, v33, v35
	v_cndmask_b32_e64 v34, 1, 2, vcc_lo
	v_cmp_eq_u32_e32 vcc_lo, 0, v87
	v_and_b32_e32 v33, v33, v34
	v_cndmask_b32_e64 v35, 1, 2, vcc_lo
	v_cmp_eq_u32_e32 vcc_lo, 0, v86
	s_delay_alu instid0(VALU_DEP_2) | instskip(SKIP_2) | instid1(VALU_DEP_2)
	v_and_b32_e32 v33, v33, v35
	v_cndmask_b32_e64 v34, 1, 2, vcc_lo
	v_cmp_eq_u32_e32 vcc_lo, 0, v85
	v_and_b32_e32 v33, v33, v34
	v_cndmask_b32_e64 v35, 1, 2, vcc_lo
	v_cmp_eq_u32_e32 vcc_lo, 0, v84
	s_delay_alu instid0(VALU_DEP_2) | instskip(SKIP_4) | instid1(VALU_DEP_4)
	v_and_b32_e32 v33, v33, v35
	v_cndmask_b32_e64 v34, 1, 2, vcc_lo
	v_cndmask_b32_e64 v35, 1, 2, s0
	v_cmp_eq_u32_e64 s0, 0, v88
	v_cmp_ne_u32_e32 vcc_lo, 0, v88
	v_and_b32_e32 v33, v33, v34
	s_delay_alu instid0(VALU_DEP_3) | instskip(SKIP_1) | instid1(VALU_DEP_3)
	v_cndmask_b32_e64 v34, 1, 2, s0
	v_cmp_ne_u32_e64 s0, 0, v82
	v_and_b32_e32 v33, v33, v35
	s_delay_alu instid0(VALU_DEP_1) | instskip(NEXT) | instid1(VALU_DEP_1)
	v_and_b32_e32 v33, v33, v36
	v_and_b32_e32 v33, v33, v34
	s_delay_alu instid0(VALU_DEP_1)
	v_cmpx_gt_i16_e32 2, v33
	s_cbranch_execz .LBB911_219
; %bb.173:
	v_cmp_ne_u16_e64 s15, 1, v33
	s_delay_alu instid0(VALU_DEP_1) | instskip(NEXT) | instid1(SALU_CYCLE_1)
	s_and_saveexec_b32 s19, s15
	s_xor_b32 s15, exec_lo, s19
	s_cbranch_execz .LBB911_197
; %bb.174:
	s_and_saveexec_b32 s18, s12
	s_cbranch_execz .LBB911_202
; %bb.175:
	v_sub_nc_u32_e32 v33, v98, v49
	s_delay_alu instid0(VALU_DEP_1)
	v_lshlrev_b32_e32 v33, 2, v33
	ds_store_b32 v33, v13
	s_or_b32 exec_lo, exec_lo, s18
	s_and_saveexec_b32 s12, s14
	s_cbranch_execnz .LBB911_203
.LBB911_176:
	s_or_b32 exec_lo, exec_lo, s12
	s_and_saveexec_b32 s12, s13
	s_cbranch_execz .LBB911_204
.LBB911_177:
	v_sub_nc_u32_e32 v13, v31, v49
	s_delay_alu instid0(VALU_DEP_1)
	v_lshlrev_b32_e32 v13, 2, v13
	ds_store_b32 v13, v11
	s_or_b32 exec_lo, exec_lo, s12
	s_and_saveexec_b32 s12, s11
	s_cbranch_execnz .LBB911_205
.LBB911_178:
	s_or_b32 exec_lo, exec_lo, s12
	s_and_saveexec_b32 s11, s10
	s_cbranch_execz .LBB911_206
.LBB911_179:
	v_sub_nc_u32_e32 v11, v29, v49
	s_delay_alu instid0(VALU_DEP_1)
	v_lshlrev_b32_e32 v11, 2, v11
	ds_store_b32 v11, v9
	s_or_b32 exec_lo, exec_lo, s11
	s_and_saveexec_b32 s10, s9
	s_cbranch_execnz .LBB911_207
.LBB911_180:
	s_or_b32 exec_lo, exec_lo, s10
	s_and_saveexec_b32 s9, s8
	s_cbranch_execz .LBB911_208
.LBB911_181:
	v_sub_nc_u32_e32 v9, v27, v49
	s_delay_alu instid0(VALU_DEP_1)
	v_lshlrev_b32_e32 v9, 2, v9
	ds_store_b32 v9, v7
	s_or_b32 exec_lo, exec_lo, s9
	s_and_saveexec_b32 s8, s7
	s_cbranch_execnz .LBB911_209
.LBB911_182:
	s_or_b32 exec_lo, exec_lo, s8
	s_and_saveexec_b32 s7, s6
	s_cbranch_execz .LBB911_210
.LBB911_183:
	v_sub_nc_u32_e32 v7, v25, v49
	s_delay_alu instid0(VALU_DEP_1)
	v_lshlrev_b32_e32 v7, 2, v7
	ds_store_b32 v7, v5
	s_or_b32 exec_lo, exec_lo, s7
	s_and_saveexec_b32 s6, s5
	s_cbranch_execnz .LBB911_211
.LBB911_184:
	s_or_b32 exec_lo, exec_lo, s6
	s_and_saveexec_b32 s5, s4
	s_cbranch_execz .LBB911_212
.LBB911_185:
	v_sub_nc_u32_e32 v5, v23, v49
	s_delay_alu instid0(VALU_DEP_1)
	v_lshlrev_b32_e32 v5, 2, v5
	ds_store_b32 v5, v3
	s_or_b32 exec_lo, exec_lo, s5
	s_and_saveexec_b32 s4, s3
	s_cbranch_execnz .LBB911_213
.LBB911_186:
	s_or_b32 exec_lo, exec_lo, s4
	s_and_saveexec_b32 s3, s1
	s_cbranch_execz .LBB911_214
.LBB911_187:
	v_sub_nc_u32_e32 v3, v21, v49
	s_delay_alu instid0(VALU_DEP_1)
	v_lshlrev_b32_e32 v3, 2, v3
	ds_store_b32 v3, v1
	s_or_b32 exec_lo, exec_lo, s3
	s_and_saveexec_b32 s1, s0
	s_cbranch_execnz .LBB911_215
	s_branch .LBB911_216
.LBB911_188:
	s_mov_b32 s29, 0
                                        ; implicit-def: $sgpr0
                                        ; implicit-def: $vgpr88
                                        ; implicit-def: $vgpr82
                                        ; implicit-def: $vgpr83
                                        ; implicit-def: $vgpr84
                                        ; implicit-def: $vgpr85
                                        ; implicit-def: $vgpr86
                                        ; implicit-def: $vgpr87
                                        ; implicit-def: $vgpr89
                                        ; implicit-def: $vgpr90
                                        ; implicit-def: $vgpr91
                                        ; implicit-def: $vgpr92
                                        ; implicit-def: $vgpr93
                                        ; implicit-def: $vgpr94
                                        ; implicit-def: $vgpr95
	s_cbranch_execz .LBB911_74
; %bb.189:
	v_cmp_ne_u32_e32 vcc_lo, v2, v81
	ds_store_b32 v74, v81
	s_waitcnt lgkmcnt(0)
	s_barrier
	buffer_gl0_inv
	v_cndmask_b32_e64 v88, 0, 1, vcc_lo
	v_cmp_ne_u32_e32 vcc_lo, v1, v2
                                        ; implicit-def: $sgpr0
	v_cndmask_b32_e64 v82, 0, 1, vcc_lo
	v_cmp_ne_u32_e32 vcc_lo, v4, v1
	v_cndmask_b32_e64 v83, 0, 1, vcc_lo
	v_cmp_ne_u32_e32 vcc_lo, v3, v4
	;; [unrolled: 2-line block ×12, first 2 shown]
	v_cndmask_b32_e64 v95, 0, 1, vcc_lo
	s_and_saveexec_b32 s1, s3
	s_delay_alu instid0(SALU_CYCLE_1)
	s_xor_b32 s1, exec_lo, s1
	s_cbranch_execz .LBB911_191
; %bb.190:
	v_add_nc_u32_e32 v50, -4, v74
	s_or_b32 s29, s29, exec_lo
	ds_load_b32 v50, v50
	s_waitcnt lgkmcnt(0)
	v_cmp_ne_u32_e32 vcc_lo, v50, v13
	s_and_b32 s0, vcc_lo, exec_lo
.LBB911_191:
	s_or_b32 exec_lo, exec_lo, s1
	s_mov_b32 s1, 1
	s_branch .LBB911_76
.LBB911_192:
	s_mul_hi_u32 s0, s24, 0xfffff100
	s_mul_i32 s1, s25, 0xfffff100
	s_sub_i32 s0, s0, s24
	s_mul_i32 s4, s24, 0xfffff100
	s_add_i32 s0, s0, s1
	s_add_u32 s24, s4, s48
	s_addc_u32 s25, s0, s49
	s_and_b32 vcc_lo, exec_lo, s15
	v_cmp_ne_u32_e64 s14, v2, v81
	v_cmp_ne_u32_e64 s15, v1, v2
	;; [unrolled: 1-line block ×14, first 2 shown]
	s_cbranch_vccz .LBB911_199
; %bb.193:
	v_add_co_u32 v72, vcc_lo, -4, v48
	v_add_co_ci_u32_e32 v73, vcc_lo, -1, v46, vcc_lo
	v_mov_b32_e32 v46, 0
	s_mov_b32 s29, -1
	s_mov_b32 s30, 0
	flat_load_b32 v75, v[72:73]
	ds_store_b32 v74, v81
	v_cmp_gt_u64_e32 vcc_lo, s[24:25], v[45:46]
	v_mov_b32_e32 v72, v46
	v_mov_b32_e32 v70, v46
	;; [unrolled: 1-line block ×5, first 2 shown]
	v_cmp_gt_u64_e64 s16, s[24:25], v[71:72]
	s_and_b32 s31, vcc_lo, s14
	v_cmp_gt_u64_e32 vcc_lo, s[24:25], v[69:70]
	v_mov_b32_e32 v62, v46
	v_mov_b32_e32 v60, v46
	v_cmp_gt_u64_e64 s14, s[24:25], v[67:68]
	s_and_b32 s33, s16, s15
	v_mov_b32_e32 v58, v46
	s_and_b32 s34, vcc_lo, s13
	v_cmp_gt_u64_e32 vcc_lo, s[24:25], v[65:66]
	v_cmp_gt_u64_e64 s13, s[24:25], v[63:64]
	v_cmp_gt_u64_e64 s15, s[24:25], v[61:62]
	;; [unrolled: 1-line block ×3, first 2 shown]
	v_mov_b32_e32 v56, v46
	v_mov_b32_e32 v54, v46
	;; [unrolled: 1-line block ×5, first 2 shown]
	s_and_b32 s14, s14, s12
	s_and_b32 s35, vcc_lo, s8
	s_and_b32 s13, s13, s9
	s_and_b32 s15, s15, s10
	;; [unrolled: 1-line block ×3, first 2 shown]
	v_cmp_gt_u64_e32 vcc_lo, s[24:25], v[57:58]
	v_cmp_gt_u64_e64 s8, s[24:25], v[55:56]
	v_cmp_gt_u64_e64 s9, s[24:25], v[53:54]
	;; [unrolled: 1-line block ×5, first 2 shown]
	v_mul_u32_u24_e32 v72, 15, v0
	s_and_b32 s0, vcc_lo, s0
	s_and_b32 s8, s8, s1
	s_and_b32 s9, s9, s4
	;; [unrolled: 1-line block ×5, first 2 shown]
	s_waitcnt vmcnt(0) lgkmcnt(0)
	s_barrier
	buffer_gl0_inv
	s_and_saveexec_b32 s6, s3
	s_cbranch_execz .LBB911_195
; %bb.194:
	v_add_nc_u32_e32 v48, -4, v74
	ds_load_b32 v75, v48
.LBB911_195:
	s_or_b32 exec_lo, exec_lo, s6
	v_mov_b32_e32 v73, v46
	v_cndmask_b32_e64 v90, 0, 1, s0
	s_waitcnt lgkmcnt(0)
	v_cmp_ne_u32_e64 s0, v75, v13
	v_cndmask_b32_e64 v88, 0, 1, s31
	v_cndmask_b32_e64 v82, 0, 1, s33
	v_cmp_gt_u64_e32 vcc_lo, s[24:25], v[72:73]
	v_cndmask_b32_e64 v83, 0, 1, s34
	v_cndmask_b32_e64 v84, 0, 1, s14
	;; [unrolled: 1-line block ×11, first 2 shown]
	s_and_b32 s0, vcc_lo, s0
	s_and_b32 vcc_lo, exec_lo, s30
	s_cbranch_vccnz .LBB911_200
.LBB911_196:
                                        ; implicit-def: $sgpr1
	v_mov_b32_e32 v96, s1
	s_and_saveexec_b32 s1, s29
	s_cbranch_execnz .LBB911_77
	s_branch .LBB911_78
.LBB911_197:
	s_and_not1_saveexec_b32 s0, s15
	s_cbranch_execz .LBB911_217
.LBB911_198:
	v_sub_nc_u32_e32 v33, v98, v49
	v_sub_nc_u32_e32 v36, v30, v49
	;; [unrolled: 1-line block ×4, first 2 shown]
	s_or_b32 s18, s18, exec_lo
	v_lshlrev_b32_e32 v33, 2, v33
	v_lshlrev_b32_e32 v36, 2, v36
	;; [unrolled: 1-line block ×4, first 2 shown]
	ds_store_b32 v33, v13
	ds_store_b32 v34, v14
	;; [unrolled: 1-line block ×3, first 2 shown]
	v_sub_nc_u32_e32 v11, v29, v49
	ds_store_b32 v36, v12
	v_sub_nc_u32_e32 v12, v28, v49
	v_sub_nc_u32_e32 v13, v27, v49
	;; [unrolled: 1-line block ×3, first 2 shown]
	v_lshlrev_b32_e32 v11, 2, v11
	v_sub_nc_u32_e32 v33, v25, v49
	v_lshlrev_b32_e32 v12, 2, v12
	v_lshlrev_b32_e32 v13, 2, v13
	;; [unrolled: 1-line block ×3, first 2 shown]
	ds_store_b32 v11, v9
	v_lshlrev_b32_e32 v9, 2, v33
	ds_store_b32 v12, v10
	ds_store_b32 v13, v7
	;; [unrolled: 1-line block ×3, first 2 shown]
	v_sub_nc_u32_e32 v7, v24, v49
	v_sub_nc_u32_e32 v10, v20, v49
	;; [unrolled: 1-line block ×3, first 2 shown]
	ds_store_b32 v9, v5
	v_sub_nc_u32_e32 v5, v23, v49
	v_lshlrev_b32_e32 v7, 2, v7
	v_sub_nc_u32_e32 v9, v21, v49
	v_lshlrev_b32_e32 v8, 2, v8
	s_delay_alu instid0(VALU_DEP_4)
	v_lshlrev_b32_e32 v5, 2, v5
	ds_store_b32 v7, v6
	v_lshlrev_b32_e32 v6, 2, v10
	v_lshlrev_b32_e32 v9, 2, v9
	ds_store_b32 v5, v3
	ds_store_b32 v8, v4
	ds_store_b32 v9, v1
	ds_store_b32 v6, v2
	s_or_b32 exec_lo, exec_lo, s0
	s_delay_alu instid0(SALU_CYCLE_1)
	s_and_b32 exec_lo, exec_lo, s18
	s_cbranch_execnz .LBB911_218
	s_branch .LBB911_219
.LBB911_199:
                                        ; implicit-def: $sgpr0
                                        ; implicit-def: $vgpr88
                                        ; implicit-def: $vgpr82
                                        ; implicit-def: $vgpr83
                                        ; implicit-def: $vgpr84
                                        ; implicit-def: $vgpr85
                                        ; implicit-def: $vgpr86
                                        ; implicit-def: $vgpr87
                                        ; implicit-def: $vgpr89
                                        ; implicit-def: $vgpr90
                                        ; implicit-def: $vgpr91
                                        ; implicit-def: $vgpr92
                                        ; implicit-def: $vgpr93
                                        ; implicit-def: $vgpr94
                                        ; implicit-def: $vgpr95
	s_cbranch_execz .LBB911_196
.LBB911_200:
	v_mov_b32_e32 v46, 0
	v_cmp_ne_u32_e64 s0, v1, v2
	v_cmp_ne_u32_e64 s4, v4, v1
	v_cmp_ne_u32_e32 vcc_lo, v2, v81
	ds_store_b32 v74, v81
	v_mov_b32_e32 v72, v46
	v_mov_b32_e32 v70, v46
	v_cmp_gt_u64_e64 s1, s[24:25], v[45:46]
	v_mov_b32_e32 v66, v46
	v_mov_b32_e32 v68, v46
	v_cmp_gt_u64_e64 s5, s[24:25], v[71:72]
	v_cmp_gt_u64_e64 s6, s[24:25], v[69:70]
	v_mov_b32_e32 v62, v46
	s_and_b32 s1, s1, vcc_lo
	v_cmp_gt_u64_e64 s7, s[24:25], v[67:68]
	v_cndmask_b32_e64 v88, 0, 1, s1
	s_and_b32 s0, s5, s0
	v_cmp_ne_u32_e64 s1, v6, v3
	v_cndmask_b32_e64 v82, 0, 1, s0
	s_and_b32 s0, s6, s4
	v_cmp_ne_u32_e32 vcc_lo, v3, v4
	v_cndmask_b32_e64 v83, 0, 1, s0
	v_cmp_gt_u64_e64 s0, s[24:25], v[65:66]
	v_mov_b32_e32 v64, v46
	v_mov_b32_e32 v58, v46
	s_and_b32 s4, s7, vcc_lo
	v_mov_b32_e32 v60, v46
	v_cndmask_b32_e64 v84, 0, 1, s4
	s_and_b32 s0, s0, s1
	v_cmp_ne_u32_e64 s1, v8, v5
	v_cndmask_b32_e64 v85, 0, 1, s0
	v_cmp_gt_u64_e64 s0, s[24:25], v[61:62]
	v_cmp_gt_u64_e32 vcc_lo, s[24:25], v[63:64]
	v_cmp_ne_u32_e64 s4, v5, v6
	v_mov_b32_e32 v54, v46
	v_mov_b32_e32 v56, v46
	;; [unrolled: 1-line block ×3, first 2 shown]
	s_and_b32 s0, s0, s1
	s_and_b32 s4, vcc_lo, s4
	v_cndmask_b32_e64 v87, 0, 1, s0
	v_cmp_gt_u64_e64 s0, s[24:25], v[57:58]
	v_cmp_ne_u32_e64 s1, v10, v7
	v_cmp_gt_u64_e32 vcc_lo, s[24:25], v[59:60]
	v_cndmask_b32_e64 v86, 0, 1, s4
	v_cmp_ne_u32_e64 s4, v7, v8
	v_mov_b32_e32 v50, v46
	s_and_b32 s0, s0, s1
	v_cmp_ne_u32_e64 s1, v12, v9
	v_cndmask_b32_e64 v90, 0, 1, s0
	s_and_b32 s4, vcc_lo, s4
	v_cmp_gt_u64_e64 s0, s[24:25], v[53:54]
	v_cmp_gt_u64_e32 vcc_lo, s[24:25], v[55:56]
	v_cndmask_b32_e64 v89, 0, 1, s4
	v_cmp_ne_u32_e64 s4, v9, v10
	v_mov_b32_e32 v48, v46
	v_cmp_ne_u32_e64 s6, v13, v14
	s_and_b32 s0, s0, s1
	v_cmp_gt_u64_e64 s1, s[24:25], v[49:50]
	s_and_b32 s4, vcc_lo, s4
	v_cmp_gt_u64_e32 vcc_lo, s[24:25], v[51:52]
	v_cndmask_b32_e64 v92, 0, 1, s0
	v_cmp_ne_u32_e64 s0, v11, v12
	v_cndmask_b32_e64 v91, 0, 1, s4
	v_cmp_ne_u32_e64 s4, v14, v11
	v_cmp_gt_u64_e64 s5, s[24:25], v[47:48]
	s_waitcnt lgkmcnt(0)
	s_and_b32 s0, vcc_lo, s0
	s_barrier
	v_cndmask_b32_e64 v93, 0, 1, s0
	s_and_b32 s0, s1, s4
	s_mov_b32 s1, 1
	v_cndmask_b32_e64 v94, 0, 1, s0
	s_and_b32 s0, s5, s6
	buffer_gl0_inv
	v_cndmask_b32_e64 v95, 0, 1, s0
                                        ; implicit-def: $sgpr0
	s_and_saveexec_b32 s4, s3
	s_cbranch_execz .LBB911_258
; %bb.201:
	v_add_nc_u32_e32 v45, -4, v74
	s_or_b32 s29, s29, exec_lo
	ds_load_b32 v47, v45
	v_mul_u32_u24_e32 v45, 15, v0
	s_delay_alu instid0(VALU_DEP_1) | instskip(SKIP_2) | instid1(VALU_DEP_1)
	v_cmp_gt_u64_e32 vcc_lo, s[24:25], v[45:46]
	s_waitcnt lgkmcnt(0)
	v_cmp_ne_u32_e64 s0, v47, v13
	s_and_b32 s0, vcc_lo, s0
	s_delay_alu instid0(SALU_CYCLE_1)
	s_and_b32 s0, s0, exec_lo
	s_or_b32 exec_lo, exec_lo, s4
	v_mov_b32_e32 v96, s1
	s_and_saveexec_b32 s1, s29
	s_cbranch_execz .LBB911_78
	s_branch .LBB911_77
.LBB911_202:
	s_or_b32 exec_lo, exec_lo, s18
	s_and_saveexec_b32 s12, s14
	s_cbranch_execz .LBB911_176
.LBB911_203:
	v_sub_nc_u32_e32 v13, v32, v49
	s_delay_alu instid0(VALU_DEP_1)
	v_lshlrev_b32_e32 v13, 2, v13
	ds_store_b32 v13, v14
	s_or_b32 exec_lo, exec_lo, s12
	s_and_saveexec_b32 s12, s13
	s_cbranch_execnz .LBB911_177
.LBB911_204:
	s_or_b32 exec_lo, exec_lo, s12
	s_and_saveexec_b32 s12, s11
	s_cbranch_execz .LBB911_178
.LBB911_205:
	v_sub_nc_u32_e32 v11, v30, v49
	s_delay_alu instid0(VALU_DEP_1)
	v_lshlrev_b32_e32 v11, 2, v11
	ds_store_b32 v11, v12
	s_or_b32 exec_lo, exec_lo, s12
	s_and_saveexec_b32 s11, s10
	s_cbranch_execnz .LBB911_179
.LBB911_206:
	s_or_b32 exec_lo, exec_lo, s11
	s_and_saveexec_b32 s10, s9
	s_cbranch_execz .LBB911_180
.LBB911_207:
	v_sub_nc_u32_e32 v9, v28, v49
	s_delay_alu instid0(VALU_DEP_1)
	v_lshlrev_b32_e32 v9, 2, v9
	ds_store_b32 v9, v10
	s_or_b32 exec_lo, exec_lo, s10
	s_and_saveexec_b32 s9, s8
	s_cbranch_execnz .LBB911_181
.LBB911_208:
	s_or_b32 exec_lo, exec_lo, s9
	s_and_saveexec_b32 s8, s7
	s_cbranch_execz .LBB911_182
.LBB911_209:
	v_sub_nc_u32_e32 v7, v26, v49
	s_delay_alu instid0(VALU_DEP_1)
	v_lshlrev_b32_e32 v7, 2, v7
	ds_store_b32 v7, v8
	s_or_b32 exec_lo, exec_lo, s8
	s_and_saveexec_b32 s7, s6
	s_cbranch_execnz .LBB911_183
.LBB911_210:
	s_or_b32 exec_lo, exec_lo, s7
	s_and_saveexec_b32 s6, s5
	s_cbranch_execz .LBB911_184
.LBB911_211:
	v_sub_nc_u32_e32 v5, v24, v49
	s_delay_alu instid0(VALU_DEP_1)
	v_lshlrev_b32_e32 v5, 2, v5
	ds_store_b32 v5, v6
	s_or_b32 exec_lo, exec_lo, s6
	s_and_saveexec_b32 s5, s4
	s_cbranch_execnz .LBB911_185
.LBB911_212:
	s_or_b32 exec_lo, exec_lo, s5
	s_and_saveexec_b32 s4, s3
	s_cbranch_execz .LBB911_186
.LBB911_213:
	v_sub_nc_u32_e32 v3, v22, v49
	s_delay_alu instid0(VALU_DEP_1)
	v_lshlrev_b32_e32 v3, 2, v3
	ds_store_b32 v3, v4
	s_or_b32 exec_lo, exec_lo, s4
	s_and_saveexec_b32 s3, s1
	s_cbranch_execnz .LBB911_187
.LBB911_214:
	s_or_b32 exec_lo, exec_lo, s3
	s_and_saveexec_b32 s1, s0
	s_cbranch_execz .LBB911_216
.LBB911_215:
	v_sub_nc_u32_e32 v1, v20, v49
	s_delay_alu instid0(VALU_DEP_1)
	v_lshlrev_b32_e32 v1, 2, v1
	ds_store_b32 v1, v2
.LBB911_216:
	s_or_b32 exec_lo, exec_lo, s1
	s_delay_alu instid0(SALU_CYCLE_1)
	s_and_b32 s18, vcc_lo, exec_lo
                                        ; implicit-def: $vgpr13
                                        ; implicit-def: $vgpr11
                                        ; implicit-def: $vgpr9
                                        ; implicit-def: $vgpr7
                                        ; implicit-def: $vgpr5
                                        ; implicit-def: $vgpr3
                                        ; implicit-def: $vgpr1
	s_and_not1_saveexec_b32 s0, s15
	s_cbranch_execnz .LBB911_198
.LBB911_217:
	s_or_b32 exec_lo, exec_lo, s0
	s_delay_alu instid0(SALU_CYCLE_1)
	s_and_b32 exec_lo, exec_lo, s18
	s_cbranch_execz .LBB911_219
.LBB911_218:
	v_sub_nc_u32_e32 v1, v19, v49
	s_delay_alu instid0(VALU_DEP_1)
	v_lshlrev_b32_e32 v1, 2, v1
	ds_store_b32 v1, v81
.LBB911_219:
	s_or_b32 exec_lo, exec_lo, s16
	s_waitcnt vmcnt(0) lgkmcnt(0)
	s_barrier
	buffer_gl0_inv
.LBB911_220:
	s_cmpk_lg_i32 s26, 0xf00
	v_cndmask_b32_e64 v8, 0, 1, s27
	s_cselect_b32 s0, -1, 0
	v_mad_i32_i24 v5, v0, -15, s26
	s_and_b32 s0, s0, s17
	v_add_co_u32 v1, vcc_lo, v79, v15
	v_cndmask_b32_e64 v4, 0, 1, s0
	s_mul_hi_u32 s0, s26, 0x88888889
	s_and_b32 s1, s2, s27
	s_lshr_b32 s0, s0, 3
	v_add_co_ci_u32_e32 v2, vcc_lo, v80, v16, vcc_lo
	v_sub_nc_u32_e32 v3, v45, v8
	v_cndmask_b32_e64 v6, v96, 0, s1
	v_cmp_eq_u32_e32 vcc_lo, s0, v0
	v_cmp_ne_u32_e64 s0, 0, v5
	s_delay_alu instid0(VALU_DEP_4) | instskip(SKIP_2) | instid1(VALU_DEP_2)
	v_dual_mov_b32 v50, 0 :: v_dual_add_nc_u32 v3, v3, v4
	s_mov_b32 s16, -1
	s_and_b32 vcc_lo, vcc_lo, s17
	v_cndmask_b32_e64 v4, 1, v6, s0
	v_cmp_ne_u32_e64 s0, 1, v5
	s_waitcnt vmcnt(0)
	s_barrier
	buffer_gl0_inv
	v_cndmask_b32_e32 v13, v6, v4, vcc_lo
	v_cndmask_b32_e64 v7, 1, v95, s0
	v_cmp_ne_u32_e64 s0, 2, v5
	s_delay_alu instid0(VALU_DEP_3) | instskip(NEXT) | instid1(VALU_DEP_2)
	v_cmp_ne_u32_e64 s14, 0, v13
	v_cndmask_b32_e64 v9, 1, v94, s0
	v_cmp_ne_u32_e64 s0, 14, v5
	s_delay_alu instid0(VALU_DEP_2) | instskip(NEXT) | instid1(VALU_DEP_2)
	v_dual_cndmask_b32 v14, v95, v7 :: v_dual_cndmask_b32 v9, v94, v9
	v_cndmask_b32_e64 v10, 1, v88, s0
	v_cmp_ne_u32_e64 s0, 3, v5
	s_delay_alu instid0(VALU_DEP_3) | instskip(NEXT) | instid1(VALU_DEP_4)
	v_cmp_ne_u32_e64 s13, 0, v14
	v_cmp_ne_u32_e64 s12, 0, v9
	s_delay_alu instid0(VALU_DEP_4) | instskip(NEXT) | instid1(VALU_DEP_4)
	v_cndmask_b32_e32 v10, v88, v10, vcc_lo
	v_cndmask_b32_e64 v11, 1, v93, s0
	v_cmp_ne_u32_e64 s0, 4, v5
	s_delay_alu instid0(VALU_DEP_1) | instskip(SKIP_1) | instid1(VALU_DEP_2)
	v_cndmask_b32_e64 v12, 1, v92, s0
	v_cmp_ne_u32_e64 s0, 5, v5
	v_dual_cndmask_b32 v11, v93, v11 :: v_dual_cndmask_b32 v12, v92, v12
	s_delay_alu instid0(VALU_DEP_2) | instskip(SKIP_1) | instid1(VALU_DEP_3)
	v_cndmask_b32_e64 v4, 1, v91, s0
	v_cmp_ne_u32_e64 s0, 6, v5
	v_cmp_ne_u32_e64 s11, 0, v11
	s_delay_alu instid0(VALU_DEP_4) | instskip(NEXT) | instid1(VALU_DEP_4)
	v_cmp_ne_u32_e64 s10, 0, v12
	v_cndmask_b32_e32 v36, v91, v4, vcc_lo
	s_delay_alu instid0(VALU_DEP_4) | instskip(SKIP_1) | instid1(VALU_DEP_2)
	v_cndmask_b32_e64 v6, 1, v90, s0
	v_cmp_eq_u32_e64 s0, 0, v13
	v_cndmask_b32_e32 v38, v90, v6, vcc_lo
	s_delay_alu instid0(VALU_DEP_2) | instskip(SKIP_1) | instid1(VALU_DEP_3)
	v_cndmask_b32_e64 v7, 1, 2, s0
	v_cmp_eq_u32_e64 s0, 0, v14
	v_cmp_ne_u32_e64 s8, 0, v38
	s_delay_alu instid0(VALU_DEP_2) | instskip(SKIP_1) | instid1(VALU_DEP_2)
	v_cndmask_b32_e64 v15, 1, 2, s0
	v_cmp_ne_u32_e64 s0, 7, v5
	v_and_b32_e32 v7, v15, v7
	s_delay_alu instid0(VALU_DEP_2) | instskip(SKIP_1) | instid1(VALU_DEP_2)
	v_cndmask_b32_e64 v16, 1, v89, s0
	v_cmp_eq_u32_e64 s0, 0, v9
	v_cndmask_b32_e32 v16, v89, v16, vcc_lo
	s_delay_alu instid0(VALU_DEP_2) | instskip(SKIP_1) | instid1(VALU_DEP_3)
	v_cndmask_b32_e64 v15, 1, 2, s0
	v_cmp_ne_u32_e64 s0, 8, v5
	v_cmp_ne_u32_e64 s7, 0, v16
	s_delay_alu instid0(VALU_DEP_3) | instskip(NEXT) | instid1(VALU_DEP_3)
	v_and_b32_e32 v7, v7, v15
	v_cndmask_b32_e64 v33, 1, v87, s0
	v_cmp_ne_u32_e64 s0, 9, v5
	s_delay_alu instid0(VALU_DEP_2) | instskip(NEXT) | instid1(VALU_DEP_2)
	v_cndmask_b32_e32 v33, v87, v33, vcc_lo
	v_cndmask_b32_e64 v34, 1, v86, s0
	v_cmp_eq_u32_e64 s0, 0, v11
	s_delay_alu instid0(VALU_DEP_3) | instskip(NEXT) | instid1(VALU_DEP_3)
	v_cmp_ne_u32_e64 s6, 0, v33
	v_cndmask_b32_e32 v34, v86, v34, vcc_lo
	s_delay_alu instid0(VALU_DEP_3) | instskip(SKIP_1) | instid1(VALU_DEP_3)
	v_cndmask_b32_e64 v15, 1, 2, s0
	v_cmp_ne_u32_e64 s0, 10, v5
	v_cmp_ne_u32_e64 s5, 0, v34
	s_delay_alu instid0(VALU_DEP_3) | instskip(NEXT) | instid1(VALU_DEP_3)
	v_and_b32_e32 v4, v7, v15
	v_cndmask_b32_e64 v35, 1, v85, s0
	v_cmp_eq_u32_e64 s0, 0, v12
	s_delay_alu instid0(VALU_DEP_1) | instskip(SKIP_1) | instid1(VALU_DEP_2)
	v_cndmask_b32_e64 v7, 1, 2, s0
	v_cmp_ne_u32_e64 s0, 11, v5
	v_and_b32_e32 v4, v4, v7
	s_delay_alu instid0(VALU_DEP_2) | instskip(SKIP_1) | instid1(VALU_DEP_2)
	v_cndmask_b32_e64 v15, 1, v84, s0
	v_cmp_ne_u32_e64 s0, 13, v5
	v_cndmask_b32_e32 v15, v84, v15, vcc_lo
	s_delay_alu instid0(VALU_DEP_2) | instskip(NEXT) | instid1(VALU_DEP_2)
	v_cndmask_b32_e64 v37, 1, v82, s0
	v_cmp_ne_u32_e64 s3, 0, v15
	s_delay_alu instid0(VALU_DEP_2) | instskip(SKIP_2) | instid1(VALU_DEP_3)
	v_cndmask_b32_e32 v37, v82, v37, vcc_lo
	v_cmp_eq_u32_e64 s0, 0, v36
	v_cmp_ne_u32_e64 s9, 0, v36
	v_cmp_ne_u32_e64 s1, 0, v37
	s_delay_alu instid0(VALU_DEP_3) | instskip(SKIP_1) | instid1(VALU_DEP_1)
	v_cndmask_b32_e64 v7, 1, 2, s0
	v_cmp_ne_u32_e64 s0, 12, v5
	v_cndmask_b32_e64 v5, 1, v83, s0
	v_cmp_eq_u32_e64 s0, 0, v38
	s_delay_alu instid0(VALU_DEP_2) | instskip(NEXT) | instid1(VALU_DEP_2)
	v_dual_cndmask_b32 v39, v83, v5 :: v_dual_and_b32 v4, v4, v7
	v_cndmask_b32_e64 v6, 1, 2, s0
	v_cmp_eq_u32_e64 s0, 0, v16
	v_cndmask_b32_e32 v35, v85, v35, vcc_lo
	v_cmp_eq_u32_e32 vcc_lo, 0, v33
	v_cmp_ne_u32_e64 s2, 0, v39
	v_and_b32_e32 v40, v4, v6
	v_lshlrev_b64 v[4:5], 3, v[17:18]
	v_cndmask_b32_e64 v41, 1, 2, s0
	v_lshlrev_b64 v[6:7], 3, v[49:50]
	v_cmp_ne_u32_e64 s4, 0, v35
	v_cmp_ne_u32_e64 s0, 0, v10
	s_delay_alu instid0(VALU_DEP_4) | instskip(SKIP_4) | instid1(VALU_DEP_4)
	v_and_b32_e32 v40, v40, v41
	v_cndmask_b32_e64 v41, 1, 2, vcc_lo
	v_add_co_u32 v4, vcc_lo, s20, v4
	v_add_co_ci_u32_e32 v5, vcc_lo, s21, v5, vcc_lo
	v_cmp_eq_u32_e32 vcc_lo, 0, v34
	v_and_b32_e32 v40, v40, v41
	v_cndmask_b32_e64 v41, 1, 2, vcc_lo
	v_add_co_u32 v4, vcc_lo, v4, v6
	v_add_co_ci_u32_e32 v5, vcc_lo, v5, v7, vcc_lo
	v_lshlrev_b32_e32 v6, 3, v8
	v_cmp_eq_u32_e32 vcc_lo, 0, v35
	v_and_b32_e32 v7, v40, v41
	v_add_nc_u32_e32 v8, v49, v8
	v_cndmask_b32_e64 v40, 1, 2, vcc_lo
	v_add_co_u32 v6, vcc_lo, v6, v4
	v_add_co_ci_u32_e32 v41, vcc_lo, 0, v5, vcc_lo
	v_cmp_eq_u32_e32 vcc_lo, 0, v15
	s_delay_alu instid0(VALU_DEP_4) | instskip(SKIP_4) | instid1(VALU_DEP_4)
	v_and_b32_e32 v40, v7, v40
	v_cndmask_b32_e64 v42, 1, 2, vcc_lo
	v_add_co_u32 v6, vcc_lo, v6, -8
	v_add_co_ci_u32_e32 v7, vcc_lo, -1, v41, vcc_lo
	v_cmp_eq_u32_e32 vcc_lo, 0, v39
	v_and_b32_e32 v40, v40, v42
	v_cndmask_b32_e64 v41, 1, 2, vcc_lo
	v_cmp_eq_u32_e32 vcc_lo, 0, v37
	s_delay_alu instid0(VALU_DEP_2) | instskip(SKIP_2) | instid1(VALU_DEP_2)
	v_and_b32_e32 v9, v40, v41
	v_cndmask_b32_e64 v11, 1, 2, vcc_lo
	v_cmp_eq_u32_e32 vcc_lo, 0, v10
	v_and_b32_e32 v9, v9, v11
	v_cndmask_b32_e64 v11, 1, 2, vcc_lo
	v_cmp_gt_u32_e32 vcc_lo, 0x100, v3
	s_delay_alu instid0(VALU_DEP_2) | instskip(NEXT) | instid1(VALU_DEP_1)
	v_and_b32_e32 v9, v9, v11
	v_cmp_gt_i16_e64 s15, 2, v9
	s_cbranch_vccz .LBB911_237
; %bb.221:
	s_delay_alu instid0(VALU_DEP_1)
	s_and_saveexec_b32 s16, s15
	s_cbranch_execz .LBB911_276
; %bb.222:
	s_mov_b32 s18, 0
	s_mov_b32 s15, exec_lo
	v_cmpx_ne_u16_e32 1, v9
	s_xor_b32 s15, exec_lo, s15
	s_cbranch_execz .LBB911_254
; %bb.223:
	s_and_saveexec_b32 s18, s14
	s_cbranch_execz .LBB911_259
; %bb.224:
	v_sub_nc_u32_e32 v10, v98, v8
	v_mov_b32_e32 v11, 0
	s_delay_alu instid0(VALU_DEP_1) | instskip(NEXT) | instid1(VALU_DEP_1)
	v_lshlrev_b64 v[10:11], 3, v[10:11]
	v_add_co_u32 v10, vcc_lo, v6, v10
	s_delay_alu instid0(VALU_DEP_2)
	v_add_co_ci_u32_e32 v11, vcc_lo, v7, v11, vcc_lo
	global_store_b64 v[10:11], v[63:64], off
	s_or_b32 exec_lo, exec_lo, s18
	s_and_saveexec_b32 s18, s13
	s_cbranch_execnz .LBB911_260
.LBB911_225:
	s_or_b32 exec_lo, exec_lo, s18
	s_and_saveexec_b32 s18, s12
	s_cbranch_execz .LBB911_261
.LBB911_226:
	v_sub_nc_u32_e32 v10, v31, v8
	v_mov_b32_e32 v11, 0
	s_delay_alu instid0(VALU_DEP_1) | instskip(NEXT) | instid1(VALU_DEP_1)
	v_lshlrev_b64 v[10:11], 3, v[10:11]
	v_add_co_u32 v10, vcc_lo, v6, v10
	s_delay_alu instid0(VALU_DEP_2)
	v_add_co_ci_u32_e32 v11, vcc_lo, v7, v11, vcc_lo
	global_store_b64 v[10:11], v[65:66], off
	s_or_b32 exec_lo, exec_lo, s18
	s_and_saveexec_b32 s18, s11
	s_cbranch_execnz .LBB911_262
.LBB911_227:
	s_or_b32 exec_lo, exec_lo, s18
	s_and_saveexec_b32 s18, s10
	s_cbranch_execz .LBB911_263
.LBB911_228:
	v_sub_nc_u32_e32 v10, v29, v8
	v_mov_b32_e32 v11, 0
	s_delay_alu instid0(VALU_DEP_1) | instskip(NEXT) | instid1(VALU_DEP_1)
	v_lshlrev_b64 v[10:11], 3, v[10:11]
	v_add_co_u32 v10, vcc_lo, v6, v10
	s_delay_alu instid0(VALU_DEP_2)
	v_add_co_ci_u32_e32 v11, vcc_lo, v7, v11, vcc_lo
	global_store_b64 v[10:11], v[51:52], off
	s_or_b32 exec_lo, exec_lo, s18
	s_and_saveexec_b32 s18, s9
	s_cbranch_execnz .LBB911_264
.LBB911_229:
	s_or_b32 exec_lo, exec_lo, s18
	s_and_saveexec_b32 s18, s8
	s_cbranch_execz .LBB911_265
.LBB911_230:
	v_sub_nc_u32_e32 v10, v27, v8
	v_mov_b32_e32 v11, 0
	s_delay_alu instid0(VALU_DEP_1) | instskip(NEXT) | instid1(VALU_DEP_1)
	v_lshlrev_b64 v[10:11], 3, v[10:11]
	v_add_co_u32 v10, vcc_lo, v6, v10
	s_delay_alu instid0(VALU_DEP_2)
	v_add_co_ci_u32_e32 v11, vcc_lo, v7, v11, vcc_lo
	global_store_b64 v[10:11], v[61:62], off
	s_or_b32 exec_lo, exec_lo, s18
	s_and_saveexec_b32 s18, s7
	s_cbranch_execnz .LBB911_266
.LBB911_231:
	s_or_b32 exec_lo, exec_lo, s18
	s_and_saveexec_b32 s18, s6
	s_cbranch_execz .LBB911_267
.LBB911_232:
	v_sub_nc_u32_e32 v10, v25, v8
	v_mov_b32_e32 v11, 0
	s_delay_alu instid0(VALU_DEP_1) | instskip(NEXT) | instid1(VALU_DEP_1)
	v_lshlrev_b64 v[10:11], 3, v[10:11]
	v_add_co_u32 v10, vcc_lo, v6, v10
	s_delay_alu instid0(VALU_DEP_2)
	v_add_co_ci_u32_e32 v11, vcc_lo, v7, v11, vcc_lo
	global_store_b64 v[10:11], v[71:72], off
	s_or_b32 exec_lo, exec_lo, s18
	s_and_saveexec_b32 s18, s5
	s_cbranch_execnz .LBB911_268
.LBB911_233:
	s_or_b32 exec_lo, exec_lo, s18
	s_and_saveexec_b32 s18, s4
	s_cbranch_execz .LBB911_269
.LBB911_234:
	v_sub_nc_u32_e32 v10, v23, v8
	v_mov_b32_e32 v11, 0
	s_delay_alu instid0(VALU_DEP_1) | instskip(NEXT) | instid1(VALU_DEP_1)
	v_lshlrev_b64 v[10:11], 3, v[10:11]
	v_add_co_u32 v10, vcc_lo, v6, v10
	s_delay_alu instid0(VALU_DEP_2)
	v_add_co_ci_u32_e32 v11, vcc_lo, v7, v11, vcc_lo
	global_store_b64 v[10:11], v[57:58], off
	s_or_b32 exec_lo, exec_lo, s18
	s_and_saveexec_b32 s18, s3
	s_cbranch_execnz .LBB911_270
.LBB911_235:
	s_or_b32 exec_lo, exec_lo, s18
	s_and_saveexec_b32 s18, s2
	s_cbranch_execz .LBB911_271
.LBB911_236:
	v_sub_nc_u32_e32 v10, v21, v8
	v_mov_b32_e32 v11, 0
	s_delay_alu instid0(VALU_DEP_1) | instskip(NEXT) | instid1(VALU_DEP_1)
	v_lshlrev_b64 v[10:11], 3, v[10:11]
	v_add_co_u32 v10, vcc_lo, v6, v10
	s_delay_alu instid0(VALU_DEP_2)
	v_add_co_ci_u32_e32 v11, vcc_lo, v7, v11, vcc_lo
	global_store_b64 v[10:11], v[75:76], off
	s_or_b32 exec_lo, exec_lo, s18
	s_and_saveexec_b32 s18, s1
	s_cbranch_execnz .LBB911_272
	s_branch .LBB911_273
.LBB911_237:
	s_and_b32 vcc_lo, exec_lo, s16
	s_cbranch_vccz .LBB911_277
; %bb.238:
	s_mov_b32 s15, exec_lo
	v_cmpx_gt_i16_e32 2, v9
	s_cbranch_execz .LBB911_295
; %bb.239:
	s_mov_b32 s18, 0
	s_mov_b32 s16, exec_lo
	v_cmpx_ne_u16_e32 1, v9
	s_xor_b32 s16, exec_lo, s16
	s_cbranch_execz .LBB911_256
; %bb.240:
	s_and_saveexec_b32 s18, s14
	s_cbranch_execz .LBB911_278
; %bb.241:
	v_sub_nc_u32_e32 v9, v98, v8
	s_delay_alu instid0(VALU_DEP_1)
	v_lshlrev_b32_e32 v9, 3, v9
	ds_store_b64 v9, v[63:64]
	s_or_b32 exec_lo, exec_lo, s18
	s_and_saveexec_b32 s14, s13
	s_cbranch_execnz .LBB911_279
.LBB911_242:
	s_or_b32 exec_lo, exec_lo, s14
	s_and_saveexec_b32 s13, s12
	s_cbranch_execz .LBB911_280
.LBB911_243:
	v_sub_nc_u32_e32 v9, v31, v8
	s_delay_alu instid0(VALU_DEP_1)
	v_lshlrev_b32_e32 v9, 3, v9
	ds_store_b64 v9, v[65:66]
	s_or_b32 exec_lo, exec_lo, s13
	s_and_saveexec_b32 s12, s11
	s_cbranch_execnz .LBB911_281
.LBB911_244:
	s_or_b32 exec_lo, exec_lo, s12
	s_and_saveexec_b32 s11, s10
	s_cbranch_execz .LBB911_282
.LBB911_245:
	v_sub_nc_u32_e32 v9, v29, v8
	s_delay_alu instid0(VALU_DEP_1)
	v_lshlrev_b32_e32 v9, 3, v9
	ds_store_b64 v9, v[51:52]
	s_or_b32 exec_lo, exec_lo, s11
	s_and_saveexec_b32 s10, s9
	s_cbranch_execnz .LBB911_283
.LBB911_246:
	s_or_b32 exec_lo, exec_lo, s10
	s_and_saveexec_b32 s9, s8
	s_cbranch_execz .LBB911_284
.LBB911_247:
	v_sub_nc_u32_e32 v9, v27, v8
	s_delay_alu instid0(VALU_DEP_1)
	v_lshlrev_b32_e32 v9, 3, v9
	ds_store_b64 v9, v[61:62]
	s_or_b32 exec_lo, exec_lo, s9
	s_and_saveexec_b32 s8, s7
	s_cbranch_execnz .LBB911_285
.LBB911_248:
	s_or_b32 exec_lo, exec_lo, s8
	s_and_saveexec_b32 s7, s6
	s_cbranch_execz .LBB911_286
.LBB911_249:
	v_sub_nc_u32_e32 v9, v25, v8
	s_delay_alu instid0(VALU_DEP_1)
	v_lshlrev_b32_e32 v9, 3, v9
	ds_store_b64 v9, v[71:72]
	s_or_b32 exec_lo, exec_lo, s7
	s_and_saveexec_b32 s6, s5
	s_cbranch_execnz .LBB911_287
.LBB911_250:
	s_or_b32 exec_lo, exec_lo, s6
	s_and_saveexec_b32 s5, s4
	s_cbranch_execz .LBB911_288
.LBB911_251:
	v_sub_nc_u32_e32 v9, v23, v8
	s_delay_alu instid0(VALU_DEP_1)
	v_lshlrev_b32_e32 v9, 3, v9
	ds_store_b64 v9, v[57:58]
	s_or_b32 exec_lo, exec_lo, s5
	s_and_saveexec_b32 s4, s3
	s_cbranch_execnz .LBB911_289
.LBB911_252:
	s_or_b32 exec_lo, exec_lo, s4
	s_and_saveexec_b32 s3, s2
	s_cbranch_execz .LBB911_290
.LBB911_253:
	v_sub_nc_u32_e32 v9, v21, v8
	s_delay_alu instid0(VALU_DEP_1)
	v_lshlrev_b32_e32 v9, 3, v9
	ds_store_b64 v9, v[75:76]
	s_or_b32 exec_lo, exec_lo, s3
	s_and_saveexec_b32 s2, s1
	s_cbranch_execnz .LBB911_291
	s_branch .LBB911_292
.LBB911_254:
	s_and_not1_saveexec_b32 s15, s15
	s_cbranch_execz .LBB911_274
.LBB911_255:
	v_sub_nc_u32_e32 v10, v98, v8
	v_mov_b32_e32 v11, 0
	s_or_b32 s18, s18, exec_lo
	s_delay_alu instid0(VALU_DEP_1) | instskip(SKIP_1) | instid1(VALU_DEP_1)
	v_lshlrev_b64 v[12:13], 3, v[10:11]
	v_sub_nc_u32_e32 v10, v32, v8
	v_lshlrev_b64 v[14:15], 3, v[10:11]
	v_sub_nc_u32_e32 v10, v31, v8
	s_delay_alu instid0(VALU_DEP_4) | instskip(SKIP_1) | instid1(VALU_DEP_3)
	v_add_co_u32 v12, vcc_lo, v6, v12
	v_add_co_ci_u32_e32 v13, vcc_lo, v7, v13, vcc_lo
	v_lshlrev_b64 v[33:34], 3, v[10:11]
	v_sub_nc_u32_e32 v10, v30, v8
	v_add_co_u32 v14, vcc_lo, v6, v14
	v_add_co_ci_u32_e32 v15, vcc_lo, v7, v15, vcc_lo
	global_store_b64 v[12:13], v[63:64], off
	v_lshlrev_b64 v[12:13], 3, v[10:11]
	v_sub_nc_u32_e32 v10, v29, v8
	global_store_b64 v[14:15], v[59:60], off
	v_add_co_u32 v14, vcc_lo, v6, v33
	v_add_co_ci_u32_e32 v15, vcc_lo, v7, v34, vcc_lo
	v_lshlrev_b64 v[33:34], 3, v[10:11]
	v_sub_nc_u32_e32 v10, v28, v8
	v_add_co_u32 v12, vcc_lo, v6, v12
	v_add_co_ci_u32_e32 v13, vcc_lo, v7, v13, vcc_lo
	s_delay_alu instid0(VALU_DEP_3) | instskip(SKIP_3) | instid1(VALU_DEP_3)
	v_lshlrev_b64 v[35:36], 3, v[10:11]
	v_sub_nc_u32_e32 v10, v27, v8
	v_add_co_u32 v33, vcc_lo, v6, v33
	v_add_co_ci_u32_e32 v34, vcc_lo, v7, v34, vcc_lo
	v_lshlrev_b64 v[37:38], 3, v[10:11]
	v_sub_nc_u32_e32 v10, v26, v8
	v_add_co_u32 v35, vcc_lo, v6, v35
	v_add_co_ci_u32_e32 v36, vcc_lo, v7, v36, vcc_lo
	s_clause 0x3
	global_store_b64 v[14:15], v[65:66], off
	global_store_b64 v[12:13], v[69:70], off
	;; [unrolled: 1-line block ×4, first 2 shown]
	v_lshlrev_b64 v[12:13], 3, v[10:11]
	v_sub_nc_u32_e32 v10, v25, v8
	v_add_co_u32 v14, vcc_lo, v6, v37
	v_add_co_ci_u32_e32 v15, vcc_lo, v7, v38, vcc_lo
	s_delay_alu instid0(VALU_DEP_3) | instskip(SKIP_3) | instid1(VALU_DEP_3)
	v_lshlrev_b64 v[33:34], 3, v[10:11]
	v_sub_nc_u32_e32 v10, v24, v8
	v_add_co_u32 v12, vcc_lo, v6, v12
	v_add_co_ci_u32_e32 v13, vcc_lo, v7, v13, vcc_lo
	v_lshlrev_b64 v[35:36], 3, v[10:11]
	v_sub_nc_u32_e32 v10, v23, v8
	v_add_co_u32 v33, vcc_lo, v6, v33
	v_add_co_ci_u32_e32 v34, vcc_lo, v7, v34, vcc_lo
	s_delay_alu instid0(VALU_DEP_3)
	v_lshlrev_b64 v[37:38], 3, v[10:11]
	v_sub_nc_u32_e32 v10, v22, v8
	v_add_co_u32 v35, vcc_lo, v6, v35
	v_add_co_ci_u32_e32 v36, vcc_lo, v7, v36, vcc_lo
	s_clause 0x3
	global_store_b64 v[14:15], v[61:62], off
	global_store_b64 v[12:13], v[67:68], off
	;; [unrolled: 1-line block ×4, first 2 shown]
	v_lshlrev_b64 v[12:13], 3, v[10:11]
	v_sub_nc_u32_e32 v10, v21, v8
	v_add_co_u32 v14, vcc_lo, v6, v37
	v_add_co_ci_u32_e32 v15, vcc_lo, v7, v38, vcc_lo
	s_delay_alu instid0(VALU_DEP_3) | instskip(SKIP_3) | instid1(VALU_DEP_3)
	v_lshlrev_b64 v[33:34], 3, v[10:11]
	v_sub_nc_u32_e32 v10, v20, v8
	v_add_co_u32 v12, vcc_lo, v6, v12
	v_add_co_ci_u32_e32 v13, vcc_lo, v7, v13, vcc_lo
	v_lshlrev_b64 v[10:11], 3, v[10:11]
	v_add_co_u32 v33, vcc_lo, v6, v33
	v_add_co_ci_u32_e32 v34, vcc_lo, v7, v34, vcc_lo
	s_clause 0x2
	global_store_b64 v[14:15], v[57:58], off
	global_store_b64 v[12:13], v[73:74], off
	;; [unrolled: 1-line block ×3, first 2 shown]
	v_add_co_u32 v10, vcc_lo, v6, v10
	v_add_co_ci_u32_e32 v11, vcc_lo, v7, v11, vcc_lo
	global_store_b64 v[10:11], v[77:78], off
	s_or_b32 exec_lo, exec_lo, s15
	s_delay_alu instid0(SALU_CYCLE_1)
	s_and_b32 exec_lo, exec_lo, s18
	s_cbranch_execnz .LBB911_275
	s_branch .LBB911_276
.LBB911_256:
	s_and_not1_saveexec_b32 s0, s16
	s_cbranch_execz .LBB911_293
.LBB911_257:
	v_sub_nc_u32_e32 v9, v98, v8
	v_sub_nc_u32_e32 v10, v32, v8
	;; [unrolled: 1-line block ×5, first 2 shown]
	v_lshlrev_b32_e32 v9, 3, v9
	v_lshlrev_b32_e32 v10, 3, v10
	;; [unrolled: 1-line block ×4, first 2 shown]
	s_or_b32 s18, s18, exec_lo
	ds_store_b64 v9, v[63:64]
	ds_store_b64 v10, v[59:60]
	;; [unrolled: 1-line block ×3, first 2 shown]
	v_sub_nc_u32_e32 v9, v29, v8
	v_sub_nc_u32_e32 v10, v28, v8
	;; [unrolled: 1-line block ×3, first 2 shown]
	ds_store_b64 v12, v[69:70]
	v_sub_nc_u32_e32 v12, v26, v8
	v_lshlrev_b32_e32 v9, 3, v9
	v_lshlrev_b32_e32 v10, 3, v10
	v_lshlrev_b32_e32 v11, 3, v11
	s_delay_alu instid0(VALU_DEP_4)
	v_lshlrev_b32_e32 v12, 3, v12
	ds_store_b64 v9, v[51:52]
	v_lshlrev_b32_e32 v9, 3, v13
	ds_store_b64 v10, v[55:56]
	ds_store_b64 v11, v[61:62]
	;; [unrolled: 1-line block ×3, first 2 shown]
	v_sub_nc_u32_e32 v10, v24, v8
	v_sub_nc_u32_e32 v13, v20, v8
	;; [unrolled: 1-line block ×3, first 2 shown]
	ds_store_b64 v9, v[71:72]
	v_sub_nc_u32_e32 v9, v23, v8
	v_lshlrev_b32_e32 v10, 3, v10
	v_sub_nc_u32_e32 v12, v21, v8
	v_lshlrev_b32_e32 v11, 3, v11
	s_delay_alu instid0(VALU_DEP_4)
	v_lshlrev_b32_e32 v9, 3, v9
	ds_store_b64 v10, v[53:54]
	v_lshlrev_b32_e32 v10, 3, v13
	v_lshlrev_b32_e32 v12, 3, v12
	ds_store_b64 v9, v[57:58]
	ds_store_b64 v11, v[73:74]
	;; [unrolled: 1-line block ×4, first 2 shown]
	s_or_b32 exec_lo, exec_lo, s0
	s_delay_alu instid0(SALU_CYCLE_1)
	s_and_b32 exec_lo, exec_lo, s18
	s_cbranch_execnz .LBB911_294
	s_branch .LBB911_295
.LBB911_258:
	s_or_b32 exec_lo, exec_lo, s4
	v_mov_b32_e32 v96, s1
	s_and_saveexec_b32 s1, s29
	s_cbranch_execnz .LBB911_77
	s_branch .LBB911_78
.LBB911_259:
	s_or_b32 exec_lo, exec_lo, s18
	s_and_saveexec_b32 s18, s13
	s_cbranch_execz .LBB911_225
.LBB911_260:
	v_sub_nc_u32_e32 v10, v32, v8
	v_mov_b32_e32 v11, 0
	s_delay_alu instid0(VALU_DEP_1) | instskip(NEXT) | instid1(VALU_DEP_1)
	v_lshlrev_b64 v[10:11], 3, v[10:11]
	v_add_co_u32 v10, vcc_lo, v6, v10
	s_delay_alu instid0(VALU_DEP_2)
	v_add_co_ci_u32_e32 v11, vcc_lo, v7, v11, vcc_lo
	global_store_b64 v[10:11], v[59:60], off
	s_or_b32 exec_lo, exec_lo, s18
	s_and_saveexec_b32 s18, s12
	s_cbranch_execnz .LBB911_226
.LBB911_261:
	s_or_b32 exec_lo, exec_lo, s18
	s_and_saveexec_b32 s18, s11
	s_cbranch_execz .LBB911_227
.LBB911_262:
	v_sub_nc_u32_e32 v10, v30, v8
	v_mov_b32_e32 v11, 0
	s_delay_alu instid0(VALU_DEP_1) | instskip(NEXT) | instid1(VALU_DEP_1)
	v_lshlrev_b64 v[10:11], 3, v[10:11]
	v_add_co_u32 v10, vcc_lo, v6, v10
	s_delay_alu instid0(VALU_DEP_2)
	v_add_co_ci_u32_e32 v11, vcc_lo, v7, v11, vcc_lo
	global_store_b64 v[10:11], v[69:70], off
	s_or_b32 exec_lo, exec_lo, s18
	s_and_saveexec_b32 s18, s10
	s_cbranch_execnz .LBB911_228
.LBB911_263:
	s_or_b32 exec_lo, exec_lo, s18
	s_and_saveexec_b32 s18, s9
	s_cbranch_execz .LBB911_229
.LBB911_264:
	v_sub_nc_u32_e32 v10, v28, v8
	v_mov_b32_e32 v11, 0
	s_delay_alu instid0(VALU_DEP_1) | instskip(NEXT) | instid1(VALU_DEP_1)
	v_lshlrev_b64 v[10:11], 3, v[10:11]
	v_add_co_u32 v10, vcc_lo, v6, v10
	s_delay_alu instid0(VALU_DEP_2)
	v_add_co_ci_u32_e32 v11, vcc_lo, v7, v11, vcc_lo
	global_store_b64 v[10:11], v[55:56], off
	s_or_b32 exec_lo, exec_lo, s18
	s_and_saveexec_b32 s18, s8
	s_cbranch_execnz .LBB911_230
.LBB911_265:
	s_or_b32 exec_lo, exec_lo, s18
	s_and_saveexec_b32 s18, s7
	s_cbranch_execz .LBB911_231
.LBB911_266:
	v_sub_nc_u32_e32 v10, v26, v8
	v_mov_b32_e32 v11, 0
	s_delay_alu instid0(VALU_DEP_1) | instskip(NEXT) | instid1(VALU_DEP_1)
	v_lshlrev_b64 v[10:11], 3, v[10:11]
	v_add_co_u32 v10, vcc_lo, v6, v10
	s_delay_alu instid0(VALU_DEP_2)
	v_add_co_ci_u32_e32 v11, vcc_lo, v7, v11, vcc_lo
	global_store_b64 v[10:11], v[67:68], off
	s_or_b32 exec_lo, exec_lo, s18
	s_and_saveexec_b32 s18, s6
	s_cbranch_execnz .LBB911_232
.LBB911_267:
	s_or_b32 exec_lo, exec_lo, s18
	s_and_saveexec_b32 s18, s5
	s_cbranch_execz .LBB911_233
.LBB911_268:
	v_sub_nc_u32_e32 v10, v24, v8
	v_mov_b32_e32 v11, 0
	s_delay_alu instid0(VALU_DEP_1) | instskip(NEXT) | instid1(VALU_DEP_1)
	v_lshlrev_b64 v[10:11], 3, v[10:11]
	v_add_co_u32 v10, vcc_lo, v6, v10
	s_delay_alu instid0(VALU_DEP_2)
	v_add_co_ci_u32_e32 v11, vcc_lo, v7, v11, vcc_lo
	global_store_b64 v[10:11], v[53:54], off
	s_or_b32 exec_lo, exec_lo, s18
	s_and_saveexec_b32 s18, s4
	s_cbranch_execnz .LBB911_234
.LBB911_269:
	s_or_b32 exec_lo, exec_lo, s18
	s_and_saveexec_b32 s18, s3
	s_cbranch_execz .LBB911_235
.LBB911_270:
	v_sub_nc_u32_e32 v10, v22, v8
	v_mov_b32_e32 v11, 0
	s_delay_alu instid0(VALU_DEP_1) | instskip(NEXT) | instid1(VALU_DEP_1)
	v_lshlrev_b64 v[10:11], 3, v[10:11]
	v_add_co_u32 v10, vcc_lo, v6, v10
	s_delay_alu instid0(VALU_DEP_2)
	v_add_co_ci_u32_e32 v11, vcc_lo, v7, v11, vcc_lo
	global_store_b64 v[10:11], v[73:74], off
	s_or_b32 exec_lo, exec_lo, s18
	s_and_saveexec_b32 s18, s2
	s_cbranch_execnz .LBB911_236
.LBB911_271:
	s_or_b32 exec_lo, exec_lo, s18
	s_and_saveexec_b32 s18, s1
	s_cbranch_execz .LBB911_273
.LBB911_272:
	v_sub_nc_u32_e32 v10, v20, v8
	v_mov_b32_e32 v11, 0
	s_delay_alu instid0(VALU_DEP_1) | instskip(NEXT) | instid1(VALU_DEP_1)
	v_lshlrev_b64 v[10:11], 3, v[10:11]
	v_add_co_u32 v10, vcc_lo, v6, v10
	s_delay_alu instid0(VALU_DEP_2)
	v_add_co_ci_u32_e32 v11, vcc_lo, v7, v11, vcc_lo
	global_store_b64 v[10:11], v[77:78], off
.LBB911_273:
	s_or_b32 exec_lo, exec_lo, s18
	s_delay_alu instid0(SALU_CYCLE_1)
	s_and_b32 s18, s0, exec_lo
	s_and_not1_saveexec_b32 s15, s15
	s_cbranch_execnz .LBB911_255
.LBB911_274:
	s_or_b32 exec_lo, exec_lo, s15
	s_delay_alu instid0(SALU_CYCLE_1)
	s_and_b32 exec_lo, exec_lo, s18
	s_cbranch_execz .LBB911_276
.LBB911_275:
	v_sub_nc_u32_e32 v10, v19, v8
	v_mov_b32_e32 v11, 0
	s_delay_alu instid0(VALU_DEP_1) | instskip(NEXT) | instid1(VALU_DEP_1)
	v_lshlrev_b64 v[10:11], 3, v[10:11]
	v_add_co_u32 v10, vcc_lo, v6, v10
	s_delay_alu instid0(VALU_DEP_2)
	v_add_co_ci_u32_e32 v11, vcc_lo, v7, v11, vcc_lo
	global_store_b64 v[10:11], v[1:2], off
.LBB911_276:
	s_or_b32 exec_lo, exec_lo, s16
.LBB911_277:
	v_cmp_eq_u32_e32 vcc_lo, 0xff, v0
	s_and_b32 s0, vcc_lo, s17
	s_delay_alu instid0(SALU_CYCLE_1)
	s_and_saveexec_b32 s1, s0
	s_cbranch_execnz .LBB911_299
	s_branch .LBB911_301
.LBB911_278:
	s_or_b32 exec_lo, exec_lo, s18
	s_and_saveexec_b32 s14, s13
	s_cbranch_execz .LBB911_242
.LBB911_279:
	v_sub_nc_u32_e32 v9, v32, v8
	s_delay_alu instid0(VALU_DEP_1)
	v_lshlrev_b32_e32 v9, 3, v9
	ds_store_b64 v9, v[59:60]
	s_or_b32 exec_lo, exec_lo, s14
	s_and_saveexec_b32 s13, s12
	s_cbranch_execnz .LBB911_243
.LBB911_280:
	s_or_b32 exec_lo, exec_lo, s13
	s_and_saveexec_b32 s12, s11
	s_cbranch_execz .LBB911_244
.LBB911_281:
	v_sub_nc_u32_e32 v9, v30, v8
	s_delay_alu instid0(VALU_DEP_1)
	v_lshlrev_b32_e32 v9, 3, v9
	ds_store_b64 v9, v[69:70]
	s_or_b32 exec_lo, exec_lo, s12
	s_and_saveexec_b32 s11, s10
	s_cbranch_execnz .LBB911_245
.LBB911_282:
	s_or_b32 exec_lo, exec_lo, s11
	s_and_saveexec_b32 s10, s9
	s_cbranch_execz .LBB911_246
.LBB911_283:
	v_sub_nc_u32_e32 v9, v28, v8
	s_delay_alu instid0(VALU_DEP_1)
	v_lshlrev_b32_e32 v9, 3, v9
	ds_store_b64 v9, v[55:56]
	s_or_b32 exec_lo, exec_lo, s10
	s_and_saveexec_b32 s9, s8
	s_cbranch_execnz .LBB911_247
.LBB911_284:
	s_or_b32 exec_lo, exec_lo, s9
	s_and_saveexec_b32 s8, s7
	s_cbranch_execz .LBB911_248
.LBB911_285:
	v_sub_nc_u32_e32 v9, v26, v8
	s_delay_alu instid0(VALU_DEP_1)
	v_lshlrev_b32_e32 v9, 3, v9
	ds_store_b64 v9, v[67:68]
	s_or_b32 exec_lo, exec_lo, s8
	s_and_saveexec_b32 s7, s6
	s_cbranch_execnz .LBB911_249
.LBB911_286:
	s_or_b32 exec_lo, exec_lo, s7
	s_and_saveexec_b32 s6, s5
	s_cbranch_execz .LBB911_250
.LBB911_287:
	v_sub_nc_u32_e32 v9, v24, v8
	s_delay_alu instid0(VALU_DEP_1)
	v_lshlrev_b32_e32 v9, 3, v9
	ds_store_b64 v9, v[53:54]
	s_or_b32 exec_lo, exec_lo, s6
	s_and_saveexec_b32 s5, s4
	s_cbranch_execnz .LBB911_251
.LBB911_288:
	s_or_b32 exec_lo, exec_lo, s5
	s_and_saveexec_b32 s4, s3
	s_cbranch_execz .LBB911_252
.LBB911_289:
	v_sub_nc_u32_e32 v9, v22, v8
	s_delay_alu instid0(VALU_DEP_1)
	v_lshlrev_b32_e32 v9, 3, v9
	ds_store_b64 v9, v[73:74]
	s_or_b32 exec_lo, exec_lo, s4
	s_and_saveexec_b32 s3, s2
	s_cbranch_execnz .LBB911_253
.LBB911_290:
	s_or_b32 exec_lo, exec_lo, s3
	s_and_saveexec_b32 s2, s1
	s_cbranch_execz .LBB911_292
.LBB911_291:
	v_sub_nc_u32_e32 v9, v20, v8
	s_delay_alu instid0(VALU_DEP_1)
	v_lshlrev_b32_e32 v9, 3, v9
	ds_store_b64 v9, v[77:78]
.LBB911_292:
	s_or_b32 exec_lo, exec_lo, s2
	s_delay_alu instid0(SALU_CYCLE_1)
	s_and_b32 s18, s0, exec_lo
                                        ; implicit-def: $vgpr63_vgpr64
                                        ; implicit-def: $vgpr59_vgpr60
                                        ; implicit-def: $vgpr65_vgpr66
                                        ; implicit-def: $vgpr69_vgpr70
                                        ; implicit-def: $vgpr51_vgpr52
                                        ; implicit-def: $vgpr55_vgpr56
                                        ; implicit-def: $vgpr61_vgpr62
                                        ; implicit-def: $vgpr67_vgpr68
                                        ; implicit-def: $vgpr71_vgpr72
                                        ; implicit-def: $vgpr53_vgpr54
                                        ; implicit-def: $vgpr57_vgpr58
                                        ; implicit-def: $vgpr73_vgpr74
                                        ; implicit-def: $vgpr75_vgpr76
                                        ; implicit-def: $vgpr77_vgpr78
                                        ; implicit-def: $vgpr98
                                        ; implicit-def: $vgpr32
                                        ; implicit-def: $vgpr31
                                        ; implicit-def: $vgpr30
                                        ; implicit-def: $vgpr29
                                        ; implicit-def: $vgpr28
                                        ; implicit-def: $vgpr27
                                        ; implicit-def: $vgpr26
                                        ; implicit-def: $vgpr25
                                        ; implicit-def: $vgpr24
                                        ; implicit-def: $vgpr23
                                        ; implicit-def: $vgpr22
                                        ; implicit-def: $vgpr21
                                        ; implicit-def: $vgpr20
	s_and_not1_saveexec_b32 s0, s16
	s_cbranch_execnz .LBB911_257
.LBB911_293:
	s_or_b32 exec_lo, exec_lo, s0
	s_delay_alu instid0(SALU_CYCLE_1)
	s_and_b32 exec_lo, exec_lo, s18
	s_cbranch_execz .LBB911_295
.LBB911_294:
	v_sub_nc_u32_e32 v8, v19, v8
	s_delay_alu instid0(VALU_DEP_1)
	v_lshlrev_b32_e32 v8, 3, v8
	ds_store_b64 v8, v[1:2]
.LBB911_295:
	s_or_b32 exec_lo, exec_lo, s15
	s_delay_alu instid0(SALU_CYCLE_1)
	s_mov_b32 s1, exec_lo
	s_waitcnt lgkmcnt(0)
	s_waitcnt_vscnt null, 0x0
	s_barrier
	buffer_gl0_inv
	v_cmpx_lt_u32_e64 v0, v3
	s_cbranch_execz .LBB911_298
; %bb.296:
	v_dual_mov_b32 v1, v0 :: v_dual_lshlrev_b32 v8, 3, v0
	v_mov_b32_e32 v2, 0
	s_mov_b32 s2, 0
	.p2align	6
.LBB911_297:                            ; =>This Inner Loop Header: Depth=1
	ds_load_b64 v[9:10], v8
	v_lshlrev_b64 v[11:12], 3, v[1:2]
	v_add_nc_u32_e32 v1, 0x100, v1
	v_add_nc_u32_e32 v8, 0x800, v8
	s_delay_alu instid0(VALU_DEP_2) | instskip(NEXT) | instid1(VALU_DEP_4)
	v_cmp_ge_u32_e32 vcc_lo, v1, v3
	v_add_co_u32 v11, s0, v6, v11
	s_delay_alu instid0(VALU_DEP_1)
	v_add_co_ci_u32_e64 v12, s0, v7, v12, s0
	s_or_b32 s2, vcc_lo, s2
	s_waitcnt lgkmcnt(0)
	global_store_b64 v[11:12], v[9:10], off
	s_and_not1_b32 exec_lo, exec_lo, s2
	s_cbranch_execnz .LBB911_297
.LBB911_298:
	s_or_b32 exec_lo, exec_lo, s1
	v_cmp_eq_u32_e32 vcc_lo, 0xff, v0
	s_and_b32 s0, vcc_lo, s17
	s_delay_alu instid0(SALU_CYCLE_1)
	s_and_saveexec_b32 s1, s0
	s_cbranch_execz .LBB911_301
.LBB911_299:
	v_add_co_u32 v0, s0, v45, v49
	s_delay_alu instid0(VALU_DEP_1) | instskip(SKIP_1) | instid1(VALU_DEP_3)
	v_add_co_ci_u32_e64 v1, null, 0, 0, s0
	v_mov_b32_e32 v46, 0
	v_add_co_u32 v0, vcc_lo, v0, v17
	s_delay_alu instid0(VALU_DEP_3)
	v_add_co_ci_u32_e32 v1, vcc_lo, v1, v18, vcc_lo
	s_cmpk_lg_i32 s26, 0xf00
	global_store_b64 v46, v[0:1], s[22:23]
	s_cbranch_scc1 .LBB911_301
; %bb.300:
	v_lshlrev_b64 v[0:1], 3, v[45:46]
	s_delay_alu instid0(VALU_DEP_1) | instskip(NEXT) | instid1(VALU_DEP_2)
	v_add_co_u32 v0, vcc_lo, v4, v0
	v_add_co_ci_u32_e32 v1, vcc_lo, v5, v1, vcc_lo
	global_store_b64 v[0:1], v[47:48], off offset:-8
	s_nop 0
	s_sendmsg sendmsg(MSG_DEALLOC_VGPRS)
	s_endpgm
.LBB911_301:
	s_nop 0
	s_sendmsg sendmsg(MSG_DEALLOC_VGPRS)
	s_endpgm
	.section	.rodata,"a",@progbits
	.p2align	6, 0x0
	.amdhsa_kernel _ZN7rocprim17ROCPRIM_400000_NS6detail17trampoline_kernelINS0_14default_configENS1_29reduce_by_key_config_selectorIjyN6thrust23THRUST_200600_302600_NS4plusIyEEEEZZNS1_33reduce_by_key_impl_wrapped_configILNS1_25lookback_scan_determinismE0ES3_S9_NS6_6detail15normal_iteratorINS6_10device_ptrIjEEEENSD_INSE_IyEEEENS6_16discard_iteratorINS6_11use_defaultEEESI_PmS8_NS6_8equal_toIjEEEE10hipError_tPvRmT2_T3_mT4_T5_T6_T7_T8_P12ihipStream_tbENKUlT_T0_E_clISt17integral_constantIbLb0EES15_IbLb1EEEEDaS11_S12_EUlS11_E_NS1_11comp_targetILNS1_3genE9ELNS1_11target_archE1100ELNS1_3gpuE3ELNS1_3repE0EEENS1_30default_config_static_selectorELNS0_4arch9wavefront6targetE0EEEvT1_
		.amdhsa_group_segment_fixed_size 30720
		.amdhsa_private_segment_fixed_size 0
		.amdhsa_kernarg_size 144
		.amdhsa_user_sgpr_count 15
		.amdhsa_user_sgpr_dispatch_ptr 0
		.amdhsa_user_sgpr_queue_ptr 0
		.amdhsa_user_sgpr_kernarg_segment_ptr 1
		.amdhsa_user_sgpr_dispatch_id 0
		.amdhsa_user_sgpr_private_segment_size 0
		.amdhsa_wavefront_size32 1
		.amdhsa_uses_dynamic_stack 0
		.amdhsa_enable_private_segment 0
		.amdhsa_system_sgpr_workgroup_id_x 1
		.amdhsa_system_sgpr_workgroup_id_y 0
		.amdhsa_system_sgpr_workgroup_id_z 0
		.amdhsa_system_sgpr_workgroup_info 0
		.amdhsa_system_vgpr_workitem_id 0
		.amdhsa_next_free_vgpr 103
		.amdhsa_next_free_sgpr 52
		.amdhsa_reserve_vcc 1
		.amdhsa_float_round_mode_32 0
		.amdhsa_float_round_mode_16_64 0
		.amdhsa_float_denorm_mode_32 3
		.amdhsa_float_denorm_mode_16_64 3
		.amdhsa_dx10_clamp 1
		.amdhsa_ieee_mode 1
		.amdhsa_fp16_overflow 0
		.amdhsa_workgroup_processor_mode 1
		.amdhsa_memory_ordered 1
		.amdhsa_forward_progress 0
		.amdhsa_shared_vgpr_count 0
		.amdhsa_exception_fp_ieee_invalid_op 0
		.amdhsa_exception_fp_denorm_src 0
		.amdhsa_exception_fp_ieee_div_zero 0
		.amdhsa_exception_fp_ieee_overflow 0
		.amdhsa_exception_fp_ieee_underflow 0
		.amdhsa_exception_fp_ieee_inexact 0
		.amdhsa_exception_int_div_zero 0
	.end_amdhsa_kernel
	.section	.text._ZN7rocprim17ROCPRIM_400000_NS6detail17trampoline_kernelINS0_14default_configENS1_29reduce_by_key_config_selectorIjyN6thrust23THRUST_200600_302600_NS4plusIyEEEEZZNS1_33reduce_by_key_impl_wrapped_configILNS1_25lookback_scan_determinismE0ES3_S9_NS6_6detail15normal_iteratorINS6_10device_ptrIjEEEENSD_INSE_IyEEEENS6_16discard_iteratorINS6_11use_defaultEEESI_PmS8_NS6_8equal_toIjEEEE10hipError_tPvRmT2_T3_mT4_T5_T6_T7_T8_P12ihipStream_tbENKUlT_T0_E_clISt17integral_constantIbLb0EES15_IbLb1EEEEDaS11_S12_EUlS11_E_NS1_11comp_targetILNS1_3genE9ELNS1_11target_archE1100ELNS1_3gpuE3ELNS1_3repE0EEENS1_30default_config_static_selectorELNS0_4arch9wavefront6targetE0EEEvT1_,"axG",@progbits,_ZN7rocprim17ROCPRIM_400000_NS6detail17trampoline_kernelINS0_14default_configENS1_29reduce_by_key_config_selectorIjyN6thrust23THRUST_200600_302600_NS4plusIyEEEEZZNS1_33reduce_by_key_impl_wrapped_configILNS1_25lookback_scan_determinismE0ES3_S9_NS6_6detail15normal_iteratorINS6_10device_ptrIjEEEENSD_INSE_IyEEEENS6_16discard_iteratorINS6_11use_defaultEEESI_PmS8_NS6_8equal_toIjEEEE10hipError_tPvRmT2_T3_mT4_T5_T6_T7_T8_P12ihipStream_tbENKUlT_T0_E_clISt17integral_constantIbLb0EES15_IbLb1EEEEDaS11_S12_EUlS11_E_NS1_11comp_targetILNS1_3genE9ELNS1_11target_archE1100ELNS1_3gpuE3ELNS1_3repE0EEENS1_30default_config_static_selectorELNS0_4arch9wavefront6targetE0EEEvT1_,comdat
.Lfunc_end911:
	.size	_ZN7rocprim17ROCPRIM_400000_NS6detail17trampoline_kernelINS0_14default_configENS1_29reduce_by_key_config_selectorIjyN6thrust23THRUST_200600_302600_NS4plusIyEEEEZZNS1_33reduce_by_key_impl_wrapped_configILNS1_25lookback_scan_determinismE0ES3_S9_NS6_6detail15normal_iteratorINS6_10device_ptrIjEEEENSD_INSE_IyEEEENS6_16discard_iteratorINS6_11use_defaultEEESI_PmS8_NS6_8equal_toIjEEEE10hipError_tPvRmT2_T3_mT4_T5_T6_T7_T8_P12ihipStream_tbENKUlT_T0_E_clISt17integral_constantIbLb0EES15_IbLb1EEEEDaS11_S12_EUlS11_E_NS1_11comp_targetILNS1_3genE9ELNS1_11target_archE1100ELNS1_3gpuE3ELNS1_3repE0EEENS1_30default_config_static_selectorELNS0_4arch9wavefront6targetE0EEEvT1_, .Lfunc_end911-_ZN7rocprim17ROCPRIM_400000_NS6detail17trampoline_kernelINS0_14default_configENS1_29reduce_by_key_config_selectorIjyN6thrust23THRUST_200600_302600_NS4plusIyEEEEZZNS1_33reduce_by_key_impl_wrapped_configILNS1_25lookback_scan_determinismE0ES3_S9_NS6_6detail15normal_iteratorINS6_10device_ptrIjEEEENSD_INSE_IyEEEENS6_16discard_iteratorINS6_11use_defaultEEESI_PmS8_NS6_8equal_toIjEEEE10hipError_tPvRmT2_T3_mT4_T5_T6_T7_T8_P12ihipStream_tbENKUlT_T0_E_clISt17integral_constantIbLb0EES15_IbLb1EEEEDaS11_S12_EUlS11_E_NS1_11comp_targetILNS1_3genE9ELNS1_11target_archE1100ELNS1_3gpuE3ELNS1_3repE0EEENS1_30default_config_static_selectorELNS0_4arch9wavefront6targetE0EEEvT1_
                                        ; -- End function
	.section	.AMDGPU.csdata,"",@progbits
; Kernel info:
; codeLenInByte = 17576
; NumSgprs: 54
; NumVgprs: 103
; ScratchSize: 0
; MemoryBound: 0
; FloatMode: 240
; IeeeMode: 1
; LDSByteSize: 30720 bytes/workgroup (compile time only)
; SGPRBlocks: 6
; VGPRBlocks: 12
; NumSGPRsForWavesPerEU: 54
; NumVGPRsForWavesPerEU: 103
; Occupancy: 8
; WaveLimiterHint : 1
; COMPUTE_PGM_RSRC2:SCRATCH_EN: 0
; COMPUTE_PGM_RSRC2:USER_SGPR: 15
; COMPUTE_PGM_RSRC2:TRAP_HANDLER: 0
; COMPUTE_PGM_RSRC2:TGID_X_EN: 1
; COMPUTE_PGM_RSRC2:TGID_Y_EN: 0
; COMPUTE_PGM_RSRC2:TGID_Z_EN: 0
; COMPUTE_PGM_RSRC2:TIDIG_COMP_CNT: 0
	.section	.text._ZN7rocprim17ROCPRIM_400000_NS6detail17trampoline_kernelINS0_14default_configENS1_29reduce_by_key_config_selectorIjyN6thrust23THRUST_200600_302600_NS4plusIyEEEEZZNS1_33reduce_by_key_impl_wrapped_configILNS1_25lookback_scan_determinismE0ES3_S9_NS6_6detail15normal_iteratorINS6_10device_ptrIjEEEENSD_INSE_IyEEEENS6_16discard_iteratorINS6_11use_defaultEEESI_PmS8_NS6_8equal_toIjEEEE10hipError_tPvRmT2_T3_mT4_T5_T6_T7_T8_P12ihipStream_tbENKUlT_T0_E_clISt17integral_constantIbLb0EES15_IbLb1EEEEDaS11_S12_EUlS11_E_NS1_11comp_targetILNS1_3genE8ELNS1_11target_archE1030ELNS1_3gpuE2ELNS1_3repE0EEENS1_30default_config_static_selectorELNS0_4arch9wavefront6targetE0EEEvT1_,"axG",@progbits,_ZN7rocprim17ROCPRIM_400000_NS6detail17trampoline_kernelINS0_14default_configENS1_29reduce_by_key_config_selectorIjyN6thrust23THRUST_200600_302600_NS4plusIyEEEEZZNS1_33reduce_by_key_impl_wrapped_configILNS1_25lookback_scan_determinismE0ES3_S9_NS6_6detail15normal_iteratorINS6_10device_ptrIjEEEENSD_INSE_IyEEEENS6_16discard_iteratorINS6_11use_defaultEEESI_PmS8_NS6_8equal_toIjEEEE10hipError_tPvRmT2_T3_mT4_T5_T6_T7_T8_P12ihipStream_tbENKUlT_T0_E_clISt17integral_constantIbLb0EES15_IbLb1EEEEDaS11_S12_EUlS11_E_NS1_11comp_targetILNS1_3genE8ELNS1_11target_archE1030ELNS1_3gpuE2ELNS1_3repE0EEENS1_30default_config_static_selectorELNS0_4arch9wavefront6targetE0EEEvT1_,comdat
	.protected	_ZN7rocprim17ROCPRIM_400000_NS6detail17trampoline_kernelINS0_14default_configENS1_29reduce_by_key_config_selectorIjyN6thrust23THRUST_200600_302600_NS4plusIyEEEEZZNS1_33reduce_by_key_impl_wrapped_configILNS1_25lookback_scan_determinismE0ES3_S9_NS6_6detail15normal_iteratorINS6_10device_ptrIjEEEENSD_INSE_IyEEEENS6_16discard_iteratorINS6_11use_defaultEEESI_PmS8_NS6_8equal_toIjEEEE10hipError_tPvRmT2_T3_mT4_T5_T6_T7_T8_P12ihipStream_tbENKUlT_T0_E_clISt17integral_constantIbLb0EES15_IbLb1EEEEDaS11_S12_EUlS11_E_NS1_11comp_targetILNS1_3genE8ELNS1_11target_archE1030ELNS1_3gpuE2ELNS1_3repE0EEENS1_30default_config_static_selectorELNS0_4arch9wavefront6targetE0EEEvT1_ ; -- Begin function _ZN7rocprim17ROCPRIM_400000_NS6detail17trampoline_kernelINS0_14default_configENS1_29reduce_by_key_config_selectorIjyN6thrust23THRUST_200600_302600_NS4plusIyEEEEZZNS1_33reduce_by_key_impl_wrapped_configILNS1_25lookback_scan_determinismE0ES3_S9_NS6_6detail15normal_iteratorINS6_10device_ptrIjEEEENSD_INSE_IyEEEENS6_16discard_iteratorINS6_11use_defaultEEESI_PmS8_NS6_8equal_toIjEEEE10hipError_tPvRmT2_T3_mT4_T5_T6_T7_T8_P12ihipStream_tbENKUlT_T0_E_clISt17integral_constantIbLb0EES15_IbLb1EEEEDaS11_S12_EUlS11_E_NS1_11comp_targetILNS1_3genE8ELNS1_11target_archE1030ELNS1_3gpuE2ELNS1_3repE0EEENS1_30default_config_static_selectorELNS0_4arch9wavefront6targetE0EEEvT1_
	.globl	_ZN7rocprim17ROCPRIM_400000_NS6detail17trampoline_kernelINS0_14default_configENS1_29reduce_by_key_config_selectorIjyN6thrust23THRUST_200600_302600_NS4plusIyEEEEZZNS1_33reduce_by_key_impl_wrapped_configILNS1_25lookback_scan_determinismE0ES3_S9_NS6_6detail15normal_iteratorINS6_10device_ptrIjEEEENSD_INSE_IyEEEENS6_16discard_iteratorINS6_11use_defaultEEESI_PmS8_NS6_8equal_toIjEEEE10hipError_tPvRmT2_T3_mT4_T5_T6_T7_T8_P12ihipStream_tbENKUlT_T0_E_clISt17integral_constantIbLb0EES15_IbLb1EEEEDaS11_S12_EUlS11_E_NS1_11comp_targetILNS1_3genE8ELNS1_11target_archE1030ELNS1_3gpuE2ELNS1_3repE0EEENS1_30default_config_static_selectorELNS0_4arch9wavefront6targetE0EEEvT1_
	.p2align	8
	.type	_ZN7rocprim17ROCPRIM_400000_NS6detail17trampoline_kernelINS0_14default_configENS1_29reduce_by_key_config_selectorIjyN6thrust23THRUST_200600_302600_NS4plusIyEEEEZZNS1_33reduce_by_key_impl_wrapped_configILNS1_25lookback_scan_determinismE0ES3_S9_NS6_6detail15normal_iteratorINS6_10device_ptrIjEEEENSD_INSE_IyEEEENS6_16discard_iteratorINS6_11use_defaultEEESI_PmS8_NS6_8equal_toIjEEEE10hipError_tPvRmT2_T3_mT4_T5_T6_T7_T8_P12ihipStream_tbENKUlT_T0_E_clISt17integral_constantIbLb0EES15_IbLb1EEEEDaS11_S12_EUlS11_E_NS1_11comp_targetILNS1_3genE8ELNS1_11target_archE1030ELNS1_3gpuE2ELNS1_3repE0EEENS1_30default_config_static_selectorELNS0_4arch9wavefront6targetE0EEEvT1_,@function
_ZN7rocprim17ROCPRIM_400000_NS6detail17trampoline_kernelINS0_14default_configENS1_29reduce_by_key_config_selectorIjyN6thrust23THRUST_200600_302600_NS4plusIyEEEEZZNS1_33reduce_by_key_impl_wrapped_configILNS1_25lookback_scan_determinismE0ES3_S9_NS6_6detail15normal_iteratorINS6_10device_ptrIjEEEENSD_INSE_IyEEEENS6_16discard_iteratorINS6_11use_defaultEEESI_PmS8_NS6_8equal_toIjEEEE10hipError_tPvRmT2_T3_mT4_T5_T6_T7_T8_P12ihipStream_tbENKUlT_T0_E_clISt17integral_constantIbLb0EES15_IbLb1EEEEDaS11_S12_EUlS11_E_NS1_11comp_targetILNS1_3genE8ELNS1_11target_archE1030ELNS1_3gpuE2ELNS1_3repE0EEENS1_30default_config_static_selectorELNS0_4arch9wavefront6targetE0EEEvT1_: ; @_ZN7rocprim17ROCPRIM_400000_NS6detail17trampoline_kernelINS0_14default_configENS1_29reduce_by_key_config_selectorIjyN6thrust23THRUST_200600_302600_NS4plusIyEEEEZZNS1_33reduce_by_key_impl_wrapped_configILNS1_25lookback_scan_determinismE0ES3_S9_NS6_6detail15normal_iteratorINS6_10device_ptrIjEEEENSD_INSE_IyEEEENS6_16discard_iteratorINS6_11use_defaultEEESI_PmS8_NS6_8equal_toIjEEEE10hipError_tPvRmT2_T3_mT4_T5_T6_T7_T8_P12ihipStream_tbENKUlT_T0_E_clISt17integral_constantIbLb0EES15_IbLb1EEEEDaS11_S12_EUlS11_E_NS1_11comp_targetILNS1_3genE8ELNS1_11target_archE1030ELNS1_3gpuE2ELNS1_3repE0EEENS1_30default_config_static_selectorELNS0_4arch9wavefront6targetE0EEEvT1_
; %bb.0:
	.section	.rodata,"a",@progbits
	.p2align	6, 0x0
	.amdhsa_kernel _ZN7rocprim17ROCPRIM_400000_NS6detail17trampoline_kernelINS0_14default_configENS1_29reduce_by_key_config_selectorIjyN6thrust23THRUST_200600_302600_NS4plusIyEEEEZZNS1_33reduce_by_key_impl_wrapped_configILNS1_25lookback_scan_determinismE0ES3_S9_NS6_6detail15normal_iteratorINS6_10device_ptrIjEEEENSD_INSE_IyEEEENS6_16discard_iteratorINS6_11use_defaultEEESI_PmS8_NS6_8equal_toIjEEEE10hipError_tPvRmT2_T3_mT4_T5_T6_T7_T8_P12ihipStream_tbENKUlT_T0_E_clISt17integral_constantIbLb0EES15_IbLb1EEEEDaS11_S12_EUlS11_E_NS1_11comp_targetILNS1_3genE8ELNS1_11target_archE1030ELNS1_3gpuE2ELNS1_3repE0EEENS1_30default_config_static_selectorELNS0_4arch9wavefront6targetE0EEEvT1_
		.amdhsa_group_segment_fixed_size 0
		.amdhsa_private_segment_fixed_size 0
		.amdhsa_kernarg_size 144
		.amdhsa_user_sgpr_count 15
		.amdhsa_user_sgpr_dispatch_ptr 0
		.amdhsa_user_sgpr_queue_ptr 0
		.amdhsa_user_sgpr_kernarg_segment_ptr 1
		.amdhsa_user_sgpr_dispatch_id 0
		.amdhsa_user_sgpr_private_segment_size 0
		.amdhsa_wavefront_size32 1
		.amdhsa_uses_dynamic_stack 0
		.amdhsa_enable_private_segment 0
		.amdhsa_system_sgpr_workgroup_id_x 1
		.amdhsa_system_sgpr_workgroup_id_y 0
		.amdhsa_system_sgpr_workgroup_id_z 0
		.amdhsa_system_sgpr_workgroup_info 0
		.amdhsa_system_vgpr_workitem_id 0
		.amdhsa_next_free_vgpr 1
		.amdhsa_next_free_sgpr 1
		.amdhsa_reserve_vcc 0
		.amdhsa_float_round_mode_32 0
		.amdhsa_float_round_mode_16_64 0
		.amdhsa_float_denorm_mode_32 3
		.amdhsa_float_denorm_mode_16_64 3
		.amdhsa_dx10_clamp 1
		.amdhsa_ieee_mode 1
		.amdhsa_fp16_overflow 0
		.amdhsa_workgroup_processor_mode 1
		.amdhsa_memory_ordered 1
		.amdhsa_forward_progress 0
		.amdhsa_shared_vgpr_count 0
		.amdhsa_exception_fp_ieee_invalid_op 0
		.amdhsa_exception_fp_denorm_src 0
		.amdhsa_exception_fp_ieee_div_zero 0
		.amdhsa_exception_fp_ieee_overflow 0
		.amdhsa_exception_fp_ieee_underflow 0
		.amdhsa_exception_fp_ieee_inexact 0
		.amdhsa_exception_int_div_zero 0
	.end_amdhsa_kernel
	.section	.text._ZN7rocprim17ROCPRIM_400000_NS6detail17trampoline_kernelINS0_14default_configENS1_29reduce_by_key_config_selectorIjyN6thrust23THRUST_200600_302600_NS4plusIyEEEEZZNS1_33reduce_by_key_impl_wrapped_configILNS1_25lookback_scan_determinismE0ES3_S9_NS6_6detail15normal_iteratorINS6_10device_ptrIjEEEENSD_INSE_IyEEEENS6_16discard_iteratorINS6_11use_defaultEEESI_PmS8_NS6_8equal_toIjEEEE10hipError_tPvRmT2_T3_mT4_T5_T6_T7_T8_P12ihipStream_tbENKUlT_T0_E_clISt17integral_constantIbLb0EES15_IbLb1EEEEDaS11_S12_EUlS11_E_NS1_11comp_targetILNS1_3genE8ELNS1_11target_archE1030ELNS1_3gpuE2ELNS1_3repE0EEENS1_30default_config_static_selectorELNS0_4arch9wavefront6targetE0EEEvT1_,"axG",@progbits,_ZN7rocprim17ROCPRIM_400000_NS6detail17trampoline_kernelINS0_14default_configENS1_29reduce_by_key_config_selectorIjyN6thrust23THRUST_200600_302600_NS4plusIyEEEEZZNS1_33reduce_by_key_impl_wrapped_configILNS1_25lookback_scan_determinismE0ES3_S9_NS6_6detail15normal_iteratorINS6_10device_ptrIjEEEENSD_INSE_IyEEEENS6_16discard_iteratorINS6_11use_defaultEEESI_PmS8_NS6_8equal_toIjEEEE10hipError_tPvRmT2_T3_mT4_T5_T6_T7_T8_P12ihipStream_tbENKUlT_T0_E_clISt17integral_constantIbLb0EES15_IbLb1EEEEDaS11_S12_EUlS11_E_NS1_11comp_targetILNS1_3genE8ELNS1_11target_archE1030ELNS1_3gpuE2ELNS1_3repE0EEENS1_30default_config_static_selectorELNS0_4arch9wavefront6targetE0EEEvT1_,comdat
.Lfunc_end912:
	.size	_ZN7rocprim17ROCPRIM_400000_NS6detail17trampoline_kernelINS0_14default_configENS1_29reduce_by_key_config_selectorIjyN6thrust23THRUST_200600_302600_NS4plusIyEEEEZZNS1_33reduce_by_key_impl_wrapped_configILNS1_25lookback_scan_determinismE0ES3_S9_NS6_6detail15normal_iteratorINS6_10device_ptrIjEEEENSD_INSE_IyEEEENS6_16discard_iteratorINS6_11use_defaultEEESI_PmS8_NS6_8equal_toIjEEEE10hipError_tPvRmT2_T3_mT4_T5_T6_T7_T8_P12ihipStream_tbENKUlT_T0_E_clISt17integral_constantIbLb0EES15_IbLb1EEEEDaS11_S12_EUlS11_E_NS1_11comp_targetILNS1_3genE8ELNS1_11target_archE1030ELNS1_3gpuE2ELNS1_3repE0EEENS1_30default_config_static_selectorELNS0_4arch9wavefront6targetE0EEEvT1_, .Lfunc_end912-_ZN7rocprim17ROCPRIM_400000_NS6detail17trampoline_kernelINS0_14default_configENS1_29reduce_by_key_config_selectorIjyN6thrust23THRUST_200600_302600_NS4plusIyEEEEZZNS1_33reduce_by_key_impl_wrapped_configILNS1_25lookback_scan_determinismE0ES3_S9_NS6_6detail15normal_iteratorINS6_10device_ptrIjEEEENSD_INSE_IyEEEENS6_16discard_iteratorINS6_11use_defaultEEESI_PmS8_NS6_8equal_toIjEEEE10hipError_tPvRmT2_T3_mT4_T5_T6_T7_T8_P12ihipStream_tbENKUlT_T0_E_clISt17integral_constantIbLb0EES15_IbLb1EEEEDaS11_S12_EUlS11_E_NS1_11comp_targetILNS1_3genE8ELNS1_11target_archE1030ELNS1_3gpuE2ELNS1_3repE0EEENS1_30default_config_static_selectorELNS0_4arch9wavefront6targetE0EEEvT1_
                                        ; -- End function
	.section	.AMDGPU.csdata,"",@progbits
; Kernel info:
; codeLenInByte = 0
; NumSgprs: 0
; NumVgprs: 0
; ScratchSize: 0
; MemoryBound: 0
; FloatMode: 240
; IeeeMode: 1
; LDSByteSize: 0 bytes/workgroup (compile time only)
; SGPRBlocks: 0
; VGPRBlocks: 0
; NumSGPRsForWavesPerEU: 1
; NumVGPRsForWavesPerEU: 1
; Occupancy: 16
; WaveLimiterHint : 0
; COMPUTE_PGM_RSRC2:SCRATCH_EN: 0
; COMPUTE_PGM_RSRC2:USER_SGPR: 15
; COMPUTE_PGM_RSRC2:TRAP_HANDLER: 0
; COMPUTE_PGM_RSRC2:TGID_X_EN: 1
; COMPUTE_PGM_RSRC2:TGID_Y_EN: 0
; COMPUTE_PGM_RSRC2:TGID_Z_EN: 0
; COMPUTE_PGM_RSRC2:TIDIG_COMP_CNT: 0
	.section	.text._ZN7rocprim17ROCPRIM_400000_NS6detail17trampoline_kernelINS0_14default_configENS1_29reduce_by_key_config_selectorIjjN6thrust23THRUST_200600_302600_NS4plusIjEEEEZZNS1_33reduce_by_key_impl_wrapped_configILNS1_25lookback_scan_determinismE0ES3_S9_NS6_6detail15normal_iteratorINS6_10device_ptrIjEEEESG_NS6_16discard_iteratorINS6_11use_defaultEEESG_PmS8_NS6_8equal_toIjEEEE10hipError_tPvRmT2_T3_mT4_T5_T6_T7_T8_P12ihipStream_tbENKUlT_T0_E_clISt17integral_constantIbLb0EES14_EEDaSZ_S10_EUlSZ_E_NS1_11comp_targetILNS1_3genE0ELNS1_11target_archE4294967295ELNS1_3gpuE0ELNS1_3repE0EEENS1_30default_config_static_selectorELNS0_4arch9wavefront6targetE0EEEvT1_,"axG",@progbits,_ZN7rocprim17ROCPRIM_400000_NS6detail17trampoline_kernelINS0_14default_configENS1_29reduce_by_key_config_selectorIjjN6thrust23THRUST_200600_302600_NS4plusIjEEEEZZNS1_33reduce_by_key_impl_wrapped_configILNS1_25lookback_scan_determinismE0ES3_S9_NS6_6detail15normal_iteratorINS6_10device_ptrIjEEEESG_NS6_16discard_iteratorINS6_11use_defaultEEESG_PmS8_NS6_8equal_toIjEEEE10hipError_tPvRmT2_T3_mT4_T5_T6_T7_T8_P12ihipStream_tbENKUlT_T0_E_clISt17integral_constantIbLb0EES14_EEDaSZ_S10_EUlSZ_E_NS1_11comp_targetILNS1_3genE0ELNS1_11target_archE4294967295ELNS1_3gpuE0ELNS1_3repE0EEENS1_30default_config_static_selectorELNS0_4arch9wavefront6targetE0EEEvT1_,comdat
	.protected	_ZN7rocprim17ROCPRIM_400000_NS6detail17trampoline_kernelINS0_14default_configENS1_29reduce_by_key_config_selectorIjjN6thrust23THRUST_200600_302600_NS4plusIjEEEEZZNS1_33reduce_by_key_impl_wrapped_configILNS1_25lookback_scan_determinismE0ES3_S9_NS6_6detail15normal_iteratorINS6_10device_ptrIjEEEESG_NS6_16discard_iteratorINS6_11use_defaultEEESG_PmS8_NS6_8equal_toIjEEEE10hipError_tPvRmT2_T3_mT4_T5_T6_T7_T8_P12ihipStream_tbENKUlT_T0_E_clISt17integral_constantIbLb0EES14_EEDaSZ_S10_EUlSZ_E_NS1_11comp_targetILNS1_3genE0ELNS1_11target_archE4294967295ELNS1_3gpuE0ELNS1_3repE0EEENS1_30default_config_static_selectorELNS0_4arch9wavefront6targetE0EEEvT1_ ; -- Begin function _ZN7rocprim17ROCPRIM_400000_NS6detail17trampoline_kernelINS0_14default_configENS1_29reduce_by_key_config_selectorIjjN6thrust23THRUST_200600_302600_NS4plusIjEEEEZZNS1_33reduce_by_key_impl_wrapped_configILNS1_25lookback_scan_determinismE0ES3_S9_NS6_6detail15normal_iteratorINS6_10device_ptrIjEEEESG_NS6_16discard_iteratorINS6_11use_defaultEEESG_PmS8_NS6_8equal_toIjEEEE10hipError_tPvRmT2_T3_mT4_T5_T6_T7_T8_P12ihipStream_tbENKUlT_T0_E_clISt17integral_constantIbLb0EES14_EEDaSZ_S10_EUlSZ_E_NS1_11comp_targetILNS1_3genE0ELNS1_11target_archE4294967295ELNS1_3gpuE0ELNS1_3repE0EEENS1_30default_config_static_selectorELNS0_4arch9wavefront6targetE0EEEvT1_
	.globl	_ZN7rocprim17ROCPRIM_400000_NS6detail17trampoline_kernelINS0_14default_configENS1_29reduce_by_key_config_selectorIjjN6thrust23THRUST_200600_302600_NS4plusIjEEEEZZNS1_33reduce_by_key_impl_wrapped_configILNS1_25lookback_scan_determinismE0ES3_S9_NS6_6detail15normal_iteratorINS6_10device_ptrIjEEEESG_NS6_16discard_iteratorINS6_11use_defaultEEESG_PmS8_NS6_8equal_toIjEEEE10hipError_tPvRmT2_T3_mT4_T5_T6_T7_T8_P12ihipStream_tbENKUlT_T0_E_clISt17integral_constantIbLb0EES14_EEDaSZ_S10_EUlSZ_E_NS1_11comp_targetILNS1_3genE0ELNS1_11target_archE4294967295ELNS1_3gpuE0ELNS1_3repE0EEENS1_30default_config_static_selectorELNS0_4arch9wavefront6targetE0EEEvT1_
	.p2align	8
	.type	_ZN7rocprim17ROCPRIM_400000_NS6detail17trampoline_kernelINS0_14default_configENS1_29reduce_by_key_config_selectorIjjN6thrust23THRUST_200600_302600_NS4plusIjEEEEZZNS1_33reduce_by_key_impl_wrapped_configILNS1_25lookback_scan_determinismE0ES3_S9_NS6_6detail15normal_iteratorINS6_10device_ptrIjEEEESG_NS6_16discard_iteratorINS6_11use_defaultEEESG_PmS8_NS6_8equal_toIjEEEE10hipError_tPvRmT2_T3_mT4_T5_T6_T7_T8_P12ihipStream_tbENKUlT_T0_E_clISt17integral_constantIbLb0EES14_EEDaSZ_S10_EUlSZ_E_NS1_11comp_targetILNS1_3genE0ELNS1_11target_archE4294967295ELNS1_3gpuE0ELNS1_3repE0EEENS1_30default_config_static_selectorELNS0_4arch9wavefront6targetE0EEEvT1_,@function
_ZN7rocprim17ROCPRIM_400000_NS6detail17trampoline_kernelINS0_14default_configENS1_29reduce_by_key_config_selectorIjjN6thrust23THRUST_200600_302600_NS4plusIjEEEEZZNS1_33reduce_by_key_impl_wrapped_configILNS1_25lookback_scan_determinismE0ES3_S9_NS6_6detail15normal_iteratorINS6_10device_ptrIjEEEESG_NS6_16discard_iteratorINS6_11use_defaultEEESG_PmS8_NS6_8equal_toIjEEEE10hipError_tPvRmT2_T3_mT4_T5_T6_T7_T8_P12ihipStream_tbENKUlT_T0_E_clISt17integral_constantIbLb0EES14_EEDaSZ_S10_EUlSZ_E_NS1_11comp_targetILNS1_3genE0ELNS1_11target_archE4294967295ELNS1_3gpuE0ELNS1_3repE0EEENS1_30default_config_static_selectorELNS0_4arch9wavefront6targetE0EEEvT1_: ; @_ZN7rocprim17ROCPRIM_400000_NS6detail17trampoline_kernelINS0_14default_configENS1_29reduce_by_key_config_selectorIjjN6thrust23THRUST_200600_302600_NS4plusIjEEEEZZNS1_33reduce_by_key_impl_wrapped_configILNS1_25lookback_scan_determinismE0ES3_S9_NS6_6detail15normal_iteratorINS6_10device_ptrIjEEEESG_NS6_16discard_iteratorINS6_11use_defaultEEESG_PmS8_NS6_8equal_toIjEEEE10hipError_tPvRmT2_T3_mT4_T5_T6_T7_T8_P12ihipStream_tbENKUlT_T0_E_clISt17integral_constantIbLb0EES14_EEDaSZ_S10_EUlSZ_E_NS1_11comp_targetILNS1_3genE0ELNS1_11target_archE4294967295ELNS1_3gpuE0ELNS1_3repE0EEENS1_30default_config_static_selectorELNS0_4arch9wavefront6targetE0EEEvT1_
; %bb.0:
	.section	.rodata,"a",@progbits
	.p2align	6, 0x0
	.amdhsa_kernel _ZN7rocprim17ROCPRIM_400000_NS6detail17trampoline_kernelINS0_14default_configENS1_29reduce_by_key_config_selectorIjjN6thrust23THRUST_200600_302600_NS4plusIjEEEEZZNS1_33reduce_by_key_impl_wrapped_configILNS1_25lookback_scan_determinismE0ES3_S9_NS6_6detail15normal_iteratorINS6_10device_ptrIjEEEESG_NS6_16discard_iteratorINS6_11use_defaultEEESG_PmS8_NS6_8equal_toIjEEEE10hipError_tPvRmT2_T3_mT4_T5_T6_T7_T8_P12ihipStream_tbENKUlT_T0_E_clISt17integral_constantIbLb0EES14_EEDaSZ_S10_EUlSZ_E_NS1_11comp_targetILNS1_3genE0ELNS1_11target_archE4294967295ELNS1_3gpuE0ELNS1_3repE0EEENS1_30default_config_static_selectorELNS0_4arch9wavefront6targetE0EEEvT1_
		.amdhsa_group_segment_fixed_size 0
		.amdhsa_private_segment_fixed_size 0
		.amdhsa_kernarg_size 128
		.amdhsa_user_sgpr_count 15
		.amdhsa_user_sgpr_dispatch_ptr 0
		.amdhsa_user_sgpr_queue_ptr 0
		.amdhsa_user_sgpr_kernarg_segment_ptr 1
		.amdhsa_user_sgpr_dispatch_id 0
		.amdhsa_user_sgpr_private_segment_size 0
		.amdhsa_wavefront_size32 1
		.amdhsa_uses_dynamic_stack 0
		.amdhsa_enable_private_segment 0
		.amdhsa_system_sgpr_workgroup_id_x 1
		.amdhsa_system_sgpr_workgroup_id_y 0
		.amdhsa_system_sgpr_workgroup_id_z 0
		.amdhsa_system_sgpr_workgroup_info 0
		.amdhsa_system_vgpr_workitem_id 0
		.amdhsa_next_free_vgpr 1
		.amdhsa_next_free_sgpr 1
		.amdhsa_reserve_vcc 0
		.amdhsa_float_round_mode_32 0
		.amdhsa_float_round_mode_16_64 0
		.amdhsa_float_denorm_mode_32 3
		.amdhsa_float_denorm_mode_16_64 3
		.amdhsa_dx10_clamp 1
		.amdhsa_ieee_mode 1
		.amdhsa_fp16_overflow 0
		.amdhsa_workgroup_processor_mode 1
		.amdhsa_memory_ordered 1
		.amdhsa_forward_progress 0
		.amdhsa_shared_vgpr_count 0
		.amdhsa_exception_fp_ieee_invalid_op 0
		.amdhsa_exception_fp_denorm_src 0
		.amdhsa_exception_fp_ieee_div_zero 0
		.amdhsa_exception_fp_ieee_overflow 0
		.amdhsa_exception_fp_ieee_underflow 0
		.amdhsa_exception_fp_ieee_inexact 0
		.amdhsa_exception_int_div_zero 0
	.end_amdhsa_kernel
	.section	.text._ZN7rocprim17ROCPRIM_400000_NS6detail17trampoline_kernelINS0_14default_configENS1_29reduce_by_key_config_selectorIjjN6thrust23THRUST_200600_302600_NS4plusIjEEEEZZNS1_33reduce_by_key_impl_wrapped_configILNS1_25lookback_scan_determinismE0ES3_S9_NS6_6detail15normal_iteratorINS6_10device_ptrIjEEEESG_NS6_16discard_iteratorINS6_11use_defaultEEESG_PmS8_NS6_8equal_toIjEEEE10hipError_tPvRmT2_T3_mT4_T5_T6_T7_T8_P12ihipStream_tbENKUlT_T0_E_clISt17integral_constantIbLb0EES14_EEDaSZ_S10_EUlSZ_E_NS1_11comp_targetILNS1_3genE0ELNS1_11target_archE4294967295ELNS1_3gpuE0ELNS1_3repE0EEENS1_30default_config_static_selectorELNS0_4arch9wavefront6targetE0EEEvT1_,"axG",@progbits,_ZN7rocprim17ROCPRIM_400000_NS6detail17trampoline_kernelINS0_14default_configENS1_29reduce_by_key_config_selectorIjjN6thrust23THRUST_200600_302600_NS4plusIjEEEEZZNS1_33reduce_by_key_impl_wrapped_configILNS1_25lookback_scan_determinismE0ES3_S9_NS6_6detail15normal_iteratorINS6_10device_ptrIjEEEESG_NS6_16discard_iteratorINS6_11use_defaultEEESG_PmS8_NS6_8equal_toIjEEEE10hipError_tPvRmT2_T3_mT4_T5_T6_T7_T8_P12ihipStream_tbENKUlT_T0_E_clISt17integral_constantIbLb0EES14_EEDaSZ_S10_EUlSZ_E_NS1_11comp_targetILNS1_3genE0ELNS1_11target_archE4294967295ELNS1_3gpuE0ELNS1_3repE0EEENS1_30default_config_static_selectorELNS0_4arch9wavefront6targetE0EEEvT1_,comdat
.Lfunc_end913:
	.size	_ZN7rocprim17ROCPRIM_400000_NS6detail17trampoline_kernelINS0_14default_configENS1_29reduce_by_key_config_selectorIjjN6thrust23THRUST_200600_302600_NS4plusIjEEEEZZNS1_33reduce_by_key_impl_wrapped_configILNS1_25lookback_scan_determinismE0ES3_S9_NS6_6detail15normal_iteratorINS6_10device_ptrIjEEEESG_NS6_16discard_iteratorINS6_11use_defaultEEESG_PmS8_NS6_8equal_toIjEEEE10hipError_tPvRmT2_T3_mT4_T5_T6_T7_T8_P12ihipStream_tbENKUlT_T0_E_clISt17integral_constantIbLb0EES14_EEDaSZ_S10_EUlSZ_E_NS1_11comp_targetILNS1_3genE0ELNS1_11target_archE4294967295ELNS1_3gpuE0ELNS1_3repE0EEENS1_30default_config_static_selectorELNS0_4arch9wavefront6targetE0EEEvT1_, .Lfunc_end913-_ZN7rocprim17ROCPRIM_400000_NS6detail17trampoline_kernelINS0_14default_configENS1_29reduce_by_key_config_selectorIjjN6thrust23THRUST_200600_302600_NS4plusIjEEEEZZNS1_33reduce_by_key_impl_wrapped_configILNS1_25lookback_scan_determinismE0ES3_S9_NS6_6detail15normal_iteratorINS6_10device_ptrIjEEEESG_NS6_16discard_iteratorINS6_11use_defaultEEESG_PmS8_NS6_8equal_toIjEEEE10hipError_tPvRmT2_T3_mT4_T5_T6_T7_T8_P12ihipStream_tbENKUlT_T0_E_clISt17integral_constantIbLb0EES14_EEDaSZ_S10_EUlSZ_E_NS1_11comp_targetILNS1_3genE0ELNS1_11target_archE4294967295ELNS1_3gpuE0ELNS1_3repE0EEENS1_30default_config_static_selectorELNS0_4arch9wavefront6targetE0EEEvT1_
                                        ; -- End function
	.section	.AMDGPU.csdata,"",@progbits
; Kernel info:
; codeLenInByte = 0
; NumSgprs: 0
; NumVgprs: 0
; ScratchSize: 0
; MemoryBound: 0
; FloatMode: 240
; IeeeMode: 1
; LDSByteSize: 0 bytes/workgroup (compile time only)
; SGPRBlocks: 0
; VGPRBlocks: 0
; NumSGPRsForWavesPerEU: 1
; NumVGPRsForWavesPerEU: 1
; Occupancy: 16
; WaveLimiterHint : 0
; COMPUTE_PGM_RSRC2:SCRATCH_EN: 0
; COMPUTE_PGM_RSRC2:USER_SGPR: 15
; COMPUTE_PGM_RSRC2:TRAP_HANDLER: 0
; COMPUTE_PGM_RSRC2:TGID_X_EN: 1
; COMPUTE_PGM_RSRC2:TGID_Y_EN: 0
; COMPUTE_PGM_RSRC2:TGID_Z_EN: 0
; COMPUTE_PGM_RSRC2:TIDIG_COMP_CNT: 0
	.section	.text._ZN7rocprim17ROCPRIM_400000_NS6detail17trampoline_kernelINS0_14default_configENS1_29reduce_by_key_config_selectorIjjN6thrust23THRUST_200600_302600_NS4plusIjEEEEZZNS1_33reduce_by_key_impl_wrapped_configILNS1_25lookback_scan_determinismE0ES3_S9_NS6_6detail15normal_iteratorINS6_10device_ptrIjEEEESG_NS6_16discard_iteratorINS6_11use_defaultEEESG_PmS8_NS6_8equal_toIjEEEE10hipError_tPvRmT2_T3_mT4_T5_T6_T7_T8_P12ihipStream_tbENKUlT_T0_E_clISt17integral_constantIbLb0EES14_EEDaSZ_S10_EUlSZ_E_NS1_11comp_targetILNS1_3genE5ELNS1_11target_archE942ELNS1_3gpuE9ELNS1_3repE0EEENS1_30default_config_static_selectorELNS0_4arch9wavefront6targetE0EEEvT1_,"axG",@progbits,_ZN7rocprim17ROCPRIM_400000_NS6detail17trampoline_kernelINS0_14default_configENS1_29reduce_by_key_config_selectorIjjN6thrust23THRUST_200600_302600_NS4plusIjEEEEZZNS1_33reduce_by_key_impl_wrapped_configILNS1_25lookback_scan_determinismE0ES3_S9_NS6_6detail15normal_iteratorINS6_10device_ptrIjEEEESG_NS6_16discard_iteratorINS6_11use_defaultEEESG_PmS8_NS6_8equal_toIjEEEE10hipError_tPvRmT2_T3_mT4_T5_T6_T7_T8_P12ihipStream_tbENKUlT_T0_E_clISt17integral_constantIbLb0EES14_EEDaSZ_S10_EUlSZ_E_NS1_11comp_targetILNS1_3genE5ELNS1_11target_archE942ELNS1_3gpuE9ELNS1_3repE0EEENS1_30default_config_static_selectorELNS0_4arch9wavefront6targetE0EEEvT1_,comdat
	.protected	_ZN7rocprim17ROCPRIM_400000_NS6detail17trampoline_kernelINS0_14default_configENS1_29reduce_by_key_config_selectorIjjN6thrust23THRUST_200600_302600_NS4plusIjEEEEZZNS1_33reduce_by_key_impl_wrapped_configILNS1_25lookback_scan_determinismE0ES3_S9_NS6_6detail15normal_iteratorINS6_10device_ptrIjEEEESG_NS6_16discard_iteratorINS6_11use_defaultEEESG_PmS8_NS6_8equal_toIjEEEE10hipError_tPvRmT2_T3_mT4_T5_T6_T7_T8_P12ihipStream_tbENKUlT_T0_E_clISt17integral_constantIbLb0EES14_EEDaSZ_S10_EUlSZ_E_NS1_11comp_targetILNS1_3genE5ELNS1_11target_archE942ELNS1_3gpuE9ELNS1_3repE0EEENS1_30default_config_static_selectorELNS0_4arch9wavefront6targetE0EEEvT1_ ; -- Begin function _ZN7rocprim17ROCPRIM_400000_NS6detail17trampoline_kernelINS0_14default_configENS1_29reduce_by_key_config_selectorIjjN6thrust23THRUST_200600_302600_NS4plusIjEEEEZZNS1_33reduce_by_key_impl_wrapped_configILNS1_25lookback_scan_determinismE0ES3_S9_NS6_6detail15normal_iteratorINS6_10device_ptrIjEEEESG_NS6_16discard_iteratorINS6_11use_defaultEEESG_PmS8_NS6_8equal_toIjEEEE10hipError_tPvRmT2_T3_mT4_T5_T6_T7_T8_P12ihipStream_tbENKUlT_T0_E_clISt17integral_constantIbLb0EES14_EEDaSZ_S10_EUlSZ_E_NS1_11comp_targetILNS1_3genE5ELNS1_11target_archE942ELNS1_3gpuE9ELNS1_3repE0EEENS1_30default_config_static_selectorELNS0_4arch9wavefront6targetE0EEEvT1_
	.globl	_ZN7rocprim17ROCPRIM_400000_NS6detail17trampoline_kernelINS0_14default_configENS1_29reduce_by_key_config_selectorIjjN6thrust23THRUST_200600_302600_NS4plusIjEEEEZZNS1_33reduce_by_key_impl_wrapped_configILNS1_25lookback_scan_determinismE0ES3_S9_NS6_6detail15normal_iteratorINS6_10device_ptrIjEEEESG_NS6_16discard_iteratorINS6_11use_defaultEEESG_PmS8_NS6_8equal_toIjEEEE10hipError_tPvRmT2_T3_mT4_T5_T6_T7_T8_P12ihipStream_tbENKUlT_T0_E_clISt17integral_constantIbLb0EES14_EEDaSZ_S10_EUlSZ_E_NS1_11comp_targetILNS1_3genE5ELNS1_11target_archE942ELNS1_3gpuE9ELNS1_3repE0EEENS1_30default_config_static_selectorELNS0_4arch9wavefront6targetE0EEEvT1_
	.p2align	8
	.type	_ZN7rocprim17ROCPRIM_400000_NS6detail17trampoline_kernelINS0_14default_configENS1_29reduce_by_key_config_selectorIjjN6thrust23THRUST_200600_302600_NS4plusIjEEEEZZNS1_33reduce_by_key_impl_wrapped_configILNS1_25lookback_scan_determinismE0ES3_S9_NS6_6detail15normal_iteratorINS6_10device_ptrIjEEEESG_NS6_16discard_iteratorINS6_11use_defaultEEESG_PmS8_NS6_8equal_toIjEEEE10hipError_tPvRmT2_T3_mT4_T5_T6_T7_T8_P12ihipStream_tbENKUlT_T0_E_clISt17integral_constantIbLb0EES14_EEDaSZ_S10_EUlSZ_E_NS1_11comp_targetILNS1_3genE5ELNS1_11target_archE942ELNS1_3gpuE9ELNS1_3repE0EEENS1_30default_config_static_selectorELNS0_4arch9wavefront6targetE0EEEvT1_,@function
_ZN7rocprim17ROCPRIM_400000_NS6detail17trampoline_kernelINS0_14default_configENS1_29reduce_by_key_config_selectorIjjN6thrust23THRUST_200600_302600_NS4plusIjEEEEZZNS1_33reduce_by_key_impl_wrapped_configILNS1_25lookback_scan_determinismE0ES3_S9_NS6_6detail15normal_iteratorINS6_10device_ptrIjEEEESG_NS6_16discard_iteratorINS6_11use_defaultEEESG_PmS8_NS6_8equal_toIjEEEE10hipError_tPvRmT2_T3_mT4_T5_T6_T7_T8_P12ihipStream_tbENKUlT_T0_E_clISt17integral_constantIbLb0EES14_EEDaSZ_S10_EUlSZ_E_NS1_11comp_targetILNS1_3genE5ELNS1_11target_archE942ELNS1_3gpuE9ELNS1_3repE0EEENS1_30default_config_static_selectorELNS0_4arch9wavefront6targetE0EEEvT1_: ; @_ZN7rocprim17ROCPRIM_400000_NS6detail17trampoline_kernelINS0_14default_configENS1_29reduce_by_key_config_selectorIjjN6thrust23THRUST_200600_302600_NS4plusIjEEEEZZNS1_33reduce_by_key_impl_wrapped_configILNS1_25lookback_scan_determinismE0ES3_S9_NS6_6detail15normal_iteratorINS6_10device_ptrIjEEEESG_NS6_16discard_iteratorINS6_11use_defaultEEESG_PmS8_NS6_8equal_toIjEEEE10hipError_tPvRmT2_T3_mT4_T5_T6_T7_T8_P12ihipStream_tbENKUlT_T0_E_clISt17integral_constantIbLb0EES14_EEDaSZ_S10_EUlSZ_E_NS1_11comp_targetILNS1_3genE5ELNS1_11target_archE942ELNS1_3gpuE9ELNS1_3repE0EEENS1_30default_config_static_selectorELNS0_4arch9wavefront6targetE0EEEvT1_
; %bb.0:
	.section	.rodata,"a",@progbits
	.p2align	6, 0x0
	.amdhsa_kernel _ZN7rocprim17ROCPRIM_400000_NS6detail17trampoline_kernelINS0_14default_configENS1_29reduce_by_key_config_selectorIjjN6thrust23THRUST_200600_302600_NS4plusIjEEEEZZNS1_33reduce_by_key_impl_wrapped_configILNS1_25lookback_scan_determinismE0ES3_S9_NS6_6detail15normal_iteratorINS6_10device_ptrIjEEEESG_NS6_16discard_iteratorINS6_11use_defaultEEESG_PmS8_NS6_8equal_toIjEEEE10hipError_tPvRmT2_T3_mT4_T5_T6_T7_T8_P12ihipStream_tbENKUlT_T0_E_clISt17integral_constantIbLb0EES14_EEDaSZ_S10_EUlSZ_E_NS1_11comp_targetILNS1_3genE5ELNS1_11target_archE942ELNS1_3gpuE9ELNS1_3repE0EEENS1_30default_config_static_selectorELNS0_4arch9wavefront6targetE0EEEvT1_
		.amdhsa_group_segment_fixed_size 0
		.amdhsa_private_segment_fixed_size 0
		.amdhsa_kernarg_size 128
		.amdhsa_user_sgpr_count 15
		.amdhsa_user_sgpr_dispatch_ptr 0
		.amdhsa_user_sgpr_queue_ptr 0
		.amdhsa_user_sgpr_kernarg_segment_ptr 1
		.amdhsa_user_sgpr_dispatch_id 0
		.amdhsa_user_sgpr_private_segment_size 0
		.amdhsa_wavefront_size32 1
		.amdhsa_uses_dynamic_stack 0
		.amdhsa_enable_private_segment 0
		.amdhsa_system_sgpr_workgroup_id_x 1
		.amdhsa_system_sgpr_workgroup_id_y 0
		.amdhsa_system_sgpr_workgroup_id_z 0
		.amdhsa_system_sgpr_workgroup_info 0
		.amdhsa_system_vgpr_workitem_id 0
		.amdhsa_next_free_vgpr 1
		.amdhsa_next_free_sgpr 1
		.amdhsa_reserve_vcc 0
		.amdhsa_float_round_mode_32 0
		.amdhsa_float_round_mode_16_64 0
		.amdhsa_float_denorm_mode_32 3
		.amdhsa_float_denorm_mode_16_64 3
		.amdhsa_dx10_clamp 1
		.amdhsa_ieee_mode 1
		.amdhsa_fp16_overflow 0
		.amdhsa_workgroup_processor_mode 1
		.amdhsa_memory_ordered 1
		.amdhsa_forward_progress 0
		.amdhsa_shared_vgpr_count 0
		.amdhsa_exception_fp_ieee_invalid_op 0
		.amdhsa_exception_fp_denorm_src 0
		.amdhsa_exception_fp_ieee_div_zero 0
		.amdhsa_exception_fp_ieee_overflow 0
		.amdhsa_exception_fp_ieee_underflow 0
		.amdhsa_exception_fp_ieee_inexact 0
		.amdhsa_exception_int_div_zero 0
	.end_amdhsa_kernel
	.section	.text._ZN7rocprim17ROCPRIM_400000_NS6detail17trampoline_kernelINS0_14default_configENS1_29reduce_by_key_config_selectorIjjN6thrust23THRUST_200600_302600_NS4plusIjEEEEZZNS1_33reduce_by_key_impl_wrapped_configILNS1_25lookback_scan_determinismE0ES3_S9_NS6_6detail15normal_iteratorINS6_10device_ptrIjEEEESG_NS6_16discard_iteratorINS6_11use_defaultEEESG_PmS8_NS6_8equal_toIjEEEE10hipError_tPvRmT2_T3_mT4_T5_T6_T7_T8_P12ihipStream_tbENKUlT_T0_E_clISt17integral_constantIbLb0EES14_EEDaSZ_S10_EUlSZ_E_NS1_11comp_targetILNS1_3genE5ELNS1_11target_archE942ELNS1_3gpuE9ELNS1_3repE0EEENS1_30default_config_static_selectorELNS0_4arch9wavefront6targetE0EEEvT1_,"axG",@progbits,_ZN7rocprim17ROCPRIM_400000_NS6detail17trampoline_kernelINS0_14default_configENS1_29reduce_by_key_config_selectorIjjN6thrust23THRUST_200600_302600_NS4plusIjEEEEZZNS1_33reduce_by_key_impl_wrapped_configILNS1_25lookback_scan_determinismE0ES3_S9_NS6_6detail15normal_iteratorINS6_10device_ptrIjEEEESG_NS6_16discard_iteratorINS6_11use_defaultEEESG_PmS8_NS6_8equal_toIjEEEE10hipError_tPvRmT2_T3_mT4_T5_T6_T7_T8_P12ihipStream_tbENKUlT_T0_E_clISt17integral_constantIbLb0EES14_EEDaSZ_S10_EUlSZ_E_NS1_11comp_targetILNS1_3genE5ELNS1_11target_archE942ELNS1_3gpuE9ELNS1_3repE0EEENS1_30default_config_static_selectorELNS0_4arch9wavefront6targetE0EEEvT1_,comdat
.Lfunc_end914:
	.size	_ZN7rocprim17ROCPRIM_400000_NS6detail17trampoline_kernelINS0_14default_configENS1_29reduce_by_key_config_selectorIjjN6thrust23THRUST_200600_302600_NS4plusIjEEEEZZNS1_33reduce_by_key_impl_wrapped_configILNS1_25lookback_scan_determinismE0ES3_S9_NS6_6detail15normal_iteratorINS6_10device_ptrIjEEEESG_NS6_16discard_iteratorINS6_11use_defaultEEESG_PmS8_NS6_8equal_toIjEEEE10hipError_tPvRmT2_T3_mT4_T5_T6_T7_T8_P12ihipStream_tbENKUlT_T0_E_clISt17integral_constantIbLb0EES14_EEDaSZ_S10_EUlSZ_E_NS1_11comp_targetILNS1_3genE5ELNS1_11target_archE942ELNS1_3gpuE9ELNS1_3repE0EEENS1_30default_config_static_selectorELNS0_4arch9wavefront6targetE0EEEvT1_, .Lfunc_end914-_ZN7rocprim17ROCPRIM_400000_NS6detail17trampoline_kernelINS0_14default_configENS1_29reduce_by_key_config_selectorIjjN6thrust23THRUST_200600_302600_NS4plusIjEEEEZZNS1_33reduce_by_key_impl_wrapped_configILNS1_25lookback_scan_determinismE0ES3_S9_NS6_6detail15normal_iteratorINS6_10device_ptrIjEEEESG_NS6_16discard_iteratorINS6_11use_defaultEEESG_PmS8_NS6_8equal_toIjEEEE10hipError_tPvRmT2_T3_mT4_T5_T6_T7_T8_P12ihipStream_tbENKUlT_T0_E_clISt17integral_constantIbLb0EES14_EEDaSZ_S10_EUlSZ_E_NS1_11comp_targetILNS1_3genE5ELNS1_11target_archE942ELNS1_3gpuE9ELNS1_3repE0EEENS1_30default_config_static_selectorELNS0_4arch9wavefront6targetE0EEEvT1_
                                        ; -- End function
	.section	.AMDGPU.csdata,"",@progbits
; Kernel info:
; codeLenInByte = 0
; NumSgprs: 0
; NumVgprs: 0
; ScratchSize: 0
; MemoryBound: 0
; FloatMode: 240
; IeeeMode: 1
; LDSByteSize: 0 bytes/workgroup (compile time only)
; SGPRBlocks: 0
; VGPRBlocks: 0
; NumSGPRsForWavesPerEU: 1
; NumVGPRsForWavesPerEU: 1
; Occupancy: 16
; WaveLimiterHint : 0
; COMPUTE_PGM_RSRC2:SCRATCH_EN: 0
; COMPUTE_PGM_RSRC2:USER_SGPR: 15
; COMPUTE_PGM_RSRC2:TRAP_HANDLER: 0
; COMPUTE_PGM_RSRC2:TGID_X_EN: 1
; COMPUTE_PGM_RSRC2:TGID_Y_EN: 0
; COMPUTE_PGM_RSRC2:TGID_Z_EN: 0
; COMPUTE_PGM_RSRC2:TIDIG_COMP_CNT: 0
	.section	.text._ZN7rocprim17ROCPRIM_400000_NS6detail17trampoline_kernelINS0_14default_configENS1_29reduce_by_key_config_selectorIjjN6thrust23THRUST_200600_302600_NS4plusIjEEEEZZNS1_33reduce_by_key_impl_wrapped_configILNS1_25lookback_scan_determinismE0ES3_S9_NS6_6detail15normal_iteratorINS6_10device_ptrIjEEEESG_NS6_16discard_iteratorINS6_11use_defaultEEESG_PmS8_NS6_8equal_toIjEEEE10hipError_tPvRmT2_T3_mT4_T5_T6_T7_T8_P12ihipStream_tbENKUlT_T0_E_clISt17integral_constantIbLb0EES14_EEDaSZ_S10_EUlSZ_E_NS1_11comp_targetILNS1_3genE4ELNS1_11target_archE910ELNS1_3gpuE8ELNS1_3repE0EEENS1_30default_config_static_selectorELNS0_4arch9wavefront6targetE0EEEvT1_,"axG",@progbits,_ZN7rocprim17ROCPRIM_400000_NS6detail17trampoline_kernelINS0_14default_configENS1_29reduce_by_key_config_selectorIjjN6thrust23THRUST_200600_302600_NS4plusIjEEEEZZNS1_33reduce_by_key_impl_wrapped_configILNS1_25lookback_scan_determinismE0ES3_S9_NS6_6detail15normal_iteratorINS6_10device_ptrIjEEEESG_NS6_16discard_iteratorINS6_11use_defaultEEESG_PmS8_NS6_8equal_toIjEEEE10hipError_tPvRmT2_T3_mT4_T5_T6_T7_T8_P12ihipStream_tbENKUlT_T0_E_clISt17integral_constantIbLb0EES14_EEDaSZ_S10_EUlSZ_E_NS1_11comp_targetILNS1_3genE4ELNS1_11target_archE910ELNS1_3gpuE8ELNS1_3repE0EEENS1_30default_config_static_selectorELNS0_4arch9wavefront6targetE0EEEvT1_,comdat
	.protected	_ZN7rocprim17ROCPRIM_400000_NS6detail17trampoline_kernelINS0_14default_configENS1_29reduce_by_key_config_selectorIjjN6thrust23THRUST_200600_302600_NS4plusIjEEEEZZNS1_33reduce_by_key_impl_wrapped_configILNS1_25lookback_scan_determinismE0ES3_S9_NS6_6detail15normal_iteratorINS6_10device_ptrIjEEEESG_NS6_16discard_iteratorINS6_11use_defaultEEESG_PmS8_NS6_8equal_toIjEEEE10hipError_tPvRmT2_T3_mT4_T5_T6_T7_T8_P12ihipStream_tbENKUlT_T0_E_clISt17integral_constantIbLb0EES14_EEDaSZ_S10_EUlSZ_E_NS1_11comp_targetILNS1_3genE4ELNS1_11target_archE910ELNS1_3gpuE8ELNS1_3repE0EEENS1_30default_config_static_selectorELNS0_4arch9wavefront6targetE0EEEvT1_ ; -- Begin function _ZN7rocprim17ROCPRIM_400000_NS6detail17trampoline_kernelINS0_14default_configENS1_29reduce_by_key_config_selectorIjjN6thrust23THRUST_200600_302600_NS4plusIjEEEEZZNS1_33reduce_by_key_impl_wrapped_configILNS1_25lookback_scan_determinismE0ES3_S9_NS6_6detail15normal_iteratorINS6_10device_ptrIjEEEESG_NS6_16discard_iteratorINS6_11use_defaultEEESG_PmS8_NS6_8equal_toIjEEEE10hipError_tPvRmT2_T3_mT4_T5_T6_T7_T8_P12ihipStream_tbENKUlT_T0_E_clISt17integral_constantIbLb0EES14_EEDaSZ_S10_EUlSZ_E_NS1_11comp_targetILNS1_3genE4ELNS1_11target_archE910ELNS1_3gpuE8ELNS1_3repE0EEENS1_30default_config_static_selectorELNS0_4arch9wavefront6targetE0EEEvT1_
	.globl	_ZN7rocprim17ROCPRIM_400000_NS6detail17trampoline_kernelINS0_14default_configENS1_29reduce_by_key_config_selectorIjjN6thrust23THRUST_200600_302600_NS4plusIjEEEEZZNS1_33reduce_by_key_impl_wrapped_configILNS1_25lookback_scan_determinismE0ES3_S9_NS6_6detail15normal_iteratorINS6_10device_ptrIjEEEESG_NS6_16discard_iteratorINS6_11use_defaultEEESG_PmS8_NS6_8equal_toIjEEEE10hipError_tPvRmT2_T3_mT4_T5_T6_T7_T8_P12ihipStream_tbENKUlT_T0_E_clISt17integral_constantIbLb0EES14_EEDaSZ_S10_EUlSZ_E_NS1_11comp_targetILNS1_3genE4ELNS1_11target_archE910ELNS1_3gpuE8ELNS1_3repE0EEENS1_30default_config_static_selectorELNS0_4arch9wavefront6targetE0EEEvT1_
	.p2align	8
	.type	_ZN7rocprim17ROCPRIM_400000_NS6detail17trampoline_kernelINS0_14default_configENS1_29reduce_by_key_config_selectorIjjN6thrust23THRUST_200600_302600_NS4plusIjEEEEZZNS1_33reduce_by_key_impl_wrapped_configILNS1_25lookback_scan_determinismE0ES3_S9_NS6_6detail15normal_iteratorINS6_10device_ptrIjEEEESG_NS6_16discard_iteratorINS6_11use_defaultEEESG_PmS8_NS6_8equal_toIjEEEE10hipError_tPvRmT2_T3_mT4_T5_T6_T7_T8_P12ihipStream_tbENKUlT_T0_E_clISt17integral_constantIbLb0EES14_EEDaSZ_S10_EUlSZ_E_NS1_11comp_targetILNS1_3genE4ELNS1_11target_archE910ELNS1_3gpuE8ELNS1_3repE0EEENS1_30default_config_static_selectorELNS0_4arch9wavefront6targetE0EEEvT1_,@function
_ZN7rocprim17ROCPRIM_400000_NS6detail17trampoline_kernelINS0_14default_configENS1_29reduce_by_key_config_selectorIjjN6thrust23THRUST_200600_302600_NS4plusIjEEEEZZNS1_33reduce_by_key_impl_wrapped_configILNS1_25lookback_scan_determinismE0ES3_S9_NS6_6detail15normal_iteratorINS6_10device_ptrIjEEEESG_NS6_16discard_iteratorINS6_11use_defaultEEESG_PmS8_NS6_8equal_toIjEEEE10hipError_tPvRmT2_T3_mT4_T5_T6_T7_T8_P12ihipStream_tbENKUlT_T0_E_clISt17integral_constantIbLb0EES14_EEDaSZ_S10_EUlSZ_E_NS1_11comp_targetILNS1_3genE4ELNS1_11target_archE910ELNS1_3gpuE8ELNS1_3repE0EEENS1_30default_config_static_selectorELNS0_4arch9wavefront6targetE0EEEvT1_: ; @_ZN7rocprim17ROCPRIM_400000_NS6detail17trampoline_kernelINS0_14default_configENS1_29reduce_by_key_config_selectorIjjN6thrust23THRUST_200600_302600_NS4plusIjEEEEZZNS1_33reduce_by_key_impl_wrapped_configILNS1_25lookback_scan_determinismE0ES3_S9_NS6_6detail15normal_iteratorINS6_10device_ptrIjEEEESG_NS6_16discard_iteratorINS6_11use_defaultEEESG_PmS8_NS6_8equal_toIjEEEE10hipError_tPvRmT2_T3_mT4_T5_T6_T7_T8_P12ihipStream_tbENKUlT_T0_E_clISt17integral_constantIbLb0EES14_EEDaSZ_S10_EUlSZ_E_NS1_11comp_targetILNS1_3genE4ELNS1_11target_archE910ELNS1_3gpuE8ELNS1_3repE0EEENS1_30default_config_static_selectorELNS0_4arch9wavefront6targetE0EEEvT1_
; %bb.0:
	.section	.rodata,"a",@progbits
	.p2align	6, 0x0
	.amdhsa_kernel _ZN7rocprim17ROCPRIM_400000_NS6detail17trampoline_kernelINS0_14default_configENS1_29reduce_by_key_config_selectorIjjN6thrust23THRUST_200600_302600_NS4plusIjEEEEZZNS1_33reduce_by_key_impl_wrapped_configILNS1_25lookback_scan_determinismE0ES3_S9_NS6_6detail15normal_iteratorINS6_10device_ptrIjEEEESG_NS6_16discard_iteratorINS6_11use_defaultEEESG_PmS8_NS6_8equal_toIjEEEE10hipError_tPvRmT2_T3_mT4_T5_T6_T7_T8_P12ihipStream_tbENKUlT_T0_E_clISt17integral_constantIbLb0EES14_EEDaSZ_S10_EUlSZ_E_NS1_11comp_targetILNS1_3genE4ELNS1_11target_archE910ELNS1_3gpuE8ELNS1_3repE0EEENS1_30default_config_static_selectorELNS0_4arch9wavefront6targetE0EEEvT1_
		.amdhsa_group_segment_fixed_size 0
		.amdhsa_private_segment_fixed_size 0
		.amdhsa_kernarg_size 128
		.amdhsa_user_sgpr_count 15
		.amdhsa_user_sgpr_dispatch_ptr 0
		.amdhsa_user_sgpr_queue_ptr 0
		.amdhsa_user_sgpr_kernarg_segment_ptr 1
		.amdhsa_user_sgpr_dispatch_id 0
		.amdhsa_user_sgpr_private_segment_size 0
		.amdhsa_wavefront_size32 1
		.amdhsa_uses_dynamic_stack 0
		.amdhsa_enable_private_segment 0
		.amdhsa_system_sgpr_workgroup_id_x 1
		.amdhsa_system_sgpr_workgroup_id_y 0
		.amdhsa_system_sgpr_workgroup_id_z 0
		.amdhsa_system_sgpr_workgroup_info 0
		.amdhsa_system_vgpr_workitem_id 0
		.amdhsa_next_free_vgpr 1
		.amdhsa_next_free_sgpr 1
		.amdhsa_reserve_vcc 0
		.amdhsa_float_round_mode_32 0
		.amdhsa_float_round_mode_16_64 0
		.amdhsa_float_denorm_mode_32 3
		.amdhsa_float_denorm_mode_16_64 3
		.amdhsa_dx10_clamp 1
		.amdhsa_ieee_mode 1
		.amdhsa_fp16_overflow 0
		.amdhsa_workgroup_processor_mode 1
		.amdhsa_memory_ordered 1
		.amdhsa_forward_progress 0
		.amdhsa_shared_vgpr_count 0
		.amdhsa_exception_fp_ieee_invalid_op 0
		.amdhsa_exception_fp_denorm_src 0
		.amdhsa_exception_fp_ieee_div_zero 0
		.amdhsa_exception_fp_ieee_overflow 0
		.amdhsa_exception_fp_ieee_underflow 0
		.amdhsa_exception_fp_ieee_inexact 0
		.amdhsa_exception_int_div_zero 0
	.end_amdhsa_kernel
	.section	.text._ZN7rocprim17ROCPRIM_400000_NS6detail17trampoline_kernelINS0_14default_configENS1_29reduce_by_key_config_selectorIjjN6thrust23THRUST_200600_302600_NS4plusIjEEEEZZNS1_33reduce_by_key_impl_wrapped_configILNS1_25lookback_scan_determinismE0ES3_S9_NS6_6detail15normal_iteratorINS6_10device_ptrIjEEEESG_NS6_16discard_iteratorINS6_11use_defaultEEESG_PmS8_NS6_8equal_toIjEEEE10hipError_tPvRmT2_T3_mT4_T5_T6_T7_T8_P12ihipStream_tbENKUlT_T0_E_clISt17integral_constantIbLb0EES14_EEDaSZ_S10_EUlSZ_E_NS1_11comp_targetILNS1_3genE4ELNS1_11target_archE910ELNS1_3gpuE8ELNS1_3repE0EEENS1_30default_config_static_selectorELNS0_4arch9wavefront6targetE0EEEvT1_,"axG",@progbits,_ZN7rocprim17ROCPRIM_400000_NS6detail17trampoline_kernelINS0_14default_configENS1_29reduce_by_key_config_selectorIjjN6thrust23THRUST_200600_302600_NS4plusIjEEEEZZNS1_33reduce_by_key_impl_wrapped_configILNS1_25lookback_scan_determinismE0ES3_S9_NS6_6detail15normal_iteratorINS6_10device_ptrIjEEEESG_NS6_16discard_iteratorINS6_11use_defaultEEESG_PmS8_NS6_8equal_toIjEEEE10hipError_tPvRmT2_T3_mT4_T5_T6_T7_T8_P12ihipStream_tbENKUlT_T0_E_clISt17integral_constantIbLb0EES14_EEDaSZ_S10_EUlSZ_E_NS1_11comp_targetILNS1_3genE4ELNS1_11target_archE910ELNS1_3gpuE8ELNS1_3repE0EEENS1_30default_config_static_selectorELNS0_4arch9wavefront6targetE0EEEvT1_,comdat
.Lfunc_end915:
	.size	_ZN7rocprim17ROCPRIM_400000_NS6detail17trampoline_kernelINS0_14default_configENS1_29reduce_by_key_config_selectorIjjN6thrust23THRUST_200600_302600_NS4plusIjEEEEZZNS1_33reduce_by_key_impl_wrapped_configILNS1_25lookback_scan_determinismE0ES3_S9_NS6_6detail15normal_iteratorINS6_10device_ptrIjEEEESG_NS6_16discard_iteratorINS6_11use_defaultEEESG_PmS8_NS6_8equal_toIjEEEE10hipError_tPvRmT2_T3_mT4_T5_T6_T7_T8_P12ihipStream_tbENKUlT_T0_E_clISt17integral_constantIbLb0EES14_EEDaSZ_S10_EUlSZ_E_NS1_11comp_targetILNS1_3genE4ELNS1_11target_archE910ELNS1_3gpuE8ELNS1_3repE0EEENS1_30default_config_static_selectorELNS0_4arch9wavefront6targetE0EEEvT1_, .Lfunc_end915-_ZN7rocprim17ROCPRIM_400000_NS6detail17trampoline_kernelINS0_14default_configENS1_29reduce_by_key_config_selectorIjjN6thrust23THRUST_200600_302600_NS4plusIjEEEEZZNS1_33reduce_by_key_impl_wrapped_configILNS1_25lookback_scan_determinismE0ES3_S9_NS6_6detail15normal_iteratorINS6_10device_ptrIjEEEESG_NS6_16discard_iteratorINS6_11use_defaultEEESG_PmS8_NS6_8equal_toIjEEEE10hipError_tPvRmT2_T3_mT4_T5_T6_T7_T8_P12ihipStream_tbENKUlT_T0_E_clISt17integral_constantIbLb0EES14_EEDaSZ_S10_EUlSZ_E_NS1_11comp_targetILNS1_3genE4ELNS1_11target_archE910ELNS1_3gpuE8ELNS1_3repE0EEENS1_30default_config_static_selectorELNS0_4arch9wavefront6targetE0EEEvT1_
                                        ; -- End function
	.section	.AMDGPU.csdata,"",@progbits
; Kernel info:
; codeLenInByte = 0
; NumSgprs: 0
; NumVgprs: 0
; ScratchSize: 0
; MemoryBound: 0
; FloatMode: 240
; IeeeMode: 1
; LDSByteSize: 0 bytes/workgroup (compile time only)
; SGPRBlocks: 0
; VGPRBlocks: 0
; NumSGPRsForWavesPerEU: 1
; NumVGPRsForWavesPerEU: 1
; Occupancy: 16
; WaveLimiterHint : 0
; COMPUTE_PGM_RSRC2:SCRATCH_EN: 0
; COMPUTE_PGM_RSRC2:USER_SGPR: 15
; COMPUTE_PGM_RSRC2:TRAP_HANDLER: 0
; COMPUTE_PGM_RSRC2:TGID_X_EN: 1
; COMPUTE_PGM_RSRC2:TGID_Y_EN: 0
; COMPUTE_PGM_RSRC2:TGID_Z_EN: 0
; COMPUTE_PGM_RSRC2:TIDIG_COMP_CNT: 0
	.section	.text._ZN7rocprim17ROCPRIM_400000_NS6detail17trampoline_kernelINS0_14default_configENS1_29reduce_by_key_config_selectorIjjN6thrust23THRUST_200600_302600_NS4plusIjEEEEZZNS1_33reduce_by_key_impl_wrapped_configILNS1_25lookback_scan_determinismE0ES3_S9_NS6_6detail15normal_iteratorINS6_10device_ptrIjEEEESG_NS6_16discard_iteratorINS6_11use_defaultEEESG_PmS8_NS6_8equal_toIjEEEE10hipError_tPvRmT2_T3_mT4_T5_T6_T7_T8_P12ihipStream_tbENKUlT_T0_E_clISt17integral_constantIbLb0EES14_EEDaSZ_S10_EUlSZ_E_NS1_11comp_targetILNS1_3genE3ELNS1_11target_archE908ELNS1_3gpuE7ELNS1_3repE0EEENS1_30default_config_static_selectorELNS0_4arch9wavefront6targetE0EEEvT1_,"axG",@progbits,_ZN7rocprim17ROCPRIM_400000_NS6detail17trampoline_kernelINS0_14default_configENS1_29reduce_by_key_config_selectorIjjN6thrust23THRUST_200600_302600_NS4plusIjEEEEZZNS1_33reduce_by_key_impl_wrapped_configILNS1_25lookback_scan_determinismE0ES3_S9_NS6_6detail15normal_iteratorINS6_10device_ptrIjEEEESG_NS6_16discard_iteratorINS6_11use_defaultEEESG_PmS8_NS6_8equal_toIjEEEE10hipError_tPvRmT2_T3_mT4_T5_T6_T7_T8_P12ihipStream_tbENKUlT_T0_E_clISt17integral_constantIbLb0EES14_EEDaSZ_S10_EUlSZ_E_NS1_11comp_targetILNS1_3genE3ELNS1_11target_archE908ELNS1_3gpuE7ELNS1_3repE0EEENS1_30default_config_static_selectorELNS0_4arch9wavefront6targetE0EEEvT1_,comdat
	.protected	_ZN7rocprim17ROCPRIM_400000_NS6detail17trampoline_kernelINS0_14default_configENS1_29reduce_by_key_config_selectorIjjN6thrust23THRUST_200600_302600_NS4plusIjEEEEZZNS1_33reduce_by_key_impl_wrapped_configILNS1_25lookback_scan_determinismE0ES3_S9_NS6_6detail15normal_iteratorINS6_10device_ptrIjEEEESG_NS6_16discard_iteratorINS6_11use_defaultEEESG_PmS8_NS6_8equal_toIjEEEE10hipError_tPvRmT2_T3_mT4_T5_T6_T7_T8_P12ihipStream_tbENKUlT_T0_E_clISt17integral_constantIbLb0EES14_EEDaSZ_S10_EUlSZ_E_NS1_11comp_targetILNS1_3genE3ELNS1_11target_archE908ELNS1_3gpuE7ELNS1_3repE0EEENS1_30default_config_static_selectorELNS0_4arch9wavefront6targetE0EEEvT1_ ; -- Begin function _ZN7rocprim17ROCPRIM_400000_NS6detail17trampoline_kernelINS0_14default_configENS1_29reduce_by_key_config_selectorIjjN6thrust23THRUST_200600_302600_NS4plusIjEEEEZZNS1_33reduce_by_key_impl_wrapped_configILNS1_25lookback_scan_determinismE0ES3_S9_NS6_6detail15normal_iteratorINS6_10device_ptrIjEEEESG_NS6_16discard_iteratorINS6_11use_defaultEEESG_PmS8_NS6_8equal_toIjEEEE10hipError_tPvRmT2_T3_mT4_T5_T6_T7_T8_P12ihipStream_tbENKUlT_T0_E_clISt17integral_constantIbLb0EES14_EEDaSZ_S10_EUlSZ_E_NS1_11comp_targetILNS1_3genE3ELNS1_11target_archE908ELNS1_3gpuE7ELNS1_3repE0EEENS1_30default_config_static_selectorELNS0_4arch9wavefront6targetE0EEEvT1_
	.globl	_ZN7rocprim17ROCPRIM_400000_NS6detail17trampoline_kernelINS0_14default_configENS1_29reduce_by_key_config_selectorIjjN6thrust23THRUST_200600_302600_NS4plusIjEEEEZZNS1_33reduce_by_key_impl_wrapped_configILNS1_25lookback_scan_determinismE0ES3_S9_NS6_6detail15normal_iteratorINS6_10device_ptrIjEEEESG_NS6_16discard_iteratorINS6_11use_defaultEEESG_PmS8_NS6_8equal_toIjEEEE10hipError_tPvRmT2_T3_mT4_T5_T6_T7_T8_P12ihipStream_tbENKUlT_T0_E_clISt17integral_constantIbLb0EES14_EEDaSZ_S10_EUlSZ_E_NS1_11comp_targetILNS1_3genE3ELNS1_11target_archE908ELNS1_3gpuE7ELNS1_3repE0EEENS1_30default_config_static_selectorELNS0_4arch9wavefront6targetE0EEEvT1_
	.p2align	8
	.type	_ZN7rocprim17ROCPRIM_400000_NS6detail17trampoline_kernelINS0_14default_configENS1_29reduce_by_key_config_selectorIjjN6thrust23THRUST_200600_302600_NS4plusIjEEEEZZNS1_33reduce_by_key_impl_wrapped_configILNS1_25lookback_scan_determinismE0ES3_S9_NS6_6detail15normal_iteratorINS6_10device_ptrIjEEEESG_NS6_16discard_iteratorINS6_11use_defaultEEESG_PmS8_NS6_8equal_toIjEEEE10hipError_tPvRmT2_T3_mT4_T5_T6_T7_T8_P12ihipStream_tbENKUlT_T0_E_clISt17integral_constantIbLb0EES14_EEDaSZ_S10_EUlSZ_E_NS1_11comp_targetILNS1_3genE3ELNS1_11target_archE908ELNS1_3gpuE7ELNS1_3repE0EEENS1_30default_config_static_selectorELNS0_4arch9wavefront6targetE0EEEvT1_,@function
_ZN7rocprim17ROCPRIM_400000_NS6detail17trampoline_kernelINS0_14default_configENS1_29reduce_by_key_config_selectorIjjN6thrust23THRUST_200600_302600_NS4plusIjEEEEZZNS1_33reduce_by_key_impl_wrapped_configILNS1_25lookback_scan_determinismE0ES3_S9_NS6_6detail15normal_iteratorINS6_10device_ptrIjEEEESG_NS6_16discard_iteratorINS6_11use_defaultEEESG_PmS8_NS6_8equal_toIjEEEE10hipError_tPvRmT2_T3_mT4_T5_T6_T7_T8_P12ihipStream_tbENKUlT_T0_E_clISt17integral_constantIbLb0EES14_EEDaSZ_S10_EUlSZ_E_NS1_11comp_targetILNS1_3genE3ELNS1_11target_archE908ELNS1_3gpuE7ELNS1_3repE0EEENS1_30default_config_static_selectorELNS0_4arch9wavefront6targetE0EEEvT1_: ; @_ZN7rocprim17ROCPRIM_400000_NS6detail17trampoline_kernelINS0_14default_configENS1_29reduce_by_key_config_selectorIjjN6thrust23THRUST_200600_302600_NS4plusIjEEEEZZNS1_33reduce_by_key_impl_wrapped_configILNS1_25lookback_scan_determinismE0ES3_S9_NS6_6detail15normal_iteratorINS6_10device_ptrIjEEEESG_NS6_16discard_iteratorINS6_11use_defaultEEESG_PmS8_NS6_8equal_toIjEEEE10hipError_tPvRmT2_T3_mT4_T5_T6_T7_T8_P12ihipStream_tbENKUlT_T0_E_clISt17integral_constantIbLb0EES14_EEDaSZ_S10_EUlSZ_E_NS1_11comp_targetILNS1_3genE3ELNS1_11target_archE908ELNS1_3gpuE7ELNS1_3repE0EEENS1_30default_config_static_selectorELNS0_4arch9wavefront6targetE0EEEvT1_
; %bb.0:
	.section	.rodata,"a",@progbits
	.p2align	6, 0x0
	.amdhsa_kernel _ZN7rocprim17ROCPRIM_400000_NS6detail17trampoline_kernelINS0_14default_configENS1_29reduce_by_key_config_selectorIjjN6thrust23THRUST_200600_302600_NS4plusIjEEEEZZNS1_33reduce_by_key_impl_wrapped_configILNS1_25lookback_scan_determinismE0ES3_S9_NS6_6detail15normal_iteratorINS6_10device_ptrIjEEEESG_NS6_16discard_iteratorINS6_11use_defaultEEESG_PmS8_NS6_8equal_toIjEEEE10hipError_tPvRmT2_T3_mT4_T5_T6_T7_T8_P12ihipStream_tbENKUlT_T0_E_clISt17integral_constantIbLb0EES14_EEDaSZ_S10_EUlSZ_E_NS1_11comp_targetILNS1_3genE3ELNS1_11target_archE908ELNS1_3gpuE7ELNS1_3repE0EEENS1_30default_config_static_selectorELNS0_4arch9wavefront6targetE0EEEvT1_
		.amdhsa_group_segment_fixed_size 0
		.amdhsa_private_segment_fixed_size 0
		.amdhsa_kernarg_size 128
		.amdhsa_user_sgpr_count 15
		.amdhsa_user_sgpr_dispatch_ptr 0
		.amdhsa_user_sgpr_queue_ptr 0
		.amdhsa_user_sgpr_kernarg_segment_ptr 1
		.amdhsa_user_sgpr_dispatch_id 0
		.amdhsa_user_sgpr_private_segment_size 0
		.amdhsa_wavefront_size32 1
		.amdhsa_uses_dynamic_stack 0
		.amdhsa_enable_private_segment 0
		.amdhsa_system_sgpr_workgroup_id_x 1
		.amdhsa_system_sgpr_workgroup_id_y 0
		.amdhsa_system_sgpr_workgroup_id_z 0
		.amdhsa_system_sgpr_workgroup_info 0
		.amdhsa_system_vgpr_workitem_id 0
		.amdhsa_next_free_vgpr 1
		.amdhsa_next_free_sgpr 1
		.amdhsa_reserve_vcc 0
		.amdhsa_float_round_mode_32 0
		.amdhsa_float_round_mode_16_64 0
		.amdhsa_float_denorm_mode_32 3
		.amdhsa_float_denorm_mode_16_64 3
		.amdhsa_dx10_clamp 1
		.amdhsa_ieee_mode 1
		.amdhsa_fp16_overflow 0
		.amdhsa_workgroup_processor_mode 1
		.amdhsa_memory_ordered 1
		.amdhsa_forward_progress 0
		.amdhsa_shared_vgpr_count 0
		.amdhsa_exception_fp_ieee_invalid_op 0
		.amdhsa_exception_fp_denorm_src 0
		.amdhsa_exception_fp_ieee_div_zero 0
		.amdhsa_exception_fp_ieee_overflow 0
		.amdhsa_exception_fp_ieee_underflow 0
		.amdhsa_exception_fp_ieee_inexact 0
		.amdhsa_exception_int_div_zero 0
	.end_amdhsa_kernel
	.section	.text._ZN7rocprim17ROCPRIM_400000_NS6detail17trampoline_kernelINS0_14default_configENS1_29reduce_by_key_config_selectorIjjN6thrust23THRUST_200600_302600_NS4plusIjEEEEZZNS1_33reduce_by_key_impl_wrapped_configILNS1_25lookback_scan_determinismE0ES3_S9_NS6_6detail15normal_iteratorINS6_10device_ptrIjEEEESG_NS6_16discard_iteratorINS6_11use_defaultEEESG_PmS8_NS6_8equal_toIjEEEE10hipError_tPvRmT2_T3_mT4_T5_T6_T7_T8_P12ihipStream_tbENKUlT_T0_E_clISt17integral_constantIbLb0EES14_EEDaSZ_S10_EUlSZ_E_NS1_11comp_targetILNS1_3genE3ELNS1_11target_archE908ELNS1_3gpuE7ELNS1_3repE0EEENS1_30default_config_static_selectorELNS0_4arch9wavefront6targetE0EEEvT1_,"axG",@progbits,_ZN7rocprim17ROCPRIM_400000_NS6detail17trampoline_kernelINS0_14default_configENS1_29reduce_by_key_config_selectorIjjN6thrust23THRUST_200600_302600_NS4plusIjEEEEZZNS1_33reduce_by_key_impl_wrapped_configILNS1_25lookback_scan_determinismE0ES3_S9_NS6_6detail15normal_iteratorINS6_10device_ptrIjEEEESG_NS6_16discard_iteratorINS6_11use_defaultEEESG_PmS8_NS6_8equal_toIjEEEE10hipError_tPvRmT2_T3_mT4_T5_T6_T7_T8_P12ihipStream_tbENKUlT_T0_E_clISt17integral_constantIbLb0EES14_EEDaSZ_S10_EUlSZ_E_NS1_11comp_targetILNS1_3genE3ELNS1_11target_archE908ELNS1_3gpuE7ELNS1_3repE0EEENS1_30default_config_static_selectorELNS0_4arch9wavefront6targetE0EEEvT1_,comdat
.Lfunc_end916:
	.size	_ZN7rocprim17ROCPRIM_400000_NS6detail17trampoline_kernelINS0_14default_configENS1_29reduce_by_key_config_selectorIjjN6thrust23THRUST_200600_302600_NS4plusIjEEEEZZNS1_33reduce_by_key_impl_wrapped_configILNS1_25lookback_scan_determinismE0ES3_S9_NS6_6detail15normal_iteratorINS6_10device_ptrIjEEEESG_NS6_16discard_iteratorINS6_11use_defaultEEESG_PmS8_NS6_8equal_toIjEEEE10hipError_tPvRmT2_T3_mT4_T5_T6_T7_T8_P12ihipStream_tbENKUlT_T0_E_clISt17integral_constantIbLb0EES14_EEDaSZ_S10_EUlSZ_E_NS1_11comp_targetILNS1_3genE3ELNS1_11target_archE908ELNS1_3gpuE7ELNS1_3repE0EEENS1_30default_config_static_selectorELNS0_4arch9wavefront6targetE0EEEvT1_, .Lfunc_end916-_ZN7rocprim17ROCPRIM_400000_NS6detail17trampoline_kernelINS0_14default_configENS1_29reduce_by_key_config_selectorIjjN6thrust23THRUST_200600_302600_NS4plusIjEEEEZZNS1_33reduce_by_key_impl_wrapped_configILNS1_25lookback_scan_determinismE0ES3_S9_NS6_6detail15normal_iteratorINS6_10device_ptrIjEEEESG_NS6_16discard_iteratorINS6_11use_defaultEEESG_PmS8_NS6_8equal_toIjEEEE10hipError_tPvRmT2_T3_mT4_T5_T6_T7_T8_P12ihipStream_tbENKUlT_T0_E_clISt17integral_constantIbLb0EES14_EEDaSZ_S10_EUlSZ_E_NS1_11comp_targetILNS1_3genE3ELNS1_11target_archE908ELNS1_3gpuE7ELNS1_3repE0EEENS1_30default_config_static_selectorELNS0_4arch9wavefront6targetE0EEEvT1_
                                        ; -- End function
	.section	.AMDGPU.csdata,"",@progbits
; Kernel info:
; codeLenInByte = 0
; NumSgprs: 0
; NumVgprs: 0
; ScratchSize: 0
; MemoryBound: 0
; FloatMode: 240
; IeeeMode: 1
; LDSByteSize: 0 bytes/workgroup (compile time only)
; SGPRBlocks: 0
; VGPRBlocks: 0
; NumSGPRsForWavesPerEU: 1
; NumVGPRsForWavesPerEU: 1
; Occupancy: 16
; WaveLimiterHint : 0
; COMPUTE_PGM_RSRC2:SCRATCH_EN: 0
; COMPUTE_PGM_RSRC2:USER_SGPR: 15
; COMPUTE_PGM_RSRC2:TRAP_HANDLER: 0
; COMPUTE_PGM_RSRC2:TGID_X_EN: 1
; COMPUTE_PGM_RSRC2:TGID_Y_EN: 0
; COMPUTE_PGM_RSRC2:TGID_Z_EN: 0
; COMPUTE_PGM_RSRC2:TIDIG_COMP_CNT: 0
	.section	.text._ZN7rocprim17ROCPRIM_400000_NS6detail17trampoline_kernelINS0_14default_configENS1_29reduce_by_key_config_selectorIjjN6thrust23THRUST_200600_302600_NS4plusIjEEEEZZNS1_33reduce_by_key_impl_wrapped_configILNS1_25lookback_scan_determinismE0ES3_S9_NS6_6detail15normal_iteratorINS6_10device_ptrIjEEEESG_NS6_16discard_iteratorINS6_11use_defaultEEESG_PmS8_NS6_8equal_toIjEEEE10hipError_tPvRmT2_T3_mT4_T5_T6_T7_T8_P12ihipStream_tbENKUlT_T0_E_clISt17integral_constantIbLb0EES14_EEDaSZ_S10_EUlSZ_E_NS1_11comp_targetILNS1_3genE2ELNS1_11target_archE906ELNS1_3gpuE6ELNS1_3repE0EEENS1_30default_config_static_selectorELNS0_4arch9wavefront6targetE0EEEvT1_,"axG",@progbits,_ZN7rocprim17ROCPRIM_400000_NS6detail17trampoline_kernelINS0_14default_configENS1_29reduce_by_key_config_selectorIjjN6thrust23THRUST_200600_302600_NS4plusIjEEEEZZNS1_33reduce_by_key_impl_wrapped_configILNS1_25lookback_scan_determinismE0ES3_S9_NS6_6detail15normal_iteratorINS6_10device_ptrIjEEEESG_NS6_16discard_iteratorINS6_11use_defaultEEESG_PmS8_NS6_8equal_toIjEEEE10hipError_tPvRmT2_T3_mT4_T5_T6_T7_T8_P12ihipStream_tbENKUlT_T0_E_clISt17integral_constantIbLb0EES14_EEDaSZ_S10_EUlSZ_E_NS1_11comp_targetILNS1_3genE2ELNS1_11target_archE906ELNS1_3gpuE6ELNS1_3repE0EEENS1_30default_config_static_selectorELNS0_4arch9wavefront6targetE0EEEvT1_,comdat
	.protected	_ZN7rocprim17ROCPRIM_400000_NS6detail17trampoline_kernelINS0_14default_configENS1_29reduce_by_key_config_selectorIjjN6thrust23THRUST_200600_302600_NS4plusIjEEEEZZNS1_33reduce_by_key_impl_wrapped_configILNS1_25lookback_scan_determinismE0ES3_S9_NS6_6detail15normal_iteratorINS6_10device_ptrIjEEEESG_NS6_16discard_iteratorINS6_11use_defaultEEESG_PmS8_NS6_8equal_toIjEEEE10hipError_tPvRmT2_T3_mT4_T5_T6_T7_T8_P12ihipStream_tbENKUlT_T0_E_clISt17integral_constantIbLb0EES14_EEDaSZ_S10_EUlSZ_E_NS1_11comp_targetILNS1_3genE2ELNS1_11target_archE906ELNS1_3gpuE6ELNS1_3repE0EEENS1_30default_config_static_selectorELNS0_4arch9wavefront6targetE0EEEvT1_ ; -- Begin function _ZN7rocprim17ROCPRIM_400000_NS6detail17trampoline_kernelINS0_14default_configENS1_29reduce_by_key_config_selectorIjjN6thrust23THRUST_200600_302600_NS4plusIjEEEEZZNS1_33reduce_by_key_impl_wrapped_configILNS1_25lookback_scan_determinismE0ES3_S9_NS6_6detail15normal_iteratorINS6_10device_ptrIjEEEESG_NS6_16discard_iteratorINS6_11use_defaultEEESG_PmS8_NS6_8equal_toIjEEEE10hipError_tPvRmT2_T3_mT4_T5_T6_T7_T8_P12ihipStream_tbENKUlT_T0_E_clISt17integral_constantIbLb0EES14_EEDaSZ_S10_EUlSZ_E_NS1_11comp_targetILNS1_3genE2ELNS1_11target_archE906ELNS1_3gpuE6ELNS1_3repE0EEENS1_30default_config_static_selectorELNS0_4arch9wavefront6targetE0EEEvT1_
	.globl	_ZN7rocprim17ROCPRIM_400000_NS6detail17trampoline_kernelINS0_14default_configENS1_29reduce_by_key_config_selectorIjjN6thrust23THRUST_200600_302600_NS4plusIjEEEEZZNS1_33reduce_by_key_impl_wrapped_configILNS1_25lookback_scan_determinismE0ES3_S9_NS6_6detail15normal_iteratorINS6_10device_ptrIjEEEESG_NS6_16discard_iteratorINS6_11use_defaultEEESG_PmS8_NS6_8equal_toIjEEEE10hipError_tPvRmT2_T3_mT4_T5_T6_T7_T8_P12ihipStream_tbENKUlT_T0_E_clISt17integral_constantIbLb0EES14_EEDaSZ_S10_EUlSZ_E_NS1_11comp_targetILNS1_3genE2ELNS1_11target_archE906ELNS1_3gpuE6ELNS1_3repE0EEENS1_30default_config_static_selectorELNS0_4arch9wavefront6targetE0EEEvT1_
	.p2align	8
	.type	_ZN7rocprim17ROCPRIM_400000_NS6detail17trampoline_kernelINS0_14default_configENS1_29reduce_by_key_config_selectorIjjN6thrust23THRUST_200600_302600_NS4plusIjEEEEZZNS1_33reduce_by_key_impl_wrapped_configILNS1_25lookback_scan_determinismE0ES3_S9_NS6_6detail15normal_iteratorINS6_10device_ptrIjEEEESG_NS6_16discard_iteratorINS6_11use_defaultEEESG_PmS8_NS6_8equal_toIjEEEE10hipError_tPvRmT2_T3_mT4_T5_T6_T7_T8_P12ihipStream_tbENKUlT_T0_E_clISt17integral_constantIbLb0EES14_EEDaSZ_S10_EUlSZ_E_NS1_11comp_targetILNS1_3genE2ELNS1_11target_archE906ELNS1_3gpuE6ELNS1_3repE0EEENS1_30default_config_static_selectorELNS0_4arch9wavefront6targetE0EEEvT1_,@function
_ZN7rocprim17ROCPRIM_400000_NS6detail17trampoline_kernelINS0_14default_configENS1_29reduce_by_key_config_selectorIjjN6thrust23THRUST_200600_302600_NS4plusIjEEEEZZNS1_33reduce_by_key_impl_wrapped_configILNS1_25lookback_scan_determinismE0ES3_S9_NS6_6detail15normal_iteratorINS6_10device_ptrIjEEEESG_NS6_16discard_iteratorINS6_11use_defaultEEESG_PmS8_NS6_8equal_toIjEEEE10hipError_tPvRmT2_T3_mT4_T5_T6_T7_T8_P12ihipStream_tbENKUlT_T0_E_clISt17integral_constantIbLb0EES14_EEDaSZ_S10_EUlSZ_E_NS1_11comp_targetILNS1_3genE2ELNS1_11target_archE906ELNS1_3gpuE6ELNS1_3repE0EEENS1_30default_config_static_selectorELNS0_4arch9wavefront6targetE0EEEvT1_: ; @_ZN7rocprim17ROCPRIM_400000_NS6detail17trampoline_kernelINS0_14default_configENS1_29reduce_by_key_config_selectorIjjN6thrust23THRUST_200600_302600_NS4plusIjEEEEZZNS1_33reduce_by_key_impl_wrapped_configILNS1_25lookback_scan_determinismE0ES3_S9_NS6_6detail15normal_iteratorINS6_10device_ptrIjEEEESG_NS6_16discard_iteratorINS6_11use_defaultEEESG_PmS8_NS6_8equal_toIjEEEE10hipError_tPvRmT2_T3_mT4_T5_T6_T7_T8_P12ihipStream_tbENKUlT_T0_E_clISt17integral_constantIbLb0EES14_EEDaSZ_S10_EUlSZ_E_NS1_11comp_targetILNS1_3genE2ELNS1_11target_archE906ELNS1_3gpuE6ELNS1_3repE0EEENS1_30default_config_static_selectorELNS0_4arch9wavefront6targetE0EEEvT1_
; %bb.0:
	.section	.rodata,"a",@progbits
	.p2align	6, 0x0
	.amdhsa_kernel _ZN7rocprim17ROCPRIM_400000_NS6detail17trampoline_kernelINS0_14default_configENS1_29reduce_by_key_config_selectorIjjN6thrust23THRUST_200600_302600_NS4plusIjEEEEZZNS1_33reduce_by_key_impl_wrapped_configILNS1_25lookback_scan_determinismE0ES3_S9_NS6_6detail15normal_iteratorINS6_10device_ptrIjEEEESG_NS6_16discard_iteratorINS6_11use_defaultEEESG_PmS8_NS6_8equal_toIjEEEE10hipError_tPvRmT2_T3_mT4_T5_T6_T7_T8_P12ihipStream_tbENKUlT_T0_E_clISt17integral_constantIbLb0EES14_EEDaSZ_S10_EUlSZ_E_NS1_11comp_targetILNS1_3genE2ELNS1_11target_archE906ELNS1_3gpuE6ELNS1_3repE0EEENS1_30default_config_static_selectorELNS0_4arch9wavefront6targetE0EEEvT1_
		.amdhsa_group_segment_fixed_size 0
		.amdhsa_private_segment_fixed_size 0
		.amdhsa_kernarg_size 128
		.amdhsa_user_sgpr_count 15
		.amdhsa_user_sgpr_dispatch_ptr 0
		.amdhsa_user_sgpr_queue_ptr 0
		.amdhsa_user_sgpr_kernarg_segment_ptr 1
		.amdhsa_user_sgpr_dispatch_id 0
		.amdhsa_user_sgpr_private_segment_size 0
		.amdhsa_wavefront_size32 1
		.amdhsa_uses_dynamic_stack 0
		.amdhsa_enable_private_segment 0
		.amdhsa_system_sgpr_workgroup_id_x 1
		.amdhsa_system_sgpr_workgroup_id_y 0
		.amdhsa_system_sgpr_workgroup_id_z 0
		.amdhsa_system_sgpr_workgroup_info 0
		.amdhsa_system_vgpr_workitem_id 0
		.amdhsa_next_free_vgpr 1
		.amdhsa_next_free_sgpr 1
		.amdhsa_reserve_vcc 0
		.amdhsa_float_round_mode_32 0
		.amdhsa_float_round_mode_16_64 0
		.amdhsa_float_denorm_mode_32 3
		.amdhsa_float_denorm_mode_16_64 3
		.amdhsa_dx10_clamp 1
		.amdhsa_ieee_mode 1
		.amdhsa_fp16_overflow 0
		.amdhsa_workgroup_processor_mode 1
		.amdhsa_memory_ordered 1
		.amdhsa_forward_progress 0
		.amdhsa_shared_vgpr_count 0
		.amdhsa_exception_fp_ieee_invalid_op 0
		.amdhsa_exception_fp_denorm_src 0
		.amdhsa_exception_fp_ieee_div_zero 0
		.amdhsa_exception_fp_ieee_overflow 0
		.amdhsa_exception_fp_ieee_underflow 0
		.amdhsa_exception_fp_ieee_inexact 0
		.amdhsa_exception_int_div_zero 0
	.end_amdhsa_kernel
	.section	.text._ZN7rocprim17ROCPRIM_400000_NS6detail17trampoline_kernelINS0_14default_configENS1_29reduce_by_key_config_selectorIjjN6thrust23THRUST_200600_302600_NS4plusIjEEEEZZNS1_33reduce_by_key_impl_wrapped_configILNS1_25lookback_scan_determinismE0ES3_S9_NS6_6detail15normal_iteratorINS6_10device_ptrIjEEEESG_NS6_16discard_iteratorINS6_11use_defaultEEESG_PmS8_NS6_8equal_toIjEEEE10hipError_tPvRmT2_T3_mT4_T5_T6_T7_T8_P12ihipStream_tbENKUlT_T0_E_clISt17integral_constantIbLb0EES14_EEDaSZ_S10_EUlSZ_E_NS1_11comp_targetILNS1_3genE2ELNS1_11target_archE906ELNS1_3gpuE6ELNS1_3repE0EEENS1_30default_config_static_selectorELNS0_4arch9wavefront6targetE0EEEvT1_,"axG",@progbits,_ZN7rocprim17ROCPRIM_400000_NS6detail17trampoline_kernelINS0_14default_configENS1_29reduce_by_key_config_selectorIjjN6thrust23THRUST_200600_302600_NS4plusIjEEEEZZNS1_33reduce_by_key_impl_wrapped_configILNS1_25lookback_scan_determinismE0ES3_S9_NS6_6detail15normal_iteratorINS6_10device_ptrIjEEEESG_NS6_16discard_iteratorINS6_11use_defaultEEESG_PmS8_NS6_8equal_toIjEEEE10hipError_tPvRmT2_T3_mT4_T5_T6_T7_T8_P12ihipStream_tbENKUlT_T0_E_clISt17integral_constantIbLb0EES14_EEDaSZ_S10_EUlSZ_E_NS1_11comp_targetILNS1_3genE2ELNS1_11target_archE906ELNS1_3gpuE6ELNS1_3repE0EEENS1_30default_config_static_selectorELNS0_4arch9wavefront6targetE0EEEvT1_,comdat
.Lfunc_end917:
	.size	_ZN7rocprim17ROCPRIM_400000_NS6detail17trampoline_kernelINS0_14default_configENS1_29reduce_by_key_config_selectorIjjN6thrust23THRUST_200600_302600_NS4plusIjEEEEZZNS1_33reduce_by_key_impl_wrapped_configILNS1_25lookback_scan_determinismE0ES3_S9_NS6_6detail15normal_iteratorINS6_10device_ptrIjEEEESG_NS6_16discard_iteratorINS6_11use_defaultEEESG_PmS8_NS6_8equal_toIjEEEE10hipError_tPvRmT2_T3_mT4_T5_T6_T7_T8_P12ihipStream_tbENKUlT_T0_E_clISt17integral_constantIbLb0EES14_EEDaSZ_S10_EUlSZ_E_NS1_11comp_targetILNS1_3genE2ELNS1_11target_archE906ELNS1_3gpuE6ELNS1_3repE0EEENS1_30default_config_static_selectorELNS0_4arch9wavefront6targetE0EEEvT1_, .Lfunc_end917-_ZN7rocprim17ROCPRIM_400000_NS6detail17trampoline_kernelINS0_14default_configENS1_29reduce_by_key_config_selectorIjjN6thrust23THRUST_200600_302600_NS4plusIjEEEEZZNS1_33reduce_by_key_impl_wrapped_configILNS1_25lookback_scan_determinismE0ES3_S9_NS6_6detail15normal_iteratorINS6_10device_ptrIjEEEESG_NS6_16discard_iteratorINS6_11use_defaultEEESG_PmS8_NS6_8equal_toIjEEEE10hipError_tPvRmT2_T3_mT4_T5_T6_T7_T8_P12ihipStream_tbENKUlT_T0_E_clISt17integral_constantIbLb0EES14_EEDaSZ_S10_EUlSZ_E_NS1_11comp_targetILNS1_3genE2ELNS1_11target_archE906ELNS1_3gpuE6ELNS1_3repE0EEENS1_30default_config_static_selectorELNS0_4arch9wavefront6targetE0EEEvT1_
                                        ; -- End function
	.section	.AMDGPU.csdata,"",@progbits
; Kernel info:
; codeLenInByte = 0
; NumSgprs: 0
; NumVgprs: 0
; ScratchSize: 0
; MemoryBound: 0
; FloatMode: 240
; IeeeMode: 1
; LDSByteSize: 0 bytes/workgroup (compile time only)
; SGPRBlocks: 0
; VGPRBlocks: 0
; NumSGPRsForWavesPerEU: 1
; NumVGPRsForWavesPerEU: 1
; Occupancy: 16
; WaveLimiterHint : 0
; COMPUTE_PGM_RSRC2:SCRATCH_EN: 0
; COMPUTE_PGM_RSRC2:USER_SGPR: 15
; COMPUTE_PGM_RSRC2:TRAP_HANDLER: 0
; COMPUTE_PGM_RSRC2:TGID_X_EN: 1
; COMPUTE_PGM_RSRC2:TGID_Y_EN: 0
; COMPUTE_PGM_RSRC2:TGID_Z_EN: 0
; COMPUTE_PGM_RSRC2:TIDIG_COMP_CNT: 0
	.section	.text._ZN7rocprim17ROCPRIM_400000_NS6detail17trampoline_kernelINS0_14default_configENS1_29reduce_by_key_config_selectorIjjN6thrust23THRUST_200600_302600_NS4plusIjEEEEZZNS1_33reduce_by_key_impl_wrapped_configILNS1_25lookback_scan_determinismE0ES3_S9_NS6_6detail15normal_iteratorINS6_10device_ptrIjEEEESG_NS6_16discard_iteratorINS6_11use_defaultEEESG_PmS8_NS6_8equal_toIjEEEE10hipError_tPvRmT2_T3_mT4_T5_T6_T7_T8_P12ihipStream_tbENKUlT_T0_E_clISt17integral_constantIbLb0EES14_EEDaSZ_S10_EUlSZ_E_NS1_11comp_targetILNS1_3genE10ELNS1_11target_archE1201ELNS1_3gpuE5ELNS1_3repE0EEENS1_30default_config_static_selectorELNS0_4arch9wavefront6targetE0EEEvT1_,"axG",@progbits,_ZN7rocprim17ROCPRIM_400000_NS6detail17trampoline_kernelINS0_14default_configENS1_29reduce_by_key_config_selectorIjjN6thrust23THRUST_200600_302600_NS4plusIjEEEEZZNS1_33reduce_by_key_impl_wrapped_configILNS1_25lookback_scan_determinismE0ES3_S9_NS6_6detail15normal_iteratorINS6_10device_ptrIjEEEESG_NS6_16discard_iteratorINS6_11use_defaultEEESG_PmS8_NS6_8equal_toIjEEEE10hipError_tPvRmT2_T3_mT4_T5_T6_T7_T8_P12ihipStream_tbENKUlT_T0_E_clISt17integral_constantIbLb0EES14_EEDaSZ_S10_EUlSZ_E_NS1_11comp_targetILNS1_3genE10ELNS1_11target_archE1201ELNS1_3gpuE5ELNS1_3repE0EEENS1_30default_config_static_selectorELNS0_4arch9wavefront6targetE0EEEvT1_,comdat
	.protected	_ZN7rocprim17ROCPRIM_400000_NS6detail17trampoline_kernelINS0_14default_configENS1_29reduce_by_key_config_selectorIjjN6thrust23THRUST_200600_302600_NS4plusIjEEEEZZNS1_33reduce_by_key_impl_wrapped_configILNS1_25lookback_scan_determinismE0ES3_S9_NS6_6detail15normal_iteratorINS6_10device_ptrIjEEEESG_NS6_16discard_iteratorINS6_11use_defaultEEESG_PmS8_NS6_8equal_toIjEEEE10hipError_tPvRmT2_T3_mT4_T5_T6_T7_T8_P12ihipStream_tbENKUlT_T0_E_clISt17integral_constantIbLb0EES14_EEDaSZ_S10_EUlSZ_E_NS1_11comp_targetILNS1_3genE10ELNS1_11target_archE1201ELNS1_3gpuE5ELNS1_3repE0EEENS1_30default_config_static_selectorELNS0_4arch9wavefront6targetE0EEEvT1_ ; -- Begin function _ZN7rocprim17ROCPRIM_400000_NS6detail17trampoline_kernelINS0_14default_configENS1_29reduce_by_key_config_selectorIjjN6thrust23THRUST_200600_302600_NS4plusIjEEEEZZNS1_33reduce_by_key_impl_wrapped_configILNS1_25lookback_scan_determinismE0ES3_S9_NS6_6detail15normal_iteratorINS6_10device_ptrIjEEEESG_NS6_16discard_iteratorINS6_11use_defaultEEESG_PmS8_NS6_8equal_toIjEEEE10hipError_tPvRmT2_T3_mT4_T5_T6_T7_T8_P12ihipStream_tbENKUlT_T0_E_clISt17integral_constantIbLb0EES14_EEDaSZ_S10_EUlSZ_E_NS1_11comp_targetILNS1_3genE10ELNS1_11target_archE1201ELNS1_3gpuE5ELNS1_3repE0EEENS1_30default_config_static_selectorELNS0_4arch9wavefront6targetE0EEEvT1_
	.globl	_ZN7rocprim17ROCPRIM_400000_NS6detail17trampoline_kernelINS0_14default_configENS1_29reduce_by_key_config_selectorIjjN6thrust23THRUST_200600_302600_NS4plusIjEEEEZZNS1_33reduce_by_key_impl_wrapped_configILNS1_25lookback_scan_determinismE0ES3_S9_NS6_6detail15normal_iteratorINS6_10device_ptrIjEEEESG_NS6_16discard_iteratorINS6_11use_defaultEEESG_PmS8_NS6_8equal_toIjEEEE10hipError_tPvRmT2_T3_mT4_T5_T6_T7_T8_P12ihipStream_tbENKUlT_T0_E_clISt17integral_constantIbLb0EES14_EEDaSZ_S10_EUlSZ_E_NS1_11comp_targetILNS1_3genE10ELNS1_11target_archE1201ELNS1_3gpuE5ELNS1_3repE0EEENS1_30default_config_static_selectorELNS0_4arch9wavefront6targetE0EEEvT1_
	.p2align	8
	.type	_ZN7rocprim17ROCPRIM_400000_NS6detail17trampoline_kernelINS0_14default_configENS1_29reduce_by_key_config_selectorIjjN6thrust23THRUST_200600_302600_NS4plusIjEEEEZZNS1_33reduce_by_key_impl_wrapped_configILNS1_25lookback_scan_determinismE0ES3_S9_NS6_6detail15normal_iteratorINS6_10device_ptrIjEEEESG_NS6_16discard_iteratorINS6_11use_defaultEEESG_PmS8_NS6_8equal_toIjEEEE10hipError_tPvRmT2_T3_mT4_T5_T6_T7_T8_P12ihipStream_tbENKUlT_T0_E_clISt17integral_constantIbLb0EES14_EEDaSZ_S10_EUlSZ_E_NS1_11comp_targetILNS1_3genE10ELNS1_11target_archE1201ELNS1_3gpuE5ELNS1_3repE0EEENS1_30default_config_static_selectorELNS0_4arch9wavefront6targetE0EEEvT1_,@function
_ZN7rocprim17ROCPRIM_400000_NS6detail17trampoline_kernelINS0_14default_configENS1_29reduce_by_key_config_selectorIjjN6thrust23THRUST_200600_302600_NS4plusIjEEEEZZNS1_33reduce_by_key_impl_wrapped_configILNS1_25lookback_scan_determinismE0ES3_S9_NS6_6detail15normal_iteratorINS6_10device_ptrIjEEEESG_NS6_16discard_iteratorINS6_11use_defaultEEESG_PmS8_NS6_8equal_toIjEEEE10hipError_tPvRmT2_T3_mT4_T5_T6_T7_T8_P12ihipStream_tbENKUlT_T0_E_clISt17integral_constantIbLb0EES14_EEDaSZ_S10_EUlSZ_E_NS1_11comp_targetILNS1_3genE10ELNS1_11target_archE1201ELNS1_3gpuE5ELNS1_3repE0EEENS1_30default_config_static_selectorELNS0_4arch9wavefront6targetE0EEEvT1_: ; @_ZN7rocprim17ROCPRIM_400000_NS6detail17trampoline_kernelINS0_14default_configENS1_29reduce_by_key_config_selectorIjjN6thrust23THRUST_200600_302600_NS4plusIjEEEEZZNS1_33reduce_by_key_impl_wrapped_configILNS1_25lookback_scan_determinismE0ES3_S9_NS6_6detail15normal_iteratorINS6_10device_ptrIjEEEESG_NS6_16discard_iteratorINS6_11use_defaultEEESG_PmS8_NS6_8equal_toIjEEEE10hipError_tPvRmT2_T3_mT4_T5_T6_T7_T8_P12ihipStream_tbENKUlT_T0_E_clISt17integral_constantIbLb0EES14_EEDaSZ_S10_EUlSZ_E_NS1_11comp_targetILNS1_3genE10ELNS1_11target_archE1201ELNS1_3gpuE5ELNS1_3repE0EEENS1_30default_config_static_selectorELNS0_4arch9wavefront6targetE0EEEvT1_
; %bb.0:
	.section	.rodata,"a",@progbits
	.p2align	6, 0x0
	.amdhsa_kernel _ZN7rocprim17ROCPRIM_400000_NS6detail17trampoline_kernelINS0_14default_configENS1_29reduce_by_key_config_selectorIjjN6thrust23THRUST_200600_302600_NS4plusIjEEEEZZNS1_33reduce_by_key_impl_wrapped_configILNS1_25lookback_scan_determinismE0ES3_S9_NS6_6detail15normal_iteratorINS6_10device_ptrIjEEEESG_NS6_16discard_iteratorINS6_11use_defaultEEESG_PmS8_NS6_8equal_toIjEEEE10hipError_tPvRmT2_T3_mT4_T5_T6_T7_T8_P12ihipStream_tbENKUlT_T0_E_clISt17integral_constantIbLb0EES14_EEDaSZ_S10_EUlSZ_E_NS1_11comp_targetILNS1_3genE10ELNS1_11target_archE1201ELNS1_3gpuE5ELNS1_3repE0EEENS1_30default_config_static_selectorELNS0_4arch9wavefront6targetE0EEEvT1_
		.amdhsa_group_segment_fixed_size 0
		.amdhsa_private_segment_fixed_size 0
		.amdhsa_kernarg_size 128
		.amdhsa_user_sgpr_count 15
		.amdhsa_user_sgpr_dispatch_ptr 0
		.amdhsa_user_sgpr_queue_ptr 0
		.amdhsa_user_sgpr_kernarg_segment_ptr 1
		.amdhsa_user_sgpr_dispatch_id 0
		.amdhsa_user_sgpr_private_segment_size 0
		.amdhsa_wavefront_size32 1
		.amdhsa_uses_dynamic_stack 0
		.amdhsa_enable_private_segment 0
		.amdhsa_system_sgpr_workgroup_id_x 1
		.amdhsa_system_sgpr_workgroup_id_y 0
		.amdhsa_system_sgpr_workgroup_id_z 0
		.amdhsa_system_sgpr_workgroup_info 0
		.amdhsa_system_vgpr_workitem_id 0
		.amdhsa_next_free_vgpr 1
		.amdhsa_next_free_sgpr 1
		.amdhsa_reserve_vcc 0
		.amdhsa_float_round_mode_32 0
		.amdhsa_float_round_mode_16_64 0
		.amdhsa_float_denorm_mode_32 3
		.amdhsa_float_denorm_mode_16_64 3
		.amdhsa_dx10_clamp 1
		.amdhsa_ieee_mode 1
		.amdhsa_fp16_overflow 0
		.amdhsa_workgroup_processor_mode 1
		.amdhsa_memory_ordered 1
		.amdhsa_forward_progress 0
		.amdhsa_shared_vgpr_count 0
		.amdhsa_exception_fp_ieee_invalid_op 0
		.amdhsa_exception_fp_denorm_src 0
		.amdhsa_exception_fp_ieee_div_zero 0
		.amdhsa_exception_fp_ieee_overflow 0
		.amdhsa_exception_fp_ieee_underflow 0
		.amdhsa_exception_fp_ieee_inexact 0
		.amdhsa_exception_int_div_zero 0
	.end_amdhsa_kernel
	.section	.text._ZN7rocprim17ROCPRIM_400000_NS6detail17trampoline_kernelINS0_14default_configENS1_29reduce_by_key_config_selectorIjjN6thrust23THRUST_200600_302600_NS4plusIjEEEEZZNS1_33reduce_by_key_impl_wrapped_configILNS1_25lookback_scan_determinismE0ES3_S9_NS6_6detail15normal_iteratorINS6_10device_ptrIjEEEESG_NS6_16discard_iteratorINS6_11use_defaultEEESG_PmS8_NS6_8equal_toIjEEEE10hipError_tPvRmT2_T3_mT4_T5_T6_T7_T8_P12ihipStream_tbENKUlT_T0_E_clISt17integral_constantIbLb0EES14_EEDaSZ_S10_EUlSZ_E_NS1_11comp_targetILNS1_3genE10ELNS1_11target_archE1201ELNS1_3gpuE5ELNS1_3repE0EEENS1_30default_config_static_selectorELNS0_4arch9wavefront6targetE0EEEvT1_,"axG",@progbits,_ZN7rocprim17ROCPRIM_400000_NS6detail17trampoline_kernelINS0_14default_configENS1_29reduce_by_key_config_selectorIjjN6thrust23THRUST_200600_302600_NS4plusIjEEEEZZNS1_33reduce_by_key_impl_wrapped_configILNS1_25lookback_scan_determinismE0ES3_S9_NS6_6detail15normal_iteratorINS6_10device_ptrIjEEEESG_NS6_16discard_iteratorINS6_11use_defaultEEESG_PmS8_NS6_8equal_toIjEEEE10hipError_tPvRmT2_T3_mT4_T5_T6_T7_T8_P12ihipStream_tbENKUlT_T0_E_clISt17integral_constantIbLb0EES14_EEDaSZ_S10_EUlSZ_E_NS1_11comp_targetILNS1_3genE10ELNS1_11target_archE1201ELNS1_3gpuE5ELNS1_3repE0EEENS1_30default_config_static_selectorELNS0_4arch9wavefront6targetE0EEEvT1_,comdat
.Lfunc_end918:
	.size	_ZN7rocprim17ROCPRIM_400000_NS6detail17trampoline_kernelINS0_14default_configENS1_29reduce_by_key_config_selectorIjjN6thrust23THRUST_200600_302600_NS4plusIjEEEEZZNS1_33reduce_by_key_impl_wrapped_configILNS1_25lookback_scan_determinismE0ES3_S9_NS6_6detail15normal_iteratorINS6_10device_ptrIjEEEESG_NS6_16discard_iteratorINS6_11use_defaultEEESG_PmS8_NS6_8equal_toIjEEEE10hipError_tPvRmT2_T3_mT4_T5_T6_T7_T8_P12ihipStream_tbENKUlT_T0_E_clISt17integral_constantIbLb0EES14_EEDaSZ_S10_EUlSZ_E_NS1_11comp_targetILNS1_3genE10ELNS1_11target_archE1201ELNS1_3gpuE5ELNS1_3repE0EEENS1_30default_config_static_selectorELNS0_4arch9wavefront6targetE0EEEvT1_, .Lfunc_end918-_ZN7rocprim17ROCPRIM_400000_NS6detail17trampoline_kernelINS0_14default_configENS1_29reduce_by_key_config_selectorIjjN6thrust23THRUST_200600_302600_NS4plusIjEEEEZZNS1_33reduce_by_key_impl_wrapped_configILNS1_25lookback_scan_determinismE0ES3_S9_NS6_6detail15normal_iteratorINS6_10device_ptrIjEEEESG_NS6_16discard_iteratorINS6_11use_defaultEEESG_PmS8_NS6_8equal_toIjEEEE10hipError_tPvRmT2_T3_mT4_T5_T6_T7_T8_P12ihipStream_tbENKUlT_T0_E_clISt17integral_constantIbLb0EES14_EEDaSZ_S10_EUlSZ_E_NS1_11comp_targetILNS1_3genE10ELNS1_11target_archE1201ELNS1_3gpuE5ELNS1_3repE0EEENS1_30default_config_static_selectorELNS0_4arch9wavefront6targetE0EEEvT1_
                                        ; -- End function
	.section	.AMDGPU.csdata,"",@progbits
; Kernel info:
; codeLenInByte = 0
; NumSgprs: 0
; NumVgprs: 0
; ScratchSize: 0
; MemoryBound: 0
; FloatMode: 240
; IeeeMode: 1
; LDSByteSize: 0 bytes/workgroup (compile time only)
; SGPRBlocks: 0
; VGPRBlocks: 0
; NumSGPRsForWavesPerEU: 1
; NumVGPRsForWavesPerEU: 1
; Occupancy: 16
; WaveLimiterHint : 0
; COMPUTE_PGM_RSRC2:SCRATCH_EN: 0
; COMPUTE_PGM_RSRC2:USER_SGPR: 15
; COMPUTE_PGM_RSRC2:TRAP_HANDLER: 0
; COMPUTE_PGM_RSRC2:TGID_X_EN: 1
; COMPUTE_PGM_RSRC2:TGID_Y_EN: 0
; COMPUTE_PGM_RSRC2:TGID_Z_EN: 0
; COMPUTE_PGM_RSRC2:TIDIG_COMP_CNT: 0
	.section	.text._ZN7rocprim17ROCPRIM_400000_NS6detail17trampoline_kernelINS0_14default_configENS1_29reduce_by_key_config_selectorIjjN6thrust23THRUST_200600_302600_NS4plusIjEEEEZZNS1_33reduce_by_key_impl_wrapped_configILNS1_25lookback_scan_determinismE0ES3_S9_NS6_6detail15normal_iteratorINS6_10device_ptrIjEEEESG_NS6_16discard_iteratorINS6_11use_defaultEEESG_PmS8_NS6_8equal_toIjEEEE10hipError_tPvRmT2_T3_mT4_T5_T6_T7_T8_P12ihipStream_tbENKUlT_T0_E_clISt17integral_constantIbLb0EES14_EEDaSZ_S10_EUlSZ_E_NS1_11comp_targetILNS1_3genE10ELNS1_11target_archE1200ELNS1_3gpuE4ELNS1_3repE0EEENS1_30default_config_static_selectorELNS0_4arch9wavefront6targetE0EEEvT1_,"axG",@progbits,_ZN7rocprim17ROCPRIM_400000_NS6detail17trampoline_kernelINS0_14default_configENS1_29reduce_by_key_config_selectorIjjN6thrust23THRUST_200600_302600_NS4plusIjEEEEZZNS1_33reduce_by_key_impl_wrapped_configILNS1_25lookback_scan_determinismE0ES3_S9_NS6_6detail15normal_iteratorINS6_10device_ptrIjEEEESG_NS6_16discard_iteratorINS6_11use_defaultEEESG_PmS8_NS6_8equal_toIjEEEE10hipError_tPvRmT2_T3_mT4_T5_T6_T7_T8_P12ihipStream_tbENKUlT_T0_E_clISt17integral_constantIbLb0EES14_EEDaSZ_S10_EUlSZ_E_NS1_11comp_targetILNS1_3genE10ELNS1_11target_archE1200ELNS1_3gpuE4ELNS1_3repE0EEENS1_30default_config_static_selectorELNS0_4arch9wavefront6targetE0EEEvT1_,comdat
	.protected	_ZN7rocprim17ROCPRIM_400000_NS6detail17trampoline_kernelINS0_14default_configENS1_29reduce_by_key_config_selectorIjjN6thrust23THRUST_200600_302600_NS4plusIjEEEEZZNS1_33reduce_by_key_impl_wrapped_configILNS1_25lookback_scan_determinismE0ES3_S9_NS6_6detail15normal_iteratorINS6_10device_ptrIjEEEESG_NS6_16discard_iteratorINS6_11use_defaultEEESG_PmS8_NS6_8equal_toIjEEEE10hipError_tPvRmT2_T3_mT4_T5_T6_T7_T8_P12ihipStream_tbENKUlT_T0_E_clISt17integral_constantIbLb0EES14_EEDaSZ_S10_EUlSZ_E_NS1_11comp_targetILNS1_3genE10ELNS1_11target_archE1200ELNS1_3gpuE4ELNS1_3repE0EEENS1_30default_config_static_selectorELNS0_4arch9wavefront6targetE0EEEvT1_ ; -- Begin function _ZN7rocprim17ROCPRIM_400000_NS6detail17trampoline_kernelINS0_14default_configENS1_29reduce_by_key_config_selectorIjjN6thrust23THRUST_200600_302600_NS4plusIjEEEEZZNS1_33reduce_by_key_impl_wrapped_configILNS1_25lookback_scan_determinismE0ES3_S9_NS6_6detail15normal_iteratorINS6_10device_ptrIjEEEESG_NS6_16discard_iteratorINS6_11use_defaultEEESG_PmS8_NS6_8equal_toIjEEEE10hipError_tPvRmT2_T3_mT4_T5_T6_T7_T8_P12ihipStream_tbENKUlT_T0_E_clISt17integral_constantIbLb0EES14_EEDaSZ_S10_EUlSZ_E_NS1_11comp_targetILNS1_3genE10ELNS1_11target_archE1200ELNS1_3gpuE4ELNS1_3repE0EEENS1_30default_config_static_selectorELNS0_4arch9wavefront6targetE0EEEvT1_
	.globl	_ZN7rocprim17ROCPRIM_400000_NS6detail17trampoline_kernelINS0_14default_configENS1_29reduce_by_key_config_selectorIjjN6thrust23THRUST_200600_302600_NS4plusIjEEEEZZNS1_33reduce_by_key_impl_wrapped_configILNS1_25lookback_scan_determinismE0ES3_S9_NS6_6detail15normal_iteratorINS6_10device_ptrIjEEEESG_NS6_16discard_iteratorINS6_11use_defaultEEESG_PmS8_NS6_8equal_toIjEEEE10hipError_tPvRmT2_T3_mT4_T5_T6_T7_T8_P12ihipStream_tbENKUlT_T0_E_clISt17integral_constantIbLb0EES14_EEDaSZ_S10_EUlSZ_E_NS1_11comp_targetILNS1_3genE10ELNS1_11target_archE1200ELNS1_3gpuE4ELNS1_3repE0EEENS1_30default_config_static_selectorELNS0_4arch9wavefront6targetE0EEEvT1_
	.p2align	8
	.type	_ZN7rocprim17ROCPRIM_400000_NS6detail17trampoline_kernelINS0_14default_configENS1_29reduce_by_key_config_selectorIjjN6thrust23THRUST_200600_302600_NS4plusIjEEEEZZNS1_33reduce_by_key_impl_wrapped_configILNS1_25lookback_scan_determinismE0ES3_S9_NS6_6detail15normal_iteratorINS6_10device_ptrIjEEEESG_NS6_16discard_iteratorINS6_11use_defaultEEESG_PmS8_NS6_8equal_toIjEEEE10hipError_tPvRmT2_T3_mT4_T5_T6_T7_T8_P12ihipStream_tbENKUlT_T0_E_clISt17integral_constantIbLb0EES14_EEDaSZ_S10_EUlSZ_E_NS1_11comp_targetILNS1_3genE10ELNS1_11target_archE1200ELNS1_3gpuE4ELNS1_3repE0EEENS1_30default_config_static_selectorELNS0_4arch9wavefront6targetE0EEEvT1_,@function
_ZN7rocprim17ROCPRIM_400000_NS6detail17trampoline_kernelINS0_14default_configENS1_29reduce_by_key_config_selectorIjjN6thrust23THRUST_200600_302600_NS4plusIjEEEEZZNS1_33reduce_by_key_impl_wrapped_configILNS1_25lookback_scan_determinismE0ES3_S9_NS6_6detail15normal_iteratorINS6_10device_ptrIjEEEESG_NS6_16discard_iteratorINS6_11use_defaultEEESG_PmS8_NS6_8equal_toIjEEEE10hipError_tPvRmT2_T3_mT4_T5_T6_T7_T8_P12ihipStream_tbENKUlT_T0_E_clISt17integral_constantIbLb0EES14_EEDaSZ_S10_EUlSZ_E_NS1_11comp_targetILNS1_3genE10ELNS1_11target_archE1200ELNS1_3gpuE4ELNS1_3repE0EEENS1_30default_config_static_selectorELNS0_4arch9wavefront6targetE0EEEvT1_: ; @_ZN7rocprim17ROCPRIM_400000_NS6detail17trampoline_kernelINS0_14default_configENS1_29reduce_by_key_config_selectorIjjN6thrust23THRUST_200600_302600_NS4plusIjEEEEZZNS1_33reduce_by_key_impl_wrapped_configILNS1_25lookback_scan_determinismE0ES3_S9_NS6_6detail15normal_iteratorINS6_10device_ptrIjEEEESG_NS6_16discard_iteratorINS6_11use_defaultEEESG_PmS8_NS6_8equal_toIjEEEE10hipError_tPvRmT2_T3_mT4_T5_T6_T7_T8_P12ihipStream_tbENKUlT_T0_E_clISt17integral_constantIbLb0EES14_EEDaSZ_S10_EUlSZ_E_NS1_11comp_targetILNS1_3genE10ELNS1_11target_archE1200ELNS1_3gpuE4ELNS1_3repE0EEENS1_30default_config_static_selectorELNS0_4arch9wavefront6targetE0EEEvT1_
; %bb.0:
	.section	.rodata,"a",@progbits
	.p2align	6, 0x0
	.amdhsa_kernel _ZN7rocprim17ROCPRIM_400000_NS6detail17trampoline_kernelINS0_14default_configENS1_29reduce_by_key_config_selectorIjjN6thrust23THRUST_200600_302600_NS4plusIjEEEEZZNS1_33reduce_by_key_impl_wrapped_configILNS1_25lookback_scan_determinismE0ES3_S9_NS6_6detail15normal_iteratorINS6_10device_ptrIjEEEESG_NS6_16discard_iteratorINS6_11use_defaultEEESG_PmS8_NS6_8equal_toIjEEEE10hipError_tPvRmT2_T3_mT4_T5_T6_T7_T8_P12ihipStream_tbENKUlT_T0_E_clISt17integral_constantIbLb0EES14_EEDaSZ_S10_EUlSZ_E_NS1_11comp_targetILNS1_3genE10ELNS1_11target_archE1200ELNS1_3gpuE4ELNS1_3repE0EEENS1_30default_config_static_selectorELNS0_4arch9wavefront6targetE0EEEvT1_
		.amdhsa_group_segment_fixed_size 0
		.amdhsa_private_segment_fixed_size 0
		.amdhsa_kernarg_size 128
		.amdhsa_user_sgpr_count 15
		.amdhsa_user_sgpr_dispatch_ptr 0
		.amdhsa_user_sgpr_queue_ptr 0
		.amdhsa_user_sgpr_kernarg_segment_ptr 1
		.amdhsa_user_sgpr_dispatch_id 0
		.amdhsa_user_sgpr_private_segment_size 0
		.amdhsa_wavefront_size32 1
		.amdhsa_uses_dynamic_stack 0
		.amdhsa_enable_private_segment 0
		.amdhsa_system_sgpr_workgroup_id_x 1
		.amdhsa_system_sgpr_workgroup_id_y 0
		.amdhsa_system_sgpr_workgroup_id_z 0
		.amdhsa_system_sgpr_workgroup_info 0
		.amdhsa_system_vgpr_workitem_id 0
		.amdhsa_next_free_vgpr 1
		.amdhsa_next_free_sgpr 1
		.amdhsa_reserve_vcc 0
		.amdhsa_float_round_mode_32 0
		.amdhsa_float_round_mode_16_64 0
		.amdhsa_float_denorm_mode_32 3
		.amdhsa_float_denorm_mode_16_64 3
		.amdhsa_dx10_clamp 1
		.amdhsa_ieee_mode 1
		.amdhsa_fp16_overflow 0
		.amdhsa_workgroup_processor_mode 1
		.amdhsa_memory_ordered 1
		.amdhsa_forward_progress 0
		.amdhsa_shared_vgpr_count 0
		.amdhsa_exception_fp_ieee_invalid_op 0
		.amdhsa_exception_fp_denorm_src 0
		.amdhsa_exception_fp_ieee_div_zero 0
		.amdhsa_exception_fp_ieee_overflow 0
		.amdhsa_exception_fp_ieee_underflow 0
		.amdhsa_exception_fp_ieee_inexact 0
		.amdhsa_exception_int_div_zero 0
	.end_amdhsa_kernel
	.section	.text._ZN7rocprim17ROCPRIM_400000_NS6detail17trampoline_kernelINS0_14default_configENS1_29reduce_by_key_config_selectorIjjN6thrust23THRUST_200600_302600_NS4plusIjEEEEZZNS1_33reduce_by_key_impl_wrapped_configILNS1_25lookback_scan_determinismE0ES3_S9_NS6_6detail15normal_iteratorINS6_10device_ptrIjEEEESG_NS6_16discard_iteratorINS6_11use_defaultEEESG_PmS8_NS6_8equal_toIjEEEE10hipError_tPvRmT2_T3_mT4_T5_T6_T7_T8_P12ihipStream_tbENKUlT_T0_E_clISt17integral_constantIbLb0EES14_EEDaSZ_S10_EUlSZ_E_NS1_11comp_targetILNS1_3genE10ELNS1_11target_archE1200ELNS1_3gpuE4ELNS1_3repE0EEENS1_30default_config_static_selectorELNS0_4arch9wavefront6targetE0EEEvT1_,"axG",@progbits,_ZN7rocprim17ROCPRIM_400000_NS6detail17trampoline_kernelINS0_14default_configENS1_29reduce_by_key_config_selectorIjjN6thrust23THRUST_200600_302600_NS4plusIjEEEEZZNS1_33reduce_by_key_impl_wrapped_configILNS1_25lookback_scan_determinismE0ES3_S9_NS6_6detail15normal_iteratorINS6_10device_ptrIjEEEESG_NS6_16discard_iteratorINS6_11use_defaultEEESG_PmS8_NS6_8equal_toIjEEEE10hipError_tPvRmT2_T3_mT4_T5_T6_T7_T8_P12ihipStream_tbENKUlT_T0_E_clISt17integral_constantIbLb0EES14_EEDaSZ_S10_EUlSZ_E_NS1_11comp_targetILNS1_3genE10ELNS1_11target_archE1200ELNS1_3gpuE4ELNS1_3repE0EEENS1_30default_config_static_selectorELNS0_4arch9wavefront6targetE0EEEvT1_,comdat
.Lfunc_end919:
	.size	_ZN7rocprim17ROCPRIM_400000_NS6detail17trampoline_kernelINS0_14default_configENS1_29reduce_by_key_config_selectorIjjN6thrust23THRUST_200600_302600_NS4plusIjEEEEZZNS1_33reduce_by_key_impl_wrapped_configILNS1_25lookback_scan_determinismE0ES3_S9_NS6_6detail15normal_iteratorINS6_10device_ptrIjEEEESG_NS6_16discard_iteratorINS6_11use_defaultEEESG_PmS8_NS6_8equal_toIjEEEE10hipError_tPvRmT2_T3_mT4_T5_T6_T7_T8_P12ihipStream_tbENKUlT_T0_E_clISt17integral_constantIbLb0EES14_EEDaSZ_S10_EUlSZ_E_NS1_11comp_targetILNS1_3genE10ELNS1_11target_archE1200ELNS1_3gpuE4ELNS1_3repE0EEENS1_30default_config_static_selectorELNS0_4arch9wavefront6targetE0EEEvT1_, .Lfunc_end919-_ZN7rocprim17ROCPRIM_400000_NS6detail17trampoline_kernelINS0_14default_configENS1_29reduce_by_key_config_selectorIjjN6thrust23THRUST_200600_302600_NS4plusIjEEEEZZNS1_33reduce_by_key_impl_wrapped_configILNS1_25lookback_scan_determinismE0ES3_S9_NS6_6detail15normal_iteratorINS6_10device_ptrIjEEEESG_NS6_16discard_iteratorINS6_11use_defaultEEESG_PmS8_NS6_8equal_toIjEEEE10hipError_tPvRmT2_T3_mT4_T5_T6_T7_T8_P12ihipStream_tbENKUlT_T0_E_clISt17integral_constantIbLb0EES14_EEDaSZ_S10_EUlSZ_E_NS1_11comp_targetILNS1_3genE10ELNS1_11target_archE1200ELNS1_3gpuE4ELNS1_3repE0EEENS1_30default_config_static_selectorELNS0_4arch9wavefront6targetE0EEEvT1_
                                        ; -- End function
	.section	.AMDGPU.csdata,"",@progbits
; Kernel info:
; codeLenInByte = 0
; NumSgprs: 0
; NumVgprs: 0
; ScratchSize: 0
; MemoryBound: 0
; FloatMode: 240
; IeeeMode: 1
; LDSByteSize: 0 bytes/workgroup (compile time only)
; SGPRBlocks: 0
; VGPRBlocks: 0
; NumSGPRsForWavesPerEU: 1
; NumVGPRsForWavesPerEU: 1
; Occupancy: 16
; WaveLimiterHint : 0
; COMPUTE_PGM_RSRC2:SCRATCH_EN: 0
; COMPUTE_PGM_RSRC2:USER_SGPR: 15
; COMPUTE_PGM_RSRC2:TRAP_HANDLER: 0
; COMPUTE_PGM_RSRC2:TGID_X_EN: 1
; COMPUTE_PGM_RSRC2:TGID_Y_EN: 0
; COMPUTE_PGM_RSRC2:TGID_Z_EN: 0
; COMPUTE_PGM_RSRC2:TIDIG_COMP_CNT: 0
	.section	.text._ZN7rocprim17ROCPRIM_400000_NS6detail17trampoline_kernelINS0_14default_configENS1_29reduce_by_key_config_selectorIjjN6thrust23THRUST_200600_302600_NS4plusIjEEEEZZNS1_33reduce_by_key_impl_wrapped_configILNS1_25lookback_scan_determinismE0ES3_S9_NS6_6detail15normal_iteratorINS6_10device_ptrIjEEEESG_NS6_16discard_iteratorINS6_11use_defaultEEESG_PmS8_NS6_8equal_toIjEEEE10hipError_tPvRmT2_T3_mT4_T5_T6_T7_T8_P12ihipStream_tbENKUlT_T0_E_clISt17integral_constantIbLb0EES14_EEDaSZ_S10_EUlSZ_E_NS1_11comp_targetILNS1_3genE9ELNS1_11target_archE1100ELNS1_3gpuE3ELNS1_3repE0EEENS1_30default_config_static_selectorELNS0_4arch9wavefront6targetE0EEEvT1_,"axG",@progbits,_ZN7rocprim17ROCPRIM_400000_NS6detail17trampoline_kernelINS0_14default_configENS1_29reduce_by_key_config_selectorIjjN6thrust23THRUST_200600_302600_NS4plusIjEEEEZZNS1_33reduce_by_key_impl_wrapped_configILNS1_25lookback_scan_determinismE0ES3_S9_NS6_6detail15normal_iteratorINS6_10device_ptrIjEEEESG_NS6_16discard_iteratorINS6_11use_defaultEEESG_PmS8_NS6_8equal_toIjEEEE10hipError_tPvRmT2_T3_mT4_T5_T6_T7_T8_P12ihipStream_tbENKUlT_T0_E_clISt17integral_constantIbLb0EES14_EEDaSZ_S10_EUlSZ_E_NS1_11comp_targetILNS1_3genE9ELNS1_11target_archE1100ELNS1_3gpuE3ELNS1_3repE0EEENS1_30default_config_static_selectorELNS0_4arch9wavefront6targetE0EEEvT1_,comdat
	.protected	_ZN7rocprim17ROCPRIM_400000_NS6detail17trampoline_kernelINS0_14default_configENS1_29reduce_by_key_config_selectorIjjN6thrust23THRUST_200600_302600_NS4plusIjEEEEZZNS1_33reduce_by_key_impl_wrapped_configILNS1_25lookback_scan_determinismE0ES3_S9_NS6_6detail15normal_iteratorINS6_10device_ptrIjEEEESG_NS6_16discard_iteratorINS6_11use_defaultEEESG_PmS8_NS6_8equal_toIjEEEE10hipError_tPvRmT2_T3_mT4_T5_T6_T7_T8_P12ihipStream_tbENKUlT_T0_E_clISt17integral_constantIbLb0EES14_EEDaSZ_S10_EUlSZ_E_NS1_11comp_targetILNS1_3genE9ELNS1_11target_archE1100ELNS1_3gpuE3ELNS1_3repE0EEENS1_30default_config_static_selectorELNS0_4arch9wavefront6targetE0EEEvT1_ ; -- Begin function _ZN7rocprim17ROCPRIM_400000_NS6detail17trampoline_kernelINS0_14default_configENS1_29reduce_by_key_config_selectorIjjN6thrust23THRUST_200600_302600_NS4plusIjEEEEZZNS1_33reduce_by_key_impl_wrapped_configILNS1_25lookback_scan_determinismE0ES3_S9_NS6_6detail15normal_iteratorINS6_10device_ptrIjEEEESG_NS6_16discard_iteratorINS6_11use_defaultEEESG_PmS8_NS6_8equal_toIjEEEE10hipError_tPvRmT2_T3_mT4_T5_T6_T7_T8_P12ihipStream_tbENKUlT_T0_E_clISt17integral_constantIbLb0EES14_EEDaSZ_S10_EUlSZ_E_NS1_11comp_targetILNS1_3genE9ELNS1_11target_archE1100ELNS1_3gpuE3ELNS1_3repE0EEENS1_30default_config_static_selectorELNS0_4arch9wavefront6targetE0EEEvT1_
	.globl	_ZN7rocprim17ROCPRIM_400000_NS6detail17trampoline_kernelINS0_14default_configENS1_29reduce_by_key_config_selectorIjjN6thrust23THRUST_200600_302600_NS4plusIjEEEEZZNS1_33reduce_by_key_impl_wrapped_configILNS1_25lookback_scan_determinismE0ES3_S9_NS6_6detail15normal_iteratorINS6_10device_ptrIjEEEESG_NS6_16discard_iteratorINS6_11use_defaultEEESG_PmS8_NS6_8equal_toIjEEEE10hipError_tPvRmT2_T3_mT4_T5_T6_T7_T8_P12ihipStream_tbENKUlT_T0_E_clISt17integral_constantIbLb0EES14_EEDaSZ_S10_EUlSZ_E_NS1_11comp_targetILNS1_3genE9ELNS1_11target_archE1100ELNS1_3gpuE3ELNS1_3repE0EEENS1_30default_config_static_selectorELNS0_4arch9wavefront6targetE0EEEvT1_
	.p2align	8
	.type	_ZN7rocprim17ROCPRIM_400000_NS6detail17trampoline_kernelINS0_14default_configENS1_29reduce_by_key_config_selectorIjjN6thrust23THRUST_200600_302600_NS4plusIjEEEEZZNS1_33reduce_by_key_impl_wrapped_configILNS1_25lookback_scan_determinismE0ES3_S9_NS6_6detail15normal_iteratorINS6_10device_ptrIjEEEESG_NS6_16discard_iteratorINS6_11use_defaultEEESG_PmS8_NS6_8equal_toIjEEEE10hipError_tPvRmT2_T3_mT4_T5_T6_T7_T8_P12ihipStream_tbENKUlT_T0_E_clISt17integral_constantIbLb0EES14_EEDaSZ_S10_EUlSZ_E_NS1_11comp_targetILNS1_3genE9ELNS1_11target_archE1100ELNS1_3gpuE3ELNS1_3repE0EEENS1_30default_config_static_selectorELNS0_4arch9wavefront6targetE0EEEvT1_,@function
_ZN7rocprim17ROCPRIM_400000_NS6detail17trampoline_kernelINS0_14default_configENS1_29reduce_by_key_config_selectorIjjN6thrust23THRUST_200600_302600_NS4plusIjEEEEZZNS1_33reduce_by_key_impl_wrapped_configILNS1_25lookback_scan_determinismE0ES3_S9_NS6_6detail15normal_iteratorINS6_10device_ptrIjEEEESG_NS6_16discard_iteratorINS6_11use_defaultEEESG_PmS8_NS6_8equal_toIjEEEE10hipError_tPvRmT2_T3_mT4_T5_T6_T7_T8_P12ihipStream_tbENKUlT_T0_E_clISt17integral_constantIbLb0EES14_EEDaSZ_S10_EUlSZ_E_NS1_11comp_targetILNS1_3genE9ELNS1_11target_archE1100ELNS1_3gpuE3ELNS1_3repE0EEENS1_30default_config_static_selectorELNS0_4arch9wavefront6targetE0EEEvT1_: ; @_ZN7rocprim17ROCPRIM_400000_NS6detail17trampoline_kernelINS0_14default_configENS1_29reduce_by_key_config_selectorIjjN6thrust23THRUST_200600_302600_NS4plusIjEEEEZZNS1_33reduce_by_key_impl_wrapped_configILNS1_25lookback_scan_determinismE0ES3_S9_NS6_6detail15normal_iteratorINS6_10device_ptrIjEEEESG_NS6_16discard_iteratorINS6_11use_defaultEEESG_PmS8_NS6_8equal_toIjEEEE10hipError_tPvRmT2_T3_mT4_T5_T6_T7_T8_P12ihipStream_tbENKUlT_T0_E_clISt17integral_constantIbLb0EES14_EEDaSZ_S10_EUlSZ_E_NS1_11comp_targetILNS1_3genE9ELNS1_11target_archE1100ELNS1_3gpuE3ELNS1_3repE0EEENS1_30default_config_static_selectorELNS0_4arch9wavefront6targetE0EEEvT1_
; %bb.0:
	s_clause 0x4
	s_load_b128 s[4:7], s[0:1], 0x0
	s_load_b256 s[20:27], s[0:1], 0x40
	s_load_b64 s[8:9], s[0:1], 0x10
	s_load_b64 s[18:19], s[0:1], 0x70
	s_load_b128 s[28:31], s[0:1], 0x60
	s_mov_b32 s3, 0
	s_mul_i32 s2, s15, 0xf00
	s_waitcnt lgkmcnt(0)
	s_lshl_b64 s[6:7], s[6:7], 2
	s_mul_i32 s10, s24, s23
	s_add_u32 s14, s4, s6
	s_mul_hi_u32 s11, s24, s22
	s_addc_u32 s16, s5, s7
	s_add_u32 s6, s8, s6
	s_mul_i32 s12, s25, s22
	s_addc_u32 s7, s9, s7
	s_add_i32 s8, s11, s10
	s_lshl_b64 s[4:5], s[2:3], 2
	s_add_i32 s8, s8, s12
	s_add_u32 s38, s14, s4
	s_addc_u32 s37, s16, s5
	s_mul_i32 s13, s24, s22
	s_add_u32 s24, s6, s4
	s_addc_u32 s25, s7, s5
	s_add_u32 s34, s13, s15
	s_addc_u32 s35, s8, 0
	s_add_u32 s4, s26, -1
	s_addc_u32 s5, s27, -1
	s_mul_i32 s33, s4, 0xfffff100
	s_cmp_eq_u64 s[34:35], s[4:5]
	s_cselect_b32 s17, -1, 0
	s_cmp_lg_u64 s[34:35], s[4:5]
	s_cselect_b32 s39, -1, 0
	s_and_b32 vcc_lo, exec_lo, s17
	s_cbranch_vccnz .LBB920_2
; %bb.1:
	v_lshlrev_b32_e32 v8, 2, v0
	s_delay_alu instid0(VALU_DEP_1) | instskip(NEXT) | instid1(VALU_DEP_1)
	v_add_co_u32 v1, s2, s38, v8
	v_add_co_ci_u32_e64 v2, null, s37, 0, s2
	s_delay_alu instid0(VALU_DEP_2) | instskip(NEXT) | instid1(VALU_DEP_2)
	v_add_co_u32 v3, vcc_lo, 0x1000, v1
	v_add_co_ci_u32_e32 v4, vcc_lo, 0, v2, vcc_lo
	s_clause 0x7
	flat_load_b32 v9, v[1:2]
	flat_load_b32 v10, v[1:2] offset:1024
	flat_load_b32 v11, v[1:2] offset:2048
	;; [unrolled: 1-line block ×3, first 2 shown]
	flat_load_b32 v13, v[3:4]
	flat_load_b32 v14, v[3:4] offset:1024
	flat_load_b32 v15, v[3:4] offset:2048
	;; [unrolled: 1-line block ×3, first 2 shown]
	v_add_co_u32 v3, vcc_lo, 0x2000, v1
	v_add_co_ci_u32_e32 v4, vcc_lo, 0, v2, vcc_lo
	v_add_co_u32 v1, vcc_lo, 0x3000, v1
	v_add_co_ci_u32_e32 v2, vcc_lo, 0, v2, vcc_lo
	s_clause 0x6
	flat_load_b32 v17, v[3:4]
	flat_load_b32 v18, v[3:4] offset:1024
	flat_load_b32 v19, v[3:4] offset:2048
	;; [unrolled: 1-line block ×3, first 2 shown]
	flat_load_b32 v21, v[1:2]
	flat_load_b32 v22, v[1:2] offset:1024
	flat_load_b32 v25, v[1:2] offset:2048
	v_add_co_u32 v2, s2, s24, v8
	s_delay_alu instid0(VALU_DEP_1) | instskip(SKIP_1) | instid1(VALU_DEP_3)
	v_add_co_ci_u32_e64 v3, null, s25, 0, s2
	v_mad_u32_u24 v1, v0, 56, v8
	v_add_co_u32 v4, vcc_lo, 0x1000, v2
	s_delay_alu instid0(VALU_DEP_3)
	v_add_co_ci_u32_e32 v5, vcc_lo, 0, v3, vcc_lo
	v_add_co_u32 v6, vcc_lo, 0x2000, v2
	v_add_co_ci_u32_e32 v7, vcc_lo, 0, v3, vcc_lo
	v_add_co_u32 v23, vcc_lo, 0x3000, v2
	v_add_co_ci_u32_e32 v24, vcc_lo, 0, v3, vcc_lo
	s_waitcnt vmcnt(13) lgkmcnt(13)
	ds_store_2addr_stride64_b32 v8, v9, v10 offset1:4
	s_waitcnt vmcnt(11) lgkmcnt(12)
	ds_store_2addr_stride64_b32 v8, v11, v12 offset0:8 offset1:12
	s_waitcnt vmcnt(9) lgkmcnt(11)
	ds_store_2addr_stride64_b32 v8, v13, v14 offset0:16 offset1:20
	;; [unrolled: 2-line block ×6, first 2 shown]
	s_waitcnt vmcnt(0) lgkmcnt(7)
	ds_store_b32 v8, v25 offset:14336
	s_waitcnt lgkmcnt(0)
	s_barrier
	buffer_gl0_inv
	ds_load_2addr_b32 v[21:22], v1 offset1:1
	ds_load_2addr_b32 v[19:20], v1 offset0:2 offset1:3
	ds_load_2addr_b32 v[17:18], v1 offset0:4 offset1:5
	;; [unrolled: 1-line block ×6, first 2 shown]
	ds_load_b32 v63, v1 offset:56
	s_waitcnt lgkmcnt(0)
	s_barrier
	buffer_gl0_inv
	s_clause 0xe
	flat_load_b32 v25, v[2:3]
	flat_load_b32 v26, v[2:3] offset:1024
	flat_load_b32 v27, v[2:3] offset:2048
	flat_load_b32 v2, v[2:3] offset:3072
	flat_load_b32 v3, v[4:5]
	flat_load_b32 v28, v[4:5] offset:1024
	flat_load_b32 v29, v[4:5] offset:2048
	flat_load_b32 v4, v[4:5] offset:3072
	;; [unrolled: 4-line block ×3, first 2 shown]
	flat_load_b32 v7, v[23:24]
	flat_load_b32 v32, v[23:24] offset:1024
	flat_load_b32 v23, v[23:24] offset:2048
	s_waitcnt vmcnt(13) lgkmcnt(13)
	ds_store_2addr_stride64_b32 v8, v25, v26 offset1:4
	s_waitcnt vmcnt(11) lgkmcnt(12)
	ds_store_2addr_stride64_b32 v8, v27, v2 offset0:8 offset1:12
	s_waitcnt vmcnt(9) lgkmcnt(11)
	ds_store_2addr_stride64_b32 v8, v3, v28 offset0:16 offset1:20
	;; [unrolled: 2-line block ×6, first 2 shown]
	s_waitcnt vmcnt(0) lgkmcnt(7)
	ds_store_b32 v8, v23 offset:14336
	s_waitcnt lgkmcnt(0)
	s_barrier
	s_and_not1_b32 vcc_lo, exec_lo, s3
	s_add_i32 s33, s33, s28
	s_cbranch_vccz .LBB920_3
	s_branch .LBB920_50
.LBB920_2:
                                        ; implicit-def: $vgpr1
                                        ; implicit-def: $vgpr21
                                        ; implicit-def: $vgpr19
                                        ; implicit-def: $vgpr17
                                        ; implicit-def: $vgpr15
                                        ; implicit-def: $vgpr13
                                        ; implicit-def: $vgpr11
                                        ; implicit-def: $vgpr9
                                        ; implicit-def: $vgpr63
	s_add_i32 s33, s33, s28
.LBB920_3:
	s_delay_alu instid0(SALU_CYCLE_1)
	v_cmp_gt_u32_e32 vcc_lo, s33, v0
                                        ; implicit-def: $vgpr1
	s_and_saveexec_b32 s2, vcc_lo
	s_cbranch_execz .LBB920_5
; %bb.4:
	v_lshlrev_b32_e32 v1, 2, v0
	s_delay_alu instid0(VALU_DEP_1) | instskip(NEXT) | instid1(VALU_DEP_1)
	v_add_co_u32 v1, s3, s38, v1
	v_add_co_ci_u32_e64 v2, null, s37, 0, s3
	flat_load_b32 v1, v[1:2]
.LBB920_5:
	s_or_b32 exec_lo, exec_lo, s2
	v_or_b32_e32 v2, 0x100, v0
                                        ; implicit-def: $vgpr9
	s_delay_alu instid0(VALU_DEP_1) | instskip(NEXT) | instid1(VALU_DEP_1)
	v_cmp_gt_u32_e64 s2, s33, v2
	s_and_saveexec_b32 s3, s2
	s_cbranch_execz .LBB920_7
; %bb.6:
	v_lshlrev_b32_e32 v2, 2, v0
	s_delay_alu instid0(VALU_DEP_1) | instskip(NEXT) | instid1(VALU_DEP_1)
	v_add_co_u32 v2, s4, s38, v2
	v_add_co_ci_u32_e64 v3, null, s37, 0, s4
	flat_load_b32 v9, v[2:3] offset:1024
.LBB920_7:
	s_or_b32 exec_lo, exec_lo, s3
	v_or_b32_e32 v2, 0x200, v0
                                        ; implicit-def: $vgpr10
	s_delay_alu instid0(VALU_DEP_1) | instskip(NEXT) | instid1(VALU_DEP_1)
	v_cmp_gt_u32_e64 s3, s33, v2
	s_and_saveexec_b32 s4, s3
	s_cbranch_execz .LBB920_9
; %bb.8:
	v_lshlrev_b32_e32 v2, 2, v0
	s_delay_alu instid0(VALU_DEP_1) | instskip(NEXT) | instid1(VALU_DEP_1)
	v_add_co_u32 v2, s5, s38, v2
	v_add_co_ci_u32_e64 v3, null, s37, 0, s5
	flat_load_b32 v10, v[2:3] offset:2048
.LBB920_9:
	s_or_b32 exec_lo, exec_lo, s4
	v_or_b32_e32 v2, 0x300, v0
                                        ; implicit-def: $vgpr11
	s_delay_alu instid0(VALU_DEP_1) | instskip(NEXT) | instid1(VALU_DEP_1)
	v_cmp_gt_u32_e64 s4, s33, v2
	s_and_saveexec_b32 s5, s4
	s_cbranch_execz .LBB920_11
; %bb.10:
	v_lshlrev_b32_e32 v2, 2, v0
	s_delay_alu instid0(VALU_DEP_1) | instskip(NEXT) | instid1(VALU_DEP_1)
	v_add_co_u32 v2, s6, s38, v2
	v_add_co_ci_u32_e64 v3, null, s37, 0, s6
	flat_load_b32 v11, v[2:3] offset:3072
.LBB920_11:
	s_or_b32 exec_lo, exec_lo, s5
	v_or_b32_e32 v2, 0x400, v0
                                        ; implicit-def: $vgpr12
	s_delay_alu instid0(VALU_DEP_1) | instskip(SKIP_1) | instid1(VALU_DEP_2)
	v_cmp_gt_u32_e64 s5, s33, v2
	v_lshlrev_b32_e32 v2, 2, v2
	s_and_saveexec_b32 s6, s5
	s_cbranch_execz .LBB920_13
; %bb.12:
	s_delay_alu instid0(VALU_DEP_1) | instskip(NEXT) | instid1(VALU_DEP_1)
	v_add_co_u32 v3, s7, s38, v2
	v_add_co_ci_u32_e64 v4, null, s37, 0, s7
	flat_load_b32 v12, v[3:4]
.LBB920_13:
	s_or_b32 exec_lo, exec_lo, s6
	v_or_b32_e32 v3, 0x500, v0
                                        ; implicit-def: $vgpr13
	s_delay_alu instid0(VALU_DEP_1) | instskip(SKIP_1) | instid1(VALU_DEP_2)
	v_cmp_gt_u32_e64 s6, s33, v3
	v_lshlrev_b32_e32 v3, 2, v3
	s_and_saveexec_b32 s7, s6
	s_cbranch_execz .LBB920_15
; %bb.14:
	s_delay_alu instid0(VALU_DEP_1) | instskip(NEXT) | instid1(VALU_DEP_1)
	v_add_co_u32 v4, s8, s38, v3
	v_add_co_ci_u32_e64 v5, null, s37, 0, s8
	flat_load_b32 v13, v[4:5]
.LBB920_15:
	s_or_b32 exec_lo, exec_lo, s7
	v_or_b32_e32 v4, 0x600, v0
                                        ; implicit-def: $vgpr14
	s_delay_alu instid0(VALU_DEP_1) | instskip(SKIP_1) | instid1(VALU_DEP_2)
	v_cmp_gt_u32_e64 s7, s33, v4
	v_lshlrev_b32_e32 v4, 2, v4
	s_and_saveexec_b32 s8, s7
	s_cbranch_execz .LBB920_17
; %bb.16:
	s_delay_alu instid0(VALU_DEP_1) | instskip(NEXT) | instid1(VALU_DEP_1)
	v_add_co_u32 v5, s9, s38, v4
	v_add_co_ci_u32_e64 v6, null, s37, 0, s9
	flat_load_b32 v14, v[5:6]
.LBB920_17:
	s_or_b32 exec_lo, exec_lo, s8
	v_or_b32_e32 v5, 0x700, v0
                                        ; implicit-def: $vgpr15
	s_delay_alu instid0(VALU_DEP_1) | instskip(SKIP_1) | instid1(VALU_DEP_2)
	v_cmp_gt_u32_e64 s8, s33, v5
	v_lshlrev_b32_e32 v5, 2, v5
	s_and_saveexec_b32 s9, s8
	s_cbranch_execz .LBB920_19
; %bb.18:
	s_delay_alu instid0(VALU_DEP_1) | instskip(NEXT) | instid1(VALU_DEP_1)
	v_add_co_u32 v6, s10, s38, v5
	v_add_co_ci_u32_e64 v7, null, s37, 0, s10
	flat_load_b32 v15, v[6:7]
.LBB920_19:
	s_or_b32 exec_lo, exec_lo, s9
	v_or_b32_e32 v6, 0x800, v0
                                        ; implicit-def: $vgpr16
	s_delay_alu instid0(VALU_DEP_1) | instskip(SKIP_1) | instid1(VALU_DEP_2)
	v_cmp_gt_u32_e64 s9, s33, v6
	v_lshlrev_b32_e32 v6, 2, v6
	s_and_saveexec_b32 s10, s9
	s_cbranch_execz .LBB920_21
; %bb.20:
	s_delay_alu instid0(VALU_DEP_1) | instskip(NEXT) | instid1(VALU_DEP_1)
	v_add_co_u32 v7, s11, s38, v6
	v_add_co_ci_u32_e64 v8, null, s37, 0, s11
	flat_load_b32 v16, v[7:8]
.LBB920_21:
	s_or_b32 exec_lo, exec_lo, s10
	v_or_b32_e32 v7, 0x900, v0
                                        ; implicit-def: $vgpr17
	s_delay_alu instid0(VALU_DEP_1) | instskip(SKIP_1) | instid1(VALU_DEP_2)
	v_cmp_gt_u32_e64 s10, s33, v7
	v_lshlrev_b32_e32 v7, 2, v7
	s_and_saveexec_b32 s11, s10
	s_cbranch_execz .LBB920_23
; %bb.22:
	s_delay_alu instid0(VALU_DEP_1) | instskip(NEXT) | instid1(VALU_DEP_1)
	v_add_co_u32 v17, s12, s38, v7
	v_add_co_ci_u32_e64 v18, null, s37, 0, s12
	flat_load_b32 v17, v[17:18]
.LBB920_23:
	s_or_b32 exec_lo, exec_lo, s11
	v_or_b32_e32 v8, 0xa00, v0
                                        ; implicit-def: $vgpr18
	s_delay_alu instid0(VALU_DEP_1) | instskip(SKIP_1) | instid1(VALU_DEP_2)
	v_cmp_gt_u32_e64 s11, s33, v8
	v_lshlrev_b32_e32 v23, 2, v8
	s_and_saveexec_b32 s12, s11
	s_cbranch_execz .LBB920_25
; %bb.24:
	s_delay_alu instid0(VALU_DEP_1) | instskip(NEXT) | instid1(VALU_DEP_1)
	v_add_co_u32 v18, s13, s38, v23
	v_add_co_ci_u32_e64 v19, null, s37, 0, s13
	flat_load_b32 v18, v[18:19]
.LBB920_25:
	s_or_b32 exec_lo, exec_lo, s12
	v_or_b32_e32 v8, 0xb00, v0
                                        ; implicit-def: $vgpr19
	s_delay_alu instid0(VALU_DEP_1) | instskip(SKIP_1) | instid1(VALU_DEP_2)
	v_cmp_gt_u32_e64 s12, s33, v8
	v_lshlrev_b32_e32 v24, 2, v8
	s_and_saveexec_b32 s13, s12
	s_cbranch_execz .LBB920_27
; %bb.26:
	s_delay_alu instid0(VALU_DEP_1) | instskip(NEXT) | instid1(VALU_DEP_1)
	v_add_co_u32 v19, s14, s38, v24
	v_add_co_ci_u32_e64 v20, null, s37, 0, s14
	flat_load_b32 v19, v[19:20]
.LBB920_27:
	s_or_b32 exec_lo, exec_lo, s13
	v_or_b32_e32 v8, 0xc00, v0
                                        ; implicit-def: $vgpr20
	s_delay_alu instid0(VALU_DEP_1) | instskip(SKIP_1) | instid1(VALU_DEP_2)
	v_cmp_gt_u32_e64 s13, s33, v8
	v_lshlrev_b32_e32 v25, 2, v8
	s_and_saveexec_b32 s14, s13
	s_cbranch_execz .LBB920_29
; %bb.28:
	s_delay_alu instid0(VALU_DEP_1) | instskip(NEXT) | instid1(VALU_DEP_1)
	v_add_co_u32 v20, s16, s38, v25
	v_add_co_ci_u32_e64 v21, null, s37, 0, s16
	flat_load_b32 v20, v[20:21]
.LBB920_29:
	s_or_b32 exec_lo, exec_lo, s14
	v_or_b32_e32 v8, 0xd00, v0
                                        ; implicit-def: $vgpr21
	s_delay_alu instid0(VALU_DEP_1) | instskip(SKIP_1) | instid1(VALU_DEP_2)
	v_cmp_gt_u32_e64 s14, s33, v8
	v_lshlrev_b32_e32 v26, 2, v8
	s_and_saveexec_b32 s16, s14
	s_cbranch_execz .LBB920_31
; %bb.30:
	s_delay_alu instid0(VALU_DEP_1) | instskip(NEXT) | instid1(VALU_DEP_1)
	v_add_co_u32 v21, s26, s38, v26
	v_add_co_ci_u32_e64 v22, null, s37, 0, s26
	flat_load_b32 v21, v[21:22]
.LBB920_31:
	s_or_b32 exec_lo, exec_lo, s16
	v_or_b32_e32 v8, 0xe00, v0
                                        ; implicit-def: $vgpr22
	s_delay_alu instid0(VALU_DEP_1) | instskip(SKIP_1) | instid1(VALU_DEP_2)
	v_cmp_gt_u32_e64 s16, s33, v8
	v_lshlrev_b32_e32 v27, 2, v8
	s_and_saveexec_b32 s26, s16
	s_cbranch_execz .LBB920_33
; %bb.32:
	s_delay_alu instid0(VALU_DEP_1) | instskip(NEXT) | instid1(VALU_DEP_1)
	v_add_co_u32 v28, s27, s38, v27
	v_add_co_ci_u32_e64 v29, null, s37, 0, s27
	flat_load_b32 v22, v[28:29]
.LBB920_33:
	s_or_b32 exec_lo, exec_lo, s26
	v_lshlrev_b32_e32 v8, 2, v0
                                        ; implicit-def: $vgpr28
	s_waitcnt vmcnt(0) lgkmcnt(0)
	ds_store_2addr_stride64_b32 v8, v1, v9 offset1:4
	ds_store_2addr_stride64_b32 v8, v10, v11 offset0:8 offset1:12
	ds_store_2addr_stride64_b32 v8, v12, v13 offset0:16 offset1:20
	;; [unrolled: 1-line block ×6, first 2 shown]
	v_mad_u32_u24 v1, v0, 56, v8
	ds_store_b32 v8, v22 offset:14336
	s_waitcnt lgkmcnt(0)
	s_barrier
	buffer_gl0_inv
	ds_load_2addr_b32 v[21:22], v1 offset1:1
	ds_load_2addr_b32 v[19:20], v1 offset0:2 offset1:3
	ds_load_2addr_b32 v[17:18], v1 offset0:4 offset1:5
	;; [unrolled: 1-line block ×6, first 2 shown]
	ds_load_b32 v63, v1 offset:56
	s_waitcnt lgkmcnt(0)
	s_barrier
	buffer_gl0_inv
	s_and_saveexec_b32 s26, vcc_lo
	s_cbranch_execnz .LBB920_57
; %bb.34:
	s_or_b32 exec_lo, exec_lo, s26
                                        ; implicit-def: $vgpr29
	s_and_saveexec_b32 s26, s2
	s_cbranch_execnz .LBB920_58
.LBB920_35:
	s_or_b32 exec_lo, exec_lo, s26
                                        ; implicit-def: $vgpr30
	s_and_saveexec_b32 s2, s3
	s_cbranch_execnz .LBB920_59
.LBB920_36:
	s_or_b32 exec_lo, exec_lo, s2
                                        ; implicit-def: $vgpr31
	s_and_saveexec_b32 s2, s4
	s_cbranch_execnz .LBB920_60
.LBB920_37:
	s_or_b32 exec_lo, exec_lo, s2
                                        ; implicit-def: $vgpr32
	s_and_saveexec_b32 s2, s5
	s_cbranch_execnz .LBB920_61
.LBB920_38:
	s_or_b32 exec_lo, exec_lo, s2
                                        ; implicit-def: $vgpr2
	s_and_saveexec_b32 s2, s6
	s_cbranch_execnz .LBB920_62
.LBB920_39:
	s_or_b32 exec_lo, exec_lo, s2
                                        ; implicit-def: $vgpr3
	s_and_saveexec_b32 s2, s7
	s_cbranch_execnz .LBB920_63
.LBB920_40:
	s_or_b32 exec_lo, exec_lo, s2
                                        ; implicit-def: $vgpr4
	s_and_saveexec_b32 s2, s8
	s_cbranch_execnz .LBB920_64
.LBB920_41:
	s_or_b32 exec_lo, exec_lo, s2
                                        ; implicit-def: $vgpr5
	s_and_saveexec_b32 s2, s9
	s_cbranch_execnz .LBB920_65
.LBB920_42:
	s_or_b32 exec_lo, exec_lo, s2
                                        ; implicit-def: $vgpr6
	s_and_saveexec_b32 s2, s10
	s_cbranch_execnz .LBB920_66
.LBB920_43:
	s_or_b32 exec_lo, exec_lo, s2
                                        ; implicit-def: $vgpr7
	s_and_saveexec_b32 s2, s11
	s_cbranch_execnz .LBB920_67
.LBB920_44:
	s_or_b32 exec_lo, exec_lo, s2
                                        ; implicit-def: $vgpr23
	s_and_saveexec_b32 s2, s12
	s_cbranch_execnz .LBB920_68
.LBB920_45:
	s_or_b32 exec_lo, exec_lo, s2
                                        ; implicit-def: $vgpr24
	s_and_saveexec_b32 s2, s13
	s_cbranch_execnz .LBB920_69
.LBB920_46:
	s_or_b32 exec_lo, exec_lo, s2
                                        ; implicit-def: $vgpr25
	s_and_saveexec_b32 s2, s14
	s_cbranch_execnz .LBB920_70
.LBB920_47:
	s_or_b32 exec_lo, exec_lo, s2
                                        ; implicit-def: $vgpr26
	s_and_saveexec_b32 s2, s16
	s_cbranch_execz .LBB920_49
.LBB920_48:
	v_add_co_u32 v26, s3, s24, v27
	s_delay_alu instid0(VALU_DEP_1)
	v_add_co_ci_u32_e64 v27, null, s25, 0, s3
	flat_load_b32 v26, v[26:27]
.LBB920_49:
	s_or_b32 exec_lo, exec_lo, s2
	s_waitcnt vmcnt(0) lgkmcnt(0)
	ds_store_2addr_stride64_b32 v8, v28, v29 offset1:4
	ds_store_2addr_stride64_b32 v8, v30, v31 offset0:8 offset1:12
	ds_store_2addr_stride64_b32 v8, v32, v2 offset0:16 offset1:20
	;; [unrolled: 1-line block ×6, first 2 shown]
	ds_store_b32 v8, v26 offset:14336
	s_waitcnt lgkmcnt(0)
	s_barrier
.LBB920_50:
	buffer_gl0_inv
	ds_load_2addr_b32 v[35:36], v1 offset1:1
	ds_load_2addr_b32 v[33:34], v1 offset0:2 offset1:3
	ds_load_2addr_b32 v[31:32], v1 offset0:4 offset1:5
	;; [unrolled: 1-line block ×6, first 2 shown]
	ds_load_b32 v78, v1 offset:56
	s_load_b128 s[24:27], s[0:1], 0x28
	s_cmp_eq_u64 s[34:35], 0
	s_waitcnt lgkmcnt(0)
	s_cselect_b32 s36, -1, 0
	s_cmp_lg_u64 s[34:35], 0
	s_barrier
	s_cselect_b32 s14, -1, 0
	s_and_b32 vcc_lo, exec_lo, s39
	buffer_gl0_inv
	s_cbranch_vccz .LBB920_56
; %bb.51:
	s_and_b32 vcc_lo, exec_lo, s14
	s_cbranch_vccz .LBB920_71
; %bb.52:
	v_add_co_u32 v1, s0, -4, s38
	s_delay_alu instid0(VALU_DEP_1)
	v_add_co_ci_u32_e64 v2, null, -1, s37, s0
	v_cmp_ne_u32_e32 vcc_lo, v10, v63
	v_cmp_ne_u32_e64 s0, v9, v10
	v_cmp_ne_u32_e64 s1, v12, v9
	flat_load_b32 v1, v[1:2]
	v_lshlrev_b32_e32 v2, 2, v0
	v_cmp_ne_u32_e64 s2, v11, v12
	v_cmp_ne_u32_e64 s3, v14, v11
	;; [unrolled: 1-line block ×11, first 2 shown]
	s_mov_b32 s39, -1
	s_mov_b32 s16, 0
	s_mov_b32 s40, exec_lo
	ds_store_b32 v2, v63
	s_waitcnt vmcnt(0) lgkmcnt(0)
	s_barrier
	buffer_gl0_inv
	v_cmpx_ne_u32_e32 0, v0
	s_cbranch_execz .LBB920_54
; %bb.53:
	v_add_nc_u32_e32 v1, -4, v2
	ds_load_b32 v1, v1
.LBB920_54:
	s_or_b32 exec_lo, exec_lo, s40
	v_cndmask_b32_e64 v69, 0, 1, vcc_lo
	v_cndmask_b32_e64 v64, 0, 1, s0
	v_cndmask_b32_e64 v65, 0, 1, s1
	v_cndmask_b32_e64 v66, 0, 1, s2
	v_cndmask_b32_e64 v67, 0, 1, s3
	v_cndmask_b32_e64 v68, 0, 1, s4
	v_cndmask_b32_e64 v70, 0, 1, s5
	v_cndmask_b32_e64 v71, 0, 1, s6
	v_cndmask_b32_e64 v72, 0, 1, s7
	v_cndmask_b32_e64 v73, 0, 1, s8
	v_cndmask_b32_e64 v74, 0, 1, s9
	v_cndmask_b32_e64 v75, 0, 1, s10
	v_cndmask_b32_e64 v76, 0, 1, s11
	v_cndmask_b32_e64 v77, 0, 1, s12
	s_waitcnt lgkmcnt(0)
	v_cmp_ne_u32_e64 s0, v1, v21
	s_and_b32 vcc_lo, exec_lo, s16
	s_cbranch_vccnz .LBB920_72
.LBB920_55:
                                        ; implicit-def: $sgpr1
	s_branch .LBB920_83
.LBB920_56:
	s_mov_b32 s39, 0
                                        ; implicit-def: $sgpr0
                                        ; implicit-def: $vgpr69
                                        ; implicit-def: $vgpr64
                                        ; implicit-def: $vgpr65
                                        ; implicit-def: $vgpr66
                                        ; implicit-def: $vgpr67
                                        ; implicit-def: $vgpr68
                                        ; implicit-def: $vgpr70
                                        ; implicit-def: $vgpr71
                                        ; implicit-def: $vgpr72
                                        ; implicit-def: $vgpr73
                                        ; implicit-def: $vgpr74
                                        ; implicit-def: $vgpr75
                                        ; implicit-def: $vgpr76
                                        ; implicit-def: $vgpr77
                                        ; implicit-def: $sgpr1
	s_cbranch_execnz .LBB920_75
	s_branch .LBB920_83
.LBB920_57:
	v_add_co_u32 v28, s27, s24, v8
	s_delay_alu instid0(VALU_DEP_1)
	v_add_co_ci_u32_e64 v29, null, s25, 0, s27
	flat_load_b32 v28, v[28:29]
	s_or_b32 exec_lo, exec_lo, s26
                                        ; implicit-def: $vgpr29
	s_and_saveexec_b32 s26, s2
	s_cbranch_execz .LBB920_35
.LBB920_58:
	v_add_co_u32 v29, s2, s24, v8
	s_delay_alu instid0(VALU_DEP_1)
	v_add_co_ci_u32_e64 v30, null, s25, 0, s2
	flat_load_b32 v29, v[29:30] offset:1024
	s_or_b32 exec_lo, exec_lo, s26
                                        ; implicit-def: $vgpr30
	s_and_saveexec_b32 s2, s3
	s_cbranch_execz .LBB920_36
.LBB920_59:
	v_add_co_u32 v30, s3, s24, v8
	s_delay_alu instid0(VALU_DEP_1)
	v_add_co_ci_u32_e64 v31, null, s25, 0, s3
	flat_load_b32 v30, v[30:31] offset:2048
	s_or_b32 exec_lo, exec_lo, s2
                                        ; implicit-def: $vgpr31
	s_and_saveexec_b32 s2, s4
	s_cbranch_execz .LBB920_37
.LBB920_60:
	v_add_co_u32 v31, s3, s24, v8
	s_delay_alu instid0(VALU_DEP_1)
	v_add_co_ci_u32_e64 v32, null, s25, 0, s3
	flat_load_b32 v31, v[31:32] offset:3072
	s_or_b32 exec_lo, exec_lo, s2
                                        ; implicit-def: $vgpr32
	s_and_saveexec_b32 s2, s5
	s_cbranch_execz .LBB920_38
.LBB920_61:
	v_add_co_u32 v32, s3, s24, v2
	s_delay_alu instid0(VALU_DEP_1)
	v_add_co_ci_u32_e64 v33, null, s25, 0, s3
	flat_load_b32 v32, v[32:33]
	s_or_b32 exec_lo, exec_lo, s2
                                        ; implicit-def: $vgpr2
	s_and_saveexec_b32 s2, s6
	s_cbranch_execz .LBB920_39
.LBB920_62:
	v_add_co_u32 v2, s3, s24, v3
	s_delay_alu instid0(VALU_DEP_1)
	v_add_co_ci_u32_e64 v3, null, s25, 0, s3
	flat_load_b32 v2, v[2:3]
	s_or_b32 exec_lo, exec_lo, s2
                                        ; implicit-def: $vgpr3
	s_and_saveexec_b32 s2, s7
	s_cbranch_execz .LBB920_40
.LBB920_63:
	v_add_co_u32 v3, s3, s24, v4
	s_delay_alu instid0(VALU_DEP_1)
	v_add_co_ci_u32_e64 v4, null, s25, 0, s3
	flat_load_b32 v3, v[3:4]
	s_or_b32 exec_lo, exec_lo, s2
                                        ; implicit-def: $vgpr4
	s_and_saveexec_b32 s2, s8
	s_cbranch_execz .LBB920_41
.LBB920_64:
	v_add_co_u32 v4, s3, s24, v5
	s_delay_alu instid0(VALU_DEP_1)
	v_add_co_ci_u32_e64 v5, null, s25, 0, s3
	flat_load_b32 v4, v[4:5]
	s_or_b32 exec_lo, exec_lo, s2
                                        ; implicit-def: $vgpr5
	s_and_saveexec_b32 s2, s9
	s_cbranch_execz .LBB920_42
.LBB920_65:
	v_add_co_u32 v5, s3, s24, v6
	s_delay_alu instid0(VALU_DEP_1)
	v_add_co_ci_u32_e64 v6, null, s25, 0, s3
	flat_load_b32 v5, v[5:6]
	s_or_b32 exec_lo, exec_lo, s2
                                        ; implicit-def: $vgpr6
	s_and_saveexec_b32 s2, s10
	s_cbranch_execz .LBB920_43
.LBB920_66:
	v_add_co_u32 v6, s3, s24, v7
	s_delay_alu instid0(VALU_DEP_1)
	v_add_co_ci_u32_e64 v7, null, s25, 0, s3
	flat_load_b32 v6, v[6:7]
	s_or_b32 exec_lo, exec_lo, s2
                                        ; implicit-def: $vgpr7
	s_and_saveexec_b32 s2, s11
	s_cbranch_execz .LBB920_44
.LBB920_67:
	v_add_co_u32 v33, s3, s24, v23
	s_delay_alu instid0(VALU_DEP_1)
	v_add_co_ci_u32_e64 v34, null, s25, 0, s3
	flat_load_b32 v7, v[33:34]
	s_or_b32 exec_lo, exec_lo, s2
                                        ; implicit-def: $vgpr23
	s_and_saveexec_b32 s2, s12
	s_cbranch_execz .LBB920_45
.LBB920_68:
	v_add_co_u32 v23, s3, s24, v24
	s_delay_alu instid0(VALU_DEP_1)
	v_add_co_ci_u32_e64 v24, null, s25, 0, s3
	flat_load_b32 v23, v[23:24]
	s_or_b32 exec_lo, exec_lo, s2
                                        ; implicit-def: $vgpr24
	s_and_saveexec_b32 s2, s13
	s_cbranch_execz .LBB920_46
.LBB920_69:
	v_add_co_u32 v24, s3, s24, v25
	s_delay_alu instid0(VALU_DEP_1)
	v_add_co_ci_u32_e64 v25, null, s25, 0, s3
	flat_load_b32 v24, v[24:25]
	s_or_b32 exec_lo, exec_lo, s2
                                        ; implicit-def: $vgpr25
	s_and_saveexec_b32 s2, s14
	s_cbranch_execz .LBB920_47
.LBB920_70:
	v_add_co_u32 v25, s3, s24, v26
	s_delay_alu instid0(VALU_DEP_1)
	v_add_co_ci_u32_e64 v26, null, s25, 0, s3
	flat_load_b32 v25, v[25:26]
	s_or_b32 exec_lo, exec_lo, s2
                                        ; implicit-def: $vgpr26
	s_and_saveexec_b32 s2, s16
	s_cbranch_execnz .LBB920_48
	s_branch .LBB920_49
.LBB920_71:
	s_mov_b32 s39, 0
                                        ; implicit-def: $sgpr0
                                        ; implicit-def: $vgpr69
                                        ; implicit-def: $vgpr64
                                        ; implicit-def: $vgpr65
                                        ; implicit-def: $vgpr66
                                        ; implicit-def: $vgpr67
                                        ; implicit-def: $vgpr68
                                        ; implicit-def: $vgpr70
                                        ; implicit-def: $vgpr71
                                        ; implicit-def: $vgpr72
                                        ; implicit-def: $vgpr73
                                        ; implicit-def: $vgpr74
                                        ; implicit-def: $vgpr75
                                        ; implicit-def: $vgpr76
                                        ; implicit-def: $vgpr77
	s_cbranch_execz .LBB920_55
.LBB920_72:
	v_cmp_ne_u32_e32 vcc_lo, v10, v63
	v_lshlrev_b32_e32 v1, 2, v0
	s_mov_b32 s1, exec_lo
                                        ; implicit-def: $sgpr0
	v_cndmask_b32_e64 v69, 0, 1, vcc_lo
	v_cmp_ne_u32_e32 vcc_lo, v9, v10
	ds_store_b32 v1, v63
	s_waitcnt lgkmcnt(0)
	s_barrier
	buffer_gl0_inv
	v_cndmask_b32_e64 v64, 0, 1, vcc_lo
	v_cmp_ne_u32_e32 vcc_lo, v12, v9
	v_cndmask_b32_e64 v65, 0, 1, vcc_lo
	v_cmp_ne_u32_e32 vcc_lo, v11, v12
	;; [unrolled: 2-line block ×12, first 2 shown]
	v_cndmask_b32_e64 v77, 0, 1, vcc_lo
	v_cmpx_ne_u32_e32 0, v0
	s_xor_b32 s1, exec_lo, s1
	s_cbranch_execz .LBB920_74
; %bb.73:
	v_add_nc_u32_e32 v1, -4, v1
	s_or_b32 s39, s39, exec_lo
	ds_load_b32 v1, v1
	s_waitcnt lgkmcnt(0)
	v_cmp_ne_u32_e32 vcc_lo, v1, v21
	s_and_b32 s0, vcc_lo, exec_lo
.LBB920_74:
	s_or_b32 exec_lo, exec_lo, s1
	s_mov_b32 s1, 1
	s_branch .LBB920_83
.LBB920_75:
	s_mul_hi_u32 s0, s34, 0xfffff100
	s_mul_i32 s1, s35, 0xfffff100
	s_sub_i32 s0, s0, s34
	s_mul_i32 s2, s34, 0xfffff100
	s_add_i32 s0, s0, s1
	s_add_u32 s28, s2, s28
	s_addc_u32 s29, s0, s29
	s_and_b32 vcc_lo, exec_lo, s14
	v_cmp_ne_u32_e64 s13, v10, v63
	v_cmp_ne_u32_e64 s14, v9, v10
	;; [unrolled: 1-line block ×14, first 2 shown]
	v_mad_u32_u24 v1, v0, 15, 14
	v_mad_u32_u24 v55, v0, 15, 13
	;; [unrolled: 1-line block ×14, first 2 shown]
	v_cmp_ne_u32_e64 s6, 0, v0
	s_cbranch_vccz .LBB920_80
; %bb.76:
	v_add_co_u32 v56, s16, -4, s38
	s_delay_alu instid0(VALU_DEP_1)
	v_add_co_ci_u32_e64 v57, null, -1, s37, s16
	v_mov_b32_e32 v2, 0
	s_mov_b32 s39, -1
	s_mov_b32 s34, 0
	flat_load_b32 v58, v[56:57]
	v_lshlrev_b32_e32 v57, 2, v0
	v_cmp_gt_u64_e32 vcc_lo, s[28:29], v[1:2]
	v_mov_b32_e32 v56, v2
	v_mov_b32_e32 v54, v2
	;; [unrolled: 1-line block ×5, first 2 shown]
	v_cmp_gt_u64_e64 s16, s[28:29], v[55:56]
	s_and_b32 s35, vcc_lo, s13
	v_cmp_gt_u64_e32 vcc_lo, s[28:29], v[53:54]
	v_mov_b32_e32 v46, v2
	v_mov_b32_e32 v44, v2
	v_cmp_gt_u64_e64 s13, s[28:29], v[51:52]
	s_and_b32 s37, s16, s14
	v_mov_b32_e32 v42, v2
	s_and_b32 s38, vcc_lo, s12
	v_cmp_gt_u64_e32 vcc_lo, s[28:29], v[49:50]
	v_cmp_gt_u64_e64 s12, s[28:29], v[47:48]
	v_cmp_gt_u64_e64 s14, s[28:29], v[45:46]
	;; [unrolled: 1-line block ×3, first 2 shown]
	v_mov_b32_e32 v40, v2
	v_mov_b32_e32 v38, v2
	;; [unrolled: 1-line block ×5, first 2 shown]
	s_and_b32 s13, s13, s11
	s_and_b32 s40, vcc_lo, s7
	s_and_b32 s12, s12, s8
	s_and_b32 s14, s14, s9
	;; [unrolled: 1-line block ×3, first 2 shown]
	v_cmp_gt_u64_e32 vcc_lo, s[28:29], v[41:42]
	v_cmp_gt_u64_e64 s7, s[28:29], v[39:40]
	v_cmp_gt_u64_e64 s8, s[28:29], v[37:38]
	;; [unrolled: 1-line block ×5, first 2 shown]
	v_mul_u32_u24_e32 v56, 15, v0
	s_and_b32 s0, vcc_lo, s0
	s_and_b32 s7, s7, s1
	s_and_b32 s8, s8, s2
	;; [unrolled: 1-line block ×5, first 2 shown]
	ds_store_b32 v57, v63
	s_waitcnt vmcnt(0) lgkmcnt(0)
	s_barrier
	buffer_gl0_inv
	s_and_saveexec_b32 s4, s6
	s_cbranch_execz .LBB920_78
; %bb.77:
	v_add_nc_u32_e32 v4, -4, v57
	ds_load_b32 v58, v4
.LBB920_78:
	s_or_b32 exec_lo, exec_lo, s4
	v_mov_b32_e32 v57, v2
	v_cndmask_b32_e64 v72, 0, 1, s0
	s_waitcnt lgkmcnt(0)
	v_cmp_ne_u32_e64 s0, v58, v21
	v_cndmask_b32_e64 v69, 0, 1, s35
	v_cndmask_b32_e64 v64, 0, 1, s37
	v_cmp_gt_u64_e32 vcc_lo, s[28:29], v[56:57]
	v_cndmask_b32_e64 v65, 0, 1, s38
	v_cndmask_b32_e64 v66, 0, 1, s13
	;; [unrolled: 1-line block ×11, first 2 shown]
	s_and_b32 s0, vcc_lo, s0
	s_and_b32 vcc_lo, exec_lo, s34
	s_cbranch_vccnz .LBB920_81
.LBB920_79:
                                        ; implicit-def: $sgpr1
	v_mov_b32_e32 v79, s1
	s_and_saveexec_b32 s1, s39
	s_cbranch_execnz .LBB920_84
	s_branch .LBB920_85
.LBB920_80:
                                        ; implicit-def: $sgpr0
                                        ; implicit-def: $vgpr69
                                        ; implicit-def: $vgpr64
                                        ; implicit-def: $vgpr65
                                        ; implicit-def: $vgpr66
                                        ; implicit-def: $vgpr67
                                        ; implicit-def: $vgpr68
                                        ; implicit-def: $vgpr70
                                        ; implicit-def: $vgpr71
                                        ; implicit-def: $vgpr72
                                        ; implicit-def: $vgpr73
                                        ; implicit-def: $vgpr74
                                        ; implicit-def: $vgpr75
                                        ; implicit-def: $vgpr76
                                        ; implicit-def: $vgpr77
	s_cbranch_execz .LBB920_79
.LBB920_81:
	v_dual_mov_b32 v2, 0 :: v_dual_lshlrev_b32 v57, 2, v0
	v_cmp_ne_u32_e64 s1, v12, v9
	v_cmp_ne_u32_e32 vcc_lo, v10, v63
	v_cmp_ne_u32_e64 s0, v9, v10
	s_delay_alu instid0(VALU_DEP_4)
	v_mov_b32_e32 v54, v2
	v_mov_b32_e32 v56, v2
	v_cmp_gt_u64_e64 s2, s[28:29], v[1:2]
	v_mov_b32_e32 v50, v2
	v_mov_b32_e32 v52, v2
	v_cmp_gt_u64_e64 s4, s[28:29], v[53:54]
	v_cmp_gt_u64_e64 s3, s[28:29], v[55:56]
	v_mov_b32_e32 v48, v2
	s_and_b32 s2, s2, vcc_lo
	v_cmp_gt_u64_e32 vcc_lo, s[28:29], v[51:52]
	v_cndmask_b32_e64 v69, 0, 1, s2
	s_and_b32 s1, s4, s1
	s_and_b32 s0, s3, s0
	v_cndmask_b32_e64 v65, 0, 1, s1
	v_cmp_gt_u64_e64 s1, s[28:29], v[49:50]
	v_cmp_ne_u32_e64 s2, v14, v11
	v_cndmask_b32_e64 v64, 0, 1, s0
	v_cmp_ne_u32_e64 s0, v11, v12
	v_mov_b32_e32 v46, v2
	v_mov_b32_e32 v44, v2
	s_and_b32 s1, s1, s2
	v_cmp_ne_u32_e64 s2, v16, v13
	s_and_b32 s0, vcc_lo, s0
	v_cmp_gt_u64_e32 vcc_lo, s[28:29], v[47:48]
	v_cndmask_b32_e64 v67, 0, 1, s1
	v_cmp_gt_u64_e64 s1, s[28:29], v[45:46]
	v_cndmask_b32_e64 v66, 0, 1, s0
	v_cmp_ne_u32_e64 s0, v13, v14
	v_mov_b32_e32 v42, v2
	v_mov_b32_e32 v40, v2
	;; [unrolled: 1-line block ×3, first 2 shown]
	s_and_b32 s1, s1, s2
	s_and_b32 s0, vcc_lo, s0
	v_cmp_gt_u64_e32 vcc_lo, s[28:29], v[43:44]
	v_cndmask_b32_e64 v68, 0, 1, s0
	v_cmp_ne_u32_e64 s0, v15, v16
	v_cndmask_b32_e64 v70, 0, 1, s1
	v_cmp_gt_u64_e64 s1, s[28:29], v[41:42]
	v_cmp_ne_u32_e64 s2, v18, v15
	v_mov_b32_e32 v8, v2
	s_and_b32 s0, vcc_lo, s0
	v_cmp_gt_u64_e32 vcc_lo, s[28:29], v[39:40]
	v_cndmask_b32_e64 v71, 0, 1, s0
	s_and_b32 s1, s1, s2
	v_cmp_ne_u32_e64 s0, v17, v18
	v_cndmask_b32_e64 v72, 0, 1, s1
	v_cmp_gt_u64_e64 s1, s[28:29], v[37:38]
	v_cmp_ne_u32_e64 s2, v20, v17
	v_mov_b32_e32 v6, v2
	s_and_b32 s0, vcc_lo, s0
	v_mov_b32_e32 v4, v2
	v_cndmask_b32_e64 v73, 0, 1, s0
	s_and_b32 s0, s1, s2
	v_cmp_gt_u64_e32 vcc_lo, s[28:29], v[7:8]
	v_cndmask_b32_e64 v74, 0, 1, s0
	v_cmp_ne_u32_e64 s0, v19, v20
	v_cmp_gt_u64_e64 s1, s[28:29], v[5:6]
	v_cmp_ne_u32_e64 s2, v22, v19
	v_cmp_gt_u64_e64 s3, s[28:29], v[3:4]
	v_cmp_ne_u32_e64 s4, v21, v22
	s_and_b32 s0, vcc_lo, s0
	ds_store_b32 v57, v63
	v_cndmask_b32_e64 v75, 0, 1, s0
	s_and_b32 s0, s1, s2
	s_mov_b32 s1, 1
	v_cndmask_b32_e64 v76, 0, 1, s0
	s_and_b32 s0, s3, s4
	s_mov_b32 s2, exec_lo
	v_cndmask_b32_e64 v77, 0, 1, s0
	s_waitcnt lgkmcnt(0)
	s_barrier
	buffer_gl0_inv
                                        ; implicit-def: $sgpr0
	v_cmpx_ne_u32_e32 0, v0
	s_cbranch_execz .LBB920_153
; %bb.82:
	v_add_nc_u32_e32 v1, -4, v57
	s_or_b32 s39, s39, exec_lo
	ds_load_b32 v3, v1
	v_mul_u32_u24_e32 v1, 15, v0
	s_delay_alu instid0(VALU_DEP_1) | instskip(SKIP_2) | instid1(VALU_DEP_1)
	v_cmp_gt_u64_e32 vcc_lo, s[28:29], v[1:2]
	s_waitcnt lgkmcnt(0)
	v_cmp_ne_u32_e64 s0, v3, v21
	s_and_b32 s0, vcc_lo, s0
	s_delay_alu instid0(SALU_CYCLE_1)
	s_and_b32 s0, s0, exec_lo
	s_or_b32 exec_lo, exec_lo, s2
.LBB920_83:
	v_mov_b32_e32 v79, s1
	s_and_saveexec_b32 s1, s39
.LBB920_84:
	v_cndmask_b32_e64 v79, 0, 1, s0
.LBB920_85:
	s_or_b32 exec_lo, exec_lo, s1
	s_delay_alu instid0(VALU_DEP_1)
	v_add3_u32 v1, v77, v79, v76
	v_cmp_eq_u32_e64 s12, 0, v77
	v_cmp_eq_u32_e64 s11, 0, v76
	;; [unrolled: 1-line block ×4, first 2 shown]
	v_add3_u32 v84, v1, v75, v74
	v_cmp_eq_u32_e64 s8, 0, v73
	v_cmp_eq_u32_e64 s7, 0, v72
	v_cmp_eq_u32_e64 s6, 0, v71
	v_cmp_eq_u32_e64 s5, 0, v70
	v_cmp_eq_u32_e64 s4, 0, v68
	v_cmp_eq_u32_e64 s3, 0, v67
	v_cmp_eq_u32_e64 s2, 0, v66
	v_cmp_eq_u32_e64 s1, 0, v65
	v_cmp_eq_u32_e64 s0, 0, v64
	v_cmp_eq_u32_e32 vcc_lo, 0, v69
	v_mbcnt_lo_u32_b32 v81, -1, 0
	v_lshrrev_b32_e32 v82, 5, v0
	v_or_b32_e32 v83, 31, v0
	s_cmp_eq_u64 s[22:23], 0
	s_cselect_b32 s16, -1, 0
	s_cmp_lg_u32 s15, 0
	s_cbranch_scc0 .LBB920_111
; %bb.86:
	v_cndmask_b32_e64 v1, 0, v35, s12
	v_add3_u32 v2, v84, v73, v72
	s_delay_alu instid0(VALU_DEP_2) | instskip(NEXT) | instid1(VALU_DEP_2)
	v_add_nc_u32_e32 v1, v1, v36
	v_add3_u32 v2, v2, v71, v70
	s_delay_alu instid0(VALU_DEP_2) | instskip(NEXT) | instid1(VALU_DEP_2)
	v_cndmask_b32_e64 v1, 0, v1, s11
	v_add3_u32 v2, v2, v68, v67
	s_delay_alu instid0(VALU_DEP_2) | instskip(NEXT) | instid1(VALU_DEP_2)
	v_add_nc_u32_e32 v1, v1, v33
	v_add3_u32 v2, v2, v66, v65
	s_delay_alu instid0(VALU_DEP_2) | instskip(NEXT) | instid1(VALU_DEP_2)
	v_cndmask_b32_e64 v1, 0, v1, s10
	v_add3_u32 v2, v2, v64, v69
	s_delay_alu instid0(VALU_DEP_2) | instskip(NEXT) | instid1(VALU_DEP_2)
	v_add_nc_u32_e32 v1, v1, v34
	v_mov_b32_dpp v5, v2 row_shr:1 row_mask:0xf bank_mask:0xf
	s_delay_alu instid0(VALU_DEP_2) | instskip(NEXT) | instid1(VALU_DEP_1)
	v_cndmask_b32_e64 v1, 0, v1, s9
	v_add_nc_u32_e32 v1, v1, v31
	s_delay_alu instid0(VALU_DEP_1) | instskip(NEXT) | instid1(VALU_DEP_1)
	v_cndmask_b32_e64 v1, 0, v1, s8
	v_add_nc_u32_e32 v1, v1, v32
	s_delay_alu instid0(VALU_DEP_1) | instskip(NEXT) | instid1(VALU_DEP_1)
	v_cndmask_b32_e64 v1, 0, v1, s7
	v_add_nc_u32_e32 v1, v1, v29
	s_delay_alu instid0(VALU_DEP_1) | instskip(NEXT) | instid1(VALU_DEP_1)
	v_cndmask_b32_e64 v1, 0, v1, s6
	v_add_nc_u32_e32 v1, v1, v30
	s_delay_alu instid0(VALU_DEP_1) | instskip(NEXT) | instid1(VALU_DEP_1)
	v_cndmask_b32_e64 v1, 0, v1, s5
	v_add_nc_u32_e32 v1, v1, v27
	s_delay_alu instid0(VALU_DEP_1) | instskip(NEXT) | instid1(VALU_DEP_1)
	v_cndmask_b32_e64 v1, 0, v1, s4
	v_add_nc_u32_e32 v1, v1, v28
	s_delay_alu instid0(VALU_DEP_1) | instskip(NEXT) | instid1(VALU_DEP_1)
	v_cndmask_b32_e64 v1, 0, v1, s3
	v_add_nc_u32_e32 v1, v1, v25
	s_delay_alu instid0(VALU_DEP_1) | instskip(NEXT) | instid1(VALU_DEP_1)
	v_cndmask_b32_e64 v1, 0, v1, s2
	v_add_nc_u32_e32 v1, v1, v26
	s_delay_alu instid0(VALU_DEP_1) | instskip(NEXT) | instid1(VALU_DEP_1)
	v_cndmask_b32_e64 v1, 0, v1, s1
	v_add_nc_u32_e32 v1, v1, v23
	s_delay_alu instid0(VALU_DEP_1) | instskip(NEXT) | instid1(VALU_DEP_1)
	v_cndmask_b32_e64 v1, 0, v1, s0
	v_add_nc_u32_e32 v1, v1, v24
	s_delay_alu instid0(VALU_DEP_1) | instskip(SKIP_1) | instid1(VALU_DEP_2)
	v_cndmask_b32_e32 v1, 0, v1, vcc_lo
	v_cmp_eq_u32_e32 vcc_lo, 0, v2
	v_add_nc_u32_e32 v1, v1, v78
	s_delay_alu instid0(VALU_DEP_1) | instskip(NEXT) | instid1(VALU_DEP_1)
	v_mov_b32_dpp v3, v1 row_shr:1 row_mask:0xf bank_mask:0xf
	v_dual_cndmask_b32 v3, 0, v3 :: v_dual_and_b32 v4, 15, v81
	s_delay_alu instid0(VALU_DEP_1) | instskip(SKIP_2) | instid1(VALU_DEP_4)
	v_cmp_eq_u32_e32 vcc_lo, 0, v4
	v_cmp_lt_u32_e64 s13, 1, v4
	v_cndmask_b32_e64 v5, v5, 0, vcc_lo
	v_cndmask_b32_e64 v3, v3, 0, vcc_lo
	s_delay_alu instid0(VALU_DEP_2) | instskip(NEXT) | instid1(VALU_DEP_2)
	v_add_nc_u32_e32 v2, v5, v2
	v_add_nc_u32_e32 v1, v3, v1
	s_delay_alu instid0(VALU_DEP_2) | instskip(SKIP_1) | instid1(VALU_DEP_3)
	v_mov_b32_dpp v3, v2 row_shr:2 row_mask:0xf bank_mask:0xf
	v_cmp_eq_u32_e32 vcc_lo, 0, v2
	v_mov_b32_dpp v5, v1 row_shr:2 row_mask:0xf bank_mask:0xf
	s_delay_alu instid0(VALU_DEP_3) | instskip(SKIP_2) | instid1(VALU_DEP_2)
	v_cndmask_b32_e64 v3, 0, v3, s13
	s_and_b32 vcc_lo, s13, vcc_lo
	v_cmp_lt_u32_e64 s13, 3, v4
	v_dual_cndmask_b32 v5, 0, v5 :: v_dual_add_nc_u32 v2, v2, v3
	s_delay_alu instid0(VALU_DEP_1) | instskip(NEXT) | instid1(VALU_DEP_2)
	v_add_nc_u32_e32 v1, v5, v1
	v_mov_b32_dpp v3, v2 row_shr:4 row_mask:0xf bank_mask:0xf
	v_cmp_eq_u32_e32 vcc_lo, 0, v2
	s_delay_alu instid0(VALU_DEP_3) | instskip(NEXT) | instid1(VALU_DEP_3)
	v_mov_b32_dpp v5, v1 row_shr:4 row_mask:0xf bank_mask:0xf
	v_cndmask_b32_e64 v3, 0, v3, s13
	s_and_b32 vcc_lo, s13, vcc_lo
	v_cmp_lt_u32_e64 s13, 7, v4
	s_delay_alu instid0(VALU_DEP_2) | instskip(NEXT) | instid1(VALU_DEP_1)
	v_dual_cndmask_b32 v5, 0, v5 :: v_dual_add_nc_u32 v2, v3, v2
	v_add_nc_u32_e32 v1, v1, v5
	v_bfe_i32 v5, v81, 4, 1
	s_delay_alu instid0(VALU_DEP_3) | instskip(SKIP_1) | instid1(VALU_DEP_4)
	v_cmp_eq_u32_e32 vcc_lo, 0, v2
	v_mov_b32_dpp v3, v2 row_shr:8 row_mask:0xf bank_mask:0xf
	v_mov_b32_dpp v4, v1 row_shr:8 row_mask:0xf bank_mask:0xf
	s_and_b32 vcc_lo, s13, vcc_lo
	s_delay_alu instid0(VALU_DEP_2) | instskip(SKIP_1) | instid1(VALU_DEP_2)
	v_cndmask_b32_e64 v3, 0, v3, s13
	s_mov_b32 s13, exec_lo
	v_cndmask_b32_e32 v4, 0, v4, vcc_lo
	s_delay_alu instid0(VALU_DEP_1) | instskip(NEXT) | instid1(VALU_DEP_3)
	v_add_nc_u32_e32 v4, v4, v1
	v_add_nc_u32_e32 v1, v3, v2
	ds_swizzle_b32 v2, v4 offset:swizzle(BROADCAST,32,15)
	ds_swizzle_b32 v3, v1 offset:swizzle(BROADCAST,32,15)
	v_cmp_eq_u32_e32 vcc_lo, 0, v1
	s_waitcnt lgkmcnt(0)
	v_dual_cndmask_b32 v2, 0, v2 :: v_dual_and_b32 v3, v5, v3
	s_delay_alu instid0(VALU_DEP_1) | instskip(NEXT) | instid1(VALU_DEP_2)
	v_and_b32_e32 v2, v5, v2
	v_add_nc_u32_e32 v1, v3, v1
	v_lshlrev_b32_e32 v3, 3, v82
	s_delay_alu instid0(VALU_DEP_3)
	v_add_nc_u32_e32 v2, v2, v4
	v_cmpx_eq_u32_e64 v83, v0
	s_cbranch_execz .LBB920_88
; %bb.87:
	ds_store_b64 v3, v[1:2] offset:2064
.LBB920_88:
	s_or_b32 exec_lo, exec_lo, s13
	s_delay_alu instid0(SALU_CYCLE_1)
	s_mov_b32 s14, exec_lo
	s_waitcnt lgkmcnt(0)
	s_barrier
	buffer_gl0_inv
	v_cmpx_gt_u32_e32 8, v0
	s_cbranch_execz .LBB920_90
; %bb.89:
	v_lshlrev_b32_e32 v6, 3, v0
	v_and_b32_e32 v8, 7, v81
	ds_load_b64 v[4:5], v6 offset:2064
	v_cmp_lt_u32_e64 s13, 1, v8
	s_waitcnt lgkmcnt(0)
	v_mov_b32_dpp v7, v5 row_shr:1 row_mask:0xf bank_mask:0xf
	v_cmp_eq_u32_e32 vcc_lo, 0, v4
	v_mov_b32_dpp v37, v4 row_shr:1 row_mask:0xf bank_mask:0xf
	s_delay_alu instid0(VALU_DEP_3) | instskip(SKIP_1) | instid1(VALU_DEP_3)
	v_cndmask_b32_e32 v7, 0, v7, vcc_lo
	v_cmp_eq_u32_e32 vcc_lo, 0, v8
	v_cndmask_b32_e64 v37, v37, 0, vcc_lo
	s_delay_alu instid0(VALU_DEP_3) | instskip(NEXT) | instid1(VALU_DEP_2)
	v_cndmask_b32_e64 v7, v7, 0, vcc_lo
	v_add_nc_u32_e32 v4, v37, v4
	s_delay_alu instid0(VALU_DEP_2) | instskip(NEXT) | instid1(VALU_DEP_2)
	v_add_nc_u32_e32 v5, v7, v5
	v_cmp_eq_u32_e32 vcc_lo, 0, v4
	s_delay_alu instid0(VALU_DEP_2) | instskip(SKIP_1) | instid1(VALU_DEP_1)
	v_mov_b32_dpp v37, v5 row_shr:2 row_mask:0xf bank_mask:0xf
	s_and_b32 vcc_lo, s13, vcc_lo
	v_cndmask_b32_e32 v37, 0, v37, vcc_lo
	v_mov_b32_dpp v7, v4 row_shr:2 row_mask:0xf bank_mask:0xf
	s_delay_alu instid0(VALU_DEP_2) | instskip(NEXT) | instid1(VALU_DEP_2)
	v_add_nc_u32_e32 v5, v37, v5
	v_cndmask_b32_e64 v7, 0, v7, s13
	v_cmp_lt_u32_e64 s13, 3, v8
	s_delay_alu instid0(VALU_DEP_3) | instskip(NEXT) | instid1(VALU_DEP_3)
	v_mov_b32_dpp v8, v5 row_shr:4 row_mask:0xf bank_mask:0xf
	v_add_nc_u32_e32 v4, v7, v4
	s_delay_alu instid0(VALU_DEP_1) | instskip(SKIP_2) | instid1(VALU_DEP_1)
	v_cmp_eq_u32_e32 vcc_lo, 0, v4
	v_mov_b32_dpp v7, v4 row_shr:4 row_mask:0xf bank_mask:0xf
	s_and_b32 vcc_lo, s13, vcc_lo
	v_cndmask_b32_e64 v7, 0, v7, s13
	v_cndmask_b32_e32 v8, 0, v8, vcc_lo
	s_delay_alu instid0(VALU_DEP_2) | instskip(NEXT) | instid1(VALU_DEP_2)
	v_add_nc_u32_e32 v4, v7, v4
	v_add_nc_u32_e32 v5, v8, v5
	ds_store_b64 v6, v[4:5] offset:2064
.LBB920_90:
	s_or_b32 exec_lo, exec_lo, s14
	v_cmp_gt_u32_e32 vcc_lo, 32, v0
	v_dual_mov_b32 v37, 0 :: v_dual_mov_b32 v38, 0
	s_mov_b32 s14, exec_lo
	s_waitcnt lgkmcnt(0)
	s_barrier
	buffer_gl0_inv
	v_cmpx_lt_u32_e32 31, v0
	s_cbranch_execz .LBB920_92
; %bb.91:
	ds_load_b64 v[37:38], v3 offset:2056
	v_cmp_eq_u32_e64 s13, 0, v1
	s_waitcnt lgkmcnt(0)
	s_delay_alu instid0(VALU_DEP_1) | instskip(SKIP_1) | instid1(VALU_DEP_2)
	v_cndmask_b32_e64 v3, 0, v38, s13
	v_add_nc_u32_e32 v1, v37, v1
	v_add_nc_u32_e32 v2, v3, v2
.LBB920_92:
	s_or_b32 exec_lo, exec_lo, s14
	v_add_nc_u32_e32 v3, -1, v81
	s_delay_alu instid0(VALU_DEP_1) | instskip(NEXT) | instid1(VALU_DEP_1)
	v_cmp_gt_i32_e64 s13, 0, v3
	v_cndmask_b32_e64 v3, v3, v81, s13
	v_cmp_eq_u32_e64 s13, 0, v81
	s_delay_alu instid0(VALU_DEP_2)
	v_lshlrev_b32_e32 v3, 2, v3
	ds_bpermute_b32 v43, v3, v1
	ds_bpermute_b32 v44, v3, v2
	s_and_saveexec_b32 s22, vcc_lo
	s_cbranch_execz .LBB920_110
; %bb.93:
	v_mov_b32_e32 v4, 0
	ds_load_b64 v[1:2], v4 offset:2120
	s_waitcnt lgkmcnt(0)
	v_readfirstlane_b32 s23, v2
	s_and_saveexec_b32 s14, s13
	s_cbranch_execz .LBB920_95
; %bb.94:
	s_add_i32 s28, s15, 32
	s_mov_b32 s29, 0
	v_mov_b32_e32 v3, 1
	s_lshl_b64 s[34:35], s[28:29], 4
	s_mov_b32 s38, s29
	s_add_u32 s34, s20, s34
	s_addc_u32 s35, s21, s35
	s_and_b32 s39, s23, 0xff000000
	s_and_b32 s41, s23, 0xff0000
	s_mov_b32 s40, s29
	v_dual_mov_b32 v5, s34 :: v_dual_mov_b32 v6, s35
	s_or_b64 s[38:39], s[40:41], s[38:39]
	s_and_b32 s41, s23, 0xff00
	s_delay_alu instid0(SALU_CYCLE_1) | instskip(SKIP_1) | instid1(SALU_CYCLE_1)
	s_or_b64 s[38:39], s[38:39], s[40:41]
	s_and_b32 s41, s23, 0xff
	s_or_b64 s[28:29], s[38:39], s[40:41]
	s_delay_alu instid0(SALU_CYCLE_1)
	v_mov_b32_e32 v2, s29
	;;#ASMSTART
	global_store_dwordx4 v[5:6], v[1:4] off	
s_waitcnt vmcnt(0)
	;;#ASMEND
.LBB920_95:
	s_or_b32 exec_lo, exec_lo, s14
	v_xad_u32 v39, v81, -1, s15
	s_mov_b32 s28, 0
	s_mov_b32 s14, exec_lo
	s_delay_alu instid0(VALU_DEP_1) | instskip(NEXT) | instid1(VALU_DEP_1)
	v_add_nc_u32_e32 v3, 32, v39
	v_lshlrev_b64 v[2:3], 4, v[3:4]
	s_delay_alu instid0(VALU_DEP_1) | instskip(NEXT) | instid1(VALU_DEP_2)
	v_add_co_u32 v2, vcc_lo, s20, v2
	v_add_co_ci_u32_e32 v3, vcc_lo, s21, v3, vcc_lo
	;;#ASMSTART
	global_load_dwordx4 v[5:8], v[2:3] off glc	
s_waitcnt vmcnt(0)
	;;#ASMEND
	v_and_b32_e32 v4, 0xff, v6
	v_and_b32_e32 v8, 0xff00, v6
	v_and_b32_e32 v40, 0xff0000, v6
	v_or3_b32 v5, v5, 0, 0
	v_and_b32_e32 v6, 0xff000000, v6
	s_delay_alu instid0(VALU_DEP_4) | instskip(SKIP_1) | instid1(VALU_DEP_4)
	v_or3_b32 v4, 0, v4, v8
	v_and_b32_e32 v8, 0xff, v7
	v_or3_b32 v5, v5, 0, 0
	s_delay_alu instid0(VALU_DEP_3) | instskip(NEXT) | instid1(VALU_DEP_3)
	v_or3_b32 v6, v4, v40, v6
	v_cmpx_eq_u16_e32 0, v8
	s_cbranch_execz .LBB920_98
.LBB920_96:                             ; =>This Inner Loop Header: Depth=1
	;;#ASMSTART
	global_load_dwordx4 v[5:8], v[2:3] off glc	
s_waitcnt vmcnt(0)
	;;#ASMEND
	v_and_b32_e32 v4, 0xff, v7
	s_delay_alu instid0(VALU_DEP_1) | instskip(SKIP_1) | instid1(SALU_CYCLE_1)
	v_cmp_ne_u16_e32 vcc_lo, 0, v4
	s_or_b32 s28, vcc_lo, s28
	s_and_not1_b32 exec_lo, exec_lo, s28
	s_cbranch_execnz .LBB920_96
; %bb.97:
	s_or_b32 exec_lo, exec_lo, s28
.LBB920_98:
	s_delay_alu instid0(SALU_CYCLE_1)
	s_or_b32 exec_lo, exec_lo, s14
	v_cmp_ne_u32_e32 vcc_lo, 31, v81
	v_and_b32_e32 v3, 0xff, v7
	v_lshlrev_b32_e64 v45, v81, -1
	v_add_nc_u32_e32 v47, 2, v81
	v_add_nc_u32_e32 v49, 4, v81
	v_add_co_ci_u32_e32 v2, vcc_lo, 0, v81, vcc_lo
	v_cmp_eq_u16_e32 vcc_lo, 2, v3
	v_add_nc_u32_e32 v51, 8, v81
	v_add_nc_u32_e32 v53, 16, v81
	v_and_or_b32 v8, vcc_lo, v45, 0x80000000
	v_cmp_gt_u32_e32 vcc_lo, 30, v81
	s_delay_alu instid0(VALU_DEP_2) | instskip(SKIP_2) | instid1(VALU_DEP_3)
	v_ctz_i32_b32_e32 v8, v8
	v_cndmask_b32_e64 v40, 0, 1, vcc_lo
	v_cmp_eq_u32_e32 vcc_lo, 0, v5
	v_cmp_lt_u32_e64 s14, v81, v8
	s_delay_alu instid0(VALU_DEP_3) | instskip(NEXT) | instid1(VALU_DEP_2)
	v_lshlrev_b32_e32 v40, 1, v40
	s_and_b32 vcc_lo, s14, vcc_lo
	v_lshlrev_b32_e32 v2, 2, v2
	s_delay_alu instid0(VALU_DEP_2)
	v_add_lshl_u32 v46, v40, v81, 2
	ds_bpermute_b32 v3, v2, v6
	s_waitcnt lgkmcnt(0)
	v_cndmask_b32_e32 v3, 0, v3, vcc_lo
	ds_bpermute_b32 v4, v2, v5
	v_cmp_gt_u32_e32 vcc_lo, 28, v81
	v_add_nc_u32_e32 v3, v3, v6
	ds_bpermute_b32 v6, v46, v3
	s_waitcnt lgkmcnt(1)
	v_cndmask_b32_e64 v4, 0, v4, s14
	s_delay_alu instid0(VALU_DEP_1) | instskip(SKIP_1) | instid1(VALU_DEP_2)
	v_add_nc_u32_e32 v4, v4, v5
	v_cndmask_b32_e64 v5, 0, 1, vcc_lo
	v_cmp_eq_u32_e32 vcc_lo, 0, v4
	ds_bpermute_b32 v40, v46, v4
	s_waitcnt lgkmcnt(1)
	v_dual_cndmask_b32 v6, 0, v6 :: v_dual_lshlrev_b32 v5, 2, v5
	v_cmp_gt_u32_e32 vcc_lo, v47, v8
	s_delay_alu instid0(VALU_DEP_2) | instskip(NEXT) | instid1(VALU_DEP_3)
	v_add_lshl_u32 v48, v5, v81, 2
	v_cndmask_b32_e64 v6, v6, 0, vcc_lo
	s_delay_alu instid0(VALU_DEP_1) | instskip(SKIP_4) | instid1(VALU_DEP_2)
	v_add_nc_u32_e32 v3, v6, v3
	ds_bpermute_b32 v5, v48, v3
	s_waitcnt lgkmcnt(1)
	v_cndmask_b32_e64 v6, v40, 0, vcc_lo
	v_cmp_gt_u32_e32 vcc_lo, 24, v81
	v_add_nc_u32_e32 v4, v4, v6
	v_cndmask_b32_e64 v40, 0, 1, vcc_lo
	ds_bpermute_b32 v6, v48, v4
	v_cmp_eq_u32_e32 vcc_lo, 0, v4
	v_lshlrev_b32_e32 v40, 3, v40
	s_delay_alu instid0(VALU_DEP_1) | instskip(SKIP_3) | instid1(VALU_DEP_2)
	v_add_lshl_u32 v50, v40, v81, 2
	s_waitcnt lgkmcnt(1)
	v_cndmask_b32_e32 v5, 0, v5, vcc_lo
	v_cmp_gt_u32_e32 vcc_lo, v49, v8
	v_cndmask_b32_e64 v5, v5, 0, vcc_lo
	s_delay_alu instid0(VALU_DEP_1)
	v_add_nc_u32_e32 v3, v3, v5
	s_waitcnt lgkmcnt(0)
	v_cndmask_b32_e64 v6, v6, 0, vcc_lo
	v_cmp_gt_u32_e32 vcc_lo, 16, v81
	ds_bpermute_b32 v5, v50, v3
	v_add_nc_u32_e32 v4, v4, v6
	v_cndmask_b32_e64 v40, 0, 1, vcc_lo
	ds_bpermute_b32 v6, v50, v4
	v_cmp_eq_u32_e32 vcc_lo, 0, v4
	v_lshlrev_b32_e32 v40, 4, v40
	s_delay_alu instid0(VALU_DEP_1) | instskip(SKIP_3) | instid1(VALU_DEP_2)
	v_add_lshl_u32 v52, v40, v81, 2
	s_waitcnt lgkmcnt(1)
	v_dual_mov_b32 v40, 0 :: v_dual_cndmask_b32 v5, 0, v5
	v_cmp_gt_u32_e32 vcc_lo, v51, v8
	v_cndmask_b32_e64 v5, v5, 0, vcc_lo
	s_delay_alu instid0(VALU_DEP_1)
	v_add_nc_u32_e32 v3, v3, v5
	s_waitcnt lgkmcnt(0)
	v_cndmask_b32_e64 v5, v6, 0, vcc_lo
	ds_bpermute_b32 v6, v52, v3
	v_add_nc_u32_e32 v4, v4, v5
	ds_bpermute_b32 v5, v52, v4
	v_cmp_eq_u32_e32 vcc_lo, 0, v4
	s_waitcnt lgkmcnt(1)
	v_cndmask_b32_e32 v6, 0, v6, vcc_lo
	v_cmp_gt_u32_e32 vcc_lo, v53, v8
	s_delay_alu instid0(VALU_DEP_2) | instskip(SKIP_2) | instid1(VALU_DEP_2)
	v_cndmask_b32_e64 v6, v6, 0, vcc_lo
	s_waitcnt lgkmcnt(0)
	v_cndmask_b32_e64 v5, v5, 0, vcc_lo
	v_add_nc_u32_e32 v6, v6, v3
	s_delay_alu instid0(VALU_DEP_2)
	v_add_nc_u32_e32 v5, v5, v4
	s_branch .LBB920_100
.LBB920_99:                             ;   in Loop: Header=BB920_100 Depth=1
	s_or_b32 exec_lo, exec_lo, s14
	v_and_b32_e32 v8, 0xff, v7
	ds_bpermute_b32 v41, v2, v5
	v_subrev_nc_u32_e32 v39, 32, v39
	v_cmp_eq_u16_e32 vcc_lo, 2, v8
	ds_bpermute_b32 v8, v2, v6
	v_and_or_b32 v42, vcc_lo, v45, 0x80000000
	v_cmp_eq_u32_e32 vcc_lo, 0, v5
	s_delay_alu instid0(VALU_DEP_2) | instskip(NEXT) | instid1(VALU_DEP_1)
	v_ctz_i32_b32_e32 v42, v42
	v_cmp_lt_u32_e64 s14, v81, v42
	s_delay_alu instid0(VALU_DEP_1) | instskip(SKIP_4) | instid1(VALU_DEP_2)
	s_and_b32 vcc_lo, s14, vcc_lo
	s_waitcnt lgkmcnt(1)
	v_cndmask_b32_e64 v41, 0, v41, s14
	s_waitcnt lgkmcnt(0)
	v_cndmask_b32_e32 v8, 0, v8, vcc_lo
	v_add_nc_u32_e32 v5, v41, v5
	s_delay_alu instid0(VALU_DEP_2)
	v_add_nc_u32_e32 v6, v8, v6
	ds_bpermute_b32 v41, v46, v5
	ds_bpermute_b32 v8, v46, v6
	v_cmp_eq_u32_e32 vcc_lo, 0, v5
	s_waitcnt lgkmcnt(0)
	v_cndmask_b32_e32 v8, 0, v8, vcc_lo
	v_cmp_gt_u32_e32 vcc_lo, v47, v42
	v_cndmask_b32_e64 v41, v41, 0, vcc_lo
	s_delay_alu instid0(VALU_DEP_1) | instskip(NEXT) | instid1(VALU_DEP_4)
	v_add_nc_u32_e32 v5, v5, v41
	v_cndmask_b32_e64 v8, v8, 0, vcc_lo
	ds_bpermute_b32 v41, v48, v5
	v_add_nc_u32_e32 v6, v8, v6
	v_cmp_eq_u32_e32 vcc_lo, 0, v5
	ds_bpermute_b32 v8, v48, v6
	s_waitcnt lgkmcnt(0)
	v_cndmask_b32_e32 v8, 0, v8, vcc_lo
	v_cmp_gt_u32_e32 vcc_lo, v49, v42
	v_cndmask_b32_e64 v41, v41, 0, vcc_lo
	s_delay_alu instid0(VALU_DEP_1) | instskip(NEXT) | instid1(VALU_DEP_4)
	v_add_nc_u32_e32 v5, v5, v41
	v_cndmask_b32_e64 v8, v8, 0, vcc_lo
	ds_bpermute_b32 v41, v50, v5
	v_add_nc_u32_e32 v6, v6, v8
	v_cmp_eq_u32_e32 vcc_lo, 0, v5
	ds_bpermute_b32 v8, v50, v6
	;; [unrolled: 11-line block ×3, first 2 shown]
	s_waitcnt lgkmcnt(0)
	v_cndmask_b32_e32 v8, 0, v8, vcc_lo
	v_cmp_gt_u32_e32 vcc_lo, v53, v42
	s_delay_alu instid0(VALU_DEP_2) | instskip(NEXT) | instid1(VALU_DEP_1)
	v_cndmask_b32_e64 v8, v8, 0, vcc_lo
	v_add_nc_u32_e32 v6, v8, v6
	v_cndmask_b32_e64 v8, v41, 0, vcc_lo
	v_cmp_eq_u32_e32 vcc_lo, 0, v3
	s_delay_alu instid0(VALU_DEP_2) | instskip(NEXT) | instid1(VALU_DEP_4)
	v_add3_u32 v5, v5, v3, v8
	v_cndmask_b32_e32 v6, 0, v6, vcc_lo
	s_delay_alu instid0(VALU_DEP_1)
	v_add_nc_u32_e32 v6, v6, v4
.LBB920_100:                            ; =>This Loop Header: Depth=1
                                        ;     Child Loop BB920_103 Depth 2
	s_delay_alu instid0(VALU_DEP_1) | instskip(NEXT) | instid1(VALU_DEP_1)
	v_dual_mov_b32 v4, v6 :: v_dual_and_b32 v3, 0xff, v7
	v_cmp_ne_u16_e32 vcc_lo, 2, v3
	v_cndmask_b32_e64 v3, 0, 1, vcc_lo
	;;#ASMSTART
	;;#ASMEND
	s_delay_alu instid0(VALU_DEP_1)
	v_cmp_ne_u32_e32 vcc_lo, 0, v3
	v_mov_b32_e32 v3, v5
	s_cmp_lg_u32 vcc_lo, exec_lo
	s_cbranch_scc1 .LBB920_105
; %bb.101:                              ;   in Loop: Header=BB920_100 Depth=1
	v_lshlrev_b64 v[5:6], 4, v[39:40]
	s_mov_b32 s14, exec_lo
	s_delay_alu instid0(VALU_DEP_1) | instskip(NEXT) | instid1(VALU_DEP_2)
	v_add_co_u32 v41, vcc_lo, s20, v5
	v_add_co_ci_u32_e32 v42, vcc_lo, s21, v6, vcc_lo
	;;#ASMSTART
	global_load_dwordx4 v[5:8], v[41:42] off glc	
s_waitcnt vmcnt(0)
	;;#ASMEND
	v_and_b32_e32 v8, 0xff, v6
	v_and_b32_e32 v54, 0xff00, v6
	;; [unrolled: 1-line block ×3, first 2 shown]
	v_or3_b32 v5, v5, 0, 0
	v_and_b32_e32 v6, 0xff000000, v6
	s_delay_alu instid0(VALU_DEP_4) | instskip(SKIP_1) | instid1(VALU_DEP_4)
	v_or3_b32 v8, 0, v8, v54
	v_and_b32_e32 v54, 0xff, v7
	v_or3_b32 v5, v5, 0, 0
	s_delay_alu instid0(VALU_DEP_3) | instskip(NEXT) | instid1(VALU_DEP_3)
	v_or3_b32 v6, v8, v55, v6
	v_cmpx_eq_u16_e32 0, v54
	s_cbranch_execz .LBB920_99
; %bb.102:                              ;   in Loop: Header=BB920_100 Depth=1
	s_mov_b32 s28, 0
.LBB920_103:                            ;   Parent Loop BB920_100 Depth=1
                                        ; =>  This Inner Loop Header: Depth=2
	;;#ASMSTART
	global_load_dwordx4 v[5:8], v[41:42] off glc	
s_waitcnt vmcnt(0)
	;;#ASMEND
	v_and_b32_e32 v8, 0xff, v7
	s_delay_alu instid0(VALU_DEP_1) | instskip(SKIP_1) | instid1(SALU_CYCLE_1)
	v_cmp_ne_u16_e32 vcc_lo, 0, v8
	s_or_b32 s28, vcc_lo, s28
	s_and_not1_b32 exec_lo, exec_lo, s28
	s_cbranch_execnz .LBB920_103
; %bb.104:                              ;   in Loop: Header=BB920_100 Depth=1
	s_or_b32 exec_lo, exec_lo, s28
	s_branch .LBB920_99
.LBB920_105:                            ;   in Loop: Header=BB920_100 Depth=1
                                        ; implicit-def: $vgpr6
                                        ; implicit-def: $vgpr5
                                        ; implicit-def: $vgpr7
	s_cbranch_execz .LBB920_100
; %bb.106:
	s_and_saveexec_b32 s14, s13
	s_cbranch_execz .LBB920_108
; %bb.107:
	v_cmp_eq_u32_e32 vcc_lo, 0, v1
	s_mov_b32 s29, 0
	s_add_i32 s28, s15, 32
	v_add_nc_u32_e32 v5, v3, v1
	s_lshl_b64 s[28:29], s[28:29], 4
	v_cndmask_b32_e32 v2, 0, v4, vcc_lo
	s_add_u32 s28, s20, s28
	s_addc_u32 s29, s21, s29
	v_mov_b32_e32 v8, 0
	s_delay_alu instid0(VALU_DEP_2) | instskip(NEXT) | instid1(VALU_DEP_1)
	v_add_nc_u32_e32 v2, s23, v2
	v_and_b32_e32 v6, 0xff000000, v2
	v_and_b32_e32 v7, 0xff0000, v2
	s_delay_alu instid0(VALU_DEP_1) | instskip(SKIP_3) | instid1(VALU_DEP_1)
	v_or_b32_e32 v6, v7, v6
	v_mov_b32_e32 v7, 2
	v_and_b32_e32 v39, 0xff00, v2
	v_and_b32_e32 v2, 0xff, v2
	v_or3_b32 v6, v6, v39, v2
	v_mov_b32_e32 v2, s23
	v_dual_mov_b32 v40, s29 :: v_dual_mov_b32 v39, s28
	;;#ASMSTART
	global_store_dwordx4 v[39:40], v[5:8] off	
s_waitcnt vmcnt(0)
	;;#ASMEND
	ds_store_b128 v8, v[1:4] offset:2048
.LBB920_108:
	s_or_b32 exec_lo, exec_lo, s14
	v_cmp_eq_u32_e32 vcc_lo, 0, v0
	s_and_b32 exec_lo, exec_lo, vcc_lo
	s_cbranch_execz .LBB920_110
; %bb.109:
	v_mov_b32_e32 v1, 0
	ds_store_b64 v1, v[3:4] offset:2120
.LBB920_110:
	s_or_b32 exec_lo, exec_lo, s22
	s_waitcnt lgkmcnt(1)
	v_cndmask_b32_e64 v4, v43, v37, s13
	s_waitcnt lgkmcnt(0)
	s_barrier
	buffer_gl0_inv
	v_cndmask_b32_e64 v5, v44, v38, s13
	v_cmp_eq_u32_e32 vcc_lo, 0, v4
	v_mov_b32_e32 v3, 0
	v_cmp_eq_u32_e64 s13, 0, v79
	ds_load_b64 v[1:2], v3 offset:2120
	s_waitcnt lgkmcnt(0)
	s_barrier
	buffer_gl0_inv
	v_cndmask_b32_e32 v6, 0, v2, vcc_lo
	v_cmp_eq_u32_e32 vcc_lo, 0, v0
	s_delay_alu instid0(VALU_DEP_2) | instskip(NEXT) | instid1(VALU_DEP_1)
	v_add_nc_u32_e32 v5, v6, v5
	v_cndmask_b32_e32 v54, v5, v2, vcc_lo
	s_delay_alu instid0(VALU_DEP_1) | instskip(NEXT) | instid1(VALU_DEP_1)
	v_cndmask_b32_e64 v2, 0, v54, s13
	v_add_nc_u32_e32 v60, v2, v35
	s_delay_alu instid0(VALU_DEP_1) | instskip(NEXT) | instid1(VALU_DEP_1)
	v_cndmask_b32_e64 v2, 0, v60, s12
	v_add_nc_u32_e32 v56, v2, v36
	;; [unrolled: 3-line block ×6, first 2 shown]
	v_cndmask_b32_e64 v2, v4, 0, vcc_lo
	s_delay_alu instid0(VALU_DEP_2) | instskip(NEXT) | instid1(VALU_DEP_2)
	v_cndmask_b32_e64 v4, 0, v40, s7
	v_add_nc_u32_e32 v53, v1, v2
	s_delay_alu instid0(VALU_DEP_2) | instskip(NEXT) | instid1(VALU_DEP_2)
	v_add_nc_u32_e32 v44, v4, v29
	v_add_nc_u32_e32 v59, v53, v79
	s_delay_alu instid0(VALU_DEP_2) | instskip(NEXT) | instid1(VALU_DEP_2)
	v_cndmask_b32_e64 v1, 0, v44, s6
	v_add_nc_u32_e32 v55, v59, v77
	s_delay_alu instid0(VALU_DEP_2) | instskip(NEXT) | instid1(VALU_DEP_2)
	v_add_nc_u32_e32 v48, v1, v30
	v_add_nc_u32_e32 v51, v55, v76
	;; [unrolled: 6-line block ×4, first 2 shown]
	s_delay_alu instid0(VALU_DEP_2) | instskip(NEXT) | instid1(VALU_DEP_2)
	v_cndmask_b32_e64 v1, 0, v8, s3
	v_add_nc_u32_e32 v47, v43, v71
	s_delay_alu instid0(VALU_DEP_2) | instskip(SKIP_3) | instid1(VALU_DEP_2)
	v_add_nc_u32_e32 v38, v1, v25
	ds_load_b128 v[1:4], v3 offset:2048
	v_add_nc_u32_e32 v5, v47, v70
	v_cndmask_b32_e64 v37, 0, v38, s2
	v_add_nc_u32_e32 v7, v5, v68
	s_delay_alu instid0(VALU_DEP_2) | instskip(NEXT) | instid1(VALU_DEP_2)
	v_add_nc_u32_e32 v62, v37, v26
	v_add_nc_u32_e32 v37, v7, v67
	s_delay_alu instid0(VALU_DEP_2) | instskip(NEXT) | instid1(VALU_DEP_2)
	v_cndmask_b32_e64 v49, 0, v62, s1
	v_add_nc_u32_e32 v61, v37, v66
	s_delay_alu instid0(VALU_DEP_2) | instskip(SKIP_2) | instid1(VALU_DEP_3)
	v_add_nc_u32_e32 v58, v49, v23
	s_waitcnt lgkmcnt(0)
	v_cmp_eq_u32_e32 vcc_lo, 0, v1
	v_add_nc_u32_e32 v57, v61, v65
	s_delay_alu instid0(VALU_DEP_3) | instskip(SKIP_1) | instid1(VALU_DEP_3)
	v_cndmask_b32_e64 v50, 0, v58, s0
	v_cndmask_b32_e32 v4, 0, v4, vcc_lo
	v_add_nc_u32_e32 v49, v57, v64
	s_delay_alu instid0(VALU_DEP_3) | instskip(NEXT) | instid1(VALU_DEP_3)
	v_add_nc_u32_e32 v50, v50, v24
	v_add_nc_u32_e32 v80, v4, v2
	s_branch .LBB920_123
.LBB920_111:
                                        ; implicit-def: $vgpr1
                                        ; implicit-def: $vgpr80
                                        ; implicit-def: $vgpr53_vgpr54
                                        ; implicit-def: $vgpr59_vgpr60
                                        ; implicit-def: $vgpr55_vgpr56
                                        ; implicit-def: $vgpr51_vgpr52
                                        ; implicit-def: $vgpr45_vgpr46
                                        ; implicit-def: $vgpr41_vgpr42
                                        ; implicit-def: $vgpr39_vgpr40
                                        ; implicit-def: $vgpr43_vgpr44
                                        ; implicit-def: $vgpr47_vgpr48
                                        ; implicit-def: $vgpr5_vgpr6
                                        ; implicit-def: $vgpr7_vgpr8
                                        ; implicit-def: $vgpr37_vgpr38
                                        ; implicit-def: $vgpr61_vgpr62
                                        ; implicit-def: $vgpr57_vgpr58
                                        ; implicit-def: $vgpr49_vgpr50
	s_cbranch_execz .LBB920_123
; %bb.112:
	s_and_b32 s0, s16, exec_lo
	v_mov_b32_e32 v49, v35
	s_cselect_b32 s1, 0, s19
	s_cselect_b32 s0, 0, s18
	s_delay_alu instid0(SALU_CYCLE_1)
	s_cmp_eq_u64 s[0:1], 0
	s_cbranch_scc1 .LBB920_114
; %bb.113:
	v_mov_b32_e32 v1, 0
	global_load_b32 v49, v1, s[0:1]
.LBB920_114:
	v_cmp_eq_u32_e64 s6, 0, v77
	v_cmp_eq_u32_e64 s7, 0, v76
	;; [unrolled: 1-line block ×5, first 2 shown]
	v_cndmask_b32_e64 v1, 0, v35, s6
	v_cmp_eq_u32_e64 s11, 0, v72
	v_cmp_eq_u32_e64 s5, 0, v71
	;; [unrolled: 1-line block ×4, first 2 shown]
	v_add_nc_u32_e32 v1, v1, v36
	v_cmp_eq_u32_e64 s2, 0, v67
	v_add3_u32 v2, v84, v73, v72
	v_cmp_eq_u32_e64 s1, 0, v66
	v_cmp_eq_u32_e32 vcc_lo, 0, v65
	v_cndmask_b32_e64 v1, 0, v1, s7
	v_cmp_eq_u32_e64 s0, 0, v64
	v_add3_u32 v2, v2, v71, v70
	v_cmp_eq_u32_e64 s12, 0, v69
	v_and_b32_e32 v4, 15, v81
	v_add_nc_u32_e32 v1, v1, v33
	s_delay_alu instid0(VALU_DEP_4) | instskip(NEXT) | instid1(VALU_DEP_3)
	v_add3_u32 v2, v2, v68, v67
	v_cmp_lt_u32_e64 s13, 1, v4
	s_delay_alu instid0(VALU_DEP_3) | instskip(NEXT) | instid1(VALU_DEP_3)
	v_cndmask_b32_e64 v1, 0, v1, s8
	v_add3_u32 v2, v2, v66, v65
	s_delay_alu instid0(VALU_DEP_2) | instskip(NEXT) | instid1(VALU_DEP_2)
	v_add_nc_u32_e32 v1, v1, v34
	v_add3_u32 v2, v2, v64, v69
	s_delay_alu instid0(VALU_DEP_2) | instskip(NEXT) | instid1(VALU_DEP_2)
	v_cndmask_b32_e64 v1, 0, v1, s9
	v_mov_b32_dpp v5, v2 row_shr:1 row_mask:0xf bank_mask:0xf
	s_delay_alu instid0(VALU_DEP_2) | instskip(NEXT) | instid1(VALU_DEP_1)
	v_add_nc_u32_e32 v1, v1, v31
	v_cndmask_b32_e64 v1, 0, v1, s10
	s_delay_alu instid0(VALU_DEP_1) | instskip(NEXT) | instid1(VALU_DEP_1)
	v_add_nc_u32_e32 v1, v1, v32
	v_cndmask_b32_e64 v1, 0, v1, s11
	s_delay_alu instid0(VALU_DEP_1) | instskip(NEXT) | instid1(VALU_DEP_1)
	;; [unrolled: 3-line block ×7, first 2 shown]
	v_add_nc_u32_e32 v1, v1, v26
	v_cndmask_b32_e32 v1, 0, v1, vcc_lo
	s_delay_alu instid0(VALU_DEP_1) | instskip(NEXT) | instid1(VALU_DEP_1)
	v_add_nc_u32_e32 v1, v1, v23
	v_cndmask_b32_e64 v1, 0, v1, s0
	s_delay_alu instid0(VALU_DEP_1) | instskip(NEXT) | instid1(VALU_DEP_1)
	v_add_nc_u32_e32 v1, v1, v24
	v_cndmask_b32_e64 v1, 0, v1, s12
	v_cmp_eq_u32_e64 s12, 0, v2
	s_delay_alu instid0(VALU_DEP_2) | instskip(NEXT) | instid1(VALU_DEP_1)
	v_add_nc_u32_e32 v1, v1, v78
	v_mov_b32_dpp v3, v1 row_shr:1 row_mask:0xf bank_mask:0xf
	s_delay_alu instid0(VALU_DEP_1) | instskip(SKIP_1) | instid1(VALU_DEP_1)
	v_cndmask_b32_e64 v3, 0, v3, s12
	v_cmp_eq_u32_e64 s12, 0, v4
	v_cndmask_b32_e64 v5, v5, 0, s12
	s_delay_alu instid0(VALU_DEP_3) | instskip(NEXT) | instid1(VALU_DEP_2)
	v_cndmask_b32_e64 v3, v3, 0, s12
	v_add_nc_u32_e32 v2, v5, v2
	s_delay_alu instid0(VALU_DEP_2) | instskip(NEXT) | instid1(VALU_DEP_2)
	v_add_nc_u32_e32 v1, v3, v1
	v_mov_b32_dpp v3, v2 row_shr:2 row_mask:0xf bank_mask:0xf
	v_cmp_eq_u32_e64 s12, 0, v2
	s_delay_alu instid0(VALU_DEP_3) | instskip(NEXT) | instid1(VALU_DEP_3)
	v_mov_b32_dpp v5, v1 row_shr:2 row_mask:0xf bank_mask:0xf
	v_cndmask_b32_e64 v3, 0, v3, s13
	s_delay_alu instid0(VALU_DEP_3) | instskip(SKIP_1) | instid1(VALU_DEP_3)
	s_and_b32 s12, s13, s12
	v_cmp_lt_u32_e64 s13, 3, v4
	v_cndmask_b32_e64 v5, 0, v5, s12
	s_delay_alu instid0(VALU_DEP_3) | instskip(NEXT) | instid1(VALU_DEP_2)
	v_add_nc_u32_e32 v2, v2, v3
	v_add_nc_u32_e32 v1, v5, v1
	s_delay_alu instid0(VALU_DEP_2) | instskip(SKIP_1) | instid1(VALU_DEP_3)
	v_mov_b32_dpp v3, v2 row_shr:4 row_mask:0xf bank_mask:0xf
	v_cmp_eq_u32_e64 s12, 0, v2
	v_mov_b32_dpp v5, v1 row_shr:4 row_mask:0xf bank_mask:0xf
	s_delay_alu instid0(VALU_DEP_3) | instskip(NEXT) | instid1(VALU_DEP_3)
	v_cndmask_b32_e64 v3, 0, v3, s13
	s_and_b32 s12, s13, s12
	v_cmp_lt_u32_e64 s13, 7, v4
	s_delay_alu instid0(VALU_DEP_3) | instskip(NEXT) | instid1(VALU_DEP_3)
	v_cndmask_b32_e64 v5, 0, v5, s12
	v_add_nc_u32_e32 v2, v3, v2
	s_delay_alu instid0(VALU_DEP_2) | instskip(SKIP_1) | instid1(VALU_DEP_3)
	v_add_nc_u32_e32 v1, v1, v5
	v_bfe_i32 v5, v81, 4, 1
	v_cmp_eq_u32_e64 s12, 0, v2
	v_mov_b32_dpp v3, v2 row_shr:8 row_mask:0xf bank_mask:0xf
	s_delay_alu instid0(VALU_DEP_4) | instskip(NEXT) | instid1(VALU_DEP_3)
	v_mov_b32_dpp v4, v1 row_shr:8 row_mask:0xf bank_mask:0xf
	s_and_b32 s12, s13, s12
	s_delay_alu instid0(VALU_DEP_2) | instskip(SKIP_1) | instid1(VALU_DEP_2)
	v_cndmask_b32_e64 v3, 0, v3, s13
	s_mov_b32 s13, exec_lo
	v_cndmask_b32_e64 v4, 0, v4, s12
	s_delay_alu instid0(VALU_DEP_1) | instskip(NEXT) | instid1(VALU_DEP_3)
	v_add_nc_u32_e32 v4, v4, v1
	v_add_nc_u32_e32 v1, v3, v2
	ds_swizzle_b32 v2, v4 offset:swizzle(BROADCAST,32,15)
	ds_swizzle_b32 v3, v1 offset:swizzle(BROADCAST,32,15)
	v_cmp_eq_u32_e64 s12, 0, v1
	s_waitcnt lgkmcnt(1)
	s_delay_alu instid0(VALU_DEP_1) | instskip(SKIP_2) | instid1(VALU_DEP_2)
	v_cndmask_b32_e64 v2, 0, v2, s12
	s_waitcnt lgkmcnt(0)
	v_and_b32_e32 v3, v5, v3
	v_and_b32_e32 v2, v5, v2
	s_delay_alu instid0(VALU_DEP_2) | instskip(NEXT) | instid1(VALU_DEP_2)
	v_add_nc_u32_e32 v1, v3, v1
	v_add_nc_u32_e32 v2, v2, v4
	v_lshlrev_b32_e32 v4, 3, v82
	v_cmpx_eq_u32_e64 v83, v0
	s_cbranch_execz .LBB920_116
; %bb.115:
	ds_store_b64 v4, v[1:2] offset:2064
.LBB920_116:
	s_or_b32 exec_lo, exec_lo, s13
	s_delay_alu instid0(SALU_CYCLE_1)
	s_mov_b32 s14, exec_lo
	s_waitcnt vmcnt(0) lgkmcnt(0)
	s_barrier
	buffer_gl0_inv
	v_cmpx_gt_u32_e32 8, v0
	s_cbranch_execz .LBB920_118
; %bb.117:
	v_lshlrev_b32_e32 v3, 3, v0
	v_and_b32_e32 v8, 7, v81
	ds_load_b64 v[5:6], v3 offset:2064
	v_cmp_lt_u32_e64 s13, 1, v8
	s_waitcnt lgkmcnt(0)
	v_mov_b32_dpp v7, v6 row_shr:1 row_mask:0xf bank_mask:0xf
	v_cmp_eq_u32_e64 s12, 0, v5
	v_mov_b32_dpp v37, v5 row_shr:1 row_mask:0xf bank_mask:0xf
	s_delay_alu instid0(VALU_DEP_2) | instskip(SKIP_1) | instid1(VALU_DEP_1)
	v_cndmask_b32_e64 v7, 0, v7, s12
	v_cmp_eq_u32_e64 s12, 0, v8
	v_cndmask_b32_e64 v37, v37, 0, s12
	s_delay_alu instid0(VALU_DEP_3) | instskip(NEXT) | instid1(VALU_DEP_2)
	v_cndmask_b32_e64 v7, v7, 0, s12
	v_add_nc_u32_e32 v5, v37, v5
	s_delay_alu instid0(VALU_DEP_2) | instskip(NEXT) | instid1(VALU_DEP_2)
	v_add_nc_u32_e32 v6, v7, v6
	v_mov_b32_dpp v7, v5 row_shr:2 row_mask:0xf bank_mask:0xf
	v_cmp_eq_u32_e64 s12, 0, v5
	s_delay_alu instid0(VALU_DEP_3) | instskip(NEXT) | instid1(VALU_DEP_3)
	v_mov_b32_dpp v37, v6 row_shr:2 row_mask:0xf bank_mask:0xf
	v_cndmask_b32_e64 v7, 0, v7, s13
	s_delay_alu instid0(VALU_DEP_3) | instskip(SKIP_1) | instid1(VALU_DEP_3)
	s_and_b32 s12, s13, s12
	v_cmp_lt_u32_e64 s13, 3, v8
	v_cndmask_b32_e64 v37, 0, v37, s12
	s_delay_alu instid0(VALU_DEP_3) | instskip(NEXT) | instid1(VALU_DEP_2)
	v_add_nc_u32_e32 v5, v7, v5
	v_add_nc_u32_e32 v6, v37, v6
	s_delay_alu instid0(VALU_DEP_2) | instskip(SKIP_1) | instid1(VALU_DEP_3)
	v_cmp_eq_u32_e64 s12, 0, v5
	v_mov_b32_dpp v7, v5 row_shr:4 row_mask:0xf bank_mask:0xf
	v_mov_b32_dpp v8, v6 row_shr:4 row_mask:0xf bank_mask:0xf
	s_delay_alu instid0(VALU_DEP_3) | instskip(NEXT) | instid1(VALU_DEP_2)
	s_and_b32 s12, s13, s12
	v_cndmask_b32_e64 v7, 0, v7, s13
	s_delay_alu instid0(VALU_DEP_2) | instskip(NEXT) | instid1(VALU_DEP_2)
	v_cndmask_b32_e64 v8, 0, v8, s12
	v_add_nc_u32_e32 v5, v7, v5
	s_delay_alu instid0(VALU_DEP_2)
	v_add_nc_u32_e32 v6, v8, v6
	ds_store_b64 v3, v[5:6] offset:2064
.LBB920_118:
	s_or_b32 exec_lo, exec_lo, s14
	v_mov_b32_e32 v7, 0
	v_mov_b32_e32 v3, 0
	v_mov_b32_e32 v5, v49
	s_mov_b32 s13, exec_lo
	s_waitcnt lgkmcnt(0)
	s_barrier
	buffer_gl0_inv
	v_cmpx_lt_u32_e32 31, v0
	s_cbranch_execz .LBB920_120
; %bb.119:
	ds_load_b64 v[3:4], v4 offset:2056
	s_waitcnt lgkmcnt(0)
	v_cmp_eq_u32_e64 s12, 0, v3
	s_delay_alu instid0(VALU_DEP_1) | instskip(NEXT) | instid1(VALU_DEP_1)
	v_cndmask_b32_e64 v5, 0, v49, s12
	v_add_nc_u32_e32 v5, v5, v4
.LBB920_120:
	s_or_b32 exec_lo, exec_lo, s13
	v_add_nc_u32_e32 v4, -1, v81
	v_cmp_eq_u32_e64 s13, 0, v79
	s_delay_alu instid0(VALU_DEP_2) | instskip(NEXT) | instid1(VALU_DEP_1)
	v_cmp_gt_i32_e64 s12, 0, v4
	v_cndmask_b32_e64 v4, v4, v81, s12
	v_cmp_eq_u32_e64 s12, 0, v1
	v_add_nc_u32_e32 v1, v3, v1
	s_delay_alu instid0(VALU_DEP_3) | instskip(NEXT) | instid1(VALU_DEP_3)
	v_lshlrev_b32_e32 v4, 2, v4
	v_cndmask_b32_e64 v6, 0, v5, s12
	v_cmp_eq_u32_e64 s12, 0, v81
	ds_bpermute_b32 v1, v4, v1
	v_add_nc_u32_e32 v2, v6, v2
	ds_bpermute_b32 v2, v4, v2
	s_waitcnt lgkmcnt(1)
	v_cndmask_b32_e64 v1, v1, v3, s12
	s_waitcnt lgkmcnt(0)
	v_cndmask_b32_e64 v2, v2, v5, s12
	v_cmp_eq_u32_e64 s12, 0, v0
	s_delay_alu instid0(VALU_DEP_1) | instskip(SKIP_1) | instid1(VALU_DEP_2)
	v_cndmask_b32_e64 v54, v2, v49, s12
	v_cndmask_b32_e64 v53, v1, 0, s12
	v_cndmask_b32_e64 v2, 0, v54, s13
	s_delay_alu instid0(VALU_DEP_1) | instskip(NEXT) | instid1(VALU_DEP_1)
	v_add_nc_u32_e32 v60, v2, v35
	v_cndmask_b32_e64 v2, 0, v60, s6
	s_delay_alu instid0(VALU_DEP_1) | instskip(NEXT) | instid1(VALU_DEP_1)
	v_add_nc_u32_e32 v56, v2, v36
	v_cndmask_b32_e64 v2, 0, v56, s7
	;; [unrolled: 3-line block ×10, first 2 shown]
	s_delay_alu instid0(VALU_DEP_1) | instskip(SKIP_2) | instid1(VALU_DEP_1)
	v_add_nc_u32_e32 v38, v1, v25
	ds_load_b64 v[1:2], v7 offset:2120
	v_cndmask_b32_e64 v3, 0, v38, s1
	v_add_nc_u32_e32 v62, v3, v26
	s_delay_alu instid0(VALU_DEP_1) | instskip(NEXT) | instid1(VALU_DEP_1)
	v_cndmask_b32_e32 v3, 0, v62, vcc_lo
	v_add_nc_u32_e32 v58, v3, v23
	s_waitcnt lgkmcnt(0)
	v_cmp_eq_u32_e32 vcc_lo, 0, v1
	v_add_nc_u32_e32 v59, v53, v79
	s_delay_alu instid0(VALU_DEP_3) | instskip(SKIP_1) | instid1(VALU_DEP_3)
	v_cndmask_b32_e64 v3, 0, v58, s0
	v_cndmask_b32_e32 v4, 0, v49, vcc_lo
	v_add_nc_u32_e32 v55, v59, v77
	s_delay_alu instid0(VALU_DEP_3) | instskip(NEXT) | instid1(VALU_DEP_3)
	v_add_nc_u32_e32 v50, v3, v24
	v_add_nc_u32_e32 v80, v4, v2
	s_delay_alu instid0(VALU_DEP_3) | instskip(NEXT) | instid1(VALU_DEP_1)
	v_add_nc_u32_e32 v51, v55, v76
	v_add_nc_u32_e32 v45, v51, v75
	s_delay_alu instid0(VALU_DEP_1) | instskip(NEXT) | instid1(VALU_DEP_1)
	v_add_nc_u32_e32 v41, v45, v74
	v_add_nc_u32_e32 v39, v41, v73
	s_delay_alu instid0(VALU_DEP_1) | instskip(NEXT) | instid1(VALU_DEP_1)
	;; [unrolled: 3-line block ×5, first 2 shown]
	v_add_nc_u32_e32 v57, v61, v65
	v_add_nc_u32_e32 v49, v57, v64
	s_and_saveexec_b32 s0, s12
	s_cbranch_execz .LBB920_122
; %bb.121:
	v_and_b32_e32 v2, 0xff000000, v80
	v_dual_mov_b32 v4, 0 :: v_dual_and_b32 v3, 0xff0000, v80
	s_add_u32 s2, s20, 0x200
	v_and_b32_e32 v23, 0xff00, v80
	s_addc_u32 s3, s21, 0
	v_and_b32_e32 v24, 0xff, v80
	v_or_b32_e32 v2, v3, v2
	v_mov_b32_e32 v3, 2
	s_delay_alu instid0(VALU_DEP_2)
	v_or3_b32 v2, v2, v23, v24
	v_dual_mov_b32 v24, s3 :: v_dual_mov_b32 v23, s2
	;;#ASMSTART
	global_store_dwordx4 v[23:24], v[1:4] off	
s_waitcnt vmcnt(0)
	;;#ASMEND
.LBB920_122:
	s_or_b32 exec_lo, exec_lo, s0
	v_mov_b32_e32 v3, 0
.LBB920_123:
	v_mov_b32_e32 v23, 0
	s_and_b32 s0, s16, exec_lo
	v_mov_b32_e32 v24, 0
	s_cselect_b32 s1, 0, s31
	s_cselect_b32 s0, 0, s30
	s_delay_alu instid0(SALU_CYCLE_1)
	s_cmp_eq_u64 s[0:1], 0
	s_barrier
	buffer_gl0_inv
	s_cbranch_scc1 .LBB920_125
; %bb.124:
	v_mov_b32_e32 v2, 0
	global_load_b64 v[23:24], v2, s[0:1]
.LBB920_125:
	v_cmp_gt_u32_e32 vcc_lo, 0x100, v1
	s_cbranch_vccnz .LBB920_132
; %bb.126:
	v_cmp_eq_u32_e32 vcc_lo, 0, v77
	v_cmp_eq_u32_e64 s0, 0, v65
	v_cmp_eq_u32_e64 s1, 0, v64
	v_cmp_ne_u32_e64 s11, 0, v79
	v_cmp_ne_u32_e64 s2, 0, v66
	v_cndmask_b32_e64 v2, 1, 2, vcc_lo
	v_cmp_eq_u32_e32 vcc_lo, 0, v79
	v_cndmask_b32_e64 v26, 1, 2, s1
	v_cmp_ne_u32_e64 s1, 0, v65
	v_cmp_ne_u32_e64 s3, 0, v67
	;; [unrolled: 1-line block ×3, first 2 shown]
	v_cndmask_b32_e64 v4, 1, 2, vcc_lo
	v_cmp_eq_u32_e32 vcc_lo, 0, v76
	v_cmp_ne_u32_e64 s5, 0, v70
	v_cmp_ne_u32_e64 s6, 0, v71
	;; [unrolled: 1-line block ×3, first 2 shown]
	v_and_b32_e32 v2, v2, v4
	v_cndmask_b32_e64 v25, 1, 2, vcc_lo
	v_cmp_eq_u32_e32 vcc_lo, 0, v75
	v_cmp_ne_u32_e64 s8, 0, v73
	v_cmp_ne_u32_e64 s9, 0, v74
	v_cmp_ne_u32_e64 s10, 0, v75
	v_and_b32_e32 v2, v2, v25
	v_cndmask_b32_e64 v4, 1, 2, vcc_lo
	v_cmp_eq_u32_e32 vcc_lo, 0, v74
	v_cmp_ne_u32_e64 s12, 0, v76
	v_cmp_ne_u32_e64 s13, 0, v77
	s_mov_b32 s16, 0
	v_and_b32_e32 v2, v2, v4
	v_cndmask_b32_e64 v25, 1, 2, vcc_lo
	v_cmp_eq_u32_e32 vcc_lo, 0, v73
	s_mov_b32 s15, exec_lo
	s_delay_alu instid0(VALU_DEP_2) | instskip(SKIP_2) | instid1(VALU_DEP_2)
	v_and_b32_e32 v2, v2, v25
	v_cndmask_b32_e64 v4, 1, 2, vcc_lo
	v_cmp_eq_u32_e32 vcc_lo, 0, v72
	v_and_b32_e32 v2, v2, v4
	v_cndmask_b32_e64 v25, 1, 2, vcc_lo
	v_cmp_eq_u32_e32 vcc_lo, 0, v71
	s_delay_alu instid0(VALU_DEP_2) | instskip(SKIP_2) | instid1(VALU_DEP_2)
	v_and_b32_e32 v2, v2, v25
	v_cndmask_b32_e64 v4, 1, 2, vcc_lo
	v_cmp_eq_u32_e32 vcc_lo, 0, v70
	v_and_b32_e32 v2, v2, v4
	v_cndmask_b32_e64 v25, 1, 2, vcc_lo
	v_cmp_eq_u32_e32 vcc_lo, 0, v68
	;; [unrolled: 7-line block ×3, first 2 shown]
	s_delay_alu instid0(VALU_DEP_2) | instskip(SKIP_4) | instid1(VALU_DEP_4)
	v_and_b32_e32 v2, v2, v25
	v_cndmask_b32_e64 v4, 1, 2, vcc_lo
	v_cndmask_b32_e64 v25, 1, 2, s0
	v_cmp_eq_u32_e64 s0, 0, v69
	v_cmp_ne_u32_e32 vcc_lo, 0, v69
	v_and_b32_e32 v2, v2, v4
	s_delay_alu instid0(VALU_DEP_3) | instskip(SKIP_1) | instid1(VALU_DEP_3)
	v_cndmask_b32_e64 v4, 1, 2, s0
	v_cmp_ne_u32_e64 s0, 0, v64
	v_and_b32_e32 v2, v2, v25
	s_delay_alu instid0(VALU_DEP_1) | instskip(NEXT) | instid1(VALU_DEP_1)
	v_and_b32_e32 v2, v2, v26
	v_and_b32_e32 v2, v2, v4
	s_delay_alu instid0(VALU_DEP_1)
	v_cmpx_gt_i16_e32 2, v2
	s_cbranch_execz .LBB920_131
; %bb.127:
	v_cmp_ne_u16_e64 s14, 1, v2
	s_delay_alu instid0(VALU_DEP_1) | instskip(NEXT) | instid1(SALU_CYCLE_1)
	s_and_saveexec_b32 s18, s14
	s_xor_b32 s14, exec_lo, s18
	s_cbranch_execnz .LBB920_154
; %bb.128:
	s_and_not1_saveexec_b32 s0, s14
	s_cbranch_execnz .LBB920_170
.LBB920_129:
	s_or_b32 exec_lo, exec_lo, s0
	s_delay_alu instid0(SALU_CYCLE_1)
	s_and_b32 exec_lo, exec_lo, s16
	s_cbranch_execz .LBB920_131
.LBB920_130:
	v_sub_nc_u32_e32 v2, v49, v3
	s_delay_alu instid0(VALU_DEP_1)
	v_lshlrev_b32_e32 v2, 2, v2
	ds_store_b32 v2, v63
.LBB920_131:
	s_or_b32 exec_lo, exec_lo, s15
	s_waitcnt vmcnt(0) lgkmcnt(0)
	s_barrier
	buffer_gl0_inv
.LBB920_132:
	s_cmpk_lg_i32 s33, 0xf00
	v_cmp_eq_u32_e32 vcc_lo, 0, v0
	s_cselect_b32 s0, -1, 0
	v_cndmask_b32_e64 v13, 0, 1, s36
	s_and_b32 s0, s17, s0
	v_mad_i32_i24 v10, v0, -15, s33
	v_cndmask_b32_e64 v9, 0, 1, s0
	s_mul_hi_u32 s0, s33, 0x88888889
	s_and_b32 s1, vcc_lo, s36
	s_lshr_b32 s0, s0, 3
	v_sub_nc_u32_e32 v2, v1, v13
	v_cndmask_b32_e64 v11, v79, 0, s1
	v_cmp_eq_u32_e32 vcc_lo, s0, v0
	v_cmp_ne_u32_e64 s0, 0, v10
	s_mov_b32 s16, -1
	s_waitcnt vmcnt(0)
	s_barrier
	s_and_b32 vcc_lo, s17, vcc_lo
	v_add_nc_u32_e32 v2, v2, v9
	v_cndmask_b32_e64 v9, 1, v11, s0
	v_cmp_ne_u32_e64 s0, 1, v10
	buffer_gl0_inv
	v_cndmask_b32_e32 v18, v11, v9, vcc_lo
	v_cndmask_b32_e64 v12, 1, v77, s0
	v_cmp_ne_u32_e64 s0, 2, v10
	s_delay_alu instid0(VALU_DEP_2) | instskip(NEXT) | instid1(VALU_DEP_2)
	v_cndmask_b32_e32 v19, v77, v12, vcc_lo
	v_cndmask_b32_e64 v14, 1, v76, s0
	v_cmp_ne_u32_e64 s0, 14, v10
	s_delay_alu instid0(VALU_DEP_3) | instskip(NEXT) | instid1(VALU_DEP_2)
	v_cmp_ne_u32_e64 s13, 0, v19
	v_cndmask_b32_e64 v15, 1, v69, s0
	v_cmp_ne_u32_e64 s0, 3, v10
	s_delay_alu instid0(VALU_DEP_2) | instskip(NEXT) | instid1(VALU_DEP_2)
	v_dual_mov_b32 v4, 0 :: v_dual_cndmask_b32 v15, v69, v15
	v_cndmask_b32_e64 v16, 1, v75, s0
	v_cmp_ne_u32_e64 s0, 4, v10
	s_delay_alu instid0(VALU_DEP_1) | instskip(SKIP_1) | instid1(VALU_DEP_2)
	v_cndmask_b32_e64 v17, 1, v74, s0
	v_cmp_ne_u32_e64 s0, 5, v10
	v_dual_cndmask_b32 v14, v76, v14 :: v_dual_cndmask_b32 v17, v74, v17
	s_delay_alu instid0(VALU_DEP_2) | instskip(SKIP_2) | instid1(VALU_DEP_4)
	v_cndmask_b32_e64 v9, 1, v73, s0
	v_cmp_ne_u32_e64 s0, 6, v10
	v_cndmask_b32_e32 v16, v75, v16, vcc_lo
	v_cmp_ne_u32_e64 s12, 0, v14
	v_cmp_ne_u32_e64 s10, 0, v17
	v_cndmask_b32_e32 v27, v73, v9, vcc_lo
	v_cndmask_b32_e64 v11, 1, v72, s0
	v_cmp_eq_u32_e64 s0, 0, v18
	v_cmp_ne_u32_e64 s11, 0, v16
	s_delay_alu instid0(VALU_DEP_4) | instskip(NEXT) | instid1(VALU_DEP_3)
	v_cmp_ne_u32_e64 s9, 0, v27
	v_cndmask_b32_e64 v12, 1, 2, s0
	v_cmp_eq_u32_e64 s0, 0, v19
	s_delay_alu instid0(VALU_DEP_1) | instskip(SKIP_1) | instid1(VALU_DEP_1)
	v_cndmask_b32_e64 v20, 1, 2, s0
	v_cmp_ne_u32_e64 s0, 7, v10
	v_cndmask_b32_e64 v21, 1, v71, s0
	v_cmp_eq_u32_e64 s0, 0, v14
	s_delay_alu instid0(VALU_DEP_2) | instskip(NEXT) | instid1(VALU_DEP_2)
	v_dual_cndmask_b32 v21, v71, v21 :: v_dual_and_b32 v12, v20, v12
	v_cndmask_b32_e64 v20, 1, 2, s0
	v_cmp_ne_u32_e64 s0, 8, v10
	s_delay_alu instid0(VALU_DEP_3) | instskip(NEXT) | instid1(VALU_DEP_3)
	v_cmp_ne_u32_e64 s7, 0, v21
	v_and_b32_e32 v12, v12, v20
	s_delay_alu instid0(VALU_DEP_3) | instskip(SKIP_1) | instid1(VALU_DEP_2)
	v_cndmask_b32_e64 v22, 1, v70, s0
	v_cmp_ne_u32_e64 s0, 9, v10
	v_cndmask_b32_e32 v22, v70, v22, vcc_lo
	s_delay_alu instid0(VALU_DEP_2) | instskip(SKIP_1) | instid1(VALU_DEP_3)
	v_cndmask_b32_e64 v25, 1, v68, s0
	v_cmp_eq_u32_e64 s0, 0, v16
	v_cmp_ne_u32_e64 s6, 0, v22
	s_delay_alu instid0(VALU_DEP_3) | instskip(NEXT) | instid1(VALU_DEP_3)
	v_cndmask_b32_e32 v25, v68, v25, vcc_lo
	v_cndmask_b32_e64 v20, 1, 2, s0
	v_cmp_ne_u32_e64 s0, 10, v10
	s_delay_alu instid0(VALU_DEP_3) | instskip(NEXT) | instid1(VALU_DEP_3)
	v_cmp_ne_u32_e64 s5, 0, v25
	v_and_b32_e32 v9, v12, v20
	s_delay_alu instid0(VALU_DEP_3) | instskip(SKIP_2) | instid1(VALU_DEP_3)
	v_cndmask_b32_e64 v26, 1, v67, s0
	v_cmp_eq_u32_e64 s0, 0, v17
	v_cmp_ne_u32_e64 s14, 0, v18
	v_cndmask_b32_e32 v26, v67, v26, vcc_lo
	s_delay_alu instid0(VALU_DEP_3) | instskip(SKIP_1) | instid1(VALU_DEP_3)
	v_cndmask_b32_e64 v12, 1, 2, s0
	v_cmp_ne_u32_e64 s0, 11, v10
	v_cmp_ne_u32_e64 s4, 0, v26
	s_delay_alu instid0(VALU_DEP_3) | instskip(NEXT) | instid1(VALU_DEP_3)
	v_and_b32_e32 v9, v9, v12
	v_cndmask_b32_e64 v20, 1, v66, s0
	v_cmp_ne_u32_e64 s0, 13, v10
	s_delay_alu instid0(VALU_DEP_2) | instskip(NEXT) | instid1(VALU_DEP_2)
	v_cndmask_b32_e32 v20, v66, v20, vcc_lo
	v_cndmask_b32_e64 v28, 1, v64, s0
	v_cmp_eq_u32_e64 s0, 0, v27
	s_delay_alu instid0(VALU_DEP_3) | instskip(NEXT) | instid1(VALU_DEP_2)
	v_cmp_ne_u32_e64 s3, 0, v20
	v_cndmask_b32_e64 v12, 1, 2, s0
	v_cmp_ne_u32_e64 s0, 12, v10
	s_delay_alu instid0(VALU_DEP_2) | instskip(NEXT) | instid1(VALU_DEP_2)
	v_and_b32_e32 v9, v9, v12
	v_cndmask_b32_e64 v10, 1, v65, s0
	s_delay_alu instid0(VALU_DEP_1) | instskip(NEXT) | instid1(VALU_DEP_1)
	v_dual_cndmask_b32 v29, v72, v11 :: v_dual_cndmask_b32 v30, v65, v10
	v_cmp_eq_u32_e64 s0, 0, v29
	v_cmp_ne_u32_e64 s8, 0, v29
	s_delay_alu instid0(VALU_DEP_3) | instskip(NEXT) | instid1(VALU_DEP_3)
	v_cmp_ne_u32_e64 s2, 0, v30
	v_cndmask_b32_e64 v11, 1, 2, s0
	v_cmp_eq_u32_e64 s0, 0, v21
	v_cndmask_b32_e32 v28, v64, v28, vcc_lo
	v_cmp_eq_u32_e32 vcc_lo, 0, v22
	s_delay_alu instid0(VALU_DEP_4)
	v_and_b32_e32 v31, v9, v11
	v_lshlrev_b64 v[9:10], 2, v[23:24]
	v_cndmask_b32_e64 v32, 1, 2, s0
	v_lshlrev_b64 v[11:12], 2, v[3:4]
	v_cmp_ne_u32_e64 s1, 0, v28
	v_cmp_ne_u32_e64 s0, 0, v15
	s_delay_alu instid0(VALU_DEP_4) | instskip(SKIP_4) | instid1(VALU_DEP_4)
	v_and_b32_e32 v4, v31, v32
	v_cndmask_b32_e64 v31, 1, 2, vcc_lo
	v_add_co_u32 v9, vcc_lo, s24, v9
	v_add_co_ci_u32_e32 v10, vcc_lo, s25, v10, vcc_lo
	v_cmp_eq_u32_e32 vcc_lo, 0, v25
	v_and_b32_e32 v4, v4, v31
	v_cndmask_b32_e64 v31, 1, 2, vcc_lo
	v_add_co_u32 v9, vcc_lo, v9, v11
	v_add_co_ci_u32_e32 v10, vcc_lo, v10, v12, vcc_lo
	v_lshlrev_b32_e32 v11, 2, v13
	v_cmp_eq_u32_e32 vcc_lo, 0, v26
	v_and_b32_e32 v4, v4, v31
	v_cndmask_b32_e64 v12, 1, 2, vcc_lo
	s_delay_alu instid0(VALU_DEP_4) | instskip(SKIP_2) | instid1(VALU_DEP_4)
	v_add_co_u32 v11, vcc_lo, v11, v9
	v_add_co_ci_u32_e32 v31, vcc_lo, 0, v10, vcc_lo
	v_cmp_eq_u32_e32 vcc_lo, 0, v20
	v_and_b32_e32 v32, v4, v12
	v_add_nc_u32_e32 v4, v3, v13
	v_cndmask_b32_e64 v33, 1, 2, vcc_lo
	v_add_co_u32 v11, vcc_lo, v11, -4
	v_add_co_ci_u32_e32 v12, vcc_lo, -1, v31, vcc_lo
	v_cmp_eq_u32_e32 vcc_lo, 0, v30
	s_delay_alu instid0(VALU_DEP_4) | instskip(SKIP_2) | instid1(VALU_DEP_2)
	v_and_b32_e32 v13, v32, v33
	v_cndmask_b32_e64 v31, 1, 2, vcc_lo
	v_cmp_eq_u32_e32 vcc_lo, 0, v28
	v_and_b32_e32 v13, v13, v31
	v_cndmask_b32_e64 v14, 1, 2, vcc_lo
	v_cmp_eq_u32_e32 vcc_lo, 0, v15
	s_delay_alu instid0(VALU_DEP_2) | instskip(SKIP_2) | instid1(VALU_DEP_2)
	v_and_b32_e32 v13, v13, v14
	v_cndmask_b32_e64 v14, 1, 2, vcc_lo
	v_cmp_gt_u32_e32 vcc_lo, 0x100, v2
	v_and_b32_e32 v13, v13, v14
	s_delay_alu instid0(VALU_DEP_1)
	v_cmp_gt_i16_e64 s15, 2, v13
	s_cbranch_vccnz .LBB920_136
; %bb.133:
	s_and_b32 vcc_lo, exec_lo, s16
	s_cbranch_vccnz .LBB920_142
.LBB920_134:
	v_cmp_eq_u32_e32 vcc_lo, 0xff, v0
	s_and_b32 s0, vcc_lo, s17
	s_delay_alu instid0(SALU_CYCLE_1)
	s_and_saveexec_b32 s1, s0
	s_cbranch_execnz .LBB920_151
.LBB920_135:
	s_nop 0
	s_sendmsg sendmsg(MSG_DEALLOC_VGPRS)
	s_endpgm
.LBB920_136:
	s_delay_alu instid0(VALU_DEP_1)
	s_and_saveexec_b32 s16, s15
	s_cbranch_execz .LBB920_141
; %bb.137:
	s_mov_b32 s18, 0
	s_mov_b32 s15, exec_lo
	v_cmpx_ne_u16_e32 1, v13
	s_xor_b32 s15, exec_lo, s15
	s_cbranch_execnz .LBB920_171
; %bb.138:
	s_and_not1_saveexec_b32 s15, s15
	s_cbranch_execnz .LBB920_187
.LBB920_139:
	s_or_b32 exec_lo, exec_lo, s15
	s_delay_alu instid0(SALU_CYCLE_1)
	s_and_b32 exec_lo, exec_lo, s18
	s_cbranch_execz .LBB920_141
.LBB920_140:
	v_sub_nc_u32_e32 v14, v49, v4
	v_mov_b32_e32 v15, 0
	s_delay_alu instid0(VALU_DEP_1) | instskip(NEXT) | instid1(VALU_DEP_1)
	v_lshlrev_b64 v[14:15], 2, v[14:15]
	v_add_co_u32 v14, vcc_lo, v11, v14
	s_delay_alu instid0(VALU_DEP_2)
	v_add_co_ci_u32_e32 v15, vcc_lo, v12, v15, vcc_lo
	global_store_b32 v[14:15], v50, off
.LBB920_141:
	s_or_b32 exec_lo, exec_lo, s16
	s_branch .LBB920_134
.LBB920_142:
	s_mov_b32 s15, exec_lo
	v_cmpx_gt_i16_e32 2, v13
	s_cbranch_execz .LBB920_147
; %bb.143:
	s_mov_b32 s18, 0
	s_mov_b32 s16, exec_lo
	v_cmpx_ne_u16_e32 1, v13
	s_xor_b32 s16, exec_lo, s16
	s_cbranch_execnz .LBB920_188
; %bb.144:
	s_and_not1_saveexec_b32 s0, s16
	s_cbranch_execnz .LBB920_204
.LBB920_145:
	s_or_b32 exec_lo, exec_lo, s0
	s_delay_alu instid0(SALU_CYCLE_1)
	s_and_b32 exec_lo, exec_lo, s18
	s_cbranch_execz .LBB920_147
.LBB920_146:
	v_sub_nc_u32_e32 v4, v49, v4
	s_delay_alu instid0(VALU_DEP_1)
	v_lshlrev_b32_e32 v4, 2, v4
	ds_store_b32 v4, v50
.LBB920_147:
	s_or_b32 exec_lo, exec_lo, s15
	s_delay_alu instid0(SALU_CYCLE_1)
	s_mov_b32 s1, exec_lo
	s_waitcnt lgkmcnt(0)
	s_waitcnt_vscnt null, 0x0
	s_barrier
	buffer_gl0_inv
	v_cmpx_lt_u32_e64 v0, v2
	s_cbranch_execz .LBB920_150
; %bb.148:
	v_dual_mov_b32 v5, 0 :: v_dual_lshlrev_b32 v6, 2, v0
	v_mov_b32_e32 v4, v0
	s_mov_b32 s2, 0
	.p2align	6
.LBB920_149:                            ; =>This Inner Loop Header: Depth=1
	ds_load_b32 v13, v6
	v_lshlrev_b64 v[7:8], 2, v[4:5]
	v_add_nc_u32_e32 v4, 0x100, v4
	v_add_nc_u32_e32 v6, 0x400, v6
	s_delay_alu instid0(VALU_DEP_2) | instskip(NEXT) | instid1(VALU_DEP_4)
	v_cmp_ge_u32_e32 vcc_lo, v4, v2
	v_add_co_u32 v7, s0, v11, v7
	s_delay_alu instid0(VALU_DEP_1)
	v_add_co_ci_u32_e64 v8, s0, v12, v8, s0
	s_or_b32 s2, vcc_lo, s2
	s_waitcnt lgkmcnt(0)
	global_store_b32 v[7:8], v13, off
	s_and_not1_b32 exec_lo, exec_lo, s2
	s_cbranch_execnz .LBB920_149
.LBB920_150:
	s_or_b32 exec_lo, exec_lo, s1
	v_cmp_eq_u32_e32 vcc_lo, 0xff, v0
	s_and_b32 s0, vcc_lo, s17
	s_delay_alu instid0(SALU_CYCLE_1)
	s_and_saveexec_b32 s1, s0
	s_cbranch_execz .LBB920_135
.LBB920_151:
	v_add_co_u32 v0, s0, v1, v3
	s_delay_alu instid0(VALU_DEP_1) | instskip(SKIP_1) | instid1(VALU_DEP_3)
	v_add_co_ci_u32_e64 v4, null, 0, 0, s0
	v_mov_b32_e32 v2, 0
	v_add_co_u32 v3, vcc_lo, v0, v23
	s_delay_alu instid0(VALU_DEP_3)
	v_add_co_ci_u32_e32 v4, vcc_lo, v4, v24, vcc_lo
	s_cmpk_lg_i32 s33, 0xf00
	global_store_b64 v2, v[3:4], s[26:27]
	s_cbranch_scc1 .LBB920_135
; %bb.152:
	v_lshlrev_b64 v[0:1], 2, v[1:2]
	s_delay_alu instid0(VALU_DEP_1) | instskip(NEXT) | instid1(VALU_DEP_2)
	v_add_co_u32 v0, vcc_lo, v9, v0
	v_add_co_ci_u32_e32 v1, vcc_lo, v10, v1, vcc_lo
	global_store_b32 v[0:1], v80, off offset:-4
	s_nop 0
	s_sendmsg sendmsg(MSG_DEALLOC_VGPRS)
	s_endpgm
.LBB920_153:
	s_or_b32 exec_lo, exec_lo, s2
	v_mov_b32_e32 v79, s1
	s_and_saveexec_b32 s1, s39
	s_cbranch_execnz .LBB920_84
	s_branch .LBB920_85
.LBB920_154:
	s_and_saveexec_b32 s16, s11
	s_cbranch_execnz .LBB920_205
; %bb.155:
	s_or_b32 exec_lo, exec_lo, s16
	s_and_saveexec_b32 s11, s13
	s_cbranch_execnz .LBB920_206
.LBB920_156:
	s_or_b32 exec_lo, exec_lo, s11
	s_and_saveexec_b32 s11, s12
	s_cbranch_execnz .LBB920_207
.LBB920_157:
	s_or_b32 exec_lo, exec_lo, s11
	s_and_saveexec_b32 s11, s10
	s_cbranch_execnz .LBB920_208
.LBB920_158:
	s_or_b32 exec_lo, exec_lo, s11
	s_and_saveexec_b32 s10, s9
	s_cbranch_execnz .LBB920_209
.LBB920_159:
	s_or_b32 exec_lo, exec_lo, s10
	s_and_saveexec_b32 s9, s8
	s_cbranch_execnz .LBB920_210
.LBB920_160:
	s_or_b32 exec_lo, exec_lo, s9
	s_and_saveexec_b32 s8, s7
	s_cbranch_execnz .LBB920_211
.LBB920_161:
	s_or_b32 exec_lo, exec_lo, s8
	s_and_saveexec_b32 s7, s6
	s_cbranch_execnz .LBB920_212
.LBB920_162:
	s_or_b32 exec_lo, exec_lo, s7
	s_and_saveexec_b32 s6, s5
	s_cbranch_execnz .LBB920_213
.LBB920_163:
	s_or_b32 exec_lo, exec_lo, s6
	s_and_saveexec_b32 s5, s4
	s_cbranch_execnz .LBB920_214
.LBB920_164:
	s_or_b32 exec_lo, exec_lo, s5
	s_and_saveexec_b32 s4, s3
	s_cbranch_execnz .LBB920_215
.LBB920_165:
	s_or_b32 exec_lo, exec_lo, s4
	s_and_saveexec_b32 s3, s2
	s_cbranch_execnz .LBB920_216
.LBB920_166:
	s_or_b32 exec_lo, exec_lo, s3
	s_and_saveexec_b32 s2, s1
	s_cbranch_execnz .LBB920_217
.LBB920_167:
	s_or_b32 exec_lo, exec_lo, s2
	s_and_saveexec_b32 s1, s0
	s_cbranch_execz .LBB920_169
.LBB920_168:
	v_sub_nc_u32_e32 v2, v57, v3
	s_delay_alu instid0(VALU_DEP_1)
	v_lshlrev_b32_e32 v2, 2, v2
	ds_store_b32 v2, v10
.LBB920_169:
	s_or_b32 exec_lo, exec_lo, s1
	s_delay_alu instid0(SALU_CYCLE_1)
	s_and_b32 s16, vcc_lo, exec_lo
                                        ; implicit-def: $vgpr21
                                        ; implicit-def: $vgpr19
                                        ; implicit-def: $vgpr17
                                        ; implicit-def: $vgpr15
                                        ; implicit-def: $vgpr13
                                        ; implicit-def: $vgpr11
                                        ; implicit-def: $vgpr9
	s_and_not1_saveexec_b32 s0, s14
	s_cbranch_execz .LBB920_129
.LBB920_170:
	v_sub_nc_u32_e32 v2, v53, v3
	v_sub_nc_u32_e32 v4, v59, v3
	;; [unrolled: 1-line block ×4, first 2 shown]
	s_or_b32 s16, s16, exec_lo
	v_lshlrev_b32_e32 v2, 2, v2
	v_lshlrev_b32_e32 v4, 2, v4
	;; [unrolled: 1-line block ×4, first 2 shown]
	ds_store_b32 v2, v21
	ds_store_b32 v4, v22
	;; [unrolled: 1-line block ×3, first 2 shown]
	v_sub_nc_u32_e32 v2, v45, v3
	v_sub_nc_u32_e32 v4, v41, v3
	;; [unrolled: 1-line block ×3, first 2 shown]
	ds_store_b32 v26, v20
	v_sub_nc_u32_e32 v20, v43, v3
	v_lshlrev_b32_e32 v2, 2, v2
	v_sub_nc_u32_e32 v21, v47, v3
	v_lshlrev_b32_e32 v4, 2, v4
	v_lshlrev_b32_e32 v19, 2, v19
	;; [unrolled: 1-line block ×3, first 2 shown]
	ds_store_b32 v2, v17
	v_lshlrev_b32_e32 v2, 2, v21
	ds_store_b32 v4, v18
	ds_store_b32 v19, v15
	;; [unrolled: 1-line block ×3, first 2 shown]
	v_sub_nc_u32_e32 v4, v5, v3
	v_sub_nc_u32_e32 v16, v57, v3
	;; [unrolled: 1-line block ×3, first 2 shown]
	ds_store_b32 v2, v13
	v_sub_nc_u32_e32 v2, v7, v3
	v_lshlrev_b32_e32 v4, 2, v4
	v_sub_nc_u32_e32 v13, v37, v3
	v_lshlrev_b32_e32 v15, 2, v15
	s_delay_alu instid0(VALU_DEP_4)
	v_lshlrev_b32_e32 v2, 2, v2
	ds_store_b32 v4, v14
	v_lshlrev_b32_e32 v4, 2, v16
	v_lshlrev_b32_e32 v13, 2, v13
	ds_store_b32 v2, v11
	ds_store_b32 v13, v12
	;; [unrolled: 1-line block ×4, first 2 shown]
	s_or_b32 exec_lo, exec_lo, s0
	s_delay_alu instid0(SALU_CYCLE_1)
	s_and_b32 exec_lo, exec_lo, s16
	s_cbranch_execnz .LBB920_130
	s_branch .LBB920_131
.LBB920_171:
	s_and_saveexec_b32 s18, s14
	s_cbranch_execnz .LBB920_218
; %bb.172:
	s_or_b32 exec_lo, exec_lo, s18
	s_and_saveexec_b32 s18, s13
	s_cbranch_execnz .LBB920_219
.LBB920_173:
	s_or_b32 exec_lo, exec_lo, s18
	s_and_saveexec_b32 s18, s12
	s_cbranch_execnz .LBB920_220
.LBB920_174:
	s_or_b32 exec_lo, exec_lo, s18
	s_and_saveexec_b32 s18, s11
	s_cbranch_execnz .LBB920_221
.LBB920_175:
	s_or_b32 exec_lo, exec_lo, s18
	s_and_saveexec_b32 s18, s10
	s_cbranch_execnz .LBB920_222
.LBB920_176:
	s_or_b32 exec_lo, exec_lo, s18
	s_and_saveexec_b32 s18, s9
	s_cbranch_execnz .LBB920_223
.LBB920_177:
	s_or_b32 exec_lo, exec_lo, s18
	s_and_saveexec_b32 s18, s8
	s_cbranch_execnz .LBB920_224
.LBB920_178:
	s_or_b32 exec_lo, exec_lo, s18
	s_and_saveexec_b32 s18, s7
	s_cbranch_execnz .LBB920_225
.LBB920_179:
	s_or_b32 exec_lo, exec_lo, s18
	s_and_saveexec_b32 s18, s6
	s_cbranch_execnz .LBB920_226
.LBB920_180:
	s_or_b32 exec_lo, exec_lo, s18
	s_and_saveexec_b32 s18, s5
	s_cbranch_execnz .LBB920_227
.LBB920_181:
	s_or_b32 exec_lo, exec_lo, s18
	s_and_saveexec_b32 s18, s4
	s_cbranch_execnz .LBB920_228
.LBB920_182:
	s_or_b32 exec_lo, exec_lo, s18
	s_and_saveexec_b32 s18, s3
	s_cbranch_execnz .LBB920_229
.LBB920_183:
	s_or_b32 exec_lo, exec_lo, s18
	s_and_saveexec_b32 s18, s2
	s_cbranch_execnz .LBB920_230
.LBB920_184:
	s_or_b32 exec_lo, exec_lo, s18
	s_and_saveexec_b32 s18, s1
	s_cbranch_execz .LBB920_186
.LBB920_185:
	v_sub_nc_u32_e32 v14, v57, v4
	v_mov_b32_e32 v15, 0
	s_delay_alu instid0(VALU_DEP_1) | instskip(NEXT) | instid1(VALU_DEP_1)
	v_lshlrev_b64 v[14:15], 2, v[14:15]
	v_add_co_u32 v14, vcc_lo, v11, v14
	s_delay_alu instid0(VALU_DEP_2)
	v_add_co_ci_u32_e32 v15, vcc_lo, v12, v15, vcc_lo
	global_store_b32 v[14:15], v58, off
.LBB920_186:
	s_or_b32 exec_lo, exec_lo, s18
	s_delay_alu instid0(SALU_CYCLE_1)
	s_and_b32 s18, s0, exec_lo
	s_and_not1_saveexec_b32 s15, s15
	s_cbranch_execz .LBB920_139
.LBB920_187:
	v_sub_nc_u32_e32 v14, v53, v4
	v_mov_b32_e32 v15, 0
	s_or_b32 s18, s18, exec_lo
	s_delay_alu instid0(VALU_DEP_1) | instskip(SKIP_1) | instid1(VALU_DEP_1)
	v_lshlrev_b64 v[16:17], 2, v[14:15]
	v_sub_nc_u32_e32 v14, v59, v4
	v_lshlrev_b64 v[18:19], 2, v[14:15]
	v_sub_nc_u32_e32 v14, v55, v4
	s_delay_alu instid0(VALU_DEP_4) | instskip(SKIP_1) | instid1(VALU_DEP_3)
	v_add_co_u32 v16, vcc_lo, v11, v16
	v_add_co_ci_u32_e32 v17, vcc_lo, v12, v17, vcc_lo
	v_lshlrev_b64 v[20:21], 2, v[14:15]
	v_sub_nc_u32_e32 v14, v51, v4
	v_add_co_u32 v18, vcc_lo, v11, v18
	v_add_co_ci_u32_e32 v19, vcc_lo, v12, v19, vcc_lo
	global_store_b32 v[16:17], v54, off
	v_lshlrev_b64 v[16:17], 2, v[14:15]
	v_sub_nc_u32_e32 v14, v45, v4
	global_store_b32 v[18:19], v60, off
	v_add_co_u32 v18, vcc_lo, v11, v20
	v_add_co_ci_u32_e32 v19, vcc_lo, v12, v21, vcc_lo
	v_lshlrev_b64 v[20:21], 2, v[14:15]
	v_sub_nc_u32_e32 v14, v41, v4
	v_add_co_u32 v16, vcc_lo, v11, v16
	v_add_co_ci_u32_e32 v17, vcc_lo, v12, v17, vcc_lo
	s_delay_alu instid0(VALU_DEP_3) | instskip(SKIP_3) | instid1(VALU_DEP_3)
	v_lshlrev_b64 v[25:26], 2, v[14:15]
	v_sub_nc_u32_e32 v14, v39, v4
	v_add_co_u32 v20, vcc_lo, v11, v20
	v_add_co_ci_u32_e32 v21, vcc_lo, v12, v21, vcc_lo
	v_lshlrev_b64 v[27:28], 2, v[14:15]
	v_sub_nc_u32_e32 v14, v43, v4
	v_add_co_u32 v25, vcc_lo, v11, v25
	v_add_co_ci_u32_e32 v26, vcc_lo, v12, v26, vcc_lo
	s_clause 0x3
	global_store_b32 v[18:19], v56, off
	global_store_b32 v[16:17], v52, off
	;; [unrolled: 1-line block ×4, first 2 shown]
	v_lshlrev_b64 v[16:17], 2, v[14:15]
	v_sub_nc_u32_e32 v14, v47, v4
	v_add_co_u32 v18, vcc_lo, v11, v27
	v_add_co_ci_u32_e32 v19, vcc_lo, v12, v28, vcc_lo
	s_delay_alu instid0(VALU_DEP_3) | instskip(SKIP_3) | instid1(VALU_DEP_3)
	v_lshlrev_b64 v[20:21], 2, v[14:15]
	v_sub_nc_u32_e32 v14, v5, v4
	v_add_co_u32 v16, vcc_lo, v11, v16
	v_add_co_ci_u32_e32 v17, vcc_lo, v12, v17, vcc_lo
	v_lshlrev_b64 v[25:26], 2, v[14:15]
	v_sub_nc_u32_e32 v14, v7, v4
	v_add_co_u32 v20, vcc_lo, v11, v20
	v_add_co_ci_u32_e32 v21, vcc_lo, v12, v21, vcc_lo
	s_delay_alu instid0(VALU_DEP_3)
	v_lshlrev_b64 v[27:28], 2, v[14:15]
	v_sub_nc_u32_e32 v14, v37, v4
	v_add_co_u32 v25, vcc_lo, v11, v25
	v_add_co_ci_u32_e32 v26, vcc_lo, v12, v26, vcc_lo
	s_clause 0x3
	global_store_b32 v[18:19], v40, off
	global_store_b32 v[16:17], v44, off
	;; [unrolled: 1-line block ×4, first 2 shown]
	v_lshlrev_b64 v[16:17], 2, v[14:15]
	v_sub_nc_u32_e32 v14, v61, v4
	v_add_co_u32 v18, vcc_lo, v11, v27
	v_add_co_ci_u32_e32 v19, vcc_lo, v12, v28, vcc_lo
	s_delay_alu instid0(VALU_DEP_3) | instskip(SKIP_3) | instid1(VALU_DEP_3)
	v_lshlrev_b64 v[20:21], 2, v[14:15]
	v_sub_nc_u32_e32 v14, v57, v4
	v_add_co_u32 v16, vcc_lo, v11, v16
	v_add_co_ci_u32_e32 v17, vcc_lo, v12, v17, vcc_lo
	v_lshlrev_b64 v[14:15], 2, v[14:15]
	v_add_co_u32 v20, vcc_lo, v11, v20
	v_add_co_ci_u32_e32 v21, vcc_lo, v12, v21, vcc_lo
	s_clause 0x2
	global_store_b32 v[18:19], v8, off
	global_store_b32 v[16:17], v38, off
	;; [unrolled: 1-line block ×3, first 2 shown]
	v_add_co_u32 v14, vcc_lo, v11, v14
	v_add_co_ci_u32_e32 v15, vcc_lo, v12, v15, vcc_lo
	global_store_b32 v[14:15], v58, off
	s_or_b32 exec_lo, exec_lo, s15
	s_delay_alu instid0(SALU_CYCLE_1)
	s_and_b32 exec_lo, exec_lo, s18
	s_cbranch_execnz .LBB920_140
	s_branch .LBB920_141
.LBB920_188:
	s_and_saveexec_b32 s18, s14
	s_cbranch_execnz .LBB920_231
; %bb.189:
	s_or_b32 exec_lo, exec_lo, s18
	s_and_saveexec_b32 s14, s13
	s_cbranch_execnz .LBB920_232
.LBB920_190:
	s_or_b32 exec_lo, exec_lo, s14
	s_and_saveexec_b32 s13, s12
	s_cbranch_execnz .LBB920_233
.LBB920_191:
	s_or_b32 exec_lo, exec_lo, s13
	s_and_saveexec_b32 s12, s11
	s_cbranch_execnz .LBB920_234
.LBB920_192:
	s_or_b32 exec_lo, exec_lo, s12
	s_and_saveexec_b32 s11, s10
	s_cbranch_execnz .LBB920_235
.LBB920_193:
	s_or_b32 exec_lo, exec_lo, s11
	s_and_saveexec_b32 s10, s9
	s_cbranch_execnz .LBB920_236
.LBB920_194:
	s_or_b32 exec_lo, exec_lo, s10
	s_and_saveexec_b32 s9, s8
	s_cbranch_execnz .LBB920_237
.LBB920_195:
	s_or_b32 exec_lo, exec_lo, s9
	s_and_saveexec_b32 s8, s7
	s_cbranch_execnz .LBB920_238
.LBB920_196:
	s_or_b32 exec_lo, exec_lo, s8
	s_and_saveexec_b32 s7, s6
	s_cbranch_execnz .LBB920_239
.LBB920_197:
	s_or_b32 exec_lo, exec_lo, s7
	s_and_saveexec_b32 s6, s5
	s_cbranch_execnz .LBB920_240
.LBB920_198:
	s_or_b32 exec_lo, exec_lo, s6
	s_and_saveexec_b32 s5, s4
	s_cbranch_execnz .LBB920_241
.LBB920_199:
	s_or_b32 exec_lo, exec_lo, s5
	s_and_saveexec_b32 s4, s3
	s_cbranch_execnz .LBB920_242
.LBB920_200:
	s_or_b32 exec_lo, exec_lo, s4
	s_and_saveexec_b32 s3, s2
	s_cbranch_execnz .LBB920_243
.LBB920_201:
	s_or_b32 exec_lo, exec_lo, s3
	s_and_saveexec_b32 s2, s1
	s_cbranch_execz .LBB920_203
.LBB920_202:
	v_sub_nc_u32_e32 v5, v57, v4
	s_delay_alu instid0(VALU_DEP_1)
	v_lshlrev_b32_e32 v5, 2, v5
	ds_store_b32 v5, v58
.LBB920_203:
	s_or_b32 exec_lo, exec_lo, s2
	s_delay_alu instid0(SALU_CYCLE_1)
	s_and_b32 s18, s0, exec_lo
                                        ; implicit-def: $vgpr53_vgpr54
                                        ; implicit-def: $vgpr59_vgpr60
                                        ; implicit-def: $vgpr55_vgpr56
                                        ; implicit-def: $vgpr51_vgpr52
                                        ; implicit-def: $vgpr45_vgpr46
                                        ; implicit-def: $vgpr41_vgpr42
                                        ; implicit-def: $vgpr39_vgpr40
                                        ; implicit-def: $vgpr43_vgpr44
                                        ; implicit-def: $vgpr47_vgpr48
                                        ; implicit-def: $vgpr5_vgpr6
                                        ; implicit-def: $vgpr7_vgpr8
                                        ; implicit-def: $vgpr37_vgpr38
                                        ; implicit-def: $vgpr61_vgpr62
                                        ; implicit-def: $vgpr57_vgpr58
	s_and_not1_saveexec_b32 s0, s16
	s_cbranch_execz .LBB920_145
.LBB920_204:
	v_sub_nc_u32_e32 v13, v53, v4
	v_sub_nc_u32_e32 v14, v59, v4
	;; [unrolled: 1-line block ×5, first 2 shown]
	v_lshlrev_b32_e32 v13, 2, v13
	v_lshlrev_b32_e32 v14, 2, v14
	v_lshlrev_b32_e32 v15, 2, v15
	v_lshlrev_b32_e32 v16, 2, v16
	v_sub_nc_u32_e32 v5, v5, v4
	ds_store_b32 v13, v54
	ds_store_b32 v14, v60
	;; [unrolled: 1-line block ×3, first 2 shown]
	v_sub_nc_u32_e32 v13, v45, v4
	v_sub_nc_u32_e32 v14, v41, v4
	;; [unrolled: 1-line block ×3, first 2 shown]
	ds_store_b32 v16, v52
	v_sub_nc_u32_e32 v16, v43, v4
	v_lshlrev_b32_e32 v13, 2, v13
	v_lshlrev_b32_e32 v14, 2, v14
	;; [unrolled: 1-line block ×3, first 2 shown]
	v_sub_nc_u32_e32 v7, v7, v4
	v_lshlrev_b32_e32 v16, 2, v16
	ds_store_b32 v13, v46
	v_lshlrev_b32_e32 v13, 2, v17
	ds_store_b32 v14, v42
	ds_store_b32 v15, v40
	ds_store_b32 v16, v44
	v_lshlrev_b32_e32 v5, 2, v5
	v_sub_nc_u32_e32 v15, v57, v4
	v_sub_nc_u32_e32 v14, v61, v4
	ds_store_b32 v13, v48
	v_sub_nc_u32_e32 v13, v37, v4
	v_lshlrev_b32_e32 v7, 2, v7
	ds_store_b32 v5, v6
	v_lshlrev_b32_e32 v5, 2, v15
	v_lshlrev_b32_e32 v14, 2, v14
	;; [unrolled: 1-line block ×3, first 2 shown]
	s_or_b32 s18, s18, exec_lo
	ds_store_b32 v7, v8
	ds_store_b32 v13, v38
	;; [unrolled: 1-line block ×4, first 2 shown]
	s_or_b32 exec_lo, exec_lo, s0
	s_delay_alu instid0(SALU_CYCLE_1)
	s_and_b32 exec_lo, exec_lo, s18
	s_cbranch_execnz .LBB920_146
	s_branch .LBB920_147
.LBB920_205:
	v_sub_nc_u32_e32 v2, v53, v3
	s_delay_alu instid0(VALU_DEP_1)
	v_lshlrev_b32_e32 v2, 2, v2
	ds_store_b32 v2, v21
	s_or_b32 exec_lo, exec_lo, s16
	s_and_saveexec_b32 s11, s13
	s_cbranch_execz .LBB920_156
.LBB920_206:
	v_sub_nc_u32_e32 v2, v59, v3
	s_delay_alu instid0(VALU_DEP_1)
	v_lshlrev_b32_e32 v2, 2, v2
	ds_store_b32 v2, v22
	s_or_b32 exec_lo, exec_lo, s11
	s_and_saveexec_b32 s11, s12
	s_cbranch_execz .LBB920_157
.LBB920_207:
	v_sub_nc_u32_e32 v2, v55, v3
	s_delay_alu instid0(VALU_DEP_1)
	v_lshlrev_b32_e32 v2, 2, v2
	ds_store_b32 v2, v19
	s_or_b32 exec_lo, exec_lo, s11
	s_and_saveexec_b32 s11, s10
	s_cbranch_execz .LBB920_158
.LBB920_208:
	v_sub_nc_u32_e32 v2, v51, v3
	s_delay_alu instid0(VALU_DEP_1)
	v_lshlrev_b32_e32 v2, 2, v2
	ds_store_b32 v2, v20
	s_or_b32 exec_lo, exec_lo, s11
	s_and_saveexec_b32 s10, s9
	s_cbranch_execz .LBB920_159
.LBB920_209:
	v_sub_nc_u32_e32 v2, v45, v3
	s_delay_alu instid0(VALU_DEP_1)
	v_lshlrev_b32_e32 v2, 2, v2
	ds_store_b32 v2, v17
	s_or_b32 exec_lo, exec_lo, s10
	s_and_saveexec_b32 s9, s8
	s_cbranch_execz .LBB920_160
.LBB920_210:
	v_sub_nc_u32_e32 v2, v41, v3
	s_delay_alu instid0(VALU_DEP_1)
	v_lshlrev_b32_e32 v2, 2, v2
	ds_store_b32 v2, v18
	s_or_b32 exec_lo, exec_lo, s9
	s_and_saveexec_b32 s8, s7
	s_cbranch_execz .LBB920_161
.LBB920_211:
	v_sub_nc_u32_e32 v2, v39, v3
	s_delay_alu instid0(VALU_DEP_1)
	v_lshlrev_b32_e32 v2, 2, v2
	ds_store_b32 v2, v15
	s_or_b32 exec_lo, exec_lo, s8
	s_and_saveexec_b32 s7, s6
	s_cbranch_execz .LBB920_162
.LBB920_212:
	v_sub_nc_u32_e32 v2, v43, v3
	s_delay_alu instid0(VALU_DEP_1)
	v_lshlrev_b32_e32 v2, 2, v2
	ds_store_b32 v2, v16
	s_or_b32 exec_lo, exec_lo, s7
	s_and_saveexec_b32 s6, s5
	s_cbranch_execz .LBB920_163
.LBB920_213:
	v_sub_nc_u32_e32 v2, v47, v3
	s_delay_alu instid0(VALU_DEP_1)
	v_lshlrev_b32_e32 v2, 2, v2
	ds_store_b32 v2, v13
	s_or_b32 exec_lo, exec_lo, s6
	s_and_saveexec_b32 s5, s4
	s_cbranch_execz .LBB920_164
.LBB920_214:
	v_sub_nc_u32_e32 v2, v5, v3
	s_delay_alu instid0(VALU_DEP_1)
	v_lshlrev_b32_e32 v2, 2, v2
	ds_store_b32 v2, v14
	s_or_b32 exec_lo, exec_lo, s5
	s_and_saveexec_b32 s4, s3
	s_cbranch_execz .LBB920_165
.LBB920_215:
	v_sub_nc_u32_e32 v2, v7, v3
	s_delay_alu instid0(VALU_DEP_1)
	v_lshlrev_b32_e32 v2, 2, v2
	ds_store_b32 v2, v11
	s_or_b32 exec_lo, exec_lo, s4
	s_and_saveexec_b32 s3, s2
	s_cbranch_execz .LBB920_166
.LBB920_216:
	v_sub_nc_u32_e32 v2, v37, v3
	s_delay_alu instid0(VALU_DEP_1)
	v_lshlrev_b32_e32 v2, 2, v2
	ds_store_b32 v2, v12
	s_or_b32 exec_lo, exec_lo, s3
	s_and_saveexec_b32 s2, s1
	s_cbranch_execz .LBB920_167
.LBB920_217:
	v_sub_nc_u32_e32 v2, v61, v3
	s_delay_alu instid0(VALU_DEP_1)
	v_lshlrev_b32_e32 v2, 2, v2
	ds_store_b32 v2, v9
	s_or_b32 exec_lo, exec_lo, s2
	s_and_saveexec_b32 s1, s0
	s_cbranch_execnz .LBB920_168
	s_branch .LBB920_169
.LBB920_218:
	v_sub_nc_u32_e32 v14, v53, v4
	v_mov_b32_e32 v15, 0
	s_delay_alu instid0(VALU_DEP_1) | instskip(NEXT) | instid1(VALU_DEP_1)
	v_lshlrev_b64 v[14:15], 2, v[14:15]
	v_add_co_u32 v14, vcc_lo, v11, v14
	s_delay_alu instid0(VALU_DEP_2)
	v_add_co_ci_u32_e32 v15, vcc_lo, v12, v15, vcc_lo
	global_store_b32 v[14:15], v54, off
	s_or_b32 exec_lo, exec_lo, s18
	s_and_saveexec_b32 s18, s13
	s_cbranch_execz .LBB920_173
.LBB920_219:
	v_sub_nc_u32_e32 v14, v59, v4
	v_mov_b32_e32 v15, 0
	s_delay_alu instid0(VALU_DEP_1) | instskip(NEXT) | instid1(VALU_DEP_1)
	v_lshlrev_b64 v[14:15], 2, v[14:15]
	v_add_co_u32 v14, vcc_lo, v11, v14
	s_delay_alu instid0(VALU_DEP_2)
	v_add_co_ci_u32_e32 v15, vcc_lo, v12, v15, vcc_lo
	global_store_b32 v[14:15], v60, off
	s_or_b32 exec_lo, exec_lo, s18
	s_and_saveexec_b32 s18, s12
	s_cbranch_execz .LBB920_174
.LBB920_220:
	v_sub_nc_u32_e32 v14, v55, v4
	v_mov_b32_e32 v15, 0
	s_delay_alu instid0(VALU_DEP_1) | instskip(NEXT) | instid1(VALU_DEP_1)
	v_lshlrev_b64 v[14:15], 2, v[14:15]
	v_add_co_u32 v14, vcc_lo, v11, v14
	s_delay_alu instid0(VALU_DEP_2)
	v_add_co_ci_u32_e32 v15, vcc_lo, v12, v15, vcc_lo
	global_store_b32 v[14:15], v56, off
	s_or_b32 exec_lo, exec_lo, s18
	s_and_saveexec_b32 s18, s11
	s_cbranch_execz .LBB920_175
.LBB920_221:
	v_sub_nc_u32_e32 v14, v51, v4
	v_mov_b32_e32 v15, 0
	s_delay_alu instid0(VALU_DEP_1) | instskip(NEXT) | instid1(VALU_DEP_1)
	v_lshlrev_b64 v[14:15], 2, v[14:15]
	v_add_co_u32 v14, vcc_lo, v11, v14
	s_delay_alu instid0(VALU_DEP_2)
	v_add_co_ci_u32_e32 v15, vcc_lo, v12, v15, vcc_lo
	global_store_b32 v[14:15], v52, off
	s_or_b32 exec_lo, exec_lo, s18
	s_and_saveexec_b32 s18, s10
	s_cbranch_execz .LBB920_176
.LBB920_222:
	v_sub_nc_u32_e32 v14, v45, v4
	v_mov_b32_e32 v15, 0
	s_delay_alu instid0(VALU_DEP_1) | instskip(NEXT) | instid1(VALU_DEP_1)
	v_lshlrev_b64 v[14:15], 2, v[14:15]
	v_add_co_u32 v14, vcc_lo, v11, v14
	s_delay_alu instid0(VALU_DEP_2)
	v_add_co_ci_u32_e32 v15, vcc_lo, v12, v15, vcc_lo
	global_store_b32 v[14:15], v46, off
	s_or_b32 exec_lo, exec_lo, s18
	s_and_saveexec_b32 s18, s9
	s_cbranch_execz .LBB920_177
.LBB920_223:
	v_sub_nc_u32_e32 v14, v41, v4
	v_mov_b32_e32 v15, 0
	s_delay_alu instid0(VALU_DEP_1) | instskip(NEXT) | instid1(VALU_DEP_1)
	v_lshlrev_b64 v[14:15], 2, v[14:15]
	v_add_co_u32 v14, vcc_lo, v11, v14
	s_delay_alu instid0(VALU_DEP_2)
	v_add_co_ci_u32_e32 v15, vcc_lo, v12, v15, vcc_lo
	global_store_b32 v[14:15], v42, off
	s_or_b32 exec_lo, exec_lo, s18
	s_and_saveexec_b32 s18, s8
	s_cbranch_execz .LBB920_178
.LBB920_224:
	v_sub_nc_u32_e32 v14, v39, v4
	v_mov_b32_e32 v15, 0
	s_delay_alu instid0(VALU_DEP_1) | instskip(NEXT) | instid1(VALU_DEP_1)
	v_lshlrev_b64 v[14:15], 2, v[14:15]
	v_add_co_u32 v14, vcc_lo, v11, v14
	s_delay_alu instid0(VALU_DEP_2)
	v_add_co_ci_u32_e32 v15, vcc_lo, v12, v15, vcc_lo
	global_store_b32 v[14:15], v40, off
	s_or_b32 exec_lo, exec_lo, s18
	s_and_saveexec_b32 s18, s7
	s_cbranch_execz .LBB920_179
.LBB920_225:
	v_sub_nc_u32_e32 v14, v43, v4
	v_mov_b32_e32 v15, 0
	s_delay_alu instid0(VALU_DEP_1) | instskip(NEXT) | instid1(VALU_DEP_1)
	v_lshlrev_b64 v[14:15], 2, v[14:15]
	v_add_co_u32 v14, vcc_lo, v11, v14
	s_delay_alu instid0(VALU_DEP_2)
	v_add_co_ci_u32_e32 v15, vcc_lo, v12, v15, vcc_lo
	global_store_b32 v[14:15], v44, off
	s_or_b32 exec_lo, exec_lo, s18
	s_and_saveexec_b32 s18, s6
	s_cbranch_execz .LBB920_180
.LBB920_226:
	v_sub_nc_u32_e32 v14, v47, v4
	v_mov_b32_e32 v15, 0
	s_delay_alu instid0(VALU_DEP_1) | instskip(NEXT) | instid1(VALU_DEP_1)
	v_lshlrev_b64 v[14:15], 2, v[14:15]
	v_add_co_u32 v14, vcc_lo, v11, v14
	s_delay_alu instid0(VALU_DEP_2)
	v_add_co_ci_u32_e32 v15, vcc_lo, v12, v15, vcc_lo
	global_store_b32 v[14:15], v48, off
	s_or_b32 exec_lo, exec_lo, s18
	s_and_saveexec_b32 s18, s5
	s_cbranch_execz .LBB920_181
.LBB920_227:
	v_sub_nc_u32_e32 v14, v5, v4
	v_mov_b32_e32 v15, 0
	s_delay_alu instid0(VALU_DEP_1) | instskip(NEXT) | instid1(VALU_DEP_1)
	v_lshlrev_b64 v[14:15], 2, v[14:15]
	v_add_co_u32 v14, vcc_lo, v11, v14
	s_delay_alu instid0(VALU_DEP_2)
	v_add_co_ci_u32_e32 v15, vcc_lo, v12, v15, vcc_lo
	global_store_b32 v[14:15], v6, off
	s_or_b32 exec_lo, exec_lo, s18
	s_and_saveexec_b32 s18, s4
	s_cbranch_execz .LBB920_182
.LBB920_228:
	v_sub_nc_u32_e32 v14, v7, v4
	v_mov_b32_e32 v15, 0
	s_delay_alu instid0(VALU_DEP_1) | instskip(NEXT) | instid1(VALU_DEP_1)
	v_lshlrev_b64 v[14:15], 2, v[14:15]
	v_add_co_u32 v14, vcc_lo, v11, v14
	s_delay_alu instid0(VALU_DEP_2)
	v_add_co_ci_u32_e32 v15, vcc_lo, v12, v15, vcc_lo
	global_store_b32 v[14:15], v8, off
	s_or_b32 exec_lo, exec_lo, s18
	s_and_saveexec_b32 s18, s3
	s_cbranch_execz .LBB920_183
.LBB920_229:
	v_sub_nc_u32_e32 v14, v37, v4
	v_mov_b32_e32 v15, 0
	s_delay_alu instid0(VALU_DEP_1) | instskip(NEXT) | instid1(VALU_DEP_1)
	v_lshlrev_b64 v[14:15], 2, v[14:15]
	v_add_co_u32 v14, vcc_lo, v11, v14
	s_delay_alu instid0(VALU_DEP_2)
	v_add_co_ci_u32_e32 v15, vcc_lo, v12, v15, vcc_lo
	global_store_b32 v[14:15], v38, off
	s_or_b32 exec_lo, exec_lo, s18
	s_and_saveexec_b32 s18, s2
	s_cbranch_execz .LBB920_184
.LBB920_230:
	v_sub_nc_u32_e32 v14, v61, v4
	v_mov_b32_e32 v15, 0
	s_delay_alu instid0(VALU_DEP_1) | instskip(NEXT) | instid1(VALU_DEP_1)
	v_lshlrev_b64 v[14:15], 2, v[14:15]
	v_add_co_u32 v14, vcc_lo, v11, v14
	s_delay_alu instid0(VALU_DEP_2)
	v_add_co_ci_u32_e32 v15, vcc_lo, v12, v15, vcc_lo
	global_store_b32 v[14:15], v62, off
	s_or_b32 exec_lo, exec_lo, s18
	s_and_saveexec_b32 s18, s1
	s_cbranch_execnz .LBB920_185
	s_branch .LBB920_186
.LBB920_231:
	v_sub_nc_u32_e32 v13, v53, v4
	s_delay_alu instid0(VALU_DEP_1)
	v_lshlrev_b32_e32 v13, 2, v13
	ds_store_b32 v13, v54
	s_or_b32 exec_lo, exec_lo, s18
	s_and_saveexec_b32 s14, s13
	s_cbranch_execz .LBB920_190
.LBB920_232:
	v_sub_nc_u32_e32 v13, v59, v4
	s_delay_alu instid0(VALU_DEP_1)
	v_lshlrev_b32_e32 v13, 2, v13
	ds_store_b32 v13, v60
	s_or_b32 exec_lo, exec_lo, s14
	s_and_saveexec_b32 s13, s12
	s_cbranch_execz .LBB920_191
.LBB920_233:
	v_sub_nc_u32_e32 v13, v55, v4
	s_delay_alu instid0(VALU_DEP_1)
	v_lshlrev_b32_e32 v13, 2, v13
	ds_store_b32 v13, v56
	s_or_b32 exec_lo, exec_lo, s13
	s_and_saveexec_b32 s12, s11
	s_cbranch_execz .LBB920_192
.LBB920_234:
	v_sub_nc_u32_e32 v13, v51, v4
	s_delay_alu instid0(VALU_DEP_1)
	v_lshlrev_b32_e32 v13, 2, v13
	ds_store_b32 v13, v52
	s_or_b32 exec_lo, exec_lo, s12
	s_and_saveexec_b32 s11, s10
	s_cbranch_execz .LBB920_193
.LBB920_235:
	v_sub_nc_u32_e32 v13, v45, v4
	s_delay_alu instid0(VALU_DEP_1)
	v_lshlrev_b32_e32 v13, 2, v13
	ds_store_b32 v13, v46
	s_or_b32 exec_lo, exec_lo, s11
	s_and_saveexec_b32 s10, s9
	s_cbranch_execz .LBB920_194
.LBB920_236:
	v_sub_nc_u32_e32 v13, v41, v4
	s_delay_alu instid0(VALU_DEP_1)
	v_lshlrev_b32_e32 v13, 2, v13
	ds_store_b32 v13, v42
	s_or_b32 exec_lo, exec_lo, s10
	s_and_saveexec_b32 s9, s8
	s_cbranch_execz .LBB920_195
.LBB920_237:
	v_sub_nc_u32_e32 v13, v39, v4
	s_delay_alu instid0(VALU_DEP_1)
	v_lshlrev_b32_e32 v13, 2, v13
	ds_store_b32 v13, v40
	s_or_b32 exec_lo, exec_lo, s9
	s_and_saveexec_b32 s8, s7
	s_cbranch_execz .LBB920_196
.LBB920_238:
	v_sub_nc_u32_e32 v13, v43, v4
	s_delay_alu instid0(VALU_DEP_1)
	v_lshlrev_b32_e32 v13, 2, v13
	ds_store_b32 v13, v44
	s_or_b32 exec_lo, exec_lo, s8
	s_and_saveexec_b32 s7, s6
	s_cbranch_execz .LBB920_197
.LBB920_239:
	v_sub_nc_u32_e32 v13, v47, v4
	s_delay_alu instid0(VALU_DEP_1)
	v_lshlrev_b32_e32 v13, 2, v13
	ds_store_b32 v13, v48
	s_or_b32 exec_lo, exec_lo, s7
	s_and_saveexec_b32 s6, s5
	s_cbranch_execz .LBB920_198
.LBB920_240:
	v_sub_nc_u32_e32 v5, v5, v4
	s_delay_alu instid0(VALU_DEP_1)
	v_lshlrev_b32_e32 v5, 2, v5
	ds_store_b32 v5, v6
	s_or_b32 exec_lo, exec_lo, s6
	s_and_saveexec_b32 s5, s4
	s_cbranch_execz .LBB920_199
.LBB920_241:
	v_sub_nc_u32_e32 v5, v7, v4
	s_delay_alu instid0(VALU_DEP_1)
	v_lshlrev_b32_e32 v5, 2, v5
	ds_store_b32 v5, v8
	s_or_b32 exec_lo, exec_lo, s5
	s_and_saveexec_b32 s4, s3
	s_cbranch_execz .LBB920_200
.LBB920_242:
	v_sub_nc_u32_e32 v5, v37, v4
	s_delay_alu instid0(VALU_DEP_1)
	v_lshlrev_b32_e32 v5, 2, v5
	ds_store_b32 v5, v38
	s_or_b32 exec_lo, exec_lo, s4
	s_and_saveexec_b32 s3, s2
	s_cbranch_execz .LBB920_201
.LBB920_243:
	v_sub_nc_u32_e32 v5, v61, v4
	s_delay_alu instid0(VALU_DEP_1)
	v_lshlrev_b32_e32 v5, 2, v5
	ds_store_b32 v5, v62
	s_or_b32 exec_lo, exec_lo, s3
	s_and_saveexec_b32 s2, s1
	s_cbranch_execnz .LBB920_202
	s_branch .LBB920_203
	.section	.rodata,"a",@progbits
	.p2align	6, 0x0
	.amdhsa_kernel _ZN7rocprim17ROCPRIM_400000_NS6detail17trampoline_kernelINS0_14default_configENS1_29reduce_by_key_config_selectorIjjN6thrust23THRUST_200600_302600_NS4plusIjEEEEZZNS1_33reduce_by_key_impl_wrapped_configILNS1_25lookback_scan_determinismE0ES3_S9_NS6_6detail15normal_iteratorINS6_10device_ptrIjEEEESG_NS6_16discard_iteratorINS6_11use_defaultEEESG_PmS8_NS6_8equal_toIjEEEE10hipError_tPvRmT2_T3_mT4_T5_T6_T7_T8_P12ihipStream_tbENKUlT_T0_E_clISt17integral_constantIbLb0EES14_EEDaSZ_S10_EUlSZ_E_NS1_11comp_targetILNS1_3genE9ELNS1_11target_archE1100ELNS1_3gpuE3ELNS1_3repE0EEENS1_30default_config_static_selectorELNS0_4arch9wavefront6targetE0EEEvT1_
		.amdhsa_group_segment_fixed_size 15360
		.amdhsa_private_segment_fixed_size 0
		.amdhsa_kernarg_size 128
		.amdhsa_user_sgpr_count 15
		.amdhsa_user_sgpr_dispatch_ptr 0
		.amdhsa_user_sgpr_queue_ptr 0
		.amdhsa_user_sgpr_kernarg_segment_ptr 1
		.amdhsa_user_sgpr_dispatch_id 0
		.amdhsa_user_sgpr_private_segment_size 0
		.amdhsa_wavefront_size32 1
		.amdhsa_uses_dynamic_stack 0
		.amdhsa_enable_private_segment 0
		.amdhsa_system_sgpr_workgroup_id_x 1
		.amdhsa_system_sgpr_workgroup_id_y 0
		.amdhsa_system_sgpr_workgroup_id_z 0
		.amdhsa_system_sgpr_workgroup_info 0
		.amdhsa_system_vgpr_workitem_id 0
		.amdhsa_next_free_vgpr 85
		.amdhsa_next_free_sgpr 42
		.amdhsa_reserve_vcc 1
		.amdhsa_float_round_mode_32 0
		.amdhsa_float_round_mode_16_64 0
		.amdhsa_float_denorm_mode_32 3
		.amdhsa_float_denorm_mode_16_64 3
		.amdhsa_dx10_clamp 1
		.amdhsa_ieee_mode 1
		.amdhsa_fp16_overflow 0
		.amdhsa_workgroup_processor_mode 1
		.amdhsa_memory_ordered 1
		.amdhsa_forward_progress 0
		.amdhsa_shared_vgpr_count 0
		.amdhsa_exception_fp_ieee_invalid_op 0
		.amdhsa_exception_fp_denorm_src 0
		.amdhsa_exception_fp_ieee_div_zero 0
		.amdhsa_exception_fp_ieee_overflow 0
		.amdhsa_exception_fp_ieee_underflow 0
		.amdhsa_exception_fp_ieee_inexact 0
		.amdhsa_exception_int_div_zero 0
	.end_amdhsa_kernel
	.section	.text._ZN7rocprim17ROCPRIM_400000_NS6detail17trampoline_kernelINS0_14default_configENS1_29reduce_by_key_config_selectorIjjN6thrust23THRUST_200600_302600_NS4plusIjEEEEZZNS1_33reduce_by_key_impl_wrapped_configILNS1_25lookback_scan_determinismE0ES3_S9_NS6_6detail15normal_iteratorINS6_10device_ptrIjEEEESG_NS6_16discard_iteratorINS6_11use_defaultEEESG_PmS8_NS6_8equal_toIjEEEE10hipError_tPvRmT2_T3_mT4_T5_T6_T7_T8_P12ihipStream_tbENKUlT_T0_E_clISt17integral_constantIbLb0EES14_EEDaSZ_S10_EUlSZ_E_NS1_11comp_targetILNS1_3genE9ELNS1_11target_archE1100ELNS1_3gpuE3ELNS1_3repE0EEENS1_30default_config_static_selectorELNS0_4arch9wavefront6targetE0EEEvT1_,"axG",@progbits,_ZN7rocprim17ROCPRIM_400000_NS6detail17trampoline_kernelINS0_14default_configENS1_29reduce_by_key_config_selectorIjjN6thrust23THRUST_200600_302600_NS4plusIjEEEEZZNS1_33reduce_by_key_impl_wrapped_configILNS1_25lookback_scan_determinismE0ES3_S9_NS6_6detail15normal_iteratorINS6_10device_ptrIjEEEESG_NS6_16discard_iteratorINS6_11use_defaultEEESG_PmS8_NS6_8equal_toIjEEEE10hipError_tPvRmT2_T3_mT4_T5_T6_T7_T8_P12ihipStream_tbENKUlT_T0_E_clISt17integral_constantIbLb0EES14_EEDaSZ_S10_EUlSZ_E_NS1_11comp_targetILNS1_3genE9ELNS1_11target_archE1100ELNS1_3gpuE3ELNS1_3repE0EEENS1_30default_config_static_selectorELNS0_4arch9wavefront6targetE0EEEvT1_,comdat
.Lfunc_end920:
	.size	_ZN7rocprim17ROCPRIM_400000_NS6detail17trampoline_kernelINS0_14default_configENS1_29reduce_by_key_config_selectorIjjN6thrust23THRUST_200600_302600_NS4plusIjEEEEZZNS1_33reduce_by_key_impl_wrapped_configILNS1_25lookback_scan_determinismE0ES3_S9_NS6_6detail15normal_iteratorINS6_10device_ptrIjEEEESG_NS6_16discard_iteratorINS6_11use_defaultEEESG_PmS8_NS6_8equal_toIjEEEE10hipError_tPvRmT2_T3_mT4_T5_T6_T7_T8_P12ihipStream_tbENKUlT_T0_E_clISt17integral_constantIbLb0EES14_EEDaSZ_S10_EUlSZ_E_NS1_11comp_targetILNS1_3genE9ELNS1_11target_archE1100ELNS1_3gpuE3ELNS1_3repE0EEENS1_30default_config_static_selectorELNS0_4arch9wavefront6targetE0EEEvT1_, .Lfunc_end920-_ZN7rocprim17ROCPRIM_400000_NS6detail17trampoline_kernelINS0_14default_configENS1_29reduce_by_key_config_selectorIjjN6thrust23THRUST_200600_302600_NS4plusIjEEEEZZNS1_33reduce_by_key_impl_wrapped_configILNS1_25lookback_scan_determinismE0ES3_S9_NS6_6detail15normal_iteratorINS6_10device_ptrIjEEEESG_NS6_16discard_iteratorINS6_11use_defaultEEESG_PmS8_NS6_8equal_toIjEEEE10hipError_tPvRmT2_T3_mT4_T5_T6_T7_T8_P12ihipStream_tbENKUlT_T0_E_clISt17integral_constantIbLb0EES14_EEDaSZ_S10_EUlSZ_E_NS1_11comp_targetILNS1_3genE9ELNS1_11target_archE1100ELNS1_3gpuE3ELNS1_3repE0EEENS1_30default_config_static_selectorELNS0_4arch9wavefront6targetE0EEEvT1_
                                        ; -- End function
	.section	.AMDGPU.csdata,"",@progbits
; Kernel info:
; codeLenInByte = 15392
; NumSgprs: 44
; NumVgprs: 85
; ScratchSize: 0
; MemoryBound: 0
; FloatMode: 240
; IeeeMode: 1
; LDSByteSize: 15360 bytes/workgroup (compile time only)
; SGPRBlocks: 5
; VGPRBlocks: 10
; NumSGPRsForWavesPerEU: 44
; NumVGPRsForWavesPerEU: 85
; Occupancy: 16
; WaveLimiterHint : 1
; COMPUTE_PGM_RSRC2:SCRATCH_EN: 0
; COMPUTE_PGM_RSRC2:USER_SGPR: 15
; COMPUTE_PGM_RSRC2:TRAP_HANDLER: 0
; COMPUTE_PGM_RSRC2:TGID_X_EN: 1
; COMPUTE_PGM_RSRC2:TGID_Y_EN: 0
; COMPUTE_PGM_RSRC2:TGID_Z_EN: 0
; COMPUTE_PGM_RSRC2:TIDIG_COMP_CNT: 0
	.section	.text._ZN7rocprim17ROCPRIM_400000_NS6detail17trampoline_kernelINS0_14default_configENS1_29reduce_by_key_config_selectorIjjN6thrust23THRUST_200600_302600_NS4plusIjEEEEZZNS1_33reduce_by_key_impl_wrapped_configILNS1_25lookback_scan_determinismE0ES3_S9_NS6_6detail15normal_iteratorINS6_10device_ptrIjEEEESG_NS6_16discard_iteratorINS6_11use_defaultEEESG_PmS8_NS6_8equal_toIjEEEE10hipError_tPvRmT2_T3_mT4_T5_T6_T7_T8_P12ihipStream_tbENKUlT_T0_E_clISt17integral_constantIbLb0EES14_EEDaSZ_S10_EUlSZ_E_NS1_11comp_targetILNS1_3genE8ELNS1_11target_archE1030ELNS1_3gpuE2ELNS1_3repE0EEENS1_30default_config_static_selectorELNS0_4arch9wavefront6targetE0EEEvT1_,"axG",@progbits,_ZN7rocprim17ROCPRIM_400000_NS6detail17trampoline_kernelINS0_14default_configENS1_29reduce_by_key_config_selectorIjjN6thrust23THRUST_200600_302600_NS4plusIjEEEEZZNS1_33reduce_by_key_impl_wrapped_configILNS1_25lookback_scan_determinismE0ES3_S9_NS6_6detail15normal_iteratorINS6_10device_ptrIjEEEESG_NS6_16discard_iteratorINS6_11use_defaultEEESG_PmS8_NS6_8equal_toIjEEEE10hipError_tPvRmT2_T3_mT4_T5_T6_T7_T8_P12ihipStream_tbENKUlT_T0_E_clISt17integral_constantIbLb0EES14_EEDaSZ_S10_EUlSZ_E_NS1_11comp_targetILNS1_3genE8ELNS1_11target_archE1030ELNS1_3gpuE2ELNS1_3repE0EEENS1_30default_config_static_selectorELNS0_4arch9wavefront6targetE0EEEvT1_,comdat
	.protected	_ZN7rocprim17ROCPRIM_400000_NS6detail17trampoline_kernelINS0_14default_configENS1_29reduce_by_key_config_selectorIjjN6thrust23THRUST_200600_302600_NS4plusIjEEEEZZNS1_33reduce_by_key_impl_wrapped_configILNS1_25lookback_scan_determinismE0ES3_S9_NS6_6detail15normal_iteratorINS6_10device_ptrIjEEEESG_NS6_16discard_iteratorINS6_11use_defaultEEESG_PmS8_NS6_8equal_toIjEEEE10hipError_tPvRmT2_T3_mT4_T5_T6_T7_T8_P12ihipStream_tbENKUlT_T0_E_clISt17integral_constantIbLb0EES14_EEDaSZ_S10_EUlSZ_E_NS1_11comp_targetILNS1_3genE8ELNS1_11target_archE1030ELNS1_3gpuE2ELNS1_3repE0EEENS1_30default_config_static_selectorELNS0_4arch9wavefront6targetE0EEEvT1_ ; -- Begin function _ZN7rocprim17ROCPRIM_400000_NS6detail17trampoline_kernelINS0_14default_configENS1_29reduce_by_key_config_selectorIjjN6thrust23THRUST_200600_302600_NS4plusIjEEEEZZNS1_33reduce_by_key_impl_wrapped_configILNS1_25lookback_scan_determinismE0ES3_S9_NS6_6detail15normal_iteratorINS6_10device_ptrIjEEEESG_NS6_16discard_iteratorINS6_11use_defaultEEESG_PmS8_NS6_8equal_toIjEEEE10hipError_tPvRmT2_T3_mT4_T5_T6_T7_T8_P12ihipStream_tbENKUlT_T0_E_clISt17integral_constantIbLb0EES14_EEDaSZ_S10_EUlSZ_E_NS1_11comp_targetILNS1_3genE8ELNS1_11target_archE1030ELNS1_3gpuE2ELNS1_3repE0EEENS1_30default_config_static_selectorELNS0_4arch9wavefront6targetE0EEEvT1_
	.globl	_ZN7rocprim17ROCPRIM_400000_NS6detail17trampoline_kernelINS0_14default_configENS1_29reduce_by_key_config_selectorIjjN6thrust23THRUST_200600_302600_NS4plusIjEEEEZZNS1_33reduce_by_key_impl_wrapped_configILNS1_25lookback_scan_determinismE0ES3_S9_NS6_6detail15normal_iteratorINS6_10device_ptrIjEEEESG_NS6_16discard_iteratorINS6_11use_defaultEEESG_PmS8_NS6_8equal_toIjEEEE10hipError_tPvRmT2_T3_mT4_T5_T6_T7_T8_P12ihipStream_tbENKUlT_T0_E_clISt17integral_constantIbLb0EES14_EEDaSZ_S10_EUlSZ_E_NS1_11comp_targetILNS1_3genE8ELNS1_11target_archE1030ELNS1_3gpuE2ELNS1_3repE0EEENS1_30default_config_static_selectorELNS0_4arch9wavefront6targetE0EEEvT1_
	.p2align	8
	.type	_ZN7rocprim17ROCPRIM_400000_NS6detail17trampoline_kernelINS0_14default_configENS1_29reduce_by_key_config_selectorIjjN6thrust23THRUST_200600_302600_NS4plusIjEEEEZZNS1_33reduce_by_key_impl_wrapped_configILNS1_25lookback_scan_determinismE0ES3_S9_NS6_6detail15normal_iteratorINS6_10device_ptrIjEEEESG_NS6_16discard_iteratorINS6_11use_defaultEEESG_PmS8_NS6_8equal_toIjEEEE10hipError_tPvRmT2_T3_mT4_T5_T6_T7_T8_P12ihipStream_tbENKUlT_T0_E_clISt17integral_constantIbLb0EES14_EEDaSZ_S10_EUlSZ_E_NS1_11comp_targetILNS1_3genE8ELNS1_11target_archE1030ELNS1_3gpuE2ELNS1_3repE0EEENS1_30default_config_static_selectorELNS0_4arch9wavefront6targetE0EEEvT1_,@function
_ZN7rocprim17ROCPRIM_400000_NS6detail17trampoline_kernelINS0_14default_configENS1_29reduce_by_key_config_selectorIjjN6thrust23THRUST_200600_302600_NS4plusIjEEEEZZNS1_33reduce_by_key_impl_wrapped_configILNS1_25lookback_scan_determinismE0ES3_S9_NS6_6detail15normal_iteratorINS6_10device_ptrIjEEEESG_NS6_16discard_iteratorINS6_11use_defaultEEESG_PmS8_NS6_8equal_toIjEEEE10hipError_tPvRmT2_T3_mT4_T5_T6_T7_T8_P12ihipStream_tbENKUlT_T0_E_clISt17integral_constantIbLb0EES14_EEDaSZ_S10_EUlSZ_E_NS1_11comp_targetILNS1_3genE8ELNS1_11target_archE1030ELNS1_3gpuE2ELNS1_3repE0EEENS1_30default_config_static_selectorELNS0_4arch9wavefront6targetE0EEEvT1_: ; @_ZN7rocprim17ROCPRIM_400000_NS6detail17trampoline_kernelINS0_14default_configENS1_29reduce_by_key_config_selectorIjjN6thrust23THRUST_200600_302600_NS4plusIjEEEEZZNS1_33reduce_by_key_impl_wrapped_configILNS1_25lookback_scan_determinismE0ES3_S9_NS6_6detail15normal_iteratorINS6_10device_ptrIjEEEESG_NS6_16discard_iteratorINS6_11use_defaultEEESG_PmS8_NS6_8equal_toIjEEEE10hipError_tPvRmT2_T3_mT4_T5_T6_T7_T8_P12ihipStream_tbENKUlT_T0_E_clISt17integral_constantIbLb0EES14_EEDaSZ_S10_EUlSZ_E_NS1_11comp_targetILNS1_3genE8ELNS1_11target_archE1030ELNS1_3gpuE2ELNS1_3repE0EEENS1_30default_config_static_selectorELNS0_4arch9wavefront6targetE0EEEvT1_
; %bb.0:
	.section	.rodata,"a",@progbits
	.p2align	6, 0x0
	.amdhsa_kernel _ZN7rocprim17ROCPRIM_400000_NS6detail17trampoline_kernelINS0_14default_configENS1_29reduce_by_key_config_selectorIjjN6thrust23THRUST_200600_302600_NS4plusIjEEEEZZNS1_33reduce_by_key_impl_wrapped_configILNS1_25lookback_scan_determinismE0ES3_S9_NS6_6detail15normal_iteratorINS6_10device_ptrIjEEEESG_NS6_16discard_iteratorINS6_11use_defaultEEESG_PmS8_NS6_8equal_toIjEEEE10hipError_tPvRmT2_T3_mT4_T5_T6_T7_T8_P12ihipStream_tbENKUlT_T0_E_clISt17integral_constantIbLb0EES14_EEDaSZ_S10_EUlSZ_E_NS1_11comp_targetILNS1_3genE8ELNS1_11target_archE1030ELNS1_3gpuE2ELNS1_3repE0EEENS1_30default_config_static_selectorELNS0_4arch9wavefront6targetE0EEEvT1_
		.amdhsa_group_segment_fixed_size 0
		.amdhsa_private_segment_fixed_size 0
		.amdhsa_kernarg_size 128
		.amdhsa_user_sgpr_count 15
		.amdhsa_user_sgpr_dispatch_ptr 0
		.amdhsa_user_sgpr_queue_ptr 0
		.amdhsa_user_sgpr_kernarg_segment_ptr 1
		.amdhsa_user_sgpr_dispatch_id 0
		.amdhsa_user_sgpr_private_segment_size 0
		.amdhsa_wavefront_size32 1
		.amdhsa_uses_dynamic_stack 0
		.amdhsa_enable_private_segment 0
		.amdhsa_system_sgpr_workgroup_id_x 1
		.amdhsa_system_sgpr_workgroup_id_y 0
		.amdhsa_system_sgpr_workgroup_id_z 0
		.amdhsa_system_sgpr_workgroup_info 0
		.amdhsa_system_vgpr_workitem_id 0
		.amdhsa_next_free_vgpr 1
		.amdhsa_next_free_sgpr 1
		.amdhsa_reserve_vcc 0
		.amdhsa_float_round_mode_32 0
		.amdhsa_float_round_mode_16_64 0
		.amdhsa_float_denorm_mode_32 3
		.amdhsa_float_denorm_mode_16_64 3
		.amdhsa_dx10_clamp 1
		.amdhsa_ieee_mode 1
		.amdhsa_fp16_overflow 0
		.amdhsa_workgroup_processor_mode 1
		.amdhsa_memory_ordered 1
		.amdhsa_forward_progress 0
		.amdhsa_shared_vgpr_count 0
		.amdhsa_exception_fp_ieee_invalid_op 0
		.amdhsa_exception_fp_denorm_src 0
		.amdhsa_exception_fp_ieee_div_zero 0
		.amdhsa_exception_fp_ieee_overflow 0
		.amdhsa_exception_fp_ieee_underflow 0
		.amdhsa_exception_fp_ieee_inexact 0
		.amdhsa_exception_int_div_zero 0
	.end_amdhsa_kernel
	.section	.text._ZN7rocprim17ROCPRIM_400000_NS6detail17trampoline_kernelINS0_14default_configENS1_29reduce_by_key_config_selectorIjjN6thrust23THRUST_200600_302600_NS4plusIjEEEEZZNS1_33reduce_by_key_impl_wrapped_configILNS1_25lookback_scan_determinismE0ES3_S9_NS6_6detail15normal_iteratorINS6_10device_ptrIjEEEESG_NS6_16discard_iteratorINS6_11use_defaultEEESG_PmS8_NS6_8equal_toIjEEEE10hipError_tPvRmT2_T3_mT4_T5_T6_T7_T8_P12ihipStream_tbENKUlT_T0_E_clISt17integral_constantIbLb0EES14_EEDaSZ_S10_EUlSZ_E_NS1_11comp_targetILNS1_3genE8ELNS1_11target_archE1030ELNS1_3gpuE2ELNS1_3repE0EEENS1_30default_config_static_selectorELNS0_4arch9wavefront6targetE0EEEvT1_,"axG",@progbits,_ZN7rocprim17ROCPRIM_400000_NS6detail17trampoline_kernelINS0_14default_configENS1_29reduce_by_key_config_selectorIjjN6thrust23THRUST_200600_302600_NS4plusIjEEEEZZNS1_33reduce_by_key_impl_wrapped_configILNS1_25lookback_scan_determinismE0ES3_S9_NS6_6detail15normal_iteratorINS6_10device_ptrIjEEEESG_NS6_16discard_iteratorINS6_11use_defaultEEESG_PmS8_NS6_8equal_toIjEEEE10hipError_tPvRmT2_T3_mT4_T5_T6_T7_T8_P12ihipStream_tbENKUlT_T0_E_clISt17integral_constantIbLb0EES14_EEDaSZ_S10_EUlSZ_E_NS1_11comp_targetILNS1_3genE8ELNS1_11target_archE1030ELNS1_3gpuE2ELNS1_3repE0EEENS1_30default_config_static_selectorELNS0_4arch9wavefront6targetE0EEEvT1_,comdat
.Lfunc_end921:
	.size	_ZN7rocprim17ROCPRIM_400000_NS6detail17trampoline_kernelINS0_14default_configENS1_29reduce_by_key_config_selectorIjjN6thrust23THRUST_200600_302600_NS4plusIjEEEEZZNS1_33reduce_by_key_impl_wrapped_configILNS1_25lookback_scan_determinismE0ES3_S9_NS6_6detail15normal_iteratorINS6_10device_ptrIjEEEESG_NS6_16discard_iteratorINS6_11use_defaultEEESG_PmS8_NS6_8equal_toIjEEEE10hipError_tPvRmT2_T3_mT4_T5_T6_T7_T8_P12ihipStream_tbENKUlT_T0_E_clISt17integral_constantIbLb0EES14_EEDaSZ_S10_EUlSZ_E_NS1_11comp_targetILNS1_3genE8ELNS1_11target_archE1030ELNS1_3gpuE2ELNS1_3repE0EEENS1_30default_config_static_selectorELNS0_4arch9wavefront6targetE0EEEvT1_, .Lfunc_end921-_ZN7rocprim17ROCPRIM_400000_NS6detail17trampoline_kernelINS0_14default_configENS1_29reduce_by_key_config_selectorIjjN6thrust23THRUST_200600_302600_NS4plusIjEEEEZZNS1_33reduce_by_key_impl_wrapped_configILNS1_25lookback_scan_determinismE0ES3_S9_NS6_6detail15normal_iteratorINS6_10device_ptrIjEEEESG_NS6_16discard_iteratorINS6_11use_defaultEEESG_PmS8_NS6_8equal_toIjEEEE10hipError_tPvRmT2_T3_mT4_T5_T6_T7_T8_P12ihipStream_tbENKUlT_T0_E_clISt17integral_constantIbLb0EES14_EEDaSZ_S10_EUlSZ_E_NS1_11comp_targetILNS1_3genE8ELNS1_11target_archE1030ELNS1_3gpuE2ELNS1_3repE0EEENS1_30default_config_static_selectorELNS0_4arch9wavefront6targetE0EEEvT1_
                                        ; -- End function
	.section	.AMDGPU.csdata,"",@progbits
; Kernel info:
; codeLenInByte = 0
; NumSgprs: 0
; NumVgprs: 0
; ScratchSize: 0
; MemoryBound: 0
; FloatMode: 240
; IeeeMode: 1
; LDSByteSize: 0 bytes/workgroup (compile time only)
; SGPRBlocks: 0
; VGPRBlocks: 0
; NumSGPRsForWavesPerEU: 1
; NumVGPRsForWavesPerEU: 1
; Occupancy: 16
; WaveLimiterHint : 0
; COMPUTE_PGM_RSRC2:SCRATCH_EN: 0
; COMPUTE_PGM_RSRC2:USER_SGPR: 15
; COMPUTE_PGM_RSRC2:TRAP_HANDLER: 0
; COMPUTE_PGM_RSRC2:TGID_X_EN: 1
; COMPUTE_PGM_RSRC2:TGID_Y_EN: 0
; COMPUTE_PGM_RSRC2:TGID_Z_EN: 0
; COMPUTE_PGM_RSRC2:TIDIG_COMP_CNT: 0
	.section	.text._ZN7rocprim17ROCPRIM_400000_NS6detail17trampoline_kernelINS0_14default_configENS1_29reduce_by_key_config_selectorIjjN6thrust23THRUST_200600_302600_NS4plusIjEEEEZZNS1_33reduce_by_key_impl_wrapped_configILNS1_25lookback_scan_determinismE0ES3_S9_NS6_6detail15normal_iteratorINS6_10device_ptrIjEEEESG_NS6_16discard_iteratorINS6_11use_defaultEEESG_PmS8_NS6_8equal_toIjEEEE10hipError_tPvRmT2_T3_mT4_T5_T6_T7_T8_P12ihipStream_tbENKUlT_T0_E_clISt17integral_constantIbLb1EES14_EEDaSZ_S10_EUlSZ_E_NS1_11comp_targetILNS1_3genE0ELNS1_11target_archE4294967295ELNS1_3gpuE0ELNS1_3repE0EEENS1_30default_config_static_selectorELNS0_4arch9wavefront6targetE0EEEvT1_,"axG",@progbits,_ZN7rocprim17ROCPRIM_400000_NS6detail17trampoline_kernelINS0_14default_configENS1_29reduce_by_key_config_selectorIjjN6thrust23THRUST_200600_302600_NS4plusIjEEEEZZNS1_33reduce_by_key_impl_wrapped_configILNS1_25lookback_scan_determinismE0ES3_S9_NS6_6detail15normal_iteratorINS6_10device_ptrIjEEEESG_NS6_16discard_iteratorINS6_11use_defaultEEESG_PmS8_NS6_8equal_toIjEEEE10hipError_tPvRmT2_T3_mT4_T5_T6_T7_T8_P12ihipStream_tbENKUlT_T0_E_clISt17integral_constantIbLb1EES14_EEDaSZ_S10_EUlSZ_E_NS1_11comp_targetILNS1_3genE0ELNS1_11target_archE4294967295ELNS1_3gpuE0ELNS1_3repE0EEENS1_30default_config_static_selectorELNS0_4arch9wavefront6targetE0EEEvT1_,comdat
	.protected	_ZN7rocprim17ROCPRIM_400000_NS6detail17trampoline_kernelINS0_14default_configENS1_29reduce_by_key_config_selectorIjjN6thrust23THRUST_200600_302600_NS4plusIjEEEEZZNS1_33reduce_by_key_impl_wrapped_configILNS1_25lookback_scan_determinismE0ES3_S9_NS6_6detail15normal_iteratorINS6_10device_ptrIjEEEESG_NS6_16discard_iteratorINS6_11use_defaultEEESG_PmS8_NS6_8equal_toIjEEEE10hipError_tPvRmT2_T3_mT4_T5_T6_T7_T8_P12ihipStream_tbENKUlT_T0_E_clISt17integral_constantIbLb1EES14_EEDaSZ_S10_EUlSZ_E_NS1_11comp_targetILNS1_3genE0ELNS1_11target_archE4294967295ELNS1_3gpuE0ELNS1_3repE0EEENS1_30default_config_static_selectorELNS0_4arch9wavefront6targetE0EEEvT1_ ; -- Begin function _ZN7rocprim17ROCPRIM_400000_NS6detail17trampoline_kernelINS0_14default_configENS1_29reduce_by_key_config_selectorIjjN6thrust23THRUST_200600_302600_NS4plusIjEEEEZZNS1_33reduce_by_key_impl_wrapped_configILNS1_25lookback_scan_determinismE0ES3_S9_NS6_6detail15normal_iteratorINS6_10device_ptrIjEEEESG_NS6_16discard_iteratorINS6_11use_defaultEEESG_PmS8_NS6_8equal_toIjEEEE10hipError_tPvRmT2_T3_mT4_T5_T6_T7_T8_P12ihipStream_tbENKUlT_T0_E_clISt17integral_constantIbLb1EES14_EEDaSZ_S10_EUlSZ_E_NS1_11comp_targetILNS1_3genE0ELNS1_11target_archE4294967295ELNS1_3gpuE0ELNS1_3repE0EEENS1_30default_config_static_selectorELNS0_4arch9wavefront6targetE0EEEvT1_
	.globl	_ZN7rocprim17ROCPRIM_400000_NS6detail17trampoline_kernelINS0_14default_configENS1_29reduce_by_key_config_selectorIjjN6thrust23THRUST_200600_302600_NS4plusIjEEEEZZNS1_33reduce_by_key_impl_wrapped_configILNS1_25lookback_scan_determinismE0ES3_S9_NS6_6detail15normal_iteratorINS6_10device_ptrIjEEEESG_NS6_16discard_iteratorINS6_11use_defaultEEESG_PmS8_NS6_8equal_toIjEEEE10hipError_tPvRmT2_T3_mT4_T5_T6_T7_T8_P12ihipStream_tbENKUlT_T0_E_clISt17integral_constantIbLb1EES14_EEDaSZ_S10_EUlSZ_E_NS1_11comp_targetILNS1_3genE0ELNS1_11target_archE4294967295ELNS1_3gpuE0ELNS1_3repE0EEENS1_30default_config_static_selectorELNS0_4arch9wavefront6targetE0EEEvT1_
	.p2align	8
	.type	_ZN7rocprim17ROCPRIM_400000_NS6detail17trampoline_kernelINS0_14default_configENS1_29reduce_by_key_config_selectorIjjN6thrust23THRUST_200600_302600_NS4plusIjEEEEZZNS1_33reduce_by_key_impl_wrapped_configILNS1_25lookback_scan_determinismE0ES3_S9_NS6_6detail15normal_iteratorINS6_10device_ptrIjEEEESG_NS6_16discard_iteratorINS6_11use_defaultEEESG_PmS8_NS6_8equal_toIjEEEE10hipError_tPvRmT2_T3_mT4_T5_T6_T7_T8_P12ihipStream_tbENKUlT_T0_E_clISt17integral_constantIbLb1EES14_EEDaSZ_S10_EUlSZ_E_NS1_11comp_targetILNS1_3genE0ELNS1_11target_archE4294967295ELNS1_3gpuE0ELNS1_3repE0EEENS1_30default_config_static_selectorELNS0_4arch9wavefront6targetE0EEEvT1_,@function
_ZN7rocprim17ROCPRIM_400000_NS6detail17trampoline_kernelINS0_14default_configENS1_29reduce_by_key_config_selectorIjjN6thrust23THRUST_200600_302600_NS4plusIjEEEEZZNS1_33reduce_by_key_impl_wrapped_configILNS1_25lookback_scan_determinismE0ES3_S9_NS6_6detail15normal_iteratorINS6_10device_ptrIjEEEESG_NS6_16discard_iteratorINS6_11use_defaultEEESG_PmS8_NS6_8equal_toIjEEEE10hipError_tPvRmT2_T3_mT4_T5_T6_T7_T8_P12ihipStream_tbENKUlT_T0_E_clISt17integral_constantIbLb1EES14_EEDaSZ_S10_EUlSZ_E_NS1_11comp_targetILNS1_3genE0ELNS1_11target_archE4294967295ELNS1_3gpuE0ELNS1_3repE0EEENS1_30default_config_static_selectorELNS0_4arch9wavefront6targetE0EEEvT1_: ; @_ZN7rocprim17ROCPRIM_400000_NS6detail17trampoline_kernelINS0_14default_configENS1_29reduce_by_key_config_selectorIjjN6thrust23THRUST_200600_302600_NS4plusIjEEEEZZNS1_33reduce_by_key_impl_wrapped_configILNS1_25lookback_scan_determinismE0ES3_S9_NS6_6detail15normal_iteratorINS6_10device_ptrIjEEEESG_NS6_16discard_iteratorINS6_11use_defaultEEESG_PmS8_NS6_8equal_toIjEEEE10hipError_tPvRmT2_T3_mT4_T5_T6_T7_T8_P12ihipStream_tbENKUlT_T0_E_clISt17integral_constantIbLb1EES14_EEDaSZ_S10_EUlSZ_E_NS1_11comp_targetILNS1_3genE0ELNS1_11target_archE4294967295ELNS1_3gpuE0ELNS1_3repE0EEENS1_30default_config_static_selectorELNS0_4arch9wavefront6targetE0EEEvT1_
; %bb.0:
	.section	.rodata,"a",@progbits
	.p2align	6, 0x0
	.amdhsa_kernel _ZN7rocprim17ROCPRIM_400000_NS6detail17trampoline_kernelINS0_14default_configENS1_29reduce_by_key_config_selectorIjjN6thrust23THRUST_200600_302600_NS4plusIjEEEEZZNS1_33reduce_by_key_impl_wrapped_configILNS1_25lookback_scan_determinismE0ES3_S9_NS6_6detail15normal_iteratorINS6_10device_ptrIjEEEESG_NS6_16discard_iteratorINS6_11use_defaultEEESG_PmS8_NS6_8equal_toIjEEEE10hipError_tPvRmT2_T3_mT4_T5_T6_T7_T8_P12ihipStream_tbENKUlT_T0_E_clISt17integral_constantIbLb1EES14_EEDaSZ_S10_EUlSZ_E_NS1_11comp_targetILNS1_3genE0ELNS1_11target_archE4294967295ELNS1_3gpuE0ELNS1_3repE0EEENS1_30default_config_static_selectorELNS0_4arch9wavefront6targetE0EEEvT1_
		.amdhsa_group_segment_fixed_size 0
		.amdhsa_private_segment_fixed_size 0
		.amdhsa_kernarg_size 128
		.amdhsa_user_sgpr_count 15
		.amdhsa_user_sgpr_dispatch_ptr 0
		.amdhsa_user_sgpr_queue_ptr 0
		.amdhsa_user_sgpr_kernarg_segment_ptr 1
		.amdhsa_user_sgpr_dispatch_id 0
		.amdhsa_user_sgpr_private_segment_size 0
		.amdhsa_wavefront_size32 1
		.amdhsa_uses_dynamic_stack 0
		.amdhsa_enable_private_segment 0
		.amdhsa_system_sgpr_workgroup_id_x 1
		.amdhsa_system_sgpr_workgroup_id_y 0
		.amdhsa_system_sgpr_workgroup_id_z 0
		.amdhsa_system_sgpr_workgroup_info 0
		.amdhsa_system_vgpr_workitem_id 0
		.amdhsa_next_free_vgpr 1
		.amdhsa_next_free_sgpr 1
		.amdhsa_reserve_vcc 0
		.amdhsa_float_round_mode_32 0
		.amdhsa_float_round_mode_16_64 0
		.amdhsa_float_denorm_mode_32 3
		.amdhsa_float_denorm_mode_16_64 3
		.amdhsa_dx10_clamp 1
		.amdhsa_ieee_mode 1
		.amdhsa_fp16_overflow 0
		.amdhsa_workgroup_processor_mode 1
		.amdhsa_memory_ordered 1
		.amdhsa_forward_progress 0
		.amdhsa_shared_vgpr_count 0
		.amdhsa_exception_fp_ieee_invalid_op 0
		.amdhsa_exception_fp_denorm_src 0
		.amdhsa_exception_fp_ieee_div_zero 0
		.amdhsa_exception_fp_ieee_overflow 0
		.amdhsa_exception_fp_ieee_underflow 0
		.amdhsa_exception_fp_ieee_inexact 0
		.amdhsa_exception_int_div_zero 0
	.end_amdhsa_kernel
	.section	.text._ZN7rocprim17ROCPRIM_400000_NS6detail17trampoline_kernelINS0_14default_configENS1_29reduce_by_key_config_selectorIjjN6thrust23THRUST_200600_302600_NS4plusIjEEEEZZNS1_33reduce_by_key_impl_wrapped_configILNS1_25lookback_scan_determinismE0ES3_S9_NS6_6detail15normal_iteratorINS6_10device_ptrIjEEEESG_NS6_16discard_iteratorINS6_11use_defaultEEESG_PmS8_NS6_8equal_toIjEEEE10hipError_tPvRmT2_T3_mT4_T5_T6_T7_T8_P12ihipStream_tbENKUlT_T0_E_clISt17integral_constantIbLb1EES14_EEDaSZ_S10_EUlSZ_E_NS1_11comp_targetILNS1_3genE0ELNS1_11target_archE4294967295ELNS1_3gpuE0ELNS1_3repE0EEENS1_30default_config_static_selectorELNS0_4arch9wavefront6targetE0EEEvT1_,"axG",@progbits,_ZN7rocprim17ROCPRIM_400000_NS6detail17trampoline_kernelINS0_14default_configENS1_29reduce_by_key_config_selectorIjjN6thrust23THRUST_200600_302600_NS4plusIjEEEEZZNS1_33reduce_by_key_impl_wrapped_configILNS1_25lookback_scan_determinismE0ES3_S9_NS6_6detail15normal_iteratorINS6_10device_ptrIjEEEESG_NS6_16discard_iteratorINS6_11use_defaultEEESG_PmS8_NS6_8equal_toIjEEEE10hipError_tPvRmT2_T3_mT4_T5_T6_T7_T8_P12ihipStream_tbENKUlT_T0_E_clISt17integral_constantIbLb1EES14_EEDaSZ_S10_EUlSZ_E_NS1_11comp_targetILNS1_3genE0ELNS1_11target_archE4294967295ELNS1_3gpuE0ELNS1_3repE0EEENS1_30default_config_static_selectorELNS0_4arch9wavefront6targetE0EEEvT1_,comdat
.Lfunc_end922:
	.size	_ZN7rocprim17ROCPRIM_400000_NS6detail17trampoline_kernelINS0_14default_configENS1_29reduce_by_key_config_selectorIjjN6thrust23THRUST_200600_302600_NS4plusIjEEEEZZNS1_33reduce_by_key_impl_wrapped_configILNS1_25lookback_scan_determinismE0ES3_S9_NS6_6detail15normal_iteratorINS6_10device_ptrIjEEEESG_NS6_16discard_iteratorINS6_11use_defaultEEESG_PmS8_NS6_8equal_toIjEEEE10hipError_tPvRmT2_T3_mT4_T5_T6_T7_T8_P12ihipStream_tbENKUlT_T0_E_clISt17integral_constantIbLb1EES14_EEDaSZ_S10_EUlSZ_E_NS1_11comp_targetILNS1_3genE0ELNS1_11target_archE4294967295ELNS1_3gpuE0ELNS1_3repE0EEENS1_30default_config_static_selectorELNS0_4arch9wavefront6targetE0EEEvT1_, .Lfunc_end922-_ZN7rocprim17ROCPRIM_400000_NS6detail17trampoline_kernelINS0_14default_configENS1_29reduce_by_key_config_selectorIjjN6thrust23THRUST_200600_302600_NS4plusIjEEEEZZNS1_33reduce_by_key_impl_wrapped_configILNS1_25lookback_scan_determinismE0ES3_S9_NS6_6detail15normal_iteratorINS6_10device_ptrIjEEEESG_NS6_16discard_iteratorINS6_11use_defaultEEESG_PmS8_NS6_8equal_toIjEEEE10hipError_tPvRmT2_T3_mT4_T5_T6_T7_T8_P12ihipStream_tbENKUlT_T0_E_clISt17integral_constantIbLb1EES14_EEDaSZ_S10_EUlSZ_E_NS1_11comp_targetILNS1_3genE0ELNS1_11target_archE4294967295ELNS1_3gpuE0ELNS1_3repE0EEENS1_30default_config_static_selectorELNS0_4arch9wavefront6targetE0EEEvT1_
                                        ; -- End function
	.section	.AMDGPU.csdata,"",@progbits
; Kernel info:
; codeLenInByte = 0
; NumSgprs: 0
; NumVgprs: 0
; ScratchSize: 0
; MemoryBound: 0
; FloatMode: 240
; IeeeMode: 1
; LDSByteSize: 0 bytes/workgroup (compile time only)
; SGPRBlocks: 0
; VGPRBlocks: 0
; NumSGPRsForWavesPerEU: 1
; NumVGPRsForWavesPerEU: 1
; Occupancy: 16
; WaveLimiterHint : 0
; COMPUTE_PGM_RSRC2:SCRATCH_EN: 0
; COMPUTE_PGM_RSRC2:USER_SGPR: 15
; COMPUTE_PGM_RSRC2:TRAP_HANDLER: 0
; COMPUTE_PGM_RSRC2:TGID_X_EN: 1
; COMPUTE_PGM_RSRC2:TGID_Y_EN: 0
; COMPUTE_PGM_RSRC2:TGID_Z_EN: 0
; COMPUTE_PGM_RSRC2:TIDIG_COMP_CNT: 0
	.section	.text._ZN7rocprim17ROCPRIM_400000_NS6detail17trampoline_kernelINS0_14default_configENS1_29reduce_by_key_config_selectorIjjN6thrust23THRUST_200600_302600_NS4plusIjEEEEZZNS1_33reduce_by_key_impl_wrapped_configILNS1_25lookback_scan_determinismE0ES3_S9_NS6_6detail15normal_iteratorINS6_10device_ptrIjEEEESG_NS6_16discard_iteratorINS6_11use_defaultEEESG_PmS8_NS6_8equal_toIjEEEE10hipError_tPvRmT2_T3_mT4_T5_T6_T7_T8_P12ihipStream_tbENKUlT_T0_E_clISt17integral_constantIbLb1EES14_EEDaSZ_S10_EUlSZ_E_NS1_11comp_targetILNS1_3genE5ELNS1_11target_archE942ELNS1_3gpuE9ELNS1_3repE0EEENS1_30default_config_static_selectorELNS0_4arch9wavefront6targetE0EEEvT1_,"axG",@progbits,_ZN7rocprim17ROCPRIM_400000_NS6detail17trampoline_kernelINS0_14default_configENS1_29reduce_by_key_config_selectorIjjN6thrust23THRUST_200600_302600_NS4plusIjEEEEZZNS1_33reduce_by_key_impl_wrapped_configILNS1_25lookback_scan_determinismE0ES3_S9_NS6_6detail15normal_iteratorINS6_10device_ptrIjEEEESG_NS6_16discard_iteratorINS6_11use_defaultEEESG_PmS8_NS6_8equal_toIjEEEE10hipError_tPvRmT2_T3_mT4_T5_T6_T7_T8_P12ihipStream_tbENKUlT_T0_E_clISt17integral_constantIbLb1EES14_EEDaSZ_S10_EUlSZ_E_NS1_11comp_targetILNS1_3genE5ELNS1_11target_archE942ELNS1_3gpuE9ELNS1_3repE0EEENS1_30default_config_static_selectorELNS0_4arch9wavefront6targetE0EEEvT1_,comdat
	.protected	_ZN7rocprim17ROCPRIM_400000_NS6detail17trampoline_kernelINS0_14default_configENS1_29reduce_by_key_config_selectorIjjN6thrust23THRUST_200600_302600_NS4plusIjEEEEZZNS1_33reduce_by_key_impl_wrapped_configILNS1_25lookback_scan_determinismE0ES3_S9_NS6_6detail15normal_iteratorINS6_10device_ptrIjEEEESG_NS6_16discard_iteratorINS6_11use_defaultEEESG_PmS8_NS6_8equal_toIjEEEE10hipError_tPvRmT2_T3_mT4_T5_T6_T7_T8_P12ihipStream_tbENKUlT_T0_E_clISt17integral_constantIbLb1EES14_EEDaSZ_S10_EUlSZ_E_NS1_11comp_targetILNS1_3genE5ELNS1_11target_archE942ELNS1_3gpuE9ELNS1_3repE0EEENS1_30default_config_static_selectorELNS0_4arch9wavefront6targetE0EEEvT1_ ; -- Begin function _ZN7rocprim17ROCPRIM_400000_NS6detail17trampoline_kernelINS0_14default_configENS1_29reduce_by_key_config_selectorIjjN6thrust23THRUST_200600_302600_NS4plusIjEEEEZZNS1_33reduce_by_key_impl_wrapped_configILNS1_25lookback_scan_determinismE0ES3_S9_NS6_6detail15normal_iteratorINS6_10device_ptrIjEEEESG_NS6_16discard_iteratorINS6_11use_defaultEEESG_PmS8_NS6_8equal_toIjEEEE10hipError_tPvRmT2_T3_mT4_T5_T6_T7_T8_P12ihipStream_tbENKUlT_T0_E_clISt17integral_constantIbLb1EES14_EEDaSZ_S10_EUlSZ_E_NS1_11comp_targetILNS1_3genE5ELNS1_11target_archE942ELNS1_3gpuE9ELNS1_3repE0EEENS1_30default_config_static_selectorELNS0_4arch9wavefront6targetE0EEEvT1_
	.globl	_ZN7rocprim17ROCPRIM_400000_NS6detail17trampoline_kernelINS0_14default_configENS1_29reduce_by_key_config_selectorIjjN6thrust23THRUST_200600_302600_NS4plusIjEEEEZZNS1_33reduce_by_key_impl_wrapped_configILNS1_25lookback_scan_determinismE0ES3_S9_NS6_6detail15normal_iteratorINS6_10device_ptrIjEEEESG_NS6_16discard_iteratorINS6_11use_defaultEEESG_PmS8_NS6_8equal_toIjEEEE10hipError_tPvRmT2_T3_mT4_T5_T6_T7_T8_P12ihipStream_tbENKUlT_T0_E_clISt17integral_constantIbLb1EES14_EEDaSZ_S10_EUlSZ_E_NS1_11comp_targetILNS1_3genE5ELNS1_11target_archE942ELNS1_3gpuE9ELNS1_3repE0EEENS1_30default_config_static_selectorELNS0_4arch9wavefront6targetE0EEEvT1_
	.p2align	8
	.type	_ZN7rocprim17ROCPRIM_400000_NS6detail17trampoline_kernelINS0_14default_configENS1_29reduce_by_key_config_selectorIjjN6thrust23THRUST_200600_302600_NS4plusIjEEEEZZNS1_33reduce_by_key_impl_wrapped_configILNS1_25lookback_scan_determinismE0ES3_S9_NS6_6detail15normal_iteratorINS6_10device_ptrIjEEEESG_NS6_16discard_iteratorINS6_11use_defaultEEESG_PmS8_NS6_8equal_toIjEEEE10hipError_tPvRmT2_T3_mT4_T5_T6_T7_T8_P12ihipStream_tbENKUlT_T0_E_clISt17integral_constantIbLb1EES14_EEDaSZ_S10_EUlSZ_E_NS1_11comp_targetILNS1_3genE5ELNS1_11target_archE942ELNS1_3gpuE9ELNS1_3repE0EEENS1_30default_config_static_selectorELNS0_4arch9wavefront6targetE0EEEvT1_,@function
_ZN7rocprim17ROCPRIM_400000_NS6detail17trampoline_kernelINS0_14default_configENS1_29reduce_by_key_config_selectorIjjN6thrust23THRUST_200600_302600_NS4plusIjEEEEZZNS1_33reduce_by_key_impl_wrapped_configILNS1_25lookback_scan_determinismE0ES3_S9_NS6_6detail15normal_iteratorINS6_10device_ptrIjEEEESG_NS6_16discard_iteratorINS6_11use_defaultEEESG_PmS8_NS6_8equal_toIjEEEE10hipError_tPvRmT2_T3_mT4_T5_T6_T7_T8_P12ihipStream_tbENKUlT_T0_E_clISt17integral_constantIbLb1EES14_EEDaSZ_S10_EUlSZ_E_NS1_11comp_targetILNS1_3genE5ELNS1_11target_archE942ELNS1_3gpuE9ELNS1_3repE0EEENS1_30default_config_static_selectorELNS0_4arch9wavefront6targetE0EEEvT1_: ; @_ZN7rocprim17ROCPRIM_400000_NS6detail17trampoline_kernelINS0_14default_configENS1_29reduce_by_key_config_selectorIjjN6thrust23THRUST_200600_302600_NS4plusIjEEEEZZNS1_33reduce_by_key_impl_wrapped_configILNS1_25lookback_scan_determinismE0ES3_S9_NS6_6detail15normal_iteratorINS6_10device_ptrIjEEEESG_NS6_16discard_iteratorINS6_11use_defaultEEESG_PmS8_NS6_8equal_toIjEEEE10hipError_tPvRmT2_T3_mT4_T5_T6_T7_T8_P12ihipStream_tbENKUlT_T0_E_clISt17integral_constantIbLb1EES14_EEDaSZ_S10_EUlSZ_E_NS1_11comp_targetILNS1_3genE5ELNS1_11target_archE942ELNS1_3gpuE9ELNS1_3repE0EEENS1_30default_config_static_selectorELNS0_4arch9wavefront6targetE0EEEvT1_
; %bb.0:
	.section	.rodata,"a",@progbits
	.p2align	6, 0x0
	.amdhsa_kernel _ZN7rocprim17ROCPRIM_400000_NS6detail17trampoline_kernelINS0_14default_configENS1_29reduce_by_key_config_selectorIjjN6thrust23THRUST_200600_302600_NS4plusIjEEEEZZNS1_33reduce_by_key_impl_wrapped_configILNS1_25lookback_scan_determinismE0ES3_S9_NS6_6detail15normal_iteratorINS6_10device_ptrIjEEEESG_NS6_16discard_iteratorINS6_11use_defaultEEESG_PmS8_NS6_8equal_toIjEEEE10hipError_tPvRmT2_T3_mT4_T5_T6_T7_T8_P12ihipStream_tbENKUlT_T0_E_clISt17integral_constantIbLb1EES14_EEDaSZ_S10_EUlSZ_E_NS1_11comp_targetILNS1_3genE5ELNS1_11target_archE942ELNS1_3gpuE9ELNS1_3repE0EEENS1_30default_config_static_selectorELNS0_4arch9wavefront6targetE0EEEvT1_
		.amdhsa_group_segment_fixed_size 0
		.amdhsa_private_segment_fixed_size 0
		.amdhsa_kernarg_size 128
		.amdhsa_user_sgpr_count 15
		.amdhsa_user_sgpr_dispatch_ptr 0
		.amdhsa_user_sgpr_queue_ptr 0
		.amdhsa_user_sgpr_kernarg_segment_ptr 1
		.amdhsa_user_sgpr_dispatch_id 0
		.amdhsa_user_sgpr_private_segment_size 0
		.amdhsa_wavefront_size32 1
		.amdhsa_uses_dynamic_stack 0
		.amdhsa_enable_private_segment 0
		.amdhsa_system_sgpr_workgroup_id_x 1
		.amdhsa_system_sgpr_workgroup_id_y 0
		.amdhsa_system_sgpr_workgroup_id_z 0
		.amdhsa_system_sgpr_workgroup_info 0
		.amdhsa_system_vgpr_workitem_id 0
		.amdhsa_next_free_vgpr 1
		.amdhsa_next_free_sgpr 1
		.amdhsa_reserve_vcc 0
		.amdhsa_float_round_mode_32 0
		.amdhsa_float_round_mode_16_64 0
		.amdhsa_float_denorm_mode_32 3
		.amdhsa_float_denorm_mode_16_64 3
		.amdhsa_dx10_clamp 1
		.amdhsa_ieee_mode 1
		.amdhsa_fp16_overflow 0
		.amdhsa_workgroup_processor_mode 1
		.amdhsa_memory_ordered 1
		.amdhsa_forward_progress 0
		.amdhsa_shared_vgpr_count 0
		.amdhsa_exception_fp_ieee_invalid_op 0
		.amdhsa_exception_fp_denorm_src 0
		.amdhsa_exception_fp_ieee_div_zero 0
		.amdhsa_exception_fp_ieee_overflow 0
		.amdhsa_exception_fp_ieee_underflow 0
		.amdhsa_exception_fp_ieee_inexact 0
		.amdhsa_exception_int_div_zero 0
	.end_amdhsa_kernel
	.section	.text._ZN7rocprim17ROCPRIM_400000_NS6detail17trampoline_kernelINS0_14default_configENS1_29reduce_by_key_config_selectorIjjN6thrust23THRUST_200600_302600_NS4plusIjEEEEZZNS1_33reduce_by_key_impl_wrapped_configILNS1_25lookback_scan_determinismE0ES3_S9_NS6_6detail15normal_iteratorINS6_10device_ptrIjEEEESG_NS6_16discard_iteratorINS6_11use_defaultEEESG_PmS8_NS6_8equal_toIjEEEE10hipError_tPvRmT2_T3_mT4_T5_T6_T7_T8_P12ihipStream_tbENKUlT_T0_E_clISt17integral_constantIbLb1EES14_EEDaSZ_S10_EUlSZ_E_NS1_11comp_targetILNS1_3genE5ELNS1_11target_archE942ELNS1_3gpuE9ELNS1_3repE0EEENS1_30default_config_static_selectorELNS0_4arch9wavefront6targetE0EEEvT1_,"axG",@progbits,_ZN7rocprim17ROCPRIM_400000_NS6detail17trampoline_kernelINS0_14default_configENS1_29reduce_by_key_config_selectorIjjN6thrust23THRUST_200600_302600_NS4plusIjEEEEZZNS1_33reduce_by_key_impl_wrapped_configILNS1_25lookback_scan_determinismE0ES3_S9_NS6_6detail15normal_iteratorINS6_10device_ptrIjEEEESG_NS6_16discard_iteratorINS6_11use_defaultEEESG_PmS8_NS6_8equal_toIjEEEE10hipError_tPvRmT2_T3_mT4_T5_T6_T7_T8_P12ihipStream_tbENKUlT_T0_E_clISt17integral_constantIbLb1EES14_EEDaSZ_S10_EUlSZ_E_NS1_11comp_targetILNS1_3genE5ELNS1_11target_archE942ELNS1_3gpuE9ELNS1_3repE0EEENS1_30default_config_static_selectorELNS0_4arch9wavefront6targetE0EEEvT1_,comdat
.Lfunc_end923:
	.size	_ZN7rocprim17ROCPRIM_400000_NS6detail17trampoline_kernelINS0_14default_configENS1_29reduce_by_key_config_selectorIjjN6thrust23THRUST_200600_302600_NS4plusIjEEEEZZNS1_33reduce_by_key_impl_wrapped_configILNS1_25lookback_scan_determinismE0ES3_S9_NS6_6detail15normal_iteratorINS6_10device_ptrIjEEEESG_NS6_16discard_iteratorINS6_11use_defaultEEESG_PmS8_NS6_8equal_toIjEEEE10hipError_tPvRmT2_T3_mT4_T5_T6_T7_T8_P12ihipStream_tbENKUlT_T0_E_clISt17integral_constantIbLb1EES14_EEDaSZ_S10_EUlSZ_E_NS1_11comp_targetILNS1_3genE5ELNS1_11target_archE942ELNS1_3gpuE9ELNS1_3repE0EEENS1_30default_config_static_selectorELNS0_4arch9wavefront6targetE0EEEvT1_, .Lfunc_end923-_ZN7rocprim17ROCPRIM_400000_NS6detail17trampoline_kernelINS0_14default_configENS1_29reduce_by_key_config_selectorIjjN6thrust23THRUST_200600_302600_NS4plusIjEEEEZZNS1_33reduce_by_key_impl_wrapped_configILNS1_25lookback_scan_determinismE0ES3_S9_NS6_6detail15normal_iteratorINS6_10device_ptrIjEEEESG_NS6_16discard_iteratorINS6_11use_defaultEEESG_PmS8_NS6_8equal_toIjEEEE10hipError_tPvRmT2_T3_mT4_T5_T6_T7_T8_P12ihipStream_tbENKUlT_T0_E_clISt17integral_constantIbLb1EES14_EEDaSZ_S10_EUlSZ_E_NS1_11comp_targetILNS1_3genE5ELNS1_11target_archE942ELNS1_3gpuE9ELNS1_3repE0EEENS1_30default_config_static_selectorELNS0_4arch9wavefront6targetE0EEEvT1_
                                        ; -- End function
	.section	.AMDGPU.csdata,"",@progbits
; Kernel info:
; codeLenInByte = 0
; NumSgprs: 0
; NumVgprs: 0
; ScratchSize: 0
; MemoryBound: 0
; FloatMode: 240
; IeeeMode: 1
; LDSByteSize: 0 bytes/workgroup (compile time only)
; SGPRBlocks: 0
; VGPRBlocks: 0
; NumSGPRsForWavesPerEU: 1
; NumVGPRsForWavesPerEU: 1
; Occupancy: 16
; WaveLimiterHint : 0
; COMPUTE_PGM_RSRC2:SCRATCH_EN: 0
; COMPUTE_PGM_RSRC2:USER_SGPR: 15
; COMPUTE_PGM_RSRC2:TRAP_HANDLER: 0
; COMPUTE_PGM_RSRC2:TGID_X_EN: 1
; COMPUTE_PGM_RSRC2:TGID_Y_EN: 0
; COMPUTE_PGM_RSRC2:TGID_Z_EN: 0
; COMPUTE_PGM_RSRC2:TIDIG_COMP_CNT: 0
	.section	.text._ZN7rocprim17ROCPRIM_400000_NS6detail17trampoline_kernelINS0_14default_configENS1_29reduce_by_key_config_selectorIjjN6thrust23THRUST_200600_302600_NS4plusIjEEEEZZNS1_33reduce_by_key_impl_wrapped_configILNS1_25lookback_scan_determinismE0ES3_S9_NS6_6detail15normal_iteratorINS6_10device_ptrIjEEEESG_NS6_16discard_iteratorINS6_11use_defaultEEESG_PmS8_NS6_8equal_toIjEEEE10hipError_tPvRmT2_T3_mT4_T5_T6_T7_T8_P12ihipStream_tbENKUlT_T0_E_clISt17integral_constantIbLb1EES14_EEDaSZ_S10_EUlSZ_E_NS1_11comp_targetILNS1_3genE4ELNS1_11target_archE910ELNS1_3gpuE8ELNS1_3repE0EEENS1_30default_config_static_selectorELNS0_4arch9wavefront6targetE0EEEvT1_,"axG",@progbits,_ZN7rocprim17ROCPRIM_400000_NS6detail17trampoline_kernelINS0_14default_configENS1_29reduce_by_key_config_selectorIjjN6thrust23THRUST_200600_302600_NS4plusIjEEEEZZNS1_33reduce_by_key_impl_wrapped_configILNS1_25lookback_scan_determinismE0ES3_S9_NS6_6detail15normal_iteratorINS6_10device_ptrIjEEEESG_NS6_16discard_iteratorINS6_11use_defaultEEESG_PmS8_NS6_8equal_toIjEEEE10hipError_tPvRmT2_T3_mT4_T5_T6_T7_T8_P12ihipStream_tbENKUlT_T0_E_clISt17integral_constantIbLb1EES14_EEDaSZ_S10_EUlSZ_E_NS1_11comp_targetILNS1_3genE4ELNS1_11target_archE910ELNS1_3gpuE8ELNS1_3repE0EEENS1_30default_config_static_selectorELNS0_4arch9wavefront6targetE0EEEvT1_,comdat
	.protected	_ZN7rocprim17ROCPRIM_400000_NS6detail17trampoline_kernelINS0_14default_configENS1_29reduce_by_key_config_selectorIjjN6thrust23THRUST_200600_302600_NS4plusIjEEEEZZNS1_33reduce_by_key_impl_wrapped_configILNS1_25lookback_scan_determinismE0ES3_S9_NS6_6detail15normal_iteratorINS6_10device_ptrIjEEEESG_NS6_16discard_iteratorINS6_11use_defaultEEESG_PmS8_NS6_8equal_toIjEEEE10hipError_tPvRmT2_T3_mT4_T5_T6_T7_T8_P12ihipStream_tbENKUlT_T0_E_clISt17integral_constantIbLb1EES14_EEDaSZ_S10_EUlSZ_E_NS1_11comp_targetILNS1_3genE4ELNS1_11target_archE910ELNS1_3gpuE8ELNS1_3repE0EEENS1_30default_config_static_selectorELNS0_4arch9wavefront6targetE0EEEvT1_ ; -- Begin function _ZN7rocprim17ROCPRIM_400000_NS6detail17trampoline_kernelINS0_14default_configENS1_29reduce_by_key_config_selectorIjjN6thrust23THRUST_200600_302600_NS4plusIjEEEEZZNS1_33reduce_by_key_impl_wrapped_configILNS1_25lookback_scan_determinismE0ES3_S9_NS6_6detail15normal_iteratorINS6_10device_ptrIjEEEESG_NS6_16discard_iteratorINS6_11use_defaultEEESG_PmS8_NS6_8equal_toIjEEEE10hipError_tPvRmT2_T3_mT4_T5_T6_T7_T8_P12ihipStream_tbENKUlT_T0_E_clISt17integral_constantIbLb1EES14_EEDaSZ_S10_EUlSZ_E_NS1_11comp_targetILNS1_3genE4ELNS1_11target_archE910ELNS1_3gpuE8ELNS1_3repE0EEENS1_30default_config_static_selectorELNS0_4arch9wavefront6targetE0EEEvT1_
	.globl	_ZN7rocprim17ROCPRIM_400000_NS6detail17trampoline_kernelINS0_14default_configENS1_29reduce_by_key_config_selectorIjjN6thrust23THRUST_200600_302600_NS4plusIjEEEEZZNS1_33reduce_by_key_impl_wrapped_configILNS1_25lookback_scan_determinismE0ES3_S9_NS6_6detail15normal_iteratorINS6_10device_ptrIjEEEESG_NS6_16discard_iteratorINS6_11use_defaultEEESG_PmS8_NS6_8equal_toIjEEEE10hipError_tPvRmT2_T3_mT4_T5_T6_T7_T8_P12ihipStream_tbENKUlT_T0_E_clISt17integral_constantIbLb1EES14_EEDaSZ_S10_EUlSZ_E_NS1_11comp_targetILNS1_3genE4ELNS1_11target_archE910ELNS1_3gpuE8ELNS1_3repE0EEENS1_30default_config_static_selectorELNS0_4arch9wavefront6targetE0EEEvT1_
	.p2align	8
	.type	_ZN7rocprim17ROCPRIM_400000_NS6detail17trampoline_kernelINS0_14default_configENS1_29reduce_by_key_config_selectorIjjN6thrust23THRUST_200600_302600_NS4plusIjEEEEZZNS1_33reduce_by_key_impl_wrapped_configILNS1_25lookback_scan_determinismE0ES3_S9_NS6_6detail15normal_iteratorINS6_10device_ptrIjEEEESG_NS6_16discard_iteratorINS6_11use_defaultEEESG_PmS8_NS6_8equal_toIjEEEE10hipError_tPvRmT2_T3_mT4_T5_T6_T7_T8_P12ihipStream_tbENKUlT_T0_E_clISt17integral_constantIbLb1EES14_EEDaSZ_S10_EUlSZ_E_NS1_11comp_targetILNS1_3genE4ELNS1_11target_archE910ELNS1_3gpuE8ELNS1_3repE0EEENS1_30default_config_static_selectorELNS0_4arch9wavefront6targetE0EEEvT1_,@function
_ZN7rocprim17ROCPRIM_400000_NS6detail17trampoline_kernelINS0_14default_configENS1_29reduce_by_key_config_selectorIjjN6thrust23THRUST_200600_302600_NS4plusIjEEEEZZNS1_33reduce_by_key_impl_wrapped_configILNS1_25lookback_scan_determinismE0ES3_S9_NS6_6detail15normal_iteratorINS6_10device_ptrIjEEEESG_NS6_16discard_iteratorINS6_11use_defaultEEESG_PmS8_NS6_8equal_toIjEEEE10hipError_tPvRmT2_T3_mT4_T5_T6_T7_T8_P12ihipStream_tbENKUlT_T0_E_clISt17integral_constantIbLb1EES14_EEDaSZ_S10_EUlSZ_E_NS1_11comp_targetILNS1_3genE4ELNS1_11target_archE910ELNS1_3gpuE8ELNS1_3repE0EEENS1_30default_config_static_selectorELNS0_4arch9wavefront6targetE0EEEvT1_: ; @_ZN7rocprim17ROCPRIM_400000_NS6detail17trampoline_kernelINS0_14default_configENS1_29reduce_by_key_config_selectorIjjN6thrust23THRUST_200600_302600_NS4plusIjEEEEZZNS1_33reduce_by_key_impl_wrapped_configILNS1_25lookback_scan_determinismE0ES3_S9_NS6_6detail15normal_iteratorINS6_10device_ptrIjEEEESG_NS6_16discard_iteratorINS6_11use_defaultEEESG_PmS8_NS6_8equal_toIjEEEE10hipError_tPvRmT2_T3_mT4_T5_T6_T7_T8_P12ihipStream_tbENKUlT_T0_E_clISt17integral_constantIbLb1EES14_EEDaSZ_S10_EUlSZ_E_NS1_11comp_targetILNS1_3genE4ELNS1_11target_archE910ELNS1_3gpuE8ELNS1_3repE0EEENS1_30default_config_static_selectorELNS0_4arch9wavefront6targetE0EEEvT1_
; %bb.0:
	.section	.rodata,"a",@progbits
	.p2align	6, 0x0
	.amdhsa_kernel _ZN7rocprim17ROCPRIM_400000_NS6detail17trampoline_kernelINS0_14default_configENS1_29reduce_by_key_config_selectorIjjN6thrust23THRUST_200600_302600_NS4plusIjEEEEZZNS1_33reduce_by_key_impl_wrapped_configILNS1_25lookback_scan_determinismE0ES3_S9_NS6_6detail15normal_iteratorINS6_10device_ptrIjEEEESG_NS6_16discard_iteratorINS6_11use_defaultEEESG_PmS8_NS6_8equal_toIjEEEE10hipError_tPvRmT2_T3_mT4_T5_T6_T7_T8_P12ihipStream_tbENKUlT_T0_E_clISt17integral_constantIbLb1EES14_EEDaSZ_S10_EUlSZ_E_NS1_11comp_targetILNS1_3genE4ELNS1_11target_archE910ELNS1_3gpuE8ELNS1_3repE0EEENS1_30default_config_static_selectorELNS0_4arch9wavefront6targetE0EEEvT1_
		.amdhsa_group_segment_fixed_size 0
		.amdhsa_private_segment_fixed_size 0
		.amdhsa_kernarg_size 128
		.amdhsa_user_sgpr_count 15
		.amdhsa_user_sgpr_dispatch_ptr 0
		.amdhsa_user_sgpr_queue_ptr 0
		.amdhsa_user_sgpr_kernarg_segment_ptr 1
		.amdhsa_user_sgpr_dispatch_id 0
		.amdhsa_user_sgpr_private_segment_size 0
		.amdhsa_wavefront_size32 1
		.amdhsa_uses_dynamic_stack 0
		.amdhsa_enable_private_segment 0
		.amdhsa_system_sgpr_workgroup_id_x 1
		.amdhsa_system_sgpr_workgroup_id_y 0
		.amdhsa_system_sgpr_workgroup_id_z 0
		.amdhsa_system_sgpr_workgroup_info 0
		.amdhsa_system_vgpr_workitem_id 0
		.amdhsa_next_free_vgpr 1
		.amdhsa_next_free_sgpr 1
		.amdhsa_reserve_vcc 0
		.amdhsa_float_round_mode_32 0
		.amdhsa_float_round_mode_16_64 0
		.amdhsa_float_denorm_mode_32 3
		.amdhsa_float_denorm_mode_16_64 3
		.amdhsa_dx10_clamp 1
		.amdhsa_ieee_mode 1
		.amdhsa_fp16_overflow 0
		.amdhsa_workgroup_processor_mode 1
		.amdhsa_memory_ordered 1
		.amdhsa_forward_progress 0
		.amdhsa_shared_vgpr_count 0
		.amdhsa_exception_fp_ieee_invalid_op 0
		.amdhsa_exception_fp_denorm_src 0
		.amdhsa_exception_fp_ieee_div_zero 0
		.amdhsa_exception_fp_ieee_overflow 0
		.amdhsa_exception_fp_ieee_underflow 0
		.amdhsa_exception_fp_ieee_inexact 0
		.amdhsa_exception_int_div_zero 0
	.end_amdhsa_kernel
	.section	.text._ZN7rocprim17ROCPRIM_400000_NS6detail17trampoline_kernelINS0_14default_configENS1_29reduce_by_key_config_selectorIjjN6thrust23THRUST_200600_302600_NS4plusIjEEEEZZNS1_33reduce_by_key_impl_wrapped_configILNS1_25lookback_scan_determinismE0ES3_S9_NS6_6detail15normal_iteratorINS6_10device_ptrIjEEEESG_NS6_16discard_iteratorINS6_11use_defaultEEESG_PmS8_NS6_8equal_toIjEEEE10hipError_tPvRmT2_T3_mT4_T5_T6_T7_T8_P12ihipStream_tbENKUlT_T0_E_clISt17integral_constantIbLb1EES14_EEDaSZ_S10_EUlSZ_E_NS1_11comp_targetILNS1_3genE4ELNS1_11target_archE910ELNS1_3gpuE8ELNS1_3repE0EEENS1_30default_config_static_selectorELNS0_4arch9wavefront6targetE0EEEvT1_,"axG",@progbits,_ZN7rocprim17ROCPRIM_400000_NS6detail17trampoline_kernelINS0_14default_configENS1_29reduce_by_key_config_selectorIjjN6thrust23THRUST_200600_302600_NS4plusIjEEEEZZNS1_33reduce_by_key_impl_wrapped_configILNS1_25lookback_scan_determinismE0ES3_S9_NS6_6detail15normal_iteratorINS6_10device_ptrIjEEEESG_NS6_16discard_iteratorINS6_11use_defaultEEESG_PmS8_NS6_8equal_toIjEEEE10hipError_tPvRmT2_T3_mT4_T5_T6_T7_T8_P12ihipStream_tbENKUlT_T0_E_clISt17integral_constantIbLb1EES14_EEDaSZ_S10_EUlSZ_E_NS1_11comp_targetILNS1_3genE4ELNS1_11target_archE910ELNS1_3gpuE8ELNS1_3repE0EEENS1_30default_config_static_selectorELNS0_4arch9wavefront6targetE0EEEvT1_,comdat
.Lfunc_end924:
	.size	_ZN7rocprim17ROCPRIM_400000_NS6detail17trampoline_kernelINS0_14default_configENS1_29reduce_by_key_config_selectorIjjN6thrust23THRUST_200600_302600_NS4plusIjEEEEZZNS1_33reduce_by_key_impl_wrapped_configILNS1_25lookback_scan_determinismE0ES3_S9_NS6_6detail15normal_iteratorINS6_10device_ptrIjEEEESG_NS6_16discard_iteratorINS6_11use_defaultEEESG_PmS8_NS6_8equal_toIjEEEE10hipError_tPvRmT2_T3_mT4_T5_T6_T7_T8_P12ihipStream_tbENKUlT_T0_E_clISt17integral_constantIbLb1EES14_EEDaSZ_S10_EUlSZ_E_NS1_11comp_targetILNS1_3genE4ELNS1_11target_archE910ELNS1_3gpuE8ELNS1_3repE0EEENS1_30default_config_static_selectorELNS0_4arch9wavefront6targetE0EEEvT1_, .Lfunc_end924-_ZN7rocprim17ROCPRIM_400000_NS6detail17trampoline_kernelINS0_14default_configENS1_29reduce_by_key_config_selectorIjjN6thrust23THRUST_200600_302600_NS4plusIjEEEEZZNS1_33reduce_by_key_impl_wrapped_configILNS1_25lookback_scan_determinismE0ES3_S9_NS6_6detail15normal_iteratorINS6_10device_ptrIjEEEESG_NS6_16discard_iteratorINS6_11use_defaultEEESG_PmS8_NS6_8equal_toIjEEEE10hipError_tPvRmT2_T3_mT4_T5_T6_T7_T8_P12ihipStream_tbENKUlT_T0_E_clISt17integral_constantIbLb1EES14_EEDaSZ_S10_EUlSZ_E_NS1_11comp_targetILNS1_3genE4ELNS1_11target_archE910ELNS1_3gpuE8ELNS1_3repE0EEENS1_30default_config_static_selectorELNS0_4arch9wavefront6targetE0EEEvT1_
                                        ; -- End function
	.section	.AMDGPU.csdata,"",@progbits
; Kernel info:
; codeLenInByte = 0
; NumSgprs: 0
; NumVgprs: 0
; ScratchSize: 0
; MemoryBound: 0
; FloatMode: 240
; IeeeMode: 1
; LDSByteSize: 0 bytes/workgroup (compile time only)
; SGPRBlocks: 0
; VGPRBlocks: 0
; NumSGPRsForWavesPerEU: 1
; NumVGPRsForWavesPerEU: 1
; Occupancy: 16
; WaveLimiterHint : 0
; COMPUTE_PGM_RSRC2:SCRATCH_EN: 0
; COMPUTE_PGM_RSRC2:USER_SGPR: 15
; COMPUTE_PGM_RSRC2:TRAP_HANDLER: 0
; COMPUTE_PGM_RSRC2:TGID_X_EN: 1
; COMPUTE_PGM_RSRC2:TGID_Y_EN: 0
; COMPUTE_PGM_RSRC2:TGID_Z_EN: 0
; COMPUTE_PGM_RSRC2:TIDIG_COMP_CNT: 0
	.section	.text._ZN7rocprim17ROCPRIM_400000_NS6detail17trampoline_kernelINS0_14default_configENS1_29reduce_by_key_config_selectorIjjN6thrust23THRUST_200600_302600_NS4plusIjEEEEZZNS1_33reduce_by_key_impl_wrapped_configILNS1_25lookback_scan_determinismE0ES3_S9_NS6_6detail15normal_iteratorINS6_10device_ptrIjEEEESG_NS6_16discard_iteratorINS6_11use_defaultEEESG_PmS8_NS6_8equal_toIjEEEE10hipError_tPvRmT2_T3_mT4_T5_T6_T7_T8_P12ihipStream_tbENKUlT_T0_E_clISt17integral_constantIbLb1EES14_EEDaSZ_S10_EUlSZ_E_NS1_11comp_targetILNS1_3genE3ELNS1_11target_archE908ELNS1_3gpuE7ELNS1_3repE0EEENS1_30default_config_static_selectorELNS0_4arch9wavefront6targetE0EEEvT1_,"axG",@progbits,_ZN7rocprim17ROCPRIM_400000_NS6detail17trampoline_kernelINS0_14default_configENS1_29reduce_by_key_config_selectorIjjN6thrust23THRUST_200600_302600_NS4plusIjEEEEZZNS1_33reduce_by_key_impl_wrapped_configILNS1_25lookback_scan_determinismE0ES3_S9_NS6_6detail15normal_iteratorINS6_10device_ptrIjEEEESG_NS6_16discard_iteratorINS6_11use_defaultEEESG_PmS8_NS6_8equal_toIjEEEE10hipError_tPvRmT2_T3_mT4_T5_T6_T7_T8_P12ihipStream_tbENKUlT_T0_E_clISt17integral_constantIbLb1EES14_EEDaSZ_S10_EUlSZ_E_NS1_11comp_targetILNS1_3genE3ELNS1_11target_archE908ELNS1_3gpuE7ELNS1_3repE0EEENS1_30default_config_static_selectorELNS0_4arch9wavefront6targetE0EEEvT1_,comdat
	.protected	_ZN7rocprim17ROCPRIM_400000_NS6detail17trampoline_kernelINS0_14default_configENS1_29reduce_by_key_config_selectorIjjN6thrust23THRUST_200600_302600_NS4plusIjEEEEZZNS1_33reduce_by_key_impl_wrapped_configILNS1_25lookback_scan_determinismE0ES3_S9_NS6_6detail15normal_iteratorINS6_10device_ptrIjEEEESG_NS6_16discard_iteratorINS6_11use_defaultEEESG_PmS8_NS6_8equal_toIjEEEE10hipError_tPvRmT2_T3_mT4_T5_T6_T7_T8_P12ihipStream_tbENKUlT_T0_E_clISt17integral_constantIbLb1EES14_EEDaSZ_S10_EUlSZ_E_NS1_11comp_targetILNS1_3genE3ELNS1_11target_archE908ELNS1_3gpuE7ELNS1_3repE0EEENS1_30default_config_static_selectorELNS0_4arch9wavefront6targetE0EEEvT1_ ; -- Begin function _ZN7rocprim17ROCPRIM_400000_NS6detail17trampoline_kernelINS0_14default_configENS1_29reduce_by_key_config_selectorIjjN6thrust23THRUST_200600_302600_NS4plusIjEEEEZZNS1_33reduce_by_key_impl_wrapped_configILNS1_25lookback_scan_determinismE0ES3_S9_NS6_6detail15normal_iteratorINS6_10device_ptrIjEEEESG_NS6_16discard_iteratorINS6_11use_defaultEEESG_PmS8_NS6_8equal_toIjEEEE10hipError_tPvRmT2_T3_mT4_T5_T6_T7_T8_P12ihipStream_tbENKUlT_T0_E_clISt17integral_constantIbLb1EES14_EEDaSZ_S10_EUlSZ_E_NS1_11comp_targetILNS1_3genE3ELNS1_11target_archE908ELNS1_3gpuE7ELNS1_3repE0EEENS1_30default_config_static_selectorELNS0_4arch9wavefront6targetE0EEEvT1_
	.globl	_ZN7rocprim17ROCPRIM_400000_NS6detail17trampoline_kernelINS0_14default_configENS1_29reduce_by_key_config_selectorIjjN6thrust23THRUST_200600_302600_NS4plusIjEEEEZZNS1_33reduce_by_key_impl_wrapped_configILNS1_25lookback_scan_determinismE0ES3_S9_NS6_6detail15normal_iteratorINS6_10device_ptrIjEEEESG_NS6_16discard_iteratorINS6_11use_defaultEEESG_PmS8_NS6_8equal_toIjEEEE10hipError_tPvRmT2_T3_mT4_T5_T6_T7_T8_P12ihipStream_tbENKUlT_T0_E_clISt17integral_constantIbLb1EES14_EEDaSZ_S10_EUlSZ_E_NS1_11comp_targetILNS1_3genE3ELNS1_11target_archE908ELNS1_3gpuE7ELNS1_3repE0EEENS1_30default_config_static_selectorELNS0_4arch9wavefront6targetE0EEEvT1_
	.p2align	8
	.type	_ZN7rocprim17ROCPRIM_400000_NS6detail17trampoline_kernelINS0_14default_configENS1_29reduce_by_key_config_selectorIjjN6thrust23THRUST_200600_302600_NS4plusIjEEEEZZNS1_33reduce_by_key_impl_wrapped_configILNS1_25lookback_scan_determinismE0ES3_S9_NS6_6detail15normal_iteratorINS6_10device_ptrIjEEEESG_NS6_16discard_iteratorINS6_11use_defaultEEESG_PmS8_NS6_8equal_toIjEEEE10hipError_tPvRmT2_T3_mT4_T5_T6_T7_T8_P12ihipStream_tbENKUlT_T0_E_clISt17integral_constantIbLb1EES14_EEDaSZ_S10_EUlSZ_E_NS1_11comp_targetILNS1_3genE3ELNS1_11target_archE908ELNS1_3gpuE7ELNS1_3repE0EEENS1_30default_config_static_selectorELNS0_4arch9wavefront6targetE0EEEvT1_,@function
_ZN7rocprim17ROCPRIM_400000_NS6detail17trampoline_kernelINS0_14default_configENS1_29reduce_by_key_config_selectorIjjN6thrust23THRUST_200600_302600_NS4plusIjEEEEZZNS1_33reduce_by_key_impl_wrapped_configILNS1_25lookback_scan_determinismE0ES3_S9_NS6_6detail15normal_iteratorINS6_10device_ptrIjEEEESG_NS6_16discard_iteratorINS6_11use_defaultEEESG_PmS8_NS6_8equal_toIjEEEE10hipError_tPvRmT2_T3_mT4_T5_T6_T7_T8_P12ihipStream_tbENKUlT_T0_E_clISt17integral_constantIbLb1EES14_EEDaSZ_S10_EUlSZ_E_NS1_11comp_targetILNS1_3genE3ELNS1_11target_archE908ELNS1_3gpuE7ELNS1_3repE0EEENS1_30default_config_static_selectorELNS0_4arch9wavefront6targetE0EEEvT1_: ; @_ZN7rocprim17ROCPRIM_400000_NS6detail17trampoline_kernelINS0_14default_configENS1_29reduce_by_key_config_selectorIjjN6thrust23THRUST_200600_302600_NS4plusIjEEEEZZNS1_33reduce_by_key_impl_wrapped_configILNS1_25lookback_scan_determinismE0ES3_S9_NS6_6detail15normal_iteratorINS6_10device_ptrIjEEEESG_NS6_16discard_iteratorINS6_11use_defaultEEESG_PmS8_NS6_8equal_toIjEEEE10hipError_tPvRmT2_T3_mT4_T5_T6_T7_T8_P12ihipStream_tbENKUlT_T0_E_clISt17integral_constantIbLb1EES14_EEDaSZ_S10_EUlSZ_E_NS1_11comp_targetILNS1_3genE3ELNS1_11target_archE908ELNS1_3gpuE7ELNS1_3repE0EEENS1_30default_config_static_selectorELNS0_4arch9wavefront6targetE0EEEvT1_
; %bb.0:
	.section	.rodata,"a",@progbits
	.p2align	6, 0x0
	.amdhsa_kernel _ZN7rocprim17ROCPRIM_400000_NS6detail17trampoline_kernelINS0_14default_configENS1_29reduce_by_key_config_selectorIjjN6thrust23THRUST_200600_302600_NS4plusIjEEEEZZNS1_33reduce_by_key_impl_wrapped_configILNS1_25lookback_scan_determinismE0ES3_S9_NS6_6detail15normal_iteratorINS6_10device_ptrIjEEEESG_NS6_16discard_iteratorINS6_11use_defaultEEESG_PmS8_NS6_8equal_toIjEEEE10hipError_tPvRmT2_T3_mT4_T5_T6_T7_T8_P12ihipStream_tbENKUlT_T0_E_clISt17integral_constantIbLb1EES14_EEDaSZ_S10_EUlSZ_E_NS1_11comp_targetILNS1_3genE3ELNS1_11target_archE908ELNS1_3gpuE7ELNS1_3repE0EEENS1_30default_config_static_selectorELNS0_4arch9wavefront6targetE0EEEvT1_
		.amdhsa_group_segment_fixed_size 0
		.amdhsa_private_segment_fixed_size 0
		.amdhsa_kernarg_size 128
		.amdhsa_user_sgpr_count 15
		.amdhsa_user_sgpr_dispatch_ptr 0
		.amdhsa_user_sgpr_queue_ptr 0
		.amdhsa_user_sgpr_kernarg_segment_ptr 1
		.amdhsa_user_sgpr_dispatch_id 0
		.amdhsa_user_sgpr_private_segment_size 0
		.amdhsa_wavefront_size32 1
		.amdhsa_uses_dynamic_stack 0
		.amdhsa_enable_private_segment 0
		.amdhsa_system_sgpr_workgroup_id_x 1
		.amdhsa_system_sgpr_workgroup_id_y 0
		.amdhsa_system_sgpr_workgroup_id_z 0
		.amdhsa_system_sgpr_workgroup_info 0
		.amdhsa_system_vgpr_workitem_id 0
		.amdhsa_next_free_vgpr 1
		.amdhsa_next_free_sgpr 1
		.amdhsa_reserve_vcc 0
		.amdhsa_float_round_mode_32 0
		.amdhsa_float_round_mode_16_64 0
		.amdhsa_float_denorm_mode_32 3
		.amdhsa_float_denorm_mode_16_64 3
		.amdhsa_dx10_clamp 1
		.amdhsa_ieee_mode 1
		.amdhsa_fp16_overflow 0
		.amdhsa_workgroup_processor_mode 1
		.amdhsa_memory_ordered 1
		.amdhsa_forward_progress 0
		.amdhsa_shared_vgpr_count 0
		.amdhsa_exception_fp_ieee_invalid_op 0
		.amdhsa_exception_fp_denorm_src 0
		.amdhsa_exception_fp_ieee_div_zero 0
		.amdhsa_exception_fp_ieee_overflow 0
		.amdhsa_exception_fp_ieee_underflow 0
		.amdhsa_exception_fp_ieee_inexact 0
		.amdhsa_exception_int_div_zero 0
	.end_amdhsa_kernel
	.section	.text._ZN7rocprim17ROCPRIM_400000_NS6detail17trampoline_kernelINS0_14default_configENS1_29reduce_by_key_config_selectorIjjN6thrust23THRUST_200600_302600_NS4plusIjEEEEZZNS1_33reduce_by_key_impl_wrapped_configILNS1_25lookback_scan_determinismE0ES3_S9_NS6_6detail15normal_iteratorINS6_10device_ptrIjEEEESG_NS6_16discard_iteratorINS6_11use_defaultEEESG_PmS8_NS6_8equal_toIjEEEE10hipError_tPvRmT2_T3_mT4_T5_T6_T7_T8_P12ihipStream_tbENKUlT_T0_E_clISt17integral_constantIbLb1EES14_EEDaSZ_S10_EUlSZ_E_NS1_11comp_targetILNS1_3genE3ELNS1_11target_archE908ELNS1_3gpuE7ELNS1_3repE0EEENS1_30default_config_static_selectorELNS0_4arch9wavefront6targetE0EEEvT1_,"axG",@progbits,_ZN7rocprim17ROCPRIM_400000_NS6detail17trampoline_kernelINS0_14default_configENS1_29reduce_by_key_config_selectorIjjN6thrust23THRUST_200600_302600_NS4plusIjEEEEZZNS1_33reduce_by_key_impl_wrapped_configILNS1_25lookback_scan_determinismE0ES3_S9_NS6_6detail15normal_iteratorINS6_10device_ptrIjEEEESG_NS6_16discard_iteratorINS6_11use_defaultEEESG_PmS8_NS6_8equal_toIjEEEE10hipError_tPvRmT2_T3_mT4_T5_T6_T7_T8_P12ihipStream_tbENKUlT_T0_E_clISt17integral_constantIbLb1EES14_EEDaSZ_S10_EUlSZ_E_NS1_11comp_targetILNS1_3genE3ELNS1_11target_archE908ELNS1_3gpuE7ELNS1_3repE0EEENS1_30default_config_static_selectorELNS0_4arch9wavefront6targetE0EEEvT1_,comdat
.Lfunc_end925:
	.size	_ZN7rocprim17ROCPRIM_400000_NS6detail17trampoline_kernelINS0_14default_configENS1_29reduce_by_key_config_selectorIjjN6thrust23THRUST_200600_302600_NS4plusIjEEEEZZNS1_33reduce_by_key_impl_wrapped_configILNS1_25lookback_scan_determinismE0ES3_S9_NS6_6detail15normal_iteratorINS6_10device_ptrIjEEEESG_NS6_16discard_iteratorINS6_11use_defaultEEESG_PmS8_NS6_8equal_toIjEEEE10hipError_tPvRmT2_T3_mT4_T5_T6_T7_T8_P12ihipStream_tbENKUlT_T0_E_clISt17integral_constantIbLb1EES14_EEDaSZ_S10_EUlSZ_E_NS1_11comp_targetILNS1_3genE3ELNS1_11target_archE908ELNS1_3gpuE7ELNS1_3repE0EEENS1_30default_config_static_selectorELNS0_4arch9wavefront6targetE0EEEvT1_, .Lfunc_end925-_ZN7rocprim17ROCPRIM_400000_NS6detail17trampoline_kernelINS0_14default_configENS1_29reduce_by_key_config_selectorIjjN6thrust23THRUST_200600_302600_NS4plusIjEEEEZZNS1_33reduce_by_key_impl_wrapped_configILNS1_25lookback_scan_determinismE0ES3_S9_NS6_6detail15normal_iteratorINS6_10device_ptrIjEEEESG_NS6_16discard_iteratorINS6_11use_defaultEEESG_PmS8_NS6_8equal_toIjEEEE10hipError_tPvRmT2_T3_mT4_T5_T6_T7_T8_P12ihipStream_tbENKUlT_T0_E_clISt17integral_constantIbLb1EES14_EEDaSZ_S10_EUlSZ_E_NS1_11comp_targetILNS1_3genE3ELNS1_11target_archE908ELNS1_3gpuE7ELNS1_3repE0EEENS1_30default_config_static_selectorELNS0_4arch9wavefront6targetE0EEEvT1_
                                        ; -- End function
	.section	.AMDGPU.csdata,"",@progbits
; Kernel info:
; codeLenInByte = 0
; NumSgprs: 0
; NumVgprs: 0
; ScratchSize: 0
; MemoryBound: 0
; FloatMode: 240
; IeeeMode: 1
; LDSByteSize: 0 bytes/workgroup (compile time only)
; SGPRBlocks: 0
; VGPRBlocks: 0
; NumSGPRsForWavesPerEU: 1
; NumVGPRsForWavesPerEU: 1
; Occupancy: 16
; WaveLimiterHint : 0
; COMPUTE_PGM_RSRC2:SCRATCH_EN: 0
; COMPUTE_PGM_RSRC2:USER_SGPR: 15
; COMPUTE_PGM_RSRC2:TRAP_HANDLER: 0
; COMPUTE_PGM_RSRC2:TGID_X_EN: 1
; COMPUTE_PGM_RSRC2:TGID_Y_EN: 0
; COMPUTE_PGM_RSRC2:TGID_Z_EN: 0
; COMPUTE_PGM_RSRC2:TIDIG_COMP_CNT: 0
	.section	.text._ZN7rocprim17ROCPRIM_400000_NS6detail17trampoline_kernelINS0_14default_configENS1_29reduce_by_key_config_selectorIjjN6thrust23THRUST_200600_302600_NS4plusIjEEEEZZNS1_33reduce_by_key_impl_wrapped_configILNS1_25lookback_scan_determinismE0ES3_S9_NS6_6detail15normal_iteratorINS6_10device_ptrIjEEEESG_NS6_16discard_iteratorINS6_11use_defaultEEESG_PmS8_NS6_8equal_toIjEEEE10hipError_tPvRmT2_T3_mT4_T5_T6_T7_T8_P12ihipStream_tbENKUlT_T0_E_clISt17integral_constantIbLb1EES14_EEDaSZ_S10_EUlSZ_E_NS1_11comp_targetILNS1_3genE2ELNS1_11target_archE906ELNS1_3gpuE6ELNS1_3repE0EEENS1_30default_config_static_selectorELNS0_4arch9wavefront6targetE0EEEvT1_,"axG",@progbits,_ZN7rocprim17ROCPRIM_400000_NS6detail17trampoline_kernelINS0_14default_configENS1_29reduce_by_key_config_selectorIjjN6thrust23THRUST_200600_302600_NS4plusIjEEEEZZNS1_33reduce_by_key_impl_wrapped_configILNS1_25lookback_scan_determinismE0ES3_S9_NS6_6detail15normal_iteratorINS6_10device_ptrIjEEEESG_NS6_16discard_iteratorINS6_11use_defaultEEESG_PmS8_NS6_8equal_toIjEEEE10hipError_tPvRmT2_T3_mT4_T5_T6_T7_T8_P12ihipStream_tbENKUlT_T0_E_clISt17integral_constantIbLb1EES14_EEDaSZ_S10_EUlSZ_E_NS1_11comp_targetILNS1_3genE2ELNS1_11target_archE906ELNS1_3gpuE6ELNS1_3repE0EEENS1_30default_config_static_selectorELNS0_4arch9wavefront6targetE0EEEvT1_,comdat
	.protected	_ZN7rocprim17ROCPRIM_400000_NS6detail17trampoline_kernelINS0_14default_configENS1_29reduce_by_key_config_selectorIjjN6thrust23THRUST_200600_302600_NS4plusIjEEEEZZNS1_33reduce_by_key_impl_wrapped_configILNS1_25lookback_scan_determinismE0ES3_S9_NS6_6detail15normal_iteratorINS6_10device_ptrIjEEEESG_NS6_16discard_iteratorINS6_11use_defaultEEESG_PmS8_NS6_8equal_toIjEEEE10hipError_tPvRmT2_T3_mT4_T5_T6_T7_T8_P12ihipStream_tbENKUlT_T0_E_clISt17integral_constantIbLb1EES14_EEDaSZ_S10_EUlSZ_E_NS1_11comp_targetILNS1_3genE2ELNS1_11target_archE906ELNS1_3gpuE6ELNS1_3repE0EEENS1_30default_config_static_selectorELNS0_4arch9wavefront6targetE0EEEvT1_ ; -- Begin function _ZN7rocprim17ROCPRIM_400000_NS6detail17trampoline_kernelINS0_14default_configENS1_29reduce_by_key_config_selectorIjjN6thrust23THRUST_200600_302600_NS4plusIjEEEEZZNS1_33reduce_by_key_impl_wrapped_configILNS1_25lookback_scan_determinismE0ES3_S9_NS6_6detail15normal_iteratorINS6_10device_ptrIjEEEESG_NS6_16discard_iteratorINS6_11use_defaultEEESG_PmS8_NS6_8equal_toIjEEEE10hipError_tPvRmT2_T3_mT4_T5_T6_T7_T8_P12ihipStream_tbENKUlT_T0_E_clISt17integral_constantIbLb1EES14_EEDaSZ_S10_EUlSZ_E_NS1_11comp_targetILNS1_3genE2ELNS1_11target_archE906ELNS1_3gpuE6ELNS1_3repE0EEENS1_30default_config_static_selectorELNS0_4arch9wavefront6targetE0EEEvT1_
	.globl	_ZN7rocprim17ROCPRIM_400000_NS6detail17trampoline_kernelINS0_14default_configENS1_29reduce_by_key_config_selectorIjjN6thrust23THRUST_200600_302600_NS4plusIjEEEEZZNS1_33reduce_by_key_impl_wrapped_configILNS1_25lookback_scan_determinismE0ES3_S9_NS6_6detail15normal_iteratorINS6_10device_ptrIjEEEESG_NS6_16discard_iteratorINS6_11use_defaultEEESG_PmS8_NS6_8equal_toIjEEEE10hipError_tPvRmT2_T3_mT4_T5_T6_T7_T8_P12ihipStream_tbENKUlT_T0_E_clISt17integral_constantIbLb1EES14_EEDaSZ_S10_EUlSZ_E_NS1_11comp_targetILNS1_3genE2ELNS1_11target_archE906ELNS1_3gpuE6ELNS1_3repE0EEENS1_30default_config_static_selectorELNS0_4arch9wavefront6targetE0EEEvT1_
	.p2align	8
	.type	_ZN7rocprim17ROCPRIM_400000_NS6detail17trampoline_kernelINS0_14default_configENS1_29reduce_by_key_config_selectorIjjN6thrust23THRUST_200600_302600_NS4plusIjEEEEZZNS1_33reduce_by_key_impl_wrapped_configILNS1_25lookback_scan_determinismE0ES3_S9_NS6_6detail15normal_iteratorINS6_10device_ptrIjEEEESG_NS6_16discard_iteratorINS6_11use_defaultEEESG_PmS8_NS6_8equal_toIjEEEE10hipError_tPvRmT2_T3_mT4_T5_T6_T7_T8_P12ihipStream_tbENKUlT_T0_E_clISt17integral_constantIbLb1EES14_EEDaSZ_S10_EUlSZ_E_NS1_11comp_targetILNS1_3genE2ELNS1_11target_archE906ELNS1_3gpuE6ELNS1_3repE0EEENS1_30default_config_static_selectorELNS0_4arch9wavefront6targetE0EEEvT1_,@function
_ZN7rocprim17ROCPRIM_400000_NS6detail17trampoline_kernelINS0_14default_configENS1_29reduce_by_key_config_selectorIjjN6thrust23THRUST_200600_302600_NS4plusIjEEEEZZNS1_33reduce_by_key_impl_wrapped_configILNS1_25lookback_scan_determinismE0ES3_S9_NS6_6detail15normal_iteratorINS6_10device_ptrIjEEEESG_NS6_16discard_iteratorINS6_11use_defaultEEESG_PmS8_NS6_8equal_toIjEEEE10hipError_tPvRmT2_T3_mT4_T5_T6_T7_T8_P12ihipStream_tbENKUlT_T0_E_clISt17integral_constantIbLb1EES14_EEDaSZ_S10_EUlSZ_E_NS1_11comp_targetILNS1_3genE2ELNS1_11target_archE906ELNS1_3gpuE6ELNS1_3repE0EEENS1_30default_config_static_selectorELNS0_4arch9wavefront6targetE0EEEvT1_: ; @_ZN7rocprim17ROCPRIM_400000_NS6detail17trampoline_kernelINS0_14default_configENS1_29reduce_by_key_config_selectorIjjN6thrust23THRUST_200600_302600_NS4plusIjEEEEZZNS1_33reduce_by_key_impl_wrapped_configILNS1_25lookback_scan_determinismE0ES3_S9_NS6_6detail15normal_iteratorINS6_10device_ptrIjEEEESG_NS6_16discard_iteratorINS6_11use_defaultEEESG_PmS8_NS6_8equal_toIjEEEE10hipError_tPvRmT2_T3_mT4_T5_T6_T7_T8_P12ihipStream_tbENKUlT_T0_E_clISt17integral_constantIbLb1EES14_EEDaSZ_S10_EUlSZ_E_NS1_11comp_targetILNS1_3genE2ELNS1_11target_archE906ELNS1_3gpuE6ELNS1_3repE0EEENS1_30default_config_static_selectorELNS0_4arch9wavefront6targetE0EEEvT1_
; %bb.0:
	.section	.rodata,"a",@progbits
	.p2align	6, 0x0
	.amdhsa_kernel _ZN7rocprim17ROCPRIM_400000_NS6detail17trampoline_kernelINS0_14default_configENS1_29reduce_by_key_config_selectorIjjN6thrust23THRUST_200600_302600_NS4plusIjEEEEZZNS1_33reduce_by_key_impl_wrapped_configILNS1_25lookback_scan_determinismE0ES3_S9_NS6_6detail15normal_iteratorINS6_10device_ptrIjEEEESG_NS6_16discard_iteratorINS6_11use_defaultEEESG_PmS8_NS6_8equal_toIjEEEE10hipError_tPvRmT2_T3_mT4_T5_T6_T7_T8_P12ihipStream_tbENKUlT_T0_E_clISt17integral_constantIbLb1EES14_EEDaSZ_S10_EUlSZ_E_NS1_11comp_targetILNS1_3genE2ELNS1_11target_archE906ELNS1_3gpuE6ELNS1_3repE0EEENS1_30default_config_static_selectorELNS0_4arch9wavefront6targetE0EEEvT1_
		.amdhsa_group_segment_fixed_size 0
		.amdhsa_private_segment_fixed_size 0
		.amdhsa_kernarg_size 128
		.amdhsa_user_sgpr_count 15
		.amdhsa_user_sgpr_dispatch_ptr 0
		.amdhsa_user_sgpr_queue_ptr 0
		.amdhsa_user_sgpr_kernarg_segment_ptr 1
		.amdhsa_user_sgpr_dispatch_id 0
		.amdhsa_user_sgpr_private_segment_size 0
		.amdhsa_wavefront_size32 1
		.amdhsa_uses_dynamic_stack 0
		.amdhsa_enable_private_segment 0
		.amdhsa_system_sgpr_workgroup_id_x 1
		.amdhsa_system_sgpr_workgroup_id_y 0
		.amdhsa_system_sgpr_workgroup_id_z 0
		.amdhsa_system_sgpr_workgroup_info 0
		.amdhsa_system_vgpr_workitem_id 0
		.amdhsa_next_free_vgpr 1
		.amdhsa_next_free_sgpr 1
		.amdhsa_reserve_vcc 0
		.amdhsa_float_round_mode_32 0
		.amdhsa_float_round_mode_16_64 0
		.amdhsa_float_denorm_mode_32 3
		.amdhsa_float_denorm_mode_16_64 3
		.amdhsa_dx10_clamp 1
		.amdhsa_ieee_mode 1
		.amdhsa_fp16_overflow 0
		.amdhsa_workgroup_processor_mode 1
		.amdhsa_memory_ordered 1
		.amdhsa_forward_progress 0
		.amdhsa_shared_vgpr_count 0
		.amdhsa_exception_fp_ieee_invalid_op 0
		.amdhsa_exception_fp_denorm_src 0
		.amdhsa_exception_fp_ieee_div_zero 0
		.amdhsa_exception_fp_ieee_overflow 0
		.amdhsa_exception_fp_ieee_underflow 0
		.amdhsa_exception_fp_ieee_inexact 0
		.amdhsa_exception_int_div_zero 0
	.end_amdhsa_kernel
	.section	.text._ZN7rocprim17ROCPRIM_400000_NS6detail17trampoline_kernelINS0_14default_configENS1_29reduce_by_key_config_selectorIjjN6thrust23THRUST_200600_302600_NS4plusIjEEEEZZNS1_33reduce_by_key_impl_wrapped_configILNS1_25lookback_scan_determinismE0ES3_S9_NS6_6detail15normal_iteratorINS6_10device_ptrIjEEEESG_NS6_16discard_iteratorINS6_11use_defaultEEESG_PmS8_NS6_8equal_toIjEEEE10hipError_tPvRmT2_T3_mT4_T5_T6_T7_T8_P12ihipStream_tbENKUlT_T0_E_clISt17integral_constantIbLb1EES14_EEDaSZ_S10_EUlSZ_E_NS1_11comp_targetILNS1_3genE2ELNS1_11target_archE906ELNS1_3gpuE6ELNS1_3repE0EEENS1_30default_config_static_selectorELNS0_4arch9wavefront6targetE0EEEvT1_,"axG",@progbits,_ZN7rocprim17ROCPRIM_400000_NS6detail17trampoline_kernelINS0_14default_configENS1_29reduce_by_key_config_selectorIjjN6thrust23THRUST_200600_302600_NS4plusIjEEEEZZNS1_33reduce_by_key_impl_wrapped_configILNS1_25lookback_scan_determinismE0ES3_S9_NS6_6detail15normal_iteratorINS6_10device_ptrIjEEEESG_NS6_16discard_iteratorINS6_11use_defaultEEESG_PmS8_NS6_8equal_toIjEEEE10hipError_tPvRmT2_T3_mT4_T5_T6_T7_T8_P12ihipStream_tbENKUlT_T0_E_clISt17integral_constantIbLb1EES14_EEDaSZ_S10_EUlSZ_E_NS1_11comp_targetILNS1_3genE2ELNS1_11target_archE906ELNS1_3gpuE6ELNS1_3repE0EEENS1_30default_config_static_selectorELNS0_4arch9wavefront6targetE0EEEvT1_,comdat
.Lfunc_end926:
	.size	_ZN7rocprim17ROCPRIM_400000_NS6detail17trampoline_kernelINS0_14default_configENS1_29reduce_by_key_config_selectorIjjN6thrust23THRUST_200600_302600_NS4plusIjEEEEZZNS1_33reduce_by_key_impl_wrapped_configILNS1_25lookback_scan_determinismE0ES3_S9_NS6_6detail15normal_iteratorINS6_10device_ptrIjEEEESG_NS6_16discard_iteratorINS6_11use_defaultEEESG_PmS8_NS6_8equal_toIjEEEE10hipError_tPvRmT2_T3_mT4_T5_T6_T7_T8_P12ihipStream_tbENKUlT_T0_E_clISt17integral_constantIbLb1EES14_EEDaSZ_S10_EUlSZ_E_NS1_11comp_targetILNS1_3genE2ELNS1_11target_archE906ELNS1_3gpuE6ELNS1_3repE0EEENS1_30default_config_static_selectorELNS0_4arch9wavefront6targetE0EEEvT1_, .Lfunc_end926-_ZN7rocprim17ROCPRIM_400000_NS6detail17trampoline_kernelINS0_14default_configENS1_29reduce_by_key_config_selectorIjjN6thrust23THRUST_200600_302600_NS4plusIjEEEEZZNS1_33reduce_by_key_impl_wrapped_configILNS1_25lookback_scan_determinismE0ES3_S9_NS6_6detail15normal_iteratorINS6_10device_ptrIjEEEESG_NS6_16discard_iteratorINS6_11use_defaultEEESG_PmS8_NS6_8equal_toIjEEEE10hipError_tPvRmT2_T3_mT4_T5_T6_T7_T8_P12ihipStream_tbENKUlT_T0_E_clISt17integral_constantIbLb1EES14_EEDaSZ_S10_EUlSZ_E_NS1_11comp_targetILNS1_3genE2ELNS1_11target_archE906ELNS1_3gpuE6ELNS1_3repE0EEENS1_30default_config_static_selectorELNS0_4arch9wavefront6targetE0EEEvT1_
                                        ; -- End function
	.section	.AMDGPU.csdata,"",@progbits
; Kernel info:
; codeLenInByte = 0
; NumSgprs: 0
; NumVgprs: 0
; ScratchSize: 0
; MemoryBound: 0
; FloatMode: 240
; IeeeMode: 1
; LDSByteSize: 0 bytes/workgroup (compile time only)
; SGPRBlocks: 0
; VGPRBlocks: 0
; NumSGPRsForWavesPerEU: 1
; NumVGPRsForWavesPerEU: 1
; Occupancy: 16
; WaveLimiterHint : 0
; COMPUTE_PGM_RSRC2:SCRATCH_EN: 0
; COMPUTE_PGM_RSRC2:USER_SGPR: 15
; COMPUTE_PGM_RSRC2:TRAP_HANDLER: 0
; COMPUTE_PGM_RSRC2:TGID_X_EN: 1
; COMPUTE_PGM_RSRC2:TGID_Y_EN: 0
; COMPUTE_PGM_RSRC2:TGID_Z_EN: 0
; COMPUTE_PGM_RSRC2:TIDIG_COMP_CNT: 0
	.section	.text._ZN7rocprim17ROCPRIM_400000_NS6detail17trampoline_kernelINS0_14default_configENS1_29reduce_by_key_config_selectorIjjN6thrust23THRUST_200600_302600_NS4plusIjEEEEZZNS1_33reduce_by_key_impl_wrapped_configILNS1_25lookback_scan_determinismE0ES3_S9_NS6_6detail15normal_iteratorINS6_10device_ptrIjEEEESG_NS6_16discard_iteratorINS6_11use_defaultEEESG_PmS8_NS6_8equal_toIjEEEE10hipError_tPvRmT2_T3_mT4_T5_T6_T7_T8_P12ihipStream_tbENKUlT_T0_E_clISt17integral_constantIbLb1EES14_EEDaSZ_S10_EUlSZ_E_NS1_11comp_targetILNS1_3genE10ELNS1_11target_archE1201ELNS1_3gpuE5ELNS1_3repE0EEENS1_30default_config_static_selectorELNS0_4arch9wavefront6targetE0EEEvT1_,"axG",@progbits,_ZN7rocprim17ROCPRIM_400000_NS6detail17trampoline_kernelINS0_14default_configENS1_29reduce_by_key_config_selectorIjjN6thrust23THRUST_200600_302600_NS4plusIjEEEEZZNS1_33reduce_by_key_impl_wrapped_configILNS1_25lookback_scan_determinismE0ES3_S9_NS6_6detail15normal_iteratorINS6_10device_ptrIjEEEESG_NS6_16discard_iteratorINS6_11use_defaultEEESG_PmS8_NS6_8equal_toIjEEEE10hipError_tPvRmT2_T3_mT4_T5_T6_T7_T8_P12ihipStream_tbENKUlT_T0_E_clISt17integral_constantIbLb1EES14_EEDaSZ_S10_EUlSZ_E_NS1_11comp_targetILNS1_3genE10ELNS1_11target_archE1201ELNS1_3gpuE5ELNS1_3repE0EEENS1_30default_config_static_selectorELNS0_4arch9wavefront6targetE0EEEvT1_,comdat
	.protected	_ZN7rocprim17ROCPRIM_400000_NS6detail17trampoline_kernelINS0_14default_configENS1_29reduce_by_key_config_selectorIjjN6thrust23THRUST_200600_302600_NS4plusIjEEEEZZNS1_33reduce_by_key_impl_wrapped_configILNS1_25lookback_scan_determinismE0ES3_S9_NS6_6detail15normal_iteratorINS6_10device_ptrIjEEEESG_NS6_16discard_iteratorINS6_11use_defaultEEESG_PmS8_NS6_8equal_toIjEEEE10hipError_tPvRmT2_T3_mT4_T5_T6_T7_T8_P12ihipStream_tbENKUlT_T0_E_clISt17integral_constantIbLb1EES14_EEDaSZ_S10_EUlSZ_E_NS1_11comp_targetILNS1_3genE10ELNS1_11target_archE1201ELNS1_3gpuE5ELNS1_3repE0EEENS1_30default_config_static_selectorELNS0_4arch9wavefront6targetE0EEEvT1_ ; -- Begin function _ZN7rocprim17ROCPRIM_400000_NS6detail17trampoline_kernelINS0_14default_configENS1_29reduce_by_key_config_selectorIjjN6thrust23THRUST_200600_302600_NS4plusIjEEEEZZNS1_33reduce_by_key_impl_wrapped_configILNS1_25lookback_scan_determinismE0ES3_S9_NS6_6detail15normal_iteratorINS6_10device_ptrIjEEEESG_NS6_16discard_iteratorINS6_11use_defaultEEESG_PmS8_NS6_8equal_toIjEEEE10hipError_tPvRmT2_T3_mT4_T5_T6_T7_T8_P12ihipStream_tbENKUlT_T0_E_clISt17integral_constantIbLb1EES14_EEDaSZ_S10_EUlSZ_E_NS1_11comp_targetILNS1_3genE10ELNS1_11target_archE1201ELNS1_3gpuE5ELNS1_3repE0EEENS1_30default_config_static_selectorELNS0_4arch9wavefront6targetE0EEEvT1_
	.globl	_ZN7rocprim17ROCPRIM_400000_NS6detail17trampoline_kernelINS0_14default_configENS1_29reduce_by_key_config_selectorIjjN6thrust23THRUST_200600_302600_NS4plusIjEEEEZZNS1_33reduce_by_key_impl_wrapped_configILNS1_25lookback_scan_determinismE0ES3_S9_NS6_6detail15normal_iteratorINS6_10device_ptrIjEEEESG_NS6_16discard_iteratorINS6_11use_defaultEEESG_PmS8_NS6_8equal_toIjEEEE10hipError_tPvRmT2_T3_mT4_T5_T6_T7_T8_P12ihipStream_tbENKUlT_T0_E_clISt17integral_constantIbLb1EES14_EEDaSZ_S10_EUlSZ_E_NS1_11comp_targetILNS1_3genE10ELNS1_11target_archE1201ELNS1_3gpuE5ELNS1_3repE0EEENS1_30default_config_static_selectorELNS0_4arch9wavefront6targetE0EEEvT1_
	.p2align	8
	.type	_ZN7rocprim17ROCPRIM_400000_NS6detail17trampoline_kernelINS0_14default_configENS1_29reduce_by_key_config_selectorIjjN6thrust23THRUST_200600_302600_NS4plusIjEEEEZZNS1_33reduce_by_key_impl_wrapped_configILNS1_25lookback_scan_determinismE0ES3_S9_NS6_6detail15normal_iteratorINS6_10device_ptrIjEEEESG_NS6_16discard_iteratorINS6_11use_defaultEEESG_PmS8_NS6_8equal_toIjEEEE10hipError_tPvRmT2_T3_mT4_T5_T6_T7_T8_P12ihipStream_tbENKUlT_T0_E_clISt17integral_constantIbLb1EES14_EEDaSZ_S10_EUlSZ_E_NS1_11comp_targetILNS1_3genE10ELNS1_11target_archE1201ELNS1_3gpuE5ELNS1_3repE0EEENS1_30default_config_static_selectorELNS0_4arch9wavefront6targetE0EEEvT1_,@function
_ZN7rocprim17ROCPRIM_400000_NS6detail17trampoline_kernelINS0_14default_configENS1_29reduce_by_key_config_selectorIjjN6thrust23THRUST_200600_302600_NS4plusIjEEEEZZNS1_33reduce_by_key_impl_wrapped_configILNS1_25lookback_scan_determinismE0ES3_S9_NS6_6detail15normal_iteratorINS6_10device_ptrIjEEEESG_NS6_16discard_iteratorINS6_11use_defaultEEESG_PmS8_NS6_8equal_toIjEEEE10hipError_tPvRmT2_T3_mT4_T5_T6_T7_T8_P12ihipStream_tbENKUlT_T0_E_clISt17integral_constantIbLb1EES14_EEDaSZ_S10_EUlSZ_E_NS1_11comp_targetILNS1_3genE10ELNS1_11target_archE1201ELNS1_3gpuE5ELNS1_3repE0EEENS1_30default_config_static_selectorELNS0_4arch9wavefront6targetE0EEEvT1_: ; @_ZN7rocprim17ROCPRIM_400000_NS6detail17trampoline_kernelINS0_14default_configENS1_29reduce_by_key_config_selectorIjjN6thrust23THRUST_200600_302600_NS4plusIjEEEEZZNS1_33reduce_by_key_impl_wrapped_configILNS1_25lookback_scan_determinismE0ES3_S9_NS6_6detail15normal_iteratorINS6_10device_ptrIjEEEESG_NS6_16discard_iteratorINS6_11use_defaultEEESG_PmS8_NS6_8equal_toIjEEEE10hipError_tPvRmT2_T3_mT4_T5_T6_T7_T8_P12ihipStream_tbENKUlT_T0_E_clISt17integral_constantIbLb1EES14_EEDaSZ_S10_EUlSZ_E_NS1_11comp_targetILNS1_3genE10ELNS1_11target_archE1201ELNS1_3gpuE5ELNS1_3repE0EEENS1_30default_config_static_selectorELNS0_4arch9wavefront6targetE0EEEvT1_
; %bb.0:
	.section	.rodata,"a",@progbits
	.p2align	6, 0x0
	.amdhsa_kernel _ZN7rocprim17ROCPRIM_400000_NS6detail17trampoline_kernelINS0_14default_configENS1_29reduce_by_key_config_selectorIjjN6thrust23THRUST_200600_302600_NS4plusIjEEEEZZNS1_33reduce_by_key_impl_wrapped_configILNS1_25lookback_scan_determinismE0ES3_S9_NS6_6detail15normal_iteratorINS6_10device_ptrIjEEEESG_NS6_16discard_iteratorINS6_11use_defaultEEESG_PmS8_NS6_8equal_toIjEEEE10hipError_tPvRmT2_T3_mT4_T5_T6_T7_T8_P12ihipStream_tbENKUlT_T0_E_clISt17integral_constantIbLb1EES14_EEDaSZ_S10_EUlSZ_E_NS1_11comp_targetILNS1_3genE10ELNS1_11target_archE1201ELNS1_3gpuE5ELNS1_3repE0EEENS1_30default_config_static_selectorELNS0_4arch9wavefront6targetE0EEEvT1_
		.amdhsa_group_segment_fixed_size 0
		.amdhsa_private_segment_fixed_size 0
		.amdhsa_kernarg_size 128
		.amdhsa_user_sgpr_count 15
		.amdhsa_user_sgpr_dispatch_ptr 0
		.amdhsa_user_sgpr_queue_ptr 0
		.amdhsa_user_sgpr_kernarg_segment_ptr 1
		.amdhsa_user_sgpr_dispatch_id 0
		.amdhsa_user_sgpr_private_segment_size 0
		.amdhsa_wavefront_size32 1
		.amdhsa_uses_dynamic_stack 0
		.amdhsa_enable_private_segment 0
		.amdhsa_system_sgpr_workgroup_id_x 1
		.amdhsa_system_sgpr_workgroup_id_y 0
		.amdhsa_system_sgpr_workgroup_id_z 0
		.amdhsa_system_sgpr_workgroup_info 0
		.amdhsa_system_vgpr_workitem_id 0
		.amdhsa_next_free_vgpr 1
		.amdhsa_next_free_sgpr 1
		.amdhsa_reserve_vcc 0
		.amdhsa_float_round_mode_32 0
		.amdhsa_float_round_mode_16_64 0
		.amdhsa_float_denorm_mode_32 3
		.amdhsa_float_denorm_mode_16_64 3
		.amdhsa_dx10_clamp 1
		.amdhsa_ieee_mode 1
		.amdhsa_fp16_overflow 0
		.amdhsa_workgroup_processor_mode 1
		.amdhsa_memory_ordered 1
		.amdhsa_forward_progress 0
		.amdhsa_shared_vgpr_count 0
		.amdhsa_exception_fp_ieee_invalid_op 0
		.amdhsa_exception_fp_denorm_src 0
		.amdhsa_exception_fp_ieee_div_zero 0
		.amdhsa_exception_fp_ieee_overflow 0
		.amdhsa_exception_fp_ieee_underflow 0
		.amdhsa_exception_fp_ieee_inexact 0
		.amdhsa_exception_int_div_zero 0
	.end_amdhsa_kernel
	.section	.text._ZN7rocprim17ROCPRIM_400000_NS6detail17trampoline_kernelINS0_14default_configENS1_29reduce_by_key_config_selectorIjjN6thrust23THRUST_200600_302600_NS4plusIjEEEEZZNS1_33reduce_by_key_impl_wrapped_configILNS1_25lookback_scan_determinismE0ES3_S9_NS6_6detail15normal_iteratorINS6_10device_ptrIjEEEESG_NS6_16discard_iteratorINS6_11use_defaultEEESG_PmS8_NS6_8equal_toIjEEEE10hipError_tPvRmT2_T3_mT4_T5_T6_T7_T8_P12ihipStream_tbENKUlT_T0_E_clISt17integral_constantIbLb1EES14_EEDaSZ_S10_EUlSZ_E_NS1_11comp_targetILNS1_3genE10ELNS1_11target_archE1201ELNS1_3gpuE5ELNS1_3repE0EEENS1_30default_config_static_selectorELNS0_4arch9wavefront6targetE0EEEvT1_,"axG",@progbits,_ZN7rocprim17ROCPRIM_400000_NS6detail17trampoline_kernelINS0_14default_configENS1_29reduce_by_key_config_selectorIjjN6thrust23THRUST_200600_302600_NS4plusIjEEEEZZNS1_33reduce_by_key_impl_wrapped_configILNS1_25lookback_scan_determinismE0ES3_S9_NS6_6detail15normal_iteratorINS6_10device_ptrIjEEEESG_NS6_16discard_iteratorINS6_11use_defaultEEESG_PmS8_NS6_8equal_toIjEEEE10hipError_tPvRmT2_T3_mT4_T5_T6_T7_T8_P12ihipStream_tbENKUlT_T0_E_clISt17integral_constantIbLb1EES14_EEDaSZ_S10_EUlSZ_E_NS1_11comp_targetILNS1_3genE10ELNS1_11target_archE1201ELNS1_3gpuE5ELNS1_3repE0EEENS1_30default_config_static_selectorELNS0_4arch9wavefront6targetE0EEEvT1_,comdat
.Lfunc_end927:
	.size	_ZN7rocprim17ROCPRIM_400000_NS6detail17trampoline_kernelINS0_14default_configENS1_29reduce_by_key_config_selectorIjjN6thrust23THRUST_200600_302600_NS4plusIjEEEEZZNS1_33reduce_by_key_impl_wrapped_configILNS1_25lookback_scan_determinismE0ES3_S9_NS6_6detail15normal_iteratorINS6_10device_ptrIjEEEESG_NS6_16discard_iteratorINS6_11use_defaultEEESG_PmS8_NS6_8equal_toIjEEEE10hipError_tPvRmT2_T3_mT4_T5_T6_T7_T8_P12ihipStream_tbENKUlT_T0_E_clISt17integral_constantIbLb1EES14_EEDaSZ_S10_EUlSZ_E_NS1_11comp_targetILNS1_3genE10ELNS1_11target_archE1201ELNS1_3gpuE5ELNS1_3repE0EEENS1_30default_config_static_selectorELNS0_4arch9wavefront6targetE0EEEvT1_, .Lfunc_end927-_ZN7rocprim17ROCPRIM_400000_NS6detail17trampoline_kernelINS0_14default_configENS1_29reduce_by_key_config_selectorIjjN6thrust23THRUST_200600_302600_NS4plusIjEEEEZZNS1_33reduce_by_key_impl_wrapped_configILNS1_25lookback_scan_determinismE0ES3_S9_NS6_6detail15normal_iteratorINS6_10device_ptrIjEEEESG_NS6_16discard_iteratorINS6_11use_defaultEEESG_PmS8_NS6_8equal_toIjEEEE10hipError_tPvRmT2_T3_mT4_T5_T6_T7_T8_P12ihipStream_tbENKUlT_T0_E_clISt17integral_constantIbLb1EES14_EEDaSZ_S10_EUlSZ_E_NS1_11comp_targetILNS1_3genE10ELNS1_11target_archE1201ELNS1_3gpuE5ELNS1_3repE0EEENS1_30default_config_static_selectorELNS0_4arch9wavefront6targetE0EEEvT1_
                                        ; -- End function
	.section	.AMDGPU.csdata,"",@progbits
; Kernel info:
; codeLenInByte = 0
; NumSgprs: 0
; NumVgprs: 0
; ScratchSize: 0
; MemoryBound: 0
; FloatMode: 240
; IeeeMode: 1
; LDSByteSize: 0 bytes/workgroup (compile time only)
; SGPRBlocks: 0
; VGPRBlocks: 0
; NumSGPRsForWavesPerEU: 1
; NumVGPRsForWavesPerEU: 1
; Occupancy: 16
; WaveLimiterHint : 0
; COMPUTE_PGM_RSRC2:SCRATCH_EN: 0
; COMPUTE_PGM_RSRC2:USER_SGPR: 15
; COMPUTE_PGM_RSRC2:TRAP_HANDLER: 0
; COMPUTE_PGM_RSRC2:TGID_X_EN: 1
; COMPUTE_PGM_RSRC2:TGID_Y_EN: 0
; COMPUTE_PGM_RSRC2:TGID_Z_EN: 0
; COMPUTE_PGM_RSRC2:TIDIG_COMP_CNT: 0
	.section	.text._ZN7rocprim17ROCPRIM_400000_NS6detail17trampoline_kernelINS0_14default_configENS1_29reduce_by_key_config_selectorIjjN6thrust23THRUST_200600_302600_NS4plusIjEEEEZZNS1_33reduce_by_key_impl_wrapped_configILNS1_25lookback_scan_determinismE0ES3_S9_NS6_6detail15normal_iteratorINS6_10device_ptrIjEEEESG_NS6_16discard_iteratorINS6_11use_defaultEEESG_PmS8_NS6_8equal_toIjEEEE10hipError_tPvRmT2_T3_mT4_T5_T6_T7_T8_P12ihipStream_tbENKUlT_T0_E_clISt17integral_constantIbLb1EES14_EEDaSZ_S10_EUlSZ_E_NS1_11comp_targetILNS1_3genE10ELNS1_11target_archE1200ELNS1_3gpuE4ELNS1_3repE0EEENS1_30default_config_static_selectorELNS0_4arch9wavefront6targetE0EEEvT1_,"axG",@progbits,_ZN7rocprim17ROCPRIM_400000_NS6detail17trampoline_kernelINS0_14default_configENS1_29reduce_by_key_config_selectorIjjN6thrust23THRUST_200600_302600_NS4plusIjEEEEZZNS1_33reduce_by_key_impl_wrapped_configILNS1_25lookback_scan_determinismE0ES3_S9_NS6_6detail15normal_iteratorINS6_10device_ptrIjEEEESG_NS6_16discard_iteratorINS6_11use_defaultEEESG_PmS8_NS6_8equal_toIjEEEE10hipError_tPvRmT2_T3_mT4_T5_T6_T7_T8_P12ihipStream_tbENKUlT_T0_E_clISt17integral_constantIbLb1EES14_EEDaSZ_S10_EUlSZ_E_NS1_11comp_targetILNS1_3genE10ELNS1_11target_archE1200ELNS1_3gpuE4ELNS1_3repE0EEENS1_30default_config_static_selectorELNS0_4arch9wavefront6targetE0EEEvT1_,comdat
	.protected	_ZN7rocprim17ROCPRIM_400000_NS6detail17trampoline_kernelINS0_14default_configENS1_29reduce_by_key_config_selectorIjjN6thrust23THRUST_200600_302600_NS4plusIjEEEEZZNS1_33reduce_by_key_impl_wrapped_configILNS1_25lookback_scan_determinismE0ES3_S9_NS6_6detail15normal_iteratorINS6_10device_ptrIjEEEESG_NS6_16discard_iteratorINS6_11use_defaultEEESG_PmS8_NS6_8equal_toIjEEEE10hipError_tPvRmT2_T3_mT4_T5_T6_T7_T8_P12ihipStream_tbENKUlT_T0_E_clISt17integral_constantIbLb1EES14_EEDaSZ_S10_EUlSZ_E_NS1_11comp_targetILNS1_3genE10ELNS1_11target_archE1200ELNS1_3gpuE4ELNS1_3repE0EEENS1_30default_config_static_selectorELNS0_4arch9wavefront6targetE0EEEvT1_ ; -- Begin function _ZN7rocprim17ROCPRIM_400000_NS6detail17trampoline_kernelINS0_14default_configENS1_29reduce_by_key_config_selectorIjjN6thrust23THRUST_200600_302600_NS4plusIjEEEEZZNS1_33reduce_by_key_impl_wrapped_configILNS1_25lookback_scan_determinismE0ES3_S9_NS6_6detail15normal_iteratorINS6_10device_ptrIjEEEESG_NS6_16discard_iteratorINS6_11use_defaultEEESG_PmS8_NS6_8equal_toIjEEEE10hipError_tPvRmT2_T3_mT4_T5_T6_T7_T8_P12ihipStream_tbENKUlT_T0_E_clISt17integral_constantIbLb1EES14_EEDaSZ_S10_EUlSZ_E_NS1_11comp_targetILNS1_3genE10ELNS1_11target_archE1200ELNS1_3gpuE4ELNS1_3repE0EEENS1_30default_config_static_selectorELNS0_4arch9wavefront6targetE0EEEvT1_
	.globl	_ZN7rocprim17ROCPRIM_400000_NS6detail17trampoline_kernelINS0_14default_configENS1_29reduce_by_key_config_selectorIjjN6thrust23THRUST_200600_302600_NS4plusIjEEEEZZNS1_33reduce_by_key_impl_wrapped_configILNS1_25lookback_scan_determinismE0ES3_S9_NS6_6detail15normal_iteratorINS6_10device_ptrIjEEEESG_NS6_16discard_iteratorINS6_11use_defaultEEESG_PmS8_NS6_8equal_toIjEEEE10hipError_tPvRmT2_T3_mT4_T5_T6_T7_T8_P12ihipStream_tbENKUlT_T0_E_clISt17integral_constantIbLb1EES14_EEDaSZ_S10_EUlSZ_E_NS1_11comp_targetILNS1_3genE10ELNS1_11target_archE1200ELNS1_3gpuE4ELNS1_3repE0EEENS1_30default_config_static_selectorELNS0_4arch9wavefront6targetE0EEEvT1_
	.p2align	8
	.type	_ZN7rocprim17ROCPRIM_400000_NS6detail17trampoline_kernelINS0_14default_configENS1_29reduce_by_key_config_selectorIjjN6thrust23THRUST_200600_302600_NS4plusIjEEEEZZNS1_33reduce_by_key_impl_wrapped_configILNS1_25lookback_scan_determinismE0ES3_S9_NS6_6detail15normal_iteratorINS6_10device_ptrIjEEEESG_NS6_16discard_iteratorINS6_11use_defaultEEESG_PmS8_NS6_8equal_toIjEEEE10hipError_tPvRmT2_T3_mT4_T5_T6_T7_T8_P12ihipStream_tbENKUlT_T0_E_clISt17integral_constantIbLb1EES14_EEDaSZ_S10_EUlSZ_E_NS1_11comp_targetILNS1_3genE10ELNS1_11target_archE1200ELNS1_3gpuE4ELNS1_3repE0EEENS1_30default_config_static_selectorELNS0_4arch9wavefront6targetE0EEEvT1_,@function
_ZN7rocprim17ROCPRIM_400000_NS6detail17trampoline_kernelINS0_14default_configENS1_29reduce_by_key_config_selectorIjjN6thrust23THRUST_200600_302600_NS4plusIjEEEEZZNS1_33reduce_by_key_impl_wrapped_configILNS1_25lookback_scan_determinismE0ES3_S9_NS6_6detail15normal_iteratorINS6_10device_ptrIjEEEESG_NS6_16discard_iteratorINS6_11use_defaultEEESG_PmS8_NS6_8equal_toIjEEEE10hipError_tPvRmT2_T3_mT4_T5_T6_T7_T8_P12ihipStream_tbENKUlT_T0_E_clISt17integral_constantIbLb1EES14_EEDaSZ_S10_EUlSZ_E_NS1_11comp_targetILNS1_3genE10ELNS1_11target_archE1200ELNS1_3gpuE4ELNS1_3repE0EEENS1_30default_config_static_selectorELNS0_4arch9wavefront6targetE0EEEvT1_: ; @_ZN7rocprim17ROCPRIM_400000_NS6detail17trampoline_kernelINS0_14default_configENS1_29reduce_by_key_config_selectorIjjN6thrust23THRUST_200600_302600_NS4plusIjEEEEZZNS1_33reduce_by_key_impl_wrapped_configILNS1_25lookback_scan_determinismE0ES3_S9_NS6_6detail15normal_iteratorINS6_10device_ptrIjEEEESG_NS6_16discard_iteratorINS6_11use_defaultEEESG_PmS8_NS6_8equal_toIjEEEE10hipError_tPvRmT2_T3_mT4_T5_T6_T7_T8_P12ihipStream_tbENKUlT_T0_E_clISt17integral_constantIbLb1EES14_EEDaSZ_S10_EUlSZ_E_NS1_11comp_targetILNS1_3genE10ELNS1_11target_archE1200ELNS1_3gpuE4ELNS1_3repE0EEENS1_30default_config_static_selectorELNS0_4arch9wavefront6targetE0EEEvT1_
; %bb.0:
	.section	.rodata,"a",@progbits
	.p2align	6, 0x0
	.amdhsa_kernel _ZN7rocprim17ROCPRIM_400000_NS6detail17trampoline_kernelINS0_14default_configENS1_29reduce_by_key_config_selectorIjjN6thrust23THRUST_200600_302600_NS4plusIjEEEEZZNS1_33reduce_by_key_impl_wrapped_configILNS1_25lookback_scan_determinismE0ES3_S9_NS6_6detail15normal_iteratorINS6_10device_ptrIjEEEESG_NS6_16discard_iteratorINS6_11use_defaultEEESG_PmS8_NS6_8equal_toIjEEEE10hipError_tPvRmT2_T3_mT4_T5_T6_T7_T8_P12ihipStream_tbENKUlT_T0_E_clISt17integral_constantIbLb1EES14_EEDaSZ_S10_EUlSZ_E_NS1_11comp_targetILNS1_3genE10ELNS1_11target_archE1200ELNS1_3gpuE4ELNS1_3repE0EEENS1_30default_config_static_selectorELNS0_4arch9wavefront6targetE0EEEvT1_
		.amdhsa_group_segment_fixed_size 0
		.amdhsa_private_segment_fixed_size 0
		.amdhsa_kernarg_size 128
		.amdhsa_user_sgpr_count 15
		.amdhsa_user_sgpr_dispatch_ptr 0
		.amdhsa_user_sgpr_queue_ptr 0
		.amdhsa_user_sgpr_kernarg_segment_ptr 1
		.amdhsa_user_sgpr_dispatch_id 0
		.amdhsa_user_sgpr_private_segment_size 0
		.amdhsa_wavefront_size32 1
		.amdhsa_uses_dynamic_stack 0
		.amdhsa_enable_private_segment 0
		.amdhsa_system_sgpr_workgroup_id_x 1
		.amdhsa_system_sgpr_workgroup_id_y 0
		.amdhsa_system_sgpr_workgroup_id_z 0
		.amdhsa_system_sgpr_workgroup_info 0
		.amdhsa_system_vgpr_workitem_id 0
		.amdhsa_next_free_vgpr 1
		.amdhsa_next_free_sgpr 1
		.amdhsa_reserve_vcc 0
		.amdhsa_float_round_mode_32 0
		.amdhsa_float_round_mode_16_64 0
		.amdhsa_float_denorm_mode_32 3
		.amdhsa_float_denorm_mode_16_64 3
		.amdhsa_dx10_clamp 1
		.amdhsa_ieee_mode 1
		.amdhsa_fp16_overflow 0
		.amdhsa_workgroup_processor_mode 1
		.amdhsa_memory_ordered 1
		.amdhsa_forward_progress 0
		.amdhsa_shared_vgpr_count 0
		.amdhsa_exception_fp_ieee_invalid_op 0
		.amdhsa_exception_fp_denorm_src 0
		.amdhsa_exception_fp_ieee_div_zero 0
		.amdhsa_exception_fp_ieee_overflow 0
		.amdhsa_exception_fp_ieee_underflow 0
		.amdhsa_exception_fp_ieee_inexact 0
		.amdhsa_exception_int_div_zero 0
	.end_amdhsa_kernel
	.section	.text._ZN7rocprim17ROCPRIM_400000_NS6detail17trampoline_kernelINS0_14default_configENS1_29reduce_by_key_config_selectorIjjN6thrust23THRUST_200600_302600_NS4plusIjEEEEZZNS1_33reduce_by_key_impl_wrapped_configILNS1_25lookback_scan_determinismE0ES3_S9_NS6_6detail15normal_iteratorINS6_10device_ptrIjEEEESG_NS6_16discard_iteratorINS6_11use_defaultEEESG_PmS8_NS6_8equal_toIjEEEE10hipError_tPvRmT2_T3_mT4_T5_T6_T7_T8_P12ihipStream_tbENKUlT_T0_E_clISt17integral_constantIbLb1EES14_EEDaSZ_S10_EUlSZ_E_NS1_11comp_targetILNS1_3genE10ELNS1_11target_archE1200ELNS1_3gpuE4ELNS1_3repE0EEENS1_30default_config_static_selectorELNS0_4arch9wavefront6targetE0EEEvT1_,"axG",@progbits,_ZN7rocprim17ROCPRIM_400000_NS6detail17trampoline_kernelINS0_14default_configENS1_29reduce_by_key_config_selectorIjjN6thrust23THRUST_200600_302600_NS4plusIjEEEEZZNS1_33reduce_by_key_impl_wrapped_configILNS1_25lookback_scan_determinismE0ES3_S9_NS6_6detail15normal_iteratorINS6_10device_ptrIjEEEESG_NS6_16discard_iteratorINS6_11use_defaultEEESG_PmS8_NS6_8equal_toIjEEEE10hipError_tPvRmT2_T3_mT4_T5_T6_T7_T8_P12ihipStream_tbENKUlT_T0_E_clISt17integral_constantIbLb1EES14_EEDaSZ_S10_EUlSZ_E_NS1_11comp_targetILNS1_3genE10ELNS1_11target_archE1200ELNS1_3gpuE4ELNS1_3repE0EEENS1_30default_config_static_selectorELNS0_4arch9wavefront6targetE0EEEvT1_,comdat
.Lfunc_end928:
	.size	_ZN7rocprim17ROCPRIM_400000_NS6detail17trampoline_kernelINS0_14default_configENS1_29reduce_by_key_config_selectorIjjN6thrust23THRUST_200600_302600_NS4plusIjEEEEZZNS1_33reduce_by_key_impl_wrapped_configILNS1_25lookback_scan_determinismE0ES3_S9_NS6_6detail15normal_iteratorINS6_10device_ptrIjEEEESG_NS6_16discard_iteratorINS6_11use_defaultEEESG_PmS8_NS6_8equal_toIjEEEE10hipError_tPvRmT2_T3_mT4_T5_T6_T7_T8_P12ihipStream_tbENKUlT_T0_E_clISt17integral_constantIbLb1EES14_EEDaSZ_S10_EUlSZ_E_NS1_11comp_targetILNS1_3genE10ELNS1_11target_archE1200ELNS1_3gpuE4ELNS1_3repE0EEENS1_30default_config_static_selectorELNS0_4arch9wavefront6targetE0EEEvT1_, .Lfunc_end928-_ZN7rocprim17ROCPRIM_400000_NS6detail17trampoline_kernelINS0_14default_configENS1_29reduce_by_key_config_selectorIjjN6thrust23THRUST_200600_302600_NS4plusIjEEEEZZNS1_33reduce_by_key_impl_wrapped_configILNS1_25lookback_scan_determinismE0ES3_S9_NS6_6detail15normal_iteratorINS6_10device_ptrIjEEEESG_NS6_16discard_iteratorINS6_11use_defaultEEESG_PmS8_NS6_8equal_toIjEEEE10hipError_tPvRmT2_T3_mT4_T5_T6_T7_T8_P12ihipStream_tbENKUlT_T0_E_clISt17integral_constantIbLb1EES14_EEDaSZ_S10_EUlSZ_E_NS1_11comp_targetILNS1_3genE10ELNS1_11target_archE1200ELNS1_3gpuE4ELNS1_3repE0EEENS1_30default_config_static_selectorELNS0_4arch9wavefront6targetE0EEEvT1_
                                        ; -- End function
	.section	.AMDGPU.csdata,"",@progbits
; Kernel info:
; codeLenInByte = 0
; NumSgprs: 0
; NumVgprs: 0
; ScratchSize: 0
; MemoryBound: 0
; FloatMode: 240
; IeeeMode: 1
; LDSByteSize: 0 bytes/workgroup (compile time only)
; SGPRBlocks: 0
; VGPRBlocks: 0
; NumSGPRsForWavesPerEU: 1
; NumVGPRsForWavesPerEU: 1
; Occupancy: 16
; WaveLimiterHint : 0
; COMPUTE_PGM_RSRC2:SCRATCH_EN: 0
; COMPUTE_PGM_RSRC2:USER_SGPR: 15
; COMPUTE_PGM_RSRC2:TRAP_HANDLER: 0
; COMPUTE_PGM_RSRC2:TGID_X_EN: 1
; COMPUTE_PGM_RSRC2:TGID_Y_EN: 0
; COMPUTE_PGM_RSRC2:TGID_Z_EN: 0
; COMPUTE_PGM_RSRC2:TIDIG_COMP_CNT: 0
	.section	.text._ZN7rocprim17ROCPRIM_400000_NS6detail17trampoline_kernelINS0_14default_configENS1_29reduce_by_key_config_selectorIjjN6thrust23THRUST_200600_302600_NS4plusIjEEEEZZNS1_33reduce_by_key_impl_wrapped_configILNS1_25lookback_scan_determinismE0ES3_S9_NS6_6detail15normal_iteratorINS6_10device_ptrIjEEEESG_NS6_16discard_iteratorINS6_11use_defaultEEESG_PmS8_NS6_8equal_toIjEEEE10hipError_tPvRmT2_T3_mT4_T5_T6_T7_T8_P12ihipStream_tbENKUlT_T0_E_clISt17integral_constantIbLb1EES14_EEDaSZ_S10_EUlSZ_E_NS1_11comp_targetILNS1_3genE9ELNS1_11target_archE1100ELNS1_3gpuE3ELNS1_3repE0EEENS1_30default_config_static_selectorELNS0_4arch9wavefront6targetE0EEEvT1_,"axG",@progbits,_ZN7rocprim17ROCPRIM_400000_NS6detail17trampoline_kernelINS0_14default_configENS1_29reduce_by_key_config_selectorIjjN6thrust23THRUST_200600_302600_NS4plusIjEEEEZZNS1_33reduce_by_key_impl_wrapped_configILNS1_25lookback_scan_determinismE0ES3_S9_NS6_6detail15normal_iteratorINS6_10device_ptrIjEEEESG_NS6_16discard_iteratorINS6_11use_defaultEEESG_PmS8_NS6_8equal_toIjEEEE10hipError_tPvRmT2_T3_mT4_T5_T6_T7_T8_P12ihipStream_tbENKUlT_T0_E_clISt17integral_constantIbLb1EES14_EEDaSZ_S10_EUlSZ_E_NS1_11comp_targetILNS1_3genE9ELNS1_11target_archE1100ELNS1_3gpuE3ELNS1_3repE0EEENS1_30default_config_static_selectorELNS0_4arch9wavefront6targetE0EEEvT1_,comdat
	.protected	_ZN7rocprim17ROCPRIM_400000_NS6detail17trampoline_kernelINS0_14default_configENS1_29reduce_by_key_config_selectorIjjN6thrust23THRUST_200600_302600_NS4plusIjEEEEZZNS1_33reduce_by_key_impl_wrapped_configILNS1_25lookback_scan_determinismE0ES3_S9_NS6_6detail15normal_iteratorINS6_10device_ptrIjEEEESG_NS6_16discard_iteratorINS6_11use_defaultEEESG_PmS8_NS6_8equal_toIjEEEE10hipError_tPvRmT2_T3_mT4_T5_T6_T7_T8_P12ihipStream_tbENKUlT_T0_E_clISt17integral_constantIbLb1EES14_EEDaSZ_S10_EUlSZ_E_NS1_11comp_targetILNS1_3genE9ELNS1_11target_archE1100ELNS1_3gpuE3ELNS1_3repE0EEENS1_30default_config_static_selectorELNS0_4arch9wavefront6targetE0EEEvT1_ ; -- Begin function _ZN7rocprim17ROCPRIM_400000_NS6detail17trampoline_kernelINS0_14default_configENS1_29reduce_by_key_config_selectorIjjN6thrust23THRUST_200600_302600_NS4plusIjEEEEZZNS1_33reduce_by_key_impl_wrapped_configILNS1_25lookback_scan_determinismE0ES3_S9_NS6_6detail15normal_iteratorINS6_10device_ptrIjEEEESG_NS6_16discard_iteratorINS6_11use_defaultEEESG_PmS8_NS6_8equal_toIjEEEE10hipError_tPvRmT2_T3_mT4_T5_T6_T7_T8_P12ihipStream_tbENKUlT_T0_E_clISt17integral_constantIbLb1EES14_EEDaSZ_S10_EUlSZ_E_NS1_11comp_targetILNS1_3genE9ELNS1_11target_archE1100ELNS1_3gpuE3ELNS1_3repE0EEENS1_30default_config_static_selectorELNS0_4arch9wavefront6targetE0EEEvT1_
	.globl	_ZN7rocprim17ROCPRIM_400000_NS6detail17trampoline_kernelINS0_14default_configENS1_29reduce_by_key_config_selectorIjjN6thrust23THRUST_200600_302600_NS4plusIjEEEEZZNS1_33reduce_by_key_impl_wrapped_configILNS1_25lookback_scan_determinismE0ES3_S9_NS6_6detail15normal_iteratorINS6_10device_ptrIjEEEESG_NS6_16discard_iteratorINS6_11use_defaultEEESG_PmS8_NS6_8equal_toIjEEEE10hipError_tPvRmT2_T3_mT4_T5_T6_T7_T8_P12ihipStream_tbENKUlT_T0_E_clISt17integral_constantIbLb1EES14_EEDaSZ_S10_EUlSZ_E_NS1_11comp_targetILNS1_3genE9ELNS1_11target_archE1100ELNS1_3gpuE3ELNS1_3repE0EEENS1_30default_config_static_selectorELNS0_4arch9wavefront6targetE0EEEvT1_
	.p2align	8
	.type	_ZN7rocprim17ROCPRIM_400000_NS6detail17trampoline_kernelINS0_14default_configENS1_29reduce_by_key_config_selectorIjjN6thrust23THRUST_200600_302600_NS4plusIjEEEEZZNS1_33reduce_by_key_impl_wrapped_configILNS1_25lookback_scan_determinismE0ES3_S9_NS6_6detail15normal_iteratorINS6_10device_ptrIjEEEESG_NS6_16discard_iteratorINS6_11use_defaultEEESG_PmS8_NS6_8equal_toIjEEEE10hipError_tPvRmT2_T3_mT4_T5_T6_T7_T8_P12ihipStream_tbENKUlT_T0_E_clISt17integral_constantIbLb1EES14_EEDaSZ_S10_EUlSZ_E_NS1_11comp_targetILNS1_3genE9ELNS1_11target_archE1100ELNS1_3gpuE3ELNS1_3repE0EEENS1_30default_config_static_selectorELNS0_4arch9wavefront6targetE0EEEvT1_,@function
_ZN7rocprim17ROCPRIM_400000_NS6detail17trampoline_kernelINS0_14default_configENS1_29reduce_by_key_config_selectorIjjN6thrust23THRUST_200600_302600_NS4plusIjEEEEZZNS1_33reduce_by_key_impl_wrapped_configILNS1_25lookback_scan_determinismE0ES3_S9_NS6_6detail15normal_iteratorINS6_10device_ptrIjEEEESG_NS6_16discard_iteratorINS6_11use_defaultEEESG_PmS8_NS6_8equal_toIjEEEE10hipError_tPvRmT2_T3_mT4_T5_T6_T7_T8_P12ihipStream_tbENKUlT_T0_E_clISt17integral_constantIbLb1EES14_EEDaSZ_S10_EUlSZ_E_NS1_11comp_targetILNS1_3genE9ELNS1_11target_archE1100ELNS1_3gpuE3ELNS1_3repE0EEENS1_30default_config_static_selectorELNS0_4arch9wavefront6targetE0EEEvT1_: ; @_ZN7rocprim17ROCPRIM_400000_NS6detail17trampoline_kernelINS0_14default_configENS1_29reduce_by_key_config_selectorIjjN6thrust23THRUST_200600_302600_NS4plusIjEEEEZZNS1_33reduce_by_key_impl_wrapped_configILNS1_25lookback_scan_determinismE0ES3_S9_NS6_6detail15normal_iteratorINS6_10device_ptrIjEEEESG_NS6_16discard_iteratorINS6_11use_defaultEEESG_PmS8_NS6_8equal_toIjEEEE10hipError_tPvRmT2_T3_mT4_T5_T6_T7_T8_P12ihipStream_tbENKUlT_T0_E_clISt17integral_constantIbLb1EES14_EEDaSZ_S10_EUlSZ_E_NS1_11comp_targetILNS1_3genE9ELNS1_11target_archE1100ELNS1_3gpuE3ELNS1_3repE0EEENS1_30default_config_static_selectorELNS0_4arch9wavefront6targetE0EEEvT1_
; %bb.0:
	s_clause 0x4
	s_load_b128 s[4:7], s[0:1], 0x0
	s_load_b64 s[8:9], s[0:1], 0x10
	s_load_b64 s[34:35], s[0:1], 0x70
	s_load_b128 s[40:43], s[0:1], 0x60
	s_load_b256 s[24:31], s[0:1], 0x40
	v_cmp_ne_u32_e64 s3, 0, v0
	v_cmp_eq_u32_e64 s2, 0, v0
	s_delay_alu instid0(VALU_DEP_1)
	s_and_saveexec_b32 s10, s2
	s_cbranch_execz .LBB929_4
; %bb.1:
	s_mov_b32 s12, exec_lo
	s_mov_b32 s11, exec_lo
	v_mbcnt_lo_u32_b32 v1, s12, 0
                                        ; implicit-def: $vgpr2
	s_delay_alu instid0(VALU_DEP_1)
	v_cmpx_eq_u32_e32 0, v1
	s_cbranch_execz .LBB929_3
; %bb.2:
	s_load_b64 s[14:15], s[0:1], 0x78
	s_bcnt1_i32_b32 s12, s12
	s_delay_alu instid0(SALU_CYCLE_1)
	v_dual_mov_b32 v2, 0 :: v_dual_mov_b32 v3, s12
	s_waitcnt lgkmcnt(0)
	global_atomic_add_u32 v2, v2, v3, s[14:15] glc
.LBB929_3:
	s_or_b32 exec_lo, exec_lo, s11
	s_waitcnt vmcnt(0)
	v_readfirstlane_b32 s11, v2
	s_delay_alu instid0(VALU_DEP_1)
	v_dual_mov_b32 v2, 0 :: v_dual_add_nc_u32 v1, s11, v1
	ds_store_b32 v2, v1
.LBB929_4:
	s_or_b32 exec_lo, exec_lo, s10
	v_mov_b32_e32 v2, 0
	s_waitcnt lgkmcnt(0)
	s_barrier
	buffer_gl0_inv
	s_load_b128 s[36:39], s[0:1], 0x28
	ds_load_b32 v1, v2
	s_lshl_b64 s[6:7], s[6:7], 2
	s_mul_i32 s1, s28, s27
	s_add_u32 s13, s4, s6
	s_mul_hi_u32 s10, s28, s26
	s_addc_u32 s14, s5, s7
	s_add_u32 s6, s8, s6
	s_mul_i32 s11, s29, s26
	s_addc_u32 s7, s9, s7
	s_add_i32 s1, s10, s1
	s_mul_i32 s12, s28, s26
	s_add_i32 s1, s1, s11
	s_mov_b32 s0, 0
	s_waitcnt lgkmcnt(0)
	s_barrier
	buffer_gl0_inv
	v_readfirstlane_b32 s44, v1
	v_mul_lo_u32 v1, 0xf00, v1
	s_delay_alu instid0(VALU_DEP_2) | instskip(SKIP_3) | instid1(VALU_DEP_1)
	s_add_u32 s18, s12, s44
	s_addc_u32 s19, s1, 0
	s_add_u32 s4, s30, -1
	s_addc_u32 s5, s31, -1
	v_lshlrev_b64 v[3:4], 2, v[1:2]
	s_cmp_eq_u64 s[18:19], s[4:5]
	s_mul_i32 s31, s4, 0xfffff100
	s_cselect_b32 s30, -1, 0
	s_cmp_lg_u64 s[18:19], s[4:5]
	s_delay_alu instid0(VALU_DEP_1)
	v_add_co_u32 v2, vcc_lo, s13, v3
	v_add_co_ci_u32_e32 v1, vcc_lo, s14, v4, vcc_lo
	v_add_co_u32 v3, vcc_lo, s6, v3
	v_add_co_ci_u32_e32 v4, vcc_lo, s7, v4, vcc_lo
	s_cselect_b32 s17, -1, 0
	s_and_b32 vcc_lo, exec_lo, s30
	s_cbranch_vccnz .LBB929_6
; %bb.5:
	v_lshlrev_b32_e32 v29, 2, v0
	s_delay_alu instid0(VALU_DEP_1) | instskip(SKIP_1) | instid1(VALU_DEP_2)
	v_add_co_u32 v5, vcc_lo, v2, v29
	v_add_co_ci_u32_e32 v6, vcc_lo, 0, v1, vcc_lo
	v_add_co_u32 v7, vcc_lo, 0x1000, v5
	s_delay_alu instid0(VALU_DEP_2)
	v_add_co_ci_u32_e32 v8, vcc_lo, 0, v6, vcc_lo
	s_clause 0x7
	flat_load_b32 v9, v[5:6]
	flat_load_b32 v10, v[5:6] offset:1024
	flat_load_b32 v11, v[5:6] offset:2048
	;; [unrolled: 1-line block ×3, first 2 shown]
	flat_load_b32 v13, v[7:8]
	flat_load_b32 v14, v[7:8] offset:1024
	flat_load_b32 v15, v[7:8] offset:2048
	;; [unrolled: 1-line block ×3, first 2 shown]
	v_add_co_u32 v7, vcc_lo, 0x2000, v5
	v_add_co_ci_u32_e32 v8, vcc_lo, 0, v6, vcc_lo
	v_add_co_u32 v5, vcc_lo, 0x3000, v5
	v_add_co_ci_u32_e32 v6, vcc_lo, 0, v6, vcc_lo
	s_clause 0x6
	flat_load_b32 v17, v[7:8]
	flat_load_b32 v18, v[7:8] offset:1024
	flat_load_b32 v19, v[7:8] offset:2048
	;; [unrolled: 1-line block ×3, first 2 shown]
	flat_load_b32 v20, v[5:6]
	flat_load_b32 v21, v[5:6] offset:1024
	flat_load_b32 v22, v[5:6] offset:2048
	v_add_co_u32 v6, vcc_lo, v3, v29
	v_add_co_ci_u32_e32 v7, vcc_lo, 0, v4, vcc_lo
	v_mad_u32_u24 v5, v0, 56, v29
	s_delay_alu instid0(VALU_DEP_3) | instskip(NEXT) | instid1(VALU_DEP_3)
	v_add_co_u32 v23, vcc_lo, 0x1000, v6
	v_add_co_ci_u32_e32 v24, vcc_lo, 0, v7, vcc_lo
	v_add_co_u32 v25, vcc_lo, 0x2000, v6
	v_add_co_ci_u32_e32 v26, vcc_lo, 0, v7, vcc_lo
	;; [unrolled: 2-line block ×3, first 2 shown]
	s_waitcnt vmcnt(13) lgkmcnt(13)
	ds_store_2addr_stride64_b32 v29, v9, v10 offset1:4
	s_waitcnt vmcnt(11) lgkmcnt(12)
	ds_store_2addr_stride64_b32 v29, v11, v12 offset0:8 offset1:12
	s_waitcnt vmcnt(9) lgkmcnt(11)
	ds_store_2addr_stride64_b32 v29, v13, v14 offset0:16 offset1:20
	;; [unrolled: 2-line block ×6, first 2 shown]
	s_waitcnt vmcnt(0) lgkmcnt(7)
	ds_store_b32 v29, v22 offset:14336
	s_waitcnt lgkmcnt(0)
	s_barrier
	buffer_gl0_inv
	ds_load_2addr_b32 v[21:22], v5 offset1:1
	ds_load_2addr_b32 v[19:20], v5 offset0:2 offset1:3
	ds_load_2addr_b32 v[17:18], v5 offset0:4 offset1:5
	;; [unrolled: 1-line block ×6, first 2 shown]
	ds_load_b32 v63, v5 offset:56
	s_waitcnt lgkmcnt(0)
	s_barrier
	buffer_gl0_inv
	s_clause 0xe
	flat_load_b32 v8, v[6:7]
	flat_load_b32 v30, v[6:7] offset:1024
	flat_load_b32 v31, v[6:7] offset:2048
	flat_load_b32 v6, v[6:7] offset:3072
	flat_load_b32 v7, v[23:24]
	flat_load_b32 v32, v[23:24] offset:1024
	flat_load_b32 v33, v[23:24] offset:2048
	flat_load_b32 v23, v[23:24] offset:3072
	;; [unrolled: 4-line block ×3, first 2 shown]
	flat_load_b32 v26, v[27:28]
	flat_load_b32 v36, v[27:28] offset:1024
	flat_load_b32 v27, v[27:28] offset:2048
	s_waitcnt vmcnt(13) lgkmcnt(13)
	ds_store_2addr_stride64_b32 v29, v8, v30 offset1:4
	s_waitcnt vmcnt(11) lgkmcnt(12)
	ds_store_2addr_stride64_b32 v29, v31, v6 offset0:8 offset1:12
	s_waitcnt vmcnt(9) lgkmcnt(11)
	ds_store_2addr_stride64_b32 v29, v7, v32 offset0:16 offset1:20
	s_waitcnt vmcnt(7) lgkmcnt(10)
	ds_store_2addr_stride64_b32 v29, v33, v23 offset0:24 offset1:28
	s_waitcnt vmcnt(5) lgkmcnt(9)
	ds_store_2addr_stride64_b32 v29, v24, v34 offset0:32 offset1:36
	s_waitcnt vmcnt(3) lgkmcnt(8)
	ds_store_2addr_stride64_b32 v29, v35, v25 offset0:40 offset1:44
	s_waitcnt vmcnt(1) lgkmcnt(7)
	ds_store_2addr_stride64_b32 v29, v26, v36 offset0:48 offset1:52
	s_waitcnt vmcnt(0) lgkmcnt(7)
	ds_store_b32 v29, v27 offset:14336
	s_waitcnt lgkmcnt(0)
	s_barrier
	s_and_not1_b32 vcc_lo, exec_lo, s0
	s_add_i32 s31, s31, s40
	s_cbranch_vccz .LBB929_7
	s_branch .LBB929_54
.LBB929_6:
                                        ; implicit-def: $vgpr5
                                        ; implicit-def: $vgpr21
                                        ; implicit-def: $vgpr19
                                        ; implicit-def: $vgpr17
                                        ; implicit-def: $vgpr15
                                        ; implicit-def: $vgpr13
                                        ; implicit-def: $vgpr11
                                        ; implicit-def: $vgpr9
                                        ; implicit-def: $vgpr63
	s_add_i32 s31, s31, s40
.LBB929_7:
	s_delay_alu instid0(SALU_CYCLE_1)
	v_cmp_gt_u32_e32 vcc_lo, s31, v0
                                        ; implicit-def: $vgpr5
	s_and_saveexec_b32 s1, vcc_lo
	s_cbranch_execz .LBB929_9
; %bb.8:
	v_lshlrev_b32_e32 v5, 2, v0
	s_delay_alu instid0(VALU_DEP_1) | instskip(NEXT) | instid1(VALU_DEP_1)
	v_add_co_u32 v5, s0, v2, v5
	v_add_co_ci_u32_e64 v6, s0, 0, v1, s0
	flat_load_b32 v5, v[5:6]
.LBB929_9:
	s_or_b32 exec_lo, exec_lo, s1
	v_or_b32_e32 v6, 0x100, v0
                                        ; implicit-def: $vgpr9
	s_delay_alu instid0(VALU_DEP_1) | instskip(NEXT) | instid1(VALU_DEP_1)
	v_cmp_gt_u32_e64 s0, s31, v6
	s_and_saveexec_b32 s4, s0
	s_cbranch_execz .LBB929_11
; %bb.10:
	v_lshlrev_b32_e32 v6, 2, v0
	s_delay_alu instid0(VALU_DEP_1) | instskip(NEXT) | instid1(VALU_DEP_1)
	v_add_co_u32 v6, s1, v2, v6
	v_add_co_ci_u32_e64 v7, s1, 0, v1, s1
	flat_load_b32 v9, v[6:7] offset:1024
.LBB929_11:
	s_or_b32 exec_lo, exec_lo, s4
	v_or_b32_e32 v6, 0x200, v0
                                        ; implicit-def: $vgpr10
	s_delay_alu instid0(VALU_DEP_1) | instskip(NEXT) | instid1(VALU_DEP_1)
	v_cmp_gt_u32_e64 s1, s31, v6
	s_and_saveexec_b32 s5, s1
	s_cbranch_execz .LBB929_13
; %bb.12:
	v_lshlrev_b32_e32 v6, 2, v0
	s_delay_alu instid0(VALU_DEP_1) | instskip(NEXT) | instid1(VALU_DEP_1)
	v_add_co_u32 v6, s4, v2, v6
	v_add_co_ci_u32_e64 v7, s4, 0, v1, s4
	flat_load_b32 v10, v[6:7] offset:2048
.LBB929_13:
	s_or_b32 exec_lo, exec_lo, s5
	v_or_b32_e32 v6, 0x300, v0
                                        ; implicit-def: $vgpr11
	s_delay_alu instid0(VALU_DEP_1) | instskip(NEXT) | instid1(VALU_DEP_1)
	v_cmp_gt_u32_e64 s4, s31, v6
	s_and_saveexec_b32 s6, s4
	s_cbranch_execz .LBB929_15
; %bb.14:
	v_lshlrev_b32_e32 v6, 2, v0
	s_delay_alu instid0(VALU_DEP_1) | instskip(NEXT) | instid1(VALU_DEP_1)
	v_add_co_u32 v6, s5, v2, v6
	v_add_co_ci_u32_e64 v7, s5, 0, v1, s5
	flat_load_b32 v11, v[6:7] offset:3072
.LBB929_15:
	s_or_b32 exec_lo, exec_lo, s6
	v_or_b32_e32 v6, 0x400, v0
                                        ; implicit-def: $vgpr12
	s_delay_alu instid0(VALU_DEP_1) | instskip(NEXT) | instid1(VALU_DEP_1)
	v_cmp_gt_u32_e64 s5, s31, v6
	s_and_saveexec_b32 s7, s5
	s_cbranch_execz .LBB929_17
; %bb.16:
	v_lshlrev_b32_e32 v7, 2, v6
	s_delay_alu instid0(VALU_DEP_1) | instskip(NEXT) | instid1(VALU_DEP_1)
	v_add_co_u32 v7, s6, v2, v7
	v_add_co_ci_u32_e64 v8, s6, 0, v1, s6
	flat_load_b32 v12, v[7:8]
.LBB929_17:
	s_or_b32 exec_lo, exec_lo, s7
	v_or_b32_e32 v7, 0x500, v0
                                        ; implicit-def: $vgpr13
	s_delay_alu instid0(VALU_DEP_1) | instskip(NEXT) | instid1(VALU_DEP_1)
	v_cmp_gt_u32_e64 s6, s31, v7
	s_and_saveexec_b32 s8, s6
	s_cbranch_execz .LBB929_19
; %bb.18:
	v_lshlrev_b32_e32 v8, 2, v7
	s_delay_alu instid0(VALU_DEP_1) | instskip(NEXT) | instid1(VALU_DEP_1)
	v_add_co_u32 v13, s7, v2, v8
	v_add_co_ci_u32_e64 v14, s7, 0, v1, s7
	flat_load_b32 v13, v[13:14]
.LBB929_19:
	s_or_b32 exec_lo, exec_lo, s8
	v_or_b32_e32 v8, 0x600, v0
                                        ; implicit-def: $vgpr14
	s_delay_alu instid0(VALU_DEP_1) | instskip(NEXT) | instid1(VALU_DEP_1)
	v_cmp_gt_u32_e64 s7, s31, v8
	s_and_saveexec_b32 s9, s7
	s_cbranch_execz .LBB929_21
; %bb.20:
	v_lshlrev_b32_e32 v14, 2, v8
	s_delay_alu instid0(VALU_DEP_1) | instskip(NEXT) | instid1(VALU_DEP_1)
	v_add_co_u32 v14, s8, v2, v14
	v_add_co_ci_u32_e64 v15, s8, 0, v1, s8
	flat_load_b32 v14, v[14:15]
.LBB929_21:
	s_or_b32 exec_lo, exec_lo, s9
	v_or_b32_e32 v23, 0x700, v0
                                        ; implicit-def: $vgpr15
	s_delay_alu instid0(VALU_DEP_1) | instskip(NEXT) | instid1(VALU_DEP_1)
	v_cmp_gt_u32_e64 s8, s31, v23
	s_and_saveexec_b32 s10, s8
	s_cbranch_execz .LBB929_23
; %bb.22:
	v_lshlrev_b32_e32 v15, 2, v23
	s_delay_alu instid0(VALU_DEP_1) | instskip(NEXT) | instid1(VALU_DEP_1)
	v_add_co_u32 v15, s9, v2, v15
	v_add_co_ci_u32_e64 v16, s9, 0, v1, s9
	flat_load_b32 v15, v[15:16]
.LBB929_23:
	s_or_b32 exec_lo, exec_lo, s10
	v_or_b32_e32 v24, 0x800, v0
                                        ; implicit-def: $vgpr16
	s_delay_alu instid0(VALU_DEP_1) | instskip(NEXT) | instid1(VALU_DEP_1)
	v_cmp_gt_u32_e64 s9, s31, v24
	s_and_saveexec_b32 s11, s9
	s_cbranch_execz .LBB929_25
; %bb.24:
	v_lshlrev_b32_e32 v16, 2, v24
	s_delay_alu instid0(VALU_DEP_1) | instskip(NEXT) | instid1(VALU_DEP_1)
	v_add_co_u32 v16, s10, v2, v16
	v_add_co_ci_u32_e64 v17, s10, 0, v1, s10
	flat_load_b32 v16, v[16:17]
.LBB929_25:
	s_or_b32 exec_lo, exec_lo, s11
	v_or_b32_e32 v26, 0x900, v0
                                        ; implicit-def: $vgpr17
	s_delay_alu instid0(VALU_DEP_1) | instskip(NEXT) | instid1(VALU_DEP_1)
	v_cmp_gt_u32_e64 s10, s31, v26
	s_and_saveexec_b32 s12, s10
	s_cbranch_execz .LBB929_27
; %bb.26:
	v_lshlrev_b32_e32 v17, 2, v26
	s_delay_alu instid0(VALU_DEP_1) | instskip(NEXT) | instid1(VALU_DEP_1)
	v_add_co_u32 v17, s11, v2, v17
	v_add_co_ci_u32_e64 v18, s11, 0, v1, s11
	flat_load_b32 v17, v[17:18]
.LBB929_27:
	s_or_b32 exec_lo, exec_lo, s12
	v_or_b32_e32 v27, 0xa00, v0
                                        ; implicit-def: $vgpr18
	s_delay_alu instid0(VALU_DEP_1) | instskip(NEXT) | instid1(VALU_DEP_1)
	v_cmp_gt_u32_e64 s11, s31, v27
	s_and_saveexec_b32 s13, s11
	s_cbranch_execz .LBB929_29
; %bb.28:
	v_lshlrev_b32_e32 v18, 2, v27
	s_delay_alu instid0(VALU_DEP_1) | instskip(NEXT) | instid1(VALU_DEP_1)
	v_add_co_u32 v18, s12, v2, v18
	v_add_co_ci_u32_e64 v19, s12, 0, v1, s12
	flat_load_b32 v18, v[18:19]
.LBB929_29:
	s_or_b32 exec_lo, exec_lo, s13
	v_or_b32_e32 v28, 0xb00, v0
                                        ; implicit-def: $vgpr19
	s_delay_alu instid0(VALU_DEP_1) | instskip(NEXT) | instid1(VALU_DEP_1)
	v_cmp_gt_u32_e64 s12, s31, v28
	s_and_saveexec_b32 s14, s12
	s_cbranch_execz .LBB929_31
; %bb.30:
	v_lshlrev_b32_e32 v19, 2, v28
	s_delay_alu instid0(VALU_DEP_1) | instskip(NEXT) | instid1(VALU_DEP_1)
	v_add_co_u32 v19, s13, v2, v19
	v_add_co_ci_u32_e64 v20, s13, 0, v1, s13
	flat_load_b32 v19, v[19:20]
.LBB929_31:
	s_or_b32 exec_lo, exec_lo, s14
	v_or_b32_e32 v29, 0xc00, v0
                                        ; implicit-def: $vgpr20
	s_delay_alu instid0(VALU_DEP_1) | instskip(NEXT) | instid1(VALU_DEP_1)
	v_cmp_gt_u32_e64 s13, s31, v29
	s_and_saveexec_b32 s15, s13
	s_cbranch_execz .LBB929_33
; %bb.32:
	v_lshlrev_b32_e32 v20, 2, v29
	s_delay_alu instid0(VALU_DEP_1) | instskip(NEXT) | instid1(VALU_DEP_1)
	v_add_co_u32 v20, s14, v2, v20
	v_add_co_ci_u32_e64 v21, s14, 0, v1, s14
	flat_load_b32 v20, v[20:21]
.LBB929_33:
	s_or_b32 exec_lo, exec_lo, s15
	v_or_b32_e32 v30, 0xd00, v0
                                        ; implicit-def: $vgpr21
	s_delay_alu instid0(VALU_DEP_1) | instskip(NEXT) | instid1(VALU_DEP_1)
	v_cmp_gt_u32_e64 s14, s31, v30
	s_and_saveexec_b32 s16, s14
	s_cbranch_execz .LBB929_35
; %bb.34:
	v_lshlrev_b32_e32 v21, 2, v30
	s_delay_alu instid0(VALU_DEP_1) | instskip(NEXT) | instid1(VALU_DEP_1)
	v_add_co_u32 v21, s15, v2, v21
	v_add_co_ci_u32_e64 v22, s15, 0, v1, s15
	flat_load_b32 v21, v[21:22]
.LBB929_35:
	s_or_b32 exec_lo, exec_lo, s16
	v_or_b32_e32 v31, 0xe00, v0
                                        ; implicit-def: $vgpr22
	s_delay_alu instid0(VALU_DEP_1) | instskip(NEXT) | instid1(VALU_DEP_1)
	v_cmp_gt_u32_e64 s15, s31, v31
	s_and_saveexec_b32 s20, s15
	s_cbranch_execz .LBB929_37
; %bb.36:
	v_lshlrev_b32_e32 v22, 2, v31
	s_delay_alu instid0(VALU_DEP_1) | instskip(NEXT) | instid1(VALU_DEP_1)
	v_add_co_u32 v32, s16, v2, v22
	v_add_co_ci_u32_e64 v33, s16, 0, v1, s16
	flat_load_b32 v22, v[32:33]
.LBB929_37:
	s_or_b32 exec_lo, exec_lo, s20
	v_lshlrev_b32_e32 v25, 2, v0
                                        ; implicit-def: $vgpr32
	s_waitcnt vmcnt(0) lgkmcnt(0)
	ds_store_2addr_stride64_b32 v25, v5, v9 offset1:4
	ds_store_2addr_stride64_b32 v25, v10, v11 offset0:8 offset1:12
	ds_store_2addr_stride64_b32 v25, v12, v13 offset0:16 offset1:20
	;; [unrolled: 1-line block ×6, first 2 shown]
	v_mad_u32_u24 v5, v0, 56, v25
	ds_store_b32 v25, v22 offset:14336
	s_waitcnt lgkmcnt(0)
	s_barrier
	buffer_gl0_inv
	ds_load_2addr_b32 v[21:22], v5 offset1:1
	ds_load_2addr_b32 v[19:20], v5 offset0:2 offset1:3
	ds_load_2addr_b32 v[17:18], v5 offset0:4 offset1:5
	;; [unrolled: 1-line block ×6, first 2 shown]
	ds_load_b32 v63, v5 offset:56
	s_waitcnt lgkmcnt(0)
	s_barrier
	buffer_gl0_inv
	s_and_saveexec_b32 s16, vcc_lo
	s_cbranch_execnz .LBB929_61
; %bb.38:
	s_or_b32 exec_lo, exec_lo, s16
                                        ; implicit-def: $vgpr33
	s_and_saveexec_b32 s16, s0
	s_cbranch_execnz .LBB929_62
.LBB929_39:
	s_or_b32 exec_lo, exec_lo, s16
                                        ; implicit-def: $vgpr34
	s_and_saveexec_b32 s0, s1
	s_cbranch_execnz .LBB929_63
.LBB929_40:
	s_or_b32 exec_lo, exec_lo, s0
                                        ; implicit-def: $vgpr35
	s_and_saveexec_b32 s0, s4
	s_cbranch_execnz .LBB929_64
.LBB929_41:
	s_or_b32 exec_lo, exec_lo, s0
                                        ; implicit-def: $vgpr36
	s_and_saveexec_b32 s0, s5
	s_cbranch_execnz .LBB929_65
.LBB929_42:
	s_or_b32 exec_lo, exec_lo, s0
                                        ; implicit-def: $vgpr6
	s_and_saveexec_b32 s0, s6
	s_cbranch_execnz .LBB929_66
.LBB929_43:
	s_or_b32 exec_lo, exec_lo, s0
                                        ; implicit-def: $vgpr7
	s_and_saveexec_b32 s0, s7
	s_cbranch_execnz .LBB929_67
.LBB929_44:
	s_or_b32 exec_lo, exec_lo, s0
                                        ; implicit-def: $vgpr8
	s_and_saveexec_b32 s0, s8
	s_cbranch_execnz .LBB929_68
.LBB929_45:
	s_or_b32 exec_lo, exec_lo, s0
                                        ; implicit-def: $vgpr23
	s_and_saveexec_b32 s0, s9
	s_cbranch_execnz .LBB929_69
.LBB929_46:
	s_or_b32 exec_lo, exec_lo, s0
                                        ; implicit-def: $vgpr24
	s_and_saveexec_b32 s0, s10
	s_cbranch_execnz .LBB929_70
.LBB929_47:
	s_or_b32 exec_lo, exec_lo, s0
                                        ; implicit-def: $vgpr26
	s_and_saveexec_b32 s0, s11
	s_cbranch_execnz .LBB929_71
.LBB929_48:
	s_or_b32 exec_lo, exec_lo, s0
                                        ; implicit-def: $vgpr27
	s_and_saveexec_b32 s0, s12
	s_cbranch_execnz .LBB929_72
.LBB929_49:
	s_or_b32 exec_lo, exec_lo, s0
                                        ; implicit-def: $vgpr28
	s_and_saveexec_b32 s0, s13
	s_cbranch_execnz .LBB929_73
.LBB929_50:
	s_or_b32 exec_lo, exec_lo, s0
                                        ; implicit-def: $vgpr29
	s_and_saveexec_b32 s0, s14
	s_cbranch_execnz .LBB929_74
.LBB929_51:
	s_or_b32 exec_lo, exec_lo, s0
                                        ; implicit-def: $vgpr30
	s_and_saveexec_b32 s0, s15
	s_cbranch_execz .LBB929_53
.LBB929_52:
	v_lshlrev_b32_e32 v30, 2, v31
	s_delay_alu instid0(VALU_DEP_1)
	v_add_co_u32 v3, vcc_lo, v3, v30
	v_add_co_ci_u32_e32 v4, vcc_lo, 0, v4, vcc_lo
	flat_load_b32 v30, v[3:4]
.LBB929_53:
	s_or_b32 exec_lo, exec_lo, s0
	s_waitcnt vmcnt(0) lgkmcnt(0)
	ds_store_2addr_stride64_b32 v25, v32, v33 offset1:4
	ds_store_2addr_stride64_b32 v25, v34, v35 offset0:8 offset1:12
	ds_store_2addr_stride64_b32 v25, v36, v6 offset0:16 offset1:20
	;; [unrolled: 1-line block ×6, first 2 shown]
	ds_store_b32 v25, v30 offset:14336
	s_waitcnt lgkmcnt(0)
	s_barrier
.LBB929_54:
	buffer_gl0_inv
	ds_load_2addr_b32 v[35:36], v5 offset1:1
	ds_load_2addr_b32 v[33:34], v5 offset0:2 offset1:3
	ds_load_2addr_b32 v[31:32], v5 offset0:4 offset1:5
	;; [unrolled: 1-line block ×6, first 2 shown]
	ds_load_b32 v78, v5 offset:56
	s_cmp_eq_u64 s[18:19], 0
	s_waitcnt lgkmcnt(0)
	s_cselect_b32 s33, -1, 0
	s_cmp_lg_u64 s[18:19], 0
	s_barrier
	s_cselect_b32 s15, -1, 0
	s_and_b32 vcc_lo, exec_lo, s17
	buffer_gl0_inv
	s_cbranch_vccz .LBB929_60
; %bb.55:
	s_and_b32 vcc_lo, exec_lo, s15
	s_cbranch_vccz .LBB929_75
; %bb.56:
	v_add_co_u32 v3, vcc_lo, -4, v2
	v_add_co_ci_u32_e32 v4, vcc_lo, -1, v1, vcc_lo
	v_cmp_ne_u32_e32 vcc_lo, v10, v63
	v_cmp_ne_u32_e64 s0, v9, v10
	v_cmp_ne_u32_e64 s1, v12, v9
	flat_load_b32 v3, v[3:4]
	v_lshlrev_b32_e32 v4, 2, v0
	v_cmp_ne_u32_e64 s4, v11, v12
	v_cmp_ne_u32_e64 s5, v14, v11
	;; [unrolled: 1-line block ×11, first 2 shown]
	s_mov_b32 s45, -1
	ds_store_b32 v4, v63
	s_waitcnt vmcnt(0) lgkmcnt(0)
	s_barrier
	buffer_gl0_inv
	s_and_saveexec_b32 s16, s3
	s_cbranch_execz .LBB929_58
; %bb.57:
	v_add_nc_u32_e32 v3, -4, v4
	ds_load_b32 v3, v3
.LBB929_58:
	s_or_b32 exec_lo, exec_lo, s16
	v_cndmask_b32_e64 v71, 0, 1, vcc_lo
	v_cndmask_b32_e64 v64, 0, 1, s0
	v_cndmask_b32_e64 v65, 0, 1, s1
	v_cndmask_b32_e64 v66, 0, 1, s4
	v_cndmask_b32_e64 v67, 0, 1, s5
	v_cndmask_b32_e64 v68, 0, 1, s6
	v_cndmask_b32_e64 v69, 0, 1, s7
	v_cndmask_b32_e64 v70, 0, 1, s8
	v_cndmask_b32_e64 v72, 0, 1, s9
	v_cndmask_b32_e64 v73, 0, 1, s10
	v_cndmask_b32_e64 v74, 0, 1, s11
	v_cndmask_b32_e64 v75, 0, 1, s12
	v_cndmask_b32_e64 v76, 0, 1, s13
	v_cndmask_b32_e64 v77, 0, 1, s14
	s_waitcnt lgkmcnt(0)
	v_cmp_ne_u32_e64 s0, v3, v21
.LBB929_59:
                                        ; implicit-def: $sgpr1
	s_branch .LBB929_87
.LBB929_60:
	s_mov_b32 s45, 0
                                        ; implicit-def: $sgpr0
                                        ; implicit-def: $vgpr71
                                        ; implicit-def: $vgpr64
                                        ; implicit-def: $vgpr65
                                        ; implicit-def: $vgpr66
                                        ; implicit-def: $vgpr67
                                        ; implicit-def: $vgpr68
                                        ; implicit-def: $vgpr69
                                        ; implicit-def: $vgpr70
                                        ; implicit-def: $vgpr72
                                        ; implicit-def: $vgpr73
                                        ; implicit-def: $vgpr74
                                        ; implicit-def: $vgpr75
                                        ; implicit-def: $vgpr76
                                        ; implicit-def: $vgpr77
                                        ; implicit-def: $sgpr1
	s_cbranch_execnz .LBB929_79
	s_branch .LBB929_87
.LBB929_61:
	v_add_co_u32 v32, vcc_lo, v3, v25
	v_add_co_ci_u32_e32 v33, vcc_lo, 0, v4, vcc_lo
	flat_load_b32 v32, v[32:33]
	s_or_b32 exec_lo, exec_lo, s16
                                        ; implicit-def: $vgpr33
	s_and_saveexec_b32 s16, s0
	s_cbranch_execz .LBB929_39
.LBB929_62:
	v_add_co_u32 v33, vcc_lo, v3, v25
	v_add_co_ci_u32_e32 v34, vcc_lo, 0, v4, vcc_lo
	flat_load_b32 v33, v[33:34] offset:1024
	s_or_b32 exec_lo, exec_lo, s16
                                        ; implicit-def: $vgpr34
	s_and_saveexec_b32 s0, s1
	s_cbranch_execz .LBB929_40
.LBB929_63:
	v_add_co_u32 v34, vcc_lo, v3, v25
	v_add_co_ci_u32_e32 v35, vcc_lo, 0, v4, vcc_lo
	flat_load_b32 v34, v[34:35] offset:2048
	s_or_b32 exec_lo, exec_lo, s0
                                        ; implicit-def: $vgpr35
	s_and_saveexec_b32 s0, s4
	s_cbranch_execz .LBB929_41
.LBB929_64:
	v_add_co_u32 v35, vcc_lo, v3, v25
	v_add_co_ci_u32_e32 v36, vcc_lo, 0, v4, vcc_lo
	flat_load_b32 v35, v[35:36] offset:3072
	s_or_b32 exec_lo, exec_lo, s0
                                        ; implicit-def: $vgpr36
	s_and_saveexec_b32 s0, s5
	s_cbranch_execz .LBB929_42
.LBB929_65:
	v_lshlrev_b32_e32 v6, 2, v6
	s_delay_alu instid0(VALU_DEP_1)
	v_add_co_u32 v36, vcc_lo, v3, v6
	v_add_co_ci_u32_e32 v37, vcc_lo, 0, v4, vcc_lo
	flat_load_b32 v36, v[36:37]
	s_or_b32 exec_lo, exec_lo, s0
                                        ; implicit-def: $vgpr6
	s_and_saveexec_b32 s0, s6
	s_cbranch_execz .LBB929_43
.LBB929_66:
	v_lshlrev_b32_e32 v6, 2, v7
	s_delay_alu instid0(VALU_DEP_1)
	v_add_co_u32 v6, vcc_lo, v3, v6
	v_add_co_ci_u32_e32 v7, vcc_lo, 0, v4, vcc_lo
	flat_load_b32 v6, v[6:7]
	s_or_b32 exec_lo, exec_lo, s0
                                        ; implicit-def: $vgpr7
	s_and_saveexec_b32 s0, s7
	s_cbranch_execz .LBB929_44
.LBB929_67:
	v_lshlrev_b32_e32 v7, 2, v8
	s_delay_alu instid0(VALU_DEP_1)
	v_add_co_u32 v7, vcc_lo, v3, v7
	v_add_co_ci_u32_e32 v8, vcc_lo, 0, v4, vcc_lo
	flat_load_b32 v7, v[7:8]
	s_or_b32 exec_lo, exec_lo, s0
                                        ; implicit-def: $vgpr8
	s_and_saveexec_b32 s0, s8
	s_cbranch_execz .LBB929_45
.LBB929_68:
	v_lshlrev_b32_e32 v8, 2, v23
	s_delay_alu instid0(VALU_DEP_1)
	v_add_co_u32 v37, vcc_lo, v3, v8
	v_add_co_ci_u32_e32 v38, vcc_lo, 0, v4, vcc_lo
	flat_load_b32 v8, v[37:38]
	s_or_b32 exec_lo, exec_lo, s0
                                        ; implicit-def: $vgpr23
	s_and_saveexec_b32 s0, s9
	s_cbranch_execz .LBB929_46
.LBB929_69:
	v_lshlrev_b32_e32 v23, 2, v24
	s_delay_alu instid0(VALU_DEP_1)
	v_add_co_u32 v23, vcc_lo, v3, v23
	v_add_co_ci_u32_e32 v24, vcc_lo, 0, v4, vcc_lo
	flat_load_b32 v23, v[23:24]
	s_or_b32 exec_lo, exec_lo, s0
                                        ; implicit-def: $vgpr24
	s_and_saveexec_b32 s0, s10
	s_cbranch_execz .LBB929_47
.LBB929_70:
	v_lshlrev_b32_e32 v24, 2, v26
	s_delay_alu instid0(VALU_DEP_1)
	v_add_co_u32 v37, vcc_lo, v3, v24
	v_add_co_ci_u32_e32 v38, vcc_lo, 0, v4, vcc_lo
	flat_load_b32 v24, v[37:38]
	s_or_b32 exec_lo, exec_lo, s0
                                        ; implicit-def: $vgpr26
	s_and_saveexec_b32 s0, s11
	s_cbranch_execz .LBB929_48
.LBB929_71:
	v_lshlrev_b32_e32 v26, 2, v27
	s_delay_alu instid0(VALU_DEP_1)
	v_add_co_u32 v26, vcc_lo, v3, v26
	v_add_co_ci_u32_e32 v27, vcc_lo, 0, v4, vcc_lo
	flat_load_b32 v26, v[26:27]
	s_or_b32 exec_lo, exec_lo, s0
                                        ; implicit-def: $vgpr27
	s_and_saveexec_b32 s0, s12
	s_cbranch_execz .LBB929_49
.LBB929_72:
	v_lshlrev_b32_e32 v27, 2, v28
	s_delay_alu instid0(VALU_DEP_1)
	v_add_co_u32 v27, vcc_lo, v3, v27
	v_add_co_ci_u32_e32 v28, vcc_lo, 0, v4, vcc_lo
	flat_load_b32 v27, v[27:28]
	s_or_b32 exec_lo, exec_lo, s0
                                        ; implicit-def: $vgpr28
	s_and_saveexec_b32 s0, s13
	s_cbranch_execz .LBB929_50
.LBB929_73:
	v_lshlrev_b32_e32 v28, 2, v29
	s_delay_alu instid0(VALU_DEP_1)
	v_add_co_u32 v28, vcc_lo, v3, v28
	v_add_co_ci_u32_e32 v29, vcc_lo, 0, v4, vcc_lo
	flat_load_b32 v28, v[28:29]
	s_or_b32 exec_lo, exec_lo, s0
                                        ; implicit-def: $vgpr29
	s_and_saveexec_b32 s0, s14
	s_cbranch_execz .LBB929_51
.LBB929_74:
	v_lshlrev_b32_e32 v29, 2, v30
	s_delay_alu instid0(VALU_DEP_1)
	v_add_co_u32 v29, vcc_lo, v3, v29
	v_add_co_ci_u32_e32 v30, vcc_lo, 0, v4, vcc_lo
	flat_load_b32 v29, v[29:30]
	s_or_b32 exec_lo, exec_lo, s0
                                        ; implicit-def: $vgpr30
	s_and_saveexec_b32 s0, s15
	s_cbranch_execnz .LBB929_52
	s_branch .LBB929_53
.LBB929_75:
	s_mov_b32 s45, 0
                                        ; implicit-def: $sgpr0
                                        ; implicit-def: $vgpr71
                                        ; implicit-def: $vgpr64
                                        ; implicit-def: $vgpr65
                                        ; implicit-def: $vgpr66
                                        ; implicit-def: $vgpr67
                                        ; implicit-def: $vgpr68
                                        ; implicit-def: $vgpr69
                                        ; implicit-def: $vgpr70
                                        ; implicit-def: $vgpr72
                                        ; implicit-def: $vgpr73
                                        ; implicit-def: $vgpr74
                                        ; implicit-def: $vgpr75
                                        ; implicit-def: $vgpr76
                                        ; implicit-def: $vgpr77
	s_cbranch_execz .LBB929_59
; %bb.76:
	v_cmp_ne_u32_e32 vcc_lo, v10, v63
	v_lshlrev_b32_e32 v3, 2, v0
                                        ; implicit-def: $sgpr0
	v_cndmask_b32_e64 v71, 0, 1, vcc_lo
	v_cmp_ne_u32_e32 vcc_lo, v9, v10
	ds_store_b32 v3, v63
	s_waitcnt lgkmcnt(0)
	s_barrier
	buffer_gl0_inv
	v_cndmask_b32_e64 v64, 0, 1, vcc_lo
	v_cmp_ne_u32_e32 vcc_lo, v12, v9
	v_cndmask_b32_e64 v65, 0, 1, vcc_lo
	v_cmp_ne_u32_e32 vcc_lo, v11, v12
	v_cndmask_b32_e64 v66, 0, 1, vcc_lo
	v_cmp_ne_u32_e32 vcc_lo, v14, v11
	v_cndmask_b32_e64 v67, 0, 1, vcc_lo
	v_cmp_ne_u32_e32 vcc_lo, v13, v14
	v_cndmask_b32_e64 v68, 0, 1, vcc_lo
	v_cmp_ne_u32_e32 vcc_lo, v16, v13
	v_cndmask_b32_e64 v69, 0, 1, vcc_lo
	v_cmp_ne_u32_e32 vcc_lo, v15, v16
	v_cndmask_b32_e64 v70, 0, 1, vcc_lo
	v_cmp_ne_u32_e32 vcc_lo, v18, v15
	v_cndmask_b32_e64 v72, 0, 1, vcc_lo
	v_cmp_ne_u32_e32 vcc_lo, v17, v18
	v_cndmask_b32_e64 v73, 0, 1, vcc_lo
	v_cmp_ne_u32_e32 vcc_lo, v20, v17
	v_cndmask_b32_e64 v74, 0, 1, vcc_lo
	v_cmp_ne_u32_e32 vcc_lo, v19, v20
	v_cndmask_b32_e64 v75, 0, 1, vcc_lo
	v_cmp_ne_u32_e32 vcc_lo, v22, v19
	v_cndmask_b32_e64 v76, 0, 1, vcc_lo
	v_cmp_ne_u32_e32 vcc_lo, v21, v22
	v_cndmask_b32_e64 v77, 0, 1, vcc_lo
	s_and_saveexec_b32 s1, s3
	s_delay_alu instid0(SALU_CYCLE_1)
	s_xor_b32 s1, exec_lo, s1
	s_cbranch_execz .LBB929_78
; %bb.77:
	v_add_nc_u32_e32 v3, -4, v3
	s_or_b32 s45, s45, exec_lo
	ds_load_b32 v3, v3
	s_waitcnt lgkmcnt(0)
	v_cmp_ne_u32_e32 vcc_lo, v3, v21
	s_and_b32 s0, vcc_lo, exec_lo
.LBB929_78:
	s_or_b32 exec_lo, exec_lo, s1
	s_mov_b32 s1, 1
	s_branch .LBB929_87
.LBB929_79:
	s_mul_hi_u32 s0, s18, 0xfffff100
	s_mul_i32 s1, s19, 0xfffff100
	s_sub_i32 s0, s0, s18
	s_mul_i32 s4, s18, 0xfffff100
	s_add_i32 s0, s0, s1
	s_add_u32 s28, s4, s40
	s_addc_u32 s29, s0, s41
	s_and_b32 vcc_lo, exec_lo, s15
	s_cbranch_vccz .LBB929_84
; %bb.80:
	v_add_co_u32 v2, vcc_lo, -4, v2
	v_add_co_ci_u32_e32 v3, vcc_lo, -1, v1, vcc_lo
	v_mad_u32_u24 v1, v0, 15, 14
	v_cmp_ne_u32_e64 s8, v10, v63
	v_cmp_ne_u32_e64 s10, v12, v9
	flat_load_b32 v5, v[2:3]
	v_mov_b32_e32 v2, 0
	v_cmp_ne_u32_e64 s12, v14, v11
	v_cmp_ne_u32_e64 s11, v11, v12
	v_lshlrev_b32_e32 v4, 2, v0
	v_mul_u32_u24_e32 v3, 15, v0
	v_cmp_gt_u64_e32 vcc_lo, s[28:29], v[1:2]
	v_mad_u32_u24 v1, v0, 15, 13
	s_mov_b32 s45, -1
	s_mov_b32 s14, 0
	ds_store_b32 v4, v63
	s_waitcnt vmcnt(0) lgkmcnt(0)
	v_cmp_gt_u64_e64 s0, s[28:29], v[1:2]
	v_mad_u32_u24 v1, v0, 15, 12
	s_and_b32 s15, vcc_lo, s8
	v_cmp_ne_u32_e64 s8, v9, v10
	s_barrier
	buffer_gl0_inv
	v_cmp_gt_u64_e64 s1, s[28:29], v[1:2]
	v_mad_u32_u24 v1, v0, 15, 11
	s_and_b32 s16, s0, s8
	v_cmp_ne_u32_e64 s8, v18, v15
	s_delay_alu instid0(VALU_DEP_2) | instskip(SKIP_3) | instid1(VALU_DEP_2)
	v_cmp_gt_u64_e64 s4, s[28:29], v[1:2]
	v_mad_u32_u24 v1, v0, 15, 10
	s_and_b32 s17, s1, s10
	v_cmp_ne_u32_e64 s1, v13, v14
	v_cmp_gt_u64_e64 s5, s[28:29], v[1:2]
	v_mad_u32_u24 v1, v0, 15, 9
	s_and_b32 s11, s4, s11
	v_cmp_ne_u32_e64 s4, v16, v13
	s_delay_alu instid0(VALU_DEP_2) | instskip(SKIP_3) | instid1(VALU_DEP_2)
	v_cmp_gt_u64_e64 s6, s[28:29], v[1:2]
	v_mad_u32_u24 v1, v0, 15, 8
	s_and_b32 s12, s5, s12
	v_cmp_ne_u32_e64 s5, v15, v16
	v_cmp_gt_u64_e64 s7, s[28:29], v[1:2]
	v_mad_u32_u24 v1, v0, 15, 7
	s_and_b32 s18, s6, s1
	v_cmp_ne_u32_e64 s1, v17, v18
	v_cmp_ne_u32_e64 s6, v22, v19
	s_delay_alu instid0(VALU_DEP_3) | instskip(SKIP_3) | instid1(VALU_DEP_2)
	v_cmp_gt_u64_e64 s9, s[28:29], v[1:2]
	v_mad_u32_u24 v1, v0, 15, 6
	s_and_b32 s19, s7, s4
	v_cmp_ne_u32_e64 s4, v20, v17
	v_cmp_gt_u64_e32 vcc_lo, s[28:29], v[1:2]
	v_mad_u32_u24 v1, v0, 15, 5
	s_and_b32 s20, s9, s5
	v_cmp_ne_u32_e64 s5, v19, v20
	s_delay_alu instid0(VALU_DEP_2) | instskip(SKIP_3) | instid1(VALU_DEP_2)
	v_cmp_gt_u64_e64 s13, s[28:29], v[1:2]
	v_mad_u32_u24 v1, v0, 15, 4
	s_and_b32 s9, vcc_lo, s8
	v_cmp_ne_u32_e64 s8, v21, v22
	v_cmp_gt_u64_e64 s0, s[28:29], v[1:2]
	v_mad_u32_u24 v1, v0, 15, 3
	s_and_b32 s13, s13, s1
	s_delay_alu instid0(VALU_DEP_1) | instskip(SKIP_1) | instid1(VALU_DEP_4)
	v_cmp_gt_u64_e64 s10, s[28:29], v[1:2]
	v_mad_u32_u24 v1, v0, 15, 2
	s_and_b32 s0, s0, s4
	s_delay_alu instid0(VALU_DEP_1) | instskip(SKIP_1) | instid1(VALU_DEP_4)
	v_cmp_gt_u64_e32 vcc_lo, s[28:29], v[1:2]
	v_mad_u32_u24 v1, v0, 15, 1
	s_and_b32 s5, s10, s5
	s_delay_alu instid0(VALU_DEP_1) | instskip(SKIP_1) | instid1(VALU_DEP_1)
	v_cmp_gt_u64_e64 s7, s[28:29], v[1:2]
	s_and_b32 s1, vcc_lo, s6
	s_and_b32 s4, s7, s8
	s_and_saveexec_b32 s6, s3
	s_cbranch_execz .LBB929_82
; %bb.81:
	v_add_nc_u32_e32 v1, -4, v4
	ds_load_b32 v5, v1
.LBB929_82:
	s_or_b32 exec_lo, exec_lo, s6
	v_mov_b32_e32 v4, v2
	v_cndmask_b32_e64 v74, 0, 1, s0
	s_waitcnt lgkmcnt(0)
	v_cmp_ne_u32_e64 s0, v5, v21
	v_cndmask_b32_e64 v71, 0, 1, s15
	v_cndmask_b32_e64 v64, 0, 1, s16
	v_cmp_gt_u64_e32 vcc_lo, s[28:29], v[3:4]
	v_cndmask_b32_e64 v65, 0, 1, s17
	v_cndmask_b32_e64 v66, 0, 1, s11
	;; [unrolled: 1-line block ×11, first 2 shown]
	s_and_b32 s0, vcc_lo, s0
	s_and_b32 vcc_lo, exec_lo, s14
	s_cbranch_vccnz .LBB929_85
.LBB929_83:
                                        ; implicit-def: $sgpr1
	v_mov_b32_e32 v79, s1
	s_and_saveexec_b32 s1, s45
	s_cbranch_execnz .LBB929_88
	s_branch .LBB929_89
.LBB929_84:
                                        ; implicit-def: $sgpr0
                                        ; implicit-def: $vgpr71
                                        ; implicit-def: $vgpr64
                                        ; implicit-def: $vgpr65
                                        ; implicit-def: $vgpr66
                                        ; implicit-def: $vgpr67
                                        ; implicit-def: $vgpr68
                                        ; implicit-def: $vgpr69
                                        ; implicit-def: $vgpr70
                                        ; implicit-def: $vgpr72
                                        ; implicit-def: $vgpr73
                                        ; implicit-def: $vgpr74
                                        ; implicit-def: $vgpr75
                                        ; implicit-def: $vgpr76
                                        ; implicit-def: $vgpr77
	s_cbranch_execz .LBB929_83
.LBB929_85:
	v_mad_u32_u24 v1, v0, 15, 14
	v_dual_mov_b32 v2, 0 :: v_dual_lshlrev_b32 v3, 2, v0
	v_cmp_ne_u32_e64 s7, v9, v10
	v_cmp_ne_u32_e64 s6, v10, v63
	;; [unrolled: 1-line block ×3, first 2 shown]
	s_delay_alu instid0(VALU_DEP_4)
	v_cmp_gt_u64_e32 vcc_lo, s[28:29], v[1:2]
	v_mad_u32_u24 v1, v0, 15, 13
	v_cmp_ne_u32_e64 s10, v11, v12
	v_cmp_ne_u32_e64 s11, v14, v11
	;; [unrolled: 1-line block ×4, first 2 shown]
	v_cmp_gt_u64_e64 s0, s[28:29], v[1:2]
	v_mad_u32_u24 v1, v0, 15, 12
	s_and_b32 s6, vcc_lo, s6
	v_cmp_ne_u32_e64 s15, v15, v16
	v_cmp_ne_u32_e64 s16, v18, v15
	;; [unrolled: 1-line block ×3, first 2 shown]
	v_cmp_gt_u64_e64 s1, s[28:29], v[1:2]
	v_mad_u32_u24 v1, v0, 15, 11
	s_and_b32 s0, s0, s7
	v_cmp_ne_u32_e64 s18, v20, v17
	v_cndmask_b32_e64 v64, 0, 1, s0
	v_cmp_ne_u32_e64 s20, v19, v20
	v_cmp_gt_u64_e64 s4, s[28:29], v[1:2]
	v_mad_u32_u24 v1, v0, 15, 10
	s_and_b32 s0, s1, s8
	v_cmp_ne_u32_e64 s21, v22, v19
	v_cndmask_b32_e64 v65, 0, 1, s0
	v_cmp_ne_u32_e64 s22, v21, v22
	v_cmp_gt_u64_e64 s5, s[28:29], v[1:2]
	v_mad_u32_u24 v1, v0, 15, 9
	s_and_b32 s0, s4, s10
	v_cndmask_b32_e64 v71, 0, 1, s6
	v_cndmask_b32_e64 v66, 0, 1, s0
	ds_store_b32 v3, v63
	v_cmp_gt_u64_e64 s9, s[28:29], v[1:2]
	v_mad_u32_u24 v1, v0, 15, 8
	s_and_b32 s1, s5, s11
	s_waitcnt lgkmcnt(0)
	v_cndmask_b32_e64 v67, 0, 1, s1
	s_barrier
	v_cmp_gt_u64_e64 s14, s[28:29], v[1:2]
	v_mad_u32_u24 v1, v0, 15, 7
	s_and_b32 s1, s9, s12
	buffer_gl0_inv
	v_cndmask_b32_e64 v68, 0, 1, s1
	v_cmp_gt_u64_e64 s19, s[28:29], v[1:2]
	v_mad_u32_u24 v1, v0, 15, 6
	s_and_b32 s4, s14, s13
	s_delay_alu instid0(SALU_CYCLE_1) | instskip(NEXT) | instid1(VALU_DEP_2)
	v_cndmask_b32_e64 v69, 0, 1, s4
	v_cmp_gt_u64_e64 s23, s[28:29], v[1:2]
	v_mad_u32_u24 v1, v0, 15, 5
	s_and_b32 s4, s19, s15
	s_delay_alu instid0(SALU_CYCLE_1) | instskip(NEXT) | instid1(VALU_DEP_2)
	v_cndmask_b32_e64 v70, 0, 1, s4
	v_cmp_gt_u64_e32 vcc_lo, s[28:29], v[1:2]
	v_mad_u32_u24 v1, v0, 15, 4
	s_and_b32 s5, s23, s16
	s_delay_alu instid0(SALU_CYCLE_1) | instskip(NEXT) | instid1(VALU_DEP_2)
	v_cndmask_b32_e64 v72, 0, 1, s5
	v_cmp_gt_u64_e64 s0, s[28:29], v[1:2]
	v_mad_u32_u24 v1, v0, 15, 3
	s_and_b32 s5, vcc_lo, s17
	s_delay_alu instid0(SALU_CYCLE_1) | instskip(NEXT) | instid1(VALU_DEP_2)
	v_cndmask_b32_e64 v73, 0, 1, s5
	v_cmp_gt_u64_e64 s1, s[28:29], v[1:2]
	v_mad_u32_u24 v1, v0, 15, 2
	s_and_b32 s0, s0, s18
	s_delay_alu instid0(SALU_CYCLE_1) | instskip(NEXT) | instid1(VALU_DEP_2)
	v_cndmask_b32_e64 v74, 0, 1, s0
	v_cmp_gt_u64_e64 s4, s[28:29], v[1:2]
	v_mad_u32_u24 v1, v0, 15, 1
	s_and_b32 s0, s1, s20
	s_mov_b32 s1, 1
	v_cndmask_b32_e64 v75, 0, 1, s0
	s_delay_alu instid0(VALU_DEP_2) | instskip(SKIP_1) | instid1(SALU_CYCLE_1)
	v_cmp_gt_u64_e32 vcc_lo, s[28:29], v[1:2]
	s_and_b32 s0, s4, s21
	v_cndmask_b32_e64 v76, 0, 1, s0
	s_and_b32 s0, vcc_lo, s22
	s_delay_alu instid0(SALU_CYCLE_1)
	v_cndmask_b32_e64 v77, 0, 1, s0
                                        ; implicit-def: $sgpr0
	s_and_saveexec_b32 s4, s3
	s_cbranch_execz .LBB929_162
; %bb.86:
	v_add_nc_u32_e32 v1, -4, v3
	s_or_b32 s45, s45, exec_lo
	ds_load_b32 v3, v1
	v_mul_u32_u24_e32 v1, 15, v0
	s_delay_alu instid0(VALU_DEP_1) | instskip(SKIP_2) | instid1(VALU_DEP_1)
	v_cmp_gt_u64_e32 vcc_lo, s[28:29], v[1:2]
	s_waitcnt lgkmcnt(0)
	v_cmp_ne_u32_e64 s0, v3, v21
	s_and_b32 s0, vcc_lo, s0
	s_delay_alu instid0(SALU_CYCLE_1)
	s_and_b32 s0, s0, exec_lo
	s_or_b32 exec_lo, exec_lo, s4
.LBB929_87:
	v_mov_b32_e32 v79, s1
	s_and_saveexec_b32 s1, s45
.LBB929_88:
	s_delay_alu instid0(VALU_DEP_2)
	v_cndmask_b32_e64 v79, 0, 1, s0
.LBB929_89:
	s_or_b32 exec_lo, exec_lo, s1
	s_delay_alu instid0(VALU_DEP_1)
	v_add3_u32 v1, v77, v79, v76
	v_cmp_eq_u32_e64 s13, 0, v77
	v_cmp_eq_u32_e64 s12, 0, v76
	;; [unrolled: 1-line block ×4, first 2 shown]
	v_add3_u32 v84, v1, v75, v74
	v_cmp_eq_u32_e64 s9, 0, v73
	v_cmp_eq_u32_e64 s8, 0, v72
	;; [unrolled: 1-line block ×9, first 2 shown]
	v_cmp_eq_u32_e32 vcc_lo, 0, v71
	v_mbcnt_lo_u32_b32 v81, -1, 0
	v_lshrrev_b32_e32 v82, 5, v0
	v_or_b32_e32 v83, 31, v0
	s_cmp_eq_u64 s[26:27], 0
	s_cselect_b32 s16, -1, 0
	s_cmp_lg_u32 s44, 0
	s_cbranch_scc0 .LBB929_120
; %bb.90:
	v_cndmask_b32_e64 v1, 0, v35, s13
	v_add3_u32 v2, v84, v73, v72
	s_delay_alu instid0(VALU_DEP_2) | instskip(NEXT) | instid1(VALU_DEP_2)
	v_add_nc_u32_e32 v1, v1, v36
	v_add3_u32 v2, v2, v70, v69
	s_delay_alu instid0(VALU_DEP_2) | instskip(NEXT) | instid1(VALU_DEP_2)
	v_cndmask_b32_e64 v1, 0, v1, s12
	v_add3_u32 v2, v2, v68, v67
	s_delay_alu instid0(VALU_DEP_2) | instskip(NEXT) | instid1(VALU_DEP_2)
	v_add_nc_u32_e32 v1, v1, v33
	v_add3_u32 v2, v2, v66, v65
	s_delay_alu instid0(VALU_DEP_2) | instskip(NEXT) | instid1(VALU_DEP_2)
	v_cndmask_b32_e64 v1, 0, v1, s11
	v_add3_u32 v2, v2, v64, v71
	s_delay_alu instid0(VALU_DEP_2) | instskip(NEXT) | instid1(VALU_DEP_2)
	v_add_nc_u32_e32 v1, v1, v34
	v_mov_b32_dpp v5, v2 row_shr:1 row_mask:0xf bank_mask:0xf
	s_delay_alu instid0(VALU_DEP_2) | instskip(NEXT) | instid1(VALU_DEP_1)
	v_cndmask_b32_e64 v1, 0, v1, s10
	v_add_nc_u32_e32 v1, v1, v31
	s_delay_alu instid0(VALU_DEP_1) | instskip(NEXT) | instid1(VALU_DEP_1)
	v_cndmask_b32_e64 v1, 0, v1, s9
	v_add_nc_u32_e32 v1, v1, v32
	s_delay_alu instid0(VALU_DEP_1) | instskip(NEXT) | instid1(VALU_DEP_1)
	;; [unrolled: 3-line block ×9, first 2 shown]
	v_cndmask_b32_e64 v1, 0, v1, s0
	v_add_nc_u32_e32 v1, v1, v24
	s_delay_alu instid0(VALU_DEP_1) | instskip(SKIP_1) | instid1(VALU_DEP_2)
	v_cndmask_b32_e32 v1, 0, v1, vcc_lo
	v_cmp_eq_u32_e32 vcc_lo, 0, v2
	v_add_nc_u32_e32 v1, v1, v78
	s_delay_alu instid0(VALU_DEP_1) | instskip(NEXT) | instid1(VALU_DEP_1)
	v_mov_b32_dpp v3, v1 row_shr:1 row_mask:0xf bank_mask:0xf
	v_dual_cndmask_b32 v3, 0, v3 :: v_dual_and_b32 v4, 15, v81
	s_delay_alu instid0(VALU_DEP_1) | instskip(SKIP_2) | instid1(VALU_DEP_4)
	v_cmp_eq_u32_e32 vcc_lo, 0, v4
	v_cmp_lt_u32_e64 s14, 1, v4
	v_cndmask_b32_e64 v5, v5, 0, vcc_lo
	v_cndmask_b32_e64 v3, v3, 0, vcc_lo
	s_delay_alu instid0(VALU_DEP_2) | instskip(NEXT) | instid1(VALU_DEP_2)
	v_add_nc_u32_e32 v2, v5, v2
	v_add_nc_u32_e32 v1, v3, v1
	s_delay_alu instid0(VALU_DEP_2) | instskip(SKIP_1) | instid1(VALU_DEP_3)
	v_mov_b32_dpp v3, v2 row_shr:2 row_mask:0xf bank_mask:0xf
	v_cmp_eq_u32_e32 vcc_lo, 0, v2
	v_mov_b32_dpp v5, v1 row_shr:2 row_mask:0xf bank_mask:0xf
	s_delay_alu instid0(VALU_DEP_3) | instskip(SKIP_2) | instid1(VALU_DEP_2)
	v_cndmask_b32_e64 v3, 0, v3, s14
	s_and_b32 vcc_lo, s14, vcc_lo
	v_cmp_lt_u32_e64 s14, 3, v4
	v_dual_cndmask_b32 v5, 0, v5 :: v_dual_add_nc_u32 v2, v2, v3
	s_delay_alu instid0(VALU_DEP_1) | instskip(NEXT) | instid1(VALU_DEP_2)
	v_add_nc_u32_e32 v1, v5, v1
	v_mov_b32_dpp v3, v2 row_shr:4 row_mask:0xf bank_mask:0xf
	v_cmp_eq_u32_e32 vcc_lo, 0, v2
	s_delay_alu instid0(VALU_DEP_3) | instskip(NEXT) | instid1(VALU_DEP_3)
	v_mov_b32_dpp v5, v1 row_shr:4 row_mask:0xf bank_mask:0xf
	v_cndmask_b32_e64 v3, 0, v3, s14
	s_and_b32 vcc_lo, s14, vcc_lo
	v_cmp_lt_u32_e64 s14, 7, v4
	s_delay_alu instid0(VALU_DEP_2) | instskip(NEXT) | instid1(VALU_DEP_1)
	v_dual_cndmask_b32 v5, 0, v5 :: v_dual_add_nc_u32 v2, v3, v2
	v_add_nc_u32_e32 v1, v1, v5
	v_bfe_i32 v5, v81, 4, 1
	s_delay_alu instid0(VALU_DEP_3) | instskip(SKIP_1) | instid1(VALU_DEP_4)
	v_cmp_eq_u32_e32 vcc_lo, 0, v2
	v_mov_b32_dpp v3, v2 row_shr:8 row_mask:0xf bank_mask:0xf
	v_mov_b32_dpp v4, v1 row_shr:8 row_mask:0xf bank_mask:0xf
	s_and_b32 vcc_lo, s14, vcc_lo
	s_delay_alu instid0(VALU_DEP_2) | instskip(SKIP_1) | instid1(VALU_DEP_2)
	v_cndmask_b32_e64 v3, 0, v3, s14
	s_mov_b32 s14, exec_lo
	v_cndmask_b32_e32 v4, 0, v4, vcc_lo
	s_delay_alu instid0(VALU_DEP_1) | instskip(NEXT) | instid1(VALU_DEP_3)
	v_add_nc_u32_e32 v4, v4, v1
	v_add_nc_u32_e32 v1, v3, v2
	ds_swizzle_b32 v2, v4 offset:swizzle(BROADCAST,32,15)
	ds_swizzle_b32 v3, v1 offset:swizzle(BROADCAST,32,15)
	v_cmp_eq_u32_e32 vcc_lo, 0, v1
	s_waitcnt lgkmcnt(0)
	v_dual_cndmask_b32 v2, 0, v2 :: v_dual_and_b32 v3, v5, v3
	s_delay_alu instid0(VALU_DEP_1) | instskip(NEXT) | instid1(VALU_DEP_2)
	v_and_b32_e32 v2, v5, v2
	v_add_nc_u32_e32 v1, v3, v1
	v_lshlrev_b32_e32 v3, 3, v82
	s_delay_alu instid0(VALU_DEP_3)
	v_add_nc_u32_e32 v2, v2, v4
	v_cmpx_eq_u32_e64 v83, v0
	s_cbranch_execz .LBB929_92
; %bb.91:
	ds_store_b64 v3, v[1:2] offset:2064
.LBB929_92:
	s_or_b32 exec_lo, exec_lo, s14
	s_delay_alu instid0(SALU_CYCLE_1)
	s_mov_b32 s15, exec_lo
	s_waitcnt lgkmcnt(0)
	s_barrier
	buffer_gl0_inv
	v_cmpx_gt_u32_e32 8, v0
	s_cbranch_execz .LBB929_94
; %bb.93:
	v_lshlrev_b32_e32 v6, 3, v0
	v_and_b32_e32 v8, 7, v81
	ds_load_b64 v[4:5], v6 offset:2064
	v_cmp_lt_u32_e64 s14, 1, v8
	s_waitcnt lgkmcnt(0)
	v_mov_b32_dpp v7, v5 row_shr:1 row_mask:0xf bank_mask:0xf
	v_cmp_eq_u32_e32 vcc_lo, 0, v4
	v_mov_b32_dpp v37, v4 row_shr:1 row_mask:0xf bank_mask:0xf
	s_delay_alu instid0(VALU_DEP_3) | instskip(SKIP_1) | instid1(VALU_DEP_3)
	v_cndmask_b32_e32 v7, 0, v7, vcc_lo
	v_cmp_eq_u32_e32 vcc_lo, 0, v8
	v_cndmask_b32_e64 v37, v37, 0, vcc_lo
	s_delay_alu instid0(VALU_DEP_3) | instskip(NEXT) | instid1(VALU_DEP_2)
	v_cndmask_b32_e64 v7, v7, 0, vcc_lo
	v_add_nc_u32_e32 v4, v37, v4
	s_delay_alu instid0(VALU_DEP_2) | instskip(NEXT) | instid1(VALU_DEP_2)
	v_add_nc_u32_e32 v5, v7, v5
	v_cmp_eq_u32_e32 vcc_lo, 0, v4
	s_delay_alu instid0(VALU_DEP_2) | instskip(SKIP_1) | instid1(VALU_DEP_1)
	v_mov_b32_dpp v37, v5 row_shr:2 row_mask:0xf bank_mask:0xf
	s_and_b32 vcc_lo, s14, vcc_lo
	v_cndmask_b32_e32 v37, 0, v37, vcc_lo
	v_mov_b32_dpp v7, v4 row_shr:2 row_mask:0xf bank_mask:0xf
	s_delay_alu instid0(VALU_DEP_2) | instskip(NEXT) | instid1(VALU_DEP_2)
	v_add_nc_u32_e32 v5, v37, v5
	v_cndmask_b32_e64 v7, 0, v7, s14
	v_cmp_lt_u32_e64 s14, 3, v8
	s_delay_alu instid0(VALU_DEP_3) | instskip(NEXT) | instid1(VALU_DEP_3)
	v_mov_b32_dpp v8, v5 row_shr:4 row_mask:0xf bank_mask:0xf
	v_add_nc_u32_e32 v4, v7, v4
	s_delay_alu instid0(VALU_DEP_1) | instskip(SKIP_2) | instid1(VALU_DEP_1)
	v_cmp_eq_u32_e32 vcc_lo, 0, v4
	v_mov_b32_dpp v7, v4 row_shr:4 row_mask:0xf bank_mask:0xf
	s_and_b32 vcc_lo, s14, vcc_lo
	v_cndmask_b32_e64 v7, 0, v7, s14
	v_cndmask_b32_e32 v8, 0, v8, vcc_lo
	s_delay_alu instid0(VALU_DEP_2) | instskip(NEXT) | instid1(VALU_DEP_2)
	v_add_nc_u32_e32 v4, v7, v4
	v_add_nc_u32_e32 v5, v8, v5
	ds_store_b64 v6, v[4:5] offset:2064
.LBB929_94:
	s_or_b32 exec_lo, exec_lo, s15
	v_cmp_gt_u32_e32 vcc_lo, 32, v0
	v_dual_mov_b32 v37, 0 :: v_dual_mov_b32 v38, 0
	s_mov_b32 s15, exec_lo
	s_waitcnt lgkmcnt(0)
	s_barrier
	buffer_gl0_inv
	v_cmpx_lt_u32_e32 31, v0
	s_cbranch_execz .LBB929_96
; %bb.95:
	ds_load_b64 v[37:38], v3 offset:2056
	v_cmp_eq_u32_e64 s14, 0, v1
	s_waitcnt lgkmcnt(0)
	s_delay_alu instid0(VALU_DEP_1) | instskip(SKIP_1) | instid1(VALU_DEP_2)
	v_cndmask_b32_e64 v3, 0, v38, s14
	v_add_nc_u32_e32 v1, v37, v1
	v_add_nc_u32_e32 v2, v3, v2
.LBB929_96:
	s_or_b32 exec_lo, exec_lo, s15
	v_add_nc_u32_e32 v3, -1, v81
	s_delay_alu instid0(VALU_DEP_1) | instskip(NEXT) | instid1(VALU_DEP_1)
	v_cmp_gt_i32_e64 s14, 0, v3
	v_cndmask_b32_e64 v3, v3, v81, s14
	v_cmp_eq_u32_e64 s14, 0, v81
	s_delay_alu instid0(VALU_DEP_2)
	v_lshlrev_b32_e32 v3, 2, v3
	ds_bpermute_b32 v43, v3, v1
	ds_bpermute_b32 v44, v3, v2
	s_and_saveexec_b32 s17, vcc_lo
	s_cbranch_execz .LBB929_119
; %bb.97:
	v_mov_b32_e32 v4, 0
	ds_load_b64 v[1:2], v4 offset:2120
	s_waitcnt lgkmcnt(0)
	v_readfirstlane_b32 s18, v2
	s_and_saveexec_b32 s15, s14
	s_cbranch_execz .LBB929_99
; %bb.98:
	s_add_i32 s20, s44, 32
	s_mov_b32 s21, 0
	v_mov_b32_e32 v3, 1
	s_lshl_b64 s[22:23], s[20:21], 4
	s_mov_b32 s26, s21
	s_add_u32 s22, s24, s22
	s_addc_u32 s23, s25, s23
	s_and_b32 s27, s18, 0xff000000
	s_and_b32 s29, s18, 0xff0000
	s_mov_b32 s28, s21
	v_dual_mov_b32 v5, s22 :: v_dual_mov_b32 v6, s23
	s_or_b64 s[26:27], s[28:29], s[26:27]
	s_and_b32 s29, s18, 0xff00
	s_delay_alu instid0(SALU_CYCLE_1) | instskip(SKIP_1) | instid1(SALU_CYCLE_1)
	s_or_b64 s[26:27], s[26:27], s[28:29]
	s_and_b32 s29, s18, 0xff
	s_or_b64 s[20:21], s[26:27], s[28:29]
	s_delay_alu instid0(SALU_CYCLE_1)
	v_mov_b32_e32 v2, s21
	;;#ASMSTART
	global_store_dwordx4 v[5:6], v[1:4] off	
s_waitcnt vmcnt(0)
	;;#ASMEND
.LBB929_99:
	s_or_b32 exec_lo, exec_lo, s15
	v_xad_u32 v39, v81, -1, s44
	s_mov_b32 s19, 0
	s_mov_b32 s15, exec_lo
	s_delay_alu instid0(VALU_DEP_1) | instskip(NEXT) | instid1(VALU_DEP_1)
	v_add_nc_u32_e32 v3, 32, v39
	v_lshlrev_b64 v[2:3], 4, v[3:4]
	s_delay_alu instid0(VALU_DEP_1) | instskip(NEXT) | instid1(VALU_DEP_2)
	v_add_co_u32 v2, vcc_lo, s24, v2
	v_add_co_ci_u32_e32 v3, vcc_lo, s25, v3, vcc_lo
	;;#ASMSTART
	global_load_dwordx4 v[5:8], v[2:3] off glc	
s_waitcnt vmcnt(0)
	;;#ASMEND
	v_and_b32_e32 v4, 0xff, v6
	v_and_b32_e32 v8, 0xff00, v6
	;; [unrolled: 1-line block ×3, first 2 shown]
	v_or3_b32 v5, v5, 0, 0
	v_and_b32_e32 v6, 0xff000000, v6
	s_delay_alu instid0(VALU_DEP_4) | instskip(SKIP_1) | instid1(VALU_DEP_4)
	v_or3_b32 v4, 0, v4, v8
	v_and_b32_e32 v8, 0xff, v7
	v_or3_b32 v5, v5, 0, 0
	s_delay_alu instid0(VALU_DEP_3) | instskip(NEXT) | instid1(VALU_DEP_3)
	v_or3_b32 v6, v4, v40, v6
	v_cmpx_eq_u16_e32 0, v8
	s_cbranch_execz .LBB929_105
; %bb.100:
	s_mov_b32 s20, 1
	.p2align	6
.LBB929_101:                            ; =>This Loop Header: Depth=1
                                        ;     Child Loop BB929_102 Depth 2
	s_delay_alu instid0(SALU_CYCLE_1)
	s_max_u32 s21, s20, 1
.LBB929_102:                            ;   Parent Loop BB929_101 Depth=1
                                        ; =>  This Inner Loop Header: Depth=2
	s_delay_alu instid0(SALU_CYCLE_1)
	s_add_i32 s21, s21, -1
	s_sleep 1
	s_cmp_eq_u32 s21, 0
	s_cbranch_scc0 .LBB929_102
; %bb.103:                              ;   in Loop: Header=BB929_101 Depth=1
	;;#ASMSTART
	global_load_dwordx4 v[5:8], v[2:3] off glc	
s_waitcnt vmcnt(0)
	;;#ASMEND
	v_and_b32_e32 v4, 0xff, v7
	s_cmp_lt_u32 s20, 32
	s_cselect_b32 s21, -1, 0
	s_delay_alu instid0(VALU_DEP_1) | instskip(SKIP_3) | instid1(SALU_CYCLE_1)
	v_cmp_ne_u16_e32 vcc_lo, 0, v4
	s_cmp_lg_u32 s21, 0
	s_addc_u32 s20, s20, 0
	s_or_b32 s19, vcc_lo, s19
	s_and_not1_b32 exec_lo, exec_lo, s19
	s_cbranch_execnz .LBB929_101
; %bb.104:
	s_or_b32 exec_lo, exec_lo, s19
.LBB929_105:
	s_delay_alu instid0(SALU_CYCLE_1)
	s_or_b32 exec_lo, exec_lo, s15
	v_cmp_ne_u32_e32 vcc_lo, 31, v81
	v_and_b32_e32 v3, 0xff, v7
	v_lshlrev_b32_e64 v45, v81, -1
	v_add_nc_u32_e32 v47, 2, v81
	v_add_nc_u32_e32 v49, 4, v81
	v_add_co_ci_u32_e32 v2, vcc_lo, 0, v81, vcc_lo
	v_cmp_eq_u16_e32 vcc_lo, 2, v3
	v_add_nc_u32_e32 v51, 8, v81
	v_add_nc_u32_e32 v53, 16, v81
	v_and_or_b32 v8, vcc_lo, v45, 0x80000000
	v_cmp_gt_u32_e32 vcc_lo, 30, v81
	s_delay_alu instid0(VALU_DEP_2) | instskip(SKIP_2) | instid1(VALU_DEP_3)
	v_ctz_i32_b32_e32 v8, v8
	v_cndmask_b32_e64 v40, 0, 1, vcc_lo
	v_cmp_eq_u32_e32 vcc_lo, 0, v5
	v_cmp_lt_u32_e64 s15, v81, v8
	s_delay_alu instid0(VALU_DEP_3) | instskip(NEXT) | instid1(VALU_DEP_2)
	v_lshlrev_b32_e32 v40, 1, v40
	s_and_b32 vcc_lo, s15, vcc_lo
	v_lshlrev_b32_e32 v2, 2, v2
	s_delay_alu instid0(VALU_DEP_2)
	v_add_lshl_u32 v46, v40, v81, 2
	ds_bpermute_b32 v3, v2, v6
	s_waitcnt lgkmcnt(0)
	v_cndmask_b32_e32 v3, 0, v3, vcc_lo
	ds_bpermute_b32 v4, v2, v5
	v_cmp_gt_u32_e32 vcc_lo, 28, v81
	v_add_nc_u32_e32 v3, v3, v6
	ds_bpermute_b32 v6, v46, v3
	s_waitcnt lgkmcnt(1)
	v_cndmask_b32_e64 v4, 0, v4, s15
	s_delay_alu instid0(VALU_DEP_1) | instskip(SKIP_1) | instid1(VALU_DEP_2)
	v_add_nc_u32_e32 v4, v4, v5
	v_cndmask_b32_e64 v5, 0, 1, vcc_lo
	v_cmp_eq_u32_e32 vcc_lo, 0, v4
	ds_bpermute_b32 v40, v46, v4
	s_waitcnt lgkmcnt(1)
	v_dual_cndmask_b32 v6, 0, v6 :: v_dual_lshlrev_b32 v5, 2, v5
	v_cmp_gt_u32_e32 vcc_lo, v47, v8
	s_delay_alu instid0(VALU_DEP_2) | instskip(NEXT) | instid1(VALU_DEP_3)
	v_add_lshl_u32 v48, v5, v81, 2
	v_cndmask_b32_e64 v6, v6, 0, vcc_lo
	s_delay_alu instid0(VALU_DEP_1) | instskip(SKIP_4) | instid1(VALU_DEP_2)
	v_add_nc_u32_e32 v3, v6, v3
	ds_bpermute_b32 v5, v48, v3
	s_waitcnt lgkmcnt(1)
	v_cndmask_b32_e64 v6, v40, 0, vcc_lo
	v_cmp_gt_u32_e32 vcc_lo, 24, v81
	v_add_nc_u32_e32 v4, v4, v6
	v_cndmask_b32_e64 v40, 0, 1, vcc_lo
	ds_bpermute_b32 v6, v48, v4
	v_cmp_eq_u32_e32 vcc_lo, 0, v4
	v_lshlrev_b32_e32 v40, 3, v40
	s_delay_alu instid0(VALU_DEP_1) | instskip(SKIP_3) | instid1(VALU_DEP_2)
	v_add_lshl_u32 v50, v40, v81, 2
	s_waitcnt lgkmcnt(1)
	v_cndmask_b32_e32 v5, 0, v5, vcc_lo
	v_cmp_gt_u32_e32 vcc_lo, v49, v8
	v_cndmask_b32_e64 v5, v5, 0, vcc_lo
	s_delay_alu instid0(VALU_DEP_1)
	v_add_nc_u32_e32 v3, v3, v5
	s_waitcnt lgkmcnt(0)
	v_cndmask_b32_e64 v6, v6, 0, vcc_lo
	v_cmp_gt_u32_e32 vcc_lo, 16, v81
	ds_bpermute_b32 v5, v50, v3
	v_add_nc_u32_e32 v4, v4, v6
	v_cndmask_b32_e64 v40, 0, 1, vcc_lo
	ds_bpermute_b32 v6, v50, v4
	v_cmp_eq_u32_e32 vcc_lo, 0, v4
	v_lshlrev_b32_e32 v40, 4, v40
	s_delay_alu instid0(VALU_DEP_1) | instskip(SKIP_3) | instid1(VALU_DEP_2)
	v_add_lshl_u32 v52, v40, v81, 2
	s_waitcnt lgkmcnt(1)
	v_dual_mov_b32 v40, 0 :: v_dual_cndmask_b32 v5, 0, v5
	v_cmp_gt_u32_e32 vcc_lo, v51, v8
	v_cndmask_b32_e64 v5, v5, 0, vcc_lo
	s_delay_alu instid0(VALU_DEP_1)
	v_add_nc_u32_e32 v3, v3, v5
	s_waitcnt lgkmcnt(0)
	v_cndmask_b32_e64 v5, v6, 0, vcc_lo
	ds_bpermute_b32 v6, v52, v3
	v_add_nc_u32_e32 v4, v4, v5
	ds_bpermute_b32 v5, v52, v4
	v_cmp_eq_u32_e32 vcc_lo, 0, v4
	s_waitcnt lgkmcnt(1)
	v_cndmask_b32_e32 v6, 0, v6, vcc_lo
	v_cmp_gt_u32_e32 vcc_lo, v53, v8
	s_delay_alu instid0(VALU_DEP_2) | instskip(SKIP_2) | instid1(VALU_DEP_2)
	v_cndmask_b32_e64 v6, v6, 0, vcc_lo
	s_waitcnt lgkmcnt(0)
	v_cndmask_b32_e64 v5, v5, 0, vcc_lo
	v_add_nc_u32_e32 v6, v6, v3
	s_delay_alu instid0(VALU_DEP_2)
	v_add_nc_u32_e32 v5, v5, v4
	s_branch .LBB929_107
.LBB929_106:                            ;   in Loop: Header=BB929_107 Depth=1
	s_or_b32 exec_lo, exec_lo, s15
	v_and_b32_e32 v8, 0xff, v7
	ds_bpermute_b32 v41, v2, v5
	v_subrev_nc_u32_e32 v39, 32, v39
	v_cmp_eq_u16_e32 vcc_lo, 2, v8
	ds_bpermute_b32 v8, v2, v6
	v_and_or_b32 v42, vcc_lo, v45, 0x80000000
	v_cmp_eq_u32_e32 vcc_lo, 0, v5
	s_delay_alu instid0(VALU_DEP_2) | instskip(NEXT) | instid1(VALU_DEP_1)
	v_ctz_i32_b32_e32 v42, v42
	v_cmp_lt_u32_e64 s15, v81, v42
	s_delay_alu instid0(VALU_DEP_1) | instskip(SKIP_4) | instid1(VALU_DEP_2)
	s_and_b32 vcc_lo, s15, vcc_lo
	s_waitcnt lgkmcnt(1)
	v_cndmask_b32_e64 v41, 0, v41, s15
	s_waitcnt lgkmcnt(0)
	v_cndmask_b32_e32 v8, 0, v8, vcc_lo
	v_add_nc_u32_e32 v5, v41, v5
	s_delay_alu instid0(VALU_DEP_2)
	v_add_nc_u32_e32 v6, v8, v6
	ds_bpermute_b32 v41, v46, v5
	ds_bpermute_b32 v8, v46, v6
	v_cmp_eq_u32_e32 vcc_lo, 0, v5
	s_waitcnt lgkmcnt(0)
	v_cndmask_b32_e32 v8, 0, v8, vcc_lo
	v_cmp_gt_u32_e32 vcc_lo, v47, v42
	v_cndmask_b32_e64 v41, v41, 0, vcc_lo
	s_delay_alu instid0(VALU_DEP_1) | instskip(NEXT) | instid1(VALU_DEP_4)
	v_add_nc_u32_e32 v5, v5, v41
	v_cndmask_b32_e64 v8, v8, 0, vcc_lo
	ds_bpermute_b32 v41, v48, v5
	v_add_nc_u32_e32 v6, v8, v6
	v_cmp_eq_u32_e32 vcc_lo, 0, v5
	ds_bpermute_b32 v8, v48, v6
	s_waitcnt lgkmcnt(0)
	v_cndmask_b32_e32 v8, 0, v8, vcc_lo
	v_cmp_gt_u32_e32 vcc_lo, v49, v42
	v_cndmask_b32_e64 v41, v41, 0, vcc_lo
	s_delay_alu instid0(VALU_DEP_1) | instskip(NEXT) | instid1(VALU_DEP_4)
	v_add_nc_u32_e32 v5, v5, v41
	v_cndmask_b32_e64 v8, v8, 0, vcc_lo
	ds_bpermute_b32 v41, v50, v5
	v_add_nc_u32_e32 v6, v6, v8
	v_cmp_eq_u32_e32 vcc_lo, 0, v5
	ds_bpermute_b32 v8, v50, v6
	;; [unrolled: 11-line block ×3, first 2 shown]
	s_waitcnt lgkmcnt(0)
	v_cndmask_b32_e32 v8, 0, v8, vcc_lo
	v_cmp_gt_u32_e32 vcc_lo, v53, v42
	s_delay_alu instid0(VALU_DEP_2) | instskip(NEXT) | instid1(VALU_DEP_1)
	v_cndmask_b32_e64 v8, v8, 0, vcc_lo
	v_add_nc_u32_e32 v6, v8, v6
	v_cndmask_b32_e64 v8, v41, 0, vcc_lo
	v_cmp_eq_u32_e32 vcc_lo, 0, v3
	s_delay_alu instid0(VALU_DEP_2) | instskip(NEXT) | instid1(VALU_DEP_4)
	v_add3_u32 v5, v5, v3, v8
	v_cndmask_b32_e32 v6, 0, v6, vcc_lo
	s_delay_alu instid0(VALU_DEP_1)
	v_add_nc_u32_e32 v6, v6, v4
.LBB929_107:                            ; =>This Loop Header: Depth=1
                                        ;     Child Loop BB929_110 Depth 2
                                        ;       Child Loop BB929_111 Depth 3
	s_delay_alu instid0(VALU_DEP_1) | instskip(NEXT) | instid1(VALU_DEP_1)
	v_dual_mov_b32 v4, v6 :: v_dual_and_b32 v3, 0xff, v7
	v_cmp_ne_u16_e32 vcc_lo, 2, v3
	v_cndmask_b32_e64 v3, 0, 1, vcc_lo
	;;#ASMSTART
	;;#ASMEND
	s_delay_alu instid0(VALU_DEP_1)
	v_cmp_ne_u32_e32 vcc_lo, 0, v3
	v_mov_b32_e32 v3, v5
	s_cmp_lg_u32 vcc_lo, exec_lo
	s_cbranch_scc1 .LBB929_114
; %bb.108:                              ;   in Loop: Header=BB929_107 Depth=1
	v_lshlrev_b64 v[5:6], 4, v[39:40]
	s_mov_b32 s15, exec_lo
	s_delay_alu instid0(VALU_DEP_1) | instskip(NEXT) | instid1(VALU_DEP_2)
	v_add_co_u32 v41, vcc_lo, s24, v5
	v_add_co_ci_u32_e32 v42, vcc_lo, s25, v6, vcc_lo
	;;#ASMSTART
	global_load_dwordx4 v[5:8], v[41:42] off glc	
s_waitcnt vmcnt(0)
	;;#ASMEND
	v_and_b32_e32 v8, 0xff, v6
	v_and_b32_e32 v54, 0xff00, v6
	;; [unrolled: 1-line block ×3, first 2 shown]
	v_or3_b32 v5, v5, 0, 0
	v_and_b32_e32 v6, 0xff000000, v6
	s_delay_alu instid0(VALU_DEP_4) | instskip(SKIP_1) | instid1(VALU_DEP_4)
	v_or3_b32 v8, 0, v8, v54
	v_and_b32_e32 v54, 0xff, v7
	v_or3_b32 v5, v5, 0, 0
	s_delay_alu instid0(VALU_DEP_3) | instskip(NEXT) | instid1(VALU_DEP_3)
	v_or3_b32 v6, v8, v55, v6
	v_cmpx_eq_u16_e32 0, v54
	s_cbranch_execz .LBB929_106
; %bb.109:                              ;   in Loop: Header=BB929_107 Depth=1
	s_mov_b32 s20, 1
	s_mov_b32 s19, 0
	.p2align	6
.LBB929_110:                            ;   Parent Loop BB929_107 Depth=1
                                        ; =>  This Loop Header: Depth=2
                                        ;       Child Loop BB929_111 Depth 3
	s_max_u32 s21, s20, 1
.LBB929_111:                            ;   Parent Loop BB929_107 Depth=1
                                        ;     Parent Loop BB929_110 Depth=2
                                        ; =>    This Inner Loop Header: Depth=3
	s_delay_alu instid0(SALU_CYCLE_1)
	s_add_i32 s21, s21, -1
	s_sleep 1
	s_cmp_eq_u32 s21, 0
	s_cbranch_scc0 .LBB929_111
; %bb.112:                              ;   in Loop: Header=BB929_110 Depth=2
	;;#ASMSTART
	global_load_dwordx4 v[5:8], v[41:42] off glc	
s_waitcnt vmcnt(0)
	;;#ASMEND
	v_and_b32_e32 v8, 0xff, v7
	s_cmp_lt_u32 s20, 32
	s_cselect_b32 s21, -1, 0
	s_delay_alu instid0(SALU_CYCLE_1) | instskip(NEXT) | instid1(VALU_DEP_1)
	s_cmp_lg_u32 s21, 0
	v_cmp_ne_u16_e32 vcc_lo, 0, v8
	s_addc_u32 s20, s20, 0
	s_or_b32 s19, vcc_lo, s19
	s_delay_alu instid0(SALU_CYCLE_1)
	s_and_not1_b32 exec_lo, exec_lo, s19
	s_cbranch_execnz .LBB929_110
; %bb.113:                              ;   in Loop: Header=BB929_107 Depth=1
	s_or_b32 exec_lo, exec_lo, s19
	s_branch .LBB929_106
.LBB929_114:                            ;   in Loop: Header=BB929_107 Depth=1
                                        ; implicit-def: $vgpr6
                                        ; implicit-def: $vgpr5
                                        ; implicit-def: $vgpr7
	s_cbranch_execz .LBB929_107
; %bb.115:
	s_and_saveexec_b32 s15, s14
	s_cbranch_execz .LBB929_117
; %bb.116:
	v_cmp_eq_u32_e32 vcc_lo, 0, v1
	s_mov_b32 s21, 0
	s_add_i32 s20, s44, 32
	v_add_nc_u32_e32 v5, v3, v1
	s_lshl_b64 s[20:21], s[20:21], 4
	v_cndmask_b32_e32 v2, 0, v4, vcc_lo
	s_add_u32 s20, s24, s20
	s_addc_u32 s21, s25, s21
	v_mov_b32_e32 v8, 0
	s_delay_alu instid0(VALU_DEP_2) | instskip(NEXT) | instid1(VALU_DEP_1)
	v_add_nc_u32_e32 v2, s18, v2
	v_and_b32_e32 v6, 0xff000000, v2
	v_and_b32_e32 v7, 0xff0000, v2
	s_delay_alu instid0(VALU_DEP_1) | instskip(SKIP_3) | instid1(VALU_DEP_1)
	v_or_b32_e32 v6, v7, v6
	v_mov_b32_e32 v7, 2
	v_and_b32_e32 v39, 0xff00, v2
	v_and_b32_e32 v2, 0xff, v2
	v_or3_b32 v6, v6, v39, v2
	v_mov_b32_e32 v2, s18
	v_dual_mov_b32 v40, s21 :: v_dual_mov_b32 v39, s20
	;;#ASMSTART
	global_store_dwordx4 v[39:40], v[5:8] off	
s_waitcnt vmcnt(0)
	;;#ASMEND
	ds_store_b128 v8, v[1:4] offset:2048
.LBB929_117:
	s_or_b32 exec_lo, exec_lo, s15
	s_delay_alu instid0(SALU_CYCLE_1)
	s_and_b32 exec_lo, exec_lo, s2
	s_cbranch_execz .LBB929_119
; %bb.118:
	v_mov_b32_e32 v1, 0
	ds_store_b64 v1, v[3:4] offset:2120
.LBB929_119:
	s_or_b32 exec_lo, exec_lo, s17
	s_waitcnt lgkmcnt(1)
	v_cndmask_b32_e64 v4, v43, v37, s14
	s_waitcnt lgkmcnt(0)
	s_barrier
	buffer_gl0_inv
	v_cndmask_b32_e64 v5, v44, v38, s14
	v_cmp_eq_u32_e32 vcc_lo, 0, v4
	v_mov_b32_e32 v3, 0
	ds_load_b64 v[1:2], v3 offset:2120
	s_waitcnt lgkmcnt(0)
	s_barrier
	buffer_gl0_inv
	v_cndmask_b32_e32 v6, 0, v2, vcc_lo
	v_cmp_eq_u32_e32 vcc_lo, 0, v79
	s_delay_alu instid0(VALU_DEP_2) | instskip(NEXT) | instid1(VALU_DEP_1)
	v_add_nc_u32_e32 v5, v6, v5
	v_cndmask_b32_e64 v54, v5, v2, s2
	s_delay_alu instid0(VALU_DEP_1) | instskip(NEXT) | instid1(VALU_DEP_1)
	v_cndmask_b32_e32 v2, 0, v54, vcc_lo
	v_add_nc_u32_e32 v60, v2, v35
	s_delay_alu instid0(VALU_DEP_1) | instskip(NEXT) | instid1(VALU_DEP_1)
	v_cndmask_b32_e64 v2, 0, v60, s13
	v_add_nc_u32_e32 v56, v2, v36
	s_delay_alu instid0(VALU_DEP_1) | instskip(NEXT) | instid1(VALU_DEP_1)
	v_cndmask_b32_e64 v2, 0, v56, s12
	;; [unrolled: 3-line block ×5, first 2 shown]
	v_add_nc_u32_e32 v40, v2, v32
	v_cndmask_b32_e64 v2, v4, 0, s2
	s_delay_alu instid0(VALU_DEP_2) | instskip(NEXT) | instid1(VALU_DEP_2)
	v_cndmask_b32_e64 v4, 0, v40, s8
	v_add_nc_u32_e32 v53, v1, v2
	s_delay_alu instid0(VALU_DEP_2) | instskip(NEXT) | instid1(VALU_DEP_1)
	v_add_nc_u32_e32 v44, v4, v29
	v_cndmask_b32_e64 v1, 0, v44, s7
	s_delay_alu instid0(VALU_DEP_1) | instskip(NEXT) | instid1(VALU_DEP_1)
	v_add_nc_u32_e32 v48, v1, v30
	v_cndmask_b32_e64 v1, 0, v48, s6
	s_delay_alu instid0(VALU_DEP_1) | instskip(NEXT) | instid1(VALU_DEP_1)
	;; [unrolled: 3-line block ×3, first 2 shown]
	v_add_nc_u32_e32 v8, v1, v28
	v_cndmask_b32_e64 v1, 0, v8, s4
	s_delay_alu instid0(VALU_DEP_1) | instskip(SKIP_2) | instid1(VALU_DEP_1)
	v_add_nc_u32_e32 v38, v1, v25
	ds_load_b128 v[1:4], v3 offset:2048
	v_cndmask_b32_e64 v37, 0, v38, s3
	v_add_nc_u32_e32 v62, v37, v26
	s_delay_alu instid0(VALU_DEP_1) | instskip(NEXT) | instid1(VALU_DEP_1)
	v_cndmask_b32_e64 v49, 0, v62, s1
	v_add_nc_u32_e32 v58, v49, v23
	s_waitcnt lgkmcnt(0)
	v_cmp_eq_u32_e32 vcc_lo, 0, v1
	s_delay_alu instid0(VALU_DEP_2) | instskip(SKIP_1) | instid1(VALU_DEP_2)
	v_cndmask_b32_e64 v50, 0, v58, s0
	v_dual_cndmask_b32 v4, 0, v4 :: v_dual_add_nc_u32 v59, v53, v79
	v_add_nc_u32_e32 v50, v50, v24
	s_delay_alu instid0(VALU_DEP_2) | instskip(NEXT) | instid1(VALU_DEP_3)
	v_add_nc_u32_e32 v80, v4, v2
	v_add_nc_u32_e32 v55, v59, v77
	s_delay_alu instid0(VALU_DEP_1) | instskip(NEXT) | instid1(VALU_DEP_1)
	v_add_nc_u32_e32 v51, v55, v76
	v_add_nc_u32_e32 v45, v51, v75
	s_delay_alu instid0(VALU_DEP_1) | instskip(NEXT) | instid1(VALU_DEP_1)
	;; [unrolled: 3-line block ×6, first 2 shown]
	v_add_nc_u32_e32 v57, v61, v65
	v_add_nc_u32_e32 v49, v57, v64
	s_branch .LBB929_132
.LBB929_120:
                                        ; implicit-def: $vgpr1
                                        ; implicit-def: $vgpr80
                                        ; implicit-def: $vgpr53_vgpr54
                                        ; implicit-def: $vgpr59_vgpr60
                                        ; implicit-def: $vgpr55_vgpr56
                                        ; implicit-def: $vgpr51_vgpr52
                                        ; implicit-def: $vgpr45_vgpr46
                                        ; implicit-def: $vgpr41_vgpr42
                                        ; implicit-def: $vgpr39_vgpr40
                                        ; implicit-def: $vgpr43_vgpr44
                                        ; implicit-def: $vgpr47_vgpr48
                                        ; implicit-def: $vgpr5_vgpr6
                                        ; implicit-def: $vgpr7_vgpr8
                                        ; implicit-def: $vgpr37_vgpr38
                                        ; implicit-def: $vgpr61_vgpr62
                                        ; implicit-def: $vgpr57_vgpr58
                                        ; implicit-def: $vgpr49_vgpr50
	s_cbranch_execz .LBB929_132
; %bb.121:
	s_and_b32 s0, s16, exec_lo
	v_mov_b32_e32 v49, v35
	s_cselect_b32 s1, 0, s35
	s_cselect_b32 s0, 0, s34
	s_delay_alu instid0(SALU_CYCLE_1)
	s_cmp_eq_u64 s[0:1], 0
	s_cbranch_scc1 .LBB929_123
; %bb.122:
	v_mov_b32_e32 v1, 0
	global_load_b32 v49, v1, s[0:1]
.LBB929_123:
	v_cmp_eq_u32_e64 s7, 0, v77
	v_cmp_eq_u32_e64 s8, 0, v76
	;; [unrolled: 1-line block ×5, first 2 shown]
	v_cndmask_b32_e64 v1, 0, v35, s7
	v_cmp_eq_u32_e64 s12, 0, v72
	v_cmp_eq_u32_e64 s6, 0, v70
	;; [unrolled: 1-line block ×4, first 2 shown]
	v_add_nc_u32_e32 v1, v1, v36
	v_cmp_eq_u32_e64 s3, 0, v67
	v_add3_u32 v2, v84, v73, v72
	v_cmp_eq_u32_e64 s1, 0, v66
	v_cmp_eq_u32_e32 vcc_lo, 0, v65
	v_cndmask_b32_e64 v1, 0, v1, s8
	v_cmp_eq_u32_e64 s0, 0, v64
	v_add3_u32 v2, v2, v70, v69
	v_cmp_eq_u32_e64 s13, 0, v71
	v_and_b32_e32 v4, 15, v81
	v_add_nc_u32_e32 v1, v1, v33
	s_delay_alu instid0(VALU_DEP_4) | instskip(NEXT) | instid1(VALU_DEP_3)
	v_add3_u32 v2, v2, v68, v67
	v_cmp_lt_u32_e64 s14, 1, v4
	s_delay_alu instid0(VALU_DEP_3) | instskip(NEXT) | instid1(VALU_DEP_3)
	v_cndmask_b32_e64 v1, 0, v1, s9
	v_add3_u32 v2, v2, v66, v65
	s_delay_alu instid0(VALU_DEP_2) | instskip(NEXT) | instid1(VALU_DEP_2)
	v_add_nc_u32_e32 v1, v1, v34
	v_add3_u32 v2, v2, v64, v71
	s_delay_alu instid0(VALU_DEP_2) | instskip(NEXT) | instid1(VALU_DEP_2)
	v_cndmask_b32_e64 v1, 0, v1, s10
	v_mov_b32_dpp v5, v2 row_shr:1 row_mask:0xf bank_mask:0xf
	s_delay_alu instid0(VALU_DEP_2) | instskip(NEXT) | instid1(VALU_DEP_1)
	v_add_nc_u32_e32 v1, v1, v31
	v_cndmask_b32_e64 v1, 0, v1, s11
	s_delay_alu instid0(VALU_DEP_1) | instskip(NEXT) | instid1(VALU_DEP_1)
	v_add_nc_u32_e32 v1, v1, v32
	v_cndmask_b32_e64 v1, 0, v1, s12
	s_delay_alu instid0(VALU_DEP_1) | instskip(NEXT) | instid1(VALU_DEP_1)
	;; [unrolled: 3-line block ×7, first 2 shown]
	v_add_nc_u32_e32 v1, v1, v26
	v_cndmask_b32_e32 v1, 0, v1, vcc_lo
	s_delay_alu instid0(VALU_DEP_1) | instskip(NEXT) | instid1(VALU_DEP_1)
	v_add_nc_u32_e32 v1, v1, v23
	v_cndmask_b32_e64 v1, 0, v1, s0
	s_delay_alu instid0(VALU_DEP_1) | instskip(NEXT) | instid1(VALU_DEP_1)
	v_add_nc_u32_e32 v1, v1, v24
	v_cndmask_b32_e64 v1, 0, v1, s13
	v_cmp_eq_u32_e64 s13, 0, v2
	s_delay_alu instid0(VALU_DEP_2) | instskip(NEXT) | instid1(VALU_DEP_1)
	v_add_nc_u32_e32 v1, v1, v78
	v_mov_b32_dpp v3, v1 row_shr:1 row_mask:0xf bank_mask:0xf
	s_delay_alu instid0(VALU_DEP_1) | instskip(SKIP_1) | instid1(VALU_DEP_1)
	v_cndmask_b32_e64 v3, 0, v3, s13
	v_cmp_eq_u32_e64 s13, 0, v4
	v_cndmask_b32_e64 v5, v5, 0, s13
	s_delay_alu instid0(VALU_DEP_3) | instskip(NEXT) | instid1(VALU_DEP_2)
	v_cndmask_b32_e64 v3, v3, 0, s13
	v_add_nc_u32_e32 v2, v5, v2
	s_delay_alu instid0(VALU_DEP_2) | instskip(NEXT) | instid1(VALU_DEP_2)
	v_add_nc_u32_e32 v1, v3, v1
	v_mov_b32_dpp v3, v2 row_shr:2 row_mask:0xf bank_mask:0xf
	v_cmp_eq_u32_e64 s13, 0, v2
	s_delay_alu instid0(VALU_DEP_3) | instskip(NEXT) | instid1(VALU_DEP_3)
	v_mov_b32_dpp v5, v1 row_shr:2 row_mask:0xf bank_mask:0xf
	v_cndmask_b32_e64 v3, 0, v3, s14
	s_delay_alu instid0(VALU_DEP_3) | instskip(SKIP_1) | instid1(VALU_DEP_3)
	s_and_b32 s13, s14, s13
	v_cmp_lt_u32_e64 s14, 3, v4
	v_cndmask_b32_e64 v5, 0, v5, s13
	s_delay_alu instid0(VALU_DEP_3) | instskip(NEXT) | instid1(VALU_DEP_2)
	v_add_nc_u32_e32 v2, v2, v3
	v_add_nc_u32_e32 v1, v5, v1
	s_delay_alu instid0(VALU_DEP_2) | instskip(SKIP_1) | instid1(VALU_DEP_3)
	v_mov_b32_dpp v3, v2 row_shr:4 row_mask:0xf bank_mask:0xf
	v_cmp_eq_u32_e64 s13, 0, v2
	v_mov_b32_dpp v5, v1 row_shr:4 row_mask:0xf bank_mask:0xf
	s_delay_alu instid0(VALU_DEP_3) | instskip(NEXT) | instid1(VALU_DEP_3)
	v_cndmask_b32_e64 v3, 0, v3, s14
	s_and_b32 s13, s14, s13
	v_cmp_lt_u32_e64 s14, 7, v4
	s_delay_alu instid0(VALU_DEP_3) | instskip(NEXT) | instid1(VALU_DEP_3)
	v_cndmask_b32_e64 v5, 0, v5, s13
	v_add_nc_u32_e32 v2, v3, v2
	s_delay_alu instid0(VALU_DEP_2) | instskip(SKIP_1) | instid1(VALU_DEP_3)
	v_add_nc_u32_e32 v1, v1, v5
	v_bfe_i32 v5, v81, 4, 1
	v_cmp_eq_u32_e64 s13, 0, v2
	v_mov_b32_dpp v3, v2 row_shr:8 row_mask:0xf bank_mask:0xf
	s_delay_alu instid0(VALU_DEP_4) | instskip(NEXT) | instid1(VALU_DEP_3)
	v_mov_b32_dpp v4, v1 row_shr:8 row_mask:0xf bank_mask:0xf
	s_and_b32 s13, s14, s13
	s_delay_alu instid0(VALU_DEP_2) | instskip(SKIP_1) | instid1(VALU_DEP_2)
	v_cndmask_b32_e64 v3, 0, v3, s14
	s_mov_b32 s14, exec_lo
	v_cndmask_b32_e64 v4, 0, v4, s13
	s_delay_alu instid0(VALU_DEP_1) | instskip(NEXT) | instid1(VALU_DEP_3)
	v_add_nc_u32_e32 v4, v4, v1
	v_add_nc_u32_e32 v1, v3, v2
	ds_swizzle_b32 v2, v4 offset:swizzle(BROADCAST,32,15)
	ds_swizzle_b32 v3, v1 offset:swizzle(BROADCAST,32,15)
	v_cmp_eq_u32_e64 s13, 0, v1
	s_waitcnt lgkmcnt(1)
	s_delay_alu instid0(VALU_DEP_1) | instskip(SKIP_2) | instid1(VALU_DEP_2)
	v_cndmask_b32_e64 v2, 0, v2, s13
	s_waitcnt lgkmcnt(0)
	v_and_b32_e32 v3, v5, v3
	v_and_b32_e32 v2, v5, v2
	s_delay_alu instid0(VALU_DEP_2) | instskip(NEXT) | instid1(VALU_DEP_2)
	v_add_nc_u32_e32 v1, v3, v1
	v_add_nc_u32_e32 v2, v2, v4
	v_cmpx_eq_u32_e64 v83, v0
	s_cbranch_execz .LBB929_125
; %bb.124:
	v_lshlrev_b32_e32 v3, 3, v82
	ds_store_b64 v3, v[1:2] offset:2064
.LBB929_125:
	s_or_b32 exec_lo, exec_lo, s14
	s_delay_alu instid0(SALU_CYCLE_1)
	s_mov_b32 s15, exec_lo
	s_waitcnt vmcnt(0) lgkmcnt(0)
	s_barrier
	buffer_gl0_inv
	v_cmpx_gt_u32_e32 8, v0
	s_cbranch_execz .LBB929_127
; %bb.126:
	v_lshlrev_b32_e32 v5, 3, v0
	v_and_b32_e32 v7, 7, v81
	ds_load_b64 v[3:4], v5 offset:2064
	v_cmp_lt_u32_e64 s14, 1, v7
	s_waitcnt lgkmcnt(0)
	v_mov_b32_dpp v6, v4 row_shr:1 row_mask:0xf bank_mask:0xf
	v_cmp_eq_u32_e64 s13, 0, v3
	v_mov_b32_dpp v8, v3 row_shr:1 row_mask:0xf bank_mask:0xf
	s_delay_alu instid0(VALU_DEP_2) | instskip(SKIP_1) | instid1(VALU_DEP_1)
	v_cndmask_b32_e64 v6, 0, v6, s13
	v_cmp_eq_u32_e64 s13, 0, v7
	v_cndmask_b32_e64 v8, v8, 0, s13
	s_delay_alu instid0(VALU_DEP_3) | instskip(NEXT) | instid1(VALU_DEP_2)
	v_cndmask_b32_e64 v6, v6, 0, s13
	v_add_nc_u32_e32 v3, v8, v3
	s_delay_alu instid0(VALU_DEP_2) | instskip(NEXT) | instid1(VALU_DEP_2)
	v_add_nc_u32_e32 v4, v6, v4
	v_mov_b32_dpp v6, v3 row_shr:2 row_mask:0xf bank_mask:0xf
	v_cmp_eq_u32_e64 s13, 0, v3
	s_delay_alu instid0(VALU_DEP_3) | instskip(NEXT) | instid1(VALU_DEP_3)
	v_mov_b32_dpp v8, v4 row_shr:2 row_mask:0xf bank_mask:0xf
	v_cndmask_b32_e64 v6, 0, v6, s14
	s_delay_alu instid0(VALU_DEP_3) | instskip(SKIP_1) | instid1(VALU_DEP_3)
	s_and_b32 s13, s14, s13
	v_cmp_lt_u32_e64 s14, 3, v7
	v_cndmask_b32_e64 v8, 0, v8, s13
	s_delay_alu instid0(VALU_DEP_3) | instskip(NEXT) | instid1(VALU_DEP_2)
	v_add_nc_u32_e32 v3, v6, v3
	v_add_nc_u32_e32 v4, v8, v4
	s_delay_alu instid0(VALU_DEP_2) | instskip(SKIP_1) | instid1(VALU_DEP_3)
	v_cmp_eq_u32_e64 s13, 0, v3
	v_mov_b32_dpp v6, v3 row_shr:4 row_mask:0xf bank_mask:0xf
	v_mov_b32_dpp v7, v4 row_shr:4 row_mask:0xf bank_mask:0xf
	s_delay_alu instid0(VALU_DEP_3) | instskip(NEXT) | instid1(VALU_DEP_2)
	s_and_b32 s13, s14, s13
	v_cndmask_b32_e64 v6, 0, v6, s14
	s_delay_alu instid0(VALU_DEP_2) | instskip(NEXT) | instid1(VALU_DEP_2)
	v_cndmask_b32_e64 v7, 0, v7, s13
	v_add_nc_u32_e32 v3, v6, v3
	s_delay_alu instid0(VALU_DEP_2)
	v_add_nc_u32_e32 v4, v7, v4
	ds_store_b64 v5, v[3:4] offset:2064
.LBB929_127:
	s_or_b32 exec_lo, exec_lo, s15
	v_dual_mov_b32 v7, 0 :: v_dual_mov_b32 v4, v49
	v_mov_b32_e32 v3, 0
	s_mov_b32 s14, exec_lo
	s_waitcnt lgkmcnt(0)
	s_barrier
	buffer_gl0_inv
	v_cmpx_lt_u32_e32 31, v0
	s_cbranch_execz .LBB929_129
; %bb.128:
	v_lshlrev_b32_e32 v3, 3, v82
	ds_load_b64 v[3:4], v3 offset:2056
	s_waitcnt lgkmcnt(0)
	v_cmp_eq_u32_e64 s13, 0, v3
	s_delay_alu instid0(VALU_DEP_1) | instskip(NEXT) | instid1(VALU_DEP_1)
	v_cndmask_b32_e64 v5, 0, v49, s13
	v_add_nc_u32_e32 v4, v5, v4
.LBB929_129:
	s_or_b32 exec_lo, exec_lo, s14
	v_add_nc_u32_e32 v5, -1, v81
	s_delay_alu instid0(VALU_DEP_1) | instskip(NEXT) | instid1(VALU_DEP_1)
	v_cmp_gt_i32_e64 s13, 0, v5
	v_cndmask_b32_e64 v5, v5, v81, s13
	v_cmp_eq_u32_e64 s13, 0, v1
	v_add_nc_u32_e32 v1, v3, v1
	s_delay_alu instid0(VALU_DEP_3) | instskip(NEXT) | instid1(VALU_DEP_3)
	v_lshlrev_b32_e32 v5, 2, v5
	v_cndmask_b32_e64 v6, 0, v4, s13
	v_cmp_eq_u32_e64 s13, 0, v81
	ds_bpermute_b32 v1, v5, v1
	v_add_nc_u32_e32 v2, v6, v2
	ds_bpermute_b32 v2, v5, v2
	s_waitcnt lgkmcnt(1)
	v_cndmask_b32_e64 v1, v1, v3, s13
	s_delay_alu instid0(VALU_DEP_1) | instskip(SKIP_3) | instid1(VALU_DEP_2)
	v_cndmask_b32_e64 v53, v1, 0, s2
	s_waitcnt lgkmcnt(0)
	v_cndmask_b32_e64 v2, v2, v4, s13
	v_cmp_eq_u32_e64 s13, 0, v79
	v_cndmask_b32_e64 v54, v2, v49, s2
	s_delay_alu instid0(VALU_DEP_1) | instskip(NEXT) | instid1(VALU_DEP_1)
	v_cndmask_b32_e64 v2, 0, v54, s13
	v_add_nc_u32_e32 v60, v2, v35
	s_delay_alu instid0(VALU_DEP_1) | instskip(NEXT) | instid1(VALU_DEP_1)
	v_cndmask_b32_e64 v2, 0, v60, s7
	v_add_nc_u32_e32 v56, v2, v36
	;; [unrolled: 3-line block ×11, first 2 shown]
	ds_load_b64 v[1:2], v7 offset:2120
	v_cndmask_b32_e64 v3, 0, v38, s1
	s_delay_alu instid0(VALU_DEP_1) | instskip(NEXT) | instid1(VALU_DEP_1)
	v_add_nc_u32_e32 v62, v3, v26
	v_cndmask_b32_e32 v3, 0, v62, vcc_lo
	s_delay_alu instid0(VALU_DEP_1) | instskip(SKIP_3) | instid1(VALU_DEP_3)
	v_add_nc_u32_e32 v58, v3, v23
	s_waitcnt lgkmcnt(0)
	v_cmp_eq_u32_e32 vcc_lo, 0, v1
	v_add_nc_u32_e32 v59, v53, v79
	v_cndmask_b32_e64 v3, 0, v58, s0
	v_cndmask_b32_e32 v4, 0, v49, vcc_lo
	s_delay_alu instid0(VALU_DEP_3) | instskip(NEXT) | instid1(VALU_DEP_3)
	v_add_nc_u32_e32 v55, v59, v77
	v_add_nc_u32_e32 v50, v3, v24
	s_delay_alu instid0(VALU_DEP_3) | instskip(NEXT) | instid1(VALU_DEP_3)
	v_add_nc_u32_e32 v80, v4, v2
	v_add_nc_u32_e32 v51, v55, v76
	s_delay_alu instid0(VALU_DEP_1) | instskip(NEXT) | instid1(VALU_DEP_1)
	v_add_nc_u32_e32 v45, v51, v75
	v_add_nc_u32_e32 v41, v45, v74
	s_delay_alu instid0(VALU_DEP_1) | instskip(NEXT) | instid1(VALU_DEP_1)
	;; [unrolled: 3-line block ×5, first 2 shown]
	v_add_nc_u32_e32 v61, v37, v66
	v_add_nc_u32_e32 v57, v61, v65
	s_delay_alu instid0(VALU_DEP_1)
	v_add_nc_u32_e32 v49, v57, v64
	s_and_saveexec_b32 s0, s2
	s_cbranch_execz .LBB929_131
; %bb.130:
	v_and_b32_e32 v2, 0xff000000, v80
	v_dual_mov_b32 v4, 0 :: v_dual_and_b32 v3, 0xff0000, v80
	s_add_u32 s4, s24, 0x200
	v_and_b32_e32 v23, 0xff00, v80
	s_addc_u32 s5, s25, 0
	v_and_b32_e32 v24, 0xff, v80
	v_or_b32_e32 v2, v3, v2
	v_mov_b32_e32 v3, 2
	s_delay_alu instid0(VALU_DEP_2)
	v_or3_b32 v2, v2, v23, v24
	v_dual_mov_b32 v24, s5 :: v_dual_mov_b32 v23, s4
	;;#ASMSTART
	global_store_dwordx4 v[23:24], v[1:4] off	
s_waitcnt vmcnt(0)
	;;#ASMEND
.LBB929_131:
	s_or_b32 exec_lo, exec_lo, s0
	v_mov_b32_e32 v3, 0
.LBB929_132:
	v_mov_b32_e32 v23, 0
	s_and_b32 s0, s16, exec_lo
	v_mov_b32_e32 v24, 0
	s_cselect_b32 s1, 0, s43
	s_cselect_b32 s0, 0, s42
	s_delay_alu instid0(SALU_CYCLE_1)
	s_cmp_eq_u64 s[0:1], 0
	s_barrier
	buffer_gl0_inv
	s_cbranch_scc1 .LBB929_134
; %bb.133:
	v_mov_b32_e32 v2, 0
	global_load_b64 v[23:24], v2, s[0:1]
.LBB929_134:
	v_cmp_gt_u32_e32 vcc_lo, 0x100, v1
	s_cbranch_vccnz .LBB929_141
; %bb.135:
	v_cmp_eq_u32_e32 vcc_lo, 0, v77
	v_cmp_eq_u32_e64 s0, 0, v65
	v_cmp_eq_u32_e64 s1, 0, v64
	v_cmp_ne_u32_e64 s12, 0, v79
	v_cmp_ne_u32_e64 s3, 0, v66
	v_cndmask_b32_e64 v2, 1, 2, vcc_lo
	v_cmp_eq_u32_e32 vcc_lo, 0, v79
	v_cndmask_b32_e64 v26, 1, 2, s1
	v_cmp_ne_u32_e64 s1, 0, v65
	v_cmp_ne_u32_e64 s4, 0, v67
	;; [unrolled: 1-line block ×3, first 2 shown]
	v_cndmask_b32_e64 v4, 1, 2, vcc_lo
	v_cmp_eq_u32_e32 vcc_lo, 0, v76
	v_cmp_ne_u32_e64 s6, 0, v69
	v_cmp_ne_u32_e64 s7, 0, v70
	;; [unrolled: 1-line block ×3, first 2 shown]
	v_and_b32_e32 v2, v2, v4
	v_cndmask_b32_e64 v25, 1, 2, vcc_lo
	v_cmp_eq_u32_e32 vcc_lo, 0, v75
	v_cmp_ne_u32_e64 s9, 0, v73
	v_cmp_ne_u32_e64 s10, 0, v74
	;; [unrolled: 1-line block ×3, first 2 shown]
	v_and_b32_e32 v2, v2, v25
	v_cndmask_b32_e64 v4, 1, 2, vcc_lo
	v_cmp_eq_u32_e32 vcc_lo, 0, v74
	v_cmp_ne_u32_e64 s13, 0, v76
	v_cmp_ne_u32_e64 s14, 0, v77
	s_mov_b32 s17, 0
	v_and_b32_e32 v2, v2, v4
	v_cndmask_b32_e64 v25, 1, 2, vcc_lo
	v_cmp_eq_u32_e32 vcc_lo, 0, v73
	s_mov_b32 s16, exec_lo
	s_delay_alu instid0(VALU_DEP_2) | instskip(SKIP_2) | instid1(VALU_DEP_2)
	v_and_b32_e32 v2, v2, v25
	v_cndmask_b32_e64 v4, 1, 2, vcc_lo
	v_cmp_eq_u32_e32 vcc_lo, 0, v72
	v_and_b32_e32 v2, v2, v4
	v_cndmask_b32_e64 v25, 1, 2, vcc_lo
	v_cmp_eq_u32_e32 vcc_lo, 0, v70
	s_delay_alu instid0(VALU_DEP_2) | instskip(SKIP_2) | instid1(VALU_DEP_2)
	v_and_b32_e32 v2, v2, v25
	v_cndmask_b32_e64 v4, 1, 2, vcc_lo
	v_cmp_eq_u32_e32 vcc_lo, 0, v69
	v_and_b32_e32 v2, v2, v4
	v_cndmask_b32_e64 v25, 1, 2, vcc_lo
	v_cmp_eq_u32_e32 vcc_lo, 0, v68
	;; [unrolled: 7-line block ×3, first 2 shown]
	s_delay_alu instid0(VALU_DEP_2) | instskip(SKIP_4) | instid1(VALU_DEP_4)
	v_and_b32_e32 v2, v2, v25
	v_cndmask_b32_e64 v4, 1, 2, vcc_lo
	v_cndmask_b32_e64 v25, 1, 2, s0
	v_cmp_eq_u32_e64 s0, 0, v71
	v_cmp_ne_u32_e32 vcc_lo, 0, v71
	v_and_b32_e32 v2, v2, v4
	s_delay_alu instid0(VALU_DEP_3) | instskip(SKIP_1) | instid1(VALU_DEP_3)
	v_cndmask_b32_e64 v4, 1, 2, s0
	v_cmp_ne_u32_e64 s0, 0, v64
	v_and_b32_e32 v2, v2, v25
	s_delay_alu instid0(VALU_DEP_1) | instskip(NEXT) | instid1(VALU_DEP_1)
	v_and_b32_e32 v2, v2, v26
	v_and_b32_e32 v2, v2, v4
	s_delay_alu instid0(VALU_DEP_1)
	v_cmpx_gt_i16_e32 2, v2
	s_cbranch_execz .LBB929_140
; %bb.136:
	v_cmp_ne_u16_e64 s15, 1, v2
	s_delay_alu instid0(VALU_DEP_1) | instskip(NEXT) | instid1(SALU_CYCLE_1)
	s_and_saveexec_b32 s18, s15
	s_xor_b32 s15, exec_lo, s18
	s_cbranch_execnz .LBB929_163
; %bb.137:
	s_and_not1_saveexec_b32 s0, s15
	s_cbranch_execnz .LBB929_179
.LBB929_138:
	s_or_b32 exec_lo, exec_lo, s0
	s_delay_alu instid0(SALU_CYCLE_1)
	s_and_b32 exec_lo, exec_lo, s17
	s_cbranch_execz .LBB929_140
.LBB929_139:
	v_sub_nc_u32_e32 v2, v49, v3
	s_delay_alu instid0(VALU_DEP_1)
	v_lshlrev_b32_e32 v2, 2, v2
	ds_store_b32 v2, v63
.LBB929_140:
	s_or_b32 exec_lo, exec_lo, s16
	s_waitcnt vmcnt(0) lgkmcnt(0)
	s_barrier
	buffer_gl0_inv
.LBB929_141:
	s_cmpk_lg_i32 s31, 0xf00
	v_cndmask_b32_e64 v13, 0, 1, s33
	s_cselect_b32 s0, -1, 0
	v_mad_i32_i24 v10, v0, -15, s31
	s_and_b32 s0, s0, s30
	s_and_b32 s1, s2, s33
	v_cndmask_b32_e64 v9, 0, 1, s0
	s_mul_hi_u32 s0, s31, 0x88888889
	v_sub_nc_u32_e32 v2, v1, v13
	s_lshr_b32 s0, s0, 3
	v_cndmask_b32_e64 v11, v79, 0, s1
	v_cmp_eq_u32_e32 vcc_lo, s0, v0
	v_cmp_ne_u32_e64 s0, 0, v10
	s_mov_b32 s16, -1
	s_waitcnt vmcnt(0)
	s_barrier
	s_and_b32 vcc_lo, vcc_lo, s30
	v_add_nc_u32_e32 v2, v2, v9
	v_cndmask_b32_e64 v9, 1, v11, s0
	v_cmp_ne_u32_e64 s0, 1, v10
	buffer_gl0_inv
	v_cndmask_b32_e32 v18, v11, v9, vcc_lo
	v_cndmask_b32_e64 v12, 1, v77, s0
	v_cmp_ne_u32_e64 s0, 2, v10
	s_delay_alu instid0(VALU_DEP_2) | instskip(NEXT) | instid1(VALU_DEP_2)
	v_cndmask_b32_e32 v19, v77, v12, vcc_lo
	v_cndmask_b32_e64 v14, 1, v76, s0
	v_cmp_ne_u32_e64 s0, 14, v10
	s_delay_alu instid0(VALU_DEP_3) | instskip(NEXT) | instid1(VALU_DEP_2)
	v_cmp_ne_u32_e64 s13, 0, v19
	v_cndmask_b32_e64 v15, 1, v71, s0
	v_cmp_ne_u32_e64 s0, 3, v10
	s_delay_alu instid0(VALU_DEP_2) | instskip(NEXT) | instid1(VALU_DEP_2)
	v_dual_mov_b32 v4, 0 :: v_dual_cndmask_b32 v15, v71, v15
	v_cndmask_b32_e64 v16, 1, v75, s0
	v_cmp_ne_u32_e64 s0, 4, v10
	s_delay_alu instid0(VALU_DEP_1) | instskip(SKIP_1) | instid1(VALU_DEP_2)
	v_cndmask_b32_e64 v17, 1, v74, s0
	v_cmp_ne_u32_e64 s0, 5, v10
	v_dual_cndmask_b32 v14, v76, v14 :: v_dual_cndmask_b32 v17, v74, v17
	s_delay_alu instid0(VALU_DEP_2) | instskip(SKIP_2) | instid1(VALU_DEP_4)
	v_cndmask_b32_e64 v9, 1, v73, s0
	v_cmp_ne_u32_e64 s0, 6, v10
	v_cndmask_b32_e32 v16, v75, v16, vcc_lo
	v_cmp_ne_u32_e64 s12, 0, v14
	v_cmp_ne_u32_e64 s10, 0, v17
	v_cndmask_b32_e32 v27, v73, v9, vcc_lo
	v_cndmask_b32_e64 v11, 1, v72, s0
	v_cmp_eq_u32_e64 s0, 0, v18
	v_cmp_ne_u32_e64 s11, 0, v16
	s_delay_alu instid0(VALU_DEP_4) | instskip(NEXT) | instid1(VALU_DEP_3)
	v_cmp_ne_u32_e64 s9, 0, v27
	v_cndmask_b32_e64 v12, 1, 2, s0
	v_cmp_eq_u32_e64 s0, 0, v19
	s_delay_alu instid0(VALU_DEP_1) | instskip(SKIP_1) | instid1(VALU_DEP_1)
	v_cndmask_b32_e64 v20, 1, 2, s0
	v_cmp_ne_u32_e64 s0, 7, v10
	v_cndmask_b32_e64 v21, 1, v70, s0
	v_cmp_eq_u32_e64 s0, 0, v14
	s_delay_alu instid0(VALU_DEP_2) | instskip(NEXT) | instid1(VALU_DEP_2)
	v_dual_cndmask_b32 v21, v70, v21 :: v_dual_and_b32 v12, v20, v12
	v_cndmask_b32_e64 v20, 1, 2, s0
	v_cmp_ne_u32_e64 s0, 8, v10
	s_delay_alu instid0(VALU_DEP_3) | instskip(NEXT) | instid1(VALU_DEP_3)
	v_cmp_ne_u32_e64 s7, 0, v21
	v_and_b32_e32 v12, v12, v20
	s_delay_alu instid0(VALU_DEP_3) | instskip(SKIP_1) | instid1(VALU_DEP_2)
	v_cndmask_b32_e64 v22, 1, v69, s0
	v_cmp_ne_u32_e64 s0, 9, v10
	v_cndmask_b32_e32 v22, v69, v22, vcc_lo
	s_delay_alu instid0(VALU_DEP_2) | instskip(SKIP_1) | instid1(VALU_DEP_2)
	v_cndmask_b32_e64 v25, 1, v68, s0
	v_cmp_eq_u32_e64 s0, 0, v16
	v_cndmask_b32_e32 v25, v68, v25, vcc_lo
	s_delay_alu instid0(VALU_DEP_2) | instskip(SKIP_1) | instid1(VALU_DEP_3)
	v_cndmask_b32_e64 v20, 1, 2, s0
	v_cmp_ne_u32_e64 s0, 10, v10
	v_cmp_ne_u32_e64 s5, 0, v25
	s_delay_alu instid0(VALU_DEP_3) | instskip(NEXT) | instid1(VALU_DEP_3)
	v_and_b32_e32 v9, v12, v20
	v_cndmask_b32_e64 v26, 1, v67, s0
	v_cmp_eq_u32_e64 s0, 0, v17
	v_cmp_ne_u32_e64 s14, 0, v18
	s_delay_alu instid0(VALU_DEP_3) | instskip(NEXT) | instid1(VALU_DEP_3)
	v_cndmask_b32_e32 v26, v67, v26, vcc_lo
	v_cndmask_b32_e64 v12, 1, 2, s0
	v_cmp_ne_u32_e64 s0, 11, v10
	s_delay_alu instid0(VALU_DEP_3) | instskip(NEXT) | instid1(VALU_DEP_3)
	v_cmp_ne_u32_e64 s4, 0, v26
	v_and_b32_e32 v9, v9, v12
	s_delay_alu instid0(VALU_DEP_3) | instskip(SKIP_1) | instid1(VALU_DEP_2)
	v_cndmask_b32_e64 v20, 1, v66, s0
	v_cmp_ne_u32_e64 s0, 13, v10
	v_cndmask_b32_e32 v20, v66, v20, vcc_lo
	s_delay_alu instid0(VALU_DEP_2) | instskip(SKIP_1) | instid1(VALU_DEP_3)
	v_cndmask_b32_e64 v28, 1, v64, s0
	v_cmp_eq_u32_e64 s0, 0, v27
	v_cmp_ne_u32_e64 s3, 0, v20
	s_delay_alu instid0(VALU_DEP_2) | instskip(SKIP_1) | instid1(VALU_DEP_2)
	v_cndmask_b32_e64 v12, 1, 2, s0
	v_cmp_ne_u32_e64 s0, 12, v10
	v_and_b32_e32 v9, v9, v12
	s_delay_alu instid0(VALU_DEP_2) | instskip(NEXT) | instid1(VALU_DEP_1)
	v_cndmask_b32_e64 v10, 1, v65, s0
	v_dual_cndmask_b32 v29, v72, v11 :: v_dual_cndmask_b32 v30, v65, v10
	s_delay_alu instid0(VALU_DEP_1) | instskip(SKIP_1) | instid1(VALU_DEP_3)
	v_cmp_eq_u32_e64 s0, 0, v29
	v_cmp_ne_u32_e64 s8, 0, v29
	v_cmp_ne_u32_e64 s2, 0, v30
	s_delay_alu instid0(VALU_DEP_3) | instskip(SKIP_3) | instid1(VALU_DEP_4)
	v_cndmask_b32_e64 v11, 1, 2, s0
	v_cmp_eq_u32_e64 s0, 0, v21
	v_cndmask_b32_e32 v28, v64, v28, vcc_lo
	v_cmp_eq_u32_e32 vcc_lo, 0, v22
	v_and_b32_e32 v31, v9, v11
	v_lshlrev_b64 v[9:10], 2, v[23:24]
	v_cndmask_b32_e64 v32, 1, 2, s0
	v_lshlrev_b64 v[11:12], 2, v[3:4]
	v_cmp_ne_u32_e64 s1, 0, v28
	v_cmp_ne_u32_e64 s0, 0, v15
	s_delay_alu instid0(VALU_DEP_4) | instskip(SKIP_4) | instid1(VALU_DEP_4)
	v_and_b32_e32 v4, v31, v32
	v_cndmask_b32_e64 v31, 1, 2, vcc_lo
	v_add_co_u32 v9, vcc_lo, s36, v9
	v_add_co_ci_u32_e32 v10, vcc_lo, s37, v10, vcc_lo
	v_cmp_eq_u32_e32 vcc_lo, 0, v25
	v_and_b32_e32 v4, v4, v31
	v_cndmask_b32_e64 v31, 1, 2, vcc_lo
	v_add_co_u32 v9, vcc_lo, v9, v11
	v_add_co_ci_u32_e32 v10, vcc_lo, v10, v12, vcc_lo
	v_lshlrev_b32_e32 v11, 2, v13
	v_cmp_eq_u32_e32 vcc_lo, 0, v26
	v_and_b32_e32 v4, v4, v31
	v_cmp_ne_u32_e64 s6, 0, v22
	v_cndmask_b32_e64 v12, 1, 2, vcc_lo
	v_add_co_u32 v11, vcc_lo, v11, v9
	v_add_co_ci_u32_e32 v31, vcc_lo, 0, v10, vcc_lo
	v_cmp_eq_u32_e32 vcc_lo, 0, v20
	s_delay_alu instid0(VALU_DEP_4)
	v_and_b32_e32 v32, v4, v12
	v_add_nc_u32_e32 v4, v3, v13
	v_cndmask_b32_e64 v33, 1, 2, vcc_lo
	v_add_co_u32 v11, vcc_lo, v11, -4
	v_add_co_ci_u32_e32 v12, vcc_lo, -1, v31, vcc_lo
	v_cmp_eq_u32_e32 vcc_lo, 0, v30
	s_delay_alu instid0(VALU_DEP_4) | instskip(SKIP_2) | instid1(VALU_DEP_2)
	v_and_b32_e32 v13, v32, v33
	v_cndmask_b32_e64 v31, 1, 2, vcc_lo
	v_cmp_eq_u32_e32 vcc_lo, 0, v28
	v_and_b32_e32 v13, v13, v31
	v_cndmask_b32_e64 v14, 1, 2, vcc_lo
	v_cmp_eq_u32_e32 vcc_lo, 0, v15
	s_delay_alu instid0(VALU_DEP_2) | instskip(SKIP_2) | instid1(VALU_DEP_2)
	v_and_b32_e32 v13, v13, v14
	v_cndmask_b32_e64 v14, 1, 2, vcc_lo
	v_cmp_gt_u32_e32 vcc_lo, 0x100, v2
	v_and_b32_e32 v13, v13, v14
	s_delay_alu instid0(VALU_DEP_1)
	v_cmp_gt_i16_e64 s15, 2, v13
	s_cbranch_vccnz .LBB929_145
; %bb.142:
	s_and_b32 vcc_lo, exec_lo, s16
	s_cbranch_vccnz .LBB929_151
.LBB929_143:
	v_cmp_eq_u32_e32 vcc_lo, 0xff, v0
	s_and_b32 s0, vcc_lo, s30
	s_delay_alu instid0(SALU_CYCLE_1)
	s_and_saveexec_b32 s1, s0
	s_cbranch_execnz .LBB929_160
.LBB929_144:
	s_nop 0
	s_sendmsg sendmsg(MSG_DEALLOC_VGPRS)
	s_endpgm
.LBB929_145:
	s_delay_alu instid0(VALU_DEP_1)
	s_and_saveexec_b32 s16, s15
	s_cbranch_execz .LBB929_150
; %bb.146:
	s_mov_b32 s17, 0
	s_mov_b32 s15, exec_lo
	v_cmpx_ne_u16_e32 1, v13
	s_xor_b32 s15, exec_lo, s15
	s_cbranch_execnz .LBB929_180
; %bb.147:
	s_and_not1_saveexec_b32 s15, s15
	s_cbranch_execnz .LBB929_196
.LBB929_148:
	s_or_b32 exec_lo, exec_lo, s15
	s_delay_alu instid0(SALU_CYCLE_1)
	s_and_b32 exec_lo, exec_lo, s17
	s_cbranch_execz .LBB929_150
.LBB929_149:
	v_sub_nc_u32_e32 v14, v49, v4
	v_mov_b32_e32 v15, 0
	s_delay_alu instid0(VALU_DEP_1) | instskip(NEXT) | instid1(VALU_DEP_1)
	v_lshlrev_b64 v[14:15], 2, v[14:15]
	v_add_co_u32 v14, vcc_lo, v11, v14
	s_delay_alu instid0(VALU_DEP_2)
	v_add_co_ci_u32_e32 v15, vcc_lo, v12, v15, vcc_lo
	global_store_b32 v[14:15], v50, off
.LBB929_150:
	s_or_b32 exec_lo, exec_lo, s16
	s_branch .LBB929_143
.LBB929_151:
	s_mov_b32 s15, exec_lo
	v_cmpx_gt_i16_e32 2, v13
	s_cbranch_execz .LBB929_156
; %bb.152:
	s_mov_b32 s17, 0
	s_mov_b32 s16, exec_lo
	v_cmpx_ne_u16_e32 1, v13
	s_xor_b32 s16, exec_lo, s16
	s_cbranch_execnz .LBB929_197
; %bb.153:
	s_and_not1_saveexec_b32 s0, s16
	s_cbranch_execnz .LBB929_213
.LBB929_154:
	s_or_b32 exec_lo, exec_lo, s0
	s_delay_alu instid0(SALU_CYCLE_1)
	s_and_b32 exec_lo, exec_lo, s17
	s_cbranch_execz .LBB929_156
.LBB929_155:
	v_sub_nc_u32_e32 v4, v49, v4
	s_delay_alu instid0(VALU_DEP_1)
	v_lshlrev_b32_e32 v4, 2, v4
	ds_store_b32 v4, v50
.LBB929_156:
	s_or_b32 exec_lo, exec_lo, s15
	s_delay_alu instid0(SALU_CYCLE_1)
	s_mov_b32 s1, exec_lo
	s_waitcnt lgkmcnt(0)
	s_waitcnt_vscnt null, 0x0
	s_barrier
	buffer_gl0_inv
	v_cmpx_lt_u32_e64 v0, v2
	s_cbranch_execz .LBB929_159
; %bb.157:
	v_dual_mov_b32 v5, 0 :: v_dual_lshlrev_b32 v6, 2, v0
	v_mov_b32_e32 v4, v0
	s_mov_b32 s2, 0
	.p2align	6
.LBB929_158:                            ; =>This Inner Loop Header: Depth=1
	ds_load_b32 v13, v6
	v_lshlrev_b64 v[7:8], 2, v[4:5]
	v_add_nc_u32_e32 v4, 0x100, v4
	v_add_nc_u32_e32 v6, 0x400, v6
	s_delay_alu instid0(VALU_DEP_2) | instskip(NEXT) | instid1(VALU_DEP_4)
	v_cmp_ge_u32_e32 vcc_lo, v4, v2
	v_add_co_u32 v7, s0, v11, v7
	s_delay_alu instid0(VALU_DEP_1)
	v_add_co_ci_u32_e64 v8, s0, v12, v8, s0
	s_or_b32 s2, vcc_lo, s2
	s_waitcnt lgkmcnt(0)
	global_store_b32 v[7:8], v13, off
	s_and_not1_b32 exec_lo, exec_lo, s2
	s_cbranch_execnz .LBB929_158
.LBB929_159:
	s_or_b32 exec_lo, exec_lo, s1
	v_cmp_eq_u32_e32 vcc_lo, 0xff, v0
	s_and_b32 s0, vcc_lo, s30
	s_delay_alu instid0(SALU_CYCLE_1)
	s_and_saveexec_b32 s1, s0
	s_cbranch_execz .LBB929_144
.LBB929_160:
	v_add_co_u32 v0, s0, v1, v3
	s_delay_alu instid0(VALU_DEP_1) | instskip(SKIP_1) | instid1(VALU_DEP_3)
	v_add_co_ci_u32_e64 v4, null, 0, 0, s0
	v_mov_b32_e32 v2, 0
	v_add_co_u32 v3, vcc_lo, v0, v23
	s_delay_alu instid0(VALU_DEP_3)
	v_add_co_ci_u32_e32 v4, vcc_lo, v4, v24, vcc_lo
	s_cmpk_lg_i32 s31, 0xf00
	global_store_b64 v2, v[3:4], s[38:39]
	s_cbranch_scc1 .LBB929_144
; %bb.161:
	v_lshlrev_b64 v[0:1], 2, v[1:2]
	s_delay_alu instid0(VALU_DEP_1) | instskip(NEXT) | instid1(VALU_DEP_2)
	v_add_co_u32 v0, vcc_lo, v9, v0
	v_add_co_ci_u32_e32 v1, vcc_lo, v10, v1, vcc_lo
	global_store_b32 v[0:1], v80, off offset:-4
	s_nop 0
	s_sendmsg sendmsg(MSG_DEALLOC_VGPRS)
	s_endpgm
.LBB929_162:
	s_or_b32 exec_lo, exec_lo, s4
	v_mov_b32_e32 v79, s1
	s_and_saveexec_b32 s1, s45
	s_cbranch_execnz .LBB929_88
	s_branch .LBB929_89
.LBB929_163:
	s_and_saveexec_b32 s17, s12
	s_cbranch_execnz .LBB929_214
; %bb.164:
	s_or_b32 exec_lo, exec_lo, s17
	s_and_saveexec_b32 s12, s14
	s_cbranch_execnz .LBB929_215
.LBB929_165:
	s_or_b32 exec_lo, exec_lo, s12
	s_and_saveexec_b32 s12, s13
	s_cbranch_execnz .LBB929_216
.LBB929_166:
	s_or_b32 exec_lo, exec_lo, s12
	s_and_saveexec_b32 s12, s11
	s_cbranch_execnz .LBB929_217
.LBB929_167:
	s_or_b32 exec_lo, exec_lo, s12
	s_and_saveexec_b32 s11, s10
	s_cbranch_execnz .LBB929_218
.LBB929_168:
	s_or_b32 exec_lo, exec_lo, s11
	s_and_saveexec_b32 s10, s9
	s_cbranch_execnz .LBB929_219
.LBB929_169:
	s_or_b32 exec_lo, exec_lo, s10
	s_and_saveexec_b32 s9, s8
	s_cbranch_execnz .LBB929_220
.LBB929_170:
	s_or_b32 exec_lo, exec_lo, s9
	s_and_saveexec_b32 s8, s7
	s_cbranch_execnz .LBB929_221
.LBB929_171:
	s_or_b32 exec_lo, exec_lo, s8
	s_and_saveexec_b32 s7, s6
	s_cbranch_execnz .LBB929_222
.LBB929_172:
	s_or_b32 exec_lo, exec_lo, s7
	s_and_saveexec_b32 s6, s5
	s_cbranch_execnz .LBB929_223
.LBB929_173:
	s_or_b32 exec_lo, exec_lo, s6
	s_and_saveexec_b32 s5, s4
	s_cbranch_execnz .LBB929_224
.LBB929_174:
	s_or_b32 exec_lo, exec_lo, s5
	s_and_saveexec_b32 s4, s3
	s_cbranch_execnz .LBB929_225
.LBB929_175:
	s_or_b32 exec_lo, exec_lo, s4
	s_and_saveexec_b32 s3, s1
	s_cbranch_execnz .LBB929_226
.LBB929_176:
	s_or_b32 exec_lo, exec_lo, s3
	s_and_saveexec_b32 s1, s0
	s_cbranch_execz .LBB929_178
.LBB929_177:
	v_sub_nc_u32_e32 v2, v57, v3
	s_delay_alu instid0(VALU_DEP_1)
	v_lshlrev_b32_e32 v2, 2, v2
	ds_store_b32 v2, v10
.LBB929_178:
	s_or_b32 exec_lo, exec_lo, s1
	s_delay_alu instid0(SALU_CYCLE_1)
	s_and_b32 s17, vcc_lo, exec_lo
                                        ; implicit-def: $vgpr21
                                        ; implicit-def: $vgpr19
                                        ; implicit-def: $vgpr17
                                        ; implicit-def: $vgpr15
                                        ; implicit-def: $vgpr13
                                        ; implicit-def: $vgpr11
                                        ; implicit-def: $vgpr9
	s_and_not1_saveexec_b32 s0, s15
	s_cbranch_execz .LBB929_138
.LBB929_179:
	v_sub_nc_u32_e32 v2, v53, v3
	v_sub_nc_u32_e32 v4, v59, v3
	v_sub_nc_u32_e32 v25, v55, v3
	v_sub_nc_u32_e32 v26, v51, v3
	s_or_b32 s17, s17, exec_lo
	v_lshlrev_b32_e32 v2, 2, v2
	v_lshlrev_b32_e32 v4, 2, v4
	;; [unrolled: 1-line block ×4, first 2 shown]
	ds_store_b32 v2, v21
	ds_store_b32 v4, v22
	;; [unrolled: 1-line block ×3, first 2 shown]
	v_sub_nc_u32_e32 v2, v45, v3
	v_sub_nc_u32_e32 v4, v41, v3
	;; [unrolled: 1-line block ×3, first 2 shown]
	ds_store_b32 v26, v20
	v_sub_nc_u32_e32 v20, v43, v3
	v_lshlrev_b32_e32 v2, 2, v2
	v_sub_nc_u32_e32 v21, v47, v3
	v_lshlrev_b32_e32 v4, 2, v4
	v_lshlrev_b32_e32 v19, 2, v19
	;; [unrolled: 1-line block ×3, first 2 shown]
	ds_store_b32 v2, v17
	v_lshlrev_b32_e32 v2, 2, v21
	ds_store_b32 v4, v18
	ds_store_b32 v19, v15
	;; [unrolled: 1-line block ×3, first 2 shown]
	v_sub_nc_u32_e32 v4, v5, v3
	v_sub_nc_u32_e32 v16, v57, v3
	;; [unrolled: 1-line block ×3, first 2 shown]
	ds_store_b32 v2, v13
	v_sub_nc_u32_e32 v2, v7, v3
	v_lshlrev_b32_e32 v4, 2, v4
	v_sub_nc_u32_e32 v13, v37, v3
	v_lshlrev_b32_e32 v15, 2, v15
	s_delay_alu instid0(VALU_DEP_4)
	v_lshlrev_b32_e32 v2, 2, v2
	ds_store_b32 v4, v14
	v_lshlrev_b32_e32 v4, 2, v16
	v_lshlrev_b32_e32 v13, 2, v13
	ds_store_b32 v2, v11
	ds_store_b32 v13, v12
	;; [unrolled: 1-line block ×4, first 2 shown]
	s_or_b32 exec_lo, exec_lo, s0
	s_delay_alu instid0(SALU_CYCLE_1)
	s_and_b32 exec_lo, exec_lo, s17
	s_cbranch_execnz .LBB929_139
	s_branch .LBB929_140
.LBB929_180:
	s_and_saveexec_b32 s17, s14
	s_cbranch_execnz .LBB929_227
; %bb.181:
	s_or_b32 exec_lo, exec_lo, s17
	s_and_saveexec_b32 s17, s13
	s_cbranch_execnz .LBB929_228
.LBB929_182:
	s_or_b32 exec_lo, exec_lo, s17
	s_and_saveexec_b32 s17, s12
	s_cbranch_execnz .LBB929_229
.LBB929_183:
	s_or_b32 exec_lo, exec_lo, s17
	s_and_saveexec_b32 s17, s11
	s_cbranch_execnz .LBB929_230
.LBB929_184:
	s_or_b32 exec_lo, exec_lo, s17
	s_and_saveexec_b32 s17, s10
	s_cbranch_execnz .LBB929_231
.LBB929_185:
	s_or_b32 exec_lo, exec_lo, s17
	s_and_saveexec_b32 s17, s9
	s_cbranch_execnz .LBB929_232
.LBB929_186:
	s_or_b32 exec_lo, exec_lo, s17
	s_and_saveexec_b32 s17, s8
	s_cbranch_execnz .LBB929_233
.LBB929_187:
	s_or_b32 exec_lo, exec_lo, s17
	s_and_saveexec_b32 s17, s7
	s_cbranch_execnz .LBB929_234
.LBB929_188:
	s_or_b32 exec_lo, exec_lo, s17
	s_and_saveexec_b32 s17, s6
	s_cbranch_execnz .LBB929_235
.LBB929_189:
	s_or_b32 exec_lo, exec_lo, s17
	s_and_saveexec_b32 s17, s5
	s_cbranch_execnz .LBB929_236
.LBB929_190:
	s_or_b32 exec_lo, exec_lo, s17
	s_and_saveexec_b32 s17, s4
	s_cbranch_execnz .LBB929_237
.LBB929_191:
	s_or_b32 exec_lo, exec_lo, s17
	s_and_saveexec_b32 s17, s3
	s_cbranch_execnz .LBB929_238
.LBB929_192:
	s_or_b32 exec_lo, exec_lo, s17
	s_and_saveexec_b32 s17, s2
	s_cbranch_execnz .LBB929_239
.LBB929_193:
	s_or_b32 exec_lo, exec_lo, s17
	s_and_saveexec_b32 s17, s1
	s_cbranch_execz .LBB929_195
.LBB929_194:
	v_sub_nc_u32_e32 v14, v57, v4
	v_mov_b32_e32 v15, 0
	s_delay_alu instid0(VALU_DEP_1) | instskip(NEXT) | instid1(VALU_DEP_1)
	v_lshlrev_b64 v[14:15], 2, v[14:15]
	v_add_co_u32 v14, vcc_lo, v11, v14
	s_delay_alu instid0(VALU_DEP_2)
	v_add_co_ci_u32_e32 v15, vcc_lo, v12, v15, vcc_lo
	global_store_b32 v[14:15], v58, off
.LBB929_195:
	s_or_b32 exec_lo, exec_lo, s17
	s_delay_alu instid0(SALU_CYCLE_1)
	s_and_b32 s17, s0, exec_lo
	s_and_not1_saveexec_b32 s15, s15
	s_cbranch_execz .LBB929_148
.LBB929_196:
	v_sub_nc_u32_e32 v14, v53, v4
	v_mov_b32_e32 v15, 0
	s_or_b32 s17, s17, exec_lo
	s_delay_alu instid0(VALU_DEP_1) | instskip(SKIP_1) | instid1(VALU_DEP_1)
	v_lshlrev_b64 v[16:17], 2, v[14:15]
	v_sub_nc_u32_e32 v14, v59, v4
	v_lshlrev_b64 v[18:19], 2, v[14:15]
	v_sub_nc_u32_e32 v14, v55, v4
	s_delay_alu instid0(VALU_DEP_4) | instskip(SKIP_1) | instid1(VALU_DEP_3)
	v_add_co_u32 v16, vcc_lo, v11, v16
	v_add_co_ci_u32_e32 v17, vcc_lo, v12, v17, vcc_lo
	v_lshlrev_b64 v[20:21], 2, v[14:15]
	v_sub_nc_u32_e32 v14, v51, v4
	v_add_co_u32 v18, vcc_lo, v11, v18
	v_add_co_ci_u32_e32 v19, vcc_lo, v12, v19, vcc_lo
	global_store_b32 v[16:17], v54, off
	v_lshlrev_b64 v[16:17], 2, v[14:15]
	v_sub_nc_u32_e32 v14, v45, v4
	global_store_b32 v[18:19], v60, off
	v_add_co_u32 v18, vcc_lo, v11, v20
	v_add_co_ci_u32_e32 v19, vcc_lo, v12, v21, vcc_lo
	v_lshlrev_b64 v[20:21], 2, v[14:15]
	v_sub_nc_u32_e32 v14, v41, v4
	v_add_co_u32 v16, vcc_lo, v11, v16
	v_add_co_ci_u32_e32 v17, vcc_lo, v12, v17, vcc_lo
	s_delay_alu instid0(VALU_DEP_3) | instskip(SKIP_3) | instid1(VALU_DEP_3)
	v_lshlrev_b64 v[25:26], 2, v[14:15]
	v_sub_nc_u32_e32 v14, v39, v4
	v_add_co_u32 v20, vcc_lo, v11, v20
	v_add_co_ci_u32_e32 v21, vcc_lo, v12, v21, vcc_lo
	v_lshlrev_b64 v[27:28], 2, v[14:15]
	v_sub_nc_u32_e32 v14, v43, v4
	v_add_co_u32 v25, vcc_lo, v11, v25
	v_add_co_ci_u32_e32 v26, vcc_lo, v12, v26, vcc_lo
	s_clause 0x3
	global_store_b32 v[18:19], v56, off
	global_store_b32 v[16:17], v52, off
	;; [unrolled: 1-line block ×4, first 2 shown]
	v_lshlrev_b64 v[16:17], 2, v[14:15]
	v_sub_nc_u32_e32 v14, v47, v4
	v_add_co_u32 v18, vcc_lo, v11, v27
	v_add_co_ci_u32_e32 v19, vcc_lo, v12, v28, vcc_lo
	s_delay_alu instid0(VALU_DEP_3) | instskip(SKIP_3) | instid1(VALU_DEP_3)
	v_lshlrev_b64 v[20:21], 2, v[14:15]
	v_sub_nc_u32_e32 v14, v5, v4
	v_add_co_u32 v16, vcc_lo, v11, v16
	v_add_co_ci_u32_e32 v17, vcc_lo, v12, v17, vcc_lo
	v_lshlrev_b64 v[25:26], 2, v[14:15]
	v_sub_nc_u32_e32 v14, v7, v4
	v_add_co_u32 v20, vcc_lo, v11, v20
	v_add_co_ci_u32_e32 v21, vcc_lo, v12, v21, vcc_lo
	s_delay_alu instid0(VALU_DEP_3)
	v_lshlrev_b64 v[27:28], 2, v[14:15]
	v_sub_nc_u32_e32 v14, v37, v4
	v_add_co_u32 v25, vcc_lo, v11, v25
	v_add_co_ci_u32_e32 v26, vcc_lo, v12, v26, vcc_lo
	s_clause 0x3
	global_store_b32 v[18:19], v40, off
	global_store_b32 v[16:17], v44, off
	;; [unrolled: 1-line block ×4, first 2 shown]
	v_lshlrev_b64 v[16:17], 2, v[14:15]
	v_sub_nc_u32_e32 v14, v61, v4
	v_add_co_u32 v18, vcc_lo, v11, v27
	v_add_co_ci_u32_e32 v19, vcc_lo, v12, v28, vcc_lo
	s_delay_alu instid0(VALU_DEP_3) | instskip(SKIP_3) | instid1(VALU_DEP_3)
	v_lshlrev_b64 v[20:21], 2, v[14:15]
	v_sub_nc_u32_e32 v14, v57, v4
	v_add_co_u32 v16, vcc_lo, v11, v16
	v_add_co_ci_u32_e32 v17, vcc_lo, v12, v17, vcc_lo
	v_lshlrev_b64 v[14:15], 2, v[14:15]
	v_add_co_u32 v20, vcc_lo, v11, v20
	v_add_co_ci_u32_e32 v21, vcc_lo, v12, v21, vcc_lo
	s_clause 0x2
	global_store_b32 v[18:19], v8, off
	global_store_b32 v[16:17], v38, off
	;; [unrolled: 1-line block ×3, first 2 shown]
	v_add_co_u32 v14, vcc_lo, v11, v14
	v_add_co_ci_u32_e32 v15, vcc_lo, v12, v15, vcc_lo
	global_store_b32 v[14:15], v58, off
	s_or_b32 exec_lo, exec_lo, s15
	s_delay_alu instid0(SALU_CYCLE_1)
	s_and_b32 exec_lo, exec_lo, s17
	s_cbranch_execnz .LBB929_149
	s_branch .LBB929_150
.LBB929_197:
	s_and_saveexec_b32 s17, s14
	s_cbranch_execnz .LBB929_240
; %bb.198:
	s_or_b32 exec_lo, exec_lo, s17
	s_and_saveexec_b32 s14, s13
	s_cbranch_execnz .LBB929_241
.LBB929_199:
	s_or_b32 exec_lo, exec_lo, s14
	s_and_saveexec_b32 s13, s12
	s_cbranch_execnz .LBB929_242
.LBB929_200:
	s_or_b32 exec_lo, exec_lo, s13
	s_and_saveexec_b32 s12, s11
	s_cbranch_execnz .LBB929_243
.LBB929_201:
	s_or_b32 exec_lo, exec_lo, s12
	s_and_saveexec_b32 s11, s10
	s_cbranch_execnz .LBB929_244
.LBB929_202:
	s_or_b32 exec_lo, exec_lo, s11
	s_and_saveexec_b32 s10, s9
	s_cbranch_execnz .LBB929_245
.LBB929_203:
	s_or_b32 exec_lo, exec_lo, s10
	s_and_saveexec_b32 s9, s8
	s_cbranch_execnz .LBB929_246
.LBB929_204:
	s_or_b32 exec_lo, exec_lo, s9
	s_and_saveexec_b32 s8, s7
	s_cbranch_execnz .LBB929_247
.LBB929_205:
	s_or_b32 exec_lo, exec_lo, s8
	s_and_saveexec_b32 s7, s6
	s_cbranch_execnz .LBB929_248
.LBB929_206:
	s_or_b32 exec_lo, exec_lo, s7
	s_and_saveexec_b32 s6, s5
	s_cbranch_execnz .LBB929_249
.LBB929_207:
	s_or_b32 exec_lo, exec_lo, s6
	s_and_saveexec_b32 s5, s4
	s_cbranch_execnz .LBB929_250
.LBB929_208:
	s_or_b32 exec_lo, exec_lo, s5
	s_and_saveexec_b32 s4, s3
	s_cbranch_execnz .LBB929_251
.LBB929_209:
	s_or_b32 exec_lo, exec_lo, s4
	s_and_saveexec_b32 s3, s2
	s_cbranch_execnz .LBB929_252
.LBB929_210:
	s_or_b32 exec_lo, exec_lo, s3
	s_and_saveexec_b32 s2, s1
	s_cbranch_execz .LBB929_212
.LBB929_211:
	v_sub_nc_u32_e32 v5, v57, v4
	s_delay_alu instid0(VALU_DEP_1)
	v_lshlrev_b32_e32 v5, 2, v5
	ds_store_b32 v5, v58
.LBB929_212:
	s_or_b32 exec_lo, exec_lo, s2
	s_delay_alu instid0(SALU_CYCLE_1)
	s_and_b32 s17, s0, exec_lo
                                        ; implicit-def: $vgpr53_vgpr54
                                        ; implicit-def: $vgpr59_vgpr60
                                        ; implicit-def: $vgpr55_vgpr56
                                        ; implicit-def: $vgpr51_vgpr52
                                        ; implicit-def: $vgpr45_vgpr46
                                        ; implicit-def: $vgpr41_vgpr42
                                        ; implicit-def: $vgpr39_vgpr40
                                        ; implicit-def: $vgpr43_vgpr44
                                        ; implicit-def: $vgpr47_vgpr48
                                        ; implicit-def: $vgpr5_vgpr6
                                        ; implicit-def: $vgpr7_vgpr8
                                        ; implicit-def: $vgpr37_vgpr38
                                        ; implicit-def: $vgpr61_vgpr62
                                        ; implicit-def: $vgpr57_vgpr58
	s_and_not1_saveexec_b32 s0, s16
	s_cbranch_execz .LBB929_154
.LBB929_213:
	v_sub_nc_u32_e32 v13, v53, v4
	v_sub_nc_u32_e32 v14, v59, v4
	;; [unrolled: 1-line block ×5, first 2 shown]
	v_lshlrev_b32_e32 v13, 2, v13
	v_lshlrev_b32_e32 v14, 2, v14
	;; [unrolled: 1-line block ×4, first 2 shown]
	v_sub_nc_u32_e32 v5, v5, v4
	ds_store_b32 v13, v54
	ds_store_b32 v14, v60
	;; [unrolled: 1-line block ×3, first 2 shown]
	v_sub_nc_u32_e32 v13, v45, v4
	v_sub_nc_u32_e32 v14, v41, v4
	;; [unrolled: 1-line block ×3, first 2 shown]
	ds_store_b32 v16, v52
	v_sub_nc_u32_e32 v16, v43, v4
	v_lshlrev_b32_e32 v13, 2, v13
	v_lshlrev_b32_e32 v14, 2, v14
	;; [unrolled: 1-line block ×3, first 2 shown]
	v_sub_nc_u32_e32 v7, v7, v4
	v_lshlrev_b32_e32 v16, 2, v16
	ds_store_b32 v13, v46
	v_lshlrev_b32_e32 v13, 2, v17
	ds_store_b32 v14, v42
	ds_store_b32 v15, v40
	;; [unrolled: 1-line block ×3, first 2 shown]
	v_lshlrev_b32_e32 v5, 2, v5
	v_sub_nc_u32_e32 v15, v57, v4
	v_sub_nc_u32_e32 v14, v61, v4
	ds_store_b32 v13, v48
	v_sub_nc_u32_e32 v13, v37, v4
	v_lshlrev_b32_e32 v7, 2, v7
	ds_store_b32 v5, v6
	v_lshlrev_b32_e32 v5, 2, v15
	v_lshlrev_b32_e32 v14, 2, v14
	v_lshlrev_b32_e32 v13, 2, v13
	s_or_b32 s17, s17, exec_lo
	ds_store_b32 v7, v8
	ds_store_b32 v13, v38
	;; [unrolled: 1-line block ×4, first 2 shown]
	s_or_b32 exec_lo, exec_lo, s0
	s_delay_alu instid0(SALU_CYCLE_1)
	s_and_b32 exec_lo, exec_lo, s17
	s_cbranch_execnz .LBB929_155
	s_branch .LBB929_156
.LBB929_214:
	v_sub_nc_u32_e32 v2, v53, v3
	s_delay_alu instid0(VALU_DEP_1)
	v_lshlrev_b32_e32 v2, 2, v2
	ds_store_b32 v2, v21
	s_or_b32 exec_lo, exec_lo, s17
	s_and_saveexec_b32 s12, s14
	s_cbranch_execz .LBB929_165
.LBB929_215:
	v_sub_nc_u32_e32 v2, v59, v3
	s_delay_alu instid0(VALU_DEP_1)
	v_lshlrev_b32_e32 v2, 2, v2
	ds_store_b32 v2, v22
	s_or_b32 exec_lo, exec_lo, s12
	s_and_saveexec_b32 s12, s13
	s_cbranch_execz .LBB929_166
.LBB929_216:
	v_sub_nc_u32_e32 v2, v55, v3
	s_delay_alu instid0(VALU_DEP_1)
	v_lshlrev_b32_e32 v2, 2, v2
	ds_store_b32 v2, v19
	s_or_b32 exec_lo, exec_lo, s12
	s_and_saveexec_b32 s12, s11
	s_cbranch_execz .LBB929_167
.LBB929_217:
	v_sub_nc_u32_e32 v2, v51, v3
	s_delay_alu instid0(VALU_DEP_1)
	v_lshlrev_b32_e32 v2, 2, v2
	ds_store_b32 v2, v20
	s_or_b32 exec_lo, exec_lo, s12
	s_and_saveexec_b32 s11, s10
	s_cbranch_execz .LBB929_168
.LBB929_218:
	v_sub_nc_u32_e32 v2, v45, v3
	s_delay_alu instid0(VALU_DEP_1)
	v_lshlrev_b32_e32 v2, 2, v2
	ds_store_b32 v2, v17
	s_or_b32 exec_lo, exec_lo, s11
	s_and_saveexec_b32 s10, s9
	s_cbranch_execz .LBB929_169
.LBB929_219:
	v_sub_nc_u32_e32 v2, v41, v3
	s_delay_alu instid0(VALU_DEP_1)
	v_lshlrev_b32_e32 v2, 2, v2
	ds_store_b32 v2, v18
	s_or_b32 exec_lo, exec_lo, s10
	s_and_saveexec_b32 s9, s8
	s_cbranch_execz .LBB929_170
.LBB929_220:
	v_sub_nc_u32_e32 v2, v39, v3
	s_delay_alu instid0(VALU_DEP_1)
	v_lshlrev_b32_e32 v2, 2, v2
	ds_store_b32 v2, v15
	s_or_b32 exec_lo, exec_lo, s9
	s_and_saveexec_b32 s8, s7
	s_cbranch_execz .LBB929_171
.LBB929_221:
	v_sub_nc_u32_e32 v2, v43, v3
	s_delay_alu instid0(VALU_DEP_1)
	v_lshlrev_b32_e32 v2, 2, v2
	ds_store_b32 v2, v16
	s_or_b32 exec_lo, exec_lo, s8
	s_and_saveexec_b32 s7, s6
	s_cbranch_execz .LBB929_172
.LBB929_222:
	v_sub_nc_u32_e32 v2, v47, v3
	s_delay_alu instid0(VALU_DEP_1)
	v_lshlrev_b32_e32 v2, 2, v2
	ds_store_b32 v2, v13
	s_or_b32 exec_lo, exec_lo, s7
	s_and_saveexec_b32 s6, s5
	s_cbranch_execz .LBB929_173
.LBB929_223:
	v_sub_nc_u32_e32 v2, v5, v3
	s_delay_alu instid0(VALU_DEP_1)
	v_lshlrev_b32_e32 v2, 2, v2
	ds_store_b32 v2, v14
	s_or_b32 exec_lo, exec_lo, s6
	s_and_saveexec_b32 s5, s4
	s_cbranch_execz .LBB929_174
.LBB929_224:
	v_sub_nc_u32_e32 v2, v7, v3
	s_delay_alu instid0(VALU_DEP_1)
	v_lshlrev_b32_e32 v2, 2, v2
	ds_store_b32 v2, v11
	s_or_b32 exec_lo, exec_lo, s5
	s_and_saveexec_b32 s4, s3
	s_cbranch_execz .LBB929_175
.LBB929_225:
	v_sub_nc_u32_e32 v2, v37, v3
	s_delay_alu instid0(VALU_DEP_1)
	v_lshlrev_b32_e32 v2, 2, v2
	ds_store_b32 v2, v12
	s_or_b32 exec_lo, exec_lo, s4
	s_and_saveexec_b32 s3, s1
	s_cbranch_execz .LBB929_176
.LBB929_226:
	v_sub_nc_u32_e32 v2, v61, v3
	s_delay_alu instid0(VALU_DEP_1)
	v_lshlrev_b32_e32 v2, 2, v2
	ds_store_b32 v2, v9
	s_or_b32 exec_lo, exec_lo, s3
	s_and_saveexec_b32 s1, s0
	s_cbranch_execnz .LBB929_177
	s_branch .LBB929_178
.LBB929_227:
	v_sub_nc_u32_e32 v14, v53, v4
	v_mov_b32_e32 v15, 0
	s_delay_alu instid0(VALU_DEP_1) | instskip(NEXT) | instid1(VALU_DEP_1)
	v_lshlrev_b64 v[14:15], 2, v[14:15]
	v_add_co_u32 v14, vcc_lo, v11, v14
	s_delay_alu instid0(VALU_DEP_2)
	v_add_co_ci_u32_e32 v15, vcc_lo, v12, v15, vcc_lo
	global_store_b32 v[14:15], v54, off
	s_or_b32 exec_lo, exec_lo, s17
	s_and_saveexec_b32 s17, s13
	s_cbranch_execz .LBB929_182
.LBB929_228:
	v_sub_nc_u32_e32 v14, v59, v4
	v_mov_b32_e32 v15, 0
	s_delay_alu instid0(VALU_DEP_1) | instskip(NEXT) | instid1(VALU_DEP_1)
	v_lshlrev_b64 v[14:15], 2, v[14:15]
	v_add_co_u32 v14, vcc_lo, v11, v14
	s_delay_alu instid0(VALU_DEP_2)
	v_add_co_ci_u32_e32 v15, vcc_lo, v12, v15, vcc_lo
	global_store_b32 v[14:15], v60, off
	s_or_b32 exec_lo, exec_lo, s17
	s_and_saveexec_b32 s17, s12
	s_cbranch_execz .LBB929_183
.LBB929_229:
	v_sub_nc_u32_e32 v14, v55, v4
	v_mov_b32_e32 v15, 0
	s_delay_alu instid0(VALU_DEP_1) | instskip(NEXT) | instid1(VALU_DEP_1)
	v_lshlrev_b64 v[14:15], 2, v[14:15]
	v_add_co_u32 v14, vcc_lo, v11, v14
	s_delay_alu instid0(VALU_DEP_2)
	v_add_co_ci_u32_e32 v15, vcc_lo, v12, v15, vcc_lo
	global_store_b32 v[14:15], v56, off
	s_or_b32 exec_lo, exec_lo, s17
	s_and_saveexec_b32 s17, s11
	s_cbranch_execz .LBB929_184
.LBB929_230:
	v_sub_nc_u32_e32 v14, v51, v4
	v_mov_b32_e32 v15, 0
	s_delay_alu instid0(VALU_DEP_1) | instskip(NEXT) | instid1(VALU_DEP_1)
	v_lshlrev_b64 v[14:15], 2, v[14:15]
	v_add_co_u32 v14, vcc_lo, v11, v14
	s_delay_alu instid0(VALU_DEP_2)
	v_add_co_ci_u32_e32 v15, vcc_lo, v12, v15, vcc_lo
	global_store_b32 v[14:15], v52, off
	s_or_b32 exec_lo, exec_lo, s17
	s_and_saveexec_b32 s17, s10
	s_cbranch_execz .LBB929_185
.LBB929_231:
	v_sub_nc_u32_e32 v14, v45, v4
	v_mov_b32_e32 v15, 0
	s_delay_alu instid0(VALU_DEP_1) | instskip(NEXT) | instid1(VALU_DEP_1)
	v_lshlrev_b64 v[14:15], 2, v[14:15]
	v_add_co_u32 v14, vcc_lo, v11, v14
	s_delay_alu instid0(VALU_DEP_2)
	v_add_co_ci_u32_e32 v15, vcc_lo, v12, v15, vcc_lo
	global_store_b32 v[14:15], v46, off
	s_or_b32 exec_lo, exec_lo, s17
	s_and_saveexec_b32 s17, s9
	s_cbranch_execz .LBB929_186
.LBB929_232:
	v_sub_nc_u32_e32 v14, v41, v4
	v_mov_b32_e32 v15, 0
	s_delay_alu instid0(VALU_DEP_1) | instskip(NEXT) | instid1(VALU_DEP_1)
	v_lshlrev_b64 v[14:15], 2, v[14:15]
	v_add_co_u32 v14, vcc_lo, v11, v14
	s_delay_alu instid0(VALU_DEP_2)
	v_add_co_ci_u32_e32 v15, vcc_lo, v12, v15, vcc_lo
	global_store_b32 v[14:15], v42, off
	s_or_b32 exec_lo, exec_lo, s17
	s_and_saveexec_b32 s17, s8
	s_cbranch_execz .LBB929_187
.LBB929_233:
	v_sub_nc_u32_e32 v14, v39, v4
	v_mov_b32_e32 v15, 0
	s_delay_alu instid0(VALU_DEP_1) | instskip(NEXT) | instid1(VALU_DEP_1)
	v_lshlrev_b64 v[14:15], 2, v[14:15]
	v_add_co_u32 v14, vcc_lo, v11, v14
	s_delay_alu instid0(VALU_DEP_2)
	v_add_co_ci_u32_e32 v15, vcc_lo, v12, v15, vcc_lo
	global_store_b32 v[14:15], v40, off
	s_or_b32 exec_lo, exec_lo, s17
	s_and_saveexec_b32 s17, s7
	s_cbranch_execz .LBB929_188
.LBB929_234:
	v_sub_nc_u32_e32 v14, v43, v4
	v_mov_b32_e32 v15, 0
	s_delay_alu instid0(VALU_DEP_1) | instskip(NEXT) | instid1(VALU_DEP_1)
	v_lshlrev_b64 v[14:15], 2, v[14:15]
	v_add_co_u32 v14, vcc_lo, v11, v14
	s_delay_alu instid0(VALU_DEP_2)
	v_add_co_ci_u32_e32 v15, vcc_lo, v12, v15, vcc_lo
	global_store_b32 v[14:15], v44, off
	s_or_b32 exec_lo, exec_lo, s17
	s_and_saveexec_b32 s17, s6
	s_cbranch_execz .LBB929_189
.LBB929_235:
	v_sub_nc_u32_e32 v14, v47, v4
	v_mov_b32_e32 v15, 0
	s_delay_alu instid0(VALU_DEP_1) | instskip(NEXT) | instid1(VALU_DEP_1)
	v_lshlrev_b64 v[14:15], 2, v[14:15]
	v_add_co_u32 v14, vcc_lo, v11, v14
	s_delay_alu instid0(VALU_DEP_2)
	v_add_co_ci_u32_e32 v15, vcc_lo, v12, v15, vcc_lo
	global_store_b32 v[14:15], v48, off
	s_or_b32 exec_lo, exec_lo, s17
	s_and_saveexec_b32 s17, s5
	s_cbranch_execz .LBB929_190
.LBB929_236:
	v_sub_nc_u32_e32 v14, v5, v4
	v_mov_b32_e32 v15, 0
	s_delay_alu instid0(VALU_DEP_1) | instskip(NEXT) | instid1(VALU_DEP_1)
	v_lshlrev_b64 v[14:15], 2, v[14:15]
	v_add_co_u32 v14, vcc_lo, v11, v14
	s_delay_alu instid0(VALU_DEP_2)
	v_add_co_ci_u32_e32 v15, vcc_lo, v12, v15, vcc_lo
	global_store_b32 v[14:15], v6, off
	s_or_b32 exec_lo, exec_lo, s17
	s_and_saveexec_b32 s17, s4
	s_cbranch_execz .LBB929_191
.LBB929_237:
	v_sub_nc_u32_e32 v14, v7, v4
	v_mov_b32_e32 v15, 0
	s_delay_alu instid0(VALU_DEP_1) | instskip(NEXT) | instid1(VALU_DEP_1)
	v_lshlrev_b64 v[14:15], 2, v[14:15]
	v_add_co_u32 v14, vcc_lo, v11, v14
	s_delay_alu instid0(VALU_DEP_2)
	v_add_co_ci_u32_e32 v15, vcc_lo, v12, v15, vcc_lo
	global_store_b32 v[14:15], v8, off
	s_or_b32 exec_lo, exec_lo, s17
	s_and_saveexec_b32 s17, s3
	s_cbranch_execz .LBB929_192
.LBB929_238:
	v_sub_nc_u32_e32 v14, v37, v4
	v_mov_b32_e32 v15, 0
	s_delay_alu instid0(VALU_DEP_1) | instskip(NEXT) | instid1(VALU_DEP_1)
	v_lshlrev_b64 v[14:15], 2, v[14:15]
	v_add_co_u32 v14, vcc_lo, v11, v14
	s_delay_alu instid0(VALU_DEP_2)
	v_add_co_ci_u32_e32 v15, vcc_lo, v12, v15, vcc_lo
	global_store_b32 v[14:15], v38, off
	s_or_b32 exec_lo, exec_lo, s17
	s_and_saveexec_b32 s17, s2
	s_cbranch_execz .LBB929_193
.LBB929_239:
	v_sub_nc_u32_e32 v14, v61, v4
	v_mov_b32_e32 v15, 0
	s_delay_alu instid0(VALU_DEP_1) | instskip(NEXT) | instid1(VALU_DEP_1)
	v_lshlrev_b64 v[14:15], 2, v[14:15]
	v_add_co_u32 v14, vcc_lo, v11, v14
	s_delay_alu instid0(VALU_DEP_2)
	v_add_co_ci_u32_e32 v15, vcc_lo, v12, v15, vcc_lo
	global_store_b32 v[14:15], v62, off
	s_or_b32 exec_lo, exec_lo, s17
	s_and_saveexec_b32 s17, s1
	s_cbranch_execnz .LBB929_194
	s_branch .LBB929_195
.LBB929_240:
	v_sub_nc_u32_e32 v13, v53, v4
	s_delay_alu instid0(VALU_DEP_1)
	v_lshlrev_b32_e32 v13, 2, v13
	ds_store_b32 v13, v54
	s_or_b32 exec_lo, exec_lo, s17
	s_and_saveexec_b32 s14, s13
	s_cbranch_execz .LBB929_199
.LBB929_241:
	v_sub_nc_u32_e32 v13, v59, v4
	s_delay_alu instid0(VALU_DEP_1)
	v_lshlrev_b32_e32 v13, 2, v13
	ds_store_b32 v13, v60
	s_or_b32 exec_lo, exec_lo, s14
	s_and_saveexec_b32 s13, s12
	s_cbranch_execz .LBB929_200
.LBB929_242:
	v_sub_nc_u32_e32 v13, v55, v4
	s_delay_alu instid0(VALU_DEP_1)
	v_lshlrev_b32_e32 v13, 2, v13
	ds_store_b32 v13, v56
	s_or_b32 exec_lo, exec_lo, s13
	s_and_saveexec_b32 s12, s11
	s_cbranch_execz .LBB929_201
.LBB929_243:
	v_sub_nc_u32_e32 v13, v51, v4
	s_delay_alu instid0(VALU_DEP_1)
	v_lshlrev_b32_e32 v13, 2, v13
	ds_store_b32 v13, v52
	s_or_b32 exec_lo, exec_lo, s12
	s_and_saveexec_b32 s11, s10
	s_cbranch_execz .LBB929_202
.LBB929_244:
	v_sub_nc_u32_e32 v13, v45, v4
	s_delay_alu instid0(VALU_DEP_1)
	v_lshlrev_b32_e32 v13, 2, v13
	ds_store_b32 v13, v46
	s_or_b32 exec_lo, exec_lo, s11
	s_and_saveexec_b32 s10, s9
	s_cbranch_execz .LBB929_203
.LBB929_245:
	v_sub_nc_u32_e32 v13, v41, v4
	s_delay_alu instid0(VALU_DEP_1)
	v_lshlrev_b32_e32 v13, 2, v13
	ds_store_b32 v13, v42
	s_or_b32 exec_lo, exec_lo, s10
	s_and_saveexec_b32 s9, s8
	s_cbranch_execz .LBB929_204
.LBB929_246:
	v_sub_nc_u32_e32 v13, v39, v4
	s_delay_alu instid0(VALU_DEP_1)
	v_lshlrev_b32_e32 v13, 2, v13
	ds_store_b32 v13, v40
	s_or_b32 exec_lo, exec_lo, s9
	s_and_saveexec_b32 s8, s7
	s_cbranch_execz .LBB929_205
.LBB929_247:
	v_sub_nc_u32_e32 v13, v43, v4
	s_delay_alu instid0(VALU_DEP_1)
	v_lshlrev_b32_e32 v13, 2, v13
	ds_store_b32 v13, v44
	s_or_b32 exec_lo, exec_lo, s8
	s_and_saveexec_b32 s7, s6
	s_cbranch_execz .LBB929_206
.LBB929_248:
	v_sub_nc_u32_e32 v13, v47, v4
	s_delay_alu instid0(VALU_DEP_1)
	v_lshlrev_b32_e32 v13, 2, v13
	ds_store_b32 v13, v48
	s_or_b32 exec_lo, exec_lo, s7
	s_and_saveexec_b32 s6, s5
	s_cbranch_execz .LBB929_207
.LBB929_249:
	v_sub_nc_u32_e32 v5, v5, v4
	s_delay_alu instid0(VALU_DEP_1)
	v_lshlrev_b32_e32 v5, 2, v5
	ds_store_b32 v5, v6
	s_or_b32 exec_lo, exec_lo, s6
	s_and_saveexec_b32 s5, s4
	s_cbranch_execz .LBB929_208
.LBB929_250:
	v_sub_nc_u32_e32 v5, v7, v4
	s_delay_alu instid0(VALU_DEP_1)
	v_lshlrev_b32_e32 v5, 2, v5
	ds_store_b32 v5, v8
	s_or_b32 exec_lo, exec_lo, s5
	s_and_saveexec_b32 s4, s3
	s_cbranch_execz .LBB929_209
.LBB929_251:
	v_sub_nc_u32_e32 v5, v37, v4
	s_delay_alu instid0(VALU_DEP_1)
	v_lshlrev_b32_e32 v5, 2, v5
	ds_store_b32 v5, v38
	s_or_b32 exec_lo, exec_lo, s4
	s_and_saveexec_b32 s3, s2
	s_cbranch_execz .LBB929_210
.LBB929_252:
	v_sub_nc_u32_e32 v5, v61, v4
	s_delay_alu instid0(VALU_DEP_1)
	v_lshlrev_b32_e32 v5, 2, v5
	ds_store_b32 v5, v62
	s_or_b32 exec_lo, exec_lo, s3
	s_and_saveexec_b32 s2, s1
	s_cbranch_execnz .LBB929_211
	s_branch .LBB929_212
	.section	.rodata,"a",@progbits
	.p2align	6, 0x0
	.amdhsa_kernel _ZN7rocprim17ROCPRIM_400000_NS6detail17trampoline_kernelINS0_14default_configENS1_29reduce_by_key_config_selectorIjjN6thrust23THRUST_200600_302600_NS4plusIjEEEEZZNS1_33reduce_by_key_impl_wrapped_configILNS1_25lookback_scan_determinismE0ES3_S9_NS6_6detail15normal_iteratorINS6_10device_ptrIjEEEESG_NS6_16discard_iteratorINS6_11use_defaultEEESG_PmS8_NS6_8equal_toIjEEEE10hipError_tPvRmT2_T3_mT4_T5_T6_T7_T8_P12ihipStream_tbENKUlT_T0_E_clISt17integral_constantIbLb1EES14_EEDaSZ_S10_EUlSZ_E_NS1_11comp_targetILNS1_3genE9ELNS1_11target_archE1100ELNS1_3gpuE3ELNS1_3repE0EEENS1_30default_config_static_selectorELNS0_4arch9wavefront6targetE0EEEvT1_
		.amdhsa_group_segment_fixed_size 15360
		.amdhsa_private_segment_fixed_size 0
		.amdhsa_kernarg_size 128
		.amdhsa_user_sgpr_count 15
		.amdhsa_user_sgpr_dispatch_ptr 0
		.amdhsa_user_sgpr_queue_ptr 0
		.amdhsa_user_sgpr_kernarg_segment_ptr 1
		.amdhsa_user_sgpr_dispatch_id 0
		.amdhsa_user_sgpr_private_segment_size 0
		.amdhsa_wavefront_size32 1
		.amdhsa_uses_dynamic_stack 0
		.amdhsa_enable_private_segment 0
		.amdhsa_system_sgpr_workgroup_id_x 1
		.amdhsa_system_sgpr_workgroup_id_y 0
		.amdhsa_system_sgpr_workgroup_id_z 0
		.amdhsa_system_sgpr_workgroup_info 0
		.amdhsa_system_vgpr_workitem_id 0
		.amdhsa_next_free_vgpr 85
		.amdhsa_next_free_sgpr 46
		.amdhsa_reserve_vcc 1
		.amdhsa_float_round_mode_32 0
		.amdhsa_float_round_mode_16_64 0
		.amdhsa_float_denorm_mode_32 3
		.amdhsa_float_denorm_mode_16_64 3
		.amdhsa_dx10_clamp 1
		.amdhsa_ieee_mode 1
		.amdhsa_fp16_overflow 0
		.amdhsa_workgroup_processor_mode 1
		.amdhsa_memory_ordered 1
		.amdhsa_forward_progress 0
		.amdhsa_shared_vgpr_count 0
		.amdhsa_exception_fp_ieee_invalid_op 0
		.amdhsa_exception_fp_denorm_src 0
		.amdhsa_exception_fp_ieee_div_zero 0
		.amdhsa_exception_fp_ieee_overflow 0
		.amdhsa_exception_fp_ieee_underflow 0
		.amdhsa_exception_fp_ieee_inexact 0
		.amdhsa_exception_int_div_zero 0
	.end_amdhsa_kernel
	.section	.text._ZN7rocprim17ROCPRIM_400000_NS6detail17trampoline_kernelINS0_14default_configENS1_29reduce_by_key_config_selectorIjjN6thrust23THRUST_200600_302600_NS4plusIjEEEEZZNS1_33reduce_by_key_impl_wrapped_configILNS1_25lookback_scan_determinismE0ES3_S9_NS6_6detail15normal_iteratorINS6_10device_ptrIjEEEESG_NS6_16discard_iteratorINS6_11use_defaultEEESG_PmS8_NS6_8equal_toIjEEEE10hipError_tPvRmT2_T3_mT4_T5_T6_T7_T8_P12ihipStream_tbENKUlT_T0_E_clISt17integral_constantIbLb1EES14_EEDaSZ_S10_EUlSZ_E_NS1_11comp_targetILNS1_3genE9ELNS1_11target_archE1100ELNS1_3gpuE3ELNS1_3repE0EEENS1_30default_config_static_selectorELNS0_4arch9wavefront6targetE0EEEvT1_,"axG",@progbits,_ZN7rocprim17ROCPRIM_400000_NS6detail17trampoline_kernelINS0_14default_configENS1_29reduce_by_key_config_selectorIjjN6thrust23THRUST_200600_302600_NS4plusIjEEEEZZNS1_33reduce_by_key_impl_wrapped_configILNS1_25lookback_scan_determinismE0ES3_S9_NS6_6detail15normal_iteratorINS6_10device_ptrIjEEEESG_NS6_16discard_iteratorINS6_11use_defaultEEESG_PmS8_NS6_8equal_toIjEEEE10hipError_tPvRmT2_T3_mT4_T5_T6_T7_T8_P12ihipStream_tbENKUlT_T0_E_clISt17integral_constantIbLb1EES14_EEDaSZ_S10_EUlSZ_E_NS1_11comp_targetILNS1_3genE9ELNS1_11target_archE1100ELNS1_3gpuE3ELNS1_3repE0EEENS1_30default_config_static_selectorELNS0_4arch9wavefront6targetE0EEEvT1_,comdat
.Lfunc_end929:
	.size	_ZN7rocprim17ROCPRIM_400000_NS6detail17trampoline_kernelINS0_14default_configENS1_29reduce_by_key_config_selectorIjjN6thrust23THRUST_200600_302600_NS4plusIjEEEEZZNS1_33reduce_by_key_impl_wrapped_configILNS1_25lookback_scan_determinismE0ES3_S9_NS6_6detail15normal_iteratorINS6_10device_ptrIjEEEESG_NS6_16discard_iteratorINS6_11use_defaultEEESG_PmS8_NS6_8equal_toIjEEEE10hipError_tPvRmT2_T3_mT4_T5_T6_T7_T8_P12ihipStream_tbENKUlT_T0_E_clISt17integral_constantIbLb1EES14_EEDaSZ_S10_EUlSZ_E_NS1_11comp_targetILNS1_3genE9ELNS1_11target_archE1100ELNS1_3gpuE3ELNS1_3repE0EEENS1_30default_config_static_selectorELNS0_4arch9wavefront6targetE0EEEvT1_, .Lfunc_end929-_ZN7rocprim17ROCPRIM_400000_NS6detail17trampoline_kernelINS0_14default_configENS1_29reduce_by_key_config_selectorIjjN6thrust23THRUST_200600_302600_NS4plusIjEEEEZZNS1_33reduce_by_key_impl_wrapped_configILNS1_25lookback_scan_determinismE0ES3_S9_NS6_6detail15normal_iteratorINS6_10device_ptrIjEEEESG_NS6_16discard_iteratorINS6_11use_defaultEEESG_PmS8_NS6_8equal_toIjEEEE10hipError_tPvRmT2_T3_mT4_T5_T6_T7_T8_P12ihipStream_tbENKUlT_T0_E_clISt17integral_constantIbLb1EES14_EEDaSZ_S10_EUlSZ_E_NS1_11comp_targetILNS1_3genE9ELNS1_11target_archE1100ELNS1_3gpuE3ELNS1_3repE0EEENS1_30default_config_static_selectorELNS0_4arch9wavefront6targetE0EEEvT1_
                                        ; -- End function
	.section	.AMDGPU.csdata,"",@progbits
; Kernel info:
; codeLenInByte = 15664
; NumSgprs: 48
; NumVgprs: 85
; ScratchSize: 0
; MemoryBound: 0
; FloatMode: 240
; IeeeMode: 1
; LDSByteSize: 15360 bytes/workgroup (compile time only)
; SGPRBlocks: 5
; VGPRBlocks: 10
; NumSGPRsForWavesPerEU: 48
; NumVGPRsForWavesPerEU: 85
; Occupancy: 16
; WaveLimiterHint : 1
; COMPUTE_PGM_RSRC2:SCRATCH_EN: 0
; COMPUTE_PGM_RSRC2:USER_SGPR: 15
; COMPUTE_PGM_RSRC2:TRAP_HANDLER: 0
; COMPUTE_PGM_RSRC2:TGID_X_EN: 1
; COMPUTE_PGM_RSRC2:TGID_Y_EN: 0
; COMPUTE_PGM_RSRC2:TGID_Z_EN: 0
; COMPUTE_PGM_RSRC2:TIDIG_COMP_CNT: 0
	.section	.text._ZN7rocprim17ROCPRIM_400000_NS6detail17trampoline_kernelINS0_14default_configENS1_29reduce_by_key_config_selectorIjjN6thrust23THRUST_200600_302600_NS4plusIjEEEEZZNS1_33reduce_by_key_impl_wrapped_configILNS1_25lookback_scan_determinismE0ES3_S9_NS6_6detail15normal_iteratorINS6_10device_ptrIjEEEESG_NS6_16discard_iteratorINS6_11use_defaultEEESG_PmS8_NS6_8equal_toIjEEEE10hipError_tPvRmT2_T3_mT4_T5_T6_T7_T8_P12ihipStream_tbENKUlT_T0_E_clISt17integral_constantIbLb1EES14_EEDaSZ_S10_EUlSZ_E_NS1_11comp_targetILNS1_3genE8ELNS1_11target_archE1030ELNS1_3gpuE2ELNS1_3repE0EEENS1_30default_config_static_selectorELNS0_4arch9wavefront6targetE0EEEvT1_,"axG",@progbits,_ZN7rocprim17ROCPRIM_400000_NS6detail17trampoline_kernelINS0_14default_configENS1_29reduce_by_key_config_selectorIjjN6thrust23THRUST_200600_302600_NS4plusIjEEEEZZNS1_33reduce_by_key_impl_wrapped_configILNS1_25lookback_scan_determinismE0ES3_S9_NS6_6detail15normal_iteratorINS6_10device_ptrIjEEEESG_NS6_16discard_iteratorINS6_11use_defaultEEESG_PmS8_NS6_8equal_toIjEEEE10hipError_tPvRmT2_T3_mT4_T5_T6_T7_T8_P12ihipStream_tbENKUlT_T0_E_clISt17integral_constantIbLb1EES14_EEDaSZ_S10_EUlSZ_E_NS1_11comp_targetILNS1_3genE8ELNS1_11target_archE1030ELNS1_3gpuE2ELNS1_3repE0EEENS1_30default_config_static_selectorELNS0_4arch9wavefront6targetE0EEEvT1_,comdat
	.protected	_ZN7rocprim17ROCPRIM_400000_NS6detail17trampoline_kernelINS0_14default_configENS1_29reduce_by_key_config_selectorIjjN6thrust23THRUST_200600_302600_NS4plusIjEEEEZZNS1_33reduce_by_key_impl_wrapped_configILNS1_25lookback_scan_determinismE0ES3_S9_NS6_6detail15normal_iteratorINS6_10device_ptrIjEEEESG_NS6_16discard_iteratorINS6_11use_defaultEEESG_PmS8_NS6_8equal_toIjEEEE10hipError_tPvRmT2_T3_mT4_T5_T6_T7_T8_P12ihipStream_tbENKUlT_T0_E_clISt17integral_constantIbLb1EES14_EEDaSZ_S10_EUlSZ_E_NS1_11comp_targetILNS1_3genE8ELNS1_11target_archE1030ELNS1_3gpuE2ELNS1_3repE0EEENS1_30default_config_static_selectorELNS0_4arch9wavefront6targetE0EEEvT1_ ; -- Begin function _ZN7rocprim17ROCPRIM_400000_NS6detail17trampoline_kernelINS0_14default_configENS1_29reduce_by_key_config_selectorIjjN6thrust23THRUST_200600_302600_NS4plusIjEEEEZZNS1_33reduce_by_key_impl_wrapped_configILNS1_25lookback_scan_determinismE0ES3_S9_NS6_6detail15normal_iteratorINS6_10device_ptrIjEEEESG_NS6_16discard_iteratorINS6_11use_defaultEEESG_PmS8_NS6_8equal_toIjEEEE10hipError_tPvRmT2_T3_mT4_T5_T6_T7_T8_P12ihipStream_tbENKUlT_T0_E_clISt17integral_constantIbLb1EES14_EEDaSZ_S10_EUlSZ_E_NS1_11comp_targetILNS1_3genE8ELNS1_11target_archE1030ELNS1_3gpuE2ELNS1_3repE0EEENS1_30default_config_static_selectorELNS0_4arch9wavefront6targetE0EEEvT1_
	.globl	_ZN7rocprim17ROCPRIM_400000_NS6detail17trampoline_kernelINS0_14default_configENS1_29reduce_by_key_config_selectorIjjN6thrust23THRUST_200600_302600_NS4plusIjEEEEZZNS1_33reduce_by_key_impl_wrapped_configILNS1_25lookback_scan_determinismE0ES3_S9_NS6_6detail15normal_iteratorINS6_10device_ptrIjEEEESG_NS6_16discard_iteratorINS6_11use_defaultEEESG_PmS8_NS6_8equal_toIjEEEE10hipError_tPvRmT2_T3_mT4_T5_T6_T7_T8_P12ihipStream_tbENKUlT_T0_E_clISt17integral_constantIbLb1EES14_EEDaSZ_S10_EUlSZ_E_NS1_11comp_targetILNS1_3genE8ELNS1_11target_archE1030ELNS1_3gpuE2ELNS1_3repE0EEENS1_30default_config_static_selectorELNS0_4arch9wavefront6targetE0EEEvT1_
	.p2align	8
	.type	_ZN7rocprim17ROCPRIM_400000_NS6detail17trampoline_kernelINS0_14default_configENS1_29reduce_by_key_config_selectorIjjN6thrust23THRUST_200600_302600_NS4plusIjEEEEZZNS1_33reduce_by_key_impl_wrapped_configILNS1_25lookback_scan_determinismE0ES3_S9_NS6_6detail15normal_iteratorINS6_10device_ptrIjEEEESG_NS6_16discard_iteratorINS6_11use_defaultEEESG_PmS8_NS6_8equal_toIjEEEE10hipError_tPvRmT2_T3_mT4_T5_T6_T7_T8_P12ihipStream_tbENKUlT_T0_E_clISt17integral_constantIbLb1EES14_EEDaSZ_S10_EUlSZ_E_NS1_11comp_targetILNS1_3genE8ELNS1_11target_archE1030ELNS1_3gpuE2ELNS1_3repE0EEENS1_30default_config_static_selectorELNS0_4arch9wavefront6targetE0EEEvT1_,@function
_ZN7rocprim17ROCPRIM_400000_NS6detail17trampoline_kernelINS0_14default_configENS1_29reduce_by_key_config_selectorIjjN6thrust23THRUST_200600_302600_NS4plusIjEEEEZZNS1_33reduce_by_key_impl_wrapped_configILNS1_25lookback_scan_determinismE0ES3_S9_NS6_6detail15normal_iteratorINS6_10device_ptrIjEEEESG_NS6_16discard_iteratorINS6_11use_defaultEEESG_PmS8_NS6_8equal_toIjEEEE10hipError_tPvRmT2_T3_mT4_T5_T6_T7_T8_P12ihipStream_tbENKUlT_T0_E_clISt17integral_constantIbLb1EES14_EEDaSZ_S10_EUlSZ_E_NS1_11comp_targetILNS1_3genE8ELNS1_11target_archE1030ELNS1_3gpuE2ELNS1_3repE0EEENS1_30default_config_static_selectorELNS0_4arch9wavefront6targetE0EEEvT1_: ; @_ZN7rocprim17ROCPRIM_400000_NS6detail17trampoline_kernelINS0_14default_configENS1_29reduce_by_key_config_selectorIjjN6thrust23THRUST_200600_302600_NS4plusIjEEEEZZNS1_33reduce_by_key_impl_wrapped_configILNS1_25lookback_scan_determinismE0ES3_S9_NS6_6detail15normal_iteratorINS6_10device_ptrIjEEEESG_NS6_16discard_iteratorINS6_11use_defaultEEESG_PmS8_NS6_8equal_toIjEEEE10hipError_tPvRmT2_T3_mT4_T5_T6_T7_T8_P12ihipStream_tbENKUlT_T0_E_clISt17integral_constantIbLb1EES14_EEDaSZ_S10_EUlSZ_E_NS1_11comp_targetILNS1_3genE8ELNS1_11target_archE1030ELNS1_3gpuE2ELNS1_3repE0EEENS1_30default_config_static_selectorELNS0_4arch9wavefront6targetE0EEEvT1_
; %bb.0:
	.section	.rodata,"a",@progbits
	.p2align	6, 0x0
	.amdhsa_kernel _ZN7rocprim17ROCPRIM_400000_NS6detail17trampoline_kernelINS0_14default_configENS1_29reduce_by_key_config_selectorIjjN6thrust23THRUST_200600_302600_NS4plusIjEEEEZZNS1_33reduce_by_key_impl_wrapped_configILNS1_25lookback_scan_determinismE0ES3_S9_NS6_6detail15normal_iteratorINS6_10device_ptrIjEEEESG_NS6_16discard_iteratorINS6_11use_defaultEEESG_PmS8_NS6_8equal_toIjEEEE10hipError_tPvRmT2_T3_mT4_T5_T6_T7_T8_P12ihipStream_tbENKUlT_T0_E_clISt17integral_constantIbLb1EES14_EEDaSZ_S10_EUlSZ_E_NS1_11comp_targetILNS1_3genE8ELNS1_11target_archE1030ELNS1_3gpuE2ELNS1_3repE0EEENS1_30default_config_static_selectorELNS0_4arch9wavefront6targetE0EEEvT1_
		.amdhsa_group_segment_fixed_size 0
		.amdhsa_private_segment_fixed_size 0
		.amdhsa_kernarg_size 128
		.amdhsa_user_sgpr_count 15
		.amdhsa_user_sgpr_dispatch_ptr 0
		.amdhsa_user_sgpr_queue_ptr 0
		.amdhsa_user_sgpr_kernarg_segment_ptr 1
		.amdhsa_user_sgpr_dispatch_id 0
		.amdhsa_user_sgpr_private_segment_size 0
		.amdhsa_wavefront_size32 1
		.amdhsa_uses_dynamic_stack 0
		.amdhsa_enable_private_segment 0
		.amdhsa_system_sgpr_workgroup_id_x 1
		.amdhsa_system_sgpr_workgroup_id_y 0
		.amdhsa_system_sgpr_workgroup_id_z 0
		.amdhsa_system_sgpr_workgroup_info 0
		.amdhsa_system_vgpr_workitem_id 0
		.amdhsa_next_free_vgpr 1
		.amdhsa_next_free_sgpr 1
		.amdhsa_reserve_vcc 0
		.amdhsa_float_round_mode_32 0
		.amdhsa_float_round_mode_16_64 0
		.amdhsa_float_denorm_mode_32 3
		.amdhsa_float_denorm_mode_16_64 3
		.amdhsa_dx10_clamp 1
		.amdhsa_ieee_mode 1
		.amdhsa_fp16_overflow 0
		.amdhsa_workgroup_processor_mode 1
		.amdhsa_memory_ordered 1
		.amdhsa_forward_progress 0
		.amdhsa_shared_vgpr_count 0
		.amdhsa_exception_fp_ieee_invalid_op 0
		.amdhsa_exception_fp_denorm_src 0
		.amdhsa_exception_fp_ieee_div_zero 0
		.amdhsa_exception_fp_ieee_overflow 0
		.amdhsa_exception_fp_ieee_underflow 0
		.amdhsa_exception_fp_ieee_inexact 0
		.amdhsa_exception_int_div_zero 0
	.end_amdhsa_kernel
	.section	.text._ZN7rocprim17ROCPRIM_400000_NS6detail17trampoline_kernelINS0_14default_configENS1_29reduce_by_key_config_selectorIjjN6thrust23THRUST_200600_302600_NS4plusIjEEEEZZNS1_33reduce_by_key_impl_wrapped_configILNS1_25lookback_scan_determinismE0ES3_S9_NS6_6detail15normal_iteratorINS6_10device_ptrIjEEEESG_NS6_16discard_iteratorINS6_11use_defaultEEESG_PmS8_NS6_8equal_toIjEEEE10hipError_tPvRmT2_T3_mT4_T5_T6_T7_T8_P12ihipStream_tbENKUlT_T0_E_clISt17integral_constantIbLb1EES14_EEDaSZ_S10_EUlSZ_E_NS1_11comp_targetILNS1_3genE8ELNS1_11target_archE1030ELNS1_3gpuE2ELNS1_3repE0EEENS1_30default_config_static_selectorELNS0_4arch9wavefront6targetE0EEEvT1_,"axG",@progbits,_ZN7rocprim17ROCPRIM_400000_NS6detail17trampoline_kernelINS0_14default_configENS1_29reduce_by_key_config_selectorIjjN6thrust23THRUST_200600_302600_NS4plusIjEEEEZZNS1_33reduce_by_key_impl_wrapped_configILNS1_25lookback_scan_determinismE0ES3_S9_NS6_6detail15normal_iteratorINS6_10device_ptrIjEEEESG_NS6_16discard_iteratorINS6_11use_defaultEEESG_PmS8_NS6_8equal_toIjEEEE10hipError_tPvRmT2_T3_mT4_T5_T6_T7_T8_P12ihipStream_tbENKUlT_T0_E_clISt17integral_constantIbLb1EES14_EEDaSZ_S10_EUlSZ_E_NS1_11comp_targetILNS1_3genE8ELNS1_11target_archE1030ELNS1_3gpuE2ELNS1_3repE0EEENS1_30default_config_static_selectorELNS0_4arch9wavefront6targetE0EEEvT1_,comdat
.Lfunc_end930:
	.size	_ZN7rocprim17ROCPRIM_400000_NS6detail17trampoline_kernelINS0_14default_configENS1_29reduce_by_key_config_selectorIjjN6thrust23THRUST_200600_302600_NS4plusIjEEEEZZNS1_33reduce_by_key_impl_wrapped_configILNS1_25lookback_scan_determinismE0ES3_S9_NS6_6detail15normal_iteratorINS6_10device_ptrIjEEEESG_NS6_16discard_iteratorINS6_11use_defaultEEESG_PmS8_NS6_8equal_toIjEEEE10hipError_tPvRmT2_T3_mT4_T5_T6_T7_T8_P12ihipStream_tbENKUlT_T0_E_clISt17integral_constantIbLb1EES14_EEDaSZ_S10_EUlSZ_E_NS1_11comp_targetILNS1_3genE8ELNS1_11target_archE1030ELNS1_3gpuE2ELNS1_3repE0EEENS1_30default_config_static_selectorELNS0_4arch9wavefront6targetE0EEEvT1_, .Lfunc_end930-_ZN7rocprim17ROCPRIM_400000_NS6detail17trampoline_kernelINS0_14default_configENS1_29reduce_by_key_config_selectorIjjN6thrust23THRUST_200600_302600_NS4plusIjEEEEZZNS1_33reduce_by_key_impl_wrapped_configILNS1_25lookback_scan_determinismE0ES3_S9_NS6_6detail15normal_iteratorINS6_10device_ptrIjEEEESG_NS6_16discard_iteratorINS6_11use_defaultEEESG_PmS8_NS6_8equal_toIjEEEE10hipError_tPvRmT2_T3_mT4_T5_T6_T7_T8_P12ihipStream_tbENKUlT_T0_E_clISt17integral_constantIbLb1EES14_EEDaSZ_S10_EUlSZ_E_NS1_11comp_targetILNS1_3genE8ELNS1_11target_archE1030ELNS1_3gpuE2ELNS1_3repE0EEENS1_30default_config_static_selectorELNS0_4arch9wavefront6targetE0EEEvT1_
                                        ; -- End function
	.section	.AMDGPU.csdata,"",@progbits
; Kernel info:
; codeLenInByte = 0
; NumSgprs: 0
; NumVgprs: 0
; ScratchSize: 0
; MemoryBound: 0
; FloatMode: 240
; IeeeMode: 1
; LDSByteSize: 0 bytes/workgroup (compile time only)
; SGPRBlocks: 0
; VGPRBlocks: 0
; NumSGPRsForWavesPerEU: 1
; NumVGPRsForWavesPerEU: 1
; Occupancy: 16
; WaveLimiterHint : 0
; COMPUTE_PGM_RSRC2:SCRATCH_EN: 0
; COMPUTE_PGM_RSRC2:USER_SGPR: 15
; COMPUTE_PGM_RSRC2:TRAP_HANDLER: 0
; COMPUTE_PGM_RSRC2:TGID_X_EN: 1
; COMPUTE_PGM_RSRC2:TGID_Y_EN: 0
; COMPUTE_PGM_RSRC2:TGID_Z_EN: 0
; COMPUTE_PGM_RSRC2:TIDIG_COMP_CNT: 0
	.section	.text._ZN7rocprim17ROCPRIM_400000_NS6detail17trampoline_kernelINS0_14default_configENS1_29reduce_by_key_config_selectorIjjN6thrust23THRUST_200600_302600_NS4plusIjEEEEZZNS1_33reduce_by_key_impl_wrapped_configILNS1_25lookback_scan_determinismE0ES3_S9_NS6_6detail15normal_iteratorINS6_10device_ptrIjEEEESG_NS6_16discard_iteratorINS6_11use_defaultEEESG_PmS8_NS6_8equal_toIjEEEE10hipError_tPvRmT2_T3_mT4_T5_T6_T7_T8_P12ihipStream_tbENKUlT_T0_E_clISt17integral_constantIbLb1EES13_IbLb0EEEEDaSZ_S10_EUlSZ_E_NS1_11comp_targetILNS1_3genE0ELNS1_11target_archE4294967295ELNS1_3gpuE0ELNS1_3repE0EEENS1_30default_config_static_selectorELNS0_4arch9wavefront6targetE0EEEvT1_,"axG",@progbits,_ZN7rocprim17ROCPRIM_400000_NS6detail17trampoline_kernelINS0_14default_configENS1_29reduce_by_key_config_selectorIjjN6thrust23THRUST_200600_302600_NS4plusIjEEEEZZNS1_33reduce_by_key_impl_wrapped_configILNS1_25lookback_scan_determinismE0ES3_S9_NS6_6detail15normal_iteratorINS6_10device_ptrIjEEEESG_NS6_16discard_iteratorINS6_11use_defaultEEESG_PmS8_NS6_8equal_toIjEEEE10hipError_tPvRmT2_T3_mT4_T5_T6_T7_T8_P12ihipStream_tbENKUlT_T0_E_clISt17integral_constantIbLb1EES13_IbLb0EEEEDaSZ_S10_EUlSZ_E_NS1_11comp_targetILNS1_3genE0ELNS1_11target_archE4294967295ELNS1_3gpuE0ELNS1_3repE0EEENS1_30default_config_static_selectorELNS0_4arch9wavefront6targetE0EEEvT1_,comdat
	.protected	_ZN7rocprim17ROCPRIM_400000_NS6detail17trampoline_kernelINS0_14default_configENS1_29reduce_by_key_config_selectorIjjN6thrust23THRUST_200600_302600_NS4plusIjEEEEZZNS1_33reduce_by_key_impl_wrapped_configILNS1_25lookback_scan_determinismE0ES3_S9_NS6_6detail15normal_iteratorINS6_10device_ptrIjEEEESG_NS6_16discard_iteratorINS6_11use_defaultEEESG_PmS8_NS6_8equal_toIjEEEE10hipError_tPvRmT2_T3_mT4_T5_T6_T7_T8_P12ihipStream_tbENKUlT_T0_E_clISt17integral_constantIbLb1EES13_IbLb0EEEEDaSZ_S10_EUlSZ_E_NS1_11comp_targetILNS1_3genE0ELNS1_11target_archE4294967295ELNS1_3gpuE0ELNS1_3repE0EEENS1_30default_config_static_selectorELNS0_4arch9wavefront6targetE0EEEvT1_ ; -- Begin function _ZN7rocprim17ROCPRIM_400000_NS6detail17trampoline_kernelINS0_14default_configENS1_29reduce_by_key_config_selectorIjjN6thrust23THRUST_200600_302600_NS4plusIjEEEEZZNS1_33reduce_by_key_impl_wrapped_configILNS1_25lookback_scan_determinismE0ES3_S9_NS6_6detail15normal_iteratorINS6_10device_ptrIjEEEESG_NS6_16discard_iteratorINS6_11use_defaultEEESG_PmS8_NS6_8equal_toIjEEEE10hipError_tPvRmT2_T3_mT4_T5_T6_T7_T8_P12ihipStream_tbENKUlT_T0_E_clISt17integral_constantIbLb1EES13_IbLb0EEEEDaSZ_S10_EUlSZ_E_NS1_11comp_targetILNS1_3genE0ELNS1_11target_archE4294967295ELNS1_3gpuE0ELNS1_3repE0EEENS1_30default_config_static_selectorELNS0_4arch9wavefront6targetE0EEEvT1_
	.globl	_ZN7rocprim17ROCPRIM_400000_NS6detail17trampoline_kernelINS0_14default_configENS1_29reduce_by_key_config_selectorIjjN6thrust23THRUST_200600_302600_NS4plusIjEEEEZZNS1_33reduce_by_key_impl_wrapped_configILNS1_25lookback_scan_determinismE0ES3_S9_NS6_6detail15normal_iteratorINS6_10device_ptrIjEEEESG_NS6_16discard_iteratorINS6_11use_defaultEEESG_PmS8_NS6_8equal_toIjEEEE10hipError_tPvRmT2_T3_mT4_T5_T6_T7_T8_P12ihipStream_tbENKUlT_T0_E_clISt17integral_constantIbLb1EES13_IbLb0EEEEDaSZ_S10_EUlSZ_E_NS1_11comp_targetILNS1_3genE0ELNS1_11target_archE4294967295ELNS1_3gpuE0ELNS1_3repE0EEENS1_30default_config_static_selectorELNS0_4arch9wavefront6targetE0EEEvT1_
	.p2align	8
	.type	_ZN7rocprim17ROCPRIM_400000_NS6detail17trampoline_kernelINS0_14default_configENS1_29reduce_by_key_config_selectorIjjN6thrust23THRUST_200600_302600_NS4plusIjEEEEZZNS1_33reduce_by_key_impl_wrapped_configILNS1_25lookback_scan_determinismE0ES3_S9_NS6_6detail15normal_iteratorINS6_10device_ptrIjEEEESG_NS6_16discard_iteratorINS6_11use_defaultEEESG_PmS8_NS6_8equal_toIjEEEE10hipError_tPvRmT2_T3_mT4_T5_T6_T7_T8_P12ihipStream_tbENKUlT_T0_E_clISt17integral_constantIbLb1EES13_IbLb0EEEEDaSZ_S10_EUlSZ_E_NS1_11comp_targetILNS1_3genE0ELNS1_11target_archE4294967295ELNS1_3gpuE0ELNS1_3repE0EEENS1_30default_config_static_selectorELNS0_4arch9wavefront6targetE0EEEvT1_,@function
_ZN7rocprim17ROCPRIM_400000_NS6detail17trampoline_kernelINS0_14default_configENS1_29reduce_by_key_config_selectorIjjN6thrust23THRUST_200600_302600_NS4plusIjEEEEZZNS1_33reduce_by_key_impl_wrapped_configILNS1_25lookback_scan_determinismE0ES3_S9_NS6_6detail15normal_iteratorINS6_10device_ptrIjEEEESG_NS6_16discard_iteratorINS6_11use_defaultEEESG_PmS8_NS6_8equal_toIjEEEE10hipError_tPvRmT2_T3_mT4_T5_T6_T7_T8_P12ihipStream_tbENKUlT_T0_E_clISt17integral_constantIbLb1EES13_IbLb0EEEEDaSZ_S10_EUlSZ_E_NS1_11comp_targetILNS1_3genE0ELNS1_11target_archE4294967295ELNS1_3gpuE0ELNS1_3repE0EEENS1_30default_config_static_selectorELNS0_4arch9wavefront6targetE0EEEvT1_: ; @_ZN7rocprim17ROCPRIM_400000_NS6detail17trampoline_kernelINS0_14default_configENS1_29reduce_by_key_config_selectorIjjN6thrust23THRUST_200600_302600_NS4plusIjEEEEZZNS1_33reduce_by_key_impl_wrapped_configILNS1_25lookback_scan_determinismE0ES3_S9_NS6_6detail15normal_iteratorINS6_10device_ptrIjEEEESG_NS6_16discard_iteratorINS6_11use_defaultEEESG_PmS8_NS6_8equal_toIjEEEE10hipError_tPvRmT2_T3_mT4_T5_T6_T7_T8_P12ihipStream_tbENKUlT_T0_E_clISt17integral_constantIbLb1EES13_IbLb0EEEEDaSZ_S10_EUlSZ_E_NS1_11comp_targetILNS1_3genE0ELNS1_11target_archE4294967295ELNS1_3gpuE0ELNS1_3repE0EEENS1_30default_config_static_selectorELNS0_4arch9wavefront6targetE0EEEvT1_
; %bb.0:
	.section	.rodata,"a",@progbits
	.p2align	6, 0x0
	.amdhsa_kernel _ZN7rocprim17ROCPRIM_400000_NS6detail17trampoline_kernelINS0_14default_configENS1_29reduce_by_key_config_selectorIjjN6thrust23THRUST_200600_302600_NS4plusIjEEEEZZNS1_33reduce_by_key_impl_wrapped_configILNS1_25lookback_scan_determinismE0ES3_S9_NS6_6detail15normal_iteratorINS6_10device_ptrIjEEEESG_NS6_16discard_iteratorINS6_11use_defaultEEESG_PmS8_NS6_8equal_toIjEEEE10hipError_tPvRmT2_T3_mT4_T5_T6_T7_T8_P12ihipStream_tbENKUlT_T0_E_clISt17integral_constantIbLb1EES13_IbLb0EEEEDaSZ_S10_EUlSZ_E_NS1_11comp_targetILNS1_3genE0ELNS1_11target_archE4294967295ELNS1_3gpuE0ELNS1_3repE0EEENS1_30default_config_static_selectorELNS0_4arch9wavefront6targetE0EEEvT1_
		.amdhsa_group_segment_fixed_size 0
		.amdhsa_private_segment_fixed_size 0
		.amdhsa_kernarg_size 128
		.amdhsa_user_sgpr_count 15
		.amdhsa_user_sgpr_dispatch_ptr 0
		.amdhsa_user_sgpr_queue_ptr 0
		.amdhsa_user_sgpr_kernarg_segment_ptr 1
		.amdhsa_user_sgpr_dispatch_id 0
		.amdhsa_user_sgpr_private_segment_size 0
		.amdhsa_wavefront_size32 1
		.amdhsa_uses_dynamic_stack 0
		.amdhsa_enable_private_segment 0
		.amdhsa_system_sgpr_workgroup_id_x 1
		.amdhsa_system_sgpr_workgroup_id_y 0
		.amdhsa_system_sgpr_workgroup_id_z 0
		.amdhsa_system_sgpr_workgroup_info 0
		.amdhsa_system_vgpr_workitem_id 0
		.amdhsa_next_free_vgpr 1
		.amdhsa_next_free_sgpr 1
		.amdhsa_reserve_vcc 0
		.amdhsa_float_round_mode_32 0
		.amdhsa_float_round_mode_16_64 0
		.amdhsa_float_denorm_mode_32 3
		.amdhsa_float_denorm_mode_16_64 3
		.amdhsa_dx10_clamp 1
		.amdhsa_ieee_mode 1
		.amdhsa_fp16_overflow 0
		.amdhsa_workgroup_processor_mode 1
		.amdhsa_memory_ordered 1
		.amdhsa_forward_progress 0
		.amdhsa_shared_vgpr_count 0
		.amdhsa_exception_fp_ieee_invalid_op 0
		.amdhsa_exception_fp_denorm_src 0
		.amdhsa_exception_fp_ieee_div_zero 0
		.amdhsa_exception_fp_ieee_overflow 0
		.amdhsa_exception_fp_ieee_underflow 0
		.amdhsa_exception_fp_ieee_inexact 0
		.amdhsa_exception_int_div_zero 0
	.end_amdhsa_kernel
	.section	.text._ZN7rocprim17ROCPRIM_400000_NS6detail17trampoline_kernelINS0_14default_configENS1_29reduce_by_key_config_selectorIjjN6thrust23THRUST_200600_302600_NS4plusIjEEEEZZNS1_33reduce_by_key_impl_wrapped_configILNS1_25lookback_scan_determinismE0ES3_S9_NS6_6detail15normal_iteratorINS6_10device_ptrIjEEEESG_NS6_16discard_iteratorINS6_11use_defaultEEESG_PmS8_NS6_8equal_toIjEEEE10hipError_tPvRmT2_T3_mT4_T5_T6_T7_T8_P12ihipStream_tbENKUlT_T0_E_clISt17integral_constantIbLb1EES13_IbLb0EEEEDaSZ_S10_EUlSZ_E_NS1_11comp_targetILNS1_3genE0ELNS1_11target_archE4294967295ELNS1_3gpuE0ELNS1_3repE0EEENS1_30default_config_static_selectorELNS0_4arch9wavefront6targetE0EEEvT1_,"axG",@progbits,_ZN7rocprim17ROCPRIM_400000_NS6detail17trampoline_kernelINS0_14default_configENS1_29reduce_by_key_config_selectorIjjN6thrust23THRUST_200600_302600_NS4plusIjEEEEZZNS1_33reduce_by_key_impl_wrapped_configILNS1_25lookback_scan_determinismE0ES3_S9_NS6_6detail15normal_iteratorINS6_10device_ptrIjEEEESG_NS6_16discard_iteratorINS6_11use_defaultEEESG_PmS8_NS6_8equal_toIjEEEE10hipError_tPvRmT2_T3_mT4_T5_T6_T7_T8_P12ihipStream_tbENKUlT_T0_E_clISt17integral_constantIbLb1EES13_IbLb0EEEEDaSZ_S10_EUlSZ_E_NS1_11comp_targetILNS1_3genE0ELNS1_11target_archE4294967295ELNS1_3gpuE0ELNS1_3repE0EEENS1_30default_config_static_selectorELNS0_4arch9wavefront6targetE0EEEvT1_,comdat
.Lfunc_end931:
	.size	_ZN7rocprim17ROCPRIM_400000_NS6detail17trampoline_kernelINS0_14default_configENS1_29reduce_by_key_config_selectorIjjN6thrust23THRUST_200600_302600_NS4plusIjEEEEZZNS1_33reduce_by_key_impl_wrapped_configILNS1_25lookback_scan_determinismE0ES3_S9_NS6_6detail15normal_iteratorINS6_10device_ptrIjEEEESG_NS6_16discard_iteratorINS6_11use_defaultEEESG_PmS8_NS6_8equal_toIjEEEE10hipError_tPvRmT2_T3_mT4_T5_T6_T7_T8_P12ihipStream_tbENKUlT_T0_E_clISt17integral_constantIbLb1EES13_IbLb0EEEEDaSZ_S10_EUlSZ_E_NS1_11comp_targetILNS1_3genE0ELNS1_11target_archE4294967295ELNS1_3gpuE0ELNS1_3repE0EEENS1_30default_config_static_selectorELNS0_4arch9wavefront6targetE0EEEvT1_, .Lfunc_end931-_ZN7rocprim17ROCPRIM_400000_NS6detail17trampoline_kernelINS0_14default_configENS1_29reduce_by_key_config_selectorIjjN6thrust23THRUST_200600_302600_NS4plusIjEEEEZZNS1_33reduce_by_key_impl_wrapped_configILNS1_25lookback_scan_determinismE0ES3_S9_NS6_6detail15normal_iteratorINS6_10device_ptrIjEEEESG_NS6_16discard_iteratorINS6_11use_defaultEEESG_PmS8_NS6_8equal_toIjEEEE10hipError_tPvRmT2_T3_mT4_T5_T6_T7_T8_P12ihipStream_tbENKUlT_T0_E_clISt17integral_constantIbLb1EES13_IbLb0EEEEDaSZ_S10_EUlSZ_E_NS1_11comp_targetILNS1_3genE0ELNS1_11target_archE4294967295ELNS1_3gpuE0ELNS1_3repE0EEENS1_30default_config_static_selectorELNS0_4arch9wavefront6targetE0EEEvT1_
                                        ; -- End function
	.section	.AMDGPU.csdata,"",@progbits
; Kernel info:
; codeLenInByte = 0
; NumSgprs: 0
; NumVgprs: 0
; ScratchSize: 0
; MemoryBound: 0
; FloatMode: 240
; IeeeMode: 1
; LDSByteSize: 0 bytes/workgroup (compile time only)
; SGPRBlocks: 0
; VGPRBlocks: 0
; NumSGPRsForWavesPerEU: 1
; NumVGPRsForWavesPerEU: 1
; Occupancy: 16
; WaveLimiterHint : 0
; COMPUTE_PGM_RSRC2:SCRATCH_EN: 0
; COMPUTE_PGM_RSRC2:USER_SGPR: 15
; COMPUTE_PGM_RSRC2:TRAP_HANDLER: 0
; COMPUTE_PGM_RSRC2:TGID_X_EN: 1
; COMPUTE_PGM_RSRC2:TGID_Y_EN: 0
; COMPUTE_PGM_RSRC2:TGID_Z_EN: 0
; COMPUTE_PGM_RSRC2:TIDIG_COMP_CNT: 0
	.section	.text._ZN7rocprim17ROCPRIM_400000_NS6detail17trampoline_kernelINS0_14default_configENS1_29reduce_by_key_config_selectorIjjN6thrust23THRUST_200600_302600_NS4plusIjEEEEZZNS1_33reduce_by_key_impl_wrapped_configILNS1_25lookback_scan_determinismE0ES3_S9_NS6_6detail15normal_iteratorINS6_10device_ptrIjEEEESG_NS6_16discard_iteratorINS6_11use_defaultEEESG_PmS8_NS6_8equal_toIjEEEE10hipError_tPvRmT2_T3_mT4_T5_T6_T7_T8_P12ihipStream_tbENKUlT_T0_E_clISt17integral_constantIbLb1EES13_IbLb0EEEEDaSZ_S10_EUlSZ_E_NS1_11comp_targetILNS1_3genE5ELNS1_11target_archE942ELNS1_3gpuE9ELNS1_3repE0EEENS1_30default_config_static_selectorELNS0_4arch9wavefront6targetE0EEEvT1_,"axG",@progbits,_ZN7rocprim17ROCPRIM_400000_NS6detail17trampoline_kernelINS0_14default_configENS1_29reduce_by_key_config_selectorIjjN6thrust23THRUST_200600_302600_NS4plusIjEEEEZZNS1_33reduce_by_key_impl_wrapped_configILNS1_25lookback_scan_determinismE0ES3_S9_NS6_6detail15normal_iteratorINS6_10device_ptrIjEEEESG_NS6_16discard_iteratorINS6_11use_defaultEEESG_PmS8_NS6_8equal_toIjEEEE10hipError_tPvRmT2_T3_mT4_T5_T6_T7_T8_P12ihipStream_tbENKUlT_T0_E_clISt17integral_constantIbLb1EES13_IbLb0EEEEDaSZ_S10_EUlSZ_E_NS1_11comp_targetILNS1_3genE5ELNS1_11target_archE942ELNS1_3gpuE9ELNS1_3repE0EEENS1_30default_config_static_selectorELNS0_4arch9wavefront6targetE0EEEvT1_,comdat
	.protected	_ZN7rocprim17ROCPRIM_400000_NS6detail17trampoline_kernelINS0_14default_configENS1_29reduce_by_key_config_selectorIjjN6thrust23THRUST_200600_302600_NS4plusIjEEEEZZNS1_33reduce_by_key_impl_wrapped_configILNS1_25lookback_scan_determinismE0ES3_S9_NS6_6detail15normal_iteratorINS6_10device_ptrIjEEEESG_NS6_16discard_iteratorINS6_11use_defaultEEESG_PmS8_NS6_8equal_toIjEEEE10hipError_tPvRmT2_T3_mT4_T5_T6_T7_T8_P12ihipStream_tbENKUlT_T0_E_clISt17integral_constantIbLb1EES13_IbLb0EEEEDaSZ_S10_EUlSZ_E_NS1_11comp_targetILNS1_3genE5ELNS1_11target_archE942ELNS1_3gpuE9ELNS1_3repE0EEENS1_30default_config_static_selectorELNS0_4arch9wavefront6targetE0EEEvT1_ ; -- Begin function _ZN7rocprim17ROCPRIM_400000_NS6detail17trampoline_kernelINS0_14default_configENS1_29reduce_by_key_config_selectorIjjN6thrust23THRUST_200600_302600_NS4plusIjEEEEZZNS1_33reduce_by_key_impl_wrapped_configILNS1_25lookback_scan_determinismE0ES3_S9_NS6_6detail15normal_iteratorINS6_10device_ptrIjEEEESG_NS6_16discard_iteratorINS6_11use_defaultEEESG_PmS8_NS6_8equal_toIjEEEE10hipError_tPvRmT2_T3_mT4_T5_T6_T7_T8_P12ihipStream_tbENKUlT_T0_E_clISt17integral_constantIbLb1EES13_IbLb0EEEEDaSZ_S10_EUlSZ_E_NS1_11comp_targetILNS1_3genE5ELNS1_11target_archE942ELNS1_3gpuE9ELNS1_3repE0EEENS1_30default_config_static_selectorELNS0_4arch9wavefront6targetE0EEEvT1_
	.globl	_ZN7rocprim17ROCPRIM_400000_NS6detail17trampoline_kernelINS0_14default_configENS1_29reduce_by_key_config_selectorIjjN6thrust23THRUST_200600_302600_NS4plusIjEEEEZZNS1_33reduce_by_key_impl_wrapped_configILNS1_25lookback_scan_determinismE0ES3_S9_NS6_6detail15normal_iteratorINS6_10device_ptrIjEEEESG_NS6_16discard_iteratorINS6_11use_defaultEEESG_PmS8_NS6_8equal_toIjEEEE10hipError_tPvRmT2_T3_mT4_T5_T6_T7_T8_P12ihipStream_tbENKUlT_T0_E_clISt17integral_constantIbLb1EES13_IbLb0EEEEDaSZ_S10_EUlSZ_E_NS1_11comp_targetILNS1_3genE5ELNS1_11target_archE942ELNS1_3gpuE9ELNS1_3repE0EEENS1_30default_config_static_selectorELNS0_4arch9wavefront6targetE0EEEvT1_
	.p2align	8
	.type	_ZN7rocprim17ROCPRIM_400000_NS6detail17trampoline_kernelINS0_14default_configENS1_29reduce_by_key_config_selectorIjjN6thrust23THRUST_200600_302600_NS4plusIjEEEEZZNS1_33reduce_by_key_impl_wrapped_configILNS1_25lookback_scan_determinismE0ES3_S9_NS6_6detail15normal_iteratorINS6_10device_ptrIjEEEESG_NS6_16discard_iteratorINS6_11use_defaultEEESG_PmS8_NS6_8equal_toIjEEEE10hipError_tPvRmT2_T3_mT4_T5_T6_T7_T8_P12ihipStream_tbENKUlT_T0_E_clISt17integral_constantIbLb1EES13_IbLb0EEEEDaSZ_S10_EUlSZ_E_NS1_11comp_targetILNS1_3genE5ELNS1_11target_archE942ELNS1_3gpuE9ELNS1_3repE0EEENS1_30default_config_static_selectorELNS0_4arch9wavefront6targetE0EEEvT1_,@function
_ZN7rocprim17ROCPRIM_400000_NS6detail17trampoline_kernelINS0_14default_configENS1_29reduce_by_key_config_selectorIjjN6thrust23THRUST_200600_302600_NS4plusIjEEEEZZNS1_33reduce_by_key_impl_wrapped_configILNS1_25lookback_scan_determinismE0ES3_S9_NS6_6detail15normal_iteratorINS6_10device_ptrIjEEEESG_NS6_16discard_iteratorINS6_11use_defaultEEESG_PmS8_NS6_8equal_toIjEEEE10hipError_tPvRmT2_T3_mT4_T5_T6_T7_T8_P12ihipStream_tbENKUlT_T0_E_clISt17integral_constantIbLb1EES13_IbLb0EEEEDaSZ_S10_EUlSZ_E_NS1_11comp_targetILNS1_3genE5ELNS1_11target_archE942ELNS1_3gpuE9ELNS1_3repE0EEENS1_30default_config_static_selectorELNS0_4arch9wavefront6targetE0EEEvT1_: ; @_ZN7rocprim17ROCPRIM_400000_NS6detail17trampoline_kernelINS0_14default_configENS1_29reduce_by_key_config_selectorIjjN6thrust23THRUST_200600_302600_NS4plusIjEEEEZZNS1_33reduce_by_key_impl_wrapped_configILNS1_25lookback_scan_determinismE0ES3_S9_NS6_6detail15normal_iteratorINS6_10device_ptrIjEEEESG_NS6_16discard_iteratorINS6_11use_defaultEEESG_PmS8_NS6_8equal_toIjEEEE10hipError_tPvRmT2_T3_mT4_T5_T6_T7_T8_P12ihipStream_tbENKUlT_T0_E_clISt17integral_constantIbLb1EES13_IbLb0EEEEDaSZ_S10_EUlSZ_E_NS1_11comp_targetILNS1_3genE5ELNS1_11target_archE942ELNS1_3gpuE9ELNS1_3repE0EEENS1_30default_config_static_selectorELNS0_4arch9wavefront6targetE0EEEvT1_
; %bb.0:
	.section	.rodata,"a",@progbits
	.p2align	6, 0x0
	.amdhsa_kernel _ZN7rocprim17ROCPRIM_400000_NS6detail17trampoline_kernelINS0_14default_configENS1_29reduce_by_key_config_selectorIjjN6thrust23THRUST_200600_302600_NS4plusIjEEEEZZNS1_33reduce_by_key_impl_wrapped_configILNS1_25lookback_scan_determinismE0ES3_S9_NS6_6detail15normal_iteratorINS6_10device_ptrIjEEEESG_NS6_16discard_iteratorINS6_11use_defaultEEESG_PmS8_NS6_8equal_toIjEEEE10hipError_tPvRmT2_T3_mT4_T5_T6_T7_T8_P12ihipStream_tbENKUlT_T0_E_clISt17integral_constantIbLb1EES13_IbLb0EEEEDaSZ_S10_EUlSZ_E_NS1_11comp_targetILNS1_3genE5ELNS1_11target_archE942ELNS1_3gpuE9ELNS1_3repE0EEENS1_30default_config_static_selectorELNS0_4arch9wavefront6targetE0EEEvT1_
		.amdhsa_group_segment_fixed_size 0
		.amdhsa_private_segment_fixed_size 0
		.amdhsa_kernarg_size 128
		.amdhsa_user_sgpr_count 15
		.amdhsa_user_sgpr_dispatch_ptr 0
		.amdhsa_user_sgpr_queue_ptr 0
		.amdhsa_user_sgpr_kernarg_segment_ptr 1
		.amdhsa_user_sgpr_dispatch_id 0
		.amdhsa_user_sgpr_private_segment_size 0
		.amdhsa_wavefront_size32 1
		.amdhsa_uses_dynamic_stack 0
		.amdhsa_enable_private_segment 0
		.amdhsa_system_sgpr_workgroup_id_x 1
		.amdhsa_system_sgpr_workgroup_id_y 0
		.amdhsa_system_sgpr_workgroup_id_z 0
		.amdhsa_system_sgpr_workgroup_info 0
		.amdhsa_system_vgpr_workitem_id 0
		.amdhsa_next_free_vgpr 1
		.amdhsa_next_free_sgpr 1
		.amdhsa_reserve_vcc 0
		.amdhsa_float_round_mode_32 0
		.amdhsa_float_round_mode_16_64 0
		.amdhsa_float_denorm_mode_32 3
		.amdhsa_float_denorm_mode_16_64 3
		.amdhsa_dx10_clamp 1
		.amdhsa_ieee_mode 1
		.amdhsa_fp16_overflow 0
		.amdhsa_workgroup_processor_mode 1
		.amdhsa_memory_ordered 1
		.amdhsa_forward_progress 0
		.amdhsa_shared_vgpr_count 0
		.amdhsa_exception_fp_ieee_invalid_op 0
		.amdhsa_exception_fp_denorm_src 0
		.amdhsa_exception_fp_ieee_div_zero 0
		.amdhsa_exception_fp_ieee_overflow 0
		.amdhsa_exception_fp_ieee_underflow 0
		.amdhsa_exception_fp_ieee_inexact 0
		.amdhsa_exception_int_div_zero 0
	.end_amdhsa_kernel
	.section	.text._ZN7rocprim17ROCPRIM_400000_NS6detail17trampoline_kernelINS0_14default_configENS1_29reduce_by_key_config_selectorIjjN6thrust23THRUST_200600_302600_NS4plusIjEEEEZZNS1_33reduce_by_key_impl_wrapped_configILNS1_25lookback_scan_determinismE0ES3_S9_NS6_6detail15normal_iteratorINS6_10device_ptrIjEEEESG_NS6_16discard_iteratorINS6_11use_defaultEEESG_PmS8_NS6_8equal_toIjEEEE10hipError_tPvRmT2_T3_mT4_T5_T6_T7_T8_P12ihipStream_tbENKUlT_T0_E_clISt17integral_constantIbLb1EES13_IbLb0EEEEDaSZ_S10_EUlSZ_E_NS1_11comp_targetILNS1_3genE5ELNS1_11target_archE942ELNS1_3gpuE9ELNS1_3repE0EEENS1_30default_config_static_selectorELNS0_4arch9wavefront6targetE0EEEvT1_,"axG",@progbits,_ZN7rocprim17ROCPRIM_400000_NS6detail17trampoline_kernelINS0_14default_configENS1_29reduce_by_key_config_selectorIjjN6thrust23THRUST_200600_302600_NS4plusIjEEEEZZNS1_33reduce_by_key_impl_wrapped_configILNS1_25lookback_scan_determinismE0ES3_S9_NS6_6detail15normal_iteratorINS6_10device_ptrIjEEEESG_NS6_16discard_iteratorINS6_11use_defaultEEESG_PmS8_NS6_8equal_toIjEEEE10hipError_tPvRmT2_T3_mT4_T5_T6_T7_T8_P12ihipStream_tbENKUlT_T0_E_clISt17integral_constantIbLb1EES13_IbLb0EEEEDaSZ_S10_EUlSZ_E_NS1_11comp_targetILNS1_3genE5ELNS1_11target_archE942ELNS1_3gpuE9ELNS1_3repE0EEENS1_30default_config_static_selectorELNS0_4arch9wavefront6targetE0EEEvT1_,comdat
.Lfunc_end932:
	.size	_ZN7rocprim17ROCPRIM_400000_NS6detail17trampoline_kernelINS0_14default_configENS1_29reduce_by_key_config_selectorIjjN6thrust23THRUST_200600_302600_NS4plusIjEEEEZZNS1_33reduce_by_key_impl_wrapped_configILNS1_25lookback_scan_determinismE0ES3_S9_NS6_6detail15normal_iteratorINS6_10device_ptrIjEEEESG_NS6_16discard_iteratorINS6_11use_defaultEEESG_PmS8_NS6_8equal_toIjEEEE10hipError_tPvRmT2_T3_mT4_T5_T6_T7_T8_P12ihipStream_tbENKUlT_T0_E_clISt17integral_constantIbLb1EES13_IbLb0EEEEDaSZ_S10_EUlSZ_E_NS1_11comp_targetILNS1_3genE5ELNS1_11target_archE942ELNS1_3gpuE9ELNS1_3repE0EEENS1_30default_config_static_selectorELNS0_4arch9wavefront6targetE0EEEvT1_, .Lfunc_end932-_ZN7rocprim17ROCPRIM_400000_NS6detail17trampoline_kernelINS0_14default_configENS1_29reduce_by_key_config_selectorIjjN6thrust23THRUST_200600_302600_NS4plusIjEEEEZZNS1_33reduce_by_key_impl_wrapped_configILNS1_25lookback_scan_determinismE0ES3_S9_NS6_6detail15normal_iteratorINS6_10device_ptrIjEEEESG_NS6_16discard_iteratorINS6_11use_defaultEEESG_PmS8_NS6_8equal_toIjEEEE10hipError_tPvRmT2_T3_mT4_T5_T6_T7_T8_P12ihipStream_tbENKUlT_T0_E_clISt17integral_constantIbLb1EES13_IbLb0EEEEDaSZ_S10_EUlSZ_E_NS1_11comp_targetILNS1_3genE5ELNS1_11target_archE942ELNS1_3gpuE9ELNS1_3repE0EEENS1_30default_config_static_selectorELNS0_4arch9wavefront6targetE0EEEvT1_
                                        ; -- End function
	.section	.AMDGPU.csdata,"",@progbits
; Kernel info:
; codeLenInByte = 0
; NumSgprs: 0
; NumVgprs: 0
; ScratchSize: 0
; MemoryBound: 0
; FloatMode: 240
; IeeeMode: 1
; LDSByteSize: 0 bytes/workgroup (compile time only)
; SGPRBlocks: 0
; VGPRBlocks: 0
; NumSGPRsForWavesPerEU: 1
; NumVGPRsForWavesPerEU: 1
; Occupancy: 16
; WaveLimiterHint : 0
; COMPUTE_PGM_RSRC2:SCRATCH_EN: 0
; COMPUTE_PGM_RSRC2:USER_SGPR: 15
; COMPUTE_PGM_RSRC2:TRAP_HANDLER: 0
; COMPUTE_PGM_RSRC2:TGID_X_EN: 1
; COMPUTE_PGM_RSRC2:TGID_Y_EN: 0
; COMPUTE_PGM_RSRC2:TGID_Z_EN: 0
; COMPUTE_PGM_RSRC2:TIDIG_COMP_CNT: 0
	.section	.text._ZN7rocprim17ROCPRIM_400000_NS6detail17trampoline_kernelINS0_14default_configENS1_29reduce_by_key_config_selectorIjjN6thrust23THRUST_200600_302600_NS4plusIjEEEEZZNS1_33reduce_by_key_impl_wrapped_configILNS1_25lookback_scan_determinismE0ES3_S9_NS6_6detail15normal_iteratorINS6_10device_ptrIjEEEESG_NS6_16discard_iteratorINS6_11use_defaultEEESG_PmS8_NS6_8equal_toIjEEEE10hipError_tPvRmT2_T3_mT4_T5_T6_T7_T8_P12ihipStream_tbENKUlT_T0_E_clISt17integral_constantIbLb1EES13_IbLb0EEEEDaSZ_S10_EUlSZ_E_NS1_11comp_targetILNS1_3genE4ELNS1_11target_archE910ELNS1_3gpuE8ELNS1_3repE0EEENS1_30default_config_static_selectorELNS0_4arch9wavefront6targetE0EEEvT1_,"axG",@progbits,_ZN7rocprim17ROCPRIM_400000_NS6detail17trampoline_kernelINS0_14default_configENS1_29reduce_by_key_config_selectorIjjN6thrust23THRUST_200600_302600_NS4plusIjEEEEZZNS1_33reduce_by_key_impl_wrapped_configILNS1_25lookback_scan_determinismE0ES3_S9_NS6_6detail15normal_iteratorINS6_10device_ptrIjEEEESG_NS6_16discard_iteratorINS6_11use_defaultEEESG_PmS8_NS6_8equal_toIjEEEE10hipError_tPvRmT2_T3_mT4_T5_T6_T7_T8_P12ihipStream_tbENKUlT_T0_E_clISt17integral_constantIbLb1EES13_IbLb0EEEEDaSZ_S10_EUlSZ_E_NS1_11comp_targetILNS1_3genE4ELNS1_11target_archE910ELNS1_3gpuE8ELNS1_3repE0EEENS1_30default_config_static_selectorELNS0_4arch9wavefront6targetE0EEEvT1_,comdat
	.protected	_ZN7rocprim17ROCPRIM_400000_NS6detail17trampoline_kernelINS0_14default_configENS1_29reduce_by_key_config_selectorIjjN6thrust23THRUST_200600_302600_NS4plusIjEEEEZZNS1_33reduce_by_key_impl_wrapped_configILNS1_25lookback_scan_determinismE0ES3_S9_NS6_6detail15normal_iteratorINS6_10device_ptrIjEEEESG_NS6_16discard_iteratorINS6_11use_defaultEEESG_PmS8_NS6_8equal_toIjEEEE10hipError_tPvRmT2_T3_mT4_T5_T6_T7_T8_P12ihipStream_tbENKUlT_T0_E_clISt17integral_constantIbLb1EES13_IbLb0EEEEDaSZ_S10_EUlSZ_E_NS1_11comp_targetILNS1_3genE4ELNS1_11target_archE910ELNS1_3gpuE8ELNS1_3repE0EEENS1_30default_config_static_selectorELNS0_4arch9wavefront6targetE0EEEvT1_ ; -- Begin function _ZN7rocprim17ROCPRIM_400000_NS6detail17trampoline_kernelINS0_14default_configENS1_29reduce_by_key_config_selectorIjjN6thrust23THRUST_200600_302600_NS4plusIjEEEEZZNS1_33reduce_by_key_impl_wrapped_configILNS1_25lookback_scan_determinismE0ES3_S9_NS6_6detail15normal_iteratorINS6_10device_ptrIjEEEESG_NS6_16discard_iteratorINS6_11use_defaultEEESG_PmS8_NS6_8equal_toIjEEEE10hipError_tPvRmT2_T3_mT4_T5_T6_T7_T8_P12ihipStream_tbENKUlT_T0_E_clISt17integral_constantIbLb1EES13_IbLb0EEEEDaSZ_S10_EUlSZ_E_NS1_11comp_targetILNS1_3genE4ELNS1_11target_archE910ELNS1_3gpuE8ELNS1_3repE0EEENS1_30default_config_static_selectorELNS0_4arch9wavefront6targetE0EEEvT1_
	.globl	_ZN7rocprim17ROCPRIM_400000_NS6detail17trampoline_kernelINS0_14default_configENS1_29reduce_by_key_config_selectorIjjN6thrust23THRUST_200600_302600_NS4plusIjEEEEZZNS1_33reduce_by_key_impl_wrapped_configILNS1_25lookback_scan_determinismE0ES3_S9_NS6_6detail15normal_iteratorINS6_10device_ptrIjEEEESG_NS6_16discard_iteratorINS6_11use_defaultEEESG_PmS8_NS6_8equal_toIjEEEE10hipError_tPvRmT2_T3_mT4_T5_T6_T7_T8_P12ihipStream_tbENKUlT_T0_E_clISt17integral_constantIbLb1EES13_IbLb0EEEEDaSZ_S10_EUlSZ_E_NS1_11comp_targetILNS1_3genE4ELNS1_11target_archE910ELNS1_3gpuE8ELNS1_3repE0EEENS1_30default_config_static_selectorELNS0_4arch9wavefront6targetE0EEEvT1_
	.p2align	8
	.type	_ZN7rocprim17ROCPRIM_400000_NS6detail17trampoline_kernelINS0_14default_configENS1_29reduce_by_key_config_selectorIjjN6thrust23THRUST_200600_302600_NS4plusIjEEEEZZNS1_33reduce_by_key_impl_wrapped_configILNS1_25lookback_scan_determinismE0ES3_S9_NS6_6detail15normal_iteratorINS6_10device_ptrIjEEEESG_NS6_16discard_iteratorINS6_11use_defaultEEESG_PmS8_NS6_8equal_toIjEEEE10hipError_tPvRmT2_T3_mT4_T5_T6_T7_T8_P12ihipStream_tbENKUlT_T0_E_clISt17integral_constantIbLb1EES13_IbLb0EEEEDaSZ_S10_EUlSZ_E_NS1_11comp_targetILNS1_3genE4ELNS1_11target_archE910ELNS1_3gpuE8ELNS1_3repE0EEENS1_30default_config_static_selectorELNS0_4arch9wavefront6targetE0EEEvT1_,@function
_ZN7rocprim17ROCPRIM_400000_NS6detail17trampoline_kernelINS0_14default_configENS1_29reduce_by_key_config_selectorIjjN6thrust23THRUST_200600_302600_NS4plusIjEEEEZZNS1_33reduce_by_key_impl_wrapped_configILNS1_25lookback_scan_determinismE0ES3_S9_NS6_6detail15normal_iteratorINS6_10device_ptrIjEEEESG_NS6_16discard_iteratorINS6_11use_defaultEEESG_PmS8_NS6_8equal_toIjEEEE10hipError_tPvRmT2_T3_mT4_T5_T6_T7_T8_P12ihipStream_tbENKUlT_T0_E_clISt17integral_constantIbLb1EES13_IbLb0EEEEDaSZ_S10_EUlSZ_E_NS1_11comp_targetILNS1_3genE4ELNS1_11target_archE910ELNS1_3gpuE8ELNS1_3repE0EEENS1_30default_config_static_selectorELNS0_4arch9wavefront6targetE0EEEvT1_: ; @_ZN7rocprim17ROCPRIM_400000_NS6detail17trampoline_kernelINS0_14default_configENS1_29reduce_by_key_config_selectorIjjN6thrust23THRUST_200600_302600_NS4plusIjEEEEZZNS1_33reduce_by_key_impl_wrapped_configILNS1_25lookback_scan_determinismE0ES3_S9_NS6_6detail15normal_iteratorINS6_10device_ptrIjEEEESG_NS6_16discard_iteratorINS6_11use_defaultEEESG_PmS8_NS6_8equal_toIjEEEE10hipError_tPvRmT2_T3_mT4_T5_T6_T7_T8_P12ihipStream_tbENKUlT_T0_E_clISt17integral_constantIbLb1EES13_IbLb0EEEEDaSZ_S10_EUlSZ_E_NS1_11comp_targetILNS1_3genE4ELNS1_11target_archE910ELNS1_3gpuE8ELNS1_3repE0EEENS1_30default_config_static_selectorELNS0_4arch9wavefront6targetE0EEEvT1_
; %bb.0:
	.section	.rodata,"a",@progbits
	.p2align	6, 0x0
	.amdhsa_kernel _ZN7rocprim17ROCPRIM_400000_NS6detail17trampoline_kernelINS0_14default_configENS1_29reduce_by_key_config_selectorIjjN6thrust23THRUST_200600_302600_NS4plusIjEEEEZZNS1_33reduce_by_key_impl_wrapped_configILNS1_25lookback_scan_determinismE0ES3_S9_NS6_6detail15normal_iteratorINS6_10device_ptrIjEEEESG_NS6_16discard_iteratorINS6_11use_defaultEEESG_PmS8_NS6_8equal_toIjEEEE10hipError_tPvRmT2_T3_mT4_T5_T6_T7_T8_P12ihipStream_tbENKUlT_T0_E_clISt17integral_constantIbLb1EES13_IbLb0EEEEDaSZ_S10_EUlSZ_E_NS1_11comp_targetILNS1_3genE4ELNS1_11target_archE910ELNS1_3gpuE8ELNS1_3repE0EEENS1_30default_config_static_selectorELNS0_4arch9wavefront6targetE0EEEvT1_
		.amdhsa_group_segment_fixed_size 0
		.amdhsa_private_segment_fixed_size 0
		.amdhsa_kernarg_size 128
		.amdhsa_user_sgpr_count 15
		.amdhsa_user_sgpr_dispatch_ptr 0
		.amdhsa_user_sgpr_queue_ptr 0
		.amdhsa_user_sgpr_kernarg_segment_ptr 1
		.amdhsa_user_sgpr_dispatch_id 0
		.amdhsa_user_sgpr_private_segment_size 0
		.amdhsa_wavefront_size32 1
		.amdhsa_uses_dynamic_stack 0
		.amdhsa_enable_private_segment 0
		.amdhsa_system_sgpr_workgroup_id_x 1
		.amdhsa_system_sgpr_workgroup_id_y 0
		.amdhsa_system_sgpr_workgroup_id_z 0
		.amdhsa_system_sgpr_workgroup_info 0
		.amdhsa_system_vgpr_workitem_id 0
		.amdhsa_next_free_vgpr 1
		.amdhsa_next_free_sgpr 1
		.amdhsa_reserve_vcc 0
		.amdhsa_float_round_mode_32 0
		.amdhsa_float_round_mode_16_64 0
		.amdhsa_float_denorm_mode_32 3
		.amdhsa_float_denorm_mode_16_64 3
		.amdhsa_dx10_clamp 1
		.amdhsa_ieee_mode 1
		.amdhsa_fp16_overflow 0
		.amdhsa_workgroup_processor_mode 1
		.amdhsa_memory_ordered 1
		.amdhsa_forward_progress 0
		.amdhsa_shared_vgpr_count 0
		.amdhsa_exception_fp_ieee_invalid_op 0
		.amdhsa_exception_fp_denorm_src 0
		.amdhsa_exception_fp_ieee_div_zero 0
		.amdhsa_exception_fp_ieee_overflow 0
		.amdhsa_exception_fp_ieee_underflow 0
		.amdhsa_exception_fp_ieee_inexact 0
		.amdhsa_exception_int_div_zero 0
	.end_amdhsa_kernel
	.section	.text._ZN7rocprim17ROCPRIM_400000_NS6detail17trampoline_kernelINS0_14default_configENS1_29reduce_by_key_config_selectorIjjN6thrust23THRUST_200600_302600_NS4plusIjEEEEZZNS1_33reduce_by_key_impl_wrapped_configILNS1_25lookback_scan_determinismE0ES3_S9_NS6_6detail15normal_iteratorINS6_10device_ptrIjEEEESG_NS6_16discard_iteratorINS6_11use_defaultEEESG_PmS8_NS6_8equal_toIjEEEE10hipError_tPvRmT2_T3_mT4_T5_T6_T7_T8_P12ihipStream_tbENKUlT_T0_E_clISt17integral_constantIbLb1EES13_IbLb0EEEEDaSZ_S10_EUlSZ_E_NS1_11comp_targetILNS1_3genE4ELNS1_11target_archE910ELNS1_3gpuE8ELNS1_3repE0EEENS1_30default_config_static_selectorELNS0_4arch9wavefront6targetE0EEEvT1_,"axG",@progbits,_ZN7rocprim17ROCPRIM_400000_NS6detail17trampoline_kernelINS0_14default_configENS1_29reduce_by_key_config_selectorIjjN6thrust23THRUST_200600_302600_NS4plusIjEEEEZZNS1_33reduce_by_key_impl_wrapped_configILNS1_25lookback_scan_determinismE0ES3_S9_NS6_6detail15normal_iteratorINS6_10device_ptrIjEEEESG_NS6_16discard_iteratorINS6_11use_defaultEEESG_PmS8_NS6_8equal_toIjEEEE10hipError_tPvRmT2_T3_mT4_T5_T6_T7_T8_P12ihipStream_tbENKUlT_T0_E_clISt17integral_constantIbLb1EES13_IbLb0EEEEDaSZ_S10_EUlSZ_E_NS1_11comp_targetILNS1_3genE4ELNS1_11target_archE910ELNS1_3gpuE8ELNS1_3repE0EEENS1_30default_config_static_selectorELNS0_4arch9wavefront6targetE0EEEvT1_,comdat
.Lfunc_end933:
	.size	_ZN7rocprim17ROCPRIM_400000_NS6detail17trampoline_kernelINS0_14default_configENS1_29reduce_by_key_config_selectorIjjN6thrust23THRUST_200600_302600_NS4plusIjEEEEZZNS1_33reduce_by_key_impl_wrapped_configILNS1_25lookback_scan_determinismE0ES3_S9_NS6_6detail15normal_iteratorINS6_10device_ptrIjEEEESG_NS6_16discard_iteratorINS6_11use_defaultEEESG_PmS8_NS6_8equal_toIjEEEE10hipError_tPvRmT2_T3_mT4_T5_T6_T7_T8_P12ihipStream_tbENKUlT_T0_E_clISt17integral_constantIbLb1EES13_IbLb0EEEEDaSZ_S10_EUlSZ_E_NS1_11comp_targetILNS1_3genE4ELNS1_11target_archE910ELNS1_3gpuE8ELNS1_3repE0EEENS1_30default_config_static_selectorELNS0_4arch9wavefront6targetE0EEEvT1_, .Lfunc_end933-_ZN7rocprim17ROCPRIM_400000_NS6detail17trampoline_kernelINS0_14default_configENS1_29reduce_by_key_config_selectorIjjN6thrust23THRUST_200600_302600_NS4plusIjEEEEZZNS1_33reduce_by_key_impl_wrapped_configILNS1_25lookback_scan_determinismE0ES3_S9_NS6_6detail15normal_iteratorINS6_10device_ptrIjEEEESG_NS6_16discard_iteratorINS6_11use_defaultEEESG_PmS8_NS6_8equal_toIjEEEE10hipError_tPvRmT2_T3_mT4_T5_T6_T7_T8_P12ihipStream_tbENKUlT_T0_E_clISt17integral_constantIbLb1EES13_IbLb0EEEEDaSZ_S10_EUlSZ_E_NS1_11comp_targetILNS1_3genE4ELNS1_11target_archE910ELNS1_3gpuE8ELNS1_3repE0EEENS1_30default_config_static_selectorELNS0_4arch9wavefront6targetE0EEEvT1_
                                        ; -- End function
	.section	.AMDGPU.csdata,"",@progbits
; Kernel info:
; codeLenInByte = 0
; NumSgprs: 0
; NumVgprs: 0
; ScratchSize: 0
; MemoryBound: 0
; FloatMode: 240
; IeeeMode: 1
; LDSByteSize: 0 bytes/workgroup (compile time only)
; SGPRBlocks: 0
; VGPRBlocks: 0
; NumSGPRsForWavesPerEU: 1
; NumVGPRsForWavesPerEU: 1
; Occupancy: 16
; WaveLimiterHint : 0
; COMPUTE_PGM_RSRC2:SCRATCH_EN: 0
; COMPUTE_PGM_RSRC2:USER_SGPR: 15
; COMPUTE_PGM_RSRC2:TRAP_HANDLER: 0
; COMPUTE_PGM_RSRC2:TGID_X_EN: 1
; COMPUTE_PGM_RSRC2:TGID_Y_EN: 0
; COMPUTE_PGM_RSRC2:TGID_Z_EN: 0
; COMPUTE_PGM_RSRC2:TIDIG_COMP_CNT: 0
	.section	.text._ZN7rocprim17ROCPRIM_400000_NS6detail17trampoline_kernelINS0_14default_configENS1_29reduce_by_key_config_selectorIjjN6thrust23THRUST_200600_302600_NS4plusIjEEEEZZNS1_33reduce_by_key_impl_wrapped_configILNS1_25lookback_scan_determinismE0ES3_S9_NS6_6detail15normal_iteratorINS6_10device_ptrIjEEEESG_NS6_16discard_iteratorINS6_11use_defaultEEESG_PmS8_NS6_8equal_toIjEEEE10hipError_tPvRmT2_T3_mT4_T5_T6_T7_T8_P12ihipStream_tbENKUlT_T0_E_clISt17integral_constantIbLb1EES13_IbLb0EEEEDaSZ_S10_EUlSZ_E_NS1_11comp_targetILNS1_3genE3ELNS1_11target_archE908ELNS1_3gpuE7ELNS1_3repE0EEENS1_30default_config_static_selectorELNS0_4arch9wavefront6targetE0EEEvT1_,"axG",@progbits,_ZN7rocprim17ROCPRIM_400000_NS6detail17trampoline_kernelINS0_14default_configENS1_29reduce_by_key_config_selectorIjjN6thrust23THRUST_200600_302600_NS4plusIjEEEEZZNS1_33reduce_by_key_impl_wrapped_configILNS1_25lookback_scan_determinismE0ES3_S9_NS6_6detail15normal_iteratorINS6_10device_ptrIjEEEESG_NS6_16discard_iteratorINS6_11use_defaultEEESG_PmS8_NS6_8equal_toIjEEEE10hipError_tPvRmT2_T3_mT4_T5_T6_T7_T8_P12ihipStream_tbENKUlT_T0_E_clISt17integral_constantIbLb1EES13_IbLb0EEEEDaSZ_S10_EUlSZ_E_NS1_11comp_targetILNS1_3genE3ELNS1_11target_archE908ELNS1_3gpuE7ELNS1_3repE0EEENS1_30default_config_static_selectorELNS0_4arch9wavefront6targetE0EEEvT1_,comdat
	.protected	_ZN7rocprim17ROCPRIM_400000_NS6detail17trampoline_kernelINS0_14default_configENS1_29reduce_by_key_config_selectorIjjN6thrust23THRUST_200600_302600_NS4plusIjEEEEZZNS1_33reduce_by_key_impl_wrapped_configILNS1_25lookback_scan_determinismE0ES3_S9_NS6_6detail15normal_iteratorINS6_10device_ptrIjEEEESG_NS6_16discard_iteratorINS6_11use_defaultEEESG_PmS8_NS6_8equal_toIjEEEE10hipError_tPvRmT2_T3_mT4_T5_T6_T7_T8_P12ihipStream_tbENKUlT_T0_E_clISt17integral_constantIbLb1EES13_IbLb0EEEEDaSZ_S10_EUlSZ_E_NS1_11comp_targetILNS1_3genE3ELNS1_11target_archE908ELNS1_3gpuE7ELNS1_3repE0EEENS1_30default_config_static_selectorELNS0_4arch9wavefront6targetE0EEEvT1_ ; -- Begin function _ZN7rocprim17ROCPRIM_400000_NS6detail17trampoline_kernelINS0_14default_configENS1_29reduce_by_key_config_selectorIjjN6thrust23THRUST_200600_302600_NS4plusIjEEEEZZNS1_33reduce_by_key_impl_wrapped_configILNS1_25lookback_scan_determinismE0ES3_S9_NS6_6detail15normal_iteratorINS6_10device_ptrIjEEEESG_NS6_16discard_iteratorINS6_11use_defaultEEESG_PmS8_NS6_8equal_toIjEEEE10hipError_tPvRmT2_T3_mT4_T5_T6_T7_T8_P12ihipStream_tbENKUlT_T0_E_clISt17integral_constantIbLb1EES13_IbLb0EEEEDaSZ_S10_EUlSZ_E_NS1_11comp_targetILNS1_3genE3ELNS1_11target_archE908ELNS1_3gpuE7ELNS1_3repE0EEENS1_30default_config_static_selectorELNS0_4arch9wavefront6targetE0EEEvT1_
	.globl	_ZN7rocprim17ROCPRIM_400000_NS6detail17trampoline_kernelINS0_14default_configENS1_29reduce_by_key_config_selectorIjjN6thrust23THRUST_200600_302600_NS4plusIjEEEEZZNS1_33reduce_by_key_impl_wrapped_configILNS1_25lookback_scan_determinismE0ES3_S9_NS6_6detail15normal_iteratorINS6_10device_ptrIjEEEESG_NS6_16discard_iteratorINS6_11use_defaultEEESG_PmS8_NS6_8equal_toIjEEEE10hipError_tPvRmT2_T3_mT4_T5_T6_T7_T8_P12ihipStream_tbENKUlT_T0_E_clISt17integral_constantIbLb1EES13_IbLb0EEEEDaSZ_S10_EUlSZ_E_NS1_11comp_targetILNS1_3genE3ELNS1_11target_archE908ELNS1_3gpuE7ELNS1_3repE0EEENS1_30default_config_static_selectorELNS0_4arch9wavefront6targetE0EEEvT1_
	.p2align	8
	.type	_ZN7rocprim17ROCPRIM_400000_NS6detail17trampoline_kernelINS0_14default_configENS1_29reduce_by_key_config_selectorIjjN6thrust23THRUST_200600_302600_NS4plusIjEEEEZZNS1_33reduce_by_key_impl_wrapped_configILNS1_25lookback_scan_determinismE0ES3_S9_NS6_6detail15normal_iteratorINS6_10device_ptrIjEEEESG_NS6_16discard_iteratorINS6_11use_defaultEEESG_PmS8_NS6_8equal_toIjEEEE10hipError_tPvRmT2_T3_mT4_T5_T6_T7_T8_P12ihipStream_tbENKUlT_T0_E_clISt17integral_constantIbLb1EES13_IbLb0EEEEDaSZ_S10_EUlSZ_E_NS1_11comp_targetILNS1_3genE3ELNS1_11target_archE908ELNS1_3gpuE7ELNS1_3repE0EEENS1_30default_config_static_selectorELNS0_4arch9wavefront6targetE0EEEvT1_,@function
_ZN7rocprim17ROCPRIM_400000_NS6detail17trampoline_kernelINS0_14default_configENS1_29reduce_by_key_config_selectorIjjN6thrust23THRUST_200600_302600_NS4plusIjEEEEZZNS1_33reduce_by_key_impl_wrapped_configILNS1_25lookback_scan_determinismE0ES3_S9_NS6_6detail15normal_iteratorINS6_10device_ptrIjEEEESG_NS6_16discard_iteratorINS6_11use_defaultEEESG_PmS8_NS6_8equal_toIjEEEE10hipError_tPvRmT2_T3_mT4_T5_T6_T7_T8_P12ihipStream_tbENKUlT_T0_E_clISt17integral_constantIbLb1EES13_IbLb0EEEEDaSZ_S10_EUlSZ_E_NS1_11comp_targetILNS1_3genE3ELNS1_11target_archE908ELNS1_3gpuE7ELNS1_3repE0EEENS1_30default_config_static_selectorELNS0_4arch9wavefront6targetE0EEEvT1_: ; @_ZN7rocprim17ROCPRIM_400000_NS6detail17trampoline_kernelINS0_14default_configENS1_29reduce_by_key_config_selectorIjjN6thrust23THRUST_200600_302600_NS4plusIjEEEEZZNS1_33reduce_by_key_impl_wrapped_configILNS1_25lookback_scan_determinismE0ES3_S9_NS6_6detail15normal_iteratorINS6_10device_ptrIjEEEESG_NS6_16discard_iteratorINS6_11use_defaultEEESG_PmS8_NS6_8equal_toIjEEEE10hipError_tPvRmT2_T3_mT4_T5_T6_T7_T8_P12ihipStream_tbENKUlT_T0_E_clISt17integral_constantIbLb1EES13_IbLb0EEEEDaSZ_S10_EUlSZ_E_NS1_11comp_targetILNS1_3genE3ELNS1_11target_archE908ELNS1_3gpuE7ELNS1_3repE0EEENS1_30default_config_static_selectorELNS0_4arch9wavefront6targetE0EEEvT1_
; %bb.0:
	.section	.rodata,"a",@progbits
	.p2align	6, 0x0
	.amdhsa_kernel _ZN7rocprim17ROCPRIM_400000_NS6detail17trampoline_kernelINS0_14default_configENS1_29reduce_by_key_config_selectorIjjN6thrust23THRUST_200600_302600_NS4plusIjEEEEZZNS1_33reduce_by_key_impl_wrapped_configILNS1_25lookback_scan_determinismE0ES3_S9_NS6_6detail15normal_iteratorINS6_10device_ptrIjEEEESG_NS6_16discard_iteratorINS6_11use_defaultEEESG_PmS8_NS6_8equal_toIjEEEE10hipError_tPvRmT2_T3_mT4_T5_T6_T7_T8_P12ihipStream_tbENKUlT_T0_E_clISt17integral_constantIbLb1EES13_IbLb0EEEEDaSZ_S10_EUlSZ_E_NS1_11comp_targetILNS1_3genE3ELNS1_11target_archE908ELNS1_3gpuE7ELNS1_3repE0EEENS1_30default_config_static_selectorELNS0_4arch9wavefront6targetE0EEEvT1_
		.amdhsa_group_segment_fixed_size 0
		.amdhsa_private_segment_fixed_size 0
		.amdhsa_kernarg_size 128
		.amdhsa_user_sgpr_count 15
		.amdhsa_user_sgpr_dispatch_ptr 0
		.amdhsa_user_sgpr_queue_ptr 0
		.amdhsa_user_sgpr_kernarg_segment_ptr 1
		.amdhsa_user_sgpr_dispatch_id 0
		.amdhsa_user_sgpr_private_segment_size 0
		.amdhsa_wavefront_size32 1
		.amdhsa_uses_dynamic_stack 0
		.amdhsa_enable_private_segment 0
		.amdhsa_system_sgpr_workgroup_id_x 1
		.amdhsa_system_sgpr_workgroup_id_y 0
		.amdhsa_system_sgpr_workgroup_id_z 0
		.amdhsa_system_sgpr_workgroup_info 0
		.amdhsa_system_vgpr_workitem_id 0
		.amdhsa_next_free_vgpr 1
		.amdhsa_next_free_sgpr 1
		.amdhsa_reserve_vcc 0
		.amdhsa_float_round_mode_32 0
		.amdhsa_float_round_mode_16_64 0
		.amdhsa_float_denorm_mode_32 3
		.amdhsa_float_denorm_mode_16_64 3
		.amdhsa_dx10_clamp 1
		.amdhsa_ieee_mode 1
		.amdhsa_fp16_overflow 0
		.amdhsa_workgroup_processor_mode 1
		.amdhsa_memory_ordered 1
		.amdhsa_forward_progress 0
		.amdhsa_shared_vgpr_count 0
		.amdhsa_exception_fp_ieee_invalid_op 0
		.amdhsa_exception_fp_denorm_src 0
		.amdhsa_exception_fp_ieee_div_zero 0
		.amdhsa_exception_fp_ieee_overflow 0
		.amdhsa_exception_fp_ieee_underflow 0
		.amdhsa_exception_fp_ieee_inexact 0
		.amdhsa_exception_int_div_zero 0
	.end_amdhsa_kernel
	.section	.text._ZN7rocprim17ROCPRIM_400000_NS6detail17trampoline_kernelINS0_14default_configENS1_29reduce_by_key_config_selectorIjjN6thrust23THRUST_200600_302600_NS4plusIjEEEEZZNS1_33reduce_by_key_impl_wrapped_configILNS1_25lookback_scan_determinismE0ES3_S9_NS6_6detail15normal_iteratorINS6_10device_ptrIjEEEESG_NS6_16discard_iteratorINS6_11use_defaultEEESG_PmS8_NS6_8equal_toIjEEEE10hipError_tPvRmT2_T3_mT4_T5_T6_T7_T8_P12ihipStream_tbENKUlT_T0_E_clISt17integral_constantIbLb1EES13_IbLb0EEEEDaSZ_S10_EUlSZ_E_NS1_11comp_targetILNS1_3genE3ELNS1_11target_archE908ELNS1_3gpuE7ELNS1_3repE0EEENS1_30default_config_static_selectorELNS0_4arch9wavefront6targetE0EEEvT1_,"axG",@progbits,_ZN7rocprim17ROCPRIM_400000_NS6detail17trampoline_kernelINS0_14default_configENS1_29reduce_by_key_config_selectorIjjN6thrust23THRUST_200600_302600_NS4plusIjEEEEZZNS1_33reduce_by_key_impl_wrapped_configILNS1_25lookback_scan_determinismE0ES3_S9_NS6_6detail15normal_iteratorINS6_10device_ptrIjEEEESG_NS6_16discard_iteratorINS6_11use_defaultEEESG_PmS8_NS6_8equal_toIjEEEE10hipError_tPvRmT2_T3_mT4_T5_T6_T7_T8_P12ihipStream_tbENKUlT_T0_E_clISt17integral_constantIbLb1EES13_IbLb0EEEEDaSZ_S10_EUlSZ_E_NS1_11comp_targetILNS1_3genE3ELNS1_11target_archE908ELNS1_3gpuE7ELNS1_3repE0EEENS1_30default_config_static_selectorELNS0_4arch9wavefront6targetE0EEEvT1_,comdat
.Lfunc_end934:
	.size	_ZN7rocprim17ROCPRIM_400000_NS6detail17trampoline_kernelINS0_14default_configENS1_29reduce_by_key_config_selectorIjjN6thrust23THRUST_200600_302600_NS4plusIjEEEEZZNS1_33reduce_by_key_impl_wrapped_configILNS1_25lookback_scan_determinismE0ES3_S9_NS6_6detail15normal_iteratorINS6_10device_ptrIjEEEESG_NS6_16discard_iteratorINS6_11use_defaultEEESG_PmS8_NS6_8equal_toIjEEEE10hipError_tPvRmT2_T3_mT4_T5_T6_T7_T8_P12ihipStream_tbENKUlT_T0_E_clISt17integral_constantIbLb1EES13_IbLb0EEEEDaSZ_S10_EUlSZ_E_NS1_11comp_targetILNS1_3genE3ELNS1_11target_archE908ELNS1_3gpuE7ELNS1_3repE0EEENS1_30default_config_static_selectorELNS0_4arch9wavefront6targetE0EEEvT1_, .Lfunc_end934-_ZN7rocprim17ROCPRIM_400000_NS6detail17trampoline_kernelINS0_14default_configENS1_29reduce_by_key_config_selectorIjjN6thrust23THRUST_200600_302600_NS4plusIjEEEEZZNS1_33reduce_by_key_impl_wrapped_configILNS1_25lookback_scan_determinismE0ES3_S9_NS6_6detail15normal_iteratorINS6_10device_ptrIjEEEESG_NS6_16discard_iteratorINS6_11use_defaultEEESG_PmS8_NS6_8equal_toIjEEEE10hipError_tPvRmT2_T3_mT4_T5_T6_T7_T8_P12ihipStream_tbENKUlT_T0_E_clISt17integral_constantIbLb1EES13_IbLb0EEEEDaSZ_S10_EUlSZ_E_NS1_11comp_targetILNS1_3genE3ELNS1_11target_archE908ELNS1_3gpuE7ELNS1_3repE0EEENS1_30default_config_static_selectorELNS0_4arch9wavefront6targetE0EEEvT1_
                                        ; -- End function
	.section	.AMDGPU.csdata,"",@progbits
; Kernel info:
; codeLenInByte = 0
; NumSgprs: 0
; NumVgprs: 0
; ScratchSize: 0
; MemoryBound: 0
; FloatMode: 240
; IeeeMode: 1
; LDSByteSize: 0 bytes/workgroup (compile time only)
; SGPRBlocks: 0
; VGPRBlocks: 0
; NumSGPRsForWavesPerEU: 1
; NumVGPRsForWavesPerEU: 1
; Occupancy: 16
; WaveLimiterHint : 0
; COMPUTE_PGM_RSRC2:SCRATCH_EN: 0
; COMPUTE_PGM_RSRC2:USER_SGPR: 15
; COMPUTE_PGM_RSRC2:TRAP_HANDLER: 0
; COMPUTE_PGM_RSRC2:TGID_X_EN: 1
; COMPUTE_PGM_RSRC2:TGID_Y_EN: 0
; COMPUTE_PGM_RSRC2:TGID_Z_EN: 0
; COMPUTE_PGM_RSRC2:TIDIG_COMP_CNT: 0
	.section	.text._ZN7rocprim17ROCPRIM_400000_NS6detail17trampoline_kernelINS0_14default_configENS1_29reduce_by_key_config_selectorIjjN6thrust23THRUST_200600_302600_NS4plusIjEEEEZZNS1_33reduce_by_key_impl_wrapped_configILNS1_25lookback_scan_determinismE0ES3_S9_NS6_6detail15normal_iteratorINS6_10device_ptrIjEEEESG_NS6_16discard_iteratorINS6_11use_defaultEEESG_PmS8_NS6_8equal_toIjEEEE10hipError_tPvRmT2_T3_mT4_T5_T6_T7_T8_P12ihipStream_tbENKUlT_T0_E_clISt17integral_constantIbLb1EES13_IbLb0EEEEDaSZ_S10_EUlSZ_E_NS1_11comp_targetILNS1_3genE2ELNS1_11target_archE906ELNS1_3gpuE6ELNS1_3repE0EEENS1_30default_config_static_selectorELNS0_4arch9wavefront6targetE0EEEvT1_,"axG",@progbits,_ZN7rocprim17ROCPRIM_400000_NS6detail17trampoline_kernelINS0_14default_configENS1_29reduce_by_key_config_selectorIjjN6thrust23THRUST_200600_302600_NS4plusIjEEEEZZNS1_33reduce_by_key_impl_wrapped_configILNS1_25lookback_scan_determinismE0ES3_S9_NS6_6detail15normal_iteratorINS6_10device_ptrIjEEEESG_NS6_16discard_iteratorINS6_11use_defaultEEESG_PmS8_NS6_8equal_toIjEEEE10hipError_tPvRmT2_T3_mT4_T5_T6_T7_T8_P12ihipStream_tbENKUlT_T0_E_clISt17integral_constantIbLb1EES13_IbLb0EEEEDaSZ_S10_EUlSZ_E_NS1_11comp_targetILNS1_3genE2ELNS1_11target_archE906ELNS1_3gpuE6ELNS1_3repE0EEENS1_30default_config_static_selectorELNS0_4arch9wavefront6targetE0EEEvT1_,comdat
	.protected	_ZN7rocprim17ROCPRIM_400000_NS6detail17trampoline_kernelINS0_14default_configENS1_29reduce_by_key_config_selectorIjjN6thrust23THRUST_200600_302600_NS4plusIjEEEEZZNS1_33reduce_by_key_impl_wrapped_configILNS1_25lookback_scan_determinismE0ES3_S9_NS6_6detail15normal_iteratorINS6_10device_ptrIjEEEESG_NS6_16discard_iteratorINS6_11use_defaultEEESG_PmS8_NS6_8equal_toIjEEEE10hipError_tPvRmT2_T3_mT4_T5_T6_T7_T8_P12ihipStream_tbENKUlT_T0_E_clISt17integral_constantIbLb1EES13_IbLb0EEEEDaSZ_S10_EUlSZ_E_NS1_11comp_targetILNS1_3genE2ELNS1_11target_archE906ELNS1_3gpuE6ELNS1_3repE0EEENS1_30default_config_static_selectorELNS0_4arch9wavefront6targetE0EEEvT1_ ; -- Begin function _ZN7rocprim17ROCPRIM_400000_NS6detail17trampoline_kernelINS0_14default_configENS1_29reduce_by_key_config_selectorIjjN6thrust23THRUST_200600_302600_NS4plusIjEEEEZZNS1_33reduce_by_key_impl_wrapped_configILNS1_25lookback_scan_determinismE0ES3_S9_NS6_6detail15normal_iteratorINS6_10device_ptrIjEEEESG_NS6_16discard_iteratorINS6_11use_defaultEEESG_PmS8_NS6_8equal_toIjEEEE10hipError_tPvRmT2_T3_mT4_T5_T6_T7_T8_P12ihipStream_tbENKUlT_T0_E_clISt17integral_constantIbLb1EES13_IbLb0EEEEDaSZ_S10_EUlSZ_E_NS1_11comp_targetILNS1_3genE2ELNS1_11target_archE906ELNS1_3gpuE6ELNS1_3repE0EEENS1_30default_config_static_selectorELNS0_4arch9wavefront6targetE0EEEvT1_
	.globl	_ZN7rocprim17ROCPRIM_400000_NS6detail17trampoline_kernelINS0_14default_configENS1_29reduce_by_key_config_selectorIjjN6thrust23THRUST_200600_302600_NS4plusIjEEEEZZNS1_33reduce_by_key_impl_wrapped_configILNS1_25lookback_scan_determinismE0ES3_S9_NS6_6detail15normal_iteratorINS6_10device_ptrIjEEEESG_NS6_16discard_iteratorINS6_11use_defaultEEESG_PmS8_NS6_8equal_toIjEEEE10hipError_tPvRmT2_T3_mT4_T5_T6_T7_T8_P12ihipStream_tbENKUlT_T0_E_clISt17integral_constantIbLb1EES13_IbLb0EEEEDaSZ_S10_EUlSZ_E_NS1_11comp_targetILNS1_3genE2ELNS1_11target_archE906ELNS1_3gpuE6ELNS1_3repE0EEENS1_30default_config_static_selectorELNS0_4arch9wavefront6targetE0EEEvT1_
	.p2align	8
	.type	_ZN7rocprim17ROCPRIM_400000_NS6detail17trampoline_kernelINS0_14default_configENS1_29reduce_by_key_config_selectorIjjN6thrust23THRUST_200600_302600_NS4plusIjEEEEZZNS1_33reduce_by_key_impl_wrapped_configILNS1_25lookback_scan_determinismE0ES3_S9_NS6_6detail15normal_iteratorINS6_10device_ptrIjEEEESG_NS6_16discard_iteratorINS6_11use_defaultEEESG_PmS8_NS6_8equal_toIjEEEE10hipError_tPvRmT2_T3_mT4_T5_T6_T7_T8_P12ihipStream_tbENKUlT_T0_E_clISt17integral_constantIbLb1EES13_IbLb0EEEEDaSZ_S10_EUlSZ_E_NS1_11comp_targetILNS1_3genE2ELNS1_11target_archE906ELNS1_3gpuE6ELNS1_3repE0EEENS1_30default_config_static_selectorELNS0_4arch9wavefront6targetE0EEEvT1_,@function
_ZN7rocprim17ROCPRIM_400000_NS6detail17trampoline_kernelINS0_14default_configENS1_29reduce_by_key_config_selectorIjjN6thrust23THRUST_200600_302600_NS4plusIjEEEEZZNS1_33reduce_by_key_impl_wrapped_configILNS1_25lookback_scan_determinismE0ES3_S9_NS6_6detail15normal_iteratorINS6_10device_ptrIjEEEESG_NS6_16discard_iteratorINS6_11use_defaultEEESG_PmS8_NS6_8equal_toIjEEEE10hipError_tPvRmT2_T3_mT4_T5_T6_T7_T8_P12ihipStream_tbENKUlT_T0_E_clISt17integral_constantIbLb1EES13_IbLb0EEEEDaSZ_S10_EUlSZ_E_NS1_11comp_targetILNS1_3genE2ELNS1_11target_archE906ELNS1_3gpuE6ELNS1_3repE0EEENS1_30default_config_static_selectorELNS0_4arch9wavefront6targetE0EEEvT1_: ; @_ZN7rocprim17ROCPRIM_400000_NS6detail17trampoline_kernelINS0_14default_configENS1_29reduce_by_key_config_selectorIjjN6thrust23THRUST_200600_302600_NS4plusIjEEEEZZNS1_33reduce_by_key_impl_wrapped_configILNS1_25lookback_scan_determinismE0ES3_S9_NS6_6detail15normal_iteratorINS6_10device_ptrIjEEEESG_NS6_16discard_iteratorINS6_11use_defaultEEESG_PmS8_NS6_8equal_toIjEEEE10hipError_tPvRmT2_T3_mT4_T5_T6_T7_T8_P12ihipStream_tbENKUlT_T0_E_clISt17integral_constantIbLb1EES13_IbLb0EEEEDaSZ_S10_EUlSZ_E_NS1_11comp_targetILNS1_3genE2ELNS1_11target_archE906ELNS1_3gpuE6ELNS1_3repE0EEENS1_30default_config_static_selectorELNS0_4arch9wavefront6targetE0EEEvT1_
; %bb.0:
	.section	.rodata,"a",@progbits
	.p2align	6, 0x0
	.amdhsa_kernel _ZN7rocprim17ROCPRIM_400000_NS6detail17trampoline_kernelINS0_14default_configENS1_29reduce_by_key_config_selectorIjjN6thrust23THRUST_200600_302600_NS4plusIjEEEEZZNS1_33reduce_by_key_impl_wrapped_configILNS1_25lookback_scan_determinismE0ES3_S9_NS6_6detail15normal_iteratorINS6_10device_ptrIjEEEESG_NS6_16discard_iteratorINS6_11use_defaultEEESG_PmS8_NS6_8equal_toIjEEEE10hipError_tPvRmT2_T3_mT4_T5_T6_T7_T8_P12ihipStream_tbENKUlT_T0_E_clISt17integral_constantIbLb1EES13_IbLb0EEEEDaSZ_S10_EUlSZ_E_NS1_11comp_targetILNS1_3genE2ELNS1_11target_archE906ELNS1_3gpuE6ELNS1_3repE0EEENS1_30default_config_static_selectorELNS0_4arch9wavefront6targetE0EEEvT1_
		.amdhsa_group_segment_fixed_size 0
		.amdhsa_private_segment_fixed_size 0
		.amdhsa_kernarg_size 128
		.amdhsa_user_sgpr_count 15
		.amdhsa_user_sgpr_dispatch_ptr 0
		.amdhsa_user_sgpr_queue_ptr 0
		.amdhsa_user_sgpr_kernarg_segment_ptr 1
		.amdhsa_user_sgpr_dispatch_id 0
		.amdhsa_user_sgpr_private_segment_size 0
		.amdhsa_wavefront_size32 1
		.amdhsa_uses_dynamic_stack 0
		.amdhsa_enable_private_segment 0
		.amdhsa_system_sgpr_workgroup_id_x 1
		.amdhsa_system_sgpr_workgroup_id_y 0
		.amdhsa_system_sgpr_workgroup_id_z 0
		.amdhsa_system_sgpr_workgroup_info 0
		.amdhsa_system_vgpr_workitem_id 0
		.amdhsa_next_free_vgpr 1
		.amdhsa_next_free_sgpr 1
		.amdhsa_reserve_vcc 0
		.amdhsa_float_round_mode_32 0
		.amdhsa_float_round_mode_16_64 0
		.amdhsa_float_denorm_mode_32 3
		.amdhsa_float_denorm_mode_16_64 3
		.amdhsa_dx10_clamp 1
		.amdhsa_ieee_mode 1
		.amdhsa_fp16_overflow 0
		.amdhsa_workgroup_processor_mode 1
		.amdhsa_memory_ordered 1
		.amdhsa_forward_progress 0
		.amdhsa_shared_vgpr_count 0
		.amdhsa_exception_fp_ieee_invalid_op 0
		.amdhsa_exception_fp_denorm_src 0
		.amdhsa_exception_fp_ieee_div_zero 0
		.amdhsa_exception_fp_ieee_overflow 0
		.amdhsa_exception_fp_ieee_underflow 0
		.amdhsa_exception_fp_ieee_inexact 0
		.amdhsa_exception_int_div_zero 0
	.end_amdhsa_kernel
	.section	.text._ZN7rocprim17ROCPRIM_400000_NS6detail17trampoline_kernelINS0_14default_configENS1_29reduce_by_key_config_selectorIjjN6thrust23THRUST_200600_302600_NS4plusIjEEEEZZNS1_33reduce_by_key_impl_wrapped_configILNS1_25lookback_scan_determinismE0ES3_S9_NS6_6detail15normal_iteratorINS6_10device_ptrIjEEEESG_NS6_16discard_iteratorINS6_11use_defaultEEESG_PmS8_NS6_8equal_toIjEEEE10hipError_tPvRmT2_T3_mT4_T5_T6_T7_T8_P12ihipStream_tbENKUlT_T0_E_clISt17integral_constantIbLb1EES13_IbLb0EEEEDaSZ_S10_EUlSZ_E_NS1_11comp_targetILNS1_3genE2ELNS1_11target_archE906ELNS1_3gpuE6ELNS1_3repE0EEENS1_30default_config_static_selectorELNS0_4arch9wavefront6targetE0EEEvT1_,"axG",@progbits,_ZN7rocprim17ROCPRIM_400000_NS6detail17trampoline_kernelINS0_14default_configENS1_29reduce_by_key_config_selectorIjjN6thrust23THRUST_200600_302600_NS4plusIjEEEEZZNS1_33reduce_by_key_impl_wrapped_configILNS1_25lookback_scan_determinismE0ES3_S9_NS6_6detail15normal_iteratorINS6_10device_ptrIjEEEESG_NS6_16discard_iteratorINS6_11use_defaultEEESG_PmS8_NS6_8equal_toIjEEEE10hipError_tPvRmT2_T3_mT4_T5_T6_T7_T8_P12ihipStream_tbENKUlT_T0_E_clISt17integral_constantIbLb1EES13_IbLb0EEEEDaSZ_S10_EUlSZ_E_NS1_11comp_targetILNS1_3genE2ELNS1_11target_archE906ELNS1_3gpuE6ELNS1_3repE0EEENS1_30default_config_static_selectorELNS0_4arch9wavefront6targetE0EEEvT1_,comdat
.Lfunc_end935:
	.size	_ZN7rocprim17ROCPRIM_400000_NS6detail17trampoline_kernelINS0_14default_configENS1_29reduce_by_key_config_selectorIjjN6thrust23THRUST_200600_302600_NS4plusIjEEEEZZNS1_33reduce_by_key_impl_wrapped_configILNS1_25lookback_scan_determinismE0ES3_S9_NS6_6detail15normal_iteratorINS6_10device_ptrIjEEEESG_NS6_16discard_iteratorINS6_11use_defaultEEESG_PmS8_NS6_8equal_toIjEEEE10hipError_tPvRmT2_T3_mT4_T5_T6_T7_T8_P12ihipStream_tbENKUlT_T0_E_clISt17integral_constantIbLb1EES13_IbLb0EEEEDaSZ_S10_EUlSZ_E_NS1_11comp_targetILNS1_3genE2ELNS1_11target_archE906ELNS1_3gpuE6ELNS1_3repE0EEENS1_30default_config_static_selectorELNS0_4arch9wavefront6targetE0EEEvT1_, .Lfunc_end935-_ZN7rocprim17ROCPRIM_400000_NS6detail17trampoline_kernelINS0_14default_configENS1_29reduce_by_key_config_selectorIjjN6thrust23THRUST_200600_302600_NS4plusIjEEEEZZNS1_33reduce_by_key_impl_wrapped_configILNS1_25lookback_scan_determinismE0ES3_S9_NS6_6detail15normal_iteratorINS6_10device_ptrIjEEEESG_NS6_16discard_iteratorINS6_11use_defaultEEESG_PmS8_NS6_8equal_toIjEEEE10hipError_tPvRmT2_T3_mT4_T5_T6_T7_T8_P12ihipStream_tbENKUlT_T0_E_clISt17integral_constantIbLb1EES13_IbLb0EEEEDaSZ_S10_EUlSZ_E_NS1_11comp_targetILNS1_3genE2ELNS1_11target_archE906ELNS1_3gpuE6ELNS1_3repE0EEENS1_30default_config_static_selectorELNS0_4arch9wavefront6targetE0EEEvT1_
                                        ; -- End function
	.section	.AMDGPU.csdata,"",@progbits
; Kernel info:
; codeLenInByte = 0
; NumSgprs: 0
; NumVgprs: 0
; ScratchSize: 0
; MemoryBound: 0
; FloatMode: 240
; IeeeMode: 1
; LDSByteSize: 0 bytes/workgroup (compile time only)
; SGPRBlocks: 0
; VGPRBlocks: 0
; NumSGPRsForWavesPerEU: 1
; NumVGPRsForWavesPerEU: 1
; Occupancy: 16
; WaveLimiterHint : 0
; COMPUTE_PGM_RSRC2:SCRATCH_EN: 0
; COMPUTE_PGM_RSRC2:USER_SGPR: 15
; COMPUTE_PGM_RSRC2:TRAP_HANDLER: 0
; COMPUTE_PGM_RSRC2:TGID_X_EN: 1
; COMPUTE_PGM_RSRC2:TGID_Y_EN: 0
; COMPUTE_PGM_RSRC2:TGID_Z_EN: 0
; COMPUTE_PGM_RSRC2:TIDIG_COMP_CNT: 0
	.section	.text._ZN7rocprim17ROCPRIM_400000_NS6detail17trampoline_kernelINS0_14default_configENS1_29reduce_by_key_config_selectorIjjN6thrust23THRUST_200600_302600_NS4plusIjEEEEZZNS1_33reduce_by_key_impl_wrapped_configILNS1_25lookback_scan_determinismE0ES3_S9_NS6_6detail15normal_iteratorINS6_10device_ptrIjEEEESG_NS6_16discard_iteratorINS6_11use_defaultEEESG_PmS8_NS6_8equal_toIjEEEE10hipError_tPvRmT2_T3_mT4_T5_T6_T7_T8_P12ihipStream_tbENKUlT_T0_E_clISt17integral_constantIbLb1EES13_IbLb0EEEEDaSZ_S10_EUlSZ_E_NS1_11comp_targetILNS1_3genE10ELNS1_11target_archE1201ELNS1_3gpuE5ELNS1_3repE0EEENS1_30default_config_static_selectorELNS0_4arch9wavefront6targetE0EEEvT1_,"axG",@progbits,_ZN7rocprim17ROCPRIM_400000_NS6detail17trampoline_kernelINS0_14default_configENS1_29reduce_by_key_config_selectorIjjN6thrust23THRUST_200600_302600_NS4plusIjEEEEZZNS1_33reduce_by_key_impl_wrapped_configILNS1_25lookback_scan_determinismE0ES3_S9_NS6_6detail15normal_iteratorINS6_10device_ptrIjEEEESG_NS6_16discard_iteratorINS6_11use_defaultEEESG_PmS8_NS6_8equal_toIjEEEE10hipError_tPvRmT2_T3_mT4_T5_T6_T7_T8_P12ihipStream_tbENKUlT_T0_E_clISt17integral_constantIbLb1EES13_IbLb0EEEEDaSZ_S10_EUlSZ_E_NS1_11comp_targetILNS1_3genE10ELNS1_11target_archE1201ELNS1_3gpuE5ELNS1_3repE0EEENS1_30default_config_static_selectorELNS0_4arch9wavefront6targetE0EEEvT1_,comdat
	.protected	_ZN7rocprim17ROCPRIM_400000_NS6detail17trampoline_kernelINS0_14default_configENS1_29reduce_by_key_config_selectorIjjN6thrust23THRUST_200600_302600_NS4plusIjEEEEZZNS1_33reduce_by_key_impl_wrapped_configILNS1_25lookback_scan_determinismE0ES3_S9_NS6_6detail15normal_iteratorINS6_10device_ptrIjEEEESG_NS6_16discard_iteratorINS6_11use_defaultEEESG_PmS8_NS6_8equal_toIjEEEE10hipError_tPvRmT2_T3_mT4_T5_T6_T7_T8_P12ihipStream_tbENKUlT_T0_E_clISt17integral_constantIbLb1EES13_IbLb0EEEEDaSZ_S10_EUlSZ_E_NS1_11comp_targetILNS1_3genE10ELNS1_11target_archE1201ELNS1_3gpuE5ELNS1_3repE0EEENS1_30default_config_static_selectorELNS0_4arch9wavefront6targetE0EEEvT1_ ; -- Begin function _ZN7rocprim17ROCPRIM_400000_NS6detail17trampoline_kernelINS0_14default_configENS1_29reduce_by_key_config_selectorIjjN6thrust23THRUST_200600_302600_NS4plusIjEEEEZZNS1_33reduce_by_key_impl_wrapped_configILNS1_25lookback_scan_determinismE0ES3_S9_NS6_6detail15normal_iteratorINS6_10device_ptrIjEEEESG_NS6_16discard_iteratorINS6_11use_defaultEEESG_PmS8_NS6_8equal_toIjEEEE10hipError_tPvRmT2_T3_mT4_T5_T6_T7_T8_P12ihipStream_tbENKUlT_T0_E_clISt17integral_constantIbLb1EES13_IbLb0EEEEDaSZ_S10_EUlSZ_E_NS1_11comp_targetILNS1_3genE10ELNS1_11target_archE1201ELNS1_3gpuE5ELNS1_3repE0EEENS1_30default_config_static_selectorELNS0_4arch9wavefront6targetE0EEEvT1_
	.globl	_ZN7rocprim17ROCPRIM_400000_NS6detail17trampoline_kernelINS0_14default_configENS1_29reduce_by_key_config_selectorIjjN6thrust23THRUST_200600_302600_NS4plusIjEEEEZZNS1_33reduce_by_key_impl_wrapped_configILNS1_25lookback_scan_determinismE0ES3_S9_NS6_6detail15normal_iteratorINS6_10device_ptrIjEEEESG_NS6_16discard_iteratorINS6_11use_defaultEEESG_PmS8_NS6_8equal_toIjEEEE10hipError_tPvRmT2_T3_mT4_T5_T6_T7_T8_P12ihipStream_tbENKUlT_T0_E_clISt17integral_constantIbLb1EES13_IbLb0EEEEDaSZ_S10_EUlSZ_E_NS1_11comp_targetILNS1_3genE10ELNS1_11target_archE1201ELNS1_3gpuE5ELNS1_3repE0EEENS1_30default_config_static_selectorELNS0_4arch9wavefront6targetE0EEEvT1_
	.p2align	8
	.type	_ZN7rocprim17ROCPRIM_400000_NS6detail17trampoline_kernelINS0_14default_configENS1_29reduce_by_key_config_selectorIjjN6thrust23THRUST_200600_302600_NS4plusIjEEEEZZNS1_33reduce_by_key_impl_wrapped_configILNS1_25lookback_scan_determinismE0ES3_S9_NS6_6detail15normal_iteratorINS6_10device_ptrIjEEEESG_NS6_16discard_iteratorINS6_11use_defaultEEESG_PmS8_NS6_8equal_toIjEEEE10hipError_tPvRmT2_T3_mT4_T5_T6_T7_T8_P12ihipStream_tbENKUlT_T0_E_clISt17integral_constantIbLb1EES13_IbLb0EEEEDaSZ_S10_EUlSZ_E_NS1_11comp_targetILNS1_3genE10ELNS1_11target_archE1201ELNS1_3gpuE5ELNS1_3repE0EEENS1_30default_config_static_selectorELNS0_4arch9wavefront6targetE0EEEvT1_,@function
_ZN7rocprim17ROCPRIM_400000_NS6detail17trampoline_kernelINS0_14default_configENS1_29reduce_by_key_config_selectorIjjN6thrust23THRUST_200600_302600_NS4plusIjEEEEZZNS1_33reduce_by_key_impl_wrapped_configILNS1_25lookback_scan_determinismE0ES3_S9_NS6_6detail15normal_iteratorINS6_10device_ptrIjEEEESG_NS6_16discard_iteratorINS6_11use_defaultEEESG_PmS8_NS6_8equal_toIjEEEE10hipError_tPvRmT2_T3_mT4_T5_T6_T7_T8_P12ihipStream_tbENKUlT_T0_E_clISt17integral_constantIbLb1EES13_IbLb0EEEEDaSZ_S10_EUlSZ_E_NS1_11comp_targetILNS1_3genE10ELNS1_11target_archE1201ELNS1_3gpuE5ELNS1_3repE0EEENS1_30default_config_static_selectorELNS0_4arch9wavefront6targetE0EEEvT1_: ; @_ZN7rocprim17ROCPRIM_400000_NS6detail17trampoline_kernelINS0_14default_configENS1_29reduce_by_key_config_selectorIjjN6thrust23THRUST_200600_302600_NS4plusIjEEEEZZNS1_33reduce_by_key_impl_wrapped_configILNS1_25lookback_scan_determinismE0ES3_S9_NS6_6detail15normal_iteratorINS6_10device_ptrIjEEEESG_NS6_16discard_iteratorINS6_11use_defaultEEESG_PmS8_NS6_8equal_toIjEEEE10hipError_tPvRmT2_T3_mT4_T5_T6_T7_T8_P12ihipStream_tbENKUlT_T0_E_clISt17integral_constantIbLb1EES13_IbLb0EEEEDaSZ_S10_EUlSZ_E_NS1_11comp_targetILNS1_3genE10ELNS1_11target_archE1201ELNS1_3gpuE5ELNS1_3repE0EEENS1_30default_config_static_selectorELNS0_4arch9wavefront6targetE0EEEvT1_
; %bb.0:
	.section	.rodata,"a",@progbits
	.p2align	6, 0x0
	.amdhsa_kernel _ZN7rocprim17ROCPRIM_400000_NS6detail17trampoline_kernelINS0_14default_configENS1_29reduce_by_key_config_selectorIjjN6thrust23THRUST_200600_302600_NS4plusIjEEEEZZNS1_33reduce_by_key_impl_wrapped_configILNS1_25lookback_scan_determinismE0ES3_S9_NS6_6detail15normal_iteratorINS6_10device_ptrIjEEEESG_NS6_16discard_iteratorINS6_11use_defaultEEESG_PmS8_NS6_8equal_toIjEEEE10hipError_tPvRmT2_T3_mT4_T5_T6_T7_T8_P12ihipStream_tbENKUlT_T0_E_clISt17integral_constantIbLb1EES13_IbLb0EEEEDaSZ_S10_EUlSZ_E_NS1_11comp_targetILNS1_3genE10ELNS1_11target_archE1201ELNS1_3gpuE5ELNS1_3repE0EEENS1_30default_config_static_selectorELNS0_4arch9wavefront6targetE0EEEvT1_
		.amdhsa_group_segment_fixed_size 0
		.amdhsa_private_segment_fixed_size 0
		.amdhsa_kernarg_size 128
		.amdhsa_user_sgpr_count 15
		.amdhsa_user_sgpr_dispatch_ptr 0
		.amdhsa_user_sgpr_queue_ptr 0
		.amdhsa_user_sgpr_kernarg_segment_ptr 1
		.amdhsa_user_sgpr_dispatch_id 0
		.amdhsa_user_sgpr_private_segment_size 0
		.amdhsa_wavefront_size32 1
		.amdhsa_uses_dynamic_stack 0
		.amdhsa_enable_private_segment 0
		.amdhsa_system_sgpr_workgroup_id_x 1
		.amdhsa_system_sgpr_workgroup_id_y 0
		.amdhsa_system_sgpr_workgroup_id_z 0
		.amdhsa_system_sgpr_workgroup_info 0
		.amdhsa_system_vgpr_workitem_id 0
		.amdhsa_next_free_vgpr 1
		.amdhsa_next_free_sgpr 1
		.amdhsa_reserve_vcc 0
		.amdhsa_float_round_mode_32 0
		.amdhsa_float_round_mode_16_64 0
		.amdhsa_float_denorm_mode_32 3
		.amdhsa_float_denorm_mode_16_64 3
		.amdhsa_dx10_clamp 1
		.amdhsa_ieee_mode 1
		.amdhsa_fp16_overflow 0
		.amdhsa_workgroup_processor_mode 1
		.amdhsa_memory_ordered 1
		.amdhsa_forward_progress 0
		.amdhsa_shared_vgpr_count 0
		.amdhsa_exception_fp_ieee_invalid_op 0
		.amdhsa_exception_fp_denorm_src 0
		.amdhsa_exception_fp_ieee_div_zero 0
		.amdhsa_exception_fp_ieee_overflow 0
		.amdhsa_exception_fp_ieee_underflow 0
		.amdhsa_exception_fp_ieee_inexact 0
		.amdhsa_exception_int_div_zero 0
	.end_amdhsa_kernel
	.section	.text._ZN7rocprim17ROCPRIM_400000_NS6detail17trampoline_kernelINS0_14default_configENS1_29reduce_by_key_config_selectorIjjN6thrust23THRUST_200600_302600_NS4plusIjEEEEZZNS1_33reduce_by_key_impl_wrapped_configILNS1_25lookback_scan_determinismE0ES3_S9_NS6_6detail15normal_iteratorINS6_10device_ptrIjEEEESG_NS6_16discard_iteratorINS6_11use_defaultEEESG_PmS8_NS6_8equal_toIjEEEE10hipError_tPvRmT2_T3_mT4_T5_T6_T7_T8_P12ihipStream_tbENKUlT_T0_E_clISt17integral_constantIbLb1EES13_IbLb0EEEEDaSZ_S10_EUlSZ_E_NS1_11comp_targetILNS1_3genE10ELNS1_11target_archE1201ELNS1_3gpuE5ELNS1_3repE0EEENS1_30default_config_static_selectorELNS0_4arch9wavefront6targetE0EEEvT1_,"axG",@progbits,_ZN7rocprim17ROCPRIM_400000_NS6detail17trampoline_kernelINS0_14default_configENS1_29reduce_by_key_config_selectorIjjN6thrust23THRUST_200600_302600_NS4plusIjEEEEZZNS1_33reduce_by_key_impl_wrapped_configILNS1_25lookback_scan_determinismE0ES3_S9_NS6_6detail15normal_iteratorINS6_10device_ptrIjEEEESG_NS6_16discard_iteratorINS6_11use_defaultEEESG_PmS8_NS6_8equal_toIjEEEE10hipError_tPvRmT2_T3_mT4_T5_T6_T7_T8_P12ihipStream_tbENKUlT_T0_E_clISt17integral_constantIbLb1EES13_IbLb0EEEEDaSZ_S10_EUlSZ_E_NS1_11comp_targetILNS1_3genE10ELNS1_11target_archE1201ELNS1_3gpuE5ELNS1_3repE0EEENS1_30default_config_static_selectorELNS0_4arch9wavefront6targetE0EEEvT1_,comdat
.Lfunc_end936:
	.size	_ZN7rocprim17ROCPRIM_400000_NS6detail17trampoline_kernelINS0_14default_configENS1_29reduce_by_key_config_selectorIjjN6thrust23THRUST_200600_302600_NS4plusIjEEEEZZNS1_33reduce_by_key_impl_wrapped_configILNS1_25lookback_scan_determinismE0ES3_S9_NS6_6detail15normal_iteratorINS6_10device_ptrIjEEEESG_NS6_16discard_iteratorINS6_11use_defaultEEESG_PmS8_NS6_8equal_toIjEEEE10hipError_tPvRmT2_T3_mT4_T5_T6_T7_T8_P12ihipStream_tbENKUlT_T0_E_clISt17integral_constantIbLb1EES13_IbLb0EEEEDaSZ_S10_EUlSZ_E_NS1_11comp_targetILNS1_3genE10ELNS1_11target_archE1201ELNS1_3gpuE5ELNS1_3repE0EEENS1_30default_config_static_selectorELNS0_4arch9wavefront6targetE0EEEvT1_, .Lfunc_end936-_ZN7rocprim17ROCPRIM_400000_NS6detail17trampoline_kernelINS0_14default_configENS1_29reduce_by_key_config_selectorIjjN6thrust23THRUST_200600_302600_NS4plusIjEEEEZZNS1_33reduce_by_key_impl_wrapped_configILNS1_25lookback_scan_determinismE0ES3_S9_NS6_6detail15normal_iteratorINS6_10device_ptrIjEEEESG_NS6_16discard_iteratorINS6_11use_defaultEEESG_PmS8_NS6_8equal_toIjEEEE10hipError_tPvRmT2_T3_mT4_T5_T6_T7_T8_P12ihipStream_tbENKUlT_T0_E_clISt17integral_constantIbLb1EES13_IbLb0EEEEDaSZ_S10_EUlSZ_E_NS1_11comp_targetILNS1_3genE10ELNS1_11target_archE1201ELNS1_3gpuE5ELNS1_3repE0EEENS1_30default_config_static_selectorELNS0_4arch9wavefront6targetE0EEEvT1_
                                        ; -- End function
	.section	.AMDGPU.csdata,"",@progbits
; Kernel info:
; codeLenInByte = 0
; NumSgprs: 0
; NumVgprs: 0
; ScratchSize: 0
; MemoryBound: 0
; FloatMode: 240
; IeeeMode: 1
; LDSByteSize: 0 bytes/workgroup (compile time only)
; SGPRBlocks: 0
; VGPRBlocks: 0
; NumSGPRsForWavesPerEU: 1
; NumVGPRsForWavesPerEU: 1
; Occupancy: 16
; WaveLimiterHint : 0
; COMPUTE_PGM_RSRC2:SCRATCH_EN: 0
; COMPUTE_PGM_RSRC2:USER_SGPR: 15
; COMPUTE_PGM_RSRC2:TRAP_HANDLER: 0
; COMPUTE_PGM_RSRC2:TGID_X_EN: 1
; COMPUTE_PGM_RSRC2:TGID_Y_EN: 0
; COMPUTE_PGM_RSRC2:TGID_Z_EN: 0
; COMPUTE_PGM_RSRC2:TIDIG_COMP_CNT: 0
	.section	.text._ZN7rocprim17ROCPRIM_400000_NS6detail17trampoline_kernelINS0_14default_configENS1_29reduce_by_key_config_selectorIjjN6thrust23THRUST_200600_302600_NS4plusIjEEEEZZNS1_33reduce_by_key_impl_wrapped_configILNS1_25lookback_scan_determinismE0ES3_S9_NS6_6detail15normal_iteratorINS6_10device_ptrIjEEEESG_NS6_16discard_iteratorINS6_11use_defaultEEESG_PmS8_NS6_8equal_toIjEEEE10hipError_tPvRmT2_T3_mT4_T5_T6_T7_T8_P12ihipStream_tbENKUlT_T0_E_clISt17integral_constantIbLb1EES13_IbLb0EEEEDaSZ_S10_EUlSZ_E_NS1_11comp_targetILNS1_3genE10ELNS1_11target_archE1200ELNS1_3gpuE4ELNS1_3repE0EEENS1_30default_config_static_selectorELNS0_4arch9wavefront6targetE0EEEvT1_,"axG",@progbits,_ZN7rocprim17ROCPRIM_400000_NS6detail17trampoline_kernelINS0_14default_configENS1_29reduce_by_key_config_selectorIjjN6thrust23THRUST_200600_302600_NS4plusIjEEEEZZNS1_33reduce_by_key_impl_wrapped_configILNS1_25lookback_scan_determinismE0ES3_S9_NS6_6detail15normal_iteratorINS6_10device_ptrIjEEEESG_NS6_16discard_iteratorINS6_11use_defaultEEESG_PmS8_NS6_8equal_toIjEEEE10hipError_tPvRmT2_T3_mT4_T5_T6_T7_T8_P12ihipStream_tbENKUlT_T0_E_clISt17integral_constantIbLb1EES13_IbLb0EEEEDaSZ_S10_EUlSZ_E_NS1_11comp_targetILNS1_3genE10ELNS1_11target_archE1200ELNS1_3gpuE4ELNS1_3repE0EEENS1_30default_config_static_selectorELNS0_4arch9wavefront6targetE0EEEvT1_,comdat
	.protected	_ZN7rocprim17ROCPRIM_400000_NS6detail17trampoline_kernelINS0_14default_configENS1_29reduce_by_key_config_selectorIjjN6thrust23THRUST_200600_302600_NS4plusIjEEEEZZNS1_33reduce_by_key_impl_wrapped_configILNS1_25lookback_scan_determinismE0ES3_S9_NS6_6detail15normal_iteratorINS6_10device_ptrIjEEEESG_NS6_16discard_iteratorINS6_11use_defaultEEESG_PmS8_NS6_8equal_toIjEEEE10hipError_tPvRmT2_T3_mT4_T5_T6_T7_T8_P12ihipStream_tbENKUlT_T0_E_clISt17integral_constantIbLb1EES13_IbLb0EEEEDaSZ_S10_EUlSZ_E_NS1_11comp_targetILNS1_3genE10ELNS1_11target_archE1200ELNS1_3gpuE4ELNS1_3repE0EEENS1_30default_config_static_selectorELNS0_4arch9wavefront6targetE0EEEvT1_ ; -- Begin function _ZN7rocprim17ROCPRIM_400000_NS6detail17trampoline_kernelINS0_14default_configENS1_29reduce_by_key_config_selectorIjjN6thrust23THRUST_200600_302600_NS4plusIjEEEEZZNS1_33reduce_by_key_impl_wrapped_configILNS1_25lookback_scan_determinismE0ES3_S9_NS6_6detail15normal_iteratorINS6_10device_ptrIjEEEESG_NS6_16discard_iteratorINS6_11use_defaultEEESG_PmS8_NS6_8equal_toIjEEEE10hipError_tPvRmT2_T3_mT4_T5_T6_T7_T8_P12ihipStream_tbENKUlT_T0_E_clISt17integral_constantIbLb1EES13_IbLb0EEEEDaSZ_S10_EUlSZ_E_NS1_11comp_targetILNS1_3genE10ELNS1_11target_archE1200ELNS1_3gpuE4ELNS1_3repE0EEENS1_30default_config_static_selectorELNS0_4arch9wavefront6targetE0EEEvT1_
	.globl	_ZN7rocprim17ROCPRIM_400000_NS6detail17trampoline_kernelINS0_14default_configENS1_29reduce_by_key_config_selectorIjjN6thrust23THRUST_200600_302600_NS4plusIjEEEEZZNS1_33reduce_by_key_impl_wrapped_configILNS1_25lookback_scan_determinismE0ES3_S9_NS6_6detail15normal_iteratorINS6_10device_ptrIjEEEESG_NS6_16discard_iteratorINS6_11use_defaultEEESG_PmS8_NS6_8equal_toIjEEEE10hipError_tPvRmT2_T3_mT4_T5_T6_T7_T8_P12ihipStream_tbENKUlT_T0_E_clISt17integral_constantIbLb1EES13_IbLb0EEEEDaSZ_S10_EUlSZ_E_NS1_11comp_targetILNS1_3genE10ELNS1_11target_archE1200ELNS1_3gpuE4ELNS1_3repE0EEENS1_30default_config_static_selectorELNS0_4arch9wavefront6targetE0EEEvT1_
	.p2align	8
	.type	_ZN7rocprim17ROCPRIM_400000_NS6detail17trampoline_kernelINS0_14default_configENS1_29reduce_by_key_config_selectorIjjN6thrust23THRUST_200600_302600_NS4plusIjEEEEZZNS1_33reduce_by_key_impl_wrapped_configILNS1_25lookback_scan_determinismE0ES3_S9_NS6_6detail15normal_iteratorINS6_10device_ptrIjEEEESG_NS6_16discard_iteratorINS6_11use_defaultEEESG_PmS8_NS6_8equal_toIjEEEE10hipError_tPvRmT2_T3_mT4_T5_T6_T7_T8_P12ihipStream_tbENKUlT_T0_E_clISt17integral_constantIbLb1EES13_IbLb0EEEEDaSZ_S10_EUlSZ_E_NS1_11comp_targetILNS1_3genE10ELNS1_11target_archE1200ELNS1_3gpuE4ELNS1_3repE0EEENS1_30default_config_static_selectorELNS0_4arch9wavefront6targetE0EEEvT1_,@function
_ZN7rocprim17ROCPRIM_400000_NS6detail17trampoline_kernelINS0_14default_configENS1_29reduce_by_key_config_selectorIjjN6thrust23THRUST_200600_302600_NS4plusIjEEEEZZNS1_33reduce_by_key_impl_wrapped_configILNS1_25lookback_scan_determinismE0ES3_S9_NS6_6detail15normal_iteratorINS6_10device_ptrIjEEEESG_NS6_16discard_iteratorINS6_11use_defaultEEESG_PmS8_NS6_8equal_toIjEEEE10hipError_tPvRmT2_T3_mT4_T5_T6_T7_T8_P12ihipStream_tbENKUlT_T0_E_clISt17integral_constantIbLb1EES13_IbLb0EEEEDaSZ_S10_EUlSZ_E_NS1_11comp_targetILNS1_3genE10ELNS1_11target_archE1200ELNS1_3gpuE4ELNS1_3repE0EEENS1_30default_config_static_selectorELNS0_4arch9wavefront6targetE0EEEvT1_: ; @_ZN7rocprim17ROCPRIM_400000_NS6detail17trampoline_kernelINS0_14default_configENS1_29reduce_by_key_config_selectorIjjN6thrust23THRUST_200600_302600_NS4plusIjEEEEZZNS1_33reduce_by_key_impl_wrapped_configILNS1_25lookback_scan_determinismE0ES3_S9_NS6_6detail15normal_iteratorINS6_10device_ptrIjEEEESG_NS6_16discard_iteratorINS6_11use_defaultEEESG_PmS8_NS6_8equal_toIjEEEE10hipError_tPvRmT2_T3_mT4_T5_T6_T7_T8_P12ihipStream_tbENKUlT_T0_E_clISt17integral_constantIbLb1EES13_IbLb0EEEEDaSZ_S10_EUlSZ_E_NS1_11comp_targetILNS1_3genE10ELNS1_11target_archE1200ELNS1_3gpuE4ELNS1_3repE0EEENS1_30default_config_static_selectorELNS0_4arch9wavefront6targetE0EEEvT1_
; %bb.0:
	.section	.rodata,"a",@progbits
	.p2align	6, 0x0
	.amdhsa_kernel _ZN7rocprim17ROCPRIM_400000_NS6detail17trampoline_kernelINS0_14default_configENS1_29reduce_by_key_config_selectorIjjN6thrust23THRUST_200600_302600_NS4plusIjEEEEZZNS1_33reduce_by_key_impl_wrapped_configILNS1_25lookback_scan_determinismE0ES3_S9_NS6_6detail15normal_iteratorINS6_10device_ptrIjEEEESG_NS6_16discard_iteratorINS6_11use_defaultEEESG_PmS8_NS6_8equal_toIjEEEE10hipError_tPvRmT2_T3_mT4_T5_T6_T7_T8_P12ihipStream_tbENKUlT_T0_E_clISt17integral_constantIbLb1EES13_IbLb0EEEEDaSZ_S10_EUlSZ_E_NS1_11comp_targetILNS1_3genE10ELNS1_11target_archE1200ELNS1_3gpuE4ELNS1_3repE0EEENS1_30default_config_static_selectorELNS0_4arch9wavefront6targetE0EEEvT1_
		.amdhsa_group_segment_fixed_size 0
		.amdhsa_private_segment_fixed_size 0
		.amdhsa_kernarg_size 128
		.amdhsa_user_sgpr_count 15
		.amdhsa_user_sgpr_dispatch_ptr 0
		.amdhsa_user_sgpr_queue_ptr 0
		.amdhsa_user_sgpr_kernarg_segment_ptr 1
		.amdhsa_user_sgpr_dispatch_id 0
		.amdhsa_user_sgpr_private_segment_size 0
		.amdhsa_wavefront_size32 1
		.amdhsa_uses_dynamic_stack 0
		.amdhsa_enable_private_segment 0
		.amdhsa_system_sgpr_workgroup_id_x 1
		.amdhsa_system_sgpr_workgroup_id_y 0
		.amdhsa_system_sgpr_workgroup_id_z 0
		.amdhsa_system_sgpr_workgroup_info 0
		.amdhsa_system_vgpr_workitem_id 0
		.amdhsa_next_free_vgpr 1
		.amdhsa_next_free_sgpr 1
		.amdhsa_reserve_vcc 0
		.amdhsa_float_round_mode_32 0
		.amdhsa_float_round_mode_16_64 0
		.amdhsa_float_denorm_mode_32 3
		.amdhsa_float_denorm_mode_16_64 3
		.amdhsa_dx10_clamp 1
		.amdhsa_ieee_mode 1
		.amdhsa_fp16_overflow 0
		.amdhsa_workgroup_processor_mode 1
		.amdhsa_memory_ordered 1
		.amdhsa_forward_progress 0
		.amdhsa_shared_vgpr_count 0
		.amdhsa_exception_fp_ieee_invalid_op 0
		.amdhsa_exception_fp_denorm_src 0
		.amdhsa_exception_fp_ieee_div_zero 0
		.amdhsa_exception_fp_ieee_overflow 0
		.amdhsa_exception_fp_ieee_underflow 0
		.amdhsa_exception_fp_ieee_inexact 0
		.amdhsa_exception_int_div_zero 0
	.end_amdhsa_kernel
	.section	.text._ZN7rocprim17ROCPRIM_400000_NS6detail17trampoline_kernelINS0_14default_configENS1_29reduce_by_key_config_selectorIjjN6thrust23THRUST_200600_302600_NS4plusIjEEEEZZNS1_33reduce_by_key_impl_wrapped_configILNS1_25lookback_scan_determinismE0ES3_S9_NS6_6detail15normal_iteratorINS6_10device_ptrIjEEEESG_NS6_16discard_iteratorINS6_11use_defaultEEESG_PmS8_NS6_8equal_toIjEEEE10hipError_tPvRmT2_T3_mT4_T5_T6_T7_T8_P12ihipStream_tbENKUlT_T0_E_clISt17integral_constantIbLb1EES13_IbLb0EEEEDaSZ_S10_EUlSZ_E_NS1_11comp_targetILNS1_3genE10ELNS1_11target_archE1200ELNS1_3gpuE4ELNS1_3repE0EEENS1_30default_config_static_selectorELNS0_4arch9wavefront6targetE0EEEvT1_,"axG",@progbits,_ZN7rocprim17ROCPRIM_400000_NS6detail17trampoline_kernelINS0_14default_configENS1_29reduce_by_key_config_selectorIjjN6thrust23THRUST_200600_302600_NS4plusIjEEEEZZNS1_33reduce_by_key_impl_wrapped_configILNS1_25lookback_scan_determinismE0ES3_S9_NS6_6detail15normal_iteratorINS6_10device_ptrIjEEEESG_NS6_16discard_iteratorINS6_11use_defaultEEESG_PmS8_NS6_8equal_toIjEEEE10hipError_tPvRmT2_T3_mT4_T5_T6_T7_T8_P12ihipStream_tbENKUlT_T0_E_clISt17integral_constantIbLb1EES13_IbLb0EEEEDaSZ_S10_EUlSZ_E_NS1_11comp_targetILNS1_3genE10ELNS1_11target_archE1200ELNS1_3gpuE4ELNS1_3repE0EEENS1_30default_config_static_selectorELNS0_4arch9wavefront6targetE0EEEvT1_,comdat
.Lfunc_end937:
	.size	_ZN7rocprim17ROCPRIM_400000_NS6detail17trampoline_kernelINS0_14default_configENS1_29reduce_by_key_config_selectorIjjN6thrust23THRUST_200600_302600_NS4plusIjEEEEZZNS1_33reduce_by_key_impl_wrapped_configILNS1_25lookback_scan_determinismE0ES3_S9_NS6_6detail15normal_iteratorINS6_10device_ptrIjEEEESG_NS6_16discard_iteratorINS6_11use_defaultEEESG_PmS8_NS6_8equal_toIjEEEE10hipError_tPvRmT2_T3_mT4_T5_T6_T7_T8_P12ihipStream_tbENKUlT_T0_E_clISt17integral_constantIbLb1EES13_IbLb0EEEEDaSZ_S10_EUlSZ_E_NS1_11comp_targetILNS1_3genE10ELNS1_11target_archE1200ELNS1_3gpuE4ELNS1_3repE0EEENS1_30default_config_static_selectorELNS0_4arch9wavefront6targetE0EEEvT1_, .Lfunc_end937-_ZN7rocprim17ROCPRIM_400000_NS6detail17trampoline_kernelINS0_14default_configENS1_29reduce_by_key_config_selectorIjjN6thrust23THRUST_200600_302600_NS4plusIjEEEEZZNS1_33reduce_by_key_impl_wrapped_configILNS1_25lookback_scan_determinismE0ES3_S9_NS6_6detail15normal_iteratorINS6_10device_ptrIjEEEESG_NS6_16discard_iteratorINS6_11use_defaultEEESG_PmS8_NS6_8equal_toIjEEEE10hipError_tPvRmT2_T3_mT4_T5_T6_T7_T8_P12ihipStream_tbENKUlT_T0_E_clISt17integral_constantIbLb1EES13_IbLb0EEEEDaSZ_S10_EUlSZ_E_NS1_11comp_targetILNS1_3genE10ELNS1_11target_archE1200ELNS1_3gpuE4ELNS1_3repE0EEENS1_30default_config_static_selectorELNS0_4arch9wavefront6targetE0EEEvT1_
                                        ; -- End function
	.section	.AMDGPU.csdata,"",@progbits
; Kernel info:
; codeLenInByte = 0
; NumSgprs: 0
; NumVgprs: 0
; ScratchSize: 0
; MemoryBound: 0
; FloatMode: 240
; IeeeMode: 1
; LDSByteSize: 0 bytes/workgroup (compile time only)
; SGPRBlocks: 0
; VGPRBlocks: 0
; NumSGPRsForWavesPerEU: 1
; NumVGPRsForWavesPerEU: 1
; Occupancy: 16
; WaveLimiterHint : 0
; COMPUTE_PGM_RSRC2:SCRATCH_EN: 0
; COMPUTE_PGM_RSRC2:USER_SGPR: 15
; COMPUTE_PGM_RSRC2:TRAP_HANDLER: 0
; COMPUTE_PGM_RSRC2:TGID_X_EN: 1
; COMPUTE_PGM_RSRC2:TGID_Y_EN: 0
; COMPUTE_PGM_RSRC2:TGID_Z_EN: 0
; COMPUTE_PGM_RSRC2:TIDIG_COMP_CNT: 0
	.section	.text._ZN7rocprim17ROCPRIM_400000_NS6detail17trampoline_kernelINS0_14default_configENS1_29reduce_by_key_config_selectorIjjN6thrust23THRUST_200600_302600_NS4plusIjEEEEZZNS1_33reduce_by_key_impl_wrapped_configILNS1_25lookback_scan_determinismE0ES3_S9_NS6_6detail15normal_iteratorINS6_10device_ptrIjEEEESG_NS6_16discard_iteratorINS6_11use_defaultEEESG_PmS8_NS6_8equal_toIjEEEE10hipError_tPvRmT2_T3_mT4_T5_T6_T7_T8_P12ihipStream_tbENKUlT_T0_E_clISt17integral_constantIbLb1EES13_IbLb0EEEEDaSZ_S10_EUlSZ_E_NS1_11comp_targetILNS1_3genE9ELNS1_11target_archE1100ELNS1_3gpuE3ELNS1_3repE0EEENS1_30default_config_static_selectorELNS0_4arch9wavefront6targetE0EEEvT1_,"axG",@progbits,_ZN7rocprim17ROCPRIM_400000_NS6detail17trampoline_kernelINS0_14default_configENS1_29reduce_by_key_config_selectorIjjN6thrust23THRUST_200600_302600_NS4plusIjEEEEZZNS1_33reduce_by_key_impl_wrapped_configILNS1_25lookback_scan_determinismE0ES3_S9_NS6_6detail15normal_iteratorINS6_10device_ptrIjEEEESG_NS6_16discard_iteratorINS6_11use_defaultEEESG_PmS8_NS6_8equal_toIjEEEE10hipError_tPvRmT2_T3_mT4_T5_T6_T7_T8_P12ihipStream_tbENKUlT_T0_E_clISt17integral_constantIbLb1EES13_IbLb0EEEEDaSZ_S10_EUlSZ_E_NS1_11comp_targetILNS1_3genE9ELNS1_11target_archE1100ELNS1_3gpuE3ELNS1_3repE0EEENS1_30default_config_static_selectorELNS0_4arch9wavefront6targetE0EEEvT1_,comdat
	.protected	_ZN7rocprim17ROCPRIM_400000_NS6detail17trampoline_kernelINS0_14default_configENS1_29reduce_by_key_config_selectorIjjN6thrust23THRUST_200600_302600_NS4plusIjEEEEZZNS1_33reduce_by_key_impl_wrapped_configILNS1_25lookback_scan_determinismE0ES3_S9_NS6_6detail15normal_iteratorINS6_10device_ptrIjEEEESG_NS6_16discard_iteratorINS6_11use_defaultEEESG_PmS8_NS6_8equal_toIjEEEE10hipError_tPvRmT2_T3_mT4_T5_T6_T7_T8_P12ihipStream_tbENKUlT_T0_E_clISt17integral_constantIbLb1EES13_IbLb0EEEEDaSZ_S10_EUlSZ_E_NS1_11comp_targetILNS1_3genE9ELNS1_11target_archE1100ELNS1_3gpuE3ELNS1_3repE0EEENS1_30default_config_static_selectorELNS0_4arch9wavefront6targetE0EEEvT1_ ; -- Begin function _ZN7rocprim17ROCPRIM_400000_NS6detail17trampoline_kernelINS0_14default_configENS1_29reduce_by_key_config_selectorIjjN6thrust23THRUST_200600_302600_NS4plusIjEEEEZZNS1_33reduce_by_key_impl_wrapped_configILNS1_25lookback_scan_determinismE0ES3_S9_NS6_6detail15normal_iteratorINS6_10device_ptrIjEEEESG_NS6_16discard_iteratorINS6_11use_defaultEEESG_PmS8_NS6_8equal_toIjEEEE10hipError_tPvRmT2_T3_mT4_T5_T6_T7_T8_P12ihipStream_tbENKUlT_T0_E_clISt17integral_constantIbLb1EES13_IbLb0EEEEDaSZ_S10_EUlSZ_E_NS1_11comp_targetILNS1_3genE9ELNS1_11target_archE1100ELNS1_3gpuE3ELNS1_3repE0EEENS1_30default_config_static_selectorELNS0_4arch9wavefront6targetE0EEEvT1_
	.globl	_ZN7rocprim17ROCPRIM_400000_NS6detail17trampoline_kernelINS0_14default_configENS1_29reduce_by_key_config_selectorIjjN6thrust23THRUST_200600_302600_NS4plusIjEEEEZZNS1_33reduce_by_key_impl_wrapped_configILNS1_25lookback_scan_determinismE0ES3_S9_NS6_6detail15normal_iteratorINS6_10device_ptrIjEEEESG_NS6_16discard_iteratorINS6_11use_defaultEEESG_PmS8_NS6_8equal_toIjEEEE10hipError_tPvRmT2_T3_mT4_T5_T6_T7_T8_P12ihipStream_tbENKUlT_T0_E_clISt17integral_constantIbLb1EES13_IbLb0EEEEDaSZ_S10_EUlSZ_E_NS1_11comp_targetILNS1_3genE9ELNS1_11target_archE1100ELNS1_3gpuE3ELNS1_3repE0EEENS1_30default_config_static_selectorELNS0_4arch9wavefront6targetE0EEEvT1_
	.p2align	8
	.type	_ZN7rocprim17ROCPRIM_400000_NS6detail17trampoline_kernelINS0_14default_configENS1_29reduce_by_key_config_selectorIjjN6thrust23THRUST_200600_302600_NS4plusIjEEEEZZNS1_33reduce_by_key_impl_wrapped_configILNS1_25lookback_scan_determinismE0ES3_S9_NS6_6detail15normal_iteratorINS6_10device_ptrIjEEEESG_NS6_16discard_iteratorINS6_11use_defaultEEESG_PmS8_NS6_8equal_toIjEEEE10hipError_tPvRmT2_T3_mT4_T5_T6_T7_T8_P12ihipStream_tbENKUlT_T0_E_clISt17integral_constantIbLb1EES13_IbLb0EEEEDaSZ_S10_EUlSZ_E_NS1_11comp_targetILNS1_3genE9ELNS1_11target_archE1100ELNS1_3gpuE3ELNS1_3repE0EEENS1_30default_config_static_selectorELNS0_4arch9wavefront6targetE0EEEvT1_,@function
_ZN7rocprim17ROCPRIM_400000_NS6detail17trampoline_kernelINS0_14default_configENS1_29reduce_by_key_config_selectorIjjN6thrust23THRUST_200600_302600_NS4plusIjEEEEZZNS1_33reduce_by_key_impl_wrapped_configILNS1_25lookback_scan_determinismE0ES3_S9_NS6_6detail15normal_iteratorINS6_10device_ptrIjEEEESG_NS6_16discard_iteratorINS6_11use_defaultEEESG_PmS8_NS6_8equal_toIjEEEE10hipError_tPvRmT2_T3_mT4_T5_T6_T7_T8_P12ihipStream_tbENKUlT_T0_E_clISt17integral_constantIbLb1EES13_IbLb0EEEEDaSZ_S10_EUlSZ_E_NS1_11comp_targetILNS1_3genE9ELNS1_11target_archE1100ELNS1_3gpuE3ELNS1_3repE0EEENS1_30default_config_static_selectorELNS0_4arch9wavefront6targetE0EEEvT1_: ; @_ZN7rocprim17ROCPRIM_400000_NS6detail17trampoline_kernelINS0_14default_configENS1_29reduce_by_key_config_selectorIjjN6thrust23THRUST_200600_302600_NS4plusIjEEEEZZNS1_33reduce_by_key_impl_wrapped_configILNS1_25lookback_scan_determinismE0ES3_S9_NS6_6detail15normal_iteratorINS6_10device_ptrIjEEEESG_NS6_16discard_iteratorINS6_11use_defaultEEESG_PmS8_NS6_8equal_toIjEEEE10hipError_tPvRmT2_T3_mT4_T5_T6_T7_T8_P12ihipStream_tbENKUlT_T0_E_clISt17integral_constantIbLb1EES13_IbLb0EEEEDaSZ_S10_EUlSZ_E_NS1_11comp_targetILNS1_3genE9ELNS1_11target_archE1100ELNS1_3gpuE3ELNS1_3repE0EEENS1_30default_config_static_selectorELNS0_4arch9wavefront6targetE0EEEvT1_
; %bb.0:
	s_clause 0x4
	s_load_b128 s[4:7], s[0:1], 0x0
	s_load_b256 s[24:31], s[0:1], 0x40
	s_load_b64 s[8:9], s[0:1], 0x10
	s_load_b64 s[34:35], s[0:1], 0x70
	s_load_b128 s[36:39], s[0:1], 0x60
	s_mov_b32 s3, 0
	s_mul_i32 s2, s15, 0xf00
	s_waitcnt lgkmcnt(0)
	s_lshl_b64 s[6:7], s[6:7], 2
	s_mul_i32 s10, s28, s27
	s_add_u32 s14, s4, s6
	s_mul_hi_u32 s11, s28, s26
	s_addc_u32 s16, s5, s7
	s_add_u32 s6, s8, s6
	s_mul_i32 s12, s29, s26
	s_addc_u32 s7, s9, s7
	s_add_i32 s8, s11, s10
	s_lshl_b64 s[4:5], s[2:3], 2
	s_add_i32 s8, s8, s12
	s_add_u32 s20, s14, s4
	s_addc_u32 s17, s16, s5
	s_mul_i32 s13, s28, s26
	s_add_u32 s22, s6, s4
	s_addc_u32 s28, s7, s5
	s_add_u32 s18, s13, s15
	s_addc_u32 s19, s8, 0
	s_add_u32 s4, s30, -1
	s_addc_u32 s5, s31, -1
	s_mul_i32 s33, s4, 0xfffff100
	s_cmp_eq_u64 s[18:19], s[4:5]
	s_cselect_b32 s23, -1, 0
	s_cmp_lg_u64 s[18:19], s[4:5]
	s_cselect_b32 s21, -1, 0
	s_and_b32 vcc_lo, exec_lo, s23
	s_cbranch_vccnz .LBB938_2
; %bb.1:
	v_lshlrev_b32_e32 v8, 2, v0
	s_delay_alu instid0(VALU_DEP_1) | instskip(NEXT) | instid1(VALU_DEP_1)
	v_add_co_u32 v1, s2, s20, v8
	v_add_co_ci_u32_e64 v2, null, s17, 0, s2
	s_delay_alu instid0(VALU_DEP_2) | instskip(NEXT) | instid1(VALU_DEP_2)
	v_add_co_u32 v3, vcc_lo, 0x1000, v1
	v_add_co_ci_u32_e32 v4, vcc_lo, 0, v2, vcc_lo
	s_clause 0x7
	flat_load_b32 v9, v[1:2]
	flat_load_b32 v10, v[1:2] offset:1024
	flat_load_b32 v11, v[1:2] offset:2048
	flat_load_b32 v12, v[1:2] offset:3072
	flat_load_b32 v13, v[3:4]
	flat_load_b32 v14, v[3:4] offset:1024
	flat_load_b32 v15, v[3:4] offset:2048
	;; [unrolled: 1-line block ×3, first 2 shown]
	v_add_co_u32 v3, vcc_lo, 0x2000, v1
	v_add_co_ci_u32_e32 v4, vcc_lo, 0, v2, vcc_lo
	v_add_co_u32 v1, vcc_lo, 0x3000, v1
	v_add_co_ci_u32_e32 v2, vcc_lo, 0, v2, vcc_lo
	s_clause 0x6
	flat_load_b32 v17, v[3:4]
	flat_load_b32 v18, v[3:4] offset:1024
	flat_load_b32 v19, v[3:4] offset:2048
	;; [unrolled: 1-line block ×3, first 2 shown]
	flat_load_b32 v21, v[1:2]
	flat_load_b32 v22, v[1:2] offset:1024
	flat_load_b32 v25, v[1:2] offset:2048
	v_add_co_u32 v2, s2, s22, v8
	s_delay_alu instid0(VALU_DEP_1) | instskip(SKIP_1) | instid1(VALU_DEP_3)
	v_add_co_ci_u32_e64 v3, null, s28, 0, s2
	v_mad_u32_u24 v1, v0, 56, v8
	v_add_co_u32 v4, vcc_lo, 0x1000, v2
	s_delay_alu instid0(VALU_DEP_3)
	v_add_co_ci_u32_e32 v5, vcc_lo, 0, v3, vcc_lo
	v_add_co_u32 v6, vcc_lo, 0x2000, v2
	v_add_co_ci_u32_e32 v7, vcc_lo, 0, v3, vcc_lo
	v_add_co_u32 v23, vcc_lo, 0x3000, v2
	v_add_co_ci_u32_e32 v24, vcc_lo, 0, v3, vcc_lo
	s_waitcnt vmcnt(13) lgkmcnt(13)
	ds_store_2addr_stride64_b32 v8, v9, v10 offset1:4
	s_waitcnt vmcnt(11) lgkmcnt(12)
	ds_store_2addr_stride64_b32 v8, v11, v12 offset0:8 offset1:12
	s_waitcnt vmcnt(9) lgkmcnt(11)
	ds_store_2addr_stride64_b32 v8, v13, v14 offset0:16 offset1:20
	;; [unrolled: 2-line block ×6, first 2 shown]
	s_waitcnt vmcnt(0) lgkmcnt(7)
	ds_store_b32 v8, v25 offset:14336
	s_waitcnt lgkmcnt(0)
	s_barrier
	buffer_gl0_inv
	ds_load_2addr_b32 v[21:22], v1 offset1:1
	ds_load_2addr_b32 v[19:20], v1 offset0:2 offset1:3
	ds_load_2addr_b32 v[17:18], v1 offset0:4 offset1:5
	;; [unrolled: 1-line block ×6, first 2 shown]
	ds_load_b32 v63, v1 offset:56
	s_waitcnt lgkmcnt(0)
	s_barrier
	buffer_gl0_inv
	s_clause 0xe
	flat_load_b32 v25, v[2:3]
	flat_load_b32 v26, v[2:3] offset:1024
	flat_load_b32 v27, v[2:3] offset:2048
	flat_load_b32 v2, v[2:3] offset:3072
	flat_load_b32 v3, v[4:5]
	flat_load_b32 v28, v[4:5] offset:1024
	flat_load_b32 v29, v[4:5] offset:2048
	flat_load_b32 v4, v[4:5] offset:3072
	;; [unrolled: 4-line block ×3, first 2 shown]
	flat_load_b32 v7, v[23:24]
	flat_load_b32 v32, v[23:24] offset:1024
	flat_load_b32 v23, v[23:24] offset:2048
	s_waitcnt vmcnt(13) lgkmcnt(13)
	ds_store_2addr_stride64_b32 v8, v25, v26 offset1:4
	s_waitcnt vmcnt(11) lgkmcnt(12)
	ds_store_2addr_stride64_b32 v8, v27, v2 offset0:8 offset1:12
	s_waitcnt vmcnt(9) lgkmcnt(11)
	ds_store_2addr_stride64_b32 v8, v3, v28 offset0:16 offset1:20
	;; [unrolled: 2-line block ×6, first 2 shown]
	s_waitcnt vmcnt(0) lgkmcnt(7)
	ds_store_b32 v8, v23 offset:14336
	s_waitcnt lgkmcnt(0)
	s_barrier
	s_and_not1_b32 vcc_lo, exec_lo, s3
	s_add_i32 s33, s33, s36
	s_cbranch_vccz .LBB938_3
	s_branch .LBB938_50
.LBB938_2:
                                        ; implicit-def: $vgpr1
                                        ; implicit-def: $vgpr21
                                        ; implicit-def: $vgpr19
                                        ; implicit-def: $vgpr17
                                        ; implicit-def: $vgpr15
                                        ; implicit-def: $vgpr13
                                        ; implicit-def: $vgpr11
                                        ; implicit-def: $vgpr9
                                        ; implicit-def: $vgpr63
	s_add_i32 s33, s33, s36
.LBB938_3:
	s_delay_alu instid0(SALU_CYCLE_1)
	v_cmp_gt_u32_e32 vcc_lo, s33, v0
                                        ; implicit-def: $vgpr1
	s_and_saveexec_b32 s2, vcc_lo
	s_cbranch_execz .LBB938_5
; %bb.4:
	v_lshlrev_b32_e32 v1, 2, v0
	s_delay_alu instid0(VALU_DEP_1) | instskip(NEXT) | instid1(VALU_DEP_1)
	v_add_co_u32 v1, s3, s20, v1
	v_add_co_ci_u32_e64 v2, null, s17, 0, s3
	flat_load_b32 v1, v[1:2]
.LBB938_5:
	s_or_b32 exec_lo, exec_lo, s2
	v_or_b32_e32 v2, 0x100, v0
                                        ; implicit-def: $vgpr9
	s_delay_alu instid0(VALU_DEP_1) | instskip(NEXT) | instid1(VALU_DEP_1)
	v_cmp_gt_u32_e64 s2, s33, v2
	s_and_saveexec_b32 s3, s2
	s_cbranch_execz .LBB938_7
; %bb.6:
	v_lshlrev_b32_e32 v2, 2, v0
	s_delay_alu instid0(VALU_DEP_1) | instskip(NEXT) | instid1(VALU_DEP_1)
	v_add_co_u32 v2, s4, s20, v2
	v_add_co_ci_u32_e64 v3, null, s17, 0, s4
	flat_load_b32 v9, v[2:3] offset:1024
.LBB938_7:
	s_or_b32 exec_lo, exec_lo, s3
	v_or_b32_e32 v2, 0x200, v0
                                        ; implicit-def: $vgpr10
	s_delay_alu instid0(VALU_DEP_1) | instskip(NEXT) | instid1(VALU_DEP_1)
	v_cmp_gt_u32_e64 s3, s33, v2
	s_and_saveexec_b32 s4, s3
	s_cbranch_execz .LBB938_9
; %bb.8:
	v_lshlrev_b32_e32 v2, 2, v0
	s_delay_alu instid0(VALU_DEP_1) | instskip(NEXT) | instid1(VALU_DEP_1)
	v_add_co_u32 v2, s5, s20, v2
	v_add_co_ci_u32_e64 v3, null, s17, 0, s5
	flat_load_b32 v10, v[2:3] offset:2048
.LBB938_9:
	s_or_b32 exec_lo, exec_lo, s4
	v_or_b32_e32 v2, 0x300, v0
                                        ; implicit-def: $vgpr11
	s_delay_alu instid0(VALU_DEP_1) | instskip(NEXT) | instid1(VALU_DEP_1)
	v_cmp_gt_u32_e64 s4, s33, v2
	s_and_saveexec_b32 s5, s4
	s_cbranch_execz .LBB938_11
; %bb.10:
	v_lshlrev_b32_e32 v2, 2, v0
	s_delay_alu instid0(VALU_DEP_1) | instskip(NEXT) | instid1(VALU_DEP_1)
	v_add_co_u32 v2, s6, s20, v2
	v_add_co_ci_u32_e64 v3, null, s17, 0, s6
	flat_load_b32 v11, v[2:3] offset:3072
.LBB938_11:
	s_or_b32 exec_lo, exec_lo, s5
	v_or_b32_e32 v2, 0x400, v0
                                        ; implicit-def: $vgpr12
	s_delay_alu instid0(VALU_DEP_1) | instskip(NEXT) | instid1(VALU_DEP_1)
	v_cmp_gt_u32_e64 s5, s33, v2
	s_and_saveexec_b32 s6, s5
	s_cbranch_execz .LBB938_13
; %bb.12:
	v_lshlrev_b32_e32 v3, 2, v2
	s_delay_alu instid0(VALU_DEP_1) | instskip(NEXT) | instid1(VALU_DEP_1)
	v_add_co_u32 v3, s7, s20, v3
	v_add_co_ci_u32_e64 v4, null, s17, 0, s7
	flat_load_b32 v12, v[3:4]
.LBB938_13:
	s_or_b32 exec_lo, exec_lo, s6
	v_or_b32_e32 v3, 0x500, v0
                                        ; implicit-def: $vgpr13
	s_delay_alu instid0(VALU_DEP_1) | instskip(NEXT) | instid1(VALU_DEP_1)
	v_cmp_gt_u32_e64 s6, s33, v3
	s_and_saveexec_b32 s7, s6
	s_cbranch_execz .LBB938_15
; %bb.14:
	v_lshlrev_b32_e32 v4, 2, v3
	s_delay_alu instid0(VALU_DEP_1) | instskip(NEXT) | instid1(VALU_DEP_1)
	v_add_co_u32 v4, s8, s20, v4
	v_add_co_ci_u32_e64 v5, null, s17, 0, s8
	flat_load_b32 v13, v[4:5]
.LBB938_15:
	s_or_b32 exec_lo, exec_lo, s7
	v_or_b32_e32 v4, 0x600, v0
                                        ; implicit-def: $vgpr14
	s_delay_alu instid0(VALU_DEP_1) | instskip(NEXT) | instid1(VALU_DEP_1)
	v_cmp_gt_u32_e64 s7, s33, v4
	s_and_saveexec_b32 s8, s7
	s_cbranch_execz .LBB938_17
; %bb.16:
	v_lshlrev_b32_e32 v5, 2, v4
	s_delay_alu instid0(VALU_DEP_1) | instskip(NEXT) | instid1(VALU_DEP_1)
	v_add_co_u32 v5, s9, s20, v5
	v_add_co_ci_u32_e64 v6, null, s17, 0, s9
	flat_load_b32 v14, v[5:6]
.LBB938_17:
	s_or_b32 exec_lo, exec_lo, s8
	v_or_b32_e32 v5, 0x700, v0
                                        ; implicit-def: $vgpr15
	s_delay_alu instid0(VALU_DEP_1) | instskip(NEXT) | instid1(VALU_DEP_1)
	v_cmp_gt_u32_e64 s8, s33, v5
	s_and_saveexec_b32 s9, s8
	s_cbranch_execz .LBB938_19
; %bb.18:
	v_lshlrev_b32_e32 v6, 2, v5
	s_delay_alu instid0(VALU_DEP_1) | instskip(NEXT) | instid1(VALU_DEP_1)
	v_add_co_u32 v6, s10, s20, v6
	v_add_co_ci_u32_e64 v7, null, s17, 0, s10
	flat_load_b32 v15, v[6:7]
.LBB938_19:
	s_or_b32 exec_lo, exec_lo, s9
	v_or_b32_e32 v6, 0x800, v0
                                        ; implicit-def: $vgpr16
	s_delay_alu instid0(VALU_DEP_1) | instskip(NEXT) | instid1(VALU_DEP_1)
	v_cmp_gt_u32_e64 s9, s33, v6
	s_and_saveexec_b32 s10, s9
	s_cbranch_execz .LBB938_21
; %bb.20:
	v_lshlrev_b32_e32 v7, 2, v6
	s_delay_alu instid0(VALU_DEP_1) | instskip(NEXT) | instid1(VALU_DEP_1)
	v_add_co_u32 v7, s11, s20, v7
	v_add_co_ci_u32_e64 v8, null, s17, 0, s11
	flat_load_b32 v16, v[7:8]
.LBB938_21:
	s_or_b32 exec_lo, exec_lo, s10
	v_or_b32_e32 v8, 0x900, v0
                                        ; implicit-def: $vgpr17
	s_delay_alu instid0(VALU_DEP_1) | instskip(NEXT) | instid1(VALU_DEP_1)
	v_cmp_gt_u32_e64 s10, s33, v8
	s_and_saveexec_b32 s11, s10
	s_cbranch_execz .LBB938_23
; %bb.22:
	v_lshlrev_b32_e32 v7, 2, v8
	s_delay_alu instid0(VALU_DEP_1) | instskip(NEXT) | instid1(VALU_DEP_1)
	v_add_co_u32 v17, s12, s20, v7
	v_add_co_ci_u32_e64 v18, null, s17, 0, s12
	flat_load_b32 v17, v[17:18]
.LBB938_23:
	s_or_b32 exec_lo, exec_lo, s11
	v_or_b32_e32 v23, 0xa00, v0
                                        ; implicit-def: $vgpr18
	s_delay_alu instid0(VALU_DEP_1) | instskip(NEXT) | instid1(VALU_DEP_1)
	v_cmp_gt_u32_e64 s11, s33, v23
	s_and_saveexec_b32 s12, s11
	s_cbranch_execz .LBB938_25
; %bb.24:
	v_lshlrev_b32_e32 v7, 2, v23
	s_delay_alu instid0(VALU_DEP_1) | instskip(NEXT) | instid1(VALU_DEP_1)
	v_add_co_u32 v18, s13, s20, v7
	v_add_co_ci_u32_e64 v19, null, s17, 0, s13
	flat_load_b32 v18, v[18:19]
.LBB938_25:
	s_or_b32 exec_lo, exec_lo, s12
	v_or_b32_e32 v24, 0xb00, v0
                                        ; implicit-def: $vgpr19
	s_delay_alu instid0(VALU_DEP_1) | instskip(NEXT) | instid1(VALU_DEP_1)
	v_cmp_gt_u32_e64 s12, s33, v24
	s_and_saveexec_b32 s13, s12
	s_cbranch_execz .LBB938_27
; %bb.26:
	v_lshlrev_b32_e32 v7, 2, v24
	s_delay_alu instid0(VALU_DEP_1) | instskip(NEXT) | instid1(VALU_DEP_1)
	v_add_co_u32 v19, s14, s20, v7
	v_add_co_ci_u32_e64 v20, null, s17, 0, s14
	flat_load_b32 v19, v[19:20]
.LBB938_27:
	s_or_b32 exec_lo, exec_lo, s13
	v_or_b32_e32 v25, 0xc00, v0
                                        ; implicit-def: $vgpr20
	s_delay_alu instid0(VALU_DEP_1) | instskip(NEXT) | instid1(VALU_DEP_1)
	v_cmp_gt_u32_e64 s13, s33, v25
	s_and_saveexec_b32 s14, s13
	s_cbranch_execz .LBB938_29
; %bb.28:
	v_lshlrev_b32_e32 v7, 2, v25
	s_delay_alu instid0(VALU_DEP_1) | instskip(NEXT) | instid1(VALU_DEP_1)
	v_add_co_u32 v20, s16, s20, v7
	v_add_co_ci_u32_e64 v21, null, s17, 0, s16
	flat_load_b32 v20, v[20:21]
.LBB938_29:
	s_or_b32 exec_lo, exec_lo, s14
	v_or_b32_e32 v26, 0xd00, v0
                                        ; implicit-def: $vgpr21
	s_delay_alu instid0(VALU_DEP_1) | instskip(NEXT) | instid1(VALU_DEP_1)
	v_cmp_gt_u32_e64 s14, s33, v26
	s_and_saveexec_b32 s16, s14
	s_cbranch_execz .LBB938_31
; %bb.30:
	v_lshlrev_b32_e32 v7, 2, v26
	s_delay_alu instid0(VALU_DEP_1) | instskip(NEXT) | instid1(VALU_DEP_1)
	v_add_co_u32 v21, s29, s20, v7
	v_add_co_ci_u32_e64 v22, null, s17, 0, s29
	flat_load_b32 v21, v[21:22]
.LBB938_31:
	s_or_b32 exec_lo, exec_lo, s16
	v_or_b32_e32 v27, 0xe00, v0
                                        ; implicit-def: $vgpr22
	s_delay_alu instid0(VALU_DEP_1) | instskip(NEXT) | instid1(VALU_DEP_1)
	v_cmp_gt_u32_e64 s16, s33, v27
	s_and_saveexec_b32 s29, s16
	s_cbranch_execz .LBB938_33
; %bb.32:
	v_lshlrev_b32_e32 v7, 2, v27
	s_delay_alu instid0(VALU_DEP_1) | instskip(NEXT) | instid1(VALU_DEP_1)
	v_add_co_u32 v28, s30, s20, v7
	v_add_co_ci_u32_e64 v29, null, s17, 0, s30
	flat_load_b32 v22, v[28:29]
.LBB938_33:
	s_or_b32 exec_lo, exec_lo, s29
	v_lshlrev_b32_e32 v7, 2, v0
                                        ; implicit-def: $vgpr28
	s_waitcnt vmcnt(0) lgkmcnt(0)
	ds_store_2addr_stride64_b32 v7, v1, v9 offset1:4
	ds_store_2addr_stride64_b32 v7, v10, v11 offset0:8 offset1:12
	ds_store_2addr_stride64_b32 v7, v12, v13 offset0:16 offset1:20
	ds_store_2addr_stride64_b32 v7, v14, v15 offset0:24 offset1:28
	ds_store_2addr_stride64_b32 v7, v16, v17 offset0:32 offset1:36
	ds_store_2addr_stride64_b32 v7, v18, v19 offset0:40 offset1:44
	ds_store_2addr_stride64_b32 v7, v20, v21 offset0:48 offset1:52
	v_mad_u32_u24 v1, v0, 56, v7
	ds_store_b32 v7, v22 offset:14336
	s_waitcnt lgkmcnt(0)
	s_barrier
	buffer_gl0_inv
	ds_load_2addr_b32 v[21:22], v1 offset1:1
	ds_load_2addr_b32 v[19:20], v1 offset0:2 offset1:3
	ds_load_2addr_b32 v[17:18], v1 offset0:4 offset1:5
	;; [unrolled: 1-line block ×6, first 2 shown]
	ds_load_b32 v63, v1 offset:56
	s_waitcnt lgkmcnt(0)
	s_barrier
	buffer_gl0_inv
	s_and_saveexec_b32 s29, vcc_lo
	s_cbranch_execnz .LBB938_57
; %bb.34:
	s_or_b32 exec_lo, exec_lo, s29
                                        ; implicit-def: $vgpr29
	s_and_saveexec_b32 s29, s2
	s_cbranch_execnz .LBB938_58
.LBB938_35:
	s_or_b32 exec_lo, exec_lo, s29
                                        ; implicit-def: $vgpr30
	s_and_saveexec_b32 s2, s3
	s_cbranch_execnz .LBB938_59
.LBB938_36:
	s_or_b32 exec_lo, exec_lo, s2
                                        ; implicit-def: $vgpr31
	s_and_saveexec_b32 s2, s4
	s_cbranch_execnz .LBB938_60
.LBB938_37:
	s_or_b32 exec_lo, exec_lo, s2
                                        ; implicit-def: $vgpr32
	s_and_saveexec_b32 s2, s5
	s_cbranch_execnz .LBB938_61
.LBB938_38:
	s_or_b32 exec_lo, exec_lo, s2
                                        ; implicit-def: $vgpr2
	s_and_saveexec_b32 s2, s6
	s_cbranch_execnz .LBB938_62
.LBB938_39:
	s_or_b32 exec_lo, exec_lo, s2
                                        ; implicit-def: $vgpr3
	s_and_saveexec_b32 s2, s7
	s_cbranch_execnz .LBB938_63
.LBB938_40:
	s_or_b32 exec_lo, exec_lo, s2
                                        ; implicit-def: $vgpr4
	s_and_saveexec_b32 s2, s8
	s_cbranch_execnz .LBB938_64
.LBB938_41:
	s_or_b32 exec_lo, exec_lo, s2
                                        ; implicit-def: $vgpr5
	s_and_saveexec_b32 s2, s9
	s_cbranch_execnz .LBB938_65
.LBB938_42:
	s_or_b32 exec_lo, exec_lo, s2
                                        ; implicit-def: $vgpr6
	s_and_saveexec_b32 s2, s10
	s_cbranch_execnz .LBB938_66
.LBB938_43:
	s_or_b32 exec_lo, exec_lo, s2
                                        ; implicit-def: $vgpr8
	s_and_saveexec_b32 s2, s11
	s_cbranch_execnz .LBB938_67
.LBB938_44:
	s_or_b32 exec_lo, exec_lo, s2
                                        ; implicit-def: $vgpr23
	s_and_saveexec_b32 s2, s12
	s_cbranch_execnz .LBB938_68
.LBB938_45:
	s_or_b32 exec_lo, exec_lo, s2
                                        ; implicit-def: $vgpr24
	s_and_saveexec_b32 s2, s13
	s_cbranch_execnz .LBB938_69
.LBB938_46:
	s_or_b32 exec_lo, exec_lo, s2
                                        ; implicit-def: $vgpr25
	s_and_saveexec_b32 s2, s14
	s_cbranch_execnz .LBB938_70
.LBB938_47:
	s_or_b32 exec_lo, exec_lo, s2
                                        ; implicit-def: $vgpr26
	s_and_saveexec_b32 s2, s16
	s_cbranch_execz .LBB938_49
.LBB938_48:
	v_lshlrev_b32_e32 v26, 2, v27
	s_delay_alu instid0(VALU_DEP_1) | instskip(NEXT) | instid1(VALU_DEP_1)
	v_add_co_u32 v26, s3, s22, v26
	v_add_co_ci_u32_e64 v27, null, s28, 0, s3
	flat_load_b32 v26, v[26:27]
.LBB938_49:
	s_or_b32 exec_lo, exec_lo, s2
	s_waitcnt vmcnt(0) lgkmcnt(0)
	ds_store_2addr_stride64_b32 v7, v28, v29 offset1:4
	ds_store_2addr_stride64_b32 v7, v30, v31 offset0:8 offset1:12
	ds_store_2addr_stride64_b32 v7, v32, v2 offset0:16 offset1:20
	;; [unrolled: 1-line block ×6, first 2 shown]
	ds_store_b32 v7, v26 offset:14336
	s_waitcnt lgkmcnt(0)
	s_barrier
.LBB938_50:
	buffer_gl0_inv
	ds_load_2addr_b32 v[35:36], v1 offset1:1
	ds_load_2addr_b32 v[33:34], v1 offset0:2 offset1:3
	ds_load_2addr_b32 v[31:32], v1 offset0:4 offset1:5
	;; [unrolled: 1-line block ×6, first 2 shown]
	ds_load_b32 v78, v1 offset:56
	s_load_b128 s[28:31], s[0:1], 0x28
	s_cmp_eq_u64 s[18:19], 0
	s_waitcnt lgkmcnt(0)
	s_cselect_b32 s40, -1, 0
	s_cmp_lg_u64 s[18:19], 0
	s_barrier
	s_cselect_b32 s14, -1, 0
	s_and_b32 vcc_lo, exec_lo, s21
	buffer_gl0_inv
	s_cbranch_vccz .LBB938_56
; %bb.51:
	s_and_b32 vcc_lo, exec_lo, s14
	s_cbranch_vccz .LBB938_71
; %bb.52:
	v_add_co_u32 v1, s0, -4, s20
	s_delay_alu instid0(VALU_DEP_1)
	v_add_co_ci_u32_e64 v2, null, -1, s17, s0
	v_cmp_ne_u32_e32 vcc_lo, v10, v63
	v_cmp_ne_u32_e64 s0, v9, v10
	v_cmp_ne_u32_e64 s1, v12, v9
	flat_load_b32 v1, v[1:2]
	v_lshlrev_b32_e32 v2, 2, v0
	v_cmp_ne_u32_e64 s2, v11, v12
	v_cmp_ne_u32_e64 s3, v14, v11
	;; [unrolled: 1-line block ×11, first 2 shown]
	s_mov_b32 s41, -1
	s_mov_b32 s16, 0
	s_mov_b32 s21, exec_lo
	ds_store_b32 v2, v63
	s_waitcnt vmcnt(0) lgkmcnt(0)
	s_barrier
	buffer_gl0_inv
	v_cmpx_ne_u32_e32 0, v0
	s_cbranch_execz .LBB938_54
; %bb.53:
	v_add_nc_u32_e32 v1, -4, v2
	ds_load_b32 v1, v1
.LBB938_54:
	s_or_b32 exec_lo, exec_lo, s21
	v_cndmask_b32_e64 v71, 0, 1, vcc_lo
	v_cndmask_b32_e64 v64, 0, 1, s0
	v_cndmask_b32_e64 v65, 0, 1, s1
	;; [unrolled: 1-line block ×13, first 2 shown]
	s_waitcnt lgkmcnt(0)
	v_cmp_ne_u32_e64 s0, v1, v21
	s_and_b32 vcc_lo, exec_lo, s16
	s_cbranch_vccnz .LBB938_72
.LBB938_55:
                                        ; implicit-def: $sgpr1
	s_branch .LBB938_83
.LBB938_56:
	s_mov_b32 s41, 0
                                        ; implicit-def: $sgpr0
                                        ; implicit-def: $vgpr71
                                        ; implicit-def: $vgpr64
                                        ; implicit-def: $vgpr65
                                        ; implicit-def: $vgpr66
                                        ; implicit-def: $vgpr67
                                        ; implicit-def: $vgpr68
                                        ; implicit-def: $vgpr69
                                        ; implicit-def: $vgpr70
                                        ; implicit-def: $vgpr72
                                        ; implicit-def: $vgpr73
                                        ; implicit-def: $vgpr74
                                        ; implicit-def: $vgpr75
                                        ; implicit-def: $vgpr76
                                        ; implicit-def: $vgpr77
                                        ; implicit-def: $sgpr1
	s_cbranch_execnz .LBB938_75
	s_branch .LBB938_83
.LBB938_57:
	v_add_co_u32 v28, s30, s22, v7
	s_delay_alu instid0(VALU_DEP_1)
	v_add_co_ci_u32_e64 v29, null, s28, 0, s30
	flat_load_b32 v28, v[28:29]
	s_or_b32 exec_lo, exec_lo, s29
                                        ; implicit-def: $vgpr29
	s_and_saveexec_b32 s29, s2
	s_cbranch_execz .LBB938_35
.LBB938_58:
	v_add_co_u32 v29, s2, s22, v7
	s_delay_alu instid0(VALU_DEP_1)
	v_add_co_ci_u32_e64 v30, null, s28, 0, s2
	flat_load_b32 v29, v[29:30] offset:1024
	s_or_b32 exec_lo, exec_lo, s29
                                        ; implicit-def: $vgpr30
	s_and_saveexec_b32 s2, s3
	s_cbranch_execz .LBB938_36
.LBB938_59:
	v_add_co_u32 v30, s3, s22, v7
	s_delay_alu instid0(VALU_DEP_1)
	v_add_co_ci_u32_e64 v31, null, s28, 0, s3
	flat_load_b32 v30, v[30:31] offset:2048
	s_or_b32 exec_lo, exec_lo, s2
                                        ; implicit-def: $vgpr31
	s_and_saveexec_b32 s2, s4
	s_cbranch_execz .LBB938_37
.LBB938_60:
	v_add_co_u32 v31, s3, s22, v7
	s_delay_alu instid0(VALU_DEP_1)
	v_add_co_ci_u32_e64 v32, null, s28, 0, s3
	flat_load_b32 v31, v[31:32] offset:3072
	s_or_b32 exec_lo, exec_lo, s2
                                        ; implicit-def: $vgpr32
	s_and_saveexec_b32 s2, s5
	s_cbranch_execz .LBB938_38
.LBB938_61:
	v_lshlrev_b32_e32 v2, 2, v2
	s_delay_alu instid0(VALU_DEP_1) | instskip(NEXT) | instid1(VALU_DEP_1)
	v_add_co_u32 v32, s3, s22, v2
	v_add_co_ci_u32_e64 v33, null, s28, 0, s3
	flat_load_b32 v32, v[32:33]
	s_or_b32 exec_lo, exec_lo, s2
                                        ; implicit-def: $vgpr2
	s_and_saveexec_b32 s2, s6
	s_cbranch_execz .LBB938_39
.LBB938_62:
	v_lshlrev_b32_e32 v2, 2, v3
	s_delay_alu instid0(VALU_DEP_1) | instskip(NEXT) | instid1(VALU_DEP_1)
	v_add_co_u32 v2, s3, s22, v2
	v_add_co_ci_u32_e64 v3, null, s28, 0, s3
	flat_load_b32 v2, v[2:3]
	s_or_b32 exec_lo, exec_lo, s2
                                        ; implicit-def: $vgpr3
	s_and_saveexec_b32 s2, s7
	s_cbranch_execz .LBB938_40
.LBB938_63:
	v_lshlrev_b32_e32 v3, 2, v4
	s_delay_alu instid0(VALU_DEP_1) | instskip(NEXT) | instid1(VALU_DEP_1)
	v_add_co_u32 v3, s3, s22, v3
	v_add_co_ci_u32_e64 v4, null, s28, 0, s3
	flat_load_b32 v3, v[3:4]
	s_or_b32 exec_lo, exec_lo, s2
                                        ; implicit-def: $vgpr4
	s_and_saveexec_b32 s2, s8
	s_cbranch_execz .LBB938_41
.LBB938_64:
	v_lshlrev_b32_e32 v4, 2, v5
	s_delay_alu instid0(VALU_DEP_1) | instskip(NEXT) | instid1(VALU_DEP_1)
	v_add_co_u32 v4, s3, s22, v4
	v_add_co_ci_u32_e64 v5, null, s28, 0, s3
	flat_load_b32 v4, v[4:5]
	s_or_b32 exec_lo, exec_lo, s2
                                        ; implicit-def: $vgpr5
	s_and_saveexec_b32 s2, s9
	s_cbranch_execz .LBB938_42
.LBB938_65:
	v_lshlrev_b32_e32 v5, 2, v6
	s_delay_alu instid0(VALU_DEP_1) | instskip(NEXT) | instid1(VALU_DEP_1)
	v_add_co_u32 v5, s3, s22, v5
	v_add_co_ci_u32_e64 v6, null, s28, 0, s3
	flat_load_b32 v5, v[5:6]
	s_or_b32 exec_lo, exec_lo, s2
                                        ; implicit-def: $vgpr6
	s_and_saveexec_b32 s2, s10
	s_cbranch_execz .LBB938_43
.LBB938_66:
	v_lshlrev_b32_e32 v6, 2, v8
	s_delay_alu instid0(VALU_DEP_1) | instskip(NEXT) | instid1(VALU_DEP_1)
	v_add_co_u32 v33, s3, s22, v6
	v_add_co_ci_u32_e64 v34, null, s28, 0, s3
	flat_load_b32 v6, v[33:34]
	s_or_b32 exec_lo, exec_lo, s2
                                        ; implicit-def: $vgpr8
	s_and_saveexec_b32 s2, s11
	s_cbranch_execz .LBB938_44
.LBB938_67:
	v_lshlrev_b32_e32 v8, 2, v23
	s_delay_alu instid0(VALU_DEP_1) | instskip(NEXT) | instid1(VALU_DEP_1)
	v_add_co_u32 v33, s3, s22, v8
	v_add_co_ci_u32_e64 v34, null, s28, 0, s3
	flat_load_b32 v8, v[33:34]
	s_or_b32 exec_lo, exec_lo, s2
                                        ; implicit-def: $vgpr23
	s_and_saveexec_b32 s2, s12
	s_cbranch_execz .LBB938_45
.LBB938_68:
	v_lshlrev_b32_e32 v23, 2, v24
	s_delay_alu instid0(VALU_DEP_1) | instskip(NEXT) | instid1(VALU_DEP_1)
	v_add_co_u32 v23, s3, s22, v23
	v_add_co_ci_u32_e64 v24, null, s28, 0, s3
	flat_load_b32 v23, v[23:24]
	s_or_b32 exec_lo, exec_lo, s2
                                        ; implicit-def: $vgpr24
	s_and_saveexec_b32 s2, s13
	s_cbranch_execz .LBB938_46
.LBB938_69:
	v_lshlrev_b32_e32 v24, 2, v25
	s_delay_alu instid0(VALU_DEP_1) | instskip(NEXT) | instid1(VALU_DEP_1)
	v_add_co_u32 v24, s3, s22, v24
	v_add_co_ci_u32_e64 v25, null, s28, 0, s3
	flat_load_b32 v24, v[24:25]
	s_or_b32 exec_lo, exec_lo, s2
                                        ; implicit-def: $vgpr25
	s_and_saveexec_b32 s2, s14
	s_cbranch_execz .LBB938_47
.LBB938_70:
	v_lshlrev_b32_e32 v25, 2, v26
	s_delay_alu instid0(VALU_DEP_1) | instskip(NEXT) | instid1(VALU_DEP_1)
	v_add_co_u32 v25, s3, s22, v25
	v_add_co_ci_u32_e64 v26, null, s28, 0, s3
	flat_load_b32 v25, v[25:26]
	s_or_b32 exec_lo, exec_lo, s2
                                        ; implicit-def: $vgpr26
	s_and_saveexec_b32 s2, s16
	s_cbranch_execnz .LBB938_48
	s_branch .LBB938_49
.LBB938_71:
	s_mov_b32 s41, 0
                                        ; implicit-def: $sgpr0
                                        ; implicit-def: $vgpr71
                                        ; implicit-def: $vgpr64
                                        ; implicit-def: $vgpr65
                                        ; implicit-def: $vgpr66
                                        ; implicit-def: $vgpr67
                                        ; implicit-def: $vgpr68
                                        ; implicit-def: $vgpr69
                                        ; implicit-def: $vgpr70
                                        ; implicit-def: $vgpr72
                                        ; implicit-def: $vgpr73
                                        ; implicit-def: $vgpr74
                                        ; implicit-def: $vgpr75
                                        ; implicit-def: $vgpr76
                                        ; implicit-def: $vgpr77
	s_cbranch_execz .LBB938_55
.LBB938_72:
	v_cmp_ne_u32_e32 vcc_lo, v10, v63
	v_lshlrev_b32_e32 v1, 2, v0
	s_mov_b32 s1, exec_lo
                                        ; implicit-def: $sgpr0
	v_cndmask_b32_e64 v71, 0, 1, vcc_lo
	v_cmp_ne_u32_e32 vcc_lo, v9, v10
	ds_store_b32 v1, v63
	s_waitcnt lgkmcnt(0)
	s_barrier
	buffer_gl0_inv
	v_cndmask_b32_e64 v64, 0, 1, vcc_lo
	v_cmp_ne_u32_e32 vcc_lo, v12, v9
	v_cndmask_b32_e64 v65, 0, 1, vcc_lo
	v_cmp_ne_u32_e32 vcc_lo, v11, v12
	v_cndmask_b32_e64 v66, 0, 1, vcc_lo
	v_cmp_ne_u32_e32 vcc_lo, v14, v11
	v_cndmask_b32_e64 v67, 0, 1, vcc_lo
	v_cmp_ne_u32_e32 vcc_lo, v13, v14
	v_cndmask_b32_e64 v68, 0, 1, vcc_lo
	v_cmp_ne_u32_e32 vcc_lo, v16, v13
	v_cndmask_b32_e64 v69, 0, 1, vcc_lo
	v_cmp_ne_u32_e32 vcc_lo, v15, v16
	v_cndmask_b32_e64 v70, 0, 1, vcc_lo
	v_cmp_ne_u32_e32 vcc_lo, v18, v15
	v_cndmask_b32_e64 v72, 0, 1, vcc_lo
	v_cmp_ne_u32_e32 vcc_lo, v17, v18
	v_cndmask_b32_e64 v73, 0, 1, vcc_lo
	v_cmp_ne_u32_e32 vcc_lo, v20, v17
	v_cndmask_b32_e64 v74, 0, 1, vcc_lo
	v_cmp_ne_u32_e32 vcc_lo, v19, v20
	v_cndmask_b32_e64 v75, 0, 1, vcc_lo
	v_cmp_ne_u32_e32 vcc_lo, v22, v19
	v_cndmask_b32_e64 v76, 0, 1, vcc_lo
	v_cmp_ne_u32_e32 vcc_lo, v21, v22
	v_cndmask_b32_e64 v77, 0, 1, vcc_lo
	v_cmpx_ne_u32_e32 0, v0
	s_xor_b32 s1, exec_lo, s1
	s_cbranch_execz .LBB938_74
; %bb.73:
	v_add_nc_u32_e32 v1, -4, v1
	s_or_b32 s41, s41, exec_lo
	ds_load_b32 v1, v1
	s_waitcnt lgkmcnt(0)
	v_cmp_ne_u32_e32 vcc_lo, v1, v21
	s_and_b32 s0, vcc_lo, exec_lo
.LBB938_74:
	s_or_b32 exec_lo, exec_lo, s1
	s_mov_b32 s1, 1
	s_branch .LBB938_83
.LBB938_75:
	s_mul_hi_u32 s0, s18, 0xfffff100
	s_mul_i32 s1, s19, 0xfffff100
	s_sub_i32 s0, s0, s18
	s_mul_i32 s2, s18, 0xfffff100
	s_add_i32 s0, s0, s1
	s_add_u32 s36, s2, s36
	s_addc_u32 s37, s0, s37
	s_and_b32 vcc_lo, exec_lo, s14
	s_cbranch_vccz .LBB938_80
; %bb.76:
	v_add_co_u32 v1, s0, -4, s20
	s_delay_alu instid0(VALU_DEP_1)
	v_add_co_ci_u32_e64 v2, null, -1, s17, s0
	v_cmp_ne_u32_e64 s6, v10, v63
	v_cmp_ne_u32_e64 s8, v9, v10
	v_lshlrev_b32_e32 v4, 2, v0
	flat_load_b32 v5, v[1:2]
	v_mad_u32_u24 v1, v0, 15, 14
	v_mov_b32_e32 v2, 0
	v_mul_u32_u24_e32 v3, 15, v0
	s_mov_b32 s41, -1
	s_mov_b32 s10, 0
	ds_store_b32 v4, v63
	v_cmp_gt_u64_e32 vcc_lo, s[36:37], v[1:2]
	v_mad_u32_u24 v1, v0, 15, 13
	s_waitcnt vmcnt(0) lgkmcnt(0)
	s_barrier
	buffer_gl0_inv
	v_cmp_gt_u64_e64 s0, s[36:37], v[1:2]
	v_mad_u32_u24 v1, v0, 15, 12
	s_and_b32 s11, vcc_lo, s6
	v_cmp_ne_u32_e64 s6, v11, v12
	s_delay_alu instid0(VALU_DEP_2) | instskip(SKIP_4) | instid1(VALU_DEP_3)
	v_cmp_gt_u64_e64 s1, s[36:37], v[1:2]
	v_mad_u32_u24 v1, v0, 15, 11
	s_and_b32 s12, s0, s8
	v_cmp_ne_u32_e64 s0, v12, v9
	v_cmp_ne_u32_e64 s8, v14, v11
	v_cmp_gt_u64_e64 s2, s[36:37], v[1:2]
	v_mad_u32_u24 v1, v0, 15, 10
	s_delay_alu instid0(VALU_DEP_4) | instskip(SKIP_1) | instid1(VALU_DEP_2)
	s_and_b32 s13, s1, s0
	v_cmp_ne_u32_e64 s0, v13, v14
	v_cmp_gt_u64_e64 s3, s[36:37], v[1:2]
	v_mad_u32_u24 v1, v0, 15, 9
	s_and_b32 s14, s2, s6
	v_cmp_ne_u32_e64 s2, v15, v16
	v_cmp_ne_u32_e64 s6, v21, v22
	s_delay_alu instid0(VALU_DEP_3) | instskip(SKIP_3) | instid1(VALU_DEP_2)
	v_cmp_gt_u64_e64 s4, s[36:37], v[1:2]
	v_mad_u32_u24 v1, v0, 15, 8
	s_and_b32 s8, s3, s8
	v_cmp_ne_u32_e64 s3, v18, v15
	v_cmp_gt_u64_e64 s5, s[36:37], v[1:2]
	v_mad_u32_u24 v1, v0, 15, 7
	s_and_b32 s16, s4, s0
	v_cmp_ne_u32_e64 s0, v16, v13
	s_delay_alu instid0(VALU_DEP_2) | instskip(SKIP_1) | instid1(VALU_DEP_3)
	v_cmp_gt_u64_e64 s7, s[36:37], v[1:2]
	v_mad_u32_u24 v1, v0, 15, 6
	s_and_b32 s17, s5, s0
	v_cmp_ne_u32_e64 s0, v17, v18
	s_delay_alu instid0(VALU_DEP_2) | instskip(SKIP_3) | instid1(VALU_DEP_2)
	v_cmp_gt_u64_e32 vcc_lo, s[36:37], v[1:2]
	v_mad_u32_u24 v1, v0, 15, 5
	s_and_b32 s18, s7, s2
	v_cmp_ne_u32_e64 s2, v19, v20
	v_cmp_gt_u64_e64 s9, s[36:37], v[1:2]
	v_mad_u32_u24 v1, v0, 15, 4
	s_and_b32 s7, vcc_lo, s3
	v_cmp_ne_u32_e64 s3, v22, v19
	s_delay_alu instid0(VALU_DEP_2) | instskip(SKIP_3) | instid1(VALU_DEP_2)
	v_cmp_gt_u64_e64 s1, s[36:37], v[1:2]
	v_mad_u32_u24 v1, v0, 15, 3
	s_and_b32 s9, s9, s0
	v_cmp_ne_u32_e64 s0, v20, v17
	v_cmp_gt_u64_e64 s4, s[36:37], v[1:2]
	v_mad_u32_u24 v1, v0, 15, 2
	s_delay_alu instid0(VALU_DEP_3) | instskip(NEXT) | instid1(VALU_DEP_1)
	s_and_b32 s0, s1, s0
	v_cmp_gt_u64_e32 vcc_lo, s[36:37], v[1:2]
	v_mad_u32_u24 v1, v0, 15, 1
	s_delay_alu instid0(VALU_DEP_4) | instskip(SKIP_1) | instid1(VALU_DEP_1)
	s_and_b32 s2, s4, s2
	s_mov_b32 s4, exec_lo
	v_cmp_gt_u64_e64 s5, s[36:37], v[1:2]
	s_and_b32 s1, vcc_lo, s3
	s_delay_alu instid0(VALU_DEP_1)
	s_and_b32 s3, s5, s6
	v_cmpx_ne_u32_e32 0, v0
	s_cbranch_execz .LBB938_78
; %bb.77:
	v_add_nc_u32_e32 v1, -4, v4
	ds_load_b32 v5, v1
.LBB938_78:
	s_or_b32 exec_lo, exec_lo, s4
	v_mov_b32_e32 v4, v2
	v_cndmask_b32_e64 v74, 0, 1, s0
	s_waitcnt lgkmcnt(0)
	v_cmp_ne_u32_e64 s0, v5, v21
	v_cndmask_b32_e64 v71, 0, 1, s11
	v_cndmask_b32_e64 v64, 0, 1, s12
	v_cmp_gt_u64_e32 vcc_lo, s[36:37], v[3:4]
	v_cndmask_b32_e64 v65, 0, 1, s13
	v_cndmask_b32_e64 v66, 0, 1, s14
	;; [unrolled: 1-line block ×11, first 2 shown]
	s_and_b32 s0, vcc_lo, s0
	s_and_b32 vcc_lo, exec_lo, s10
	s_cbranch_vccnz .LBB938_81
.LBB938_79:
                                        ; implicit-def: $sgpr1
	v_mov_b32_e32 v79, s1
	s_and_saveexec_b32 s1, s41
	s_cbranch_execnz .LBB938_84
	s_branch .LBB938_85
.LBB938_80:
                                        ; implicit-def: $sgpr0
                                        ; implicit-def: $vgpr71
                                        ; implicit-def: $vgpr64
                                        ; implicit-def: $vgpr65
                                        ; implicit-def: $vgpr66
                                        ; implicit-def: $vgpr67
                                        ; implicit-def: $vgpr68
                                        ; implicit-def: $vgpr69
                                        ; implicit-def: $vgpr70
                                        ; implicit-def: $vgpr72
                                        ; implicit-def: $vgpr73
                                        ; implicit-def: $vgpr74
                                        ; implicit-def: $vgpr75
                                        ; implicit-def: $vgpr76
                                        ; implicit-def: $vgpr77
	s_cbranch_execz .LBB938_79
.LBB938_81:
	v_mad_u32_u24 v1, v0, 15, 14
	v_dual_mov_b32 v2, 0 :: v_dual_lshlrev_b32 v3, 2, v0
	v_cmp_ne_u32_e64 s5, v9, v10
	v_cmp_ne_u32_e64 s4, v10, v63
	v_cmp_ne_u32_e64 s6, v12, v9
	s_delay_alu instid0(VALU_DEP_4)
	v_cmp_gt_u64_e32 vcc_lo, s[36:37], v[1:2]
	v_mad_u32_u24 v1, v0, 15, 13
	v_cmp_ne_u32_e64 s8, v11, v12
	v_cmp_ne_u32_e64 s9, v14, v11
	;; [unrolled: 1-line block ×4, first 2 shown]
	v_cmp_gt_u64_e64 s0, s[36:37], v[1:2]
	v_mad_u32_u24 v1, v0, 15, 12
	s_and_b32 s4, vcc_lo, s4
	v_cmp_ne_u32_e64 s13, v15, v16
	v_cmp_ne_u32_e64 s14, v18, v15
	;; [unrolled: 1-line block ×3, first 2 shown]
	v_cmp_gt_u64_e64 s1, s[36:37], v[1:2]
	v_mad_u32_u24 v1, v0, 15, 11
	s_and_b32 s0, s0, s5
	v_cmp_ne_u32_e64 s17, v20, v17
	v_cndmask_b32_e64 v64, 0, 1, s0
	v_cmp_ne_u32_e64 s19, v19, v20
	v_cmp_gt_u64_e64 s2, s[36:37], v[1:2]
	v_mad_u32_u24 v1, v0, 15, 10
	s_and_b32 s0, s1, s6
	v_cmp_ne_u32_e64 s20, v22, v19
	v_cndmask_b32_e64 v65, 0, 1, s0
	v_cmp_ne_u32_e64 s21, v21, v22
	v_cmp_gt_u64_e64 s3, s[36:37], v[1:2]
	v_mad_u32_u24 v1, v0, 15, 9
	s_and_b32 s0, s2, s8
	v_cndmask_b32_e64 v71, 0, 1, s4
	v_cndmask_b32_e64 v66, 0, 1, s0
	ds_store_b32 v3, v63
	v_cmp_gt_u64_e64 s7, s[36:37], v[1:2]
	v_mad_u32_u24 v1, v0, 15, 8
	s_and_b32 s1, s3, s9
	s_waitcnt lgkmcnt(0)
	v_cndmask_b32_e64 v67, 0, 1, s1
	s_barrier
	v_cmp_gt_u64_e64 s12, s[36:37], v[1:2]
	v_mad_u32_u24 v1, v0, 15, 7
	s_and_b32 s1, s7, s10
	buffer_gl0_inv
	v_cndmask_b32_e64 v68, 0, 1, s1
	v_cmp_gt_u64_e64 s18, s[36:37], v[1:2]
	v_mad_u32_u24 v1, v0, 15, 6
	s_and_b32 s2, s12, s11
	s_delay_alu instid0(SALU_CYCLE_1) | instskip(NEXT) | instid1(VALU_DEP_2)
	v_cndmask_b32_e64 v69, 0, 1, s2
	v_cmp_gt_u64_e64 s22, s[36:37], v[1:2]
	v_mad_u32_u24 v1, v0, 15, 5
	s_and_b32 s2, s18, s13
	s_delay_alu instid0(SALU_CYCLE_1) | instskip(NEXT) | instid1(VALU_DEP_2)
	v_cndmask_b32_e64 v70, 0, 1, s2
	v_cmp_gt_u64_e32 vcc_lo, s[36:37], v[1:2]
	v_mad_u32_u24 v1, v0, 15, 4
	s_and_b32 s3, s22, s14
	s_delay_alu instid0(SALU_CYCLE_1) | instskip(NEXT) | instid1(VALU_DEP_2)
	v_cndmask_b32_e64 v72, 0, 1, s3
	v_cmp_gt_u64_e64 s0, s[36:37], v[1:2]
	v_mad_u32_u24 v1, v0, 15, 3
	s_and_b32 s3, vcc_lo, s16
	s_delay_alu instid0(SALU_CYCLE_1) | instskip(NEXT) | instid1(VALU_DEP_2)
	v_cndmask_b32_e64 v73, 0, 1, s3
	v_cmp_gt_u64_e64 s1, s[36:37], v[1:2]
	v_mad_u32_u24 v1, v0, 15, 2
	s_and_b32 s0, s0, s17
	s_delay_alu instid0(SALU_CYCLE_1) | instskip(NEXT) | instid1(VALU_DEP_2)
	v_cndmask_b32_e64 v74, 0, 1, s0
	v_cmp_gt_u64_e64 s2, s[36:37], v[1:2]
	v_mad_u32_u24 v1, v0, 15, 1
	s_and_b32 s0, s1, s19
	s_mov_b32 s1, 1
	v_cndmask_b32_e64 v75, 0, 1, s0
	s_delay_alu instid0(VALU_DEP_2) | instskip(SKIP_4) | instid1(SALU_CYCLE_1)
	v_cmp_gt_u64_e32 vcc_lo, s[36:37], v[1:2]
	s_and_b32 s0, s2, s20
	s_mov_b32 s2, exec_lo
	v_cndmask_b32_e64 v76, 0, 1, s0
	s_and_b32 s0, vcc_lo, s21
	v_cndmask_b32_e64 v77, 0, 1, s0
                                        ; implicit-def: $sgpr0
	v_cmpx_ne_u32_e32 0, v0
	s_cbranch_execz .LBB938_158
; %bb.82:
	v_add_nc_u32_e32 v1, -4, v3
	s_or_b32 s41, s41, exec_lo
	ds_load_b32 v3, v1
	v_mul_u32_u24_e32 v1, 15, v0
	s_delay_alu instid0(VALU_DEP_1) | instskip(SKIP_2) | instid1(VALU_DEP_1)
	v_cmp_gt_u64_e32 vcc_lo, s[36:37], v[1:2]
	s_waitcnt lgkmcnt(0)
	v_cmp_ne_u32_e64 s0, v3, v21
	s_and_b32 s0, vcc_lo, s0
	s_delay_alu instid0(SALU_CYCLE_1)
	s_and_b32 s0, s0, exec_lo
	s_or_b32 exec_lo, exec_lo, s2
.LBB938_83:
	v_mov_b32_e32 v79, s1
	s_and_saveexec_b32 s1, s41
.LBB938_84:
	v_cndmask_b32_e64 v79, 0, 1, s0
.LBB938_85:
	s_or_b32 exec_lo, exec_lo, s1
	s_delay_alu instid0(VALU_DEP_1)
	v_add3_u32 v1, v77, v79, v76
	v_cmp_eq_u32_e64 s12, 0, v77
	v_cmp_eq_u32_e64 s11, 0, v76
	;; [unrolled: 1-line block ×4, first 2 shown]
	v_add3_u32 v84, v1, v75, v74
	v_cmp_eq_u32_e64 s8, 0, v73
	v_cmp_eq_u32_e64 s7, 0, v72
	v_cmp_eq_u32_e64 s6, 0, v70
	v_cmp_eq_u32_e64 s5, 0, v69
	v_cmp_eq_u32_e64 s4, 0, v68
	v_cmp_eq_u32_e64 s3, 0, v67
	v_cmp_eq_u32_e64 s2, 0, v66
	v_cmp_eq_u32_e64 s1, 0, v65
	v_cmp_eq_u32_e64 s0, 0, v64
	v_cmp_eq_u32_e32 vcc_lo, 0, v71
	v_mbcnt_lo_u32_b32 v81, -1, 0
	v_lshrrev_b32_e32 v82, 5, v0
	v_or_b32_e32 v83, 31, v0
	s_cmp_eq_u64 s[26:27], 0
	s_cselect_b32 s16, -1, 0
	s_cmp_lg_u32 s15, 0
	s_cbranch_scc0 .LBB938_116
; %bb.86:
	v_cndmask_b32_e64 v1, 0, v35, s12
	v_add3_u32 v2, v84, v73, v72
	s_delay_alu instid0(VALU_DEP_2) | instskip(NEXT) | instid1(VALU_DEP_2)
	v_add_nc_u32_e32 v1, v1, v36
	v_add3_u32 v2, v2, v70, v69
	s_delay_alu instid0(VALU_DEP_2) | instskip(NEXT) | instid1(VALU_DEP_2)
	v_cndmask_b32_e64 v1, 0, v1, s11
	v_add3_u32 v2, v2, v68, v67
	s_delay_alu instid0(VALU_DEP_2) | instskip(NEXT) | instid1(VALU_DEP_2)
	v_add_nc_u32_e32 v1, v1, v33
	v_add3_u32 v2, v2, v66, v65
	s_delay_alu instid0(VALU_DEP_2) | instskip(NEXT) | instid1(VALU_DEP_2)
	v_cndmask_b32_e64 v1, 0, v1, s10
	v_add3_u32 v2, v2, v64, v71
	s_delay_alu instid0(VALU_DEP_2) | instskip(NEXT) | instid1(VALU_DEP_2)
	v_add_nc_u32_e32 v1, v1, v34
	v_mov_b32_dpp v5, v2 row_shr:1 row_mask:0xf bank_mask:0xf
	s_delay_alu instid0(VALU_DEP_2) | instskip(NEXT) | instid1(VALU_DEP_1)
	v_cndmask_b32_e64 v1, 0, v1, s9
	v_add_nc_u32_e32 v1, v1, v31
	s_delay_alu instid0(VALU_DEP_1) | instskip(NEXT) | instid1(VALU_DEP_1)
	v_cndmask_b32_e64 v1, 0, v1, s8
	v_add_nc_u32_e32 v1, v1, v32
	s_delay_alu instid0(VALU_DEP_1) | instskip(NEXT) | instid1(VALU_DEP_1)
	v_cndmask_b32_e64 v1, 0, v1, s7
	v_add_nc_u32_e32 v1, v1, v29
	s_delay_alu instid0(VALU_DEP_1) | instskip(NEXT) | instid1(VALU_DEP_1)
	v_cndmask_b32_e64 v1, 0, v1, s6
	v_add_nc_u32_e32 v1, v1, v30
	s_delay_alu instid0(VALU_DEP_1) | instskip(NEXT) | instid1(VALU_DEP_1)
	v_cndmask_b32_e64 v1, 0, v1, s5
	v_add_nc_u32_e32 v1, v1, v27
	s_delay_alu instid0(VALU_DEP_1) | instskip(NEXT) | instid1(VALU_DEP_1)
	v_cndmask_b32_e64 v1, 0, v1, s4
	v_add_nc_u32_e32 v1, v1, v28
	s_delay_alu instid0(VALU_DEP_1) | instskip(NEXT) | instid1(VALU_DEP_1)
	v_cndmask_b32_e64 v1, 0, v1, s3
	v_add_nc_u32_e32 v1, v1, v25
	s_delay_alu instid0(VALU_DEP_1) | instskip(NEXT) | instid1(VALU_DEP_1)
	v_cndmask_b32_e64 v1, 0, v1, s2
	v_add_nc_u32_e32 v1, v1, v26
	s_delay_alu instid0(VALU_DEP_1) | instskip(NEXT) | instid1(VALU_DEP_1)
	v_cndmask_b32_e64 v1, 0, v1, s1
	v_add_nc_u32_e32 v1, v1, v23
	s_delay_alu instid0(VALU_DEP_1) | instskip(NEXT) | instid1(VALU_DEP_1)
	v_cndmask_b32_e64 v1, 0, v1, s0
	v_add_nc_u32_e32 v1, v1, v24
	s_delay_alu instid0(VALU_DEP_1) | instskip(SKIP_1) | instid1(VALU_DEP_2)
	v_cndmask_b32_e32 v1, 0, v1, vcc_lo
	v_cmp_eq_u32_e32 vcc_lo, 0, v2
	v_add_nc_u32_e32 v1, v1, v78
	s_delay_alu instid0(VALU_DEP_1) | instskip(NEXT) | instid1(VALU_DEP_1)
	v_mov_b32_dpp v3, v1 row_shr:1 row_mask:0xf bank_mask:0xf
	v_dual_cndmask_b32 v3, 0, v3 :: v_dual_and_b32 v4, 15, v81
	s_delay_alu instid0(VALU_DEP_1) | instskip(SKIP_2) | instid1(VALU_DEP_4)
	v_cmp_eq_u32_e32 vcc_lo, 0, v4
	v_cmp_lt_u32_e64 s13, 1, v4
	v_cndmask_b32_e64 v5, v5, 0, vcc_lo
	v_cndmask_b32_e64 v3, v3, 0, vcc_lo
	s_delay_alu instid0(VALU_DEP_2) | instskip(NEXT) | instid1(VALU_DEP_2)
	v_add_nc_u32_e32 v2, v5, v2
	v_add_nc_u32_e32 v1, v3, v1
	s_delay_alu instid0(VALU_DEP_2) | instskip(SKIP_1) | instid1(VALU_DEP_3)
	v_mov_b32_dpp v3, v2 row_shr:2 row_mask:0xf bank_mask:0xf
	v_cmp_eq_u32_e32 vcc_lo, 0, v2
	v_mov_b32_dpp v5, v1 row_shr:2 row_mask:0xf bank_mask:0xf
	s_delay_alu instid0(VALU_DEP_3) | instskip(SKIP_2) | instid1(VALU_DEP_2)
	v_cndmask_b32_e64 v3, 0, v3, s13
	s_and_b32 vcc_lo, s13, vcc_lo
	v_cmp_lt_u32_e64 s13, 3, v4
	v_dual_cndmask_b32 v5, 0, v5 :: v_dual_add_nc_u32 v2, v2, v3
	s_delay_alu instid0(VALU_DEP_1) | instskip(NEXT) | instid1(VALU_DEP_2)
	v_add_nc_u32_e32 v1, v5, v1
	v_mov_b32_dpp v3, v2 row_shr:4 row_mask:0xf bank_mask:0xf
	v_cmp_eq_u32_e32 vcc_lo, 0, v2
	s_delay_alu instid0(VALU_DEP_3) | instskip(NEXT) | instid1(VALU_DEP_3)
	v_mov_b32_dpp v5, v1 row_shr:4 row_mask:0xf bank_mask:0xf
	v_cndmask_b32_e64 v3, 0, v3, s13
	s_and_b32 vcc_lo, s13, vcc_lo
	v_cmp_lt_u32_e64 s13, 7, v4
	s_delay_alu instid0(VALU_DEP_2) | instskip(NEXT) | instid1(VALU_DEP_1)
	v_dual_cndmask_b32 v5, 0, v5 :: v_dual_add_nc_u32 v2, v3, v2
	v_add_nc_u32_e32 v1, v1, v5
	v_bfe_i32 v5, v81, 4, 1
	s_delay_alu instid0(VALU_DEP_3) | instskip(SKIP_1) | instid1(VALU_DEP_4)
	v_cmp_eq_u32_e32 vcc_lo, 0, v2
	v_mov_b32_dpp v3, v2 row_shr:8 row_mask:0xf bank_mask:0xf
	v_mov_b32_dpp v4, v1 row_shr:8 row_mask:0xf bank_mask:0xf
	s_and_b32 vcc_lo, s13, vcc_lo
	s_delay_alu instid0(VALU_DEP_2) | instskip(SKIP_1) | instid1(VALU_DEP_2)
	v_cndmask_b32_e64 v3, 0, v3, s13
	s_mov_b32 s13, exec_lo
	v_cndmask_b32_e32 v4, 0, v4, vcc_lo
	s_delay_alu instid0(VALU_DEP_1) | instskip(NEXT) | instid1(VALU_DEP_3)
	v_add_nc_u32_e32 v4, v4, v1
	v_add_nc_u32_e32 v1, v3, v2
	ds_swizzle_b32 v2, v4 offset:swizzle(BROADCAST,32,15)
	ds_swizzle_b32 v3, v1 offset:swizzle(BROADCAST,32,15)
	v_cmp_eq_u32_e32 vcc_lo, 0, v1
	s_waitcnt lgkmcnt(0)
	v_dual_cndmask_b32 v2, 0, v2 :: v_dual_and_b32 v3, v5, v3
	s_delay_alu instid0(VALU_DEP_1) | instskip(NEXT) | instid1(VALU_DEP_2)
	v_and_b32_e32 v2, v5, v2
	v_add_nc_u32_e32 v1, v3, v1
	v_lshlrev_b32_e32 v3, 3, v82
	s_delay_alu instid0(VALU_DEP_3)
	v_add_nc_u32_e32 v2, v2, v4
	v_cmpx_eq_u32_e64 v83, v0
	s_cbranch_execz .LBB938_88
; %bb.87:
	ds_store_b64 v3, v[1:2] offset:2064
.LBB938_88:
	s_or_b32 exec_lo, exec_lo, s13
	s_delay_alu instid0(SALU_CYCLE_1)
	s_mov_b32 s14, exec_lo
	s_waitcnt lgkmcnt(0)
	s_barrier
	buffer_gl0_inv
	v_cmpx_gt_u32_e32 8, v0
	s_cbranch_execz .LBB938_90
; %bb.89:
	v_lshlrev_b32_e32 v6, 3, v0
	v_and_b32_e32 v8, 7, v81
	ds_load_b64 v[4:5], v6 offset:2064
	v_cmp_lt_u32_e64 s13, 1, v8
	s_waitcnt lgkmcnt(0)
	v_mov_b32_dpp v7, v5 row_shr:1 row_mask:0xf bank_mask:0xf
	v_cmp_eq_u32_e32 vcc_lo, 0, v4
	v_mov_b32_dpp v37, v4 row_shr:1 row_mask:0xf bank_mask:0xf
	s_delay_alu instid0(VALU_DEP_3) | instskip(SKIP_1) | instid1(VALU_DEP_3)
	v_cndmask_b32_e32 v7, 0, v7, vcc_lo
	v_cmp_eq_u32_e32 vcc_lo, 0, v8
	v_cndmask_b32_e64 v37, v37, 0, vcc_lo
	s_delay_alu instid0(VALU_DEP_3) | instskip(NEXT) | instid1(VALU_DEP_2)
	v_cndmask_b32_e64 v7, v7, 0, vcc_lo
	v_add_nc_u32_e32 v4, v37, v4
	s_delay_alu instid0(VALU_DEP_2) | instskip(NEXT) | instid1(VALU_DEP_2)
	v_add_nc_u32_e32 v5, v7, v5
	v_cmp_eq_u32_e32 vcc_lo, 0, v4
	s_delay_alu instid0(VALU_DEP_2) | instskip(SKIP_1) | instid1(VALU_DEP_1)
	v_mov_b32_dpp v37, v5 row_shr:2 row_mask:0xf bank_mask:0xf
	s_and_b32 vcc_lo, s13, vcc_lo
	v_cndmask_b32_e32 v37, 0, v37, vcc_lo
	v_mov_b32_dpp v7, v4 row_shr:2 row_mask:0xf bank_mask:0xf
	s_delay_alu instid0(VALU_DEP_2) | instskip(NEXT) | instid1(VALU_DEP_2)
	v_add_nc_u32_e32 v5, v37, v5
	v_cndmask_b32_e64 v7, 0, v7, s13
	v_cmp_lt_u32_e64 s13, 3, v8
	s_delay_alu instid0(VALU_DEP_3) | instskip(NEXT) | instid1(VALU_DEP_3)
	v_mov_b32_dpp v8, v5 row_shr:4 row_mask:0xf bank_mask:0xf
	v_add_nc_u32_e32 v4, v7, v4
	s_delay_alu instid0(VALU_DEP_1) | instskip(SKIP_2) | instid1(VALU_DEP_1)
	v_cmp_eq_u32_e32 vcc_lo, 0, v4
	v_mov_b32_dpp v7, v4 row_shr:4 row_mask:0xf bank_mask:0xf
	s_and_b32 vcc_lo, s13, vcc_lo
	v_cndmask_b32_e64 v7, 0, v7, s13
	v_cndmask_b32_e32 v8, 0, v8, vcc_lo
	s_delay_alu instid0(VALU_DEP_2) | instskip(NEXT) | instid1(VALU_DEP_2)
	v_add_nc_u32_e32 v4, v7, v4
	v_add_nc_u32_e32 v5, v8, v5
	ds_store_b64 v6, v[4:5] offset:2064
.LBB938_90:
	s_or_b32 exec_lo, exec_lo, s14
	v_cmp_gt_u32_e32 vcc_lo, 32, v0
	v_dual_mov_b32 v37, 0 :: v_dual_mov_b32 v38, 0
	s_mov_b32 s14, exec_lo
	s_waitcnt lgkmcnt(0)
	s_barrier
	buffer_gl0_inv
	v_cmpx_lt_u32_e32 31, v0
	s_cbranch_execz .LBB938_92
; %bb.91:
	ds_load_b64 v[37:38], v3 offset:2056
	v_cmp_eq_u32_e64 s13, 0, v1
	s_waitcnt lgkmcnt(0)
	s_delay_alu instid0(VALU_DEP_1) | instskip(SKIP_1) | instid1(VALU_DEP_2)
	v_cndmask_b32_e64 v3, 0, v38, s13
	v_add_nc_u32_e32 v1, v37, v1
	v_add_nc_u32_e32 v2, v3, v2
.LBB938_92:
	s_or_b32 exec_lo, exec_lo, s14
	v_add_nc_u32_e32 v3, -1, v81
	s_delay_alu instid0(VALU_DEP_1) | instskip(NEXT) | instid1(VALU_DEP_1)
	v_cmp_gt_i32_e64 s13, 0, v3
	v_cndmask_b32_e64 v3, v3, v81, s13
	v_cmp_eq_u32_e64 s13, 0, v81
	s_delay_alu instid0(VALU_DEP_2)
	v_lshlrev_b32_e32 v3, 2, v3
	ds_bpermute_b32 v43, v3, v1
	ds_bpermute_b32 v44, v3, v2
	s_and_saveexec_b32 s17, vcc_lo
	s_cbranch_execz .LBB938_115
; %bb.93:
	v_mov_b32_e32 v4, 0
	ds_load_b64 v[1:2], v4 offset:2120
	s_waitcnt lgkmcnt(0)
	v_readfirstlane_b32 s18, v2
	s_and_saveexec_b32 s14, s13
	s_cbranch_execz .LBB938_95
; %bb.94:
	s_add_i32 s20, s15, 32
	s_mov_b32 s21, 0
	v_mov_b32_e32 v3, 1
	s_lshl_b64 s[26:27], s[20:21], 4
	s_mov_b32 s36, s21
	s_add_u32 s26, s24, s26
	s_addc_u32 s27, s25, s27
	s_and_b32 s37, s18, 0xff000000
	s_and_b32 s43, s18, 0xff0000
	s_mov_b32 s42, s21
	v_dual_mov_b32 v5, s26 :: v_dual_mov_b32 v6, s27
	s_or_b64 s[36:37], s[42:43], s[36:37]
	s_and_b32 s43, s18, 0xff00
	s_delay_alu instid0(SALU_CYCLE_1) | instskip(SKIP_1) | instid1(SALU_CYCLE_1)
	s_or_b64 s[36:37], s[36:37], s[42:43]
	s_and_b32 s43, s18, 0xff
	s_or_b64 s[20:21], s[36:37], s[42:43]
	s_delay_alu instid0(SALU_CYCLE_1)
	v_mov_b32_e32 v2, s21
	;;#ASMSTART
	global_store_dwordx4 v[5:6], v[1:4] off	
s_waitcnt vmcnt(0)
	;;#ASMEND
.LBB938_95:
	s_or_b32 exec_lo, exec_lo, s14
	v_xad_u32 v39, v81, -1, s15
	s_mov_b32 s19, 0
	s_mov_b32 s14, exec_lo
	s_delay_alu instid0(VALU_DEP_1) | instskip(NEXT) | instid1(VALU_DEP_1)
	v_add_nc_u32_e32 v3, 32, v39
	v_lshlrev_b64 v[2:3], 4, v[3:4]
	s_delay_alu instid0(VALU_DEP_1) | instskip(NEXT) | instid1(VALU_DEP_2)
	v_add_co_u32 v2, vcc_lo, s24, v2
	v_add_co_ci_u32_e32 v3, vcc_lo, s25, v3, vcc_lo
	;;#ASMSTART
	global_load_dwordx4 v[5:8], v[2:3] off glc	
s_waitcnt vmcnt(0)
	;;#ASMEND
	v_and_b32_e32 v4, 0xff, v6
	v_and_b32_e32 v8, 0xff00, v6
	;; [unrolled: 1-line block ×3, first 2 shown]
	v_or3_b32 v5, v5, 0, 0
	v_and_b32_e32 v6, 0xff000000, v6
	s_delay_alu instid0(VALU_DEP_4) | instskip(SKIP_1) | instid1(VALU_DEP_4)
	v_or3_b32 v4, 0, v4, v8
	v_and_b32_e32 v8, 0xff, v7
	v_or3_b32 v5, v5, 0, 0
	s_delay_alu instid0(VALU_DEP_3) | instskip(NEXT) | instid1(VALU_DEP_3)
	v_or3_b32 v6, v4, v40, v6
	v_cmpx_eq_u16_e32 0, v8
	s_cbranch_execz .LBB938_101
; %bb.96:
	s_mov_b32 s20, 1
	.p2align	6
.LBB938_97:                             ; =>This Loop Header: Depth=1
                                        ;     Child Loop BB938_98 Depth 2
	s_delay_alu instid0(SALU_CYCLE_1)
	s_max_u32 s21, s20, 1
.LBB938_98:                             ;   Parent Loop BB938_97 Depth=1
                                        ; =>  This Inner Loop Header: Depth=2
	s_delay_alu instid0(SALU_CYCLE_1)
	s_add_i32 s21, s21, -1
	s_sleep 1
	s_cmp_eq_u32 s21, 0
	s_cbranch_scc0 .LBB938_98
; %bb.99:                               ;   in Loop: Header=BB938_97 Depth=1
	;;#ASMSTART
	global_load_dwordx4 v[5:8], v[2:3] off glc	
s_waitcnt vmcnt(0)
	;;#ASMEND
	v_and_b32_e32 v4, 0xff, v7
	s_cmp_lt_u32 s20, 32
	s_cselect_b32 s21, -1, 0
	s_delay_alu instid0(VALU_DEP_1) | instskip(SKIP_3) | instid1(SALU_CYCLE_1)
	v_cmp_ne_u16_e32 vcc_lo, 0, v4
	s_cmp_lg_u32 s21, 0
	s_addc_u32 s20, s20, 0
	s_or_b32 s19, vcc_lo, s19
	s_and_not1_b32 exec_lo, exec_lo, s19
	s_cbranch_execnz .LBB938_97
; %bb.100:
	s_or_b32 exec_lo, exec_lo, s19
.LBB938_101:
	s_delay_alu instid0(SALU_CYCLE_1)
	s_or_b32 exec_lo, exec_lo, s14
	v_cmp_ne_u32_e32 vcc_lo, 31, v81
	v_and_b32_e32 v3, 0xff, v7
	v_lshlrev_b32_e64 v45, v81, -1
	v_add_nc_u32_e32 v47, 2, v81
	v_add_nc_u32_e32 v49, 4, v81
	v_add_co_ci_u32_e32 v2, vcc_lo, 0, v81, vcc_lo
	v_cmp_eq_u16_e32 vcc_lo, 2, v3
	v_add_nc_u32_e32 v51, 8, v81
	v_add_nc_u32_e32 v53, 16, v81
	v_and_or_b32 v8, vcc_lo, v45, 0x80000000
	v_cmp_gt_u32_e32 vcc_lo, 30, v81
	s_delay_alu instid0(VALU_DEP_2) | instskip(SKIP_2) | instid1(VALU_DEP_3)
	v_ctz_i32_b32_e32 v8, v8
	v_cndmask_b32_e64 v40, 0, 1, vcc_lo
	v_cmp_eq_u32_e32 vcc_lo, 0, v5
	v_cmp_lt_u32_e64 s14, v81, v8
	s_delay_alu instid0(VALU_DEP_3) | instskip(NEXT) | instid1(VALU_DEP_2)
	v_lshlrev_b32_e32 v40, 1, v40
	s_and_b32 vcc_lo, s14, vcc_lo
	v_lshlrev_b32_e32 v2, 2, v2
	s_delay_alu instid0(VALU_DEP_2)
	v_add_lshl_u32 v46, v40, v81, 2
	ds_bpermute_b32 v3, v2, v6
	s_waitcnt lgkmcnt(0)
	v_cndmask_b32_e32 v3, 0, v3, vcc_lo
	ds_bpermute_b32 v4, v2, v5
	v_cmp_gt_u32_e32 vcc_lo, 28, v81
	v_add_nc_u32_e32 v3, v3, v6
	ds_bpermute_b32 v6, v46, v3
	s_waitcnt lgkmcnt(1)
	v_cndmask_b32_e64 v4, 0, v4, s14
	s_delay_alu instid0(VALU_DEP_1) | instskip(SKIP_1) | instid1(VALU_DEP_2)
	v_add_nc_u32_e32 v4, v4, v5
	v_cndmask_b32_e64 v5, 0, 1, vcc_lo
	v_cmp_eq_u32_e32 vcc_lo, 0, v4
	ds_bpermute_b32 v40, v46, v4
	s_waitcnt lgkmcnt(1)
	v_dual_cndmask_b32 v6, 0, v6 :: v_dual_lshlrev_b32 v5, 2, v5
	v_cmp_gt_u32_e32 vcc_lo, v47, v8
	s_delay_alu instid0(VALU_DEP_2) | instskip(NEXT) | instid1(VALU_DEP_3)
	v_add_lshl_u32 v48, v5, v81, 2
	v_cndmask_b32_e64 v6, v6, 0, vcc_lo
	s_delay_alu instid0(VALU_DEP_1) | instskip(SKIP_4) | instid1(VALU_DEP_2)
	v_add_nc_u32_e32 v3, v6, v3
	ds_bpermute_b32 v5, v48, v3
	s_waitcnt lgkmcnt(1)
	v_cndmask_b32_e64 v6, v40, 0, vcc_lo
	v_cmp_gt_u32_e32 vcc_lo, 24, v81
	v_add_nc_u32_e32 v4, v4, v6
	v_cndmask_b32_e64 v40, 0, 1, vcc_lo
	ds_bpermute_b32 v6, v48, v4
	v_cmp_eq_u32_e32 vcc_lo, 0, v4
	v_lshlrev_b32_e32 v40, 3, v40
	s_delay_alu instid0(VALU_DEP_1) | instskip(SKIP_3) | instid1(VALU_DEP_2)
	v_add_lshl_u32 v50, v40, v81, 2
	s_waitcnt lgkmcnt(1)
	v_cndmask_b32_e32 v5, 0, v5, vcc_lo
	v_cmp_gt_u32_e32 vcc_lo, v49, v8
	v_cndmask_b32_e64 v5, v5, 0, vcc_lo
	s_delay_alu instid0(VALU_DEP_1)
	v_add_nc_u32_e32 v3, v3, v5
	s_waitcnt lgkmcnt(0)
	v_cndmask_b32_e64 v6, v6, 0, vcc_lo
	v_cmp_gt_u32_e32 vcc_lo, 16, v81
	ds_bpermute_b32 v5, v50, v3
	v_add_nc_u32_e32 v4, v4, v6
	v_cndmask_b32_e64 v40, 0, 1, vcc_lo
	ds_bpermute_b32 v6, v50, v4
	v_cmp_eq_u32_e32 vcc_lo, 0, v4
	v_lshlrev_b32_e32 v40, 4, v40
	s_delay_alu instid0(VALU_DEP_1) | instskip(SKIP_3) | instid1(VALU_DEP_2)
	v_add_lshl_u32 v52, v40, v81, 2
	s_waitcnt lgkmcnt(1)
	v_dual_mov_b32 v40, 0 :: v_dual_cndmask_b32 v5, 0, v5
	v_cmp_gt_u32_e32 vcc_lo, v51, v8
	v_cndmask_b32_e64 v5, v5, 0, vcc_lo
	s_delay_alu instid0(VALU_DEP_1)
	v_add_nc_u32_e32 v3, v3, v5
	s_waitcnt lgkmcnt(0)
	v_cndmask_b32_e64 v5, v6, 0, vcc_lo
	ds_bpermute_b32 v6, v52, v3
	v_add_nc_u32_e32 v4, v4, v5
	ds_bpermute_b32 v5, v52, v4
	v_cmp_eq_u32_e32 vcc_lo, 0, v4
	s_waitcnt lgkmcnt(1)
	v_cndmask_b32_e32 v6, 0, v6, vcc_lo
	v_cmp_gt_u32_e32 vcc_lo, v53, v8
	s_delay_alu instid0(VALU_DEP_2) | instskip(SKIP_2) | instid1(VALU_DEP_2)
	v_cndmask_b32_e64 v6, v6, 0, vcc_lo
	s_waitcnt lgkmcnt(0)
	v_cndmask_b32_e64 v5, v5, 0, vcc_lo
	v_add_nc_u32_e32 v6, v6, v3
	s_delay_alu instid0(VALU_DEP_2)
	v_add_nc_u32_e32 v5, v5, v4
	s_branch .LBB938_103
.LBB938_102:                            ;   in Loop: Header=BB938_103 Depth=1
	s_or_b32 exec_lo, exec_lo, s14
	v_and_b32_e32 v8, 0xff, v7
	ds_bpermute_b32 v41, v2, v5
	v_subrev_nc_u32_e32 v39, 32, v39
	v_cmp_eq_u16_e32 vcc_lo, 2, v8
	ds_bpermute_b32 v8, v2, v6
	v_and_or_b32 v42, vcc_lo, v45, 0x80000000
	v_cmp_eq_u32_e32 vcc_lo, 0, v5
	s_delay_alu instid0(VALU_DEP_2) | instskip(NEXT) | instid1(VALU_DEP_1)
	v_ctz_i32_b32_e32 v42, v42
	v_cmp_lt_u32_e64 s14, v81, v42
	s_delay_alu instid0(VALU_DEP_1) | instskip(SKIP_4) | instid1(VALU_DEP_2)
	s_and_b32 vcc_lo, s14, vcc_lo
	s_waitcnt lgkmcnt(1)
	v_cndmask_b32_e64 v41, 0, v41, s14
	s_waitcnt lgkmcnt(0)
	v_cndmask_b32_e32 v8, 0, v8, vcc_lo
	v_add_nc_u32_e32 v5, v41, v5
	s_delay_alu instid0(VALU_DEP_2)
	v_add_nc_u32_e32 v6, v8, v6
	ds_bpermute_b32 v41, v46, v5
	ds_bpermute_b32 v8, v46, v6
	v_cmp_eq_u32_e32 vcc_lo, 0, v5
	s_waitcnt lgkmcnt(0)
	v_cndmask_b32_e32 v8, 0, v8, vcc_lo
	v_cmp_gt_u32_e32 vcc_lo, v47, v42
	v_cndmask_b32_e64 v41, v41, 0, vcc_lo
	s_delay_alu instid0(VALU_DEP_1) | instskip(NEXT) | instid1(VALU_DEP_4)
	v_add_nc_u32_e32 v5, v5, v41
	v_cndmask_b32_e64 v8, v8, 0, vcc_lo
	ds_bpermute_b32 v41, v48, v5
	v_add_nc_u32_e32 v6, v8, v6
	v_cmp_eq_u32_e32 vcc_lo, 0, v5
	ds_bpermute_b32 v8, v48, v6
	s_waitcnt lgkmcnt(0)
	v_cndmask_b32_e32 v8, 0, v8, vcc_lo
	v_cmp_gt_u32_e32 vcc_lo, v49, v42
	v_cndmask_b32_e64 v41, v41, 0, vcc_lo
	s_delay_alu instid0(VALU_DEP_1) | instskip(NEXT) | instid1(VALU_DEP_4)
	v_add_nc_u32_e32 v5, v5, v41
	v_cndmask_b32_e64 v8, v8, 0, vcc_lo
	ds_bpermute_b32 v41, v50, v5
	v_add_nc_u32_e32 v6, v6, v8
	v_cmp_eq_u32_e32 vcc_lo, 0, v5
	ds_bpermute_b32 v8, v50, v6
	s_waitcnt lgkmcnt(0)
	v_cndmask_b32_e32 v8, 0, v8, vcc_lo
	v_cmp_gt_u32_e32 vcc_lo, v51, v42
	v_cndmask_b32_e64 v41, v41, 0, vcc_lo
	s_delay_alu instid0(VALU_DEP_1) | instskip(NEXT) | instid1(VALU_DEP_4)
	v_add_nc_u32_e32 v5, v5, v41
	v_cndmask_b32_e64 v8, v8, 0, vcc_lo
	ds_bpermute_b32 v41, v52, v5
	v_add_nc_u32_e32 v6, v6, v8
	v_cmp_eq_u32_e32 vcc_lo, 0, v5
	ds_bpermute_b32 v8, v52, v6
	s_waitcnt lgkmcnt(0)
	v_cndmask_b32_e32 v8, 0, v8, vcc_lo
	v_cmp_gt_u32_e32 vcc_lo, v53, v42
	s_delay_alu instid0(VALU_DEP_2) | instskip(NEXT) | instid1(VALU_DEP_1)
	v_cndmask_b32_e64 v8, v8, 0, vcc_lo
	v_add_nc_u32_e32 v6, v8, v6
	v_cndmask_b32_e64 v8, v41, 0, vcc_lo
	v_cmp_eq_u32_e32 vcc_lo, 0, v3
	s_delay_alu instid0(VALU_DEP_2) | instskip(NEXT) | instid1(VALU_DEP_4)
	v_add3_u32 v5, v5, v3, v8
	v_cndmask_b32_e32 v6, 0, v6, vcc_lo
	s_delay_alu instid0(VALU_DEP_1)
	v_add_nc_u32_e32 v6, v6, v4
.LBB938_103:                            ; =>This Loop Header: Depth=1
                                        ;     Child Loop BB938_106 Depth 2
                                        ;       Child Loop BB938_107 Depth 3
	s_delay_alu instid0(VALU_DEP_1) | instskip(NEXT) | instid1(VALU_DEP_1)
	v_dual_mov_b32 v4, v6 :: v_dual_and_b32 v3, 0xff, v7
	v_cmp_ne_u16_e32 vcc_lo, 2, v3
	v_cndmask_b32_e64 v3, 0, 1, vcc_lo
	;;#ASMSTART
	;;#ASMEND
	s_delay_alu instid0(VALU_DEP_1)
	v_cmp_ne_u32_e32 vcc_lo, 0, v3
	v_mov_b32_e32 v3, v5
	s_cmp_lg_u32 vcc_lo, exec_lo
	s_cbranch_scc1 .LBB938_110
; %bb.104:                              ;   in Loop: Header=BB938_103 Depth=1
	v_lshlrev_b64 v[5:6], 4, v[39:40]
	s_mov_b32 s14, exec_lo
	s_delay_alu instid0(VALU_DEP_1) | instskip(NEXT) | instid1(VALU_DEP_2)
	v_add_co_u32 v41, vcc_lo, s24, v5
	v_add_co_ci_u32_e32 v42, vcc_lo, s25, v6, vcc_lo
	;;#ASMSTART
	global_load_dwordx4 v[5:8], v[41:42] off glc	
s_waitcnt vmcnt(0)
	;;#ASMEND
	v_and_b32_e32 v8, 0xff, v6
	v_and_b32_e32 v54, 0xff00, v6
	;; [unrolled: 1-line block ×3, first 2 shown]
	v_or3_b32 v5, v5, 0, 0
	v_and_b32_e32 v6, 0xff000000, v6
	s_delay_alu instid0(VALU_DEP_4) | instskip(SKIP_1) | instid1(VALU_DEP_4)
	v_or3_b32 v8, 0, v8, v54
	v_and_b32_e32 v54, 0xff, v7
	v_or3_b32 v5, v5, 0, 0
	s_delay_alu instid0(VALU_DEP_3) | instskip(NEXT) | instid1(VALU_DEP_3)
	v_or3_b32 v6, v8, v55, v6
	v_cmpx_eq_u16_e32 0, v54
	s_cbranch_execz .LBB938_102
; %bb.105:                              ;   in Loop: Header=BB938_103 Depth=1
	s_mov_b32 s20, 1
	s_mov_b32 s19, 0
	.p2align	6
.LBB938_106:                            ;   Parent Loop BB938_103 Depth=1
                                        ; =>  This Loop Header: Depth=2
                                        ;       Child Loop BB938_107 Depth 3
	s_max_u32 s21, s20, 1
.LBB938_107:                            ;   Parent Loop BB938_103 Depth=1
                                        ;     Parent Loop BB938_106 Depth=2
                                        ; =>    This Inner Loop Header: Depth=3
	s_delay_alu instid0(SALU_CYCLE_1)
	s_add_i32 s21, s21, -1
	s_sleep 1
	s_cmp_eq_u32 s21, 0
	s_cbranch_scc0 .LBB938_107
; %bb.108:                              ;   in Loop: Header=BB938_106 Depth=2
	;;#ASMSTART
	global_load_dwordx4 v[5:8], v[41:42] off glc	
s_waitcnt vmcnt(0)
	;;#ASMEND
	v_and_b32_e32 v8, 0xff, v7
	s_cmp_lt_u32 s20, 32
	s_cselect_b32 s21, -1, 0
	s_delay_alu instid0(SALU_CYCLE_1) | instskip(NEXT) | instid1(VALU_DEP_1)
	s_cmp_lg_u32 s21, 0
	v_cmp_ne_u16_e32 vcc_lo, 0, v8
	s_addc_u32 s20, s20, 0
	s_or_b32 s19, vcc_lo, s19
	s_delay_alu instid0(SALU_CYCLE_1)
	s_and_not1_b32 exec_lo, exec_lo, s19
	s_cbranch_execnz .LBB938_106
; %bb.109:                              ;   in Loop: Header=BB938_103 Depth=1
	s_or_b32 exec_lo, exec_lo, s19
	s_branch .LBB938_102
.LBB938_110:                            ;   in Loop: Header=BB938_103 Depth=1
                                        ; implicit-def: $vgpr6
                                        ; implicit-def: $vgpr5
                                        ; implicit-def: $vgpr7
	s_cbranch_execz .LBB938_103
; %bb.111:
	s_and_saveexec_b32 s14, s13
	s_cbranch_execz .LBB938_113
; %bb.112:
	v_cmp_eq_u32_e32 vcc_lo, 0, v1
	s_mov_b32 s21, 0
	s_add_i32 s20, s15, 32
	v_add_nc_u32_e32 v5, v3, v1
	s_lshl_b64 s[20:21], s[20:21], 4
	v_cndmask_b32_e32 v2, 0, v4, vcc_lo
	s_add_u32 s20, s24, s20
	s_addc_u32 s21, s25, s21
	v_mov_b32_e32 v8, 0
	s_delay_alu instid0(VALU_DEP_2) | instskip(NEXT) | instid1(VALU_DEP_1)
	v_add_nc_u32_e32 v2, s18, v2
	v_and_b32_e32 v6, 0xff000000, v2
	v_and_b32_e32 v7, 0xff0000, v2
	s_delay_alu instid0(VALU_DEP_1) | instskip(SKIP_3) | instid1(VALU_DEP_1)
	v_or_b32_e32 v6, v7, v6
	v_mov_b32_e32 v7, 2
	v_and_b32_e32 v39, 0xff00, v2
	v_and_b32_e32 v2, 0xff, v2
	v_or3_b32 v6, v6, v39, v2
	v_mov_b32_e32 v2, s18
	v_dual_mov_b32 v40, s21 :: v_dual_mov_b32 v39, s20
	;;#ASMSTART
	global_store_dwordx4 v[39:40], v[5:8] off	
s_waitcnt vmcnt(0)
	;;#ASMEND
	ds_store_b128 v8, v[1:4] offset:2048
.LBB938_113:
	s_or_b32 exec_lo, exec_lo, s14
	v_cmp_eq_u32_e32 vcc_lo, 0, v0
	s_and_b32 exec_lo, exec_lo, vcc_lo
	s_cbranch_execz .LBB938_115
; %bb.114:
	v_mov_b32_e32 v1, 0
	ds_store_b64 v1, v[3:4] offset:2120
.LBB938_115:
	s_or_b32 exec_lo, exec_lo, s17
	s_waitcnt lgkmcnt(1)
	v_cndmask_b32_e64 v4, v43, v37, s13
	s_waitcnt lgkmcnt(0)
	s_barrier
	buffer_gl0_inv
	v_cndmask_b32_e64 v5, v44, v38, s13
	v_cmp_eq_u32_e32 vcc_lo, 0, v4
	v_mov_b32_e32 v3, 0
	v_cmp_eq_u32_e64 s13, 0, v79
	ds_load_b64 v[1:2], v3 offset:2120
	s_waitcnt lgkmcnt(0)
	s_barrier
	buffer_gl0_inv
	v_cndmask_b32_e32 v6, 0, v2, vcc_lo
	v_cmp_eq_u32_e32 vcc_lo, 0, v0
	s_delay_alu instid0(VALU_DEP_2) | instskip(NEXT) | instid1(VALU_DEP_1)
	v_add_nc_u32_e32 v5, v6, v5
	v_cndmask_b32_e32 v54, v5, v2, vcc_lo
	s_delay_alu instid0(VALU_DEP_1) | instskip(NEXT) | instid1(VALU_DEP_1)
	v_cndmask_b32_e64 v2, 0, v54, s13
	v_add_nc_u32_e32 v60, v2, v35
	s_delay_alu instid0(VALU_DEP_1) | instskip(NEXT) | instid1(VALU_DEP_1)
	v_cndmask_b32_e64 v2, 0, v60, s12
	v_add_nc_u32_e32 v56, v2, v36
	;; [unrolled: 3-line block ×6, first 2 shown]
	v_cndmask_b32_e64 v2, v4, 0, vcc_lo
	s_delay_alu instid0(VALU_DEP_2) | instskip(NEXT) | instid1(VALU_DEP_2)
	v_cndmask_b32_e64 v4, 0, v40, s7
	v_add_nc_u32_e32 v53, v1, v2
	s_delay_alu instid0(VALU_DEP_2) | instskip(NEXT) | instid1(VALU_DEP_2)
	v_add_nc_u32_e32 v44, v4, v29
	v_add_nc_u32_e32 v59, v53, v79
	s_delay_alu instid0(VALU_DEP_2) | instskip(NEXT) | instid1(VALU_DEP_2)
	v_cndmask_b32_e64 v1, 0, v44, s6
	v_add_nc_u32_e32 v55, v59, v77
	s_delay_alu instid0(VALU_DEP_2) | instskip(NEXT) | instid1(VALU_DEP_2)
	v_add_nc_u32_e32 v48, v1, v30
	v_add_nc_u32_e32 v51, v55, v76
	;; [unrolled: 6-line block ×4, first 2 shown]
	s_delay_alu instid0(VALU_DEP_2) | instskip(NEXT) | instid1(VALU_DEP_2)
	v_cndmask_b32_e64 v1, 0, v8, s3
	v_add_nc_u32_e32 v47, v43, v70
	s_delay_alu instid0(VALU_DEP_2) | instskip(SKIP_3) | instid1(VALU_DEP_2)
	v_add_nc_u32_e32 v38, v1, v25
	ds_load_b128 v[1:4], v3 offset:2048
	v_add_nc_u32_e32 v5, v47, v69
	v_cndmask_b32_e64 v37, 0, v38, s2
	v_add_nc_u32_e32 v7, v5, v68
	s_delay_alu instid0(VALU_DEP_2) | instskip(NEXT) | instid1(VALU_DEP_2)
	v_add_nc_u32_e32 v62, v37, v26
	v_add_nc_u32_e32 v37, v7, v67
	s_delay_alu instid0(VALU_DEP_2) | instskip(NEXT) | instid1(VALU_DEP_2)
	v_cndmask_b32_e64 v49, 0, v62, s1
	v_add_nc_u32_e32 v61, v37, v66
	s_delay_alu instid0(VALU_DEP_2) | instskip(SKIP_2) | instid1(VALU_DEP_3)
	v_add_nc_u32_e32 v58, v49, v23
	s_waitcnt lgkmcnt(0)
	v_cmp_eq_u32_e32 vcc_lo, 0, v1
	v_add_nc_u32_e32 v57, v61, v65
	s_delay_alu instid0(VALU_DEP_3) | instskip(SKIP_1) | instid1(VALU_DEP_3)
	v_cndmask_b32_e64 v50, 0, v58, s0
	v_cndmask_b32_e32 v4, 0, v4, vcc_lo
	v_add_nc_u32_e32 v49, v57, v64
	s_delay_alu instid0(VALU_DEP_3) | instskip(NEXT) | instid1(VALU_DEP_3)
	v_add_nc_u32_e32 v50, v50, v24
	v_add_nc_u32_e32 v80, v4, v2
	s_branch .LBB938_128
.LBB938_116:
                                        ; implicit-def: $vgpr1
                                        ; implicit-def: $vgpr80
                                        ; implicit-def: $vgpr53_vgpr54
                                        ; implicit-def: $vgpr59_vgpr60
                                        ; implicit-def: $vgpr55_vgpr56
                                        ; implicit-def: $vgpr51_vgpr52
                                        ; implicit-def: $vgpr45_vgpr46
                                        ; implicit-def: $vgpr41_vgpr42
                                        ; implicit-def: $vgpr39_vgpr40
                                        ; implicit-def: $vgpr43_vgpr44
                                        ; implicit-def: $vgpr47_vgpr48
                                        ; implicit-def: $vgpr5_vgpr6
                                        ; implicit-def: $vgpr7_vgpr8
                                        ; implicit-def: $vgpr37_vgpr38
                                        ; implicit-def: $vgpr61_vgpr62
                                        ; implicit-def: $vgpr57_vgpr58
                                        ; implicit-def: $vgpr49_vgpr50
	s_cbranch_execz .LBB938_128
; %bb.117:
	s_and_b32 s0, s16, exec_lo
	v_mov_b32_e32 v49, v35
	s_cselect_b32 s1, 0, s35
	s_cselect_b32 s0, 0, s34
	s_delay_alu instid0(SALU_CYCLE_1)
	s_cmp_eq_u64 s[0:1], 0
	s_cbranch_scc1 .LBB938_119
; %bb.118:
	v_mov_b32_e32 v1, 0
	global_load_b32 v49, v1, s[0:1]
.LBB938_119:
	v_cmp_eq_u32_e64 s6, 0, v77
	v_cmp_eq_u32_e64 s7, 0, v76
	;; [unrolled: 1-line block ×5, first 2 shown]
	v_cndmask_b32_e64 v1, 0, v35, s6
	v_cmp_eq_u32_e64 s11, 0, v72
	v_cmp_eq_u32_e64 s5, 0, v70
	;; [unrolled: 1-line block ×4, first 2 shown]
	v_add_nc_u32_e32 v1, v1, v36
	v_cmp_eq_u32_e64 s2, 0, v67
	v_add3_u32 v2, v84, v73, v72
	v_cmp_eq_u32_e64 s1, 0, v66
	v_cmp_eq_u32_e32 vcc_lo, 0, v65
	v_cndmask_b32_e64 v1, 0, v1, s7
	v_cmp_eq_u32_e64 s0, 0, v64
	v_add3_u32 v2, v2, v70, v69
	v_cmp_eq_u32_e64 s12, 0, v71
	v_and_b32_e32 v4, 15, v81
	v_add_nc_u32_e32 v1, v1, v33
	s_delay_alu instid0(VALU_DEP_4) | instskip(NEXT) | instid1(VALU_DEP_3)
	v_add3_u32 v2, v2, v68, v67
	v_cmp_lt_u32_e64 s13, 1, v4
	s_delay_alu instid0(VALU_DEP_3) | instskip(NEXT) | instid1(VALU_DEP_3)
	v_cndmask_b32_e64 v1, 0, v1, s8
	v_add3_u32 v2, v2, v66, v65
	s_delay_alu instid0(VALU_DEP_2) | instskip(NEXT) | instid1(VALU_DEP_2)
	v_add_nc_u32_e32 v1, v1, v34
	v_add3_u32 v2, v2, v64, v71
	s_delay_alu instid0(VALU_DEP_2) | instskip(NEXT) | instid1(VALU_DEP_2)
	v_cndmask_b32_e64 v1, 0, v1, s9
	v_mov_b32_dpp v5, v2 row_shr:1 row_mask:0xf bank_mask:0xf
	s_delay_alu instid0(VALU_DEP_2) | instskip(NEXT) | instid1(VALU_DEP_1)
	v_add_nc_u32_e32 v1, v1, v31
	v_cndmask_b32_e64 v1, 0, v1, s10
	s_delay_alu instid0(VALU_DEP_1) | instskip(NEXT) | instid1(VALU_DEP_1)
	v_add_nc_u32_e32 v1, v1, v32
	v_cndmask_b32_e64 v1, 0, v1, s11
	s_delay_alu instid0(VALU_DEP_1) | instskip(NEXT) | instid1(VALU_DEP_1)
	v_add_nc_u32_e32 v1, v1, v29
	v_cndmask_b32_e64 v1, 0, v1, s5
	s_delay_alu instid0(VALU_DEP_1) | instskip(NEXT) | instid1(VALU_DEP_1)
	v_add_nc_u32_e32 v1, v1, v30
	v_cndmask_b32_e64 v1, 0, v1, s4
	s_delay_alu instid0(VALU_DEP_1) | instskip(NEXT) | instid1(VALU_DEP_1)
	v_add_nc_u32_e32 v1, v1, v27
	v_cndmask_b32_e64 v1, 0, v1, s3
	s_delay_alu instid0(VALU_DEP_1) | instskip(NEXT) | instid1(VALU_DEP_1)
	v_add_nc_u32_e32 v1, v1, v28
	v_cndmask_b32_e64 v1, 0, v1, s2
	s_delay_alu instid0(VALU_DEP_1) | instskip(NEXT) | instid1(VALU_DEP_1)
	v_add_nc_u32_e32 v1, v1, v25
	v_cndmask_b32_e64 v1, 0, v1, s1
	s_delay_alu instid0(VALU_DEP_1) | instskip(NEXT) | instid1(VALU_DEP_1)
	v_add_nc_u32_e32 v1, v1, v26
	v_cndmask_b32_e32 v1, 0, v1, vcc_lo
	s_delay_alu instid0(VALU_DEP_1) | instskip(NEXT) | instid1(VALU_DEP_1)
	v_add_nc_u32_e32 v1, v1, v23
	v_cndmask_b32_e64 v1, 0, v1, s0
	s_delay_alu instid0(VALU_DEP_1) | instskip(NEXT) | instid1(VALU_DEP_1)
	v_add_nc_u32_e32 v1, v1, v24
	v_cndmask_b32_e64 v1, 0, v1, s12
	v_cmp_eq_u32_e64 s12, 0, v2
	s_delay_alu instid0(VALU_DEP_2) | instskip(NEXT) | instid1(VALU_DEP_1)
	v_add_nc_u32_e32 v1, v1, v78
	v_mov_b32_dpp v3, v1 row_shr:1 row_mask:0xf bank_mask:0xf
	s_delay_alu instid0(VALU_DEP_1) | instskip(SKIP_1) | instid1(VALU_DEP_1)
	v_cndmask_b32_e64 v3, 0, v3, s12
	v_cmp_eq_u32_e64 s12, 0, v4
	v_cndmask_b32_e64 v5, v5, 0, s12
	s_delay_alu instid0(VALU_DEP_3) | instskip(NEXT) | instid1(VALU_DEP_2)
	v_cndmask_b32_e64 v3, v3, 0, s12
	v_add_nc_u32_e32 v2, v5, v2
	s_delay_alu instid0(VALU_DEP_2) | instskip(NEXT) | instid1(VALU_DEP_2)
	v_add_nc_u32_e32 v1, v3, v1
	v_mov_b32_dpp v3, v2 row_shr:2 row_mask:0xf bank_mask:0xf
	v_cmp_eq_u32_e64 s12, 0, v2
	s_delay_alu instid0(VALU_DEP_3) | instskip(NEXT) | instid1(VALU_DEP_3)
	v_mov_b32_dpp v5, v1 row_shr:2 row_mask:0xf bank_mask:0xf
	v_cndmask_b32_e64 v3, 0, v3, s13
	s_delay_alu instid0(VALU_DEP_3) | instskip(SKIP_1) | instid1(VALU_DEP_3)
	s_and_b32 s12, s13, s12
	v_cmp_lt_u32_e64 s13, 3, v4
	v_cndmask_b32_e64 v5, 0, v5, s12
	s_delay_alu instid0(VALU_DEP_3) | instskip(NEXT) | instid1(VALU_DEP_2)
	v_add_nc_u32_e32 v2, v2, v3
	v_add_nc_u32_e32 v1, v5, v1
	s_delay_alu instid0(VALU_DEP_2) | instskip(SKIP_1) | instid1(VALU_DEP_3)
	v_mov_b32_dpp v3, v2 row_shr:4 row_mask:0xf bank_mask:0xf
	v_cmp_eq_u32_e64 s12, 0, v2
	v_mov_b32_dpp v5, v1 row_shr:4 row_mask:0xf bank_mask:0xf
	s_delay_alu instid0(VALU_DEP_3) | instskip(NEXT) | instid1(VALU_DEP_3)
	v_cndmask_b32_e64 v3, 0, v3, s13
	s_and_b32 s12, s13, s12
	v_cmp_lt_u32_e64 s13, 7, v4
	s_delay_alu instid0(VALU_DEP_3) | instskip(NEXT) | instid1(VALU_DEP_3)
	v_cndmask_b32_e64 v5, 0, v5, s12
	v_add_nc_u32_e32 v2, v3, v2
	s_delay_alu instid0(VALU_DEP_2) | instskip(SKIP_1) | instid1(VALU_DEP_3)
	v_add_nc_u32_e32 v1, v1, v5
	v_bfe_i32 v5, v81, 4, 1
	v_cmp_eq_u32_e64 s12, 0, v2
	v_mov_b32_dpp v3, v2 row_shr:8 row_mask:0xf bank_mask:0xf
	s_delay_alu instid0(VALU_DEP_4) | instskip(NEXT) | instid1(VALU_DEP_3)
	v_mov_b32_dpp v4, v1 row_shr:8 row_mask:0xf bank_mask:0xf
	s_and_b32 s12, s13, s12
	s_delay_alu instid0(VALU_DEP_2) | instskip(SKIP_1) | instid1(VALU_DEP_2)
	v_cndmask_b32_e64 v3, 0, v3, s13
	s_mov_b32 s13, exec_lo
	v_cndmask_b32_e64 v4, 0, v4, s12
	s_delay_alu instid0(VALU_DEP_1) | instskip(NEXT) | instid1(VALU_DEP_3)
	v_add_nc_u32_e32 v4, v4, v1
	v_add_nc_u32_e32 v1, v3, v2
	ds_swizzle_b32 v2, v4 offset:swizzle(BROADCAST,32,15)
	ds_swizzle_b32 v3, v1 offset:swizzle(BROADCAST,32,15)
	v_cmp_eq_u32_e64 s12, 0, v1
	s_waitcnt lgkmcnt(1)
	s_delay_alu instid0(VALU_DEP_1) | instskip(SKIP_2) | instid1(VALU_DEP_2)
	v_cndmask_b32_e64 v2, 0, v2, s12
	s_waitcnt lgkmcnt(0)
	v_and_b32_e32 v3, v5, v3
	v_and_b32_e32 v2, v5, v2
	s_delay_alu instid0(VALU_DEP_2) | instskip(NEXT) | instid1(VALU_DEP_2)
	v_add_nc_u32_e32 v1, v3, v1
	v_add_nc_u32_e32 v2, v2, v4
	v_cmpx_eq_u32_e64 v83, v0
	s_cbranch_execz .LBB938_121
; %bb.120:
	v_lshlrev_b32_e32 v3, 3, v82
	ds_store_b64 v3, v[1:2] offset:2064
.LBB938_121:
	s_or_b32 exec_lo, exec_lo, s13
	s_delay_alu instid0(SALU_CYCLE_1)
	s_mov_b32 s14, exec_lo
	s_waitcnt vmcnt(0) lgkmcnt(0)
	s_barrier
	buffer_gl0_inv
	v_cmpx_gt_u32_e32 8, v0
	s_cbranch_execz .LBB938_123
; %bb.122:
	v_lshlrev_b32_e32 v5, 3, v0
	v_and_b32_e32 v7, 7, v81
	ds_load_b64 v[3:4], v5 offset:2064
	v_cmp_lt_u32_e64 s13, 1, v7
	s_waitcnt lgkmcnt(0)
	v_mov_b32_dpp v6, v4 row_shr:1 row_mask:0xf bank_mask:0xf
	v_cmp_eq_u32_e64 s12, 0, v3
	v_mov_b32_dpp v8, v3 row_shr:1 row_mask:0xf bank_mask:0xf
	s_delay_alu instid0(VALU_DEP_2) | instskip(SKIP_1) | instid1(VALU_DEP_1)
	v_cndmask_b32_e64 v6, 0, v6, s12
	v_cmp_eq_u32_e64 s12, 0, v7
	v_cndmask_b32_e64 v8, v8, 0, s12
	s_delay_alu instid0(VALU_DEP_3) | instskip(NEXT) | instid1(VALU_DEP_2)
	v_cndmask_b32_e64 v6, v6, 0, s12
	v_add_nc_u32_e32 v3, v8, v3
	s_delay_alu instid0(VALU_DEP_2) | instskip(NEXT) | instid1(VALU_DEP_2)
	v_add_nc_u32_e32 v4, v6, v4
	v_mov_b32_dpp v6, v3 row_shr:2 row_mask:0xf bank_mask:0xf
	v_cmp_eq_u32_e64 s12, 0, v3
	s_delay_alu instid0(VALU_DEP_3) | instskip(NEXT) | instid1(VALU_DEP_3)
	v_mov_b32_dpp v8, v4 row_shr:2 row_mask:0xf bank_mask:0xf
	v_cndmask_b32_e64 v6, 0, v6, s13
	s_delay_alu instid0(VALU_DEP_3) | instskip(SKIP_1) | instid1(VALU_DEP_3)
	s_and_b32 s12, s13, s12
	v_cmp_lt_u32_e64 s13, 3, v7
	v_cndmask_b32_e64 v8, 0, v8, s12
	s_delay_alu instid0(VALU_DEP_3) | instskip(NEXT) | instid1(VALU_DEP_2)
	v_add_nc_u32_e32 v3, v6, v3
	v_add_nc_u32_e32 v4, v8, v4
	s_delay_alu instid0(VALU_DEP_2) | instskip(SKIP_1) | instid1(VALU_DEP_3)
	v_cmp_eq_u32_e64 s12, 0, v3
	v_mov_b32_dpp v6, v3 row_shr:4 row_mask:0xf bank_mask:0xf
	v_mov_b32_dpp v7, v4 row_shr:4 row_mask:0xf bank_mask:0xf
	s_delay_alu instid0(VALU_DEP_3) | instskip(NEXT) | instid1(VALU_DEP_2)
	s_and_b32 s12, s13, s12
	v_cndmask_b32_e64 v6, 0, v6, s13
	s_delay_alu instid0(VALU_DEP_2) | instskip(NEXT) | instid1(VALU_DEP_2)
	v_cndmask_b32_e64 v7, 0, v7, s12
	v_add_nc_u32_e32 v3, v6, v3
	s_delay_alu instid0(VALU_DEP_2)
	v_add_nc_u32_e32 v4, v7, v4
	ds_store_b64 v5, v[3:4] offset:2064
.LBB938_123:
	s_or_b32 exec_lo, exec_lo, s14
	v_dual_mov_b32 v7, 0 :: v_dual_mov_b32 v4, v49
	v_mov_b32_e32 v3, 0
	s_mov_b32 s13, exec_lo
	s_waitcnt lgkmcnt(0)
	s_barrier
	buffer_gl0_inv
	v_cmpx_lt_u32_e32 31, v0
	s_cbranch_execz .LBB938_125
; %bb.124:
	v_lshlrev_b32_e32 v3, 3, v82
	ds_load_b64 v[3:4], v3 offset:2056
	s_waitcnt lgkmcnt(0)
	v_cmp_eq_u32_e64 s12, 0, v3
	s_delay_alu instid0(VALU_DEP_1) | instskip(NEXT) | instid1(VALU_DEP_1)
	v_cndmask_b32_e64 v5, 0, v49, s12
	v_add_nc_u32_e32 v4, v5, v4
.LBB938_125:
	s_or_b32 exec_lo, exec_lo, s13
	v_add_nc_u32_e32 v5, -1, v81
	v_cmp_eq_u32_e64 s13, 0, v79
	s_delay_alu instid0(VALU_DEP_2) | instskip(NEXT) | instid1(VALU_DEP_1)
	v_cmp_gt_i32_e64 s12, 0, v5
	v_cndmask_b32_e64 v5, v5, v81, s12
	v_cmp_eq_u32_e64 s12, 0, v1
	v_add_nc_u32_e32 v1, v3, v1
	s_delay_alu instid0(VALU_DEP_3) | instskip(NEXT) | instid1(VALU_DEP_3)
	v_lshlrev_b32_e32 v5, 2, v5
	v_cndmask_b32_e64 v6, 0, v4, s12
	v_cmp_eq_u32_e64 s12, 0, v81
	ds_bpermute_b32 v1, v5, v1
	v_add_nc_u32_e32 v2, v6, v2
	ds_bpermute_b32 v2, v5, v2
	s_waitcnt lgkmcnt(1)
	v_cndmask_b32_e64 v1, v1, v3, s12
	s_waitcnt lgkmcnt(0)
	v_cndmask_b32_e64 v2, v2, v4, s12
	v_cmp_eq_u32_e64 s12, 0, v0
	s_delay_alu instid0(VALU_DEP_1) | instskip(SKIP_1) | instid1(VALU_DEP_2)
	v_cndmask_b32_e64 v54, v2, v49, s12
	v_cndmask_b32_e64 v53, v1, 0, s12
	;; [unrolled: 1-line block ×3, first 2 shown]
	s_delay_alu instid0(VALU_DEP_1) | instskip(NEXT) | instid1(VALU_DEP_1)
	v_add_nc_u32_e32 v60, v2, v35
	v_cndmask_b32_e64 v2, 0, v60, s6
	s_delay_alu instid0(VALU_DEP_1) | instskip(NEXT) | instid1(VALU_DEP_1)
	v_add_nc_u32_e32 v56, v2, v36
	v_cndmask_b32_e64 v2, 0, v56, s7
	;; [unrolled: 3-line block ×10, first 2 shown]
	s_delay_alu instid0(VALU_DEP_1) | instskip(SKIP_2) | instid1(VALU_DEP_1)
	v_add_nc_u32_e32 v38, v1, v25
	ds_load_b64 v[1:2], v7 offset:2120
	v_cndmask_b32_e64 v3, 0, v38, s1
	v_add_nc_u32_e32 v62, v3, v26
	s_delay_alu instid0(VALU_DEP_1) | instskip(NEXT) | instid1(VALU_DEP_1)
	v_cndmask_b32_e32 v3, 0, v62, vcc_lo
	v_add_nc_u32_e32 v58, v3, v23
	s_waitcnt lgkmcnt(0)
	v_cmp_eq_u32_e32 vcc_lo, 0, v1
	v_add_nc_u32_e32 v59, v53, v79
	s_delay_alu instid0(VALU_DEP_3) | instskip(SKIP_1) | instid1(VALU_DEP_3)
	v_cndmask_b32_e64 v3, 0, v58, s0
	v_cndmask_b32_e32 v4, 0, v49, vcc_lo
	v_add_nc_u32_e32 v55, v59, v77
	s_delay_alu instid0(VALU_DEP_3) | instskip(NEXT) | instid1(VALU_DEP_3)
	v_add_nc_u32_e32 v50, v3, v24
	v_add_nc_u32_e32 v80, v4, v2
	s_delay_alu instid0(VALU_DEP_3) | instskip(NEXT) | instid1(VALU_DEP_1)
	v_add_nc_u32_e32 v51, v55, v76
	v_add_nc_u32_e32 v45, v51, v75
	s_delay_alu instid0(VALU_DEP_1) | instskip(NEXT) | instid1(VALU_DEP_1)
	v_add_nc_u32_e32 v41, v45, v74
	v_add_nc_u32_e32 v39, v41, v73
	s_delay_alu instid0(VALU_DEP_1) | instskip(NEXT) | instid1(VALU_DEP_1)
	;; [unrolled: 3-line block ×5, first 2 shown]
	v_add_nc_u32_e32 v57, v61, v65
	v_add_nc_u32_e32 v49, v57, v64
	s_and_saveexec_b32 s0, s12
	s_cbranch_execz .LBB938_127
; %bb.126:
	v_and_b32_e32 v2, 0xff000000, v80
	v_dual_mov_b32 v4, 0 :: v_dual_and_b32 v3, 0xff0000, v80
	s_add_u32 s2, s24, 0x200
	v_and_b32_e32 v23, 0xff00, v80
	s_addc_u32 s3, s25, 0
	v_and_b32_e32 v24, 0xff, v80
	v_or_b32_e32 v2, v3, v2
	v_mov_b32_e32 v3, 2
	s_delay_alu instid0(VALU_DEP_2)
	v_or3_b32 v2, v2, v23, v24
	v_dual_mov_b32 v24, s3 :: v_dual_mov_b32 v23, s2
	;;#ASMSTART
	global_store_dwordx4 v[23:24], v[1:4] off	
s_waitcnt vmcnt(0)
	;;#ASMEND
.LBB938_127:
	s_or_b32 exec_lo, exec_lo, s0
	v_mov_b32_e32 v3, 0
.LBB938_128:
	v_mov_b32_e32 v23, 0
	s_and_b32 s0, s16, exec_lo
	v_mov_b32_e32 v24, 0
	s_cselect_b32 s1, 0, s39
	s_cselect_b32 s0, 0, s38
	s_delay_alu instid0(SALU_CYCLE_1)
	s_cmp_eq_u64 s[0:1], 0
	s_barrier
	buffer_gl0_inv
	s_cbranch_scc1 .LBB938_130
; %bb.129:
	v_mov_b32_e32 v2, 0
	global_load_b64 v[23:24], v2, s[0:1]
.LBB938_130:
	v_cmp_gt_u32_e32 vcc_lo, 0x100, v1
	s_cbranch_vccnz .LBB938_137
; %bb.131:
	v_cmp_eq_u32_e32 vcc_lo, 0, v77
	v_cmp_eq_u32_e64 s0, 0, v65
	v_cmp_eq_u32_e64 s1, 0, v64
	v_cmp_ne_u32_e64 s11, 0, v79
	v_cmp_ne_u32_e64 s2, 0, v66
	v_cndmask_b32_e64 v2, 1, 2, vcc_lo
	v_cmp_eq_u32_e32 vcc_lo, 0, v79
	v_cndmask_b32_e64 v26, 1, 2, s1
	v_cmp_ne_u32_e64 s1, 0, v65
	v_cmp_ne_u32_e64 s3, 0, v67
	;; [unrolled: 1-line block ×3, first 2 shown]
	v_cndmask_b32_e64 v4, 1, 2, vcc_lo
	v_cmp_eq_u32_e32 vcc_lo, 0, v76
	v_cmp_ne_u32_e64 s5, 0, v69
	v_cmp_ne_u32_e64 s6, 0, v70
	;; [unrolled: 1-line block ×3, first 2 shown]
	v_and_b32_e32 v2, v2, v4
	v_cndmask_b32_e64 v25, 1, 2, vcc_lo
	v_cmp_eq_u32_e32 vcc_lo, 0, v75
	v_cmp_ne_u32_e64 s8, 0, v73
	v_cmp_ne_u32_e64 s9, 0, v74
	;; [unrolled: 1-line block ×3, first 2 shown]
	v_and_b32_e32 v2, v2, v25
	v_cndmask_b32_e64 v4, 1, 2, vcc_lo
	v_cmp_eq_u32_e32 vcc_lo, 0, v74
	v_cmp_ne_u32_e64 s12, 0, v76
	v_cmp_ne_u32_e64 s13, 0, v77
	s_mov_b32 s16, 0
	v_and_b32_e32 v2, v2, v4
	v_cndmask_b32_e64 v25, 1, 2, vcc_lo
	v_cmp_eq_u32_e32 vcc_lo, 0, v73
	s_mov_b32 s15, exec_lo
	s_delay_alu instid0(VALU_DEP_2) | instskip(SKIP_2) | instid1(VALU_DEP_2)
	v_and_b32_e32 v2, v2, v25
	v_cndmask_b32_e64 v4, 1, 2, vcc_lo
	v_cmp_eq_u32_e32 vcc_lo, 0, v72
	v_and_b32_e32 v2, v2, v4
	v_cndmask_b32_e64 v25, 1, 2, vcc_lo
	v_cmp_eq_u32_e32 vcc_lo, 0, v70
	s_delay_alu instid0(VALU_DEP_2) | instskip(SKIP_2) | instid1(VALU_DEP_2)
	v_and_b32_e32 v2, v2, v25
	v_cndmask_b32_e64 v4, 1, 2, vcc_lo
	v_cmp_eq_u32_e32 vcc_lo, 0, v69
	v_and_b32_e32 v2, v2, v4
	v_cndmask_b32_e64 v25, 1, 2, vcc_lo
	v_cmp_eq_u32_e32 vcc_lo, 0, v68
	;; [unrolled: 7-line block ×3, first 2 shown]
	s_delay_alu instid0(VALU_DEP_2) | instskip(SKIP_4) | instid1(VALU_DEP_4)
	v_and_b32_e32 v2, v2, v25
	v_cndmask_b32_e64 v4, 1, 2, vcc_lo
	v_cndmask_b32_e64 v25, 1, 2, s0
	v_cmp_eq_u32_e64 s0, 0, v71
	v_cmp_ne_u32_e32 vcc_lo, 0, v71
	v_and_b32_e32 v2, v2, v4
	s_delay_alu instid0(VALU_DEP_3) | instskip(SKIP_1) | instid1(VALU_DEP_3)
	v_cndmask_b32_e64 v4, 1, 2, s0
	v_cmp_ne_u32_e64 s0, 0, v64
	v_and_b32_e32 v2, v2, v25
	s_delay_alu instid0(VALU_DEP_1) | instskip(NEXT) | instid1(VALU_DEP_1)
	v_and_b32_e32 v2, v2, v26
	v_and_b32_e32 v2, v2, v4
	s_delay_alu instid0(VALU_DEP_1)
	v_cmpx_gt_i16_e32 2, v2
	s_cbranch_execz .LBB938_136
; %bb.132:
	v_cmp_ne_u16_e64 s14, 1, v2
	s_delay_alu instid0(VALU_DEP_1) | instskip(NEXT) | instid1(SALU_CYCLE_1)
	s_and_saveexec_b32 s17, s14
	s_xor_b32 s14, exec_lo, s17
	s_cbranch_execnz .LBB938_159
; %bb.133:
	s_and_not1_saveexec_b32 s0, s14
	s_cbranch_execnz .LBB938_175
.LBB938_134:
	s_or_b32 exec_lo, exec_lo, s0
	s_delay_alu instid0(SALU_CYCLE_1)
	s_and_b32 exec_lo, exec_lo, s16
	s_cbranch_execz .LBB938_136
.LBB938_135:
	v_sub_nc_u32_e32 v2, v49, v3
	s_delay_alu instid0(VALU_DEP_1)
	v_lshlrev_b32_e32 v2, 2, v2
	ds_store_b32 v2, v63
.LBB938_136:
	s_or_b32 exec_lo, exec_lo, s15
	s_waitcnt vmcnt(0) lgkmcnt(0)
	s_barrier
	buffer_gl0_inv
.LBB938_137:
	s_cmpk_lg_i32 s33, 0xf00
	v_cmp_eq_u32_e32 vcc_lo, 0, v0
	s_cselect_b32 s0, -1, 0
	v_cndmask_b32_e64 v13, 0, 1, s40
	s_and_b32 s0, s23, s0
	v_mad_i32_i24 v10, v0, -15, s33
	v_cndmask_b32_e64 v9, 0, 1, s0
	s_mul_hi_u32 s0, s33, 0x88888889
	s_and_b32 s1, vcc_lo, s40
	s_lshr_b32 s0, s0, 3
	v_sub_nc_u32_e32 v2, v1, v13
	v_cndmask_b32_e64 v11, v79, 0, s1
	v_cmp_eq_u32_e32 vcc_lo, s0, v0
	v_cmp_ne_u32_e64 s0, 0, v10
	s_mov_b32 s16, -1
	s_waitcnt vmcnt(0)
	s_barrier
	s_and_b32 vcc_lo, s23, vcc_lo
	v_add_nc_u32_e32 v2, v2, v9
	v_cndmask_b32_e64 v9, 1, v11, s0
	v_cmp_ne_u32_e64 s0, 1, v10
	buffer_gl0_inv
	v_cndmask_b32_e32 v18, v11, v9, vcc_lo
	v_cndmask_b32_e64 v12, 1, v77, s0
	v_cmp_ne_u32_e64 s0, 2, v10
	s_delay_alu instid0(VALU_DEP_2) | instskip(NEXT) | instid1(VALU_DEP_2)
	v_cndmask_b32_e32 v19, v77, v12, vcc_lo
	v_cndmask_b32_e64 v14, 1, v76, s0
	v_cmp_ne_u32_e64 s0, 14, v10
	s_delay_alu instid0(VALU_DEP_3) | instskip(NEXT) | instid1(VALU_DEP_2)
	v_cmp_ne_u32_e64 s13, 0, v19
	v_cndmask_b32_e64 v15, 1, v71, s0
	v_cmp_ne_u32_e64 s0, 3, v10
	s_delay_alu instid0(VALU_DEP_2) | instskip(NEXT) | instid1(VALU_DEP_2)
	v_dual_mov_b32 v4, 0 :: v_dual_cndmask_b32 v15, v71, v15
	v_cndmask_b32_e64 v16, 1, v75, s0
	v_cmp_ne_u32_e64 s0, 4, v10
	s_delay_alu instid0(VALU_DEP_1) | instskip(SKIP_1) | instid1(VALU_DEP_2)
	v_cndmask_b32_e64 v17, 1, v74, s0
	v_cmp_ne_u32_e64 s0, 5, v10
	v_dual_cndmask_b32 v14, v76, v14 :: v_dual_cndmask_b32 v17, v74, v17
	s_delay_alu instid0(VALU_DEP_2) | instskip(SKIP_2) | instid1(VALU_DEP_4)
	v_cndmask_b32_e64 v9, 1, v73, s0
	v_cmp_ne_u32_e64 s0, 6, v10
	v_cndmask_b32_e32 v16, v75, v16, vcc_lo
	v_cmp_ne_u32_e64 s12, 0, v14
	v_cmp_ne_u32_e64 s10, 0, v17
	v_cndmask_b32_e32 v27, v73, v9, vcc_lo
	v_cndmask_b32_e64 v11, 1, v72, s0
	v_cmp_eq_u32_e64 s0, 0, v18
	v_cmp_ne_u32_e64 s11, 0, v16
	s_delay_alu instid0(VALU_DEP_4) | instskip(NEXT) | instid1(VALU_DEP_3)
	v_cmp_ne_u32_e64 s9, 0, v27
	v_cndmask_b32_e64 v12, 1, 2, s0
	v_cmp_eq_u32_e64 s0, 0, v19
	s_delay_alu instid0(VALU_DEP_1) | instskip(SKIP_1) | instid1(VALU_DEP_1)
	v_cndmask_b32_e64 v20, 1, 2, s0
	v_cmp_ne_u32_e64 s0, 7, v10
	v_cndmask_b32_e64 v21, 1, v70, s0
	v_cmp_eq_u32_e64 s0, 0, v14
	s_delay_alu instid0(VALU_DEP_2) | instskip(NEXT) | instid1(VALU_DEP_2)
	v_dual_cndmask_b32 v21, v70, v21 :: v_dual_and_b32 v12, v20, v12
	v_cndmask_b32_e64 v20, 1, 2, s0
	v_cmp_ne_u32_e64 s0, 8, v10
	s_delay_alu instid0(VALU_DEP_3) | instskip(NEXT) | instid1(VALU_DEP_3)
	v_cmp_ne_u32_e64 s7, 0, v21
	v_and_b32_e32 v12, v12, v20
	s_delay_alu instid0(VALU_DEP_3) | instskip(SKIP_1) | instid1(VALU_DEP_2)
	v_cndmask_b32_e64 v22, 1, v69, s0
	v_cmp_ne_u32_e64 s0, 9, v10
	v_cndmask_b32_e32 v22, v69, v22, vcc_lo
	s_delay_alu instid0(VALU_DEP_2) | instskip(SKIP_1) | instid1(VALU_DEP_2)
	v_cndmask_b32_e64 v25, 1, v68, s0
	v_cmp_eq_u32_e64 s0, 0, v16
	v_cndmask_b32_e32 v25, v68, v25, vcc_lo
	s_delay_alu instid0(VALU_DEP_2) | instskip(SKIP_1) | instid1(VALU_DEP_3)
	v_cndmask_b32_e64 v20, 1, 2, s0
	v_cmp_ne_u32_e64 s0, 10, v10
	v_cmp_ne_u32_e64 s5, 0, v25
	s_delay_alu instid0(VALU_DEP_3) | instskip(NEXT) | instid1(VALU_DEP_3)
	v_and_b32_e32 v9, v12, v20
	v_cndmask_b32_e64 v26, 1, v67, s0
	v_cmp_eq_u32_e64 s0, 0, v17
	v_cmp_ne_u32_e64 s14, 0, v18
	s_delay_alu instid0(VALU_DEP_3) | instskip(NEXT) | instid1(VALU_DEP_3)
	v_cndmask_b32_e32 v26, v67, v26, vcc_lo
	v_cndmask_b32_e64 v12, 1, 2, s0
	v_cmp_ne_u32_e64 s0, 11, v10
	s_delay_alu instid0(VALU_DEP_3) | instskip(NEXT) | instid1(VALU_DEP_3)
	v_cmp_ne_u32_e64 s4, 0, v26
	v_and_b32_e32 v9, v9, v12
	s_delay_alu instid0(VALU_DEP_3) | instskip(SKIP_1) | instid1(VALU_DEP_2)
	v_cndmask_b32_e64 v20, 1, v66, s0
	v_cmp_ne_u32_e64 s0, 13, v10
	v_cndmask_b32_e32 v20, v66, v20, vcc_lo
	s_delay_alu instid0(VALU_DEP_2) | instskip(SKIP_1) | instid1(VALU_DEP_3)
	v_cndmask_b32_e64 v28, 1, v64, s0
	v_cmp_eq_u32_e64 s0, 0, v27
	v_cmp_ne_u32_e64 s3, 0, v20
	s_delay_alu instid0(VALU_DEP_2) | instskip(SKIP_1) | instid1(VALU_DEP_2)
	v_cndmask_b32_e64 v12, 1, 2, s0
	v_cmp_ne_u32_e64 s0, 12, v10
	v_and_b32_e32 v9, v9, v12
	s_delay_alu instid0(VALU_DEP_2) | instskip(NEXT) | instid1(VALU_DEP_1)
	v_cndmask_b32_e64 v10, 1, v65, s0
	v_dual_cndmask_b32 v29, v72, v11 :: v_dual_cndmask_b32 v30, v65, v10
	s_delay_alu instid0(VALU_DEP_1) | instskip(SKIP_1) | instid1(VALU_DEP_3)
	v_cmp_eq_u32_e64 s0, 0, v29
	v_cmp_ne_u32_e64 s8, 0, v29
	v_cmp_ne_u32_e64 s2, 0, v30
	s_delay_alu instid0(VALU_DEP_3) | instskip(SKIP_3) | instid1(VALU_DEP_4)
	v_cndmask_b32_e64 v11, 1, 2, s0
	v_cmp_eq_u32_e64 s0, 0, v21
	v_cndmask_b32_e32 v28, v64, v28, vcc_lo
	v_cmp_eq_u32_e32 vcc_lo, 0, v22
	v_and_b32_e32 v31, v9, v11
	v_lshlrev_b64 v[9:10], 2, v[23:24]
	v_cndmask_b32_e64 v32, 1, 2, s0
	v_lshlrev_b64 v[11:12], 2, v[3:4]
	v_cmp_ne_u32_e64 s1, 0, v28
	v_cmp_ne_u32_e64 s0, 0, v15
	s_delay_alu instid0(VALU_DEP_4) | instskip(SKIP_4) | instid1(VALU_DEP_4)
	v_and_b32_e32 v4, v31, v32
	v_cndmask_b32_e64 v31, 1, 2, vcc_lo
	v_add_co_u32 v9, vcc_lo, s28, v9
	v_add_co_ci_u32_e32 v10, vcc_lo, s29, v10, vcc_lo
	v_cmp_eq_u32_e32 vcc_lo, 0, v25
	v_and_b32_e32 v4, v4, v31
	v_cndmask_b32_e64 v31, 1, 2, vcc_lo
	v_add_co_u32 v9, vcc_lo, v9, v11
	v_add_co_ci_u32_e32 v10, vcc_lo, v10, v12, vcc_lo
	v_lshlrev_b32_e32 v11, 2, v13
	v_cmp_eq_u32_e32 vcc_lo, 0, v26
	v_and_b32_e32 v4, v4, v31
	v_cmp_ne_u32_e64 s6, 0, v22
	v_cndmask_b32_e64 v12, 1, 2, vcc_lo
	v_add_co_u32 v11, vcc_lo, v11, v9
	v_add_co_ci_u32_e32 v31, vcc_lo, 0, v10, vcc_lo
	v_cmp_eq_u32_e32 vcc_lo, 0, v20
	s_delay_alu instid0(VALU_DEP_4)
	v_and_b32_e32 v32, v4, v12
	v_add_nc_u32_e32 v4, v3, v13
	v_cndmask_b32_e64 v33, 1, 2, vcc_lo
	v_add_co_u32 v11, vcc_lo, v11, -4
	v_add_co_ci_u32_e32 v12, vcc_lo, -1, v31, vcc_lo
	v_cmp_eq_u32_e32 vcc_lo, 0, v30
	s_delay_alu instid0(VALU_DEP_4) | instskip(SKIP_2) | instid1(VALU_DEP_2)
	v_and_b32_e32 v13, v32, v33
	v_cndmask_b32_e64 v31, 1, 2, vcc_lo
	v_cmp_eq_u32_e32 vcc_lo, 0, v28
	v_and_b32_e32 v13, v13, v31
	v_cndmask_b32_e64 v14, 1, 2, vcc_lo
	v_cmp_eq_u32_e32 vcc_lo, 0, v15
	s_delay_alu instid0(VALU_DEP_2) | instskip(SKIP_2) | instid1(VALU_DEP_2)
	v_and_b32_e32 v13, v13, v14
	v_cndmask_b32_e64 v14, 1, 2, vcc_lo
	v_cmp_gt_u32_e32 vcc_lo, 0x100, v2
	v_and_b32_e32 v13, v13, v14
	s_delay_alu instid0(VALU_DEP_1)
	v_cmp_gt_i16_e64 s15, 2, v13
	s_cbranch_vccnz .LBB938_141
; %bb.138:
	s_and_b32 vcc_lo, exec_lo, s16
	s_cbranch_vccnz .LBB938_147
.LBB938_139:
	v_cmp_eq_u32_e32 vcc_lo, 0xff, v0
	s_and_b32 s0, vcc_lo, s23
	s_delay_alu instid0(SALU_CYCLE_1)
	s_and_saveexec_b32 s1, s0
	s_cbranch_execnz .LBB938_156
.LBB938_140:
	s_nop 0
	s_sendmsg sendmsg(MSG_DEALLOC_VGPRS)
	s_endpgm
.LBB938_141:
	s_delay_alu instid0(VALU_DEP_1)
	s_and_saveexec_b32 s16, s15
	s_cbranch_execz .LBB938_146
; %bb.142:
	s_mov_b32 s17, 0
	s_mov_b32 s15, exec_lo
	v_cmpx_ne_u16_e32 1, v13
	s_xor_b32 s15, exec_lo, s15
	s_cbranch_execnz .LBB938_176
; %bb.143:
	s_and_not1_saveexec_b32 s15, s15
	s_cbranch_execnz .LBB938_192
.LBB938_144:
	s_or_b32 exec_lo, exec_lo, s15
	s_delay_alu instid0(SALU_CYCLE_1)
	s_and_b32 exec_lo, exec_lo, s17
	s_cbranch_execz .LBB938_146
.LBB938_145:
	v_sub_nc_u32_e32 v14, v49, v4
	v_mov_b32_e32 v15, 0
	s_delay_alu instid0(VALU_DEP_1) | instskip(NEXT) | instid1(VALU_DEP_1)
	v_lshlrev_b64 v[14:15], 2, v[14:15]
	v_add_co_u32 v14, vcc_lo, v11, v14
	s_delay_alu instid0(VALU_DEP_2)
	v_add_co_ci_u32_e32 v15, vcc_lo, v12, v15, vcc_lo
	global_store_b32 v[14:15], v50, off
.LBB938_146:
	s_or_b32 exec_lo, exec_lo, s16
	s_branch .LBB938_139
.LBB938_147:
	s_mov_b32 s15, exec_lo
	v_cmpx_gt_i16_e32 2, v13
	s_cbranch_execz .LBB938_152
; %bb.148:
	s_mov_b32 s17, 0
	s_mov_b32 s16, exec_lo
	v_cmpx_ne_u16_e32 1, v13
	s_xor_b32 s16, exec_lo, s16
	s_cbranch_execnz .LBB938_193
; %bb.149:
	s_and_not1_saveexec_b32 s0, s16
	s_cbranch_execnz .LBB938_209
.LBB938_150:
	s_or_b32 exec_lo, exec_lo, s0
	s_delay_alu instid0(SALU_CYCLE_1)
	s_and_b32 exec_lo, exec_lo, s17
	s_cbranch_execz .LBB938_152
.LBB938_151:
	v_sub_nc_u32_e32 v4, v49, v4
	s_delay_alu instid0(VALU_DEP_1)
	v_lshlrev_b32_e32 v4, 2, v4
	ds_store_b32 v4, v50
.LBB938_152:
	s_or_b32 exec_lo, exec_lo, s15
	s_delay_alu instid0(SALU_CYCLE_1)
	s_mov_b32 s1, exec_lo
	s_waitcnt lgkmcnt(0)
	s_waitcnt_vscnt null, 0x0
	s_barrier
	buffer_gl0_inv
	v_cmpx_lt_u32_e64 v0, v2
	s_cbranch_execz .LBB938_155
; %bb.153:
	v_dual_mov_b32 v5, 0 :: v_dual_lshlrev_b32 v6, 2, v0
	v_mov_b32_e32 v4, v0
	s_mov_b32 s2, 0
	.p2align	6
.LBB938_154:                            ; =>This Inner Loop Header: Depth=1
	ds_load_b32 v13, v6
	v_lshlrev_b64 v[7:8], 2, v[4:5]
	v_add_nc_u32_e32 v4, 0x100, v4
	v_add_nc_u32_e32 v6, 0x400, v6
	s_delay_alu instid0(VALU_DEP_2) | instskip(NEXT) | instid1(VALU_DEP_4)
	v_cmp_ge_u32_e32 vcc_lo, v4, v2
	v_add_co_u32 v7, s0, v11, v7
	s_delay_alu instid0(VALU_DEP_1)
	v_add_co_ci_u32_e64 v8, s0, v12, v8, s0
	s_or_b32 s2, vcc_lo, s2
	s_waitcnt lgkmcnt(0)
	global_store_b32 v[7:8], v13, off
	s_and_not1_b32 exec_lo, exec_lo, s2
	s_cbranch_execnz .LBB938_154
.LBB938_155:
	s_or_b32 exec_lo, exec_lo, s1
	v_cmp_eq_u32_e32 vcc_lo, 0xff, v0
	s_and_b32 s0, vcc_lo, s23
	s_delay_alu instid0(SALU_CYCLE_1)
	s_and_saveexec_b32 s1, s0
	s_cbranch_execz .LBB938_140
.LBB938_156:
	v_add_co_u32 v0, s0, v1, v3
	s_delay_alu instid0(VALU_DEP_1) | instskip(SKIP_1) | instid1(VALU_DEP_3)
	v_add_co_ci_u32_e64 v4, null, 0, 0, s0
	v_mov_b32_e32 v2, 0
	v_add_co_u32 v3, vcc_lo, v0, v23
	s_delay_alu instid0(VALU_DEP_3)
	v_add_co_ci_u32_e32 v4, vcc_lo, v4, v24, vcc_lo
	s_cmpk_lg_i32 s33, 0xf00
	global_store_b64 v2, v[3:4], s[30:31]
	s_cbranch_scc1 .LBB938_140
; %bb.157:
	v_lshlrev_b64 v[0:1], 2, v[1:2]
	s_delay_alu instid0(VALU_DEP_1) | instskip(NEXT) | instid1(VALU_DEP_2)
	v_add_co_u32 v0, vcc_lo, v9, v0
	v_add_co_ci_u32_e32 v1, vcc_lo, v10, v1, vcc_lo
	global_store_b32 v[0:1], v80, off offset:-4
	s_nop 0
	s_sendmsg sendmsg(MSG_DEALLOC_VGPRS)
	s_endpgm
.LBB938_158:
	s_or_b32 exec_lo, exec_lo, s2
	v_mov_b32_e32 v79, s1
	s_and_saveexec_b32 s1, s41
	s_cbranch_execnz .LBB938_84
	s_branch .LBB938_85
.LBB938_159:
	s_and_saveexec_b32 s16, s11
	s_cbranch_execnz .LBB938_210
; %bb.160:
	s_or_b32 exec_lo, exec_lo, s16
	s_and_saveexec_b32 s11, s13
	s_cbranch_execnz .LBB938_211
.LBB938_161:
	s_or_b32 exec_lo, exec_lo, s11
	s_and_saveexec_b32 s11, s12
	s_cbranch_execnz .LBB938_212
.LBB938_162:
	s_or_b32 exec_lo, exec_lo, s11
	s_and_saveexec_b32 s11, s10
	s_cbranch_execnz .LBB938_213
.LBB938_163:
	s_or_b32 exec_lo, exec_lo, s11
	s_and_saveexec_b32 s10, s9
	s_cbranch_execnz .LBB938_214
.LBB938_164:
	s_or_b32 exec_lo, exec_lo, s10
	s_and_saveexec_b32 s9, s8
	s_cbranch_execnz .LBB938_215
.LBB938_165:
	s_or_b32 exec_lo, exec_lo, s9
	s_and_saveexec_b32 s8, s7
	s_cbranch_execnz .LBB938_216
.LBB938_166:
	s_or_b32 exec_lo, exec_lo, s8
	s_and_saveexec_b32 s7, s6
	s_cbranch_execnz .LBB938_217
.LBB938_167:
	s_or_b32 exec_lo, exec_lo, s7
	s_and_saveexec_b32 s6, s5
	s_cbranch_execnz .LBB938_218
.LBB938_168:
	s_or_b32 exec_lo, exec_lo, s6
	s_and_saveexec_b32 s5, s4
	s_cbranch_execnz .LBB938_219
.LBB938_169:
	s_or_b32 exec_lo, exec_lo, s5
	s_and_saveexec_b32 s4, s3
	s_cbranch_execnz .LBB938_220
.LBB938_170:
	s_or_b32 exec_lo, exec_lo, s4
	s_and_saveexec_b32 s3, s2
	s_cbranch_execnz .LBB938_221
.LBB938_171:
	s_or_b32 exec_lo, exec_lo, s3
	s_and_saveexec_b32 s2, s1
	s_cbranch_execnz .LBB938_222
.LBB938_172:
	s_or_b32 exec_lo, exec_lo, s2
	s_and_saveexec_b32 s1, s0
	s_cbranch_execz .LBB938_174
.LBB938_173:
	v_sub_nc_u32_e32 v2, v57, v3
	s_delay_alu instid0(VALU_DEP_1)
	v_lshlrev_b32_e32 v2, 2, v2
	ds_store_b32 v2, v10
.LBB938_174:
	s_or_b32 exec_lo, exec_lo, s1
	s_delay_alu instid0(SALU_CYCLE_1)
	s_and_b32 s16, vcc_lo, exec_lo
                                        ; implicit-def: $vgpr21
                                        ; implicit-def: $vgpr19
                                        ; implicit-def: $vgpr17
                                        ; implicit-def: $vgpr15
                                        ; implicit-def: $vgpr13
                                        ; implicit-def: $vgpr11
                                        ; implicit-def: $vgpr9
	s_and_not1_saveexec_b32 s0, s14
	s_cbranch_execz .LBB938_134
.LBB938_175:
	v_sub_nc_u32_e32 v2, v53, v3
	v_sub_nc_u32_e32 v4, v59, v3
	;; [unrolled: 1-line block ×4, first 2 shown]
	s_or_b32 s16, s16, exec_lo
	v_lshlrev_b32_e32 v2, 2, v2
	v_lshlrev_b32_e32 v4, 2, v4
	;; [unrolled: 1-line block ×4, first 2 shown]
	ds_store_b32 v2, v21
	ds_store_b32 v4, v22
	;; [unrolled: 1-line block ×3, first 2 shown]
	v_sub_nc_u32_e32 v2, v45, v3
	v_sub_nc_u32_e32 v4, v41, v3
	;; [unrolled: 1-line block ×3, first 2 shown]
	ds_store_b32 v26, v20
	v_sub_nc_u32_e32 v20, v43, v3
	v_lshlrev_b32_e32 v2, 2, v2
	v_sub_nc_u32_e32 v21, v47, v3
	v_lshlrev_b32_e32 v4, 2, v4
	v_lshlrev_b32_e32 v19, 2, v19
	;; [unrolled: 1-line block ×3, first 2 shown]
	ds_store_b32 v2, v17
	v_lshlrev_b32_e32 v2, 2, v21
	ds_store_b32 v4, v18
	ds_store_b32 v19, v15
	;; [unrolled: 1-line block ×3, first 2 shown]
	v_sub_nc_u32_e32 v4, v5, v3
	v_sub_nc_u32_e32 v16, v57, v3
	;; [unrolled: 1-line block ×3, first 2 shown]
	ds_store_b32 v2, v13
	v_sub_nc_u32_e32 v2, v7, v3
	v_lshlrev_b32_e32 v4, 2, v4
	v_sub_nc_u32_e32 v13, v37, v3
	v_lshlrev_b32_e32 v15, 2, v15
	s_delay_alu instid0(VALU_DEP_4)
	v_lshlrev_b32_e32 v2, 2, v2
	ds_store_b32 v4, v14
	v_lshlrev_b32_e32 v4, 2, v16
	v_lshlrev_b32_e32 v13, 2, v13
	ds_store_b32 v2, v11
	ds_store_b32 v13, v12
	;; [unrolled: 1-line block ×4, first 2 shown]
	s_or_b32 exec_lo, exec_lo, s0
	s_delay_alu instid0(SALU_CYCLE_1)
	s_and_b32 exec_lo, exec_lo, s16
	s_cbranch_execnz .LBB938_135
	s_branch .LBB938_136
.LBB938_176:
	s_and_saveexec_b32 s17, s14
	s_cbranch_execnz .LBB938_223
; %bb.177:
	s_or_b32 exec_lo, exec_lo, s17
	s_and_saveexec_b32 s17, s13
	s_cbranch_execnz .LBB938_224
.LBB938_178:
	s_or_b32 exec_lo, exec_lo, s17
	s_and_saveexec_b32 s17, s12
	s_cbranch_execnz .LBB938_225
.LBB938_179:
	s_or_b32 exec_lo, exec_lo, s17
	s_and_saveexec_b32 s17, s11
	s_cbranch_execnz .LBB938_226
.LBB938_180:
	s_or_b32 exec_lo, exec_lo, s17
	s_and_saveexec_b32 s17, s10
	s_cbranch_execnz .LBB938_227
.LBB938_181:
	s_or_b32 exec_lo, exec_lo, s17
	s_and_saveexec_b32 s17, s9
	s_cbranch_execnz .LBB938_228
.LBB938_182:
	s_or_b32 exec_lo, exec_lo, s17
	s_and_saveexec_b32 s17, s8
	s_cbranch_execnz .LBB938_229
.LBB938_183:
	s_or_b32 exec_lo, exec_lo, s17
	s_and_saveexec_b32 s17, s7
	s_cbranch_execnz .LBB938_230
.LBB938_184:
	s_or_b32 exec_lo, exec_lo, s17
	s_and_saveexec_b32 s17, s6
	s_cbranch_execnz .LBB938_231
.LBB938_185:
	s_or_b32 exec_lo, exec_lo, s17
	s_and_saveexec_b32 s17, s5
	s_cbranch_execnz .LBB938_232
.LBB938_186:
	s_or_b32 exec_lo, exec_lo, s17
	s_and_saveexec_b32 s17, s4
	s_cbranch_execnz .LBB938_233
.LBB938_187:
	s_or_b32 exec_lo, exec_lo, s17
	s_and_saveexec_b32 s17, s3
	s_cbranch_execnz .LBB938_234
.LBB938_188:
	s_or_b32 exec_lo, exec_lo, s17
	s_and_saveexec_b32 s17, s2
	s_cbranch_execnz .LBB938_235
.LBB938_189:
	s_or_b32 exec_lo, exec_lo, s17
	s_and_saveexec_b32 s17, s1
	s_cbranch_execz .LBB938_191
.LBB938_190:
	v_sub_nc_u32_e32 v14, v57, v4
	v_mov_b32_e32 v15, 0
	s_delay_alu instid0(VALU_DEP_1) | instskip(NEXT) | instid1(VALU_DEP_1)
	v_lshlrev_b64 v[14:15], 2, v[14:15]
	v_add_co_u32 v14, vcc_lo, v11, v14
	s_delay_alu instid0(VALU_DEP_2)
	v_add_co_ci_u32_e32 v15, vcc_lo, v12, v15, vcc_lo
	global_store_b32 v[14:15], v58, off
.LBB938_191:
	s_or_b32 exec_lo, exec_lo, s17
	s_delay_alu instid0(SALU_CYCLE_1)
	s_and_b32 s17, s0, exec_lo
	s_and_not1_saveexec_b32 s15, s15
	s_cbranch_execz .LBB938_144
.LBB938_192:
	v_sub_nc_u32_e32 v14, v53, v4
	v_mov_b32_e32 v15, 0
	s_or_b32 s17, s17, exec_lo
	s_delay_alu instid0(VALU_DEP_1) | instskip(SKIP_1) | instid1(VALU_DEP_1)
	v_lshlrev_b64 v[16:17], 2, v[14:15]
	v_sub_nc_u32_e32 v14, v59, v4
	v_lshlrev_b64 v[18:19], 2, v[14:15]
	v_sub_nc_u32_e32 v14, v55, v4
	s_delay_alu instid0(VALU_DEP_4) | instskip(SKIP_1) | instid1(VALU_DEP_3)
	v_add_co_u32 v16, vcc_lo, v11, v16
	v_add_co_ci_u32_e32 v17, vcc_lo, v12, v17, vcc_lo
	v_lshlrev_b64 v[20:21], 2, v[14:15]
	v_sub_nc_u32_e32 v14, v51, v4
	v_add_co_u32 v18, vcc_lo, v11, v18
	v_add_co_ci_u32_e32 v19, vcc_lo, v12, v19, vcc_lo
	global_store_b32 v[16:17], v54, off
	v_lshlrev_b64 v[16:17], 2, v[14:15]
	v_sub_nc_u32_e32 v14, v45, v4
	global_store_b32 v[18:19], v60, off
	v_add_co_u32 v18, vcc_lo, v11, v20
	v_add_co_ci_u32_e32 v19, vcc_lo, v12, v21, vcc_lo
	v_lshlrev_b64 v[20:21], 2, v[14:15]
	v_sub_nc_u32_e32 v14, v41, v4
	v_add_co_u32 v16, vcc_lo, v11, v16
	v_add_co_ci_u32_e32 v17, vcc_lo, v12, v17, vcc_lo
	s_delay_alu instid0(VALU_DEP_3) | instskip(SKIP_3) | instid1(VALU_DEP_3)
	v_lshlrev_b64 v[25:26], 2, v[14:15]
	v_sub_nc_u32_e32 v14, v39, v4
	v_add_co_u32 v20, vcc_lo, v11, v20
	v_add_co_ci_u32_e32 v21, vcc_lo, v12, v21, vcc_lo
	v_lshlrev_b64 v[27:28], 2, v[14:15]
	v_sub_nc_u32_e32 v14, v43, v4
	v_add_co_u32 v25, vcc_lo, v11, v25
	v_add_co_ci_u32_e32 v26, vcc_lo, v12, v26, vcc_lo
	s_clause 0x3
	global_store_b32 v[18:19], v56, off
	global_store_b32 v[16:17], v52, off
	;; [unrolled: 1-line block ×4, first 2 shown]
	v_lshlrev_b64 v[16:17], 2, v[14:15]
	v_sub_nc_u32_e32 v14, v47, v4
	v_add_co_u32 v18, vcc_lo, v11, v27
	v_add_co_ci_u32_e32 v19, vcc_lo, v12, v28, vcc_lo
	s_delay_alu instid0(VALU_DEP_3) | instskip(SKIP_3) | instid1(VALU_DEP_3)
	v_lshlrev_b64 v[20:21], 2, v[14:15]
	v_sub_nc_u32_e32 v14, v5, v4
	v_add_co_u32 v16, vcc_lo, v11, v16
	v_add_co_ci_u32_e32 v17, vcc_lo, v12, v17, vcc_lo
	v_lshlrev_b64 v[25:26], 2, v[14:15]
	v_sub_nc_u32_e32 v14, v7, v4
	v_add_co_u32 v20, vcc_lo, v11, v20
	v_add_co_ci_u32_e32 v21, vcc_lo, v12, v21, vcc_lo
	s_delay_alu instid0(VALU_DEP_3)
	v_lshlrev_b64 v[27:28], 2, v[14:15]
	v_sub_nc_u32_e32 v14, v37, v4
	v_add_co_u32 v25, vcc_lo, v11, v25
	v_add_co_ci_u32_e32 v26, vcc_lo, v12, v26, vcc_lo
	s_clause 0x3
	global_store_b32 v[18:19], v40, off
	global_store_b32 v[16:17], v44, off
	;; [unrolled: 1-line block ×4, first 2 shown]
	v_lshlrev_b64 v[16:17], 2, v[14:15]
	v_sub_nc_u32_e32 v14, v61, v4
	v_add_co_u32 v18, vcc_lo, v11, v27
	v_add_co_ci_u32_e32 v19, vcc_lo, v12, v28, vcc_lo
	s_delay_alu instid0(VALU_DEP_3) | instskip(SKIP_3) | instid1(VALU_DEP_3)
	v_lshlrev_b64 v[20:21], 2, v[14:15]
	v_sub_nc_u32_e32 v14, v57, v4
	v_add_co_u32 v16, vcc_lo, v11, v16
	v_add_co_ci_u32_e32 v17, vcc_lo, v12, v17, vcc_lo
	v_lshlrev_b64 v[14:15], 2, v[14:15]
	v_add_co_u32 v20, vcc_lo, v11, v20
	v_add_co_ci_u32_e32 v21, vcc_lo, v12, v21, vcc_lo
	s_clause 0x2
	global_store_b32 v[18:19], v8, off
	global_store_b32 v[16:17], v38, off
	global_store_b32 v[20:21], v62, off
	v_add_co_u32 v14, vcc_lo, v11, v14
	v_add_co_ci_u32_e32 v15, vcc_lo, v12, v15, vcc_lo
	global_store_b32 v[14:15], v58, off
	s_or_b32 exec_lo, exec_lo, s15
	s_delay_alu instid0(SALU_CYCLE_1)
	s_and_b32 exec_lo, exec_lo, s17
	s_cbranch_execnz .LBB938_145
	s_branch .LBB938_146
.LBB938_193:
	s_and_saveexec_b32 s17, s14
	s_cbranch_execnz .LBB938_236
; %bb.194:
	s_or_b32 exec_lo, exec_lo, s17
	s_and_saveexec_b32 s14, s13
	s_cbranch_execnz .LBB938_237
.LBB938_195:
	s_or_b32 exec_lo, exec_lo, s14
	s_and_saveexec_b32 s13, s12
	s_cbranch_execnz .LBB938_238
.LBB938_196:
	s_or_b32 exec_lo, exec_lo, s13
	s_and_saveexec_b32 s12, s11
	s_cbranch_execnz .LBB938_239
.LBB938_197:
	s_or_b32 exec_lo, exec_lo, s12
	s_and_saveexec_b32 s11, s10
	s_cbranch_execnz .LBB938_240
.LBB938_198:
	s_or_b32 exec_lo, exec_lo, s11
	s_and_saveexec_b32 s10, s9
	s_cbranch_execnz .LBB938_241
.LBB938_199:
	s_or_b32 exec_lo, exec_lo, s10
	s_and_saveexec_b32 s9, s8
	s_cbranch_execnz .LBB938_242
.LBB938_200:
	s_or_b32 exec_lo, exec_lo, s9
	s_and_saveexec_b32 s8, s7
	s_cbranch_execnz .LBB938_243
.LBB938_201:
	s_or_b32 exec_lo, exec_lo, s8
	s_and_saveexec_b32 s7, s6
	s_cbranch_execnz .LBB938_244
.LBB938_202:
	s_or_b32 exec_lo, exec_lo, s7
	s_and_saveexec_b32 s6, s5
	s_cbranch_execnz .LBB938_245
.LBB938_203:
	s_or_b32 exec_lo, exec_lo, s6
	s_and_saveexec_b32 s5, s4
	s_cbranch_execnz .LBB938_246
.LBB938_204:
	s_or_b32 exec_lo, exec_lo, s5
	s_and_saveexec_b32 s4, s3
	s_cbranch_execnz .LBB938_247
.LBB938_205:
	s_or_b32 exec_lo, exec_lo, s4
	s_and_saveexec_b32 s3, s2
	s_cbranch_execnz .LBB938_248
.LBB938_206:
	s_or_b32 exec_lo, exec_lo, s3
	s_and_saveexec_b32 s2, s1
	s_cbranch_execz .LBB938_208
.LBB938_207:
	v_sub_nc_u32_e32 v5, v57, v4
	s_delay_alu instid0(VALU_DEP_1)
	v_lshlrev_b32_e32 v5, 2, v5
	ds_store_b32 v5, v58
.LBB938_208:
	s_or_b32 exec_lo, exec_lo, s2
	s_delay_alu instid0(SALU_CYCLE_1)
	s_and_b32 s17, s0, exec_lo
                                        ; implicit-def: $vgpr53_vgpr54
                                        ; implicit-def: $vgpr59_vgpr60
                                        ; implicit-def: $vgpr55_vgpr56
                                        ; implicit-def: $vgpr51_vgpr52
                                        ; implicit-def: $vgpr45_vgpr46
                                        ; implicit-def: $vgpr41_vgpr42
                                        ; implicit-def: $vgpr39_vgpr40
                                        ; implicit-def: $vgpr43_vgpr44
                                        ; implicit-def: $vgpr47_vgpr48
                                        ; implicit-def: $vgpr5_vgpr6
                                        ; implicit-def: $vgpr7_vgpr8
                                        ; implicit-def: $vgpr37_vgpr38
                                        ; implicit-def: $vgpr61_vgpr62
                                        ; implicit-def: $vgpr57_vgpr58
	s_and_not1_saveexec_b32 s0, s16
	s_cbranch_execz .LBB938_150
.LBB938_209:
	v_sub_nc_u32_e32 v13, v53, v4
	v_sub_nc_u32_e32 v14, v59, v4
	;; [unrolled: 1-line block ×5, first 2 shown]
	v_lshlrev_b32_e32 v13, 2, v13
	v_lshlrev_b32_e32 v14, 2, v14
	;; [unrolled: 1-line block ×4, first 2 shown]
	v_sub_nc_u32_e32 v5, v5, v4
	ds_store_b32 v13, v54
	ds_store_b32 v14, v60
	;; [unrolled: 1-line block ×3, first 2 shown]
	v_sub_nc_u32_e32 v13, v45, v4
	v_sub_nc_u32_e32 v14, v41, v4
	;; [unrolled: 1-line block ×3, first 2 shown]
	ds_store_b32 v16, v52
	v_sub_nc_u32_e32 v16, v43, v4
	v_lshlrev_b32_e32 v13, 2, v13
	v_lshlrev_b32_e32 v14, 2, v14
	;; [unrolled: 1-line block ×3, first 2 shown]
	v_sub_nc_u32_e32 v7, v7, v4
	v_lshlrev_b32_e32 v16, 2, v16
	ds_store_b32 v13, v46
	v_lshlrev_b32_e32 v13, 2, v17
	ds_store_b32 v14, v42
	ds_store_b32 v15, v40
	;; [unrolled: 1-line block ×3, first 2 shown]
	v_lshlrev_b32_e32 v5, 2, v5
	v_sub_nc_u32_e32 v15, v57, v4
	v_sub_nc_u32_e32 v14, v61, v4
	ds_store_b32 v13, v48
	v_sub_nc_u32_e32 v13, v37, v4
	v_lshlrev_b32_e32 v7, 2, v7
	ds_store_b32 v5, v6
	v_lshlrev_b32_e32 v5, 2, v15
	v_lshlrev_b32_e32 v14, 2, v14
	;; [unrolled: 1-line block ×3, first 2 shown]
	s_or_b32 s17, s17, exec_lo
	ds_store_b32 v7, v8
	ds_store_b32 v13, v38
	;; [unrolled: 1-line block ×4, first 2 shown]
	s_or_b32 exec_lo, exec_lo, s0
	s_delay_alu instid0(SALU_CYCLE_1)
	s_and_b32 exec_lo, exec_lo, s17
	s_cbranch_execnz .LBB938_151
	s_branch .LBB938_152
.LBB938_210:
	v_sub_nc_u32_e32 v2, v53, v3
	s_delay_alu instid0(VALU_DEP_1)
	v_lshlrev_b32_e32 v2, 2, v2
	ds_store_b32 v2, v21
	s_or_b32 exec_lo, exec_lo, s16
	s_and_saveexec_b32 s11, s13
	s_cbranch_execz .LBB938_161
.LBB938_211:
	v_sub_nc_u32_e32 v2, v59, v3
	s_delay_alu instid0(VALU_DEP_1)
	v_lshlrev_b32_e32 v2, 2, v2
	ds_store_b32 v2, v22
	s_or_b32 exec_lo, exec_lo, s11
	s_and_saveexec_b32 s11, s12
	s_cbranch_execz .LBB938_162
.LBB938_212:
	v_sub_nc_u32_e32 v2, v55, v3
	s_delay_alu instid0(VALU_DEP_1)
	v_lshlrev_b32_e32 v2, 2, v2
	ds_store_b32 v2, v19
	s_or_b32 exec_lo, exec_lo, s11
	s_and_saveexec_b32 s11, s10
	s_cbranch_execz .LBB938_163
.LBB938_213:
	v_sub_nc_u32_e32 v2, v51, v3
	s_delay_alu instid0(VALU_DEP_1)
	v_lshlrev_b32_e32 v2, 2, v2
	ds_store_b32 v2, v20
	s_or_b32 exec_lo, exec_lo, s11
	s_and_saveexec_b32 s10, s9
	s_cbranch_execz .LBB938_164
.LBB938_214:
	v_sub_nc_u32_e32 v2, v45, v3
	s_delay_alu instid0(VALU_DEP_1)
	v_lshlrev_b32_e32 v2, 2, v2
	ds_store_b32 v2, v17
	s_or_b32 exec_lo, exec_lo, s10
	s_and_saveexec_b32 s9, s8
	s_cbranch_execz .LBB938_165
.LBB938_215:
	v_sub_nc_u32_e32 v2, v41, v3
	s_delay_alu instid0(VALU_DEP_1)
	v_lshlrev_b32_e32 v2, 2, v2
	ds_store_b32 v2, v18
	s_or_b32 exec_lo, exec_lo, s9
	s_and_saveexec_b32 s8, s7
	s_cbranch_execz .LBB938_166
.LBB938_216:
	v_sub_nc_u32_e32 v2, v39, v3
	s_delay_alu instid0(VALU_DEP_1)
	v_lshlrev_b32_e32 v2, 2, v2
	ds_store_b32 v2, v15
	s_or_b32 exec_lo, exec_lo, s8
	s_and_saveexec_b32 s7, s6
	s_cbranch_execz .LBB938_167
.LBB938_217:
	v_sub_nc_u32_e32 v2, v43, v3
	s_delay_alu instid0(VALU_DEP_1)
	v_lshlrev_b32_e32 v2, 2, v2
	ds_store_b32 v2, v16
	s_or_b32 exec_lo, exec_lo, s7
	s_and_saveexec_b32 s6, s5
	s_cbranch_execz .LBB938_168
.LBB938_218:
	v_sub_nc_u32_e32 v2, v47, v3
	s_delay_alu instid0(VALU_DEP_1)
	v_lshlrev_b32_e32 v2, 2, v2
	ds_store_b32 v2, v13
	s_or_b32 exec_lo, exec_lo, s6
	s_and_saveexec_b32 s5, s4
	s_cbranch_execz .LBB938_169
.LBB938_219:
	v_sub_nc_u32_e32 v2, v5, v3
	s_delay_alu instid0(VALU_DEP_1)
	v_lshlrev_b32_e32 v2, 2, v2
	ds_store_b32 v2, v14
	s_or_b32 exec_lo, exec_lo, s5
	s_and_saveexec_b32 s4, s3
	s_cbranch_execz .LBB938_170
.LBB938_220:
	v_sub_nc_u32_e32 v2, v7, v3
	s_delay_alu instid0(VALU_DEP_1)
	v_lshlrev_b32_e32 v2, 2, v2
	ds_store_b32 v2, v11
	s_or_b32 exec_lo, exec_lo, s4
	s_and_saveexec_b32 s3, s2
	s_cbranch_execz .LBB938_171
.LBB938_221:
	v_sub_nc_u32_e32 v2, v37, v3
	s_delay_alu instid0(VALU_DEP_1)
	v_lshlrev_b32_e32 v2, 2, v2
	ds_store_b32 v2, v12
	s_or_b32 exec_lo, exec_lo, s3
	s_and_saveexec_b32 s2, s1
	s_cbranch_execz .LBB938_172
.LBB938_222:
	v_sub_nc_u32_e32 v2, v61, v3
	s_delay_alu instid0(VALU_DEP_1)
	v_lshlrev_b32_e32 v2, 2, v2
	ds_store_b32 v2, v9
	s_or_b32 exec_lo, exec_lo, s2
	s_and_saveexec_b32 s1, s0
	s_cbranch_execnz .LBB938_173
	s_branch .LBB938_174
.LBB938_223:
	v_sub_nc_u32_e32 v14, v53, v4
	v_mov_b32_e32 v15, 0
	s_delay_alu instid0(VALU_DEP_1) | instskip(NEXT) | instid1(VALU_DEP_1)
	v_lshlrev_b64 v[14:15], 2, v[14:15]
	v_add_co_u32 v14, vcc_lo, v11, v14
	s_delay_alu instid0(VALU_DEP_2)
	v_add_co_ci_u32_e32 v15, vcc_lo, v12, v15, vcc_lo
	global_store_b32 v[14:15], v54, off
	s_or_b32 exec_lo, exec_lo, s17
	s_and_saveexec_b32 s17, s13
	s_cbranch_execz .LBB938_178
.LBB938_224:
	v_sub_nc_u32_e32 v14, v59, v4
	v_mov_b32_e32 v15, 0
	s_delay_alu instid0(VALU_DEP_1) | instskip(NEXT) | instid1(VALU_DEP_1)
	v_lshlrev_b64 v[14:15], 2, v[14:15]
	v_add_co_u32 v14, vcc_lo, v11, v14
	s_delay_alu instid0(VALU_DEP_2)
	v_add_co_ci_u32_e32 v15, vcc_lo, v12, v15, vcc_lo
	global_store_b32 v[14:15], v60, off
	s_or_b32 exec_lo, exec_lo, s17
	s_and_saveexec_b32 s17, s12
	s_cbranch_execz .LBB938_179
.LBB938_225:
	v_sub_nc_u32_e32 v14, v55, v4
	v_mov_b32_e32 v15, 0
	s_delay_alu instid0(VALU_DEP_1) | instskip(NEXT) | instid1(VALU_DEP_1)
	v_lshlrev_b64 v[14:15], 2, v[14:15]
	v_add_co_u32 v14, vcc_lo, v11, v14
	s_delay_alu instid0(VALU_DEP_2)
	v_add_co_ci_u32_e32 v15, vcc_lo, v12, v15, vcc_lo
	global_store_b32 v[14:15], v56, off
	s_or_b32 exec_lo, exec_lo, s17
	s_and_saveexec_b32 s17, s11
	s_cbranch_execz .LBB938_180
.LBB938_226:
	v_sub_nc_u32_e32 v14, v51, v4
	v_mov_b32_e32 v15, 0
	s_delay_alu instid0(VALU_DEP_1) | instskip(NEXT) | instid1(VALU_DEP_1)
	v_lshlrev_b64 v[14:15], 2, v[14:15]
	v_add_co_u32 v14, vcc_lo, v11, v14
	s_delay_alu instid0(VALU_DEP_2)
	v_add_co_ci_u32_e32 v15, vcc_lo, v12, v15, vcc_lo
	global_store_b32 v[14:15], v52, off
	s_or_b32 exec_lo, exec_lo, s17
	s_and_saveexec_b32 s17, s10
	s_cbranch_execz .LBB938_181
.LBB938_227:
	v_sub_nc_u32_e32 v14, v45, v4
	v_mov_b32_e32 v15, 0
	s_delay_alu instid0(VALU_DEP_1) | instskip(NEXT) | instid1(VALU_DEP_1)
	v_lshlrev_b64 v[14:15], 2, v[14:15]
	v_add_co_u32 v14, vcc_lo, v11, v14
	s_delay_alu instid0(VALU_DEP_2)
	v_add_co_ci_u32_e32 v15, vcc_lo, v12, v15, vcc_lo
	global_store_b32 v[14:15], v46, off
	s_or_b32 exec_lo, exec_lo, s17
	s_and_saveexec_b32 s17, s9
	s_cbranch_execz .LBB938_182
.LBB938_228:
	v_sub_nc_u32_e32 v14, v41, v4
	v_mov_b32_e32 v15, 0
	s_delay_alu instid0(VALU_DEP_1) | instskip(NEXT) | instid1(VALU_DEP_1)
	v_lshlrev_b64 v[14:15], 2, v[14:15]
	v_add_co_u32 v14, vcc_lo, v11, v14
	s_delay_alu instid0(VALU_DEP_2)
	v_add_co_ci_u32_e32 v15, vcc_lo, v12, v15, vcc_lo
	global_store_b32 v[14:15], v42, off
	s_or_b32 exec_lo, exec_lo, s17
	s_and_saveexec_b32 s17, s8
	s_cbranch_execz .LBB938_183
.LBB938_229:
	v_sub_nc_u32_e32 v14, v39, v4
	v_mov_b32_e32 v15, 0
	s_delay_alu instid0(VALU_DEP_1) | instskip(NEXT) | instid1(VALU_DEP_1)
	v_lshlrev_b64 v[14:15], 2, v[14:15]
	v_add_co_u32 v14, vcc_lo, v11, v14
	s_delay_alu instid0(VALU_DEP_2)
	v_add_co_ci_u32_e32 v15, vcc_lo, v12, v15, vcc_lo
	global_store_b32 v[14:15], v40, off
	s_or_b32 exec_lo, exec_lo, s17
	s_and_saveexec_b32 s17, s7
	s_cbranch_execz .LBB938_184
.LBB938_230:
	v_sub_nc_u32_e32 v14, v43, v4
	v_mov_b32_e32 v15, 0
	s_delay_alu instid0(VALU_DEP_1) | instskip(NEXT) | instid1(VALU_DEP_1)
	v_lshlrev_b64 v[14:15], 2, v[14:15]
	v_add_co_u32 v14, vcc_lo, v11, v14
	s_delay_alu instid0(VALU_DEP_2)
	v_add_co_ci_u32_e32 v15, vcc_lo, v12, v15, vcc_lo
	global_store_b32 v[14:15], v44, off
	s_or_b32 exec_lo, exec_lo, s17
	s_and_saveexec_b32 s17, s6
	s_cbranch_execz .LBB938_185
.LBB938_231:
	v_sub_nc_u32_e32 v14, v47, v4
	v_mov_b32_e32 v15, 0
	s_delay_alu instid0(VALU_DEP_1) | instskip(NEXT) | instid1(VALU_DEP_1)
	v_lshlrev_b64 v[14:15], 2, v[14:15]
	v_add_co_u32 v14, vcc_lo, v11, v14
	s_delay_alu instid0(VALU_DEP_2)
	v_add_co_ci_u32_e32 v15, vcc_lo, v12, v15, vcc_lo
	global_store_b32 v[14:15], v48, off
	s_or_b32 exec_lo, exec_lo, s17
	s_and_saveexec_b32 s17, s5
	s_cbranch_execz .LBB938_186
.LBB938_232:
	v_sub_nc_u32_e32 v14, v5, v4
	v_mov_b32_e32 v15, 0
	s_delay_alu instid0(VALU_DEP_1) | instskip(NEXT) | instid1(VALU_DEP_1)
	v_lshlrev_b64 v[14:15], 2, v[14:15]
	v_add_co_u32 v14, vcc_lo, v11, v14
	s_delay_alu instid0(VALU_DEP_2)
	v_add_co_ci_u32_e32 v15, vcc_lo, v12, v15, vcc_lo
	global_store_b32 v[14:15], v6, off
	s_or_b32 exec_lo, exec_lo, s17
	s_and_saveexec_b32 s17, s4
	s_cbranch_execz .LBB938_187
.LBB938_233:
	v_sub_nc_u32_e32 v14, v7, v4
	v_mov_b32_e32 v15, 0
	s_delay_alu instid0(VALU_DEP_1) | instskip(NEXT) | instid1(VALU_DEP_1)
	v_lshlrev_b64 v[14:15], 2, v[14:15]
	v_add_co_u32 v14, vcc_lo, v11, v14
	s_delay_alu instid0(VALU_DEP_2)
	v_add_co_ci_u32_e32 v15, vcc_lo, v12, v15, vcc_lo
	global_store_b32 v[14:15], v8, off
	s_or_b32 exec_lo, exec_lo, s17
	s_and_saveexec_b32 s17, s3
	s_cbranch_execz .LBB938_188
.LBB938_234:
	v_sub_nc_u32_e32 v14, v37, v4
	v_mov_b32_e32 v15, 0
	s_delay_alu instid0(VALU_DEP_1) | instskip(NEXT) | instid1(VALU_DEP_1)
	v_lshlrev_b64 v[14:15], 2, v[14:15]
	v_add_co_u32 v14, vcc_lo, v11, v14
	s_delay_alu instid0(VALU_DEP_2)
	v_add_co_ci_u32_e32 v15, vcc_lo, v12, v15, vcc_lo
	global_store_b32 v[14:15], v38, off
	s_or_b32 exec_lo, exec_lo, s17
	s_and_saveexec_b32 s17, s2
	s_cbranch_execz .LBB938_189
.LBB938_235:
	v_sub_nc_u32_e32 v14, v61, v4
	v_mov_b32_e32 v15, 0
	s_delay_alu instid0(VALU_DEP_1) | instskip(NEXT) | instid1(VALU_DEP_1)
	v_lshlrev_b64 v[14:15], 2, v[14:15]
	v_add_co_u32 v14, vcc_lo, v11, v14
	s_delay_alu instid0(VALU_DEP_2)
	v_add_co_ci_u32_e32 v15, vcc_lo, v12, v15, vcc_lo
	global_store_b32 v[14:15], v62, off
	s_or_b32 exec_lo, exec_lo, s17
	s_and_saveexec_b32 s17, s1
	s_cbranch_execnz .LBB938_190
	s_branch .LBB938_191
.LBB938_236:
	v_sub_nc_u32_e32 v13, v53, v4
	s_delay_alu instid0(VALU_DEP_1)
	v_lshlrev_b32_e32 v13, 2, v13
	ds_store_b32 v13, v54
	s_or_b32 exec_lo, exec_lo, s17
	s_and_saveexec_b32 s14, s13
	s_cbranch_execz .LBB938_195
.LBB938_237:
	v_sub_nc_u32_e32 v13, v59, v4
	s_delay_alu instid0(VALU_DEP_1)
	v_lshlrev_b32_e32 v13, 2, v13
	ds_store_b32 v13, v60
	s_or_b32 exec_lo, exec_lo, s14
	s_and_saveexec_b32 s13, s12
	s_cbranch_execz .LBB938_196
.LBB938_238:
	v_sub_nc_u32_e32 v13, v55, v4
	s_delay_alu instid0(VALU_DEP_1)
	v_lshlrev_b32_e32 v13, 2, v13
	ds_store_b32 v13, v56
	s_or_b32 exec_lo, exec_lo, s13
	s_and_saveexec_b32 s12, s11
	s_cbranch_execz .LBB938_197
.LBB938_239:
	v_sub_nc_u32_e32 v13, v51, v4
	s_delay_alu instid0(VALU_DEP_1)
	v_lshlrev_b32_e32 v13, 2, v13
	ds_store_b32 v13, v52
	s_or_b32 exec_lo, exec_lo, s12
	s_and_saveexec_b32 s11, s10
	s_cbranch_execz .LBB938_198
.LBB938_240:
	v_sub_nc_u32_e32 v13, v45, v4
	s_delay_alu instid0(VALU_DEP_1)
	v_lshlrev_b32_e32 v13, 2, v13
	ds_store_b32 v13, v46
	s_or_b32 exec_lo, exec_lo, s11
	s_and_saveexec_b32 s10, s9
	s_cbranch_execz .LBB938_199
.LBB938_241:
	v_sub_nc_u32_e32 v13, v41, v4
	s_delay_alu instid0(VALU_DEP_1)
	v_lshlrev_b32_e32 v13, 2, v13
	ds_store_b32 v13, v42
	s_or_b32 exec_lo, exec_lo, s10
	s_and_saveexec_b32 s9, s8
	s_cbranch_execz .LBB938_200
.LBB938_242:
	v_sub_nc_u32_e32 v13, v39, v4
	s_delay_alu instid0(VALU_DEP_1)
	v_lshlrev_b32_e32 v13, 2, v13
	ds_store_b32 v13, v40
	s_or_b32 exec_lo, exec_lo, s9
	s_and_saveexec_b32 s8, s7
	s_cbranch_execz .LBB938_201
.LBB938_243:
	v_sub_nc_u32_e32 v13, v43, v4
	s_delay_alu instid0(VALU_DEP_1)
	v_lshlrev_b32_e32 v13, 2, v13
	ds_store_b32 v13, v44
	s_or_b32 exec_lo, exec_lo, s8
	s_and_saveexec_b32 s7, s6
	s_cbranch_execz .LBB938_202
.LBB938_244:
	v_sub_nc_u32_e32 v13, v47, v4
	s_delay_alu instid0(VALU_DEP_1)
	v_lshlrev_b32_e32 v13, 2, v13
	ds_store_b32 v13, v48
	s_or_b32 exec_lo, exec_lo, s7
	s_and_saveexec_b32 s6, s5
	s_cbranch_execz .LBB938_203
.LBB938_245:
	v_sub_nc_u32_e32 v5, v5, v4
	s_delay_alu instid0(VALU_DEP_1)
	v_lshlrev_b32_e32 v5, 2, v5
	ds_store_b32 v5, v6
	s_or_b32 exec_lo, exec_lo, s6
	s_and_saveexec_b32 s5, s4
	s_cbranch_execz .LBB938_204
.LBB938_246:
	v_sub_nc_u32_e32 v5, v7, v4
	s_delay_alu instid0(VALU_DEP_1)
	v_lshlrev_b32_e32 v5, 2, v5
	ds_store_b32 v5, v8
	s_or_b32 exec_lo, exec_lo, s5
	s_and_saveexec_b32 s4, s3
	s_cbranch_execz .LBB938_205
.LBB938_247:
	v_sub_nc_u32_e32 v5, v37, v4
	s_delay_alu instid0(VALU_DEP_1)
	v_lshlrev_b32_e32 v5, 2, v5
	ds_store_b32 v5, v38
	s_or_b32 exec_lo, exec_lo, s4
	s_and_saveexec_b32 s3, s2
	s_cbranch_execz .LBB938_206
.LBB938_248:
	v_sub_nc_u32_e32 v5, v61, v4
	s_delay_alu instid0(VALU_DEP_1)
	v_lshlrev_b32_e32 v5, 2, v5
	ds_store_b32 v5, v62
	s_or_b32 exec_lo, exec_lo, s3
	s_and_saveexec_b32 s2, s1
	s_cbranch_execnz .LBB938_207
	s_branch .LBB938_208
	.section	.rodata,"a",@progbits
	.p2align	6, 0x0
	.amdhsa_kernel _ZN7rocprim17ROCPRIM_400000_NS6detail17trampoline_kernelINS0_14default_configENS1_29reduce_by_key_config_selectorIjjN6thrust23THRUST_200600_302600_NS4plusIjEEEEZZNS1_33reduce_by_key_impl_wrapped_configILNS1_25lookback_scan_determinismE0ES3_S9_NS6_6detail15normal_iteratorINS6_10device_ptrIjEEEESG_NS6_16discard_iteratorINS6_11use_defaultEEESG_PmS8_NS6_8equal_toIjEEEE10hipError_tPvRmT2_T3_mT4_T5_T6_T7_T8_P12ihipStream_tbENKUlT_T0_E_clISt17integral_constantIbLb1EES13_IbLb0EEEEDaSZ_S10_EUlSZ_E_NS1_11comp_targetILNS1_3genE9ELNS1_11target_archE1100ELNS1_3gpuE3ELNS1_3repE0EEENS1_30default_config_static_selectorELNS0_4arch9wavefront6targetE0EEEvT1_
		.amdhsa_group_segment_fixed_size 15360
		.amdhsa_private_segment_fixed_size 0
		.amdhsa_kernarg_size 128
		.amdhsa_user_sgpr_count 15
		.amdhsa_user_sgpr_dispatch_ptr 0
		.amdhsa_user_sgpr_queue_ptr 0
		.amdhsa_user_sgpr_kernarg_segment_ptr 1
		.amdhsa_user_sgpr_dispatch_id 0
		.amdhsa_user_sgpr_private_segment_size 0
		.amdhsa_wavefront_size32 1
		.amdhsa_uses_dynamic_stack 0
		.amdhsa_enable_private_segment 0
		.amdhsa_system_sgpr_workgroup_id_x 1
		.amdhsa_system_sgpr_workgroup_id_y 0
		.amdhsa_system_sgpr_workgroup_id_z 0
		.amdhsa_system_sgpr_workgroup_info 0
		.amdhsa_system_vgpr_workitem_id 0
		.amdhsa_next_free_vgpr 85
		.amdhsa_next_free_sgpr 44
		.amdhsa_reserve_vcc 1
		.amdhsa_float_round_mode_32 0
		.amdhsa_float_round_mode_16_64 0
		.amdhsa_float_denorm_mode_32 3
		.amdhsa_float_denorm_mode_16_64 3
		.amdhsa_dx10_clamp 1
		.amdhsa_ieee_mode 1
		.amdhsa_fp16_overflow 0
		.amdhsa_workgroup_processor_mode 1
		.amdhsa_memory_ordered 1
		.amdhsa_forward_progress 0
		.amdhsa_shared_vgpr_count 0
		.amdhsa_exception_fp_ieee_invalid_op 0
		.amdhsa_exception_fp_denorm_src 0
		.amdhsa_exception_fp_ieee_div_zero 0
		.amdhsa_exception_fp_ieee_overflow 0
		.amdhsa_exception_fp_ieee_underflow 0
		.amdhsa_exception_fp_ieee_inexact 0
		.amdhsa_exception_int_div_zero 0
	.end_amdhsa_kernel
	.section	.text._ZN7rocprim17ROCPRIM_400000_NS6detail17trampoline_kernelINS0_14default_configENS1_29reduce_by_key_config_selectorIjjN6thrust23THRUST_200600_302600_NS4plusIjEEEEZZNS1_33reduce_by_key_impl_wrapped_configILNS1_25lookback_scan_determinismE0ES3_S9_NS6_6detail15normal_iteratorINS6_10device_ptrIjEEEESG_NS6_16discard_iteratorINS6_11use_defaultEEESG_PmS8_NS6_8equal_toIjEEEE10hipError_tPvRmT2_T3_mT4_T5_T6_T7_T8_P12ihipStream_tbENKUlT_T0_E_clISt17integral_constantIbLb1EES13_IbLb0EEEEDaSZ_S10_EUlSZ_E_NS1_11comp_targetILNS1_3genE9ELNS1_11target_archE1100ELNS1_3gpuE3ELNS1_3repE0EEENS1_30default_config_static_selectorELNS0_4arch9wavefront6targetE0EEEvT1_,"axG",@progbits,_ZN7rocprim17ROCPRIM_400000_NS6detail17trampoline_kernelINS0_14default_configENS1_29reduce_by_key_config_selectorIjjN6thrust23THRUST_200600_302600_NS4plusIjEEEEZZNS1_33reduce_by_key_impl_wrapped_configILNS1_25lookback_scan_determinismE0ES3_S9_NS6_6detail15normal_iteratorINS6_10device_ptrIjEEEESG_NS6_16discard_iteratorINS6_11use_defaultEEESG_PmS8_NS6_8equal_toIjEEEE10hipError_tPvRmT2_T3_mT4_T5_T6_T7_T8_P12ihipStream_tbENKUlT_T0_E_clISt17integral_constantIbLb1EES13_IbLb0EEEEDaSZ_S10_EUlSZ_E_NS1_11comp_targetILNS1_3genE9ELNS1_11target_archE1100ELNS1_3gpuE3ELNS1_3repE0EEENS1_30default_config_static_selectorELNS0_4arch9wavefront6targetE0EEEvT1_,comdat
.Lfunc_end938:
	.size	_ZN7rocprim17ROCPRIM_400000_NS6detail17trampoline_kernelINS0_14default_configENS1_29reduce_by_key_config_selectorIjjN6thrust23THRUST_200600_302600_NS4plusIjEEEEZZNS1_33reduce_by_key_impl_wrapped_configILNS1_25lookback_scan_determinismE0ES3_S9_NS6_6detail15normal_iteratorINS6_10device_ptrIjEEEESG_NS6_16discard_iteratorINS6_11use_defaultEEESG_PmS8_NS6_8equal_toIjEEEE10hipError_tPvRmT2_T3_mT4_T5_T6_T7_T8_P12ihipStream_tbENKUlT_T0_E_clISt17integral_constantIbLb1EES13_IbLb0EEEEDaSZ_S10_EUlSZ_E_NS1_11comp_targetILNS1_3genE9ELNS1_11target_archE1100ELNS1_3gpuE3ELNS1_3repE0EEENS1_30default_config_static_selectorELNS0_4arch9wavefront6targetE0EEEvT1_, .Lfunc_end938-_ZN7rocprim17ROCPRIM_400000_NS6detail17trampoline_kernelINS0_14default_configENS1_29reduce_by_key_config_selectorIjjN6thrust23THRUST_200600_302600_NS4plusIjEEEEZZNS1_33reduce_by_key_impl_wrapped_configILNS1_25lookback_scan_determinismE0ES3_S9_NS6_6detail15normal_iteratorINS6_10device_ptrIjEEEESG_NS6_16discard_iteratorINS6_11use_defaultEEESG_PmS8_NS6_8equal_toIjEEEE10hipError_tPvRmT2_T3_mT4_T5_T6_T7_T8_P12ihipStream_tbENKUlT_T0_E_clISt17integral_constantIbLb1EES13_IbLb0EEEEDaSZ_S10_EUlSZ_E_NS1_11comp_targetILNS1_3genE9ELNS1_11target_archE1100ELNS1_3gpuE3ELNS1_3repE0EEENS1_30default_config_static_selectorELNS0_4arch9wavefront6targetE0EEEvT1_
                                        ; -- End function
	.section	.AMDGPU.csdata,"",@progbits
; Kernel info:
; codeLenInByte = 15612
; NumSgprs: 46
; NumVgprs: 85
; ScratchSize: 0
; MemoryBound: 0
; FloatMode: 240
; IeeeMode: 1
; LDSByteSize: 15360 bytes/workgroup (compile time only)
; SGPRBlocks: 5
; VGPRBlocks: 10
; NumSGPRsForWavesPerEU: 46
; NumVGPRsForWavesPerEU: 85
; Occupancy: 16
; WaveLimiterHint : 1
; COMPUTE_PGM_RSRC2:SCRATCH_EN: 0
; COMPUTE_PGM_RSRC2:USER_SGPR: 15
; COMPUTE_PGM_RSRC2:TRAP_HANDLER: 0
; COMPUTE_PGM_RSRC2:TGID_X_EN: 1
; COMPUTE_PGM_RSRC2:TGID_Y_EN: 0
; COMPUTE_PGM_RSRC2:TGID_Z_EN: 0
; COMPUTE_PGM_RSRC2:TIDIG_COMP_CNT: 0
	.section	.text._ZN7rocprim17ROCPRIM_400000_NS6detail17trampoline_kernelINS0_14default_configENS1_29reduce_by_key_config_selectorIjjN6thrust23THRUST_200600_302600_NS4plusIjEEEEZZNS1_33reduce_by_key_impl_wrapped_configILNS1_25lookback_scan_determinismE0ES3_S9_NS6_6detail15normal_iteratorINS6_10device_ptrIjEEEESG_NS6_16discard_iteratorINS6_11use_defaultEEESG_PmS8_NS6_8equal_toIjEEEE10hipError_tPvRmT2_T3_mT4_T5_T6_T7_T8_P12ihipStream_tbENKUlT_T0_E_clISt17integral_constantIbLb1EES13_IbLb0EEEEDaSZ_S10_EUlSZ_E_NS1_11comp_targetILNS1_3genE8ELNS1_11target_archE1030ELNS1_3gpuE2ELNS1_3repE0EEENS1_30default_config_static_selectorELNS0_4arch9wavefront6targetE0EEEvT1_,"axG",@progbits,_ZN7rocprim17ROCPRIM_400000_NS6detail17trampoline_kernelINS0_14default_configENS1_29reduce_by_key_config_selectorIjjN6thrust23THRUST_200600_302600_NS4plusIjEEEEZZNS1_33reduce_by_key_impl_wrapped_configILNS1_25lookback_scan_determinismE0ES3_S9_NS6_6detail15normal_iteratorINS6_10device_ptrIjEEEESG_NS6_16discard_iteratorINS6_11use_defaultEEESG_PmS8_NS6_8equal_toIjEEEE10hipError_tPvRmT2_T3_mT4_T5_T6_T7_T8_P12ihipStream_tbENKUlT_T0_E_clISt17integral_constantIbLb1EES13_IbLb0EEEEDaSZ_S10_EUlSZ_E_NS1_11comp_targetILNS1_3genE8ELNS1_11target_archE1030ELNS1_3gpuE2ELNS1_3repE0EEENS1_30default_config_static_selectorELNS0_4arch9wavefront6targetE0EEEvT1_,comdat
	.protected	_ZN7rocprim17ROCPRIM_400000_NS6detail17trampoline_kernelINS0_14default_configENS1_29reduce_by_key_config_selectorIjjN6thrust23THRUST_200600_302600_NS4plusIjEEEEZZNS1_33reduce_by_key_impl_wrapped_configILNS1_25lookback_scan_determinismE0ES3_S9_NS6_6detail15normal_iteratorINS6_10device_ptrIjEEEESG_NS6_16discard_iteratorINS6_11use_defaultEEESG_PmS8_NS6_8equal_toIjEEEE10hipError_tPvRmT2_T3_mT4_T5_T6_T7_T8_P12ihipStream_tbENKUlT_T0_E_clISt17integral_constantIbLb1EES13_IbLb0EEEEDaSZ_S10_EUlSZ_E_NS1_11comp_targetILNS1_3genE8ELNS1_11target_archE1030ELNS1_3gpuE2ELNS1_3repE0EEENS1_30default_config_static_selectorELNS0_4arch9wavefront6targetE0EEEvT1_ ; -- Begin function _ZN7rocprim17ROCPRIM_400000_NS6detail17trampoline_kernelINS0_14default_configENS1_29reduce_by_key_config_selectorIjjN6thrust23THRUST_200600_302600_NS4plusIjEEEEZZNS1_33reduce_by_key_impl_wrapped_configILNS1_25lookback_scan_determinismE0ES3_S9_NS6_6detail15normal_iteratorINS6_10device_ptrIjEEEESG_NS6_16discard_iteratorINS6_11use_defaultEEESG_PmS8_NS6_8equal_toIjEEEE10hipError_tPvRmT2_T3_mT4_T5_T6_T7_T8_P12ihipStream_tbENKUlT_T0_E_clISt17integral_constantIbLb1EES13_IbLb0EEEEDaSZ_S10_EUlSZ_E_NS1_11comp_targetILNS1_3genE8ELNS1_11target_archE1030ELNS1_3gpuE2ELNS1_3repE0EEENS1_30default_config_static_selectorELNS0_4arch9wavefront6targetE0EEEvT1_
	.globl	_ZN7rocprim17ROCPRIM_400000_NS6detail17trampoline_kernelINS0_14default_configENS1_29reduce_by_key_config_selectorIjjN6thrust23THRUST_200600_302600_NS4plusIjEEEEZZNS1_33reduce_by_key_impl_wrapped_configILNS1_25lookback_scan_determinismE0ES3_S9_NS6_6detail15normal_iteratorINS6_10device_ptrIjEEEESG_NS6_16discard_iteratorINS6_11use_defaultEEESG_PmS8_NS6_8equal_toIjEEEE10hipError_tPvRmT2_T3_mT4_T5_T6_T7_T8_P12ihipStream_tbENKUlT_T0_E_clISt17integral_constantIbLb1EES13_IbLb0EEEEDaSZ_S10_EUlSZ_E_NS1_11comp_targetILNS1_3genE8ELNS1_11target_archE1030ELNS1_3gpuE2ELNS1_3repE0EEENS1_30default_config_static_selectorELNS0_4arch9wavefront6targetE0EEEvT1_
	.p2align	8
	.type	_ZN7rocprim17ROCPRIM_400000_NS6detail17trampoline_kernelINS0_14default_configENS1_29reduce_by_key_config_selectorIjjN6thrust23THRUST_200600_302600_NS4plusIjEEEEZZNS1_33reduce_by_key_impl_wrapped_configILNS1_25lookback_scan_determinismE0ES3_S9_NS6_6detail15normal_iteratorINS6_10device_ptrIjEEEESG_NS6_16discard_iteratorINS6_11use_defaultEEESG_PmS8_NS6_8equal_toIjEEEE10hipError_tPvRmT2_T3_mT4_T5_T6_T7_T8_P12ihipStream_tbENKUlT_T0_E_clISt17integral_constantIbLb1EES13_IbLb0EEEEDaSZ_S10_EUlSZ_E_NS1_11comp_targetILNS1_3genE8ELNS1_11target_archE1030ELNS1_3gpuE2ELNS1_3repE0EEENS1_30default_config_static_selectorELNS0_4arch9wavefront6targetE0EEEvT1_,@function
_ZN7rocprim17ROCPRIM_400000_NS6detail17trampoline_kernelINS0_14default_configENS1_29reduce_by_key_config_selectorIjjN6thrust23THRUST_200600_302600_NS4plusIjEEEEZZNS1_33reduce_by_key_impl_wrapped_configILNS1_25lookback_scan_determinismE0ES3_S9_NS6_6detail15normal_iteratorINS6_10device_ptrIjEEEESG_NS6_16discard_iteratorINS6_11use_defaultEEESG_PmS8_NS6_8equal_toIjEEEE10hipError_tPvRmT2_T3_mT4_T5_T6_T7_T8_P12ihipStream_tbENKUlT_T0_E_clISt17integral_constantIbLb1EES13_IbLb0EEEEDaSZ_S10_EUlSZ_E_NS1_11comp_targetILNS1_3genE8ELNS1_11target_archE1030ELNS1_3gpuE2ELNS1_3repE0EEENS1_30default_config_static_selectorELNS0_4arch9wavefront6targetE0EEEvT1_: ; @_ZN7rocprim17ROCPRIM_400000_NS6detail17trampoline_kernelINS0_14default_configENS1_29reduce_by_key_config_selectorIjjN6thrust23THRUST_200600_302600_NS4plusIjEEEEZZNS1_33reduce_by_key_impl_wrapped_configILNS1_25lookback_scan_determinismE0ES3_S9_NS6_6detail15normal_iteratorINS6_10device_ptrIjEEEESG_NS6_16discard_iteratorINS6_11use_defaultEEESG_PmS8_NS6_8equal_toIjEEEE10hipError_tPvRmT2_T3_mT4_T5_T6_T7_T8_P12ihipStream_tbENKUlT_T0_E_clISt17integral_constantIbLb1EES13_IbLb0EEEEDaSZ_S10_EUlSZ_E_NS1_11comp_targetILNS1_3genE8ELNS1_11target_archE1030ELNS1_3gpuE2ELNS1_3repE0EEENS1_30default_config_static_selectorELNS0_4arch9wavefront6targetE0EEEvT1_
; %bb.0:
	.section	.rodata,"a",@progbits
	.p2align	6, 0x0
	.amdhsa_kernel _ZN7rocprim17ROCPRIM_400000_NS6detail17trampoline_kernelINS0_14default_configENS1_29reduce_by_key_config_selectorIjjN6thrust23THRUST_200600_302600_NS4plusIjEEEEZZNS1_33reduce_by_key_impl_wrapped_configILNS1_25lookback_scan_determinismE0ES3_S9_NS6_6detail15normal_iteratorINS6_10device_ptrIjEEEESG_NS6_16discard_iteratorINS6_11use_defaultEEESG_PmS8_NS6_8equal_toIjEEEE10hipError_tPvRmT2_T3_mT4_T5_T6_T7_T8_P12ihipStream_tbENKUlT_T0_E_clISt17integral_constantIbLb1EES13_IbLb0EEEEDaSZ_S10_EUlSZ_E_NS1_11comp_targetILNS1_3genE8ELNS1_11target_archE1030ELNS1_3gpuE2ELNS1_3repE0EEENS1_30default_config_static_selectorELNS0_4arch9wavefront6targetE0EEEvT1_
		.amdhsa_group_segment_fixed_size 0
		.amdhsa_private_segment_fixed_size 0
		.amdhsa_kernarg_size 128
		.amdhsa_user_sgpr_count 15
		.amdhsa_user_sgpr_dispatch_ptr 0
		.amdhsa_user_sgpr_queue_ptr 0
		.amdhsa_user_sgpr_kernarg_segment_ptr 1
		.amdhsa_user_sgpr_dispatch_id 0
		.amdhsa_user_sgpr_private_segment_size 0
		.amdhsa_wavefront_size32 1
		.amdhsa_uses_dynamic_stack 0
		.amdhsa_enable_private_segment 0
		.amdhsa_system_sgpr_workgroup_id_x 1
		.amdhsa_system_sgpr_workgroup_id_y 0
		.amdhsa_system_sgpr_workgroup_id_z 0
		.amdhsa_system_sgpr_workgroup_info 0
		.amdhsa_system_vgpr_workitem_id 0
		.amdhsa_next_free_vgpr 1
		.amdhsa_next_free_sgpr 1
		.amdhsa_reserve_vcc 0
		.amdhsa_float_round_mode_32 0
		.amdhsa_float_round_mode_16_64 0
		.amdhsa_float_denorm_mode_32 3
		.amdhsa_float_denorm_mode_16_64 3
		.amdhsa_dx10_clamp 1
		.amdhsa_ieee_mode 1
		.amdhsa_fp16_overflow 0
		.amdhsa_workgroup_processor_mode 1
		.amdhsa_memory_ordered 1
		.amdhsa_forward_progress 0
		.amdhsa_shared_vgpr_count 0
		.amdhsa_exception_fp_ieee_invalid_op 0
		.amdhsa_exception_fp_denorm_src 0
		.amdhsa_exception_fp_ieee_div_zero 0
		.amdhsa_exception_fp_ieee_overflow 0
		.amdhsa_exception_fp_ieee_underflow 0
		.amdhsa_exception_fp_ieee_inexact 0
		.amdhsa_exception_int_div_zero 0
	.end_amdhsa_kernel
	.section	.text._ZN7rocprim17ROCPRIM_400000_NS6detail17trampoline_kernelINS0_14default_configENS1_29reduce_by_key_config_selectorIjjN6thrust23THRUST_200600_302600_NS4plusIjEEEEZZNS1_33reduce_by_key_impl_wrapped_configILNS1_25lookback_scan_determinismE0ES3_S9_NS6_6detail15normal_iteratorINS6_10device_ptrIjEEEESG_NS6_16discard_iteratorINS6_11use_defaultEEESG_PmS8_NS6_8equal_toIjEEEE10hipError_tPvRmT2_T3_mT4_T5_T6_T7_T8_P12ihipStream_tbENKUlT_T0_E_clISt17integral_constantIbLb1EES13_IbLb0EEEEDaSZ_S10_EUlSZ_E_NS1_11comp_targetILNS1_3genE8ELNS1_11target_archE1030ELNS1_3gpuE2ELNS1_3repE0EEENS1_30default_config_static_selectorELNS0_4arch9wavefront6targetE0EEEvT1_,"axG",@progbits,_ZN7rocprim17ROCPRIM_400000_NS6detail17trampoline_kernelINS0_14default_configENS1_29reduce_by_key_config_selectorIjjN6thrust23THRUST_200600_302600_NS4plusIjEEEEZZNS1_33reduce_by_key_impl_wrapped_configILNS1_25lookback_scan_determinismE0ES3_S9_NS6_6detail15normal_iteratorINS6_10device_ptrIjEEEESG_NS6_16discard_iteratorINS6_11use_defaultEEESG_PmS8_NS6_8equal_toIjEEEE10hipError_tPvRmT2_T3_mT4_T5_T6_T7_T8_P12ihipStream_tbENKUlT_T0_E_clISt17integral_constantIbLb1EES13_IbLb0EEEEDaSZ_S10_EUlSZ_E_NS1_11comp_targetILNS1_3genE8ELNS1_11target_archE1030ELNS1_3gpuE2ELNS1_3repE0EEENS1_30default_config_static_selectorELNS0_4arch9wavefront6targetE0EEEvT1_,comdat
.Lfunc_end939:
	.size	_ZN7rocprim17ROCPRIM_400000_NS6detail17trampoline_kernelINS0_14default_configENS1_29reduce_by_key_config_selectorIjjN6thrust23THRUST_200600_302600_NS4plusIjEEEEZZNS1_33reduce_by_key_impl_wrapped_configILNS1_25lookback_scan_determinismE0ES3_S9_NS6_6detail15normal_iteratorINS6_10device_ptrIjEEEESG_NS6_16discard_iteratorINS6_11use_defaultEEESG_PmS8_NS6_8equal_toIjEEEE10hipError_tPvRmT2_T3_mT4_T5_T6_T7_T8_P12ihipStream_tbENKUlT_T0_E_clISt17integral_constantIbLb1EES13_IbLb0EEEEDaSZ_S10_EUlSZ_E_NS1_11comp_targetILNS1_3genE8ELNS1_11target_archE1030ELNS1_3gpuE2ELNS1_3repE0EEENS1_30default_config_static_selectorELNS0_4arch9wavefront6targetE0EEEvT1_, .Lfunc_end939-_ZN7rocprim17ROCPRIM_400000_NS6detail17trampoline_kernelINS0_14default_configENS1_29reduce_by_key_config_selectorIjjN6thrust23THRUST_200600_302600_NS4plusIjEEEEZZNS1_33reduce_by_key_impl_wrapped_configILNS1_25lookback_scan_determinismE0ES3_S9_NS6_6detail15normal_iteratorINS6_10device_ptrIjEEEESG_NS6_16discard_iteratorINS6_11use_defaultEEESG_PmS8_NS6_8equal_toIjEEEE10hipError_tPvRmT2_T3_mT4_T5_T6_T7_T8_P12ihipStream_tbENKUlT_T0_E_clISt17integral_constantIbLb1EES13_IbLb0EEEEDaSZ_S10_EUlSZ_E_NS1_11comp_targetILNS1_3genE8ELNS1_11target_archE1030ELNS1_3gpuE2ELNS1_3repE0EEENS1_30default_config_static_selectorELNS0_4arch9wavefront6targetE0EEEvT1_
                                        ; -- End function
	.section	.AMDGPU.csdata,"",@progbits
; Kernel info:
; codeLenInByte = 0
; NumSgprs: 0
; NumVgprs: 0
; ScratchSize: 0
; MemoryBound: 0
; FloatMode: 240
; IeeeMode: 1
; LDSByteSize: 0 bytes/workgroup (compile time only)
; SGPRBlocks: 0
; VGPRBlocks: 0
; NumSGPRsForWavesPerEU: 1
; NumVGPRsForWavesPerEU: 1
; Occupancy: 16
; WaveLimiterHint : 0
; COMPUTE_PGM_RSRC2:SCRATCH_EN: 0
; COMPUTE_PGM_RSRC2:USER_SGPR: 15
; COMPUTE_PGM_RSRC2:TRAP_HANDLER: 0
; COMPUTE_PGM_RSRC2:TGID_X_EN: 1
; COMPUTE_PGM_RSRC2:TGID_Y_EN: 0
; COMPUTE_PGM_RSRC2:TGID_Z_EN: 0
; COMPUTE_PGM_RSRC2:TIDIG_COMP_CNT: 0
	.section	.text._ZN7rocprim17ROCPRIM_400000_NS6detail17trampoline_kernelINS0_14default_configENS1_29reduce_by_key_config_selectorIjjN6thrust23THRUST_200600_302600_NS4plusIjEEEEZZNS1_33reduce_by_key_impl_wrapped_configILNS1_25lookback_scan_determinismE0ES3_S9_NS6_6detail15normal_iteratorINS6_10device_ptrIjEEEESG_NS6_16discard_iteratorINS6_11use_defaultEEESG_PmS8_NS6_8equal_toIjEEEE10hipError_tPvRmT2_T3_mT4_T5_T6_T7_T8_P12ihipStream_tbENKUlT_T0_E_clISt17integral_constantIbLb0EES13_IbLb1EEEEDaSZ_S10_EUlSZ_E_NS1_11comp_targetILNS1_3genE0ELNS1_11target_archE4294967295ELNS1_3gpuE0ELNS1_3repE0EEENS1_30default_config_static_selectorELNS0_4arch9wavefront6targetE0EEEvT1_,"axG",@progbits,_ZN7rocprim17ROCPRIM_400000_NS6detail17trampoline_kernelINS0_14default_configENS1_29reduce_by_key_config_selectorIjjN6thrust23THRUST_200600_302600_NS4plusIjEEEEZZNS1_33reduce_by_key_impl_wrapped_configILNS1_25lookback_scan_determinismE0ES3_S9_NS6_6detail15normal_iteratorINS6_10device_ptrIjEEEESG_NS6_16discard_iteratorINS6_11use_defaultEEESG_PmS8_NS6_8equal_toIjEEEE10hipError_tPvRmT2_T3_mT4_T5_T6_T7_T8_P12ihipStream_tbENKUlT_T0_E_clISt17integral_constantIbLb0EES13_IbLb1EEEEDaSZ_S10_EUlSZ_E_NS1_11comp_targetILNS1_3genE0ELNS1_11target_archE4294967295ELNS1_3gpuE0ELNS1_3repE0EEENS1_30default_config_static_selectorELNS0_4arch9wavefront6targetE0EEEvT1_,comdat
	.protected	_ZN7rocprim17ROCPRIM_400000_NS6detail17trampoline_kernelINS0_14default_configENS1_29reduce_by_key_config_selectorIjjN6thrust23THRUST_200600_302600_NS4plusIjEEEEZZNS1_33reduce_by_key_impl_wrapped_configILNS1_25lookback_scan_determinismE0ES3_S9_NS6_6detail15normal_iteratorINS6_10device_ptrIjEEEESG_NS6_16discard_iteratorINS6_11use_defaultEEESG_PmS8_NS6_8equal_toIjEEEE10hipError_tPvRmT2_T3_mT4_T5_T6_T7_T8_P12ihipStream_tbENKUlT_T0_E_clISt17integral_constantIbLb0EES13_IbLb1EEEEDaSZ_S10_EUlSZ_E_NS1_11comp_targetILNS1_3genE0ELNS1_11target_archE4294967295ELNS1_3gpuE0ELNS1_3repE0EEENS1_30default_config_static_selectorELNS0_4arch9wavefront6targetE0EEEvT1_ ; -- Begin function _ZN7rocprim17ROCPRIM_400000_NS6detail17trampoline_kernelINS0_14default_configENS1_29reduce_by_key_config_selectorIjjN6thrust23THRUST_200600_302600_NS4plusIjEEEEZZNS1_33reduce_by_key_impl_wrapped_configILNS1_25lookback_scan_determinismE0ES3_S9_NS6_6detail15normal_iteratorINS6_10device_ptrIjEEEESG_NS6_16discard_iteratorINS6_11use_defaultEEESG_PmS8_NS6_8equal_toIjEEEE10hipError_tPvRmT2_T3_mT4_T5_T6_T7_T8_P12ihipStream_tbENKUlT_T0_E_clISt17integral_constantIbLb0EES13_IbLb1EEEEDaSZ_S10_EUlSZ_E_NS1_11comp_targetILNS1_3genE0ELNS1_11target_archE4294967295ELNS1_3gpuE0ELNS1_3repE0EEENS1_30default_config_static_selectorELNS0_4arch9wavefront6targetE0EEEvT1_
	.globl	_ZN7rocprim17ROCPRIM_400000_NS6detail17trampoline_kernelINS0_14default_configENS1_29reduce_by_key_config_selectorIjjN6thrust23THRUST_200600_302600_NS4plusIjEEEEZZNS1_33reduce_by_key_impl_wrapped_configILNS1_25lookback_scan_determinismE0ES3_S9_NS6_6detail15normal_iteratorINS6_10device_ptrIjEEEESG_NS6_16discard_iteratorINS6_11use_defaultEEESG_PmS8_NS6_8equal_toIjEEEE10hipError_tPvRmT2_T3_mT4_T5_T6_T7_T8_P12ihipStream_tbENKUlT_T0_E_clISt17integral_constantIbLb0EES13_IbLb1EEEEDaSZ_S10_EUlSZ_E_NS1_11comp_targetILNS1_3genE0ELNS1_11target_archE4294967295ELNS1_3gpuE0ELNS1_3repE0EEENS1_30default_config_static_selectorELNS0_4arch9wavefront6targetE0EEEvT1_
	.p2align	8
	.type	_ZN7rocprim17ROCPRIM_400000_NS6detail17trampoline_kernelINS0_14default_configENS1_29reduce_by_key_config_selectorIjjN6thrust23THRUST_200600_302600_NS4plusIjEEEEZZNS1_33reduce_by_key_impl_wrapped_configILNS1_25lookback_scan_determinismE0ES3_S9_NS6_6detail15normal_iteratorINS6_10device_ptrIjEEEESG_NS6_16discard_iteratorINS6_11use_defaultEEESG_PmS8_NS6_8equal_toIjEEEE10hipError_tPvRmT2_T3_mT4_T5_T6_T7_T8_P12ihipStream_tbENKUlT_T0_E_clISt17integral_constantIbLb0EES13_IbLb1EEEEDaSZ_S10_EUlSZ_E_NS1_11comp_targetILNS1_3genE0ELNS1_11target_archE4294967295ELNS1_3gpuE0ELNS1_3repE0EEENS1_30default_config_static_selectorELNS0_4arch9wavefront6targetE0EEEvT1_,@function
_ZN7rocprim17ROCPRIM_400000_NS6detail17trampoline_kernelINS0_14default_configENS1_29reduce_by_key_config_selectorIjjN6thrust23THRUST_200600_302600_NS4plusIjEEEEZZNS1_33reduce_by_key_impl_wrapped_configILNS1_25lookback_scan_determinismE0ES3_S9_NS6_6detail15normal_iteratorINS6_10device_ptrIjEEEESG_NS6_16discard_iteratorINS6_11use_defaultEEESG_PmS8_NS6_8equal_toIjEEEE10hipError_tPvRmT2_T3_mT4_T5_T6_T7_T8_P12ihipStream_tbENKUlT_T0_E_clISt17integral_constantIbLb0EES13_IbLb1EEEEDaSZ_S10_EUlSZ_E_NS1_11comp_targetILNS1_3genE0ELNS1_11target_archE4294967295ELNS1_3gpuE0ELNS1_3repE0EEENS1_30default_config_static_selectorELNS0_4arch9wavefront6targetE0EEEvT1_: ; @_ZN7rocprim17ROCPRIM_400000_NS6detail17trampoline_kernelINS0_14default_configENS1_29reduce_by_key_config_selectorIjjN6thrust23THRUST_200600_302600_NS4plusIjEEEEZZNS1_33reduce_by_key_impl_wrapped_configILNS1_25lookback_scan_determinismE0ES3_S9_NS6_6detail15normal_iteratorINS6_10device_ptrIjEEEESG_NS6_16discard_iteratorINS6_11use_defaultEEESG_PmS8_NS6_8equal_toIjEEEE10hipError_tPvRmT2_T3_mT4_T5_T6_T7_T8_P12ihipStream_tbENKUlT_T0_E_clISt17integral_constantIbLb0EES13_IbLb1EEEEDaSZ_S10_EUlSZ_E_NS1_11comp_targetILNS1_3genE0ELNS1_11target_archE4294967295ELNS1_3gpuE0ELNS1_3repE0EEENS1_30default_config_static_selectorELNS0_4arch9wavefront6targetE0EEEvT1_
; %bb.0:
	.section	.rodata,"a",@progbits
	.p2align	6, 0x0
	.amdhsa_kernel _ZN7rocprim17ROCPRIM_400000_NS6detail17trampoline_kernelINS0_14default_configENS1_29reduce_by_key_config_selectorIjjN6thrust23THRUST_200600_302600_NS4plusIjEEEEZZNS1_33reduce_by_key_impl_wrapped_configILNS1_25lookback_scan_determinismE0ES3_S9_NS6_6detail15normal_iteratorINS6_10device_ptrIjEEEESG_NS6_16discard_iteratorINS6_11use_defaultEEESG_PmS8_NS6_8equal_toIjEEEE10hipError_tPvRmT2_T3_mT4_T5_T6_T7_T8_P12ihipStream_tbENKUlT_T0_E_clISt17integral_constantIbLb0EES13_IbLb1EEEEDaSZ_S10_EUlSZ_E_NS1_11comp_targetILNS1_3genE0ELNS1_11target_archE4294967295ELNS1_3gpuE0ELNS1_3repE0EEENS1_30default_config_static_selectorELNS0_4arch9wavefront6targetE0EEEvT1_
		.amdhsa_group_segment_fixed_size 0
		.amdhsa_private_segment_fixed_size 0
		.amdhsa_kernarg_size 128
		.amdhsa_user_sgpr_count 15
		.amdhsa_user_sgpr_dispatch_ptr 0
		.amdhsa_user_sgpr_queue_ptr 0
		.amdhsa_user_sgpr_kernarg_segment_ptr 1
		.amdhsa_user_sgpr_dispatch_id 0
		.amdhsa_user_sgpr_private_segment_size 0
		.amdhsa_wavefront_size32 1
		.amdhsa_uses_dynamic_stack 0
		.amdhsa_enable_private_segment 0
		.amdhsa_system_sgpr_workgroup_id_x 1
		.amdhsa_system_sgpr_workgroup_id_y 0
		.amdhsa_system_sgpr_workgroup_id_z 0
		.amdhsa_system_sgpr_workgroup_info 0
		.amdhsa_system_vgpr_workitem_id 0
		.amdhsa_next_free_vgpr 1
		.amdhsa_next_free_sgpr 1
		.amdhsa_reserve_vcc 0
		.amdhsa_float_round_mode_32 0
		.amdhsa_float_round_mode_16_64 0
		.amdhsa_float_denorm_mode_32 3
		.amdhsa_float_denorm_mode_16_64 3
		.amdhsa_dx10_clamp 1
		.amdhsa_ieee_mode 1
		.amdhsa_fp16_overflow 0
		.amdhsa_workgroup_processor_mode 1
		.amdhsa_memory_ordered 1
		.amdhsa_forward_progress 0
		.amdhsa_shared_vgpr_count 0
		.amdhsa_exception_fp_ieee_invalid_op 0
		.amdhsa_exception_fp_denorm_src 0
		.amdhsa_exception_fp_ieee_div_zero 0
		.amdhsa_exception_fp_ieee_overflow 0
		.amdhsa_exception_fp_ieee_underflow 0
		.amdhsa_exception_fp_ieee_inexact 0
		.amdhsa_exception_int_div_zero 0
	.end_amdhsa_kernel
	.section	.text._ZN7rocprim17ROCPRIM_400000_NS6detail17trampoline_kernelINS0_14default_configENS1_29reduce_by_key_config_selectorIjjN6thrust23THRUST_200600_302600_NS4plusIjEEEEZZNS1_33reduce_by_key_impl_wrapped_configILNS1_25lookback_scan_determinismE0ES3_S9_NS6_6detail15normal_iteratorINS6_10device_ptrIjEEEESG_NS6_16discard_iteratorINS6_11use_defaultEEESG_PmS8_NS6_8equal_toIjEEEE10hipError_tPvRmT2_T3_mT4_T5_T6_T7_T8_P12ihipStream_tbENKUlT_T0_E_clISt17integral_constantIbLb0EES13_IbLb1EEEEDaSZ_S10_EUlSZ_E_NS1_11comp_targetILNS1_3genE0ELNS1_11target_archE4294967295ELNS1_3gpuE0ELNS1_3repE0EEENS1_30default_config_static_selectorELNS0_4arch9wavefront6targetE0EEEvT1_,"axG",@progbits,_ZN7rocprim17ROCPRIM_400000_NS6detail17trampoline_kernelINS0_14default_configENS1_29reduce_by_key_config_selectorIjjN6thrust23THRUST_200600_302600_NS4plusIjEEEEZZNS1_33reduce_by_key_impl_wrapped_configILNS1_25lookback_scan_determinismE0ES3_S9_NS6_6detail15normal_iteratorINS6_10device_ptrIjEEEESG_NS6_16discard_iteratorINS6_11use_defaultEEESG_PmS8_NS6_8equal_toIjEEEE10hipError_tPvRmT2_T3_mT4_T5_T6_T7_T8_P12ihipStream_tbENKUlT_T0_E_clISt17integral_constantIbLb0EES13_IbLb1EEEEDaSZ_S10_EUlSZ_E_NS1_11comp_targetILNS1_3genE0ELNS1_11target_archE4294967295ELNS1_3gpuE0ELNS1_3repE0EEENS1_30default_config_static_selectorELNS0_4arch9wavefront6targetE0EEEvT1_,comdat
.Lfunc_end940:
	.size	_ZN7rocprim17ROCPRIM_400000_NS6detail17trampoline_kernelINS0_14default_configENS1_29reduce_by_key_config_selectorIjjN6thrust23THRUST_200600_302600_NS4plusIjEEEEZZNS1_33reduce_by_key_impl_wrapped_configILNS1_25lookback_scan_determinismE0ES3_S9_NS6_6detail15normal_iteratorINS6_10device_ptrIjEEEESG_NS6_16discard_iteratorINS6_11use_defaultEEESG_PmS8_NS6_8equal_toIjEEEE10hipError_tPvRmT2_T3_mT4_T5_T6_T7_T8_P12ihipStream_tbENKUlT_T0_E_clISt17integral_constantIbLb0EES13_IbLb1EEEEDaSZ_S10_EUlSZ_E_NS1_11comp_targetILNS1_3genE0ELNS1_11target_archE4294967295ELNS1_3gpuE0ELNS1_3repE0EEENS1_30default_config_static_selectorELNS0_4arch9wavefront6targetE0EEEvT1_, .Lfunc_end940-_ZN7rocprim17ROCPRIM_400000_NS6detail17trampoline_kernelINS0_14default_configENS1_29reduce_by_key_config_selectorIjjN6thrust23THRUST_200600_302600_NS4plusIjEEEEZZNS1_33reduce_by_key_impl_wrapped_configILNS1_25lookback_scan_determinismE0ES3_S9_NS6_6detail15normal_iteratorINS6_10device_ptrIjEEEESG_NS6_16discard_iteratorINS6_11use_defaultEEESG_PmS8_NS6_8equal_toIjEEEE10hipError_tPvRmT2_T3_mT4_T5_T6_T7_T8_P12ihipStream_tbENKUlT_T0_E_clISt17integral_constantIbLb0EES13_IbLb1EEEEDaSZ_S10_EUlSZ_E_NS1_11comp_targetILNS1_3genE0ELNS1_11target_archE4294967295ELNS1_3gpuE0ELNS1_3repE0EEENS1_30default_config_static_selectorELNS0_4arch9wavefront6targetE0EEEvT1_
                                        ; -- End function
	.section	.AMDGPU.csdata,"",@progbits
; Kernel info:
; codeLenInByte = 0
; NumSgprs: 0
; NumVgprs: 0
; ScratchSize: 0
; MemoryBound: 0
; FloatMode: 240
; IeeeMode: 1
; LDSByteSize: 0 bytes/workgroup (compile time only)
; SGPRBlocks: 0
; VGPRBlocks: 0
; NumSGPRsForWavesPerEU: 1
; NumVGPRsForWavesPerEU: 1
; Occupancy: 16
; WaveLimiterHint : 0
; COMPUTE_PGM_RSRC2:SCRATCH_EN: 0
; COMPUTE_PGM_RSRC2:USER_SGPR: 15
; COMPUTE_PGM_RSRC2:TRAP_HANDLER: 0
; COMPUTE_PGM_RSRC2:TGID_X_EN: 1
; COMPUTE_PGM_RSRC2:TGID_Y_EN: 0
; COMPUTE_PGM_RSRC2:TGID_Z_EN: 0
; COMPUTE_PGM_RSRC2:TIDIG_COMP_CNT: 0
	.section	.text._ZN7rocprim17ROCPRIM_400000_NS6detail17trampoline_kernelINS0_14default_configENS1_29reduce_by_key_config_selectorIjjN6thrust23THRUST_200600_302600_NS4plusIjEEEEZZNS1_33reduce_by_key_impl_wrapped_configILNS1_25lookback_scan_determinismE0ES3_S9_NS6_6detail15normal_iteratorINS6_10device_ptrIjEEEESG_NS6_16discard_iteratorINS6_11use_defaultEEESG_PmS8_NS6_8equal_toIjEEEE10hipError_tPvRmT2_T3_mT4_T5_T6_T7_T8_P12ihipStream_tbENKUlT_T0_E_clISt17integral_constantIbLb0EES13_IbLb1EEEEDaSZ_S10_EUlSZ_E_NS1_11comp_targetILNS1_3genE5ELNS1_11target_archE942ELNS1_3gpuE9ELNS1_3repE0EEENS1_30default_config_static_selectorELNS0_4arch9wavefront6targetE0EEEvT1_,"axG",@progbits,_ZN7rocprim17ROCPRIM_400000_NS6detail17trampoline_kernelINS0_14default_configENS1_29reduce_by_key_config_selectorIjjN6thrust23THRUST_200600_302600_NS4plusIjEEEEZZNS1_33reduce_by_key_impl_wrapped_configILNS1_25lookback_scan_determinismE0ES3_S9_NS6_6detail15normal_iteratorINS6_10device_ptrIjEEEESG_NS6_16discard_iteratorINS6_11use_defaultEEESG_PmS8_NS6_8equal_toIjEEEE10hipError_tPvRmT2_T3_mT4_T5_T6_T7_T8_P12ihipStream_tbENKUlT_T0_E_clISt17integral_constantIbLb0EES13_IbLb1EEEEDaSZ_S10_EUlSZ_E_NS1_11comp_targetILNS1_3genE5ELNS1_11target_archE942ELNS1_3gpuE9ELNS1_3repE0EEENS1_30default_config_static_selectorELNS0_4arch9wavefront6targetE0EEEvT1_,comdat
	.protected	_ZN7rocprim17ROCPRIM_400000_NS6detail17trampoline_kernelINS0_14default_configENS1_29reduce_by_key_config_selectorIjjN6thrust23THRUST_200600_302600_NS4plusIjEEEEZZNS1_33reduce_by_key_impl_wrapped_configILNS1_25lookback_scan_determinismE0ES3_S9_NS6_6detail15normal_iteratorINS6_10device_ptrIjEEEESG_NS6_16discard_iteratorINS6_11use_defaultEEESG_PmS8_NS6_8equal_toIjEEEE10hipError_tPvRmT2_T3_mT4_T5_T6_T7_T8_P12ihipStream_tbENKUlT_T0_E_clISt17integral_constantIbLb0EES13_IbLb1EEEEDaSZ_S10_EUlSZ_E_NS1_11comp_targetILNS1_3genE5ELNS1_11target_archE942ELNS1_3gpuE9ELNS1_3repE0EEENS1_30default_config_static_selectorELNS0_4arch9wavefront6targetE0EEEvT1_ ; -- Begin function _ZN7rocprim17ROCPRIM_400000_NS6detail17trampoline_kernelINS0_14default_configENS1_29reduce_by_key_config_selectorIjjN6thrust23THRUST_200600_302600_NS4plusIjEEEEZZNS1_33reduce_by_key_impl_wrapped_configILNS1_25lookback_scan_determinismE0ES3_S9_NS6_6detail15normal_iteratorINS6_10device_ptrIjEEEESG_NS6_16discard_iteratorINS6_11use_defaultEEESG_PmS8_NS6_8equal_toIjEEEE10hipError_tPvRmT2_T3_mT4_T5_T6_T7_T8_P12ihipStream_tbENKUlT_T0_E_clISt17integral_constantIbLb0EES13_IbLb1EEEEDaSZ_S10_EUlSZ_E_NS1_11comp_targetILNS1_3genE5ELNS1_11target_archE942ELNS1_3gpuE9ELNS1_3repE0EEENS1_30default_config_static_selectorELNS0_4arch9wavefront6targetE0EEEvT1_
	.globl	_ZN7rocprim17ROCPRIM_400000_NS6detail17trampoline_kernelINS0_14default_configENS1_29reduce_by_key_config_selectorIjjN6thrust23THRUST_200600_302600_NS4plusIjEEEEZZNS1_33reduce_by_key_impl_wrapped_configILNS1_25lookback_scan_determinismE0ES3_S9_NS6_6detail15normal_iteratorINS6_10device_ptrIjEEEESG_NS6_16discard_iteratorINS6_11use_defaultEEESG_PmS8_NS6_8equal_toIjEEEE10hipError_tPvRmT2_T3_mT4_T5_T6_T7_T8_P12ihipStream_tbENKUlT_T0_E_clISt17integral_constantIbLb0EES13_IbLb1EEEEDaSZ_S10_EUlSZ_E_NS1_11comp_targetILNS1_3genE5ELNS1_11target_archE942ELNS1_3gpuE9ELNS1_3repE0EEENS1_30default_config_static_selectorELNS0_4arch9wavefront6targetE0EEEvT1_
	.p2align	8
	.type	_ZN7rocprim17ROCPRIM_400000_NS6detail17trampoline_kernelINS0_14default_configENS1_29reduce_by_key_config_selectorIjjN6thrust23THRUST_200600_302600_NS4plusIjEEEEZZNS1_33reduce_by_key_impl_wrapped_configILNS1_25lookback_scan_determinismE0ES3_S9_NS6_6detail15normal_iteratorINS6_10device_ptrIjEEEESG_NS6_16discard_iteratorINS6_11use_defaultEEESG_PmS8_NS6_8equal_toIjEEEE10hipError_tPvRmT2_T3_mT4_T5_T6_T7_T8_P12ihipStream_tbENKUlT_T0_E_clISt17integral_constantIbLb0EES13_IbLb1EEEEDaSZ_S10_EUlSZ_E_NS1_11comp_targetILNS1_3genE5ELNS1_11target_archE942ELNS1_3gpuE9ELNS1_3repE0EEENS1_30default_config_static_selectorELNS0_4arch9wavefront6targetE0EEEvT1_,@function
_ZN7rocprim17ROCPRIM_400000_NS6detail17trampoline_kernelINS0_14default_configENS1_29reduce_by_key_config_selectorIjjN6thrust23THRUST_200600_302600_NS4plusIjEEEEZZNS1_33reduce_by_key_impl_wrapped_configILNS1_25lookback_scan_determinismE0ES3_S9_NS6_6detail15normal_iteratorINS6_10device_ptrIjEEEESG_NS6_16discard_iteratorINS6_11use_defaultEEESG_PmS8_NS6_8equal_toIjEEEE10hipError_tPvRmT2_T3_mT4_T5_T6_T7_T8_P12ihipStream_tbENKUlT_T0_E_clISt17integral_constantIbLb0EES13_IbLb1EEEEDaSZ_S10_EUlSZ_E_NS1_11comp_targetILNS1_3genE5ELNS1_11target_archE942ELNS1_3gpuE9ELNS1_3repE0EEENS1_30default_config_static_selectorELNS0_4arch9wavefront6targetE0EEEvT1_: ; @_ZN7rocprim17ROCPRIM_400000_NS6detail17trampoline_kernelINS0_14default_configENS1_29reduce_by_key_config_selectorIjjN6thrust23THRUST_200600_302600_NS4plusIjEEEEZZNS1_33reduce_by_key_impl_wrapped_configILNS1_25lookback_scan_determinismE0ES3_S9_NS6_6detail15normal_iteratorINS6_10device_ptrIjEEEESG_NS6_16discard_iteratorINS6_11use_defaultEEESG_PmS8_NS6_8equal_toIjEEEE10hipError_tPvRmT2_T3_mT4_T5_T6_T7_T8_P12ihipStream_tbENKUlT_T0_E_clISt17integral_constantIbLb0EES13_IbLb1EEEEDaSZ_S10_EUlSZ_E_NS1_11comp_targetILNS1_3genE5ELNS1_11target_archE942ELNS1_3gpuE9ELNS1_3repE0EEENS1_30default_config_static_selectorELNS0_4arch9wavefront6targetE0EEEvT1_
; %bb.0:
	.section	.rodata,"a",@progbits
	.p2align	6, 0x0
	.amdhsa_kernel _ZN7rocprim17ROCPRIM_400000_NS6detail17trampoline_kernelINS0_14default_configENS1_29reduce_by_key_config_selectorIjjN6thrust23THRUST_200600_302600_NS4plusIjEEEEZZNS1_33reduce_by_key_impl_wrapped_configILNS1_25lookback_scan_determinismE0ES3_S9_NS6_6detail15normal_iteratorINS6_10device_ptrIjEEEESG_NS6_16discard_iteratorINS6_11use_defaultEEESG_PmS8_NS6_8equal_toIjEEEE10hipError_tPvRmT2_T3_mT4_T5_T6_T7_T8_P12ihipStream_tbENKUlT_T0_E_clISt17integral_constantIbLb0EES13_IbLb1EEEEDaSZ_S10_EUlSZ_E_NS1_11comp_targetILNS1_3genE5ELNS1_11target_archE942ELNS1_3gpuE9ELNS1_3repE0EEENS1_30default_config_static_selectorELNS0_4arch9wavefront6targetE0EEEvT1_
		.amdhsa_group_segment_fixed_size 0
		.amdhsa_private_segment_fixed_size 0
		.amdhsa_kernarg_size 128
		.amdhsa_user_sgpr_count 15
		.amdhsa_user_sgpr_dispatch_ptr 0
		.amdhsa_user_sgpr_queue_ptr 0
		.amdhsa_user_sgpr_kernarg_segment_ptr 1
		.amdhsa_user_sgpr_dispatch_id 0
		.amdhsa_user_sgpr_private_segment_size 0
		.amdhsa_wavefront_size32 1
		.amdhsa_uses_dynamic_stack 0
		.amdhsa_enable_private_segment 0
		.amdhsa_system_sgpr_workgroup_id_x 1
		.amdhsa_system_sgpr_workgroup_id_y 0
		.amdhsa_system_sgpr_workgroup_id_z 0
		.amdhsa_system_sgpr_workgroup_info 0
		.amdhsa_system_vgpr_workitem_id 0
		.amdhsa_next_free_vgpr 1
		.amdhsa_next_free_sgpr 1
		.amdhsa_reserve_vcc 0
		.amdhsa_float_round_mode_32 0
		.amdhsa_float_round_mode_16_64 0
		.amdhsa_float_denorm_mode_32 3
		.amdhsa_float_denorm_mode_16_64 3
		.amdhsa_dx10_clamp 1
		.amdhsa_ieee_mode 1
		.amdhsa_fp16_overflow 0
		.amdhsa_workgroup_processor_mode 1
		.amdhsa_memory_ordered 1
		.amdhsa_forward_progress 0
		.amdhsa_shared_vgpr_count 0
		.amdhsa_exception_fp_ieee_invalid_op 0
		.amdhsa_exception_fp_denorm_src 0
		.amdhsa_exception_fp_ieee_div_zero 0
		.amdhsa_exception_fp_ieee_overflow 0
		.amdhsa_exception_fp_ieee_underflow 0
		.amdhsa_exception_fp_ieee_inexact 0
		.amdhsa_exception_int_div_zero 0
	.end_amdhsa_kernel
	.section	.text._ZN7rocprim17ROCPRIM_400000_NS6detail17trampoline_kernelINS0_14default_configENS1_29reduce_by_key_config_selectorIjjN6thrust23THRUST_200600_302600_NS4plusIjEEEEZZNS1_33reduce_by_key_impl_wrapped_configILNS1_25lookback_scan_determinismE0ES3_S9_NS6_6detail15normal_iteratorINS6_10device_ptrIjEEEESG_NS6_16discard_iteratorINS6_11use_defaultEEESG_PmS8_NS6_8equal_toIjEEEE10hipError_tPvRmT2_T3_mT4_T5_T6_T7_T8_P12ihipStream_tbENKUlT_T0_E_clISt17integral_constantIbLb0EES13_IbLb1EEEEDaSZ_S10_EUlSZ_E_NS1_11comp_targetILNS1_3genE5ELNS1_11target_archE942ELNS1_3gpuE9ELNS1_3repE0EEENS1_30default_config_static_selectorELNS0_4arch9wavefront6targetE0EEEvT1_,"axG",@progbits,_ZN7rocprim17ROCPRIM_400000_NS6detail17trampoline_kernelINS0_14default_configENS1_29reduce_by_key_config_selectorIjjN6thrust23THRUST_200600_302600_NS4plusIjEEEEZZNS1_33reduce_by_key_impl_wrapped_configILNS1_25lookback_scan_determinismE0ES3_S9_NS6_6detail15normal_iteratorINS6_10device_ptrIjEEEESG_NS6_16discard_iteratorINS6_11use_defaultEEESG_PmS8_NS6_8equal_toIjEEEE10hipError_tPvRmT2_T3_mT4_T5_T6_T7_T8_P12ihipStream_tbENKUlT_T0_E_clISt17integral_constantIbLb0EES13_IbLb1EEEEDaSZ_S10_EUlSZ_E_NS1_11comp_targetILNS1_3genE5ELNS1_11target_archE942ELNS1_3gpuE9ELNS1_3repE0EEENS1_30default_config_static_selectorELNS0_4arch9wavefront6targetE0EEEvT1_,comdat
.Lfunc_end941:
	.size	_ZN7rocprim17ROCPRIM_400000_NS6detail17trampoline_kernelINS0_14default_configENS1_29reduce_by_key_config_selectorIjjN6thrust23THRUST_200600_302600_NS4plusIjEEEEZZNS1_33reduce_by_key_impl_wrapped_configILNS1_25lookback_scan_determinismE0ES3_S9_NS6_6detail15normal_iteratorINS6_10device_ptrIjEEEESG_NS6_16discard_iteratorINS6_11use_defaultEEESG_PmS8_NS6_8equal_toIjEEEE10hipError_tPvRmT2_T3_mT4_T5_T6_T7_T8_P12ihipStream_tbENKUlT_T0_E_clISt17integral_constantIbLb0EES13_IbLb1EEEEDaSZ_S10_EUlSZ_E_NS1_11comp_targetILNS1_3genE5ELNS1_11target_archE942ELNS1_3gpuE9ELNS1_3repE0EEENS1_30default_config_static_selectorELNS0_4arch9wavefront6targetE0EEEvT1_, .Lfunc_end941-_ZN7rocprim17ROCPRIM_400000_NS6detail17trampoline_kernelINS0_14default_configENS1_29reduce_by_key_config_selectorIjjN6thrust23THRUST_200600_302600_NS4plusIjEEEEZZNS1_33reduce_by_key_impl_wrapped_configILNS1_25lookback_scan_determinismE0ES3_S9_NS6_6detail15normal_iteratorINS6_10device_ptrIjEEEESG_NS6_16discard_iteratorINS6_11use_defaultEEESG_PmS8_NS6_8equal_toIjEEEE10hipError_tPvRmT2_T3_mT4_T5_T6_T7_T8_P12ihipStream_tbENKUlT_T0_E_clISt17integral_constantIbLb0EES13_IbLb1EEEEDaSZ_S10_EUlSZ_E_NS1_11comp_targetILNS1_3genE5ELNS1_11target_archE942ELNS1_3gpuE9ELNS1_3repE0EEENS1_30default_config_static_selectorELNS0_4arch9wavefront6targetE0EEEvT1_
                                        ; -- End function
	.section	.AMDGPU.csdata,"",@progbits
; Kernel info:
; codeLenInByte = 0
; NumSgprs: 0
; NumVgprs: 0
; ScratchSize: 0
; MemoryBound: 0
; FloatMode: 240
; IeeeMode: 1
; LDSByteSize: 0 bytes/workgroup (compile time only)
; SGPRBlocks: 0
; VGPRBlocks: 0
; NumSGPRsForWavesPerEU: 1
; NumVGPRsForWavesPerEU: 1
; Occupancy: 16
; WaveLimiterHint : 0
; COMPUTE_PGM_RSRC2:SCRATCH_EN: 0
; COMPUTE_PGM_RSRC2:USER_SGPR: 15
; COMPUTE_PGM_RSRC2:TRAP_HANDLER: 0
; COMPUTE_PGM_RSRC2:TGID_X_EN: 1
; COMPUTE_PGM_RSRC2:TGID_Y_EN: 0
; COMPUTE_PGM_RSRC2:TGID_Z_EN: 0
; COMPUTE_PGM_RSRC2:TIDIG_COMP_CNT: 0
	.section	.text._ZN7rocprim17ROCPRIM_400000_NS6detail17trampoline_kernelINS0_14default_configENS1_29reduce_by_key_config_selectorIjjN6thrust23THRUST_200600_302600_NS4plusIjEEEEZZNS1_33reduce_by_key_impl_wrapped_configILNS1_25lookback_scan_determinismE0ES3_S9_NS6_6detail15normal_iteratorINS6_10device_ptrIjEEEESG_NS6_16discard_iteratorINS6_11use_defaultEEESG_PmS8_NS6_8equal_toIjEEEE10hipError_tPvRmT2_T3_mT4_T5_T6_T7_T8_P12ihipStream_tbENKUlT_T0_E_clISt17integral_constantIbLb0EES13_IbLb1EEEEDaSZ_S10_EUlSZ_E_NS1_11comp_targetILNS1_3genE4ELNS1_11target_archE910ELNS1_3gpuE8ELNS1_3repE0EEENS1_30default_config_static_selectorELNS0_4arch9wavefront6targetE0EEEvT1_,"axG",@progbits,_ZN7rocprim17ROCPRIM_400000_NS6detail17trampoline_kernelINS0_14default_configENS1_29reduce_by_key_config_selectorIjjN6thrust23THRUST_200600_302600_NS4plusIjEEEEZZNS1_33reduce_by_key_impl_wrapped_configILNS1_25lookback_scan_determinismE0ES3_S9_NS6_6detail15normal_iteratorINS6_10device_ptrIjEEEESG_NS6_16discard_iteratorINS6_11use_defaultEEESG_PmS8_NS6_8equal_toIjEEEE10hipError_tPvRmT2_T3_mT4_T5_T6_T7_T8_P12ihipStream_tbENKUlT_T0_E_clISt17integral_constantIbLb0EES13_IbLb1EEEEDaSZ_S10_EUlSZ_E_NS1_11comp_targetILNS1_3genE4ELNS1_11target_archE910ELNS1_3gpuE8ELNS1_3repE0EEENS1_30default_config_static_selectorELNS0_4arch9wavefront6targetE0EEEvT1_,comdat
	.protected	_ZN7rocprim17ROCPRIM_400000_NS6detail17trampoline_kernelINS0_14default_configENS1_29reduce_by_key_config_selectorIjjN6thrust23THRUST_200600_302600_NS4plusIjEEEEZZNS1_33reduce_by_key_impl_wrapped_configILNS1_25lookback_scan_determinismE0ES3_S9_NS6_6detail15normal_iteratorINS6_10device_ptrIjEEEESG_NS6_16discard_iteratorINS6_11use_defaultEEESG_PmS8_NS6_8equal_toIjEEEE10hipError_tPvRmT2_T3_mT4_T5_T6_T7_T8_P12ihipStream_tbENKUlT_T0_E_clISt17integral_constantIbLb0EES13_IbLb1EEEEDaSZ_S10_EUlSZ_E_NS1_11comp_targetILNS1_3genE4ELNS1_11target_archE910ELNS1_3gpuE8ELNS1_3repE0EEENS1_30default_config_static_selectorELNS0_4arch9wavefront6targetE0EEEvT1_ ; -- Begin function _ZN7rocprim17ROCPRIM_400000_NS6detail17trampoline_kernelINS0_14default_configENS1_29reduce_by_key_config_selectorIjjN6thrust23THRUST_200600_302600_NS4plusIjEEEEZZNS1_33reduce_by_key_impl_wrapped_configILNS1_25lookback_scan_determinismE0ES3_S9_NS6_6detail15normal_iteratorINS6_10device_ptrIjEEEESG_NS6_16discard_iteratorINS6_11use_defaultEEESG_PmS8_NS6_8equal_toIjEEEE10hipError_tPvRmT2_T3_mT4_T5_T6_T7_T8_P12ihipStream_tbENKUlT_T0_E_clISt17integral_constantIbLb0EES13_IbLb1EEEEDaSZ_S10_EUlSZ_E_NS1_11comp_targetILNS1_3genE4ELNS1_11target_archE910ELNS1_3gpuE8ELNS1_3repE0EEENS1_30default_config_static_selectorELNS0_4arch9wavefront6targetE0EEEvT1_
	.globl	_ZN7rocprim17ROCPRIM_400000_NS6detail17trampoline_kernelINS0_14default_configENS1_29reduce_by_key_config_selectorIjjN6thrust23THRUST_200600_302600_NS4plusIjEEEEZZNS1_33reduce_by_key_impl_wrapped_configILNS1_25lookback_scan_determinismE0ES3_S9_NS6_6detail15normal_iteratorINS6_10device_ptrIjEEEESG_NS6_16discard_iteratorINS6_11use_defaultEEESG_PmS8_NS6_8equal_toIjEEEE10hipError_tPvRmT2_T3_mT4_T5_T6_T7_T8_P12ihipStream_tbENKUlT_T0_E_clISt17integral_constantIbLb0EES13_IbLb1EEEEDaSZ_S10_EUlSZ_E_NS1_11comp_targetILNS1_3genE4ELNS1_11target_archE910ELNS1_3gpuE8ELNS1_3repE0EEENS1_30default_config_static_selectorELNS0_4arch9wavefront6targetE0EEEvT1_
	.p2align	8
	.type	_ZN7rocprim17ROCPRIM_400000_NS6detail17trampoline_kernelINS0_14default_configENS1_29reduce_by_key_config_selectorIjjN6thrust23THRUST_200600_302600_NS4plusIjEEEEZZNS1_33reduce_by_key_impl_wrapped_configILNS1_25lookback_scan_determinismE0ES3_S9_NS6_6detail15normal_iteratorINS6_10device_ptrIjEEEESG_NS6_16discard_iteratorINS6_11use_defaultEEESG_PmS8_NS6_8equal_toIjEEEE10hipError_tPvRmT2_T3_mT4_T5_T6_T7_T8_P12ihipStream_tbENKUlT_T0_E_clISt17integral_constantIbLb0EES13_IbLb1EEEEDaSZ_S10_EUlSZ_E_NS1_11comp_targetILNS1_3genE4ELNS1_11target_archE910ELNS1_3gpuE8ELNS1_3repE0EEENS1_30default_config_static_selectorELNS0_4arch9wavefront6targetE0EEEvT1_,@function
_ZN7rocprim17ROCPRIM_400000_NS6detail17trampoline_kernelINS0_14default_configENS1_29reduce_by_key_config_selectorIjjN6thrust23THRUST_200600_302600_NS4plusIjEEEEZZNS1_33reduce_by_key_impl_wrapped_configILNS1_25lookback_scan_determinismE0ES3_S9_NS6_6detail15normal_iteratorINS6_10device_ptrIjEEEESG_NS6_16discard_iteratorINS6_11use_defaultEEESG_PmS8_NS6_8equal_toIjEEEE10hipError_tPvRmT2_T3_mT4_T5_T6_T7_T8_P12ihipStream_tbENKUlT_T0_E_clISt17integral_constantIbLb0EES13_IbLb1EEEEDaSZ_S10_EUlSZ_E_NS1_11comp_targetILNS1_3genE4ELNS1_11target_archE910ELNS1_3gpuE8ELNS1_3repE0EEENS1_30default_config_static_selectorELNS0_4arch9wavefront6targetE0EEEvT1_: ; @_ZN7rocprim17ROCPRIM_400000_NS6detail17trampoline_kernelINS0_14default_configENS1_29reduce_by_key_config_selectorIjjN6thrust23THRUST_200600_302600_NS4plusIjEEEEZZNS1_33reduce_by_key_impl_wrapped_configILNS1_25lookback_scan_determinismE0ES3_S9_NS6_6detail15normal_iteratorINS6_10device_ptrIjEEEESG_NS6_16discard_iteratorINS6_11use_defaultEEESG_PmS8_NS6_8equal_toIjEEEE10hipError_tPvRmT2_T3_mT4_T5_T6_T7_T8_P12ihipStream_tbENKUlT_T0_E_clISt17integral_constantIbLb0EES13_IbLb1EEEEDaSZ_S10_EUlSZ_E_NS1_11comp_targetILNS1_3genE4ELNS1_11target_archE910ELNS1_3gpuE8ELNS1_3repE0EEENS1_30default_config_static_selectorELNS0_4arch9wavefront6targetE0EEEvT1_
; %bb.0:
	.section	.rodata,"a",@progbits
	.p2align	6, 0x0
	.amdhsa_kernel _ZN7rocprim17ROCPRIM_400000_NS6detail17trampoline_kernelINS0_14default_configENS1_29reduce_by_key_config_selectorIjjN6thrust23THRUST_200600_302600_NS4plusIjEEEEZZNS1_33reduce_by_key_impl_wrapped_configILNS1_25lookback_scan_determinismE0ES3_S9_NS6_6detail15normal_iteratorINS6_10device_ptrIjEEEESG_NS6_16discard_iteratorINS6_11use_defaultEEESG_PmS8_NS6_8equal_toIjEEEE10hipError_tPvRmT2_T3_mT4_T5_T6_T7_T8_P12ihipStream_tbENKUlT_T0_E_clISt17integral_constantIbLb0EES13_IbLb1EEEEDaSZ_S10_EUlSZ_E_NS1_11comp_targetILNS1_3genE4ELNS1_11target_archE910ELNS1_3gpuE8ELNS1_3repE0EEENS1_30default_config_static_selectorELNS0_4arch9wavefront6targetE0EEEvT1_
		.amdhsa_group_segment_fixed_size 0
		.amdhsa_private_segment_fixed_size 0
		.amdhsa_kernarg_size 128
		.amdhsa_user_sgpr_count 15
		.amdhsa_user_sgpr_dispatch_ptr 0
		.amdhsa_user_sgpr_queue_ptr 0
		.amdhsa_user_sgpr_kernarg_segment_ptr 1
		.amdhsa_user_sgpr_dispatch_id 0
		.amdhsa_user_sgpr_private_segment_size 0
		.amdhsa_wavefront_size32 1
		.amdhsa_uses_dynamic_stack 0
		.amdhsa_enable_private_segment 0
		.amdhsa_system_sgpr_workgroup_id_x 1
		.amdhsa_system_sgpr_workgroup_id_y 0
		.amdhsa_system_sgpr_workgroup_id_z 0
		.amdhsa_system_sgpr_workgroup_info 0
		.amdhsa_system_vgpr_workitem_id 0
		.amdhsa_next_free_vgpr 1
		.amdhsa_next_free_sgpr 1
		.amdhsa_reserve_vcc 0
		.amdhsa_float_round_mode_32 0
		.amdhsa_float_round_mode_16_64 0
		.amdhsa_float_denorm_mode_32 3
		.amdhsa_float_denorm_mode_16_64 3
		.amdhsa_dx10_clamp 1
		.amdhsa_ieee_mode 1
		.amdhsa_fp16_overflow 0
		.amdhsa_workgroup_processor_mode 1
		.amdhsa_memory_ordered 1
		.amdhsa_forward_progress 0
		.amdhsa_shared_vgpr_count 0
		.amdhsa_exception_fp_ieee_invalid_op 0
		.amdhsa_exception_fp_denorm_src 0
		.amdhsa_exception_fp_ieee_div_zero 0
		.amdhsa_exception_fp_ieee_overflow 0
		.amdhsa_exception_fp_ieee_underflow 0
		.amdhsa_exception_fp_ieee_inexact 0
		.amdhsa_exception_int_div_zero 0
	.end_amdhsa_kernel
	.section	.text._ZN7rocprim17ROCPRIM_400000_NS6detail17trampoline_kernelINS0_14default_configENS1_29reduce_by_key_config_selectorIjjN6thrust23THRUST_200600_302600_NS4plusIjEEEEZZNS1_33reduce_by_key_impl_wrapped_configILNS1_25lookback_scan_determinismE0ES3_S9_NS6_6detail15normal_iteratorINS6_10device_ptrIjEEEESG_NS6_16discard_iteratorINS6_11use_defaultEEESG_PmS8_NS6_8equal_toIjEEEE10hipError_tPvRmT2_T3_mT4_T5_T6_T7_T8_P12ihipStream_tbENKUlT_T0_E_clISt17integral_constantIbLb0EES13_IbLb1EEEEDaSZ_S10_EUlSZ_E_NS1_11comp_targetILNS1_3genE4ELNS1_11target_archE910ELNS1_3gpuE8ELNS1_3repE0EEENS1_30default_config_static_selectorELNS0_4arch9wavefront6targetE0EEEvT1_,"axG",@progbits,_ZN7rocprim17ROCPRIM_400000_NS6detail17trampoline_kernelINS0_14default_configENS1_29reduce_by_key_config_selectorIjjN6thrust23THRUST_200600_302600_NS4plusIjEEEEZZNS1_33reduce_by_key_impl_wrapped_configILNS1_25lookback_scan_determinismE0ES3_S9_NS6_6detail15normal_iteratorINS6_10device_ptrIjEEEESG_NS6_16discard_iteratorINS6_11use_defaultEEESG_PmS8_NS6_8equal_toIjEEEE10hipError_tPvRmT2_T3_mT4_T5_T6_T7_T8_P12ihipStream_tbENKUlT_T0_E_clISt17integral_constantIbLb0EES13_IbLb1EEEEDaSZ_S10_EUlSZ_E_NS1_11comp_targetILNS1_3genE4ELNS1_11target_archE910ELNS1_3gpuE8ELNS1_3repE0EEENS1_30default_config_static_selectorELNS0_4arch9wavefront6targetE0EEEvT1_,comdat
.Lfunc_end942:
	.size	_ZN7rocprim17ROCPRIM_400000_NS6detail17trampoline_kernelINS0_14default_configENS1_29reduce_by_key_config_selectorIjjN6thrust23THRUST_200600_302600_NS4plusIjEEEEZZNS1_33reduce_by_key_impl_wrapped_configILNS1_25lookback_scan_determinismE0ES3_S9_NS6_6detail15normal_iteratorINS6_10device_ptrIjEEEESG_NS6_16discard_iteratorINS6_11use_defaultEEESG_PmS8_NS6_8equal_toIjEEEE10hipError_tPvRmT2_T3_mT4_T5_T6_T7_T8_P12ihipStream_tbENKUlT_T0_E_clISt17integral_constantIbLb0EES13_IbLb1EEEEDaSZ_S10_EUlSZ_E_NS1_11comp_targetILNS1_3genE4ELNS1_11target_archE910ELNS1_3gpuE8ELNS1_3repE0EEENS1_30default_config_static_selectorELNS0_4arch9wavefront6targetE0EEEvT1_, .Lfunc_end942-_ZN7rocprim17ROCPRIM_400000_NS6detail17trampoline_kernelINS0_14default_configENS1_29reduce_by_key_config_selectorIjjN6thrust23THRUST_200600_302600_NS4plusIjEEEEZZNS1_33reduce_by_key_impl_wrapped_configILNS1_25lookback_scan_determinismE0ES3_S9_NS6_6detail15normal_iteratorINS6_10device_ptrIjEEEESG_NS6_16discard_iteratorINS6_11use_defaultEEESG_PmS8_NS6_8equal_toIjEEEE10hipError_tPvRmT2_T3_mT4_T5_T6_T7_T8_P12ihipStream_tbENKUlT_T0_E_clISt17integral_constantIbLb0EES13_IbLb1EEEEDaSZ_S10_EUlSZ_E_NS1_11comp_targetILNS1_3genE4ELNS1_11target_archE910ELNS1_3gpuE8ELNS1_3repE0EEENS1_30default_config_static_selectorELNS0_4arch9wavefront6targetE0EEEvT1_
                                        ; -- End function
	.section	.AMDGPU.csdata,"",@progbits
; Kernel info:
; codeLenInByte = 0
; NumSgprs: 0
; NumVgprs: 0
; ScratchSize: 0
; MemoryBound: 0
; FloatMode: 240
; IeeeMode: 1
; LDSByteSize: 0 bytes/workgroup (compile time only)
; SGPRBlocks: 0
; VGPRBlocks: 0
; NumSGPRsForWavesPerEU: 1
; NumVGPRsForWavesPerEU: 1
; Occupancy: 16
; WaveLimiterHint : 0
; COMPUTE_PGM_RSRC2:SCRATCH_EN: 0
; COMPUTE_PGM_RSRC2:USER_SGPR: 15
; COMPUTE_PGM_RSRC2:TRAP_HANDLER: 0
; COMPUTE_PGM_RSRC2:TGID_X_EN: 1
; COMPUTE_PGM_RSRC2:TGID_Y_EN: 0
; COMPUTE_PGM_RSRC2:TGID_Z_EN: 0
; COMPUTE_PGM_RSRC2:TIDIG_COMP_CNT: 0
	.section	.text._ZN7rocprim17ROCPRIM_400000_NS6detail17trampoline_kernelINS0_14default_configENS1_29reduce_by_key_config_selectorIjjN6thrust23THRUST_200600_302600_NS4plusIjEEEEZZNS1_33reduce_by_key_impl_wrapped_configILNS1_25lookback_scan_determinismE0ES3_S9_NS6_6detail15normal_iteratorINS6_10device_ptrIjEEEESG_NS6_16discard_iteratorINS6_11use_defaultEEESG_PmS8_NS6_8equal_toIjEEEE10hipError_tPvRmT2_T3_mT4_T5_T6_T7_T8_P12ihipStream_tbENKUlT_T0_E_clISt17integral_constantIbLb0EES13_IbLb1EEEEDaSZ_S10_EUlSZ_E_NS1_11comp_targetILNS1_3genE3ELNS1_11target_archE908ELNS1_3gpuE7ELNS1_3repE0EEENS1_30default_config_static_selectorELNS0_4arch9wavefront6targetE0EEEvT1_,"axG",@progbits,_ZN7rocprim17ROCPRIM_400000_NS6detail17trampoline_kernelINS0_14default_configENS1_29reduce_by_key_config_selectorIjjN6thrust23THRUST_200600_302600_NS4plusIjEEEEZZNS1_33reduce_by_key_impl_wrapped_configILNS1_25lookback_scan_determinismE0ES3_S9_NS6_6detail15normal_iteratorINS6_10device_ptrIjEEEESG_NS6_16discard_iteratorINS6_11use_defaultEEESG_PmS8_NS6_8equal_toIjEEEE10hipError_tPvRmT2_T3_mT4_T5_T6_T7_T8_P12ihipStream_tbENKUlT_T0_E_clISt17integral_constantIbLb0EES13_IbLb1EEEEDaSZ_S10_EUlSZ_E_NS1_11comp_targetILNS1_3genE3ELNS1_11target_archE908ELNS1_3gpuE7ELNS1_3repE0EEENS1_30default_config_static_selectorELNS0_4arch9wavefront6targetE0EEEvT1_,comdat
	.protected	_ZN7rocprim17ROCPRIM_400000_NS6detail17trampoline_kernelINS0_14default_configENS1_29reduce_by_key_config_selectorIjjN6thrust23THRUST_200600_302600_NS4plusIjEEEEZZNS1_33reduce_by_key_impl_wrapped_configILNS1_25lookback_scan_determinismE0ES3_S9_NS6_6detail15normal_iteratorINS6_10device_ptrIjEEEESG_NS6_16discard_iteratorINS6_11use_defaultEEESG_PmS8_NS6_8equal_toIjEEEE10hipError_tPvRmT2_T3_mT4_T5_T6_T7_T8_P12ihipStream_tbENKUlT_T0_E_clISt17integral_constantIbLb0EES13_IbLb1EEEEDaSZ_S10_EUlSZ_E_NS1_11comp_targetILNS1_3genE3ELNS1_11target_archE908ELNS1_3gpuE7ELNS1_3repE0EEENS1_30default_config_static_selectorELNS0_4arch9wavefront6targetE0EEEvT1_ ; -- Begin function _ZN7rocprim17ROCPRIM_400000_NS6detail17trampoline_kernelINS0_14default_configENS1_29reduce_by_key_config_selectorIjjN6thrust23THRUST_200600_302600_NS4plusIjEEEEZZNS1_33reduce_by_key_impl_wrapped_configILNS1_25lookback_scan_determinismE0ES3_S9_NS6_6detail15normal_iteratorINS6_10device_ptrIjEEEESG_NS6_16discard_iteratorINS6_11use_defaultEEESG_PmS8_NS6_8equal_toIjEEEE10hipError_tPvRmT2_T3_mT4_T5_T6_T7_T8_P12ihipStream_tbENKUlT_T0_E_clISt17integral_constantIbLb0EES13_IbLb1EEEEDaSZ_S10_EUlSZ_E_NS1_11comp_targetILNS1_3genE3ELNS1_11target_archE908ELNS1_3gpuE7ELNS1_3repE0EEENS1_30default_config_static_selectorELNS0_4arch9wavefront6targetE0EEEvT1_
	.globl	_ZN7rocprim17ROCPRIM_400000_NS6detail17trampoline_kernelINS0_14default_configENS1_29reduce_by_key_config_selectorIjjN6thrust23THRUST_200600_302600_NS4plusIjEEEEZZNS1_33reduce_by_key_impl_wrapped_configILNS1_25lookback_scan_determinismE0ES3_S9_NS6_6detail15normal_iteratorINS6_10device_ptrIjEEEESG_NS6_16discard_iteratorINS6_11use_defaultEEESG_PmS8_NS6_8equal_toIjEEEE10hipError_tPvRmT2_T3_mT4_T5_T6_T7_T8_P12ihipStream_tbENKUlT_T0_E_clISt17integral_constantIbLb0EES13_IbLb1EEEEDaSZ_S10_EUlSZ_E_NS1_11comp_targetILNS1_3genE3ELNS1_11target_archE908ELNS1_3gpuE7ELNS1_3repE0EEENS1_30default_config_static_selectorELNS0_4arch9wavefront6targetE0EEEvT1_
	.p2align	8
	.type	_ZN7rocprim17ROCPRIM_400000_NS6detail17trampoline_kernelINS0_14default_configENS1_29reduce_by_key_config_selectorIjjN6thrust23THRUST_200600_302600_NS4plusIjEEEEZZNS1_33reduce_by_key_impl_wrapped_configILNS1_25lookback_scan_determinismE0ES3_S9_NS6_6detail15normal_iteratorINS6_10device_ptrIjEEEESG_NS6_16discard_iteratorINS6_11use_defaultEEESG_PmS8_NS6_8equal_toIjEEEE10hipError_tPvRmT2_T3_mT4_T5_T6_T7_T8_P12ihipStream_tbENKUlT_T0_E_clISt17integral_constantIbLb0EES13_IbLb1EEEEDaSZ_S10_EUlSZ_E_NS1_11comp_targetILNS1_3genE3ELNS1_11target_archE908ELNS1_3gpuE7ELNS1_3repE0EEENS1_30default_config_static_selectorELNS0_4arch9wavefront6targetE0EEEvT1_,@function
_ZN7rocprim17ROCPRIM_400000_NS6detail17trampoline_kernelINS0_14default_configENS1_29reduce_by_key_config_selectorIjjN6thrust23THRUST_200600_302600_NS4plusIjEEEEZZNS1_33reduce_by_key_impl_wrapped_configILNS1_25lookback_scan_determinismE0ES3_S9_NS6_6detail15normal_iteratorINS6_10device_ptrIjEEEESG_NS6_16discard_iteratorINS6_11use_defaultEEESG_PmS8_NS6_8equal_toIjEEEE10hipError_tPvRmT2_T3_mT4_T5_T6_T7_T8_P12ihipStream_tbENKUlT_T0_E_clISt17integral_constantIbLb0EES13_IbLb1EEEEDaSZ_S10_EUlSZ_E_NS1_11comp_targetILNS1_3genE3ELNS1_11target_archE908ELNS1_3gpuE7ELNS1_3repE0EEENS1_30default_config_static_selectorELNS0_4arch9wavefront6targetE0EEEvT1_: ; @_ZN7rocprim17ROCPRIM_400000_NS6detail17trampoline_kernelINS0_14default_configENS1_29reduce_by_key_config_selectorIjjN6thrust23THRUST_200600_302600_NS4plusIjEEEEZZNS1_33reduce_by_key_impl_wrapped_configILNS1_25lookback_scan_determinismE0ES3_S9_NS6_6detail15normal_iteratorINS6_10device_ptrIjEEEESG_NS6_16discard_iteratorINS6_11use_defaultEEESG_PmS8_NS6_8equal_toIjEEEE10hipError_tPvRmT2_T3_mT4_T5_T6_T7_T8_P12ihipStream_tbENKUlT_T0_E_clISt17integral_constantIbLb0EES13_IbLb1EEEEDaSZ_S10_EUlSZ_E_NS1_11comp_targetILNS1_3genE3ELNS1_11target_archE908ELNS1_3gpuE7ELNS1_3repE0EEENS1_30default_config_static_selectorELNS0_4arch9wavefront6targetE0EEEvT1_
; %bb.0:
	.section	.rodata,"a",@progbits
	.p2align	6, 0x0
	.amdhsa_kernel _ZN7rocprim17ROCPRIM_400000_NS6detail17trampoline_kernelINS0_14default_configENS1_29reduce_by_key_config_selectorIjjN6thrust23THRUST_200600_302600_NS4plusIjEEEEZZNS1_33reduce_by_key_impl_wrapped_configILNS1_25lookback_scan_determinismE0ES3_S9_NS6_6detail15normal_iteratorINS6_10device_ptrIjEEEESG_NS6_16discard_iteratorINS6_11use_defaultEEESG_PmS8_NS6_8equal_toIjEEEE10hipError_tPvRmT2_T3_mT4_T5_T6_T7_T8_P12ihipStream_tbENKUlT_T0_E_clISt17integral_constantIbLb0EES13_IbLb1EEEEDaSZ_S10_EUlSZ_E_NS1_11comp_targetILNS1_3genE3ELNS1_11target_archE908ELNS1_3gpuE7ELNS1_3repE0EEENS1_30default_config_static_selectorELNS0_4arch9wavefront6targetE0EEEvT1_
		.amdhsa_group_segment_fixed_size 0
		.amdhsa_private_segment_fixed_size 0
		.amdhsa_kernarg_size 128
		.amdhsa_user_sgpr_count 15
		.amdhsa_user_sgpr_dispatch_ptr 0
		.amdhsa_user_sgpr_queue_ptr 0
		.amdhsa_user_sgpr_kernarg_segment_ptr 1
		.amdhsa_user_sgpr_dispatch_id 0
		.amdhsa_user_sgpr_private_segment_size 0
		.amdhsa_wavefront_size32 1
		.amdhsa_uses_dynamic_stack 0
		.amdhsa_enable_private_segment 0
		.amdhsa_system_sgpr_workgroup_id_x 1
		.amdhsa_system_sgpr_workgroup_id_y 0
		.amdhsa_system_sgpr_workgroup_id_z 0
		.amdhsa_system_sgpr_workgroup_info 0
		.amdhsa_system_vgpr_workitem_id 0
		.amdhsa_next_free_vgpr 1
		.amdhsa_next_free_sgpr 1
		.amdhsa_reserve_vcc 0
		.amdhsa_float_round_mode_32 0
		.amdhsa_float_round_mode_16_64 0
		.amdhsa_float_denorm_mode_32 3
		.amdhsa_float_denorm_mode_16_64 3
		.amdhsa_dx10_clamp 1
		.amdhsa_ieee_mode 1
		.amdhsa_fp16_overflow 0
		.amdhsa_workgroup_processor_mode 1
		.amdhsa_memory_ordered 1
		.amdhsa_forward_progress 0
		.amdhsa_shared_vgpr_count 0
		.amdhsa_exception_fp_ieee_invalid_op 0
		.amdhsa_exception_fp_denorm_src 0
		.amdhsa_exception_fp_ieee_div_zero 0
		.amdhsa_exception_fp_ieee_overflow 0
		.amdhsa_exception_fp_ieee_underflow 0
		.amdhsa_exception_fp_ieee_inexact 0
		.amdhsa_exception_int_div_zero 0
	.end_amdhsa_kernel
	.section	.text._ZN7rocprim17ROCPRIM_400000_NS6detail17trampoline_kernelINS0_14default_configENS1_29reduce_by_key_config_selectorIjjN6thrust23THRUST_200600_302600_NS4plusIjEEEEZZNS1_33reduce_by_key_impl_wrapped_configILNS1_25lookback_scan_determinismE0ES3_S9_NS6_6detail15normal_iteratorINS6_10device_ptrIjEEEESG_NS6_16discard_iteratorINS6_11use_defaultEEESG_PmS8_NS6_8equal_toIjEEEE10hipError_tPvRmT2_T3_mT4_T5_T6_T7_T8_P12ihipStream_tbENKUlT_T0_E_clISt17integral_constantIbLb0EES13_IbLb1EEEEDaSZ_S10_EUlSZ_E_NS1_11comp_targetILNS1_3genE3ELNS1_11target_archE908ELNS1_3gpuE7ELNS1_3repE0EEENS1_30default_config_static_selectorELNS0_4arch9wavefront6targetE0EEEvT1_,"axG",@progbits,_ZN7rocprim17ROCPRIM_400000_NS6detail17trampoline_kernelINS0_14default_configENS1_29reduce_by_key_config_selectorIjjN6thrust23THRUST_200600_302600_NS4plusIjEEEEZZNS1_33reduce_by_key_impl_wrapped_configILNS1_25lookback_scan_determinismE0ES3_S9_NS6_6detail15normal_iteratorINS6_10device_ptrIjEEEESG_NS6_16discard_iteratorINS6_11use_defaultEEESG_PmS8_NS6_8equal_toIjEEEE10hipError_tPvRmT2_T3_mT4_T5_T6_T7_T8_P12ihipStream_tbENKUlT_T0_E_clISt17integral_constantIbLb0EES13_IbLb1EEEEDaSZ_S10_EUlSZ_E_NS1_11comp_targetILNS1_3genE3ELNS1_11target_archE908ELNS1_3gpuE7ELNS1_3repE0EEENS1_30default_config_static_selectorELNS0_4arch9wavefront6targetE0EEEvT1_,comdat
.Lfunc_end943:
	.size	_ZN7rocprim17ROCPRIM_400000_NS6detail17trampoline_kernelINS0_14default_configENS1_29reduce_by_key_config_selectorIjjN6thrust23THRUST_200600_302600_NS4plusIjEEEEZZNS1_33reduce_by_key_impl_wrapped_configILNS1_25lookback_scan_determinismE0ES3_S9_NS6_6detail15normal_iteratorINS6_10device_ptrIjEEEESG_NS6_16discard_iteratorINS6_11use_defaultEEESG_PmS8_NS6_8equal_toIjEEEE10hipError_tPvRmT2_T3_mT4_T5_T6_T7_T8_P12ihipStream_tbENKUlT_T0_E_clISt17integral_constantIbLb0EES13_IbLb1EEEEDaSZ_S10_EUlSZ_E_NS1_11comp_targetILNS1_3genE3ELNS1_11target_archE908ELNS1_3gpuE7ELNS1_3repE0EEENS1_30default_config_static_selectorELNS0_4arch9wavefront6targetE0EEEvT1_, .Lfunc_end943-_ZN7rocprim17ROCPRIM_400000_NS6detail17trampoline_kernelINS0_14default_configENS1_29reduce_by_key_config_selectorIjjN6thrust23THRUST_200600_302600_NS4plusIjEEEEZZNS1_33reduce_by_key_impl_wrapped_configILNS1_25lookback_scan_determinismE0ES3_S9_NS6_6detail15normal_iteratorINS6_10device_ptrIjEEEESG_NS6_16discard_iteratorINS6_11use_defaultEEESG_PmS8_NS6_8equal_toIjEEEE10hipError_tPvRmT2_T3_mT4_T5_T6_T7_T8_P12ihipStream_tbENKUlT_T0_E_clISt17integral_constantIbLb0EES13_IbLb1EEEEDaSZ_S10_EUlSZ_E_NS1_11comp_targetILNS1_3genE3ELNS1_11target_archE908ELNS1_3gpuE7ELNS1_3repE0EEENS1_30default_config_static_selectorELNS0_4arch9wavefront6targetE0EEEvT1_
                                        ; -- End function
	.section	.AMDGPU.csdata,"",@progbits
; Kernel info:
; codeLenInByte = 0
; NumSgprs: 0
; NumVgprs: 0
; ScratchSize: 0
; MemoryBound: 0
; FloatMode: 240
; IeeeMode: 1
; LDSByteSize: 0 bytes/workgroup (compile time only)
; SGPRBlocks: 0
; VGPRBlocks: 0
; NumSGPRsForWavesPerEU: 1
; NumVGPRsForWavesPerEU: 1
; Occupancy: 16
; WaveLimiterHint : 0
; COMPUTE_PGM_RSRC2:SCRATCH_EN: 0
; COMPUTE_PGM_RSRC2:USER_SGPR: 15
; COMPUTE_PGM_RSRC2:TRAP_HANDLER: 0
; COMPUTE_PGM_RSRC2:TGID_X_EN: 1
; COMPUTE_PGM_RSRC2:TGID_Y_EN: 0
; COMPUTE_PGM_RSRC2:TGID_Z_EN: 0
; COMPUTE_PGM_RSRC2:TIDIG_COMP_CNT: 0
	.section	.text._ZN7rocprim17ROCPRIM_400000_NS6detail17trampoline_kernelINS0_14default_configENS1_29reduce_by_key_config_selectorIjjN6thrust23THRUST_200600_302600_NS4plusIjEEEEZZNS1_33reduce_by_key_impl_wrapped_configILNS1_25lookback_scan_determinismE0ES3_S9_NS6_6detail15normal_iteratorINS6_10device_ptrIjEEEESG_NS6_16discard_iteratorINS6_11use_defaultEEESG_PmS8_NS6_8equal_toIjEEEE10hipError_tPvRmT2_T3_mT4_T5_T6_T7_T8_P12ihipStream_tbENKUlT_T0_E_clISt17integral_constantIbLb0EES13_IbLb1EEEEDaSZ_S10_EUlSZ_E_NS1_11comp_targetILNS1_3genE2ELNS1_11target_archE906ELNS1_3gpuE6ELNS1_3repE0EEENS1_30default_config_static_selectorELNS0_4arch9wavefront6targetE0EEEvT1_,"axG",@progbits,_ZN7rocprim17ROCPRIM_400000_NS6detail17trampoline_kernelINS0_14default_configENS1_29reduce_by_key_config_selectorIjjN6thrust23THRUST_200600_302600_NS4plusIjEEEEZZNS1_33reduce_by_key_impl_wrapped_configILNS1_25lookback_scan_determinismE0ES3_S9_NS6_6detail15normal_iteratorINS6_10device_ptrIjEEEESG_NS6_16discard_iteratorINS6_11use_defaultEEESG_PmS8_NS6_8equal_toIjEEEE10hipError_tPvRmT2_T3_mT4_T5_T6_T7_T8_P12ihipStream_tbENKUlT_T0_E_clISt17integral_constantIbLb0EES13_IbLb1EEEEDaSZ_S10_EUlSZ_E_NS1_11comp_targetILNS1_3genE2ELNS1_11target_archE906ELNS1_3gpuE6ELNS1_3repE0EEENS1_30default_config_static_selectorELNS0_4arch9wavefront6targetE0EEEvT1_,comdat
	.protected	_ZN7rocprim17ROCPRIM_400000_NS6detail17trampoline_kernelINS0_14default_configENS1_29reduce_by_key_config_selectorIjjN6thrust23THRUST_200600_302600_NS4plusIjEEEEZZNS1_33reduce_by_key_impl_wrapped_configILNS1_25lookback_scan_determinismE0ES3_S9_NS6_6detail15normal_iteratorINS6_10device_ptrIjEEEESG_NS6_16discard_iteratorINS6_11use_defaultEEESG_PmS8_NS6_8equal_toIjEEEE10hipError_tPvRmT2_T3_mT4_T5_T6_T7_T8_P12ihipStream_tbENKUlT_T0_E_clISt17integral_constantIbLb0EES13_IbLb1EEEEDaSZ_S10_EUlSZ_E_NS1_11comp_targetILNS1_3genE2ELNS1_11target_archE906ELNS1_3gpuE6ELNS1_3repE0EEENS1_30default_config_static_selectorELNS0_4arch9wavefront6targetE0EEEvT1_ ; -- Begin function _ZN7rocprim17ROCPRIM_400000_NS6detail17trampoline_kernelINS0_14default_configENS1_29reduce_by_key_config_selectorIjjN6thrust23THRUST_200600_302600_NS4plusIjEEEEZZNS1_33reduce_by_key_impl_wrapped_configILNS1_25lookback_scan_determinismE0ES3_S9_NS6_6detail15normal_iteratorINS6_10device_ptrIjEEEESG_NS6_16discard_iteratorINS6_11use_defaultEEESG_PmS8_NS6_8equal_toIjEEEE10hipError_tPvRmT2_T3_mT4_T5_T6_T7_T8_P12ihipStream_tbENKUlT_T0_E_clISt17integral_constantIbLb0EES13_IbLb1EEEEDaSZ_S10_EUlSZ_E_NS1_11comp_targetILNS1_3genE2ELNS1_11target_archE906ELNS1_3gpuE6ELNS1_3repE0EEENS1_30default_config_static_selectorELNS0_4arch9wavefront6targetE0EEEvT1_
	.globl	_ZN7rocprim17ROCPRIM_400000_NS6detail17trampoline_kernelINS0_14default_configENS1_29reduce_by_key_config_selectorIjjN6thrust23THRUST_200600_302600_NS4plusIjEEEEZZNS1_33reduce_by_key_impl_wrapped_configILNS1_25lookback_scan_determinismE0ES3_S9_NS6_6detail15normal_iteratorINS6_10device_ptrIjEEEESG_NS6_16discard_iteratorINS6_11use_defaultEEESG_PmS8_NS6_8equal_toIjEEEE10hipError_tPvRmT2_T3_mT4_T5_T6_T7_T8_P12ihipStream_tbENKUlT_T0_E_clISt17integral_constantIbLb0EES13_IbLb1EEEEDaSZ_S10_EUlSZ_E_NS1_11comp_targetILNS1_3genE2ELNS1_11target_archE906ELNS1_3gpuE6ELNS1_3repE0EEENS1_30default_config_static_selectorELNS0_4arch9wavefront6targetE0EEEvT1_
	.p2align	8
	.type	_ZN7rocprim17ROCPRIM_400000_NS6detail17trampoline_kernelINS0_14default_configENS1_29reduce_by_key_config_selectorIjjN6thrust23THRUST_200600_302600_NS4plusIjEEEEZZNS1_33reduce_by_key_impl_wrapped_configILNS1_25lookback_scan_determinismE0ES3_S9_NS6_6detail15normal_iteratorINS6_10device_ptrIjEEEESG_NS6_16discard_iteratorINS6_11use_defaultEEESG_PmS8_NS6_8equal_toIjEEEE10hipError_tPvRmT2_T3_mT4_T5_T6_T7_T8_P12ihipStream_tbENKUlT_T0_E_clISt17integral_constantIbLb0EES13_IbLb1EEEEDaSZ_S10_EUlSZ_E_NS1_11comp_targetILNS1_3genE2ELNS1_11target_archE906ELNS1_3gpuE6ELNS1_3repE0EEENS1_30default_config_static_selectorELNS0_4arch9wavefront6targetE0EEEvT1_,@function
_ZN7rocprim17ROCPRIM_400000_NS6detail17trampoline_kernelINS0_14default_configENS1_29reduce_by_key_config_selectorIjjN6thrust23THRUST_200600_302600_NS4plusIjEEEEZZNS1_33reduce_by_key_impl_wrapped_configILNS1_25lookback_scan_determinismE0ES3_S9_NS6_6detail15normal_iteratorINS6_10device_ptrIjEEEESG_NS6_16discard_iteratorINS6_11use_defaultEEESG_PmS8_NS6_8equal_toIjEEEE10hipError_tPvRmT2_T3_mT4_T5_T6_T7_T8_P12ihipStream_tbENKUlT_T0_E_clISt17integral_constantIbLb0EES13_IbLb1EEEEDaSZ_S10_EUlSZ_E_NS1_11comp_targetILNS1_3genE2ELNS1_11target_archE906ELNS1_3gpuE6ELNS1_3repE0EEENS1_30default_config_static_selectorELNS0_4arch9wavefront6targetE0EEEvT1_: ; @_ZN7rocprim17ROCPRIM_400000_NS6detail17trampoline_kernelINS0_14default_configENS1_29reduce_by_key_config_selectorIjjN6thrust23THRUST_200600_302600_NS4plusIjEEEEZZNS1_33reduce_by_key_impl_wrapped_configILNS1_25lookback_scan_determinismE0ES3_S9_NS6_6detail15normal_iteratorINS6_10device_ptrIjEEEESG_NS6_16discard_iteratorINS6_11use_defaultEEESG_PmS8_NS6_8equal_toIjEEEE10hipError_tPvRmT2_T3_mT4_T5_T6_T7_T8_P12ihipStream_tbENKUlT_T0_E_clISt17integral_constantIbLb0EES13_IbLb1EEEEDaSZ_S10_EUlSZ_E_NS1_11comp_targetILNS1_3genE2ELNS1_11target_archE906ELNS1_3gpuE6ELNS1_3repE0EEENS1_30default_config_static_selectorELNS0_4arch9wavefront6targetE0EEEvT1_
; %bb.0:
	.section	.rodata,"a",@progbits
	.p2align	6, 0x0
	.amdhsa_kernel _ZN7rocprim17ROCPRIM_400000_NS6detail17trampoline_kernelINS0_14default_configENS1_29reduce_by_key_config_selectorIjjN6thrust23THRUST_200600_302600_NS4plusIjEEEEZZNS1_33reduce_by_key_impl_wrapped_configILNS1_25lookback_scan_determinismE0ES3_S9_NS6_6detail15normal_iteratorINS6_10device_ptrIjEEEESG_NS6_16discard_iteratorINS6_11use_defaultEEESG_PmS8_NS6_8equal_toIjEEEE10hipError_tPvRmT2_T3_mT4_T5_T6_T7_T8_P12ihipStream_tbENKUlT_T0_E_clISt17integral_constantIbLb0EES13_IbLb1EEEEDaSZ_S10_EUlSZ_E_NS1_11comp_targetILNS1_3genE2ELNS1_11target_archE906ELNS1_3gpuE6ELNS1_3repE0EEENS1_30default_config_static_selectorELNS0_4arch9wavefront6targetE0EEEvT1_
		.amdhsa_group_segment_fixed_size 0
		.amdhsa_private_segment_fixed_size 0
		.amdhsa_kernarg_size 128
		.amdhsa_user_sgpr_count 15
		.amdhsa_user_sgpr_dispatch_ptr 0
		.amdhsa_user_sgpr_queue_ptr 0
		.amdhsa_user_sgpr_kernarg_segment_ptr 1
		.amdhsa_user_sgpr_dispatch_id 0
		.amdhsa_user_sgpr_private_segment_size 0
		.amdhsa_wavefront_size32 1
		.amdhsa_uses_dynamic_stack 0
		.amdhsa_enable_private_segment 0
		.amdhsa_system_sgpr_workgroup_id_x 1
		.amdhsa_system_sgpr_workgroup_id_y 0
		.amdhsa_system_sgpr_workgroup_id_z 0
		.amdhsa_system_sgpr_workgroup_info 0
		.amdhsa_system_vgpr_workitem_id 0
		.amdhsa_next_free_vgpr 1
		.amdhsa_next_free_sgpr 1
		.amdhsa_reserve_vcc 0
		.amdhsa_float_round_mode_32 0
		.amdhsa_float_round_mode_16_64 0
		.amdhsa_float_denorm_mode_32 3
		.amdhsa_float_denorm_mode_16_64 3
		.amdhsa_dx10_clamp 1
		.amdhsa_ieee_mode 1
		.amdhsa_fp16_overflow 0
		.amdhsa_workgroup_processor_mode 1
		.amdhsa_memory_ordered 1
		.amdhsa_forward_progress 0
		.amdhsa_shared_vgpr_count 0
		.amdhsa_exception_fp_ieee_invalid_op 0
		.amdhsa_exception_fp_denorm_src 0
		.amdhsa_exception_fp_ieee_div_zero 0
		.amdhsa_exception_fp_ieee_overflow 0
		.amdhsa_exception_fp_ieee_underflow 0
		.amdhsa_exception_fp_ieee_inexact 0
		.amdhsa_exception_int_div_zero 0
	.end_amdhsa_kernel
	.section	.text._ZN7rocprim17ROCPRIM_400000_NS6detail17trampoline_kernelINS0_14default_configENS1_29reduce_by_key_config_selectorIjjN6thrust23THRUST_200600_302600_NS4plusIjEEEEZZNS1_33reduce_by_key_impl_wrapped_configILNS1_25lookback_scan_determinismE0ES3_S9_NS6_6detail15normal_iteratorINS6_10device_ptrIjEEEESG_NS6_16discard_iteratorINS6_11use_defaultEEESG_PmS8_NS6_8equal_toIjEEEE10hipError_tPvRmT2_T3_mT4_T5_T6_T7_T8_P12ihipStream_tbENKUlT_T0_E_clISt17integral_constantIbLb0EES13_IbLb1EEEEDaSZ_S10_EUlSZ_E_NS1_11comp_targetILNS1_3genE2ELNS1_11target_archE906ELNS1_3gpuE6ELNS1_3repE0EEENS1_30default_config_static_selectorELNS0_4arch9wavefront6targetE0EEEvT1_,"axG",@progbits,_ZN7rocprim17ROCPRIM_400000_NS6detail17trampoline_kernelINS0_14default_configENS1_29reduce_by_key_config_selectorIjjN6thrust23THRUST_200600_302600_NS4plusIjEEEEZZNS1_33reduce_by_key_impl_wrapped_configILNS1_25lookback_scan_determinismE0ES3_S9_NS6_6detail15normal_iteratorINS6_10device_ptrIjEEEESG_NS6_16discard_iteratorINS6_11use_defaultEEESG_PmS8_NS6_8equal_toIjEEEE10hipError_tPvRmT2_T3_mT4_T5_T6_T7_T8_P12ihipStream_tbENKUlT_T0_E_clISt17integral_constantIbLb0EES13_IbLb1EEEEDaSZ_S10_EUlSZ_E_NS1_11comp_targetILNS1_3genE2ELNS1_11target_archE906ELNS1_3gpuE6ELNS1_3repE0EEENS1_30default_config_static_selectorELNS0_4arch9wavefront6targetE0EEEvT1_,comdat
.Lfunc_end944:
	.size	_ZN7rocprim17ROCPRIM_400000_NS6detail17trampoline_kernelINS0_14default_configENS1_29reduce_by_key_config_selectorIjjN6thrust23THRUST_200600_302600_NS4plusIjEEEEZZNS1_33reduce_by_key_impl_wrapped_configILNS1_25lookback_scan_determinismE0ES3_S9_NS6_6detail15normal_iteratorINS6_10device_ptrIjEEEESG_NS6_16discard_iteratorINS6_11use_defaultEEESG_PmS8_NS6_8equal_toIjEEEE10hipError_tPvRmT2_T3_mT4_T5_T6_T7_T8_P12ihipStream_tbENKUlT_T0_E_clISt17integral_constantIbLb0EES13_IbLb1EEEEDaSZ_S10_EUlSZ_E_NS1_11comp_targetILNS1_3genE2ELNS1_11target_archE906ELNS1_3gpuE6ELNS1_3repE0EEENS1_30default_config_static_selectorELNS0_4arch9wavefront6targetE0EEEvT1_, .Lfunc_end944-_ZN7rocprim17ROCPRIM_400000_NS6detail17trampoline_kernelINS0_14default_configENS1_29reduce_by_key_config_selectorIjjN6thrust23THRUST_200600_302600_NS4plusIjEEEEZZNS1_33reduce_by_key_impl_wrapped_configILNS1_25lookback_scan_determinismE0ES3_S9_NS6_6detail15normal_iteratorINS6_10device_ptrIjEEEESG_NS6_16discard_iteratorINS6_11use_defaultEEESG_PmS8_NS6_8equal_toIjEEEE10hipError_tPvRmT2_T3_mT4_T5_T6_T7_T8_P12ihipStream_tbENKUlT_T0_E_clISt17integral_constantIbLb0EES13_IbLb1EEEEDaSZ_S10_EUlSZ_E_NS1_11comp_targetILNS1_3genE2ELNS1_11target_archE906ELNS1_3gpuE6ELNS1_3repE0EEENS1_30default_config_static_selectorELNS0_4arch9wavefront6targetE0EEEvT1_
                                        ; -- End function
	.section	.AMDGPU.csdata,"",@progbits
; Kernel info:
; codeLenInByte = 0
; NumSgprs: 0
; NumVgprs: 0
; ScratchSize: 0
; MemoryBound: 0
; FloatMode: 240
; IeeeMode: 1
; LDSByteSize: 0 bytes/workgroup (compile time only)
; SGPRBlocks: 0
; VGPRBlocks: 0
; NumSGPRsForWavesPerEU: 1
; NumVGPRsForWavesPerEU: 1
; Occupancy: 16
; WaveLimiterHint : 0
; COMPUTE_PGM_RSRC2:SCRATCH_EN: 0
; COMPUTE_PGM_RSRC2:USER_SGPR: 15
; COMPUTE_PGM_RSRC2:TRAP_HANDLER: 0
; COMPUTE_PGM_RSRC2:TGID_X_EN: 1
; COMPUTE_PGM_RSRC2:TGID_Y_EN: 0
; COMPUTE_PGM_RSRC2:TGID_Z_EN: 0
; COMPUTE_PGM_RSRC2:TIDIG_COMP_CNT: 0
	.section	.text._ZN7rocprim17ROCPRIM_400000_NS6detail17trampoline_kernelINS0_14default_configENS1_29reduce_by_key_config_selectorIjjN6thrust23THRUST_200600_302600_NS4plusIjEEEEZZNS1_33reduce_by_key_impl_wrapped_configILNS1_25lookback_scan_determinismE0ES3_S9_NS6_6detail15normal_iteratorINS6_10device_ptrIjEEEESG_NS6_16discard_iteratorINS6_11use_defaultEEESG_PmS8_NS6_8equal_toIjEEEE10hipError_tPvRmT2_T3_mT4_T5_T6_T7_T8_P12ihipStream_tbENKUlT_T0_E_clISt17integral_constantIbLb0EES13_IbLb1EEEEDaSZ_S10_EUlSZ_E_NS1_11comp_targetILNS1_3genE10ELNS1_11target_archE1201ELNS1_3gpuE5ELNS1_3repE0EEENS1_30default_config_static_selectorELNS0_4arch9wavefront6targetE0EEEvT1_,"axG",@progbits,_ZN7rocprim17ROCPRIM_400000_NS6detail17trampoline_kernelINS0_14default_configENS1_29reduce_by_key_config_selectorIjjN6thrust23THRUST_200600_302600_NS4plusIjEEEEZZNS1_33reduce_by_key_impl_wrapped_configILNS1_25lookback_scan_determinismE0ES3_S9_NS6_6detail15normal_iteratorINS6_10device_ptrIjEEEESG_NS6_16discard_iteratorINS6_11use_defaultEEESG_PmS8_NS6_8equal_toIjEEEE10hipError_tPvRmT2_T3_mT4_T5_T6_T7_T8_P12ihipStream_tbENKUlT_T0_E_clISt17integral_constantIbLb0EES13_IbLb1EEEEDaSZ_S10_EUlSZ_E_NS1_11comp_targetILNS1_3genE10ELNS1_11target_archE1201ELNS1_3gpuE5ELNS1_3repE0EEENS1_30default_config_static_selectorELNS0_4arch9wavefront6targetE0EEEvT1_,comdat
	.protected	_ZN7rocprim17ROCPRIM_400000_NS6detail17trampoline_kernelINS0_14default_configENS1_29reduce_by_key_config_selectorIjjN6thrust23THRUST_200600_302600_NS4plusIjEEEEZZNS1_33reduce_by_key_impl_wrapped_configILNS1_25lookback_scan_determinismE0ES3_S9_NS6_6detail15normal_iteratorINS6_10device_ptrIjEEEESG_NS6_16discard_iteratorINS6_11use_defaultEEESG_PmS8_NS6_8equal_toIjEEEE10hipError_tPvRmT2_T3_mT4_T5_T6_T7_T8_P12ihipStream_tbENKUlT_T0_E_clISt17integral_constantIbLb0EES13_IbLb1EEEEDaSZ_S10_EUlSZ_E_NS1_11comp_targetILNS1_3genE10ELNS1_11target_archE1201ELNS1_3gpuE5ELNS1_3repE0EEENS1_30default_config_static_selectorELNS0_4arch9wavefront6targetE0EEEvT1_ ; -- Begin function _ZN7rocprim17ROCPRIM_400000_NS6detail17trampoline_kernelINS0_14default_configENS1_29reduce_by_key_config_selectorIjjN6thrust23THRUST_200600_302600_NS4plusIjEEEEZZNS1_33reduce_by_key_impl_wrapped_configILNS1_25lookback_scan_determinismE0ES3_S9_NS6_6detail15normal_iteratorINS6_10device_ptrIjEEEESG_NS6_16discard_iteratorINS6_11use_defaultEEESG_PmS8_NS6_8equal_toIjEEEE10hipError_tPvRmT2_T3_mT4_T5_T6_T7_T8_P12ihipStream_tbENKUlT_T0_E_clISt17integral_constantIbLb0EES13_IbLb1EEEEDaSZ_S10_EUlSZ_E_NS1_11comp_targetILNS1_3genE10ELNS1_11target_archE1201ELNS1_3gpuE5ELNS1_3repE0EEENS1_30default_config_static_selectorELNS0_4arch9wavefront6targetE0EEEvT1_
	.globl	_ZN7rocprim17ROCPRIM_400000_NS6detail17trampoline_kernelINS0_14default_configENS1_29reduce_by_key_config_selectorIjjN6thrust23THRUST_200600_302600_NS4plusIjEEEEZZNS1_33reduce_by_key_impl_wrapped_configILNS1_25lookback_scan_determinismE0ES3_S9_NS6_6detail15normal_iteratorINS6_10device_ptrIjEEEESG_NS6_16discard_iteratorINS6_11use_defaultEEESG_PmS8_NS6_8equal_toIjEEEE10hipError_tPvRmT2_T3_mT4_T5_T6_T7_T8_P12ihipStream_tbENKUlT_T0_E_clISt17integral_constantIbLb0EES13_IbLb1EEEEDaSZ_S10_EUlSZ_E_NS1_11comp_targetILNS1_3genE10ELNS1_11target_archE1201ELNS1_3gpuE5ELNS1_3repE0EEENS1_30default_config_static_selectorELNS0_4arch9wavefront6targetE0EEEvT1_
	.p2align	8
	.type	_ZN7rocprim17ROCPRIM_400000_NS6detail17trampoline_kernelINS0_14default_configENS1_29reduce_by_key_config_selectorIjjN6thrust23THRUST_200600_302600_NS4plusIjEEEEZZNS1_33reduce_by_key_impl_wrapped_configILNS1_25lookback_scan_determinismE0ES3_S9_NS6_6detail15normal_iteratorINS6_10device_ptrIjEEEESG_NS6_16discard_iteratorINS6_11use_defaultEEESG_PmS8_NS6_8equal_toIjEEEE10hipError_tPvRmT2_T3_mT4_T5_T6_T7_T8_P12ihipStream_tbENKUlT_T0_E_clISt17integral_constantIbLb0EES13_IbLb1EEEEDaSZ_S10_EUlSZ_E_NS1_11comp_targetILNS1_3genE10ELNS1_11target_archE1201ELNS1_3gpuE5ELNS1_3repE0EEENS1_30default_config_static_selectorELNS0_4arch9wavefront6targetE0EEEvT1_,@function
_ZN7rocprim17ROCPRIM_400000_NS6detail17trampoline_kernelINS0_14default_configENS1_29reduce_by_key_config_selectorIjjN6thrust23THRUST_200600_302600_NS4plusIjEEEEZZNS1_33reduce_by_key_impl_wrapped_configILNS1_25lookback_scan_determinismE0ES3_S9_NS6_6detail15normal_iteratorINS6_10device_ptrIjEEEESG_NS6_16discard_iteratorINS6_11use_defaultEEESG_PmS8_NS6_8equal_toIjEEEE10hipError_tPvRmT2_T3_mT4_T5_T6_T7_T8_P12ihipStream_tbENKUlT_T0_E_clISt17integral_constantIbLb0EES13_IbLb1EEEEDaSZ_S10_EUlSZ_E_NS1_11comp_targetILNS1_3genE10ELNS1_11target_archE1201ELNS1_3gpuE5ELNS1_3repE0EEENS1_30default_config_static_selectorELNS0_4arch9wavefront6targetE0EEEvT1_: ; @_ZN7rocprim17ROCPRIM_400000_NS6detail17trampoline_kernelINS0_14default_configENS1_29reduce_by_key_config_selectorIjjN6thrust23THRUST_200600_302600_NS4plusIjEEEEZZNS1_33reduce_by_key_impl_wrapped_configILNS1_25lookback_scan_determinismE0ES3_S9_NS6_6detail15normal_iteratorINS6_10device_ptrIjEEEESG_NS6_16discard_iteratorINS6_11use_defaultEEESG_PmS8_NS6_8equal_toIjEEEE10hipError_tPvRmT2_T3_mT4_T5_T6_T7_T8_P12ihipStream_tbENKUlT_T0_E_clISt17integral_constantIbLb0EES13_IbLb1EEEEDaSZ_S10_EUlSZ_E_NS1_11comp_targetILNS1_3genE10ELNS1_11target_archE1201ELNS1_3gpuE5ELNS1_3repE0EEENS1_30default_config_static_selectorELNS0_4arch9wavefront6targetE0EEEvT1_
; %bb.0:
	.section	.rodata,"a",@progbits
	.p2align	6, 0x0
	.amdhsa_kernel _ZN7rocprim17ROCPRIM_400000_NS6detail17trampoline_kernelINS0_14default_configENS1_29reduce_by_key_config_selectorIjjN6thrust23THRUST_200600_302600_NS4plusIjEEEEZZNS1_33reduce_by_key_impl_wrapped_configILNS1_25lookback_scan_determinismE0ES3_S9_NS6_6detail15normal_iteratorINS6_10device_ptrIjEEEESG_NS6_16discard_iteratorINS6_11use_defaultEEESG_PmS8_NS6_8equal_toIjEEEE10hipError_tPvRmT2_T3_mT4_T5_T6_T7_T8_P12ihipStream_tbENKUlT_T0_E_clISt17integral_constantIbLb0EES13_IbLb1EEEEDaSZ_S10_EUlSZ_E_NS1_11comp_targetILNS1_3genE10ELNS1_11target_archE1201ELNS1_3gpuE5ELNS1_3repE0EEENS1_30default_config_static_selectorELNS0_4arch9wavefront6targetE0EEEvT1_
		.amdhsa_group_segment_fixed_size 0
		.amdhsa_private_segment_fixed_size 0
		.amdhsa_kernarg_size 128
		.amdhsa_user_sgpr_count 15
		.amdhsa_user_sgpr_dispatch_ptr 0
		.amdhsa_user_sgpr_queue_ptr 0
		.amdhsa_user_sgpr_kernarg_segment_ptr 1
		.amdhsa_user_sgpr_dispatch_id 0
		.amdhsa_user_sgpr_private_segment_size 0
		.amdhsa_wavefront_size32 1
		.amdhsa_uses_dynamic_stack 0
		.amdhsa_enable_private_segment 0
		.amdhsa_system_sgpr_workgroup_id_x 1
		.amdhsa_system_sgpr_workgroup_id_y 0
		.amdhsa_system_sgpr_workgroup_id_z 0
		.amdhsa_system_sgpr_workgroup_info 0
		.amdhsa_system_vgpr_workitem_id 0
		.amdhsa_next_free_vgpr 1
		.amdhsa_next_free_sgpr 1
		.amdhsa_reserve_vcc 0
		.amdhsa_float_round_mode_32 0
		.amdhsa_float_round_mode_16_64 0
		.amdhsa_float_denorm_mode_32 3
		.amdhsa_float_denorm_mode_16_64 3
		.amdhsa_dx10_clamp 1
		.amdhsa_ieee_mode 1
		.amdhsa_fp16_overflow 0
		.amdhsa_workgroup_processor_mode 1
		.amdhsa_memory_ordered 1
		.amdhsa_forward_progress 0
		.amdhsa_shared_vgpr_count 0
		.amdhsa_exception_fp_ieee_invalid_op 0
		.amdhsa_exception_fp_denorm_src 0
		.amdhsa_exception_fp_ieee_div_zero 0
		.amdhsa_exception_fp_ieee_overflow 0
		.amdhsa_exception_fp_ieee_underflow 0
		.amdhsa_exception_fp_ieee_inexact 0
		.amdhsa_exception_int_div_zero 0
	.end_amdhsa_kernel
	.section	.text._ZN7rocprim17ROCPRIM_400000_NS6detail17trampoline_kernelINS0_14default_configENS1_29reduce_by_key_config_selectorIjjN6thrust23THRUST_200600_302600_NS4plusIjEEEEZZNS1_33reduce_by_key_impl_wrapped_configILNS1_25lookback_scan_determinismE0ES3_S9_NS6_6detail15normal_iteratorINS6_10device_ptrIjEEEESG_NS6_16discard_iteratorINS6_11use_defaultEEESG_PmS8_NS6_8equal_toIjEEEE10hipError_tPvRmT2_T3_mT4_T5_T6_T7_T8_P12ihipStream_tbENKUlT_T0_E_clISt17integral_constantIbLb0EES13_IbLb1EEEEDaSZ_S10_EUlSZ_E_NS1_11comp_targetILNS1_3genE10ELNS1_11target_archE1201ELNS1_3gpuE5ELNS1_3repE0EEENS1_30default_config_static_selectorELNS0_4arch9wavefront6targetE0EEEvT1_,"axG",@progbits,_ZN7rocprim17ROCPRIM_400000_NS6detail17trampoline_kernelINS0_14default_configENS1_29reduce_by_key_config_selectorIjjN6thrust23THRUST_200600_302600_NS4plusIjEEEEZZNS1_33reduce_by_key_impl_wrapped_configILNS1_25lookback_scan_determinismE0ES3_S9_NS6_6detail15normal_iteratorINS6_10device_ptrIjEEEESG_NS6_16discard_iteratorINS6_11use_defaultEEESG_PmS8_NS6_8equal_toIjEEEE10hipError_tPvRmT2_T3_mT4_T5_T6_T7_T8_P12ihipStream_tbENKUlT_T0_E_clISt17integral_constantIbLb0EES13_IbLb1EEEEDaSZ_S10_EUlSZ_E_NS1_11comp_targetILNS1_3genE10ELNS1_11target_archE1201ELNS1_3gpuE5ELNS1_3repE0EEENS1_30default_config_static_selectorELNS0_4arch9wavefront6targetE0EEEvT1_,comdat
.Lfunc_end945:
	.size	_ZN7rocprim17ROCPRIM_400000_NS6detail17trampoline_kernelINS0_14default_configENS1_29reduce_by_key_config_selectorIjjN6thrust23THRUST_200600_302600_NS4plusIjEEEEZZNS1_33reduce_by_key_impl_wrapped_configILNS1_25lookback_scan_determinismE0ES3_S9_NS6_6detail15normal_iteratorINS6_10device_ptrIjEEEESG_NS6_16discard_iteratorINS6_11use_defaultEEESG_PmS8_NS6_8equal_toIjEEEE10hipError_tPvRmT2_T3_mT4_T5_T6_T7_T8_P12ihipStream_tbENKUlT_T0_E_clISt17integral_constantIbLb0EES13_IbLb1EEEEDaSZ_S10_EUlSZ_E_NS1_11comp_targetILNS1_3genE10ELNS1_11target_archE1201ELNS1_3gpuE5ELNS1_3repE0EEENS1_30default_config_static_selectorELNS0_4arch9wavefront6targetE0EEEvT1_, .Lfunc_end945-_ZN7rocprim17ROCPRIM_400000_NS6detail17trampoline_kernelINS0_14default_configENS1_29reduce_by_key_config_selectorIjjN6thrust23THRUST_200600_302600_NS4plusIjEEEEZZNS1_33reduce_by_key_impl_wrapped_configILNS1_25lookback_scan_determinismE0ES3_S9_NS6_6detail15normal_iteratorINS6_10device_ptrIjEEEESG_NS6_16discard_iteratorINS6_11use_defaultEEESG_PmS8_NS6_8equal_toIjEEEE10hipError_tPvRmT2_T3_mT4_T5_T6_T7_T8_P12ihipStream_tbENKUlT_T0_E_clISt17integral_constantIbLb0EES13_IbLb1EEEEDaSZ_S10_EUlSZ_E_NS1_11comp_targetILNS1_3genE10ELNS1_11target_archE1201ELNS1_3gpuE5ELNS1_3repE0EEENS1_30default_config_static_selectorELNS0_4arch9wavefront6targetE0EEEvT1_
                                        ; -- End function
	.section	.AMDGPU.csdata,"",@progbits
; Kernel info:
; codeLenInByte = 0
; NumSgprs: 0
; NumVgprs: 0
; ScratchSize: 0
; MemoryBound: 0
; FloatMode: 240
; IeeeMode: 1
; LDSByteSize: 0 bytes/workgroup (compile time only)
; SGPRBlocks: 0
; VGPRBlocks: 0
; NumSGPRsForWavesPerEU: 1
; NumVGPRsForWavesPerEU: 1
; Occupancy: 16
; WaveLimiterHint : 0
; COMPUTE_PGM_RSRC2:SCRATCH_EN: 0
; COMPUTE_PGM_RSRC2:USER_SGPR: 15
; COMPUTE_PGM_RSRC2:TRAP_HANDLER: 0
; COMPUTE_PGM_RSRC2:TGID_X_EN: 1
; COMPUTE_PGM_RSRC2:TGID_Y_EN: 0
; COMPUTE_PGM_RSRC2:TGID_Z_EN: 0
; COMPUTE_PGM_RSRC2:TIDIG_COMP_CNT: 0
	.section	.text._ZN7rocprim17ROCPRIM_400000_NS6detail17trampoline_kernelINS0_14default_configENS1_29reduce_by_key_config_selectorIjjN6thrust23THRUST_200600_302600_NS4plusIjEEEEZZNS1_33reduce_by_key_impl_wrapped_configILNS1_25lookback_scan_determinismE0ES3_S9_NS6_6detail15normal_iteratorINS6_10device_ptrIjEEEESG_NS6_16discard_iteratorINS6_11use_defaultEEESG_PmS8_NS6_8equal_toIjEEEE10hipError_tPvRmT2_T3_mT4_T5_T6_T7_T8_P12ihipStream_tbENKUlT_T0_E_clISt17integral_constantIbLb0EES13_IbLb1EEEEDaSZ_S10_EUlSZ_E_NS1_11comp_targetILNS1_3genE10ELNS1_11target_archE1200ELNS1_3gpuE4ELNS1_3repE0EEENS1_30default_config_static_selectorELNS0_4arch9wavefront6targetE0EEEvT1_,"axG",@progbits,_ZN7rocprim17ROCPRIM_400000_NS6detail17trampoline_kernelINS0_14default_configENS1_29reduce_by_key_config_selectorIjjN6thrust23THRUST_200600_302600_NS4plusIjEEEEZZNS1_33reduce_by_key_impl_wrapped_configILNS1_25lookback_scan_determinismE0ES3_S9_NS6_6detail15normal_iteratorINS6_10device_ptrIjEEEESG_NS6_16discard_iteratorINS6_11use_defaultEEESG_PmS8_NS6_8equal_toIjEEEE10hipError_tPvRmT2_T3_mT4_T5_T6_T7_T8_P12ihipStream_tbENKUlT_T0_E_clISt17integral_constantIbLb0EES13_IbLb1EEEEDaSZ_S10_EUlSZ_E_NS1_11comp_targetILNS1_3genE10ELNS1_11target_archE1200ELNS1_3gpuE4ELNS1_3repE0EEENS1_30default_config_static_selectorELNS0_4arch9wavefront6targetE0EEEvT1_,comdat
	.protected	_ZN7rocprim17ROCPRIM_400000_NS6detail17trampoline_kernelINS0_14default_configENS1_29reduce_by_key_config_selectorIjjN6thrust23THRUST_200600_302600_NS4plusIjEEEEZZNS1_33reduce_by_key_impl_wrapped_configILNS1_25lookback_scan_determinismE0ES3_S9_NS6_6detail15normal_iteratorINS6_10device_ptrIjEEEESG_NS6_16discard_iteratorINS6_11use_defaultEEESG_PmS8_NS6_8equal_toIjEEEE10hipError_tPvRmT2_T3_mT4_T5_T6_T7_T8_P12ihipStream_tbENKUlT_T0_E_clISt17integral_constantIbLb0EES13_IbLb1EEEEDaSZ_S10_EUlSZ_E_NS1_11comp_targetILNS1_3genE10ELNS1_11target_archE1200ELNS1_3gpuE4ELNS1_3repE0EEENS1_30default_config_static_selectorELNS0_4arch9wavefront6targetE0EEEvT1_ ; -- Begin function _ZN7rocprim17ROCPRIM_400000_NS6detail17trampoline_kernelINS0_14default_configENS1_29reduce_by_key_config_selectorIjjN6thrust23THRUST_200600_302600_NS4plusIjEEEEZZNS1_33reduce_by_key_impl_wrapped_configILNS1_25lookback_scan_determinismE0ES3_S9_NS6_6detail15normal_iteratorINS6_10device_ptrIjEEEESG_NS6_16discard_iteratorINS6_11use_defaultEEESG_PmS8_NS6_8equal_toIjEEEE10hipError_tPvRmT2_T3_mT4_T5_T6_T7_T8_P12ihipStream_tbENKUlT_T0_E_clISt17integral_constantIbLb0EES13_IbLb1EEEEDaSZ_S10_EUlSZ_E_NS1_11comp_targetILNS1_3genE10ELNS1_11target_archE1200ELNS1_3gpuE4ELNS1_3repE0EEENS1_30default_config_static_selectorELNS0_4arch9wavefront6targetE0EEEvT1_
	.globl	_ZN7rocprim17ROCPRIM_400000_NS6detail17trampoline_kernelINS0_14default_configENS1_29reduce_by_key_config_selectorIjjN6thrust23THRUST_200600_302600_NS4plusIjEEEEZZNS1_33reduce_by_key_impl_wrapped_configILNS1_25lookback_scan_determinismE0ES3_S9_NS6_6detail15normal_iteratorINS6_10device_ptrIjEEEESG_NS6_16discard_iteratorINS6_11use_defaultEEESG_PmS8_NS6_8equal_toIjEEEE10hipError_tPvRmT2_T3_mT4_T5_T6_T7_T8_P12ihipStream_tbENKUlT_T0_E_clISt17integral_constantIbLb0EES13_IbLb1EEEEDaSZ_S10_EUlSZ_E_NS1_11comp_targetILNS1_3genE10ELNS1_11target_archE1200ELNS1_3gpuE4ELNS1_3repE0EEENS1_30default_config_static_selectorELNS0_4arch9wavefront6targetE0EEEvT1_
	.p2align	8
	.type	_ZN7rocprim17ROCPRIM_400000_NS6detail17trampoline_kernelINS0_14default_configENS1_29reduce_by_key_config_selectorIjjN6thrust23THRUST_200600_302600_NS4plusIjEEEEZZNS1_33reduce_by_key_impl_wrapped_configILNS1_25lookback_scan_determinismE0ES3_S9_NS6_6detail15normal_iteratorINS6_10device_ptrIjEEEESG_NS6_16discard_iteratorINS6_11use_defaultEEESG_PmS8_NS6_8equal_toIjEEEE10hipError_tPvRmT2_T3_mT4_T5_T6_T7_T8_P12ihipStream_tbENKUlT_T0_E_clISt17integral_constantIbLb0EES13_IbLb1EEEEDaSZ_S10_EUlSZ_E_NS1_11comp_targetILNS1_3genE10ELNS1_11target_archE1200ELNS1_3gpuE4ELNS1_3repE0EEENS1_30default_config_static_selectorELNS0_4arch9wavefront6targetE0EEEvT1_,@function
_ZN7rocprim17ROCPRIM_400000_NS6detail17trampoline_kernelINS0_14default_configENS1_29reduce_by_key_config_selectorIjjN6thrust23THRUST_200600_302600_NS4plusIjEEEEZZNS1_33reduce_by_key_impl_wrapped_configILNS1_25lookback_scan_determinismE0ES3_S9_NS6_6detail15normal_iteratorINS6_10device_ptrIjEEEESG_NS6_16discard_iteratorINS6_11use_defaultEEESG_PmS8_NS6_8equal_toIjEEEE10hipError_tPvRmT2_T3_mT4_T5_T6_T7_T8_P12ihipStream_tbENKUlT_T0_E_clISt17integral_constantIbLb0EES13_IbLb1EEEEDaSZ_S10_EUlSZ_E_NS1_11comp_targetILNS1_3genE10ELNS1_11target_archE1200ELNS1_3gpuE4ELNS1_3repE0EEENS1_30default_config_static_selectorELNS0_4arch9wavefront6targetE0EEEvT1_: ; @_ZN7rocprim17ROCPRIM_400000_NS6detail17trampoline_kernelINS0_14default_configENS1_29reduce_by_key_config_selectorIjjN6thrust23THRUST_200600_302600_NS4plusIjEEEEZZNS1_33reduce_by_key_impl_wrapped_configILNS1_25lookback_scan_determinismE0ES3_S9_NS6_6detail15normal_iteratorINS6_10device_ptrIjEEEESG_NS6_16discard_iteratorINS6_11use_defaultEEESG_PmS8_NS6_8equal_toIjEEEE10hipError_tPvRmT2_T3_mT4_T5_T6_T7_T8_P12ihipStream_tbENKUlT_T0_E_clISt17integral_constantIbLb0EES13_IbLb1EEEEDaSZ_S10_EUlSZ_E_NS1_11comp_targetILNS1_3genE10ELNS1_11target_archE1200ELNS1_3gpuE4ELNS1_3repE0EEENS1_30default_config_static_selectorELNS0_4arch9wavefront6targetE0EEEvT1_
; %bb.0:
	.section	.rodata,"a",@progbits
	.p2align	6, 0x0
	.amdhsa_kernel _ZN7rocprim17ROCPRIM_400000_NS6detail17trampoline_kernelINS0_14default_configENS1_29reduce_by_key_config_selectorIjjN6thrust23THRUST_200600_302600_NS4plusIjEEEEZZNS1_33reduce_by_key_impl_wrapped_configILNS1_25lookback_scan_determinismE0ES3_S9_NS6_6detail15normal_iteratorINS6_10device_ptrIjEEEESG_NS6_16discard_iteratorINS6_11use_defaultEEESG_PmS8_NS6_8equal_toIjEEEE10hipError_tPvRmT2_T3_mT4_T5_T6_T7_T8_P12ihipStream_tbENKUlT_T0_E_clISt17integral_constantIbLb0EES13_IbLb1EEEEDaSZ_S10_EUlSZ_E_NS1_11comp_targetILNS1_3genE10ELNS1_11target_archE1200ELNS1_3gpuE4ELNS1_3repE0EEENS1_30default_config_static_selectorELNS0_4arch9wavefront6targetE0EEEvT1_
		.amdhsa_group_segment_fixed_size 0
		.amdhsa_private_segment_fixed_size 0
		.amdhsa_kernarg_size 128
		.amdhsa_user_sgpr_count 15
		.amdhsa_user_sgpr_dispatch_ptr 0
		.amdhsa_user_sgpr_queue_ptr 0
		.amdhsa_user_sgpr_kernarg_segment_ptr 1
		.amdhsa_user_sgpr_dispatch_id 0
		.amdhsa_user_sgpr_private_segment_size 0
		.amdhsa_wavefront_size32 1
		.amdhsa_uses_dynamic_stack 0
		.amdhsa_enable_private_segment 0
		.amdhsa_system_sgpr_workgroup_id_x 1
		.amdhsa_system_sgpr_workgroup_id_y 0
		.amdhsa_system_sgpr_workgroup_id_z 0
		.amdhsa_system_sgpr_workgroup_info 0
		.amdhsa_system_vgpr_workitem_id 0
		.amdhsa_next_free_vgpr 1
		.amdhsa_next_free_sgpr 1
		.amdhsa_reserve_vcc 0
		.amdhsa_float_round_mode_32 0
		.amdhsa_float_round_mode_16_64 0
		.amdhsa_float_denorm_mode_32 3
		.amdhsa_float_denorm_mode_16_64 3
		.amdhsa_dx10_clamp 1
		.amdhsa_ieee_mode 1
		.amdhsa_fp16_overflow 0
		.amdhsa_workgroup_processor_mode 1
		.amdhsa_memory_ordered 1
		.amdhsa_forward_progress 0
		.amdhsa_shared_vgpr_count 0
		.amdhsa_exception_fp_ieee_invalid_op 0
		.amdhsa_exception_fp_denorm_src 0
		.amdhsa_exception_fp_ieee_div_zero 0
		.amdhsa_exception_fp_ieee_overflow 0
		.amdhsa_exception_fp_ieee_underflow 0
		.amdhsa_exception_fp_ieee_inexact 0
		.amdhsa_exception_int_div_zero 0
	.end_amdhsa_kernel
	.section	.text._ZN7rocprim17ROCPRIM_400000_NS6detail17trampoline_kernelINS0_14default_configENS1_29reduce_by_key_config_selectorIjjN6thrust23THRUST_200600_302600_NS4plusIjEEEEZZNS1_33reduce_by_key_impl_wrapped_configILNS1_25lookback_scan_determinismE0ES3_S9_NS6_6detail15normal_iteratorINS6_10device_ptrIjEEEESG_NS6_16discard_iteratorINS6_11use_defaultEEESG_PmS8_NS6_8equal_toIjEEEE10hipError_tPvRmT2_T3_mT4_T5_T6_T7_T8_P12ihipStream_tbENKUlT_T0_E_clISt17integral_constantIbLb0EES13_IbLb1EEEEDaSZ_S10_EUlSZ_E_NS1_11comp_targetILNS1_3genE10ELNS1_11target_archE1200ELNS1_3gpuE4ELNS1_3repE0EEENS1_30default_config_static_selectorELNS0_4arch9wavefront6targetE0EEEvT1_,"axG",@progbits,_ZN7rocprim17ROCPRIM_400000_NS6detail17trampoline_kernelINS0_14default_configENS1_29reduce_by_key_config_selectorIjjN6thrust23THRUST_200600_302600_NS4plusIjEEEEZZNS1_33reduce_by_key_impl_wrapped_configILNS1_25lookback_scan_determinismE0ES3_S9_NS6_6detail15normal_iteratorINS6_10device_ptrIjEEEESG_NS6_16discard_iteratorINS6_11use_defaultEEESG_PmS8_NS6_8equal_toIjEEEE10hipError_tPvRmT2_T3_mT4_T5_T6_T7_T8_P12ihipStream_tbENKUlT_T0_E_clISt17integral_constantIbLb0EES13_IbLb1EEEEDaSZ_S10_EUlSZ_E_NS1_11comp_targetILNS1_3genE10ELNS1_11target_archE1200ELNS1_3gpuE4ELNS1_3repE0EEENS1_30default_config_static_selectorELNS0_4arch9wavefront6targetE0EEEvT1_,comdat
.Lfunc_end946:
	.size	_ZN7rocprim17ROCPRIM_400000_NS6detail17trampoline_kernelINS0_14default_configENS1_29reduce_by_key_config_selectorIjjN6thrust23THRUST_200600_302600_NS4plusIjEEEEZZNS1_33reduce_by_key_impl_wrapped_configILNS1_25lookback_scan_determinismE0ES3_S9_NS6_6detail15normal_iteratorINS6_10device_ptrIjEEEESG_NS6_16discard_iteratorINS6_11use_defaultEEESG_PmS8_NS6_8equal_toIjEEEE10hipError_tPvRmT2_T3_mT4_T5_T6_T7_T8_P12ihipStream_tbENKUlT_T0_E_clISt17integral_constantIbLb0EES13_IbLb1EEEEDaSZ_S10_EUlSZ_E_NS1_11comp_targetILNS1_3genE10ELNS1_11target_archE1200ELNS1_3gpuE4ELNS1_3repE0EEENS1_30default_config_static_selectorELNS0_4arch9wavefront6targetE0EEEvT1_, .Lfunc_end946-_ZN7rocprim17ROCPRIM_400000_NS6detail17trampoline_kernelINS0_14default_configENS1_29reduce_by_key_config_selectorIjjN6thrust23THRUST_200600_302600_NS4plusIjEEEEZZNS1_33reduce_by_key_impl_wrapped_configILNS1_25lookback_scan_determinismE0ES3_S9_NS6_6detail15normal_iteratorINS6_10device_ptrIjEEEESG_NS6_16discard_iteratorINS6_11use_defaultEEESG_PmS8_NS6_8equal_toIjEEEE10hipError_tPvRmT2_T3_mT4_T5_T6_T7_T8_P12ihipStream_tbENKUlT_T0_E_clISt17integral_constantIbLb0EES13_IbLb1EEEEDaSZ_S10_EUlSZ_E_NS1_11comp_targetILNS1_3genE10ELNS1_11target_archE1200ELNS1_3gpuE4ELNS1_3repE0EEENS1_30default_config_static_selectorELNS0_4arch9wavefront6targetE0EEEvT1_
                                        ; -- End function
	.section	.AMDGPU.csdata,"",@progbits
; Kernel info:
; codeLenInByte = 0
; NumSgprs: 0
; NumVgprs: 0
; ScratchSize: 0
; MemoryBound: 0
; FloatMode: 240
; IeeeMode: 1
; LDSByteSize: 0 bytes/workgroup (compile time only)
; SGPRBlocks: 0
; VGPRBlocks: 0
; NumSGPRsForWavesPerEU: 1
; NumVGPRsForWavesPerEU: 1
; Occupancy: 16
; WaveLimiterHint : 0
; COMPUTE_PGM_RSRC2:SCRATCH_EN: 0
; COMPUTE_PGM_RSRC2:USER_SGPR: 15
; COMPUTE_PGM_RSRC2:TRAP_HANDLER: 0
; COMPUTE_PGM_RSRC2:TGID_X_EN: 1
; COMPUTE_PGM_RSRC2:TGID_Y_EN: 0
; COMPUTE_PGM_RSRC2:TGID_Z_EN: 0
; COMPUTE_PGM_RSRC2:TIDIG_COMP_CNT: 0
	.section	.text._ZN7rocprim17ROCPRIM_400000_NS6detail17trampoline_kernelINS0_14default_configENS1_29reduce_by_key_config_selectorIjjN6thrust23THRUST_200600_302600_NS4plusIjEEEEZZNS1_33reduce_by_key_impl_wrapped_configILNS1_25lookback_scan_determinismE0ES3_S9_NS6_6detail15normal_iteratorINS6_10device_ptrIjEEEESG_NS6_16discard_iteratorINS6_11use_defaultEEESG_PmS8_NS6_8equal_toIjEEEE10hipError_tPvRmT2_T3_mT4_T5_T6_T7_T8_P12ihipStream_tbENKUlT_T0_E_clISt17integral_constantIbLb0EES13_IbLb1EEEEDaSZ_S10_EUlSZ_E_NS1_11comp_targetILNS1_3genE9ELNS1_11target_archE1100ELNS1_3gpuE3ELNS1_3repE0EEENS1_30default_config_static_selectorELNS0_4arch9wavefront6targetE0EEEvT1_,"axG",@progbits,_ZN7rocprim17ROCPRIM_400000_NS6detail17trampoline_kernelINS0_14default_configENS1_29reduce_by_key_config_selectorIjjN6thrust23THRUST_200600_302600_NS4plusIjEEEEZZNS1_33reduce_by_key_impl_wrapped_configILNS1_25lookback_scan_determinismE0ES3_S9_NS6_6detail15normal_iteratorINS6_10device_ptrIjEEEESG_NS6_16discard_iteratorINS6_11use_defaultEEESG_PmS8_NS6_8equal_toIjEEEE10hipError_tPvRmT2_T3_mT4_T5_T6_T7_T8_P12ihipStream_tbENKUlT_T0_E_clISt17integral_constantIbLb0EES13_IbLb1EEEEDaSZ_S10_EUlSZ_E_NS1_11comp_targetILNS1_3genE9ELNS1_11target_archE1100ELNS1_3gpuE3ELNS1_3repE0EEENS1_30default_config_static_selectorELNS0_4arch9wavefront6targetE0EEEvT1_,comdat
	.protected	_ZN7rocprim17ROCPRIM_400000_NS6detail17trampoline_kernelINS0_14default_configENS1_29reduce_by_key_config_selectorIjjN6thrust23THRUST_200600_302600_NS4plusIjEEEEZZNS1_33reduce_by_key_impl_wrapped_configILNS1_25lookback_scan_determinismE0ES3_S9_NS6_6detail15normal_iteratorINS6_10device_ptrIjEEEESG_NS6_16discard_iteratorINS6_11use_defaultEEESG_PmS8_NS6_8equal_toIjEEEE10hipError_tPvRmT2_T3_mT4_T5_T6_T7_T8_P12ihipStream_tbENKUlT_T0_E_clISt17integral_constantIbLb0EES13_IbLb1EEEEDaSZ_S10_EUlSZ_E_NS1_11comp_targetILNS1_3genE9ELNS1_11target_archE1100ELNS1_3gpuE3ELNS1_3repE0EEENS1_30default_config_static_selectorELNS0_4arch9wavefront6targetE0EEEvT1_ ; -- Begin function _ZN7rocprim17ROCPRIM_400000_NS6detail17trampoline_kernelINS0_14default_configENS1_29reduce_by_key_config_selectorIjjN6thrust23THRUST_200600_302600_NS4plusIjEEEEZZNS1_33reduce_by_key_impl_wrapped_configILNS1_25lookback_scan_determinismE0ES3_S9_NS6_6detail15normal_iteratorINS6_10device_ptrIjEEEESG_NS6_16discard_iteratorINS6_11use_defaultEEESG_PmS8_NS6_8equal_toIjEEEE10hipError_tPvRmT2_T3_mT4_T5_T6_T7_T8_P12ihipStream_tbENKUlT_T0_E_clISt17integral_constantIbLb0EES13_IbLb1EEEEDaSZ_S10_EUlSZ_E_NS1_11comp_targetILNS1_3genE9ELNS1_11target_archE1100ELNS1_3gpuE3ELNS1_3repE0EEENS1_30default_config_static_selectorELNS0_4arch9wavefront6targetE0EEEvT1_
	.globl	_ZN7rocprim17ROCPRIM_400000_NS6detail17trampoline_kernelINS0_14default_configENS1_29reduce_by_key_config_selectorIjjN6thrust23THRUST_200600_302600_NS4plusIjEEEEZZNS1_33reduce_by_key_impl_wrapped_configILNS1_25lookback_scan_determinismE0ES3_S9_NS6_6detail15normal_iteratorINS6_10device_ptrIjEEEESG_NS6_16discard_iteratorINS6_11use_defaultEEESG_PmS8_NS6_8equal_toIjEEEE10hipError_tPvRmT2_T3_mT4_T5_T6_T7_T8_P12ihipStream_tbENKUlT_T0_E_clISt17integral_constantIbLb0EES13_IbLb1EEEEDaSZ_S10_EUlSZ_E_NS1_11comp_targetILNS1_3genE9ELNS1_11target_archE1100ELNS1_3gpuE3ELNS1_3repE0EEENS1_30default_config_static_selectorELNS0_4arch9wavefront6targetE0EEEvT1_
	.p2align	8
	.type	_ZN7rocprim17ROCPRIM_400000_NS6detail17trampoline_kernelINS0_14default_configENS1_29reduce_by_key_config_selectorIjjN6thrust23THRUST_200600_302600_NS4plusIjEEEEZZNS1_33reduce_by_key_impl_wrapped_configILNS1_25lookback_scan_determinismE0ES3_S9_NS6_6detail15normal_iteratorINS6_10device_ptrIjEEEESG_NS6_16discard_iteratorINS6_11use_defaultEEESG_PmS8_NS6_8equal_toIjEEEE10hipError_tPvRmT2_T3_mT4_T5_T6_T7_T8_P12ihipStream_tbENKUlT_T0_E_clISt17integral_constantIbLb0EES13_IbLb1EEEEDaSZ_S10_EUlSZ_E_NS1_11comp_targetILNS1_3genE9ELNS1_11target_archE1100ELNS1_3gpuE3ELNS1_3repE0EEENS1_30default_config_static_selectorELNS0_4arch9wavefront6targetE0EEEvT1_,@function
_ZN7rocprim17ROCPRIM_400000_NS6detail17trampoline_kernelINS0_14default_configENS1_29reduce_by_key_config_selectorIjjN6thrust23THRUST_200600_302600_NS4plusIjEEEEZZNS1_33reduce_by_key_impl_wrapped_configILNS1_25lookback_scan_determinismE0ES3_S9_NS6_6detail15normal_iteratorINS6_10device_ptrIjEEEESG_NS6_16discard_iteratorINS6_11use_defaultEEESG_PmS8_NS6_8equal_toIjEEEE10hipError_tPvRmT2_T3_mT4_T5_T6_T7_T8_P12ihipStream_tbENKUlT_T0_E_clISt17integral_constantIbLb0EES13_IbLb1EEEEDaSZ_S10_EUlSZ_E_NS1_11comp_targetILNS1_3genE9ELNS1_11target_archE1100ELNS1_3gpuE3ELNS1_3repE0EEENS1_30default_config_static_selectorELNS0_4arch9wavefront6targetE0EEEvT1_: ; @_ZN7rocprim17ROCPRIM_400000_NS6detail17trampoline_kernelINS0_14default_configENS1_29reduce_by_key_config_selectorIjjN6thrust23THRUST_200600_302600_NS4plusIjEEEEZZNS1_33reduce_by_key_impl_wrapped_configILNS1_25lookback_scan_determinismE0ES3_S9_NS6_6detail15normal_iteratorINS6_10device_ptrIjEEEESG_NS6_16discard_iteratorINS6_11use_defaultEEESG_PmS8_NS6_8equal_toIjEEEE10hipError_tPvRmT2_T3_mT4_T5_T6_T7_T8_P12ihipStream_tbENKUlT_T0_E_clISt17integral_constantIbLb0EES13_IbLb1EEEEDaSZ_S10_EUlSZ_E_NS1_11comp_targetILNS1_3genE9ELNS1_11target_archE1100ELNS1_3gpuE3ELNS1_3repE0EEENS1_30default_config_static_selectorELNS0_4arch9wavefront6targetE0EEEvT1_
; %bb.0:
	s_clause 0x4
	s_load_b128 s[4:7], s[0:1], 0x0
	s_load_b64 s[8:9], s[0:1], 0x10
	s_load_b64 s[18:19], s[0:1], 0x70
	s_load_b128 s[36:39], s[0:1], 0x60
	s_load_b256 s[20:27], s[0:1], 0x40
	v_cmp_ne_u32_e64 s3, 0, v0
	v_cmp_eq_u32_e64 s2, 0, v0
	s_delay_alu instid0(VALU_DEP_1)
	s_and_saveexec_b32 s10, s2
	s_cbranch_execz .LBB947_4
; %bb.1:
	s_mov_b32 s12, exec_lo
	s_mov_b32 s11, exec_lo
	v_mbcnt_lo_u32_b32 v1, s12, 0
                                        ; implicit-def: $vgpr2
	s_delay_alu instid0(VALU_DEP_1)
	v_cmpx_eq_u32_e32 0, v1
	s_cbranch_execz .LBB947_3
; %bb.2:
	s_load_b64 s[14:15], s[0:1], 0x78
	s_bcnt1_i32_b32 s12, s12
	s_delay_alu instid0(SALU_CYCLE_1)
	v_dual_mov_b32 v2, 0 :: v_dual_mov_b32 v3, s12
	s_waitcnt lgkmcnt(0)
	global_atomic_add_u32 v2, v2, v3, s[14:15] glc
.LBB947_3:
	s_or_b32 exec_lo, exec_lo, s11
	s_waitcnt vmcnt(0)
	v_readfirstlane_b32 s11, v2
	s_delay_alu instid0(VALU_DEP_1)
	v_dual_mov_b32 v2, 0 :: v_dual_add_nc_u32 v1, s11, v1
	ds_store_b32 v2, v1
.LBB947_4:
	s_or_b32 exec_lo, exec_lo, s10
	v_mov_b32_e32 v2, 0
	s_waitcnt lgkmcnt(0)
	s_barrier
	buffer_gl0_inv
	s_load_b128 s[28:31], s[0:1], 0x28
	ds_load_b32 v1, v2
	s_lshl_b64 s[6:7], s[6:7], 2
	s_mul_i32 s1, s24, s23
	s_add_u32 s13, s4, s6
	s_mul_hi_u32 s10, s24, s22
	s_addc_u32 s14, s5, s7
	s_add_u32 s6, s8, s6
	s_mul_i32 s11, s25, s22
	s_addc_u32 s7, s9, s7
	s_add_i32 s1, s10, s1
	s_mul_i32 s12, s24, s22
	s_add_i32 s1, s1, s11
	s_mov_b32 s0, 0
	s_waitcnt lgkmcnt(0)
	s_barrier
	buffer_gl0_inv
	v_readfirstlane_b32 s33, v1
	v_mul_lo_u32 v1, 0xf00, v1
	s_delay_alu instid0(VALU_DEP_2) | instskip(SKIP_3) | instid1(VALU_DEP_1)
	s_add_u32 s24, s12, s33
	s_addc_u32 s25, s1, 0
	s_add_u32 s4, s26, -1
	s_addc_u32 s5, s27, -1
	v_lshlrev_b64 v[5:6], 2, v[1:2]
	s_cmp_eq_u64 s[24:25], s[4:5]
	s_mul_i32 s26, s4, 0xfffff100
	s_cselect_b32 s17, -1, 0
	s_cmp_lg_u64 s[24:25], s[4:5]
	s_delay_alu instid0(VALU_DEP_1)
	v_add_co_u32 v4, vcc_lo, s13, v5
	v_add_co_ci_u32_e32 v2, vcc_lo, s14, v6, vcc_lo
	v_add_co_u32 v1, vcc_lo, s6, v5
	v_add_co_ci_u32_e32 v3, vcc_lo, s7, v6, vcc_lo
	s_cselect_b32 s34, -1, 0
	s_and_b32 vcc_lo, exec_lo, s17
	s_cbranch_vccnz .LBB947_6
; %bb.5:
	v_lshlrev_b32_e32 v29, 2, v0
	s_delay_alu instid0(VALU_DEP_1) | instskip(SKIP_1) | instid1(VALU_DEP_2)
	v_add_co_u32 v5, vcc_lo, v4, v29
	v_add_co_ci_u32_e32 v6, vcc_lo, 0, v2, vcc_lo
	v_add_co_u32 v7, vcc_lo, 0x1000, v5
	s_delay_alu instid0(VALU_DEP_2)
	v_add_co_ci_u32_e32 v8, vcc_lo, 0, v6, vcc_lo
	s_clause 0x7
	flat_load_b32 v9, v[5:6]
	flat_load_b32 v10, v[5:6] offset:1024
	flat_load_b32 v11, v[5:6] offset:2048
	flat_load_b32 v12, v[5:6] offset:3072
	flat_load_b32 v13, v[7:8]
	flat_load_b32 v14, v[7:8] offset:1024
	flat_load_b32 v15, v[7:8] offset:2048
	;; [unrolled: 1-line block ×3, first 2 shown]
	v_add_co_u32 v7, vcc_lo, 0x2000, v5
	v_add_co_ci_u32_e32 v8, vcc_lo, 0, v6, vcc_lo
	v_add_co_u32 v5, vcc_lo, 0x3000, v5
	v_add_co_ci_u32_e32 v6, vcc_lo, 0, v6, vcc_lo
	s_clause 0x6
	flat_load_b32 v17, v[7:8]
	flat_load_b32 v18, v[7:8] offset:1024
	flat_load_b32 v19, v[7:8] offset:2048
	;; [unrolled: 1-line block ×3, first 2 shown]
	flat_load_b32 v20, v[5:6]
	flat_load_b32 v21, v[5:6] offset:1024
	flat_load_b32 v22, v[5:6] offset:2048
	v_add_co_u32 v6, vcc_lo, v1, v29
	v_add_co_ci_u32_e32 v7, vcc_lo, 0, v3, vcc_lo
	v_mad_u32_u24 v5, v0, 56, v29
	s_delay_alu instid0(VALU_DEP_3) | instskip(NEXT) | instid1(VALU_DEP_3)
	v_add_co_u32 v23, vcc_lo, 0x1000, v6
	v_add_co_ci_u32_e32 v24, vcc_lo, 0, v7, vcc_lo
	v_add_co_u32 v25, vcc_lo, 0x2000, v6
	v_add_co_ci_u32_e32 v26, vcc_lo, 0, v7, vcc_lo
	;; [unrolled: 2-line block ×3, first 2 shown]
	s_waitcnt vmcnt(13) lgkmcnt(13)
	ds_store_2addr_stride64_b32 v29, v9, v10 offset1:4
	s_waitcnt vmcnt(11) lgkmcnt(12)
	ds_store_2addr_stride64_b32 v29, v11, v12 offset0:8 offset1:12
	s_waitcnt vmcnt(9) lgkmcnt(11)
	ds_store_2addr_stride64_b32 v29, v13, v14 offset0:16 offset1:20
	;; [unrolled: 2-line block ×6, first 2 shown]
	s_waitcnt vmcnt(0) lgkmcnt(7)
	ds_store_b32 v29, v22 offset:14336
	s_waitcnt lgkmcnt(0)
	s_barrier
	buffer_gl0_inv
	ds_load_2addr_b32 v[21:22], v5 offset1:1
	ds_load_2addr_b32 v[19:20], v5 offset0:2 offset1:3
	ds_load_2addr_b32 v[17:18], v5 offset0:4 offset1:5
	;; [unrolled: 1-line block ×6, first 2 shown]
	ds_load_b32 v63, v5 offset:56
	s_waitcnt lgkmcnt(0)
	s_barrier
	buffer_gl0_inv
	s_clause 0xe
	flat_load_b32 v8, v[6:7]
	flat_load_b32 v30, v[6:7] offset:1024
	flat_load_b32 v31, v[6:7] offset:2048
	flat_load_b32 v6, v[6:7] offset:3072
	flat_load_b32 v7, v[23:24]
	flat_load_b32 v32, v[23:24] offset:1024
	flat_load_b32 v33, v[23:24] offset:2048
	flat_load_b32 v23, v[23:24] offset:3072
	flat_load_b32 v24, v[25:26]
	flat_load_b32 v34, v[25:26] offset:1024
	flat_load_b32 v35, v[25:26] offset:2048
	flat_load_b32 v25, v[25:26] offset:3072
	flat_load_b32 v26, v[27:28]
	flat_load_b32 v36, v[27:28] offset:1024
	flat_load_b32 v27, v[27:28] offset:2048
	s_waitcnt vmcnt(13) lgkmcnt(13)
	ds_store_2addr_stride64_b32 v29, v8, v30 offset1:4
	s_waitcnt vmcnt(11) lgkmcnt(12)
	ds_store_2addr_stride64_b32 v29, v31, v6 offset0:8 offset1:12
	s_waitcnt vmcnt(9) lgkmcnt(11)
	ds_store_2addr_stride64_b32 v29, v7, v32 offset0:16 offset1:20
	s_waitcnt vmcnt(7) lgkmcnt(10)
	ds_store_2addr_stride64_b32 v29, v33, v23 offset0:24 offset1:28
	s_waitcnt vmcnt(5) lgkmcnt(9)
	ds_store_2addr_stride64_b32 v29, v24, v34 offset0:32 offset1:36
	s_waitcnt vmcnt(3) lgkmcnt(8)
	ds_store_2addr_stride64_b32 v29, v35, v25 offset0:40 offset1:44
	s_waitcnt vmcnt(1) lgkmcnt(7)
	ds_store_2addr_stride64_b32 v29, v26, v36 offset0:48 offset1:52
	s_waitcnt vmcnt(0) lgkmcnt(7)
	ds_store_b32 v29, v27 offset:14336
	s_waitcnt lgkmcnt(0)
	s_barrier
	s_and_not1_b32 vcc_lo, exec_lo, s0
	s_add_i32 s26, s26, s36
	s_cbranch_vccz .LBB947_7
	s_branch .LBB947_54
.LBB947_6:
                                        ; implicit-def: $vgpr5
                                        ; implicit-def: $vgpr21
                                        ; implicit-def: $vgpr19
                                        ; implicit-def: $vgpr17
                                        ; implicit-def: $vgpr15
                                        ; implicit-def: $vgpr13
                                        ; implicit-def: $vgpr11
                                        ; implicit-def: $vgpr9
                                        ; implicit-def: $vgpr63
	s_add_i32 s26, s26, s36
.LBB947_7:
	s_delay_alu instid0(SALU_CYCLE_1)
	v_cmp_gt_u32_e32 vcc_lo, s26, v0
                                        ; implicit-def: $vgpr5
	s_and_saveexec_b32 s1, vcc_lo
	s_cbranch_execz .LBB947_9
; %bb.8:
	v_lshlrev_b32_e32 v5, 2, v0
	s_delay_alu instid0(VALU_DEP_1) | instskip(NEXT) | instid1(VALU_DEP_1)
	v_add_co_u32 v5, s0, v4, v5
	v_add_co_ci_u32_e64 v6, s0, 0, v2, s0
	flat_load_b32 v5, v[5:6]
.LBB947_9:
	s_or_b32 exec_lo, exec_lo, s1
	v_or_b32_e32 v6, 0x100, v0
                                        ; implicit-def: $vgpr9
	s_delay_alu instid0(VALU_DEP_1) | instskip(NEXT) | instid1(VALU_DEP_1)
	v_cmp_gt_u32_e64 s0, s26, v6
	s_and_saveexec_b32 s4, s0
	s_cbranch_execz .LBB947_11
; %bb.10:
	v_lshlrev_b32_e32 v6, 2, v0
	s_delay_alu instid0(VALU_DEP_1) | instskip(NEXT) | instid1(VALU_DEP_1)
	v_add_co_u32 v6, s1, v4, v6
	v_add_co_ci_u32_e64 v7, s1, 0, v2, s1
	flat_load_b32 v9, v[6:7] offset:1024
.LBB947_11:
	s_or_b32 exec_lo, exec_lo, s4
	v_or_b32_e32 v6, 0x200, v0
                                        ; implicit-def: $vgpr10
	s_delay_alu instid0(VALU_DEP_1) | instskip(NEXT) | instid1(VALU_DEP_1)
	v_cmp_gt_u32_e64 s1, s26, v6
	s_and_saveexec_b32 s5, s1
	s_cbranch_execz .LBB947_13
; %bb.12:
	v_lshlrev_b32_e32 v6, 2, v0
	s_delay_alu instid0(VALU_DEP_1) | instskip(NEXT) | instid1(VALU_DEP_1)
	v_add_co_u32 v6, s4, v4, v6
	v_add_co_ci_u32_e64 v7, s4, 0, v2, s4
	flat_load_b32 v10, v[6:7] offset:2048
.LBB947_13:
	s_or_b32 exec_lo, exec_lo, s5
	v_or_b32_e32 v6, 0x300, v0
                                        ; implicit-def: $vgpr11
	s_delay_alu instid0(VALU_DEP_1) | instskip(NEXT) | instid1(VALU_DEP_1)
	v_cmp_gt_u32_e64 s4, s26, v6
	s_and_saveexec_b32 s6, s4
	s_cbranch_execz .LBB947_15
; %bb.14:
	v_lshlrev_b32_e32 v6, 2, v0
	s_delay_alu instid0(VALU_DEP_1) | instskip(NEXT) | instid1(VALU_DEP_1)
	v_add_co_u32 v6, s5, v4, v6
	v_add_co_ci_u32_e64 v7, s5, 0, v2, s5
	flat_load_b32 v11, v[6:7] offset:3072
.LBB947_15:
	s_or_b32 exec_lo, exec_lo, s6
	v_or_b32_e32 v6, 0x400, v0
                                        ; implicit-def: $vgpr12
	s_delay_alu instid0(VALU_DEP_1) | instskip(SKIP_1) | instid1(VALU_DEP_2)
	v_cmp_gt_u32_e64 s5, s26, v6
	v_lshlrev_b32_e32 v6, 2, v6
	s_and_saveexec_b32 s7, s5
	s_cbranch_execz .LBB947_17
; %bb.16:
	s_delay_alu instid0(VALU_DEP_1) | instskip(NEXT) | instid1(VALU_DEP_1)
	v_add_co_u32 v7, s6, v4, v6
	v_add_co_ci_u32_e64 v8, s6, 0, v2, s6
	flat_load_b32 v12, v[7:8]
.LBB947_17:
	s_or_b32 exec_lo, exec_lo, s7
	v_or_b32_e32 v7, 0x500, v0
                                        ; implicit-def: $vgpr13
	s_delay_alu instid0(VALU_DEP_1) | instskip(SKIP_1) | instid1(VALU_DEP_2)
	v_cmp_gt_u32_e64 s6, s26, v7
	v_lshlrev_b32_e32 v7, 2, v7
	s_and_saveexec_b32 s8, s6
	s_cbranch_execz .LBB947_19
; %bb.18:
	s_delay_alu instid0(VALU_DEP_1) | instskip(NEXT) | instid1(VALU_DEP_1)
	v_add_co_u32 v13, s7, v4, v7
	v_add_co_ci_u32_e64 v14, s7, 0, v2, s7
	flat_load_b32 v13, v[13:14]
.LBB947_19:
	s_or_b32 exec_lo, exec_lo, s8
	v_or_b32_e32 v8, 0x600, v0
                                        ; implicit-def: $vgpr14
	s_delay_alu instid0(VALU_DEP_1) | instskip(SKIP_1) | instid1(VALU_DEP_2)
	v_cmp_gt_u32_e64 s7, s26, v8
	v_lshlrev_b32_e32 v8, 2, v8
	s_and_saveexec_b32 s9, s7
	s_cbranch_execz .LBB947_21
; %bb.20:
	s_delay_alu instid0(VALU_DEP_1) | instskip(NEXT) | instid1(VALU_DEP_1)
	v_add_co_u32 v14, s8, v4, v8
	v_add_co_ci_u32_e64 v15, s8, 0, v2, s8
	flat_load_b32 v14, v[14:15]
.LBB947_21:
	s_or_b32 exec_lo, exec_lo, s9
	v_or_b32_e32 v15, 0x700, v0
	s_delay_alu instid0(VALU_DEP_1) | instskip(SKIP_1) | instid1(VALU_DEP_2)
	v_cmp_gt_u32_e64 s8, s26, v15
	v_lshlrev_b32_e32 v23, 2, v15
                                        ; implicit-def: $vgpr15
	s_and_saveexec_b32 s10, s8
	s_cbranch_execz .LBB947_23
; %bb.22:
	s_delay_alu instid0(VALU_DEP_1) | instskip(NEXT) | instid1(VALU_DEP_1)
	v_add_co_u32 v15, s9, v4, v23
	v_add_co_ci_u32_e64 v16, s9, 0, v2, s9
	flat_load_b32 v15, v[15:16]
.LBB947_23:
	s_or_b32 exec_lo, exec_lo, s10
	v_or_b32_e32 v16, 0x800, v0
	s_delay_alu instid0(VALU_DEP_1) | instskip(SKIP_1) | instid1(VALU_DEP_2)
	v_cmp_gt_u32_e64 s9, s26, v16
	v_lshlrev_b32_e32 v24, 2, v16
                                        ; implicit-def: $vgpr16
	s_and_saveexec_b32 s11, s9
	s_cbranch_execz .LBB947_25
; %bb.24:
	s_delay_alu instid0(VALU_DEP_1) | instskip(NEXT) | instid1(VALU_DEP_1)
	v_add_co_u32 v16, s10, v4, v24
	v_add_co_ci_u32_e64 v17, s10, 0, v2, s10
	flat_load_b32 v16, v[16:17]
.LBB947_25:
	s_or_b32 exec_lo, exec_lo, s11
	v_or_b32_e32 v17, 0x900, v0
	s_delay_alu instid0(VALU_DEP_1) | instskip(SKIP_1) | instid1(VALU_DEP_2)
	v_cmp_gt_u32_e64 s10, s26, v17
	v_lshlrev_b32_e32 v25, 2, v17
                                        ; implicit-def: $vgpr17
	s_and_saveexec_b32 s12, s10
	s_cbranch_execz .LBB947_27
; %bb.26:
	s_delay_alu instid0(VALU_DEP_1) | instskip(NEXT) | instid1(VALU_DEP_1)
	v_add_co_u32 v17, s11, v4, v25
	v_add_co_ci_u32_e64 v18, s11, 0, v2, s11
	flat_load_b32 v17, v[17:18]
.LBB947_27:
	s_or_b32 exec_lo, exec_lo, s12
	v_or_b32_e32 v18, 0xa00, v0
	s_delay_alu instid0(VALU_DEP_1) | instskip(SKIP_1) | instid1(VALU_DEP_2)
	v_cmp_gt_u32_e64 s11, s26, v18
	v_lshlrev_b32_e32 v27, 2, v18
                                        ; implicit-def: $vgpr18
	s_and_saveexec_b32 s13, s11
	s_cbranch_execz .LBB947_29
; %bb.28:
	s_delay_alu instid0(VALU_DEP_1) | instskip(NEXT) | instid1(VALU_DEP_1)
	v_add_co_u32 v18, s12, v4, v27
	v_add_co_ci_u32_e64 v19, s12, 0, v2, s12
	flat_load_b32 v18, v[18:19]
.LBB947_29:
	s_or_b32 exec_lo, exec_lo, s13
	v_or_b32_e32 v19, 0xb00, v0
	s_delay_alu instid0(VALU_DEP_1) | instskip(SKIP_1) | instid1(VALU_DEP_2)
	v_cmp_gt_u32_e64 s12, s26, v19
	v_lshlrev_b32_e32 v28, 2, v19
                                        ; implicit-def: $vgpr19
	s_and_saveexec_b32 s14, s12
	s_cbranch_execz .LBB947_31
; %bb.30:
	s_delay_alu instid0(VALU_DEP_1) | instskip(NEXT) | instid1(VALU_DEP_1)
	v_add_co_u32 v19, s13, v4, v28
	v_add_co_ci_u32_e64 v20, s13, 0, v2, s13
	flat_load_b32 v19, v[19:20]
.LBB947_31:
	s_or_b32 exec_lo, exec_lo, s14
	v_or_b32_e32 v20, 0xc00, v0
	s_delay_alu instid0(VALU_DEP_1) | instskip(SKIP_1) | instid1(VALU_DEP_2)
	v_cmp_gt_u32_e64 s13, s26, v20
	v_lshlrev_b32_e32 v29, 2, v20
                                        ; implicit-def: $vgpr20
	s_and_saveexec_b32 s15, s13
	s_cbranch_execz .LBB947_33
; %bb.32:
	s_delay_alu instid0(VALU_DEP_1) | instskip(NEXT) | instid1(VALU_DEP_1)
	v_add_co_u32 v20, s14, v4, v29
	v_add_co_ci_u32_e64 v21, s14, 0, v2, s14
	flat_load_b32 v20, v[20:21]
.LBB947_33:
	s_or_b32 exec_lo, exec_lo, s15
	v_or_b32_e32 v21, 0xd00, v0
	s_delay_alu instid0(VALU_DEP_1) | instskip(SKIP_1) | instid1(VALU_DEP_2)
	v_cmp_gt_u32_e64 s14, s26, v21
	v_lshlrev_b32_e32 v30, 2, v21
                                        ; implicit-def: $vgpr21
	s_and_saveexec_b32 s16, s14
	s_cbranch_execz .LBB947_35
; %bb.34:
	s_delay_alu instid0(VALU_DEP_1) | instskip(NEXT) | instid1(VALU_DEP_1)
	v_add_co_u32 v21, s15, v4, v30
	v_add_co_ci_u32_e64 v22, s15, 0, v2, s15
	flat_load_b32 v21, v[21:22]
.LBB947_35:
	s_or_b32 exec_lo, exec_lo, s16
	v_or_b32_e32 v22, 0xe00, v0
	s_delay_alu instid0(VALU_DEP_1) | instskip(SKIP_1) | instid1(VALU_DEP_2)
	v_cmp_gt_u32_e64 s15, s26, v22
	v_lshlrev_b32_e32 v31, 2, v22
                                        ; implicit-def: $vgpr22
	s_and_saveexec_b32 s27, s15
	s_cbranch_execz .LBB947_37
; %bb.36:
	s_delay_alu instid0(VALU_DEP_1) | instskip(NEXT) | instid1(VALU_DEP_1)
	v_add_co_u32 v32, s16, v4, v31
	v_add_co_ci_u32_e64 v33, s16, 0, v2, s16
	flat_load_b32 v22, v[32:33]
.LBB947_37:
	s_or_b32 exec_lo, exec_lo, s27
	v_lshlrev_b32_e32 v26, 2, v0
                                        ; implicit-def: $vgpr32
	s_waitcnt vmcnt(0) lgkmcnt(0)
	ds_store_2addr_stride64_b32 v26, v5, v9 offset1:4
	ds_store_2addr_stride64_b32 v26, v10, v11 offset0:8 offset1:12
	ds_store_2addr_stride64_b32 v26, v12, v13 offset0:16 offset1:20
	;; [unrolled: 1-line block ×6, first 2 shown]
	v_mad_u32_u24 v5, v0, 56, v26
	ds_store_b32 v26, v22 offset:14336
	s_waitcnt lgkmcnt(0)
	s_barrier
	buffer_gl0_inv
	ds_load_2addr_b32 v[21:22], v5 offset1:1
	ds_load_2addr_b32 v[19:20], v5 offset0:2 offset1:3
	ds_load_2addr_b32 v[17:18], v5 offset0:4 offset1:5
	;; [unrolled: 1-line block ×6, first 2 shown]
	ds_load_b32 v63, v5 offset:56
	s_waitcnt lgkmcnt(0)
	s_barrier
	buffer_gl0_inv
	s_and_saveexec_b32 s16, vcc_lo
	s_cbranch_execnz .LBB947_61
; %bb.38:
	s_or_b32 exec_lo, exec_lo, s16
                                        ; implicit-def: $vgpr33
	s_and_saveexec_b32 s16, s0
	s_cbranch_execnz .LBB947_62
.LBB947_39:
	s_or_b32 exec_lo, exec_lo, s16
                                        ; implicit-def: $vgpr34
	s_and_saveexec_b32 s0, s1
	s_cbranch_execnz .LBB947_63
.LBB947_40:
	s_or_b32 exec_lo, exec_lo, s0
                                        ; implicit-def: $vgpr35
	s_and_saveexec_b32 s0, s4
	s_cbranch_execnz .LBB947_64
.LBB947_41:
	s_or_b32 exec_lo, exec_lo, s0
                                        ; implicit-def: $vgpr36
	s_and_saveexec_b32 s0, s5
	s_cbranch_execnz .LBB947_65
.LBB947_42:
	s_or_b32 exec_lo, exec_lo, s0
                                        ; implicit-def: $vgpr6
	s_and_saveexec_b32 s0, s6
	s_cbranch_execnz .LBB947_66
.LBB947_43:
	s_or_b32 exec_lo, exec_lo, s0
                                        ; implicit-def: $vgpr7
	s_and_saveexec_b32 s0, s7
	s_cbranch_execnz .LBB947_67
.LBB947_44:
	s_or_b32 exec_lo, exec_lo, s0
                                        ; implicit-def: $vgpr8
	s_and_saveexec_b32 s0, s8
	s_cbranch_execnz .LBB947_68
.LBB947_45:
	s_or_b32 exec_lo, exec_lo, s0
                                        ; implicit-def: $vgpr23
	s_and_saveexec_b32 s0, s9
	s_cbranch_execnz .LBB947_69
.LBB947_46:
	s_or_b32 exec_lo, exec_lo, s0
                                        ; implicit-def: $vgpr24
	s_and_saveexec_b32 s0, s10
	s_cbranch_execnz .LBB947_70
.LBB947_47:
	s_or_b32 exec_lo, exec_lo, s0
                                        ; implicit-def: $vgpr25
	s_and_saveexec_b32 s0, s11
	s_cbranch_execnz .LBB947_71
.LBB947_48:
	s_or_b32 exec_lo, exec_lo, s0
                                        ; implicit-def: $vgpr27
	s_and_saveexec_b32 s0, s12
	s_cbranch_execnz .LBB947_72
.LBB947_49:
	s_or_b32 exec_lo, exec_lo, s0
                                        ; implicit-def: $vgpr28
	s_and_saveexec_b32 s0, s13
	s_cbranch_execnz .LBB947_73
.LBB947_50:
	s_or_b32 exec_lo, exec_lo, s0
                                        ; implicit-def: $vgpr29
	s_and_saveexec_b32 s0, s14
	s_cbranch_execnz .LBB947_74
.LBB947_51:
	s_or_b32 exec_lo, exec_lo, s0
                                        ; implicit-def: $vgpr30
	s_and_saveexec_b32 s0, s15
	s_cbranch_execz .LBB947_53
.LBB947_52:
	v_add_co_u32 v30, vcc_lo, v1, v31
	v_add_co_ci_u32_e32 v31, vcc_lo, 0, v3, vcc_lo
	flat_load_b32 v30, v[30:31]
.LBB947_53:
	s_or_b32 exec_lo, exec_lo, s0
	s_waitcnt vmcnt(0) lgkmcnt(0)
	ds_store_2addr_stride64_b32 v26, v32, v33 offset1:4
	ds_store_2addr_stride64_b32 v26, v34, v35 offset0:8 offset1:12
	ds_store_2addr_stride64_b32 v26, v36, v6 offset0:16 offset1:20
	;; [unrolled: 1-line block ×6, first 2 shown]
	ds_store_b32 v26, v30 offset:14336
	s_waitcnt lgkmcnt(0)
	s_barrier
.LBB947_54:
	buffer_gl0_inv
	ds_load_2addr_b32 v[35:36], v5 offset1:1
	ds_load_2addr_b32 v[33:34], v5 offset0:2 offset1:3
	ds_load_2addr_b32 v[31:32], v5 offset0:4 offset1:5
	;; [unrolled: 1-line block ×6, first 2 shown]
	ds_load_b32 v78, v5 offset:56
	s_cmp_eq_u64 s[24:25], 0
	s_waitcnt lgkmcnt(0)
	s_cselect_b32 s27, -1, 0
	s_cmp_lg_u64 s[24:25], 0
	s_barrier
	s_cselect_b32 s15, -1, 0
	s_and_b32 vcc_lo, exec_lo, s34
	buffer_gl0_inv
	s_cbranch_vccz .LBB947_60
; %bb.55:
	s_and_b32 vcc_lo, exec_lo, s15
	s_cbranch_vccz .LBB947_75
; %bb.56:
	v_add_co_u32 v5, vcc_lo, -4, v4
	v_add_co_ci_u32_e32 v6, vcc_lo, -1, v2, vcc_lo
	v_lshlrev_b32_e32 v3, 2, v0
	v_cmp_ne_u32_e32 vcc_lo, v10, v63
	v_cmp_ne_u32_e64 s0, v9, v10
	flat_load_b32 v1, v[5:6]
	v_cmp_ne_u32_e64 s1, v12, v9
	v_cmp_ne_u32_e64 s4, v11, v12
	;; [unrolled: 1-line block ×12, first 2 shown]
	s_mov_b32 s34, -1
	ds_store_b32 v3, v63
	s_waitcnt vmcnt(0) lgkmcnt(0)
	s_barrier
	buffer_gl0_inv
	s_and_saveexec_b32 s16, s3
	s_cbranch_execz .LBB947_58
; %bb.57:
	v_add_nc_u32_e32 v1, -4, v3
	ds_load_b32 v1, v1
.LBB947_58:
	s_or_b32 exec_lo, exec_lo, s16
	v_cndmask_b32_e64 v69, 0, 1, vcc_lo
	v_cndmask_b32_e64 v64, 0, 1, s0
	v_cndmask_b32_e64 v65, 0, 1, s1
	;; [unrolled: 1-line block ×13, first 2 shown]
	s_waitcnt lgkmcnt(0)
	v_cmp_ne_u32_e64 s0, v1, v21
.LBB947_59:
                                        ; implicit-def: $sgpr1
	s_branch .LBB947_87
.LBB947_60:
	s_mov_b32 s34, 0
                                        ; implicit-def: $sgpr0
                                        ; implicit-def: $vgpr69
                                        ; implicit-def: $vgpr64
                                        ; implicit-def: $vgpr65
                                        ; implicit-def: $vgpr66
                                        ; implicit-def: $vgpr67
                                        ; implicit-def: $vgpr68
                                        ; implicit-def: $vgpr70
                                        ; implicit-def: $vgpr71
                                        ; implicit-def: $vgpr72
                                        ; implicit-def: $vgpr73
                                        ; implicit-def: $vgpr74
                                        ; implicit-def: $vgpr75
                                        ; implicit-def: $vgpr76
                                        ; implicit-def: $vgpr77
                                        ; implicit-def: $sgpr1
	s_cbranch_execnz .LBB947_79
	s_branch .LBB947_87
.LBB947_61:
	v_add_co_u32 v32, vcc_lo, v1, v26
	v_add_co_ci_u32_e32 v33, vcc_lo, 0, v3, vcc_lo
	flat_load_b32 v32, v[32:33]
	s_or_b32 exec_lo, exec_lo, s16
                                        ; implicit-def: $vgpr33
	s_and_saveexec_b32 s16, s0
	s_cbranch_execz .LBB947_39
.LBB947_62:
	v_add_co_u32 v33, vcc_lo, v1, v26
	v_add_co_ci_u32_e32 v34, vcc_lo, 0, v3, vcc_lo
	flat_load_b32 v33, v[33:34] offset:1024
	s_or_b32 exec_lo, exec_lo, s16
                                        ; implicit-def: $vgpr34
	s_and_saveexec_b32 s0, s1
	s_cbranch_execz .LBB947_40
.LBB947_63:
	v_add_co_u32 v34, vcc_lo, v1, v26
	v_add_co_ci_u32_e32 v35, vcc_lo, 0, v3, vcc_lo
	flat_load_b32 v34, v[34:35] offset:2048
	s_or_b32 exec_lo, exec_lo, s0
                                        ; implicit-def: $vgpr35
	s_and_saveexec_b32 s0, s4
	s_cbranch_execz .LBB947_41
.LBB947_64:
	v_add_co_u32 v35, vcc_lo, v1, v26
	v_add_co_ci_u32_e32 v36, vcc_lo, 0, v3, vcc_lo
	flat_load_b32 v35, v[35:36] offset:3072
	s_or_b32 exec_lo, exec_lo, s0
                                        ; implicit-def: $vgpr36
	s_and_saveexec_b32 s0, s5
	s_cbranch_execz .LBB947_42
.LBB947_65:
	v_add_co_u32 v36, vcc_lo, v1, v6
	v_add_co_ci_u32_e32 v37, vcc_lo, 0, v3, vcc_lo
	flat_load_b32 v36, v[36:37]
	s_or_b32 exec_lo, exec_lo, s0
                                        ; implicit-def: $vgpr6
	s_and_saveexec_b32 s0, s6
	s_cbranch_execz .LBB947_43
.LBB947_66:
	v_add_co_u32 v6, vcc_lo, v1, v7
	v_add_co_ci_u32_e32 v7, vcc_lo, 0, v3, vcc_lo
	flat_load_b32 v6, v[6:7]
	s_or_b32 exec_lo, exec_lo, s0
                                        ; implicit-def: $vgpr7
	s_and_saveexec_b32 s0, s7
	s_cbranch_execz .LBB947_44
.LBB947_67:
	v_add_co_u32 v7, vcc_lo, v1, v8
	v_add_co_ci_u32_e32 v8, vcc_lo, 0, v3, vcc_lo
	flat_load_b32 v7, v[7:8]
	s_or_b32 exec_lo, exec_lo, s0
                                        ; implicit-def: $vgpr8
	s_and_saveexec_b32 s0, s8
	s_cbranch_execz .LBB947_45
.LBB947_68:
	v_add_co_u32 v37, vcc_lo, v1, v23
	v_add_co_ci_u32_e32 v38, vcc_lo, 0, v3, vcc_lo
	flat_load_b32 v8, v[37:38]
	s_or_b32 exec_lo, exec_lo, s0
                                        ; implicit-def: $vgpr23
	s_and_saveexec_b32 s0, s9
	s_cbranch_execz .LBB947_46
.LBB947_69:
	v_add_co_u32 v23, vcc_lo, v1, v24
	v_add_co_ci_u32_e32 v24, vcc_lo, 0, v3, vcc_lo
	flat_load_b32 v23, v[23:24]
	s_or_b32 exec_lo, exec_lo, s0
                                        ; implicit-def: $vgpr24
	s_and_saveexec_b32 s0, s10
	s_cbranch_execz .LBB947_47
.LBB947_70:
	v_add_co_u32 v24, vcc_lo, v1, v25
	v_add_co_ci_u32_e32 v25, vcc_lo, 0, v3, vcc_lo
	flat_load_b32 v24, v[24:25]
	s_or_b32 exec_lo, exec_lo, s0
                                        ; implicit-def: $vgpr25
	s_and_saveexec_b32 s0, s11
	s_cbranch_execz .LBB947_48
.LBB947_71:
	v_add_co_u32 v37, vcc_lo, v1, v27
	v_add_co_ci_u32_e32 v38, vcc_lo, 0, v3, vcc_lo
	flat_load_b32 v25, v[37:38]
	s_or_b32 exec_lo, exec_lo, s0
                                        ; implicit-def: $vgpr27
	s_and_saveexec_b32 s0, s12
	s_cbranch_execz .LBB947_49
.LBB947_72:
	v_add_co_u32 v27, vcc_lo, v1, v28
	v_add_co_ci_u32_e32 v28, vcc_lo, 0, v3, vcc_lo
	flat_load_b32 v27, v[27:28]
	s_or_b32 exec_lo, exec_lo, s0
                                        ; implicit-def: $vgpr28
	s_and_saveexec_b32 s0, s13
	s_cbranch_execz .LBB947_50
.LBB947_73:
	v_add_co_u32 v28, vcc_lo, v1, v29
	v_add_co_ci_u32_e32 v29, vcc_lo, 0, v3, vcc_lo
	flat_load_b32 v28, v[28:29]
	s_or_b32 exec_lo, exec_lo, s0
                                        ; implicit-def: $vgpr29
	s_and_saveexec_b32 s0, s14
	s_cbranch_execz .LBB947_51
.LBB947_74:
	v_add_co_u32 v29, vcc_lo, v1, v30
	v_add_co_ci_u32_e32 v30, vcc_lo, 0, v3, vcc_lo
	flat_load_b32 v29, v[29:30]
	s_or_b32 exec_lo, exec_lo, s0
                                        ; implicit-def: $vgpr30
	s_and_saveexec_b32 s0, s15
	s_cbranch_execnz .LBB947_52
	s_branch .LBB947_53
.LBB947_75:
	s_mov_b32 s34, 0
                                        ; implicit-def: $sgpr0
                                        ; implicit-def: $vgpr69
                                        ; implicit-def: $vgpr64
                                        ; implicit-def: $vgpr65
                                        ; implicit-def: $vgpr66
                                        ; implicit-def: $vgpr67
                                        ; implicit-def: $vgpr68
                                        ; implicit-def: $vgpr70
                                        ; implicit-def: $vgpr71
                                        ; implicit-def: $vgpr72
                                        ; implicit-def: $vgpr73
                                        ; implicit-def: $vgpr74
                                        ; implicit-def: $vgpr75
                                        ; implicit-def: $vgpr76
                                        ; implicit-def: $vgpr77
	s_cbranch_execz .LBB947_59
; %bb.76:
	v_cmp_ne_u32_e32 vcc_lo, v10, v63
	v_lshlrev_b32_e32 v1, 2, v0
                                        ; implicit-def: $sgpr0
	v_cndmask_b32_e64 v69, 0, 1, vcc_lo
	v_cmp_ne_u32_e32 vcc_lo, v9, v10
	ds_store_b32 v1, v63
	s_waitcnt lgkmcnt(0)
	s_barrier
	buffer_gl0_inv
	v_cndmask_b32_e64 v64, 0, 1, vcc_lo
	v_cmp_ne_u32_e32 vcc_lo, v12, v9
	v_cndmask_b32_e64 v65, 0, 1, vcc_lo
	v_cmp_ne_u32_e32 vcc_lo, v11, v12
	v_cndmask_b32_e64 v66, 0, 1, vcc_lo
	v_cmp_ne_u32_e32 vcc_lo, v14, v11
	v_cndmask_b32_e64 v67, 0, 1, vcc_lo
	v_cmp_ne_u32_e32 vcc_lo, v13, v14
	v_cndmask_b32_e64 v68, 0, 1, vcc_lo
	v_cmp_ne_u32_e32 vcc_lo, v16, v13
	v_cndmask_b32_e64 v70, 0, 1, vcc_lo
	v_cmp_ne_u32_e32 vcc_lo, v15, v16
	v_cndmask_b32_e64 v71, 0, 1, vcc_lo
	v_cmp_ne_u32_e32 vcc_lo, v18, v15
	v_cndmask_b32_e64 v72, 0, 1, vcc_lo
	v_cmp_ne_u32_e32 vcc_lo, v17, v18
	v_cndmask_b32_e64 v73, 0, 1, vcc_lo
	v_cmp_ne_u32_e32 vcc_lo, v20, v17
	v_cndmask_b32_e64 v74, 0, 1, vcc_lo
	v_cmp_ne_u32_e32 vcc_lo, v19, v20
	v_cndmask_b32_e64 v75, 0, 1, vcc_lo
	v_cmp_ne_u32_e32 vcc_lo, v22, v19
	v_cndmask_b32_e64 v76, 0, 1, vcc_lo
	v_cmp_ne_u32_e32 vcc_lo, v21, v22
	v_cndmask_b32_e64 v77, 0, 1, vcc_lo
	s_and_saveexec_b32 s1, s3
	s_delay_alu instid0(SALU_CYCLE_1)
	s_xor_b32 s1, exec_lo, s1
	s_cbranch_execz .LBB947_78
; %bb.77:
	v_add_nc_u32_e32 v1, -4, v1
	s_or_b32 s34, s34, exec_lo
	ds_load_b32 v1, v1
	s_waitcnt lgkmcnt(0)
	v_cmp_ne_u32_e32 vcc_lo, v1, v21
	s_and_b32 s0, vcc_lo, exec_lo
.LBB947_78:
	s_or_b32 exec_lo, exec_lo, s1
	s_mov_b32 s1, 1
	s_branch .LBB947_87
.LBB947_79:
	s_mul_hi_u32 s0, s24, 0xfffff100
	s_mul_i32 s1, s25, 0xfffff100
	s_sub_i32 s0, s0, s24
	s_mul_i32 s4, s24, 0xfffff100
	s_add_i32 s0, s0, s1
	s_add_u32 s24, s4, s36
	s_addc_u32 s25, s0, s37
	s_and_b32 vcc_lo, exec_lo, s15
	v_cmp_ne_u32_e64 s14, v10, v63
	v_cmp_ne_u32_e64 s15, v9, v10
	;; [unrolled: 1-line block ×14, first 2 shown]
	v_mad_u32_u24 v1, v0, 15, 14
	v_mad_u32_u24 v55, v0, 15, 13
	;; [unrolled: 1-line block ×14, first 2 shown]
	s_cbranch_vccz .LBB947_84
; %bb.80:
	v_add_co_u32 v56, vcc_lo, -4, v4
	v_add_co_ci_u32_e32 v57, vcc_lo, -1, v2, vcc_lo
	v_mov_b32_e32 v2, 0
	s_mov_b32 s34, -1
	s_mov_b32 s35, 0
	flat_load_b32 v58, v[56:57]
	v_lshlrev_b32_e32 v57, 2, v0
	v_cmp_gt_u64_e32 vcc_lo, s[24:25], v[1:2]
	v_mov_b32_e32 v56, v2
	v_mov_b32_e32 v54, v2
	;; [unrolled: 1-line block ×5, first 2 shown]
	v_cmp_gt_u64_e64 s16, s[24:25], v[55:56]
	s_and_b32 s36, vcc_lo, s14
	v_cmp_gt_u64_e32 vcc_lo, s[24:25], v[53:54]
	v_mov_b32_e32 v46, v2
	v_mov_b32_e32 v44, v2
	v_cmp_gt_u64_e64 s14, s[24:25], v[51:52]
	s_and_b32 s37, s16, s15
	v_mov_b32_e32 v42, v2
	s_and_b32 s40, vcc_lo, s13
	v_cmp_gt_u64_e32 vcc_lo, s[24:25], v[49:50]
	v_cmp_gt_u64_e64 s13, s[24:25], v[47:48]
	v_cmp_gt_u64_e64 s15, s[24:25], v[45:46]
	;; [unrolled: 1-line block ×3, first 2 shown]
	v_mov_b32_e32 v40, v2
	v_mov_b32_e32 v38, v2
	;; [unrolled: 1-line block ×5, first 2 shown]
	s_and_b32 s14, s14, s12
	s_and_b32 s41, vcc_lo, s8
	s_and_b32 s13, s13, s9
	s_and_b32 s15, s15, s10
	;; [unrolled: 1-line block ×3, first 2 shown]
	v_cmp_gt_u64_e32 vcc_lo, s[24:25], v[41:42]
	v_cmp_gt_u64_e64 s8, s[24:25], v[39:40]
	v_cmp_gt_u64_e64 s9, s[24:25], v[37:38]
	v_cmp_gt_u64_e64 s10, s[24:25], v[7:8]
	v_cmp_gt_u64_e64 s11, s[24:25], v[5:6]
	v_cmp_gt_u64_e64 s12, s[24:25], v[3:4]
	v_mul_u32_u24_e32 v56, 15, v0
	s_and_b32 s0, vcc_lo, s0
	s_and_b32 s8, s8, s1
	s_and_b32 s9, s9, s4
	;; [unrolled: 1-line block ×5, first 2 shown]
	ds_store_b32 v57, v63
	s_waitcnt vmcnt(0) lgkmcnt(0)
	s_barrier
	buffer_gl0_inv
	s_and_saveexec_b32 s6, s3
	s_cbranch_execz .LBB947_82
; %bb.81:
	v_add_nc_u32_e32 v4, -4, v57
	ds_load_b32 v58, v4
.LBB947_82:
	s_or_b32 exec_lo, exec_lo, s6
	v_mov_b32_e32 v57, v2
	v_cndmask_b32_e64 v72, 0, 1, s0
	s_waitcnt lgkmcnt(0)
	v_cmp_ne_u32_e64 s0, v58, v21
	v_cndmask_b32_e64 v69, 0, 1, s36
	v_cndmask_b32_e64 v64, 0, 1, s37
	v_cmp_gt_u64_e32 vcc_lo, s[24:25], v[56:57]
	v_cndmask_b32_e64 v65, 0, 1, s40
	v_cndmask_b32_e64 v66, 0, 1, s14
	;; [unrolled: 1-line block ×11, first 2 shown]
	s_and_b32 s0, vcc_lo, s0
	s_and_b32 vcc_lo, exec_lo, s35
	s_cbranch_vccnz .LBB947_85
.LBB947_83:
                                        ; implicit-def: $sgpr1
	v_mov_b32_e32 v79, s1
	s_and_saveexec_b32 s1, s34
	s_cbranch_execnz .LBB947_88
	s_branch .LBB947_89
.LBB947_84:
                                        ; implicit-def: $sgpr0
                                        ; implicit-def: $vgpr69
                                        ; implicit-def: $vgpr64
                                        ; implicit-def: $vgpr65
                                        ; implicit-def: $vgpr66
                                        ; implicit-def: $vgpr67
                                        ; implicit-def: $vgpr68
                                        ; implicit-def: $vgpr70
                                        ; implicit-def: $vgpr71
                                        ; implicit-def: $vgpr72
                                        ; implicit-def: $vgpr73
                                        ; implicit-def: $vgpr74
                                        ; implicit-def: $vgpr75
                                        ; implicit-def: $vgpr76
                                        ; implicit-def: $vgpr77
	s_cbranch_execz .LBB947_83
.LBB947_85:
	v_dual_mov_b32 v2, 0 :: v_dual_lshlrev_b32 v57, 2, v0
	v_cmp_ne_u32_e64 s1, v12, v9
	v_cmp_ne_u32_e32 vcc_lo, v10, v63
	v_cmp_ne_u32_e64 s0, v9, v10
	s_delay_alu instid0(VALU_DEP_4)
	v_mov_b32_e32 v54, v2
	v_mov_b32_e32 v56, v2
	v_cmp_gt_u64_e64 s4, s[24:25], v[1:2]
	v_mov_b32_e32 v50, v2
	v_mov_b32_e32 v52, v2
	v_cmp_gt_u64_e64 s6, s[24:25], v[53:54]
	v_cmp_gt_u64_e64 s5, s[24:25], v[55:56]
	v_mov_b32_e32 v48, v2
	s_and_b32 s4, s4, vcc_lo
	v_cmp_gt_u64_e32 vcc_lo, s[24:25], v[51:52]
	v_cndmask_b32_e64 v69, 0, 1, s4
	s_and_b32 s1, s6, s1
	s_and_b32 s0, s5, s0
	v_cndmask_b32_e64 v65, 0, 1, s1
	v_cmp_gt_u64_e64 s1, s[24:25], v[49:50]
	v_cmp_ne_u32_e64 s4, v14, v11
	v_cndmask_b32_e64 v64, 0, 1, s0
	v_cmp_ne_u32_e64 s0, v11, v12
	v_mov_b32_e32 v46, v2
	v_mov_b32_e32 v44, v2
	s_and_b32 s1, s1, s4
	v_cmp_ne_u32_e64 s4, v16, v13
	s_and_b32 s0, vcc_lo, s0
	v_cmp_gt_u64_e32 vcc_lo, s[24:25], v[47:48]
	v_cndmask_b32_e64 v67, 0, 1, s1
	v_cmp_gt_u64_e64 s1, s[24:25], v[45:46]
	v_cndmask_b32_e64 v66, 0, 1, s0
	v_cmp_ne_u32_e64 s0, v13, v14
	v_mov_b32_e32 v42, v2
	v_mov_b32_e32 v40, v2
	;; [unrolled: 1-line block ×3, first 2 shown]
	s_and_b32 s1, s1, s4
	s_and_b32 s0, vcc_lo, s0
	v_cmp_gt_u64_e32 vcc_lo, s[24:25], v[43:44]
	v_cndmask_b32_e64 v68, 0, 1, s0
	v_cmp_ne_u32_e64 s0, v15, v16
	v_cndmask_b32_e64 v70, 0, 1, s1
	v_cmp_gt_u64_e64 s1, s[24:25], v[41:42]
	v_cmp_ne_u32_e64 s4, v18, v15
	v_mov_b32_e32 v8, v2
	s_and_b32 s0, vcc_lo, s0
	v_cmp_gt_u64_e32 vcc_lo, s[24:25], v[39:40]
	v_cndmask_b32_e64 v71, 0, 1, s0
	s_and_b32 s1, s1, s4
	v_cmp_ne_u32_e64 s0, v17, v18
	v_cndmask_b32_e64 v72, 0, 1, s1
	v_cmp_gt_u64_e64 s1, s[24:25], v[37:38]
	v_cmp_ne_u32_e64 s4, v20, v17
	v_mov_b32_e32 v6, v2
	s_and_b32 s0, vcc_lo, s0
	v_mov_b32_e32 v4, v2
	v_cndmask_b32_e64 v73, 0, 1, s0
	s_and_b32 s0, s1, s4
	v_cmp_gt_u64_e32 vcc_lo, s[24:25], v[7:8]
	v_cndmask_b32_e64 v74, 0, 1, s0
	v_cmp_ne_u32_e64 s0, v19, v20
	v_cmp_gt_u64_e64 s1, s[24:25], v[5:6]
	v_cmp_ne_u32_e64 s4, v22, v19
	v_cmp_gt_u64_e64 s5, s[24:25], v[3:4]
	v_cmp_ne_u32_e64 s6, v21, v22
	s_and_b32 s0, vcc_lo, s0
	ds_store_b32 v57, v63
	v_cndmask_b32_e64 v75, 0, 1, s0
	s_and_b32 s0, s1, s4
	s_mov_b32 s1, 1
	v_cndmask_b32_e64 v76, 0, 1, s0
	s_and_b32 s0, s5, s6
	s_waitcnt lgkmcnt(0)
	v_cndmask_b32_e64 v77, 0, 1, s0
	s_barrier
	buffer_gl0_inv
                                        ; implicit-def: $sgpr0
	s_and_saveexec_b32 s4, s3
	s_cbranch_execz .LBB947_157
; %bb.86:
	v_add_nc_u32_e32 v1, -4, v57
	s_or_b32 s34, s34, exec_lo
	ds_load_b32 v3, v1
	v_mul_u32_u24_e32 v1, 15, v0
	s_delay_alu instid0(VALU_DEP_1) | instskip(SKIP_2) | instid1(VALU_DEP_1)
	v_cmp_gt_u64_e32 vcc_lo, s[24:25], v[1:2]
	s_waitcnt lgkmcnt(0)
	v_cmp_ne_u32_e64 s0, v3, v21
	s_and_b32 s0, vcc_lo, s0
	s_delay_alu instid0(SALU_CYCLE_1)
	s_and_b32 s0, s0, exec_lo
	s_or_b32 exec_lo, exec_lo, s4
.LBB947_87:
	v_mov_b32_e32 v79, s1
	s_and_saveexec_b32 s1, s34
.LBB947_88:
	s_delay_alu instid0(VALU_DEP_2)
	v_cndmask_b32_e64 v79, 0, 1, s0
.LBB947_89:
	s_or_b32 exec_lo, exec_lo, s1
	s_delay_alu instid0(VALU_DEP_1)
	v_add3_u32 v1, v77, v79, v76
	v_cmp_eq_u32_e64 s13, 0, v77
	v_cmp_eq_u32_e64 s12, 0, v76
	;; [unrolled: 1-line block ×4, first 2 shown]
	v_add3_u32 v84, v1, v75, v74
	v_cmp_eq_u32_e64 s9, 0, v73
	v_cmp_eq_u32_e64 s8, 0, v72
	;; [unrolled: 1-line block ×9, first 2 shown]
	v_cmp_eq_u32_e32 vcc_lo, 0, v69
	v_mbcnt_lo_u32_b32 v81, -1, 0
	v_lshrrev_b32_e32 v82, 5, v0
	v_or_b32_e32 v83, 31, v0
	s_cmp_eq_u64 s[22:23], 0
	s_cselect_b32 s16, -1, 0
	s_cmp_lg_u32 s33, 0
	s_cbranch_scc0 .LBB947_115
; %bb.90:
	v_cndmask_b32_e64 v1, 0, v35, s13
	v_add3_u32 v2, v84, v73, v72
	s_delay_alu instid0(VALU_DEP_2) | instskip(NEXT) | instid1(VALU_DEP_2)
	v_add_nc_u32_e32 v1, v1, v36
	v_add3_u32 v2, v2, v71, v70
	s_delay_alu instid0(VALU_DEP_2) | instskip(NEXT) | instid1(VALU_DEP_2)
	v_cndmask_b32_e64 v1, 0, v1, s12
	v_add3_u32 v2, v2, v68, v67
	s_delay_alu instid0(VALU_DEP_2) | instskip(NEXT) | instid1(VALU_DEP_2)
	v_add_nc_u32_e32 v1, v1, v33
	v_add3_u32 v2, v2, v66, v65
	s_delay_alu instid0(VALU_DEP_2) | instskip(NEXT) | instid1(VALU_DEP_2)
	v_cndmask_b32_e64 v1, 0, v1, s11
	v_add3_u32 v2, v2, v64, v69
	s_delay_alu instid0(VALU_DEP_2) | instskip(NEXT) | instid1(VALU_DEP_2)
	v_add_nc_u32_e32 v1, v1, v34
	v_mov_b32_dpp v5, v2 row_shr:1 row_mask:0xf bank_mask:0xf
	s_delay_alu instid0(VALU_DEP_2) | instskip(NEXT) | instid1(VALU_DEP_1)
	v_cndmask_b32_e64 v1, 0, v1, s10
	v_add_nc_u32_e32 v1, v1, v31
	s_delay_alu instid0(VALU_DEP_1) | instskip(NEXT) | instid1(VALU_DEP_1)
	v_cndmask_b32_e64 v1, 0, v1, s9
	v_add_nc_u32_e32 v1, v1, v32
	s_delay_alu instid0(VALU_DEP_1) | instskip(NEXT) | instid1(VALU_DEP_1)
	;; [unrolled: 3-line block ×9, first 2 shown]
	v_cndmask_b32_e64 v1, 0, v1, s0
	v_add_nc_u32_e32 v1, v1, v24
	s_delay_alu instid0(VALU_DEP_1) | instskip(SKIP_1) | instid1(VALU_DEP_2)
	v_cndmask_b32_e32 v1, 0, v1, vcc_lo
	v_cmp_eq_u32_e32 vcc_lo, 0, v2
	v_add_nc_u32_e32 v1, v1, v78
	s_delay_alu instid0(VALU_DEP_1) | instskip(NEXT) | instid1(VALU_DEP_1)
	v_mov_b32_dpp v3, v1 row_shr:1 row_mask:0xf bank_mask:0xf
	v_dual_cndmask_b32 v3, 0, v3 :: v_dual_and_b32 v4, 15, v81
	s_delay_alu instid0(VALU_DEP_1) | instskip(SKIP_2) | instid1(VALU_DEP_4)
	v_cmp_eq_u32_e32 vcc_lo, 0, v4
	v_cmp_lt_u32_e64 s14, 1, v4
	v_cndmask_b32_e64 v5, v5, 0, vcc_lo
	v_cndmask_b32_e64 v3, v3, 0, vcc_lo
	s_delay_alu instid0(VALU_DEP_2) | instskip(NEXT) | instid1(VALU_DEP_2)
	v_add_nc_u32_e32 v2, v5, v2
	v_add_nc_u32_e32 v1, v3, v1
	s_delay_alu instid0(VALU_DEP_2) | instskip(SKIP_1) | instid1(VALU_DEP_3)
	v_mov_b32_dpp v3, v2 row_shr:2 row_mask:0xf bank_mask:0xf
	v_cmp_eq_u32_e32 vcc_lo, 0, v2
	v_mov_b32_dpp v5, v1 row_shr:2 row_mask:0xf bank_mask:0xf
	s_delay_alu instid0(VALU_DEP_3) | instskip(SKIP_2) | instid1(VALU_DEP_2)
	v_cndmask_b32_e64 v3, 0, v3, s14
	s_and_b32 vcc_lo, s14, vcc_lo
	v_cmp_lt_u32_e64 s14, 3, v4
	v_dual_cndmask_b32 v5, 0, v5 :: v_dual_add_nc_u32 v2, v2, v3
	s_delay_alu instid0(VALU_DEP_1) | instskip(NEXT) | instid1(VALU_DEP_2)
	v_add_nc_u32_e32 v1, v5, v1
	v_mov_b32_dpp v3, v2 row_shr:4 row_mask:0xf bank_mask:0xf
	v_cmp_eq_u32_e32 vcc_lo, 0, v2
	s_delay_alu instid0(VALU_DEP_3) | instskip(NEXT) | instid1(VALU_DEP_3)
	v_mov_b32_dpp v5, v1 row_shr:4 row_mask:0xf bank_mask:0xf
	v_cndmask_b32_e64 v3, 0, v3, s14
	s_and_b32 vcc_lo, s14, vcc_lo
	v_cmp_lt_u32_e64 s14, 7, v4
	s_delay_alu instid0(VALU_DEP_2) | instskip(NEXT) | instid1(VALU_DEP_1)
	v_dual_cndmask_b32 v5, 0, v5 :: v_dual_add_nc_u32 v2, v3, v2
	v_add_nc_u32_e32 v1, v1, v5
	v_bfe_i32 v5, v81, 4, 1
	s_delay_alu instid0(VALU_DEP_3) | instskip(SKIP_1) | instid1(VALU_DEP_4)
	v_cmp_eq_u32_e32 vcc_lo, 0, v2
	v_mov_b32_dpp v3, v2 row_shr:8 row_mask:0xf bank_mask:0xf
	v_mov_b32_dpp v4, v1 row_shr:8 row_mask:0xf bank_mask:0xf
	s_and_b32 vcc_lo, s14, vcc_lo
	s_delay_alu instid0(VALU_DEP_2) | instskip(SKIP_1) | instid1(VALU_DEP_2)
	v_cndmask_b32_e64 v3, 0, v3, s14
	s_mov_b32 s14, exec_lo
	v_cndmask_b32_e32 v4, 0, v4, vcc_lo
	s_delay_alu instid0(VALU_DEP_1) | instskip(NEXT) | instid1(VALU_DEP_3)
	v_add_nc_u32_e32 v4, v4, v1
	v_add_nc_u32_e32 v1, v3, v2
	ds_swizzle_b32 v2, v4 offset:swizzle(BROADCAST,32,15)
	ds_swizzle_b32 v3, v1 offset:swizzle(BROADCAST,32,15)
	v_cmp_eq_u32_e32 vcc_lo, 0, v1
	s_waitcnt lgkmcnt(0)
	v_dual_cndmask_b32 v2, 0, v2 :: v_dual_and_b32 v3, v5, v3
	s_delay_alu instid0(VALU_DEP_1) | instskip(NEXT) | instid1(VALU_DEP_2)
	v_and_b32_e32 v2, v5, v2
	v_add_nc_u32_e32 v1, v3, v1
	v_lshlrev_b32_e32 v3, 3, v82
	s_delay_alu instid0(VALU_DEP_3)
	v_add_nc_u32_e32 v2, v2, v4
	v_cmpx_eq_u32_e64 v83, v0
	s_cbranch_execz .LBB947_92
; %bb.91:
	ds_store_b64 v3, v[1:2] offset:2064
.LBB947_92:
	s_or_b32 exec_lo, exec_lo, s14
	s_delay_alu instid0(SALU_CYCLE_1)
	s_mov_b32 s15, exec_lo
	s_waitcnt lgkmcnt(0)
	s_barrier
	buffer_gl0_inv
	v_cmpx_gt_u32_e32 8, v0
	s_cbranch_execz .LBB947_94
; %bb.93:
	v_lshlrev_b32_e32 v6, 3, v0
	v_and_b32_e32 v8, 7, v81
	ds_load_b64 v[4:5], v6 offset:2064
	v_cmp_lt_u32_e64 s14, 1, v8
	s_waitcnt lgkmcnt(0)
	v_mov_b32_dpp v7, v5 row_shr:1 row_mask:0xf bank_mask:0xf
	v_cmp_eq_u32_e32 vcc_lo, 0, v4
	v_mov_b32_dpp v37, v4 row_shr:1 row_mask:0xf bank_mask:0xf
	s_delay_alu instid0(VALU_DEP_3) | instskip(SKIP_1) | instid1(VALU_DEP_3)
	v_cndmask_b32_e32 v7, 0, v7, vcc_lo
	v_cmp_eq_u32_e32 vcc_lo, 0, v8
	v_cndmask_b32_e64 v37, v37, 0, vcc_lo
	s_delay_alu instid0(VALU_DEP_3) | instskip(NEXT) | instid1(VALU_DEP_2)
	v_cndmask_b32_e64 v7, v7, 0, vcc_lo
	v_add_nc_u32_e32 v4, v37, v4
	s_delay_alu instid0(VALU_DEP_2) | instskip(NEXT) | instid1(VALU_DEP_2)
	v_add_nc_u32_e32 v5, v7, v5
	v_cmp_eq_u32_e32 vcc_lo, 0, v4
	s_delay_alu instid0(VALU_DEP_2) | instskip(SKIP_1) | instid1(VALU_DEP_1)
	v_mov_b32_dpp v37, v5 row_shr:2 row_mask:0xf bank_mask:0xf
	s_and_b32 vcc_lo, s14, vcc_lo
	v_cndmask_b32_e32 v37, 0, v37, vcc_lo
	v_mov_b32_dpp v7, v4 row_shr:2 row_mask:0xf bank_mask:0xf
	s_delay_alu instid0(VALU_DEP_2) | instskip(NEXT) | instid1(VALU_DEP_2)
	v_add_nc_u32_e32 v5, v37, v5
	v_cndmask_b32_e64 v7, 0, v7, s14
	v_cmp_lt_u32_e64 s14, 3, v8
	s_delay_alu instid0(VALU_DEP_3) | instskip(NEXT) | instid1(VALU_DEP_3)
	v_mov_b32_dpp v8, v5 row_shr:4 row_mask:0xf bank_mask:0xf
	v_add_nc_u32_e32 v4, v7, v4
	s_delay_alu instid0(VALU_DEP_1) | instskip(SKIP_2) | instid1(VALU_DEP_1)
	v_cmp_eq_u32_e32 vcc_lo, 0, v4
	v_mov_b32_dpp v7, v4 row_shr:4 row_mask:0xf bank_mask:0xf
	s_and_b32 vcc_lo, s14, vcc_lo
	v_cndmask_b32_e64 v7, 0, v7, s14
	v_cndmask_b32_e32 v8, 0, v8, vcc_lo
	s_delay_alu instid0(VALU_DEP_2) | instskip(NEXT) | instid1(VALU_DEP_2)
	v_add_nc_u32_e32 v4, v7, v4
	v_add_nc_u32_e32 v5, v8, v5
	ds_store_b64 v6, v[4:5] offset:2064
.LBB947_94:
	s_or_b32 exec_lo, exec_lo, s15
	v_cmp_gt_u32_e32 vcc_lo, 32, v0
	v_dual_mov_b32 v37, 0 :: v_dual_mov_b32 v38, 0
	s_mov_b32 s15, exec_lo
	s_waitcnt lgkmcnt(0)
	s_barrier
	buffer_gl0_inv
	v_cmpx_lt_u32_e32 31, v0
	s_cbranch_execz .LBB947_96
; %bb.95:
	ds_load_b64 v[37:38], v3 offset:2056
	v_cmp_eq_u32_e64 s14, 0, v1
	s_waitcnt lgkmcnt(0)
	s_delay_alu instid0(VALU_DEP_1) | instskip(SKIP_1) | instid1(VALU_DEP_2)
	v_cndmask_b32_e64 v3, 0, v38, s14
	v_add_nc_u32_e32 v1, v37, v1
	v_add_nc_u32_e32 v2, v3, v2
.LBB947_96:
	s_or_b32 exec_lo, exec_lo, s15
	v_add_nc_u32_e32 v3, -1, v81
	s_delay_alu instid0(VALU_DEP_1) | instskip(NEXT) | instid1(VALU_DEP_1)
	v_cmp_gt_i32_e64 s14, 0, v3
	v_cndmask_b32_e64 v3, v3, v81, s14
	v_cmp_eq_u32_e64 s14, 0, v81
	s_delay_alu instid0(VALU_DEP_2)
	v_lshlrev_b32_e32 v3, 2, v3
	ds_bpermute_b32 v43, v3, v1
	ds_bpermute_b32 v44, v3, v2
	s_and_saveexec_b32 s22, vcc_lo
	s_cbranch_execz .LBB947_114
; %bb.97:
	v_mov_b32_e32 v4, 0
	ds_load_b64 v[1:2], v4 offset:2120
	s_waitcnt lgkmcnt(0)
	v_readfirstlane_b32 s23, v2
	s_and_saveexec_b32 s15, s14
	s_cbranch_execz .LBB947_99
; %bb.98:
	s_add_i32 s24, s33, 32
	s_mov_b32 s25, 0
	v_mov_b32_e32 v3, 1
	s_lshl_b64 s[34:35], s[24:25], 4
	s_mov_b32 s36, s25
	s_add_u32 s34, s20, s34
	s_addc_u32 s35, s21, s35
	s_and_b32 s37, s23, 0xff000000
	s_and_b32 s41, s23, 0xff0000
	s_mov_b32 s40, s25
	v_dual_mov_b32 v5, s34 :: v_dual_mov_b32 v6, s35
	s_or_b64 s[36:37], s[40:41], s[36:37]
	s_and_b32 s41, s23, 0xff00
	s_delay_alu instid0(SALU_CYCLE_1) | instskip(SKIP_1) | instid1(SALU_CYCLE_1)
	s_or_b64 s[36:37], s[36:37], s[40:41]
	s_and_b32 s41, s23, 0xff
	s_or_b64 s[24:25], s[36:37], s[40:41]
	s_delay_alu instid0(SALU_CYCLE_1)
	v_mov_b32_e32 v2, s25
	;;#ASMSTART
	global_store_dwordx4 v[5:6], v[1:4] off	
s_waitcnt vmcnt(0)
	;;#ASMEND
.LBB947_99:
	s_or_b32 exec_lo, exec_lo, s15
	v_xad_u32 v39, v81, -1, s33
	s_mov_b32 s24, 0
	s_mov_b32 s15, exec_lo
	s_delay_alu instid0(VALU_DEP_1) | instskip(NEXT) | instid1(VALU_DEP_1)
	v_add_nc_u32_e32 v3, 32, v39
	v_lshlrev_b64 v[2:3], 4, v[3:4]
	s_delay_alu instid0(VALU_DEP_1) | instskip(NEXT) | instid1(VALU_DEP_2)
	v_add_co_u32 v2, vcc_lo, s20, v2
	v_add_co_ci_u32_e32 v3, vcc_lo, s21, v3, vcc_lo
	;;#ASMSTART
	global_load_dwordx4 v[5:8], v[2:3] off glc	
s_waitcnt vmcnt(0)
	;;#ASMEND
	v_and_b32_e32 v4, 0xff, v6
	v_and_b32_e32 v8, 0xff00, v6
	;; [unrolled: 1-line block ×3, first 2 shown]
	v_or3_b32 v5, v5, 0, 0
	v_and_b32_e32 v6, 0xff000000, v6
	s_delay_alu instid0(VALU_DEP_4) | instskip(SKIP_1) | instid1(VALU_DEP_4)
	v_or3_b32 v4, 0, v4, v8
	v_and_b32_e32 v8, 0xff, v7
	v_or3_b32 v5, v5, 0, 0
	s_delay_alu instid0(VALU_DEP_3) | instskip(NEXT) | instid1(VALU_DEP_3)
	v_or3_b32 v6, v4, v40, v6
	v_cmpx_eq_u16_e32 0, v8
	s_cbranch_execz .LBB947_102
.LBB947_100:                            ; =>This Inner Loop Header: Depth=1
	;;#ASMSTART
	global_load_dwordx4 v[5:8], v[2:3] off glc	
s_waitcnt vmcnt(0)
	;;#ASMEND
	v_and_b32_e32 v4, 0xff, v7
	s_delay_alu instid0(VALU_DEP_1) | instskip(SKIP_1) | instid1(SALU_CYCLE_1)
	v_cmp_ne_u16_e32 vcc_lo, 0, v4
	s_or_b32 s24, vcc_lo, s24
	s_and_not1_b32 exec_lo, exec_lo, s24
	s_cbranch_execnz .LBB947_100
; %bb.101:
	s_or_b32 exec_lo, exec_lo, s24
.LBB947_102:
	s_delay_alu instid0(SALU_CYCLE_1)
	s_or_b32 exec_lo, exec_lo, s15
	v_cmp_ne_u32_e32 vcc_lo, 31, v81
	v_and_b32_e32 v3, 0xff, v7
	v_lshlrev_b32_e64 v45, v81, -1
	v_add_nc_u32_e32 v47, 2, v81
	v_add_nc_u32_e32 v49, 4, v81
	v_add_co_ci_u32_e32 v2, vcc_lo, 0, v81, vcc_lo
	v_cmp_eq_u16_e32 vcc_lo, 2, v3
	v_add_nc_u32_e32 v51, 8, v81
	v_add_nc_u32_e32 v53, 16, v81
	v_and_or_b32 v8, vcc_lo, v45, 0x80000000
	v_cmp_gt_u32_e32 vcc_lo, 30, v81
	s_delay_alu instid0(VALU_DEP_2) | instskip(SKIP_2) | instid1(VALU_DEP_3)
	v_ctz_i32_b32_e32 v8, v8
	v_cndmask_b32_e64 v40, 0, 1, vcc_lo
	v_cmp_eq_u32_e32 vcc_lo, 0, v5
	v_cmp_lt_u32_e64 s15, v81, v8
	s_delay_alu instid0(VALU_DEP_3) | instskip(NEXT) | instid1(VALU_DEP_2)
	v_lshlrev_b32_e32 v40, 1, v40
	s_and_b32 vcc_lo, s15, vcc_lo
	v_lshlrev_b32_e32 v2, 2, v2
	s_delay_alu instid0(VALU_DEP_2)
	v_add_lshl_u32 v46, v40, v81, 2
	ds_bpermute_b32 v3, v2, v6
	s_waitcnt lgkmcnt(0)
	v_cndmask_b32_e32 v3, 0, v3, vcc_lo
	ds_bpermute_b32 v4, v2, v5
	v_cmp_gt_u32_e32 vcc_lo, 28, v81
	v_add_nc_u32_e32 v3, v3, v6
	ds_bpermute_b32 v6, v46, v3
	s_waitcnt lgkmcnt(1)
	v_cndmask_b32_e64 v4, 0, v4, s15
	s_delay_alu instid0(VALU_DEP_1) | instskip(SKIP_1) | instid1(VALU_DEP_2)
	v_add_nc_u32_e32 v4, v4, v5
	v_cndmask_b32_e64 v5, 0, 1, vcc_lo
	v_cmp_eq_u32_e32 vcc_lo, 0, v4
	ds_bpermute_b32 v40, v46, v4
	s_waitcnt lgkmcnt(1)
	v_dual_cndmask_b32 v6, 0, v6 :: v_dual_lshlrev_b32 v5, 2, v5
	v_cmp_gt_u32_e32 vcc_lo, v47, v8
	s_delay_alu instid0(VALU_DEP_2) | instskip(NEXT) | instid1(VALU_DEP_3)
	v_add_lshl_u32 v48, v5, v81, 2
	v_cndmask_b32_e64 v6, v6, 0, vcc_lo
	s_delay_alu instid0(VALU_DEP_1) | instskip(SKIP_4) | instid1(VALU_DEP_2)
	v_add_nc_u32_e32 v3, v6, v3
	ds_bpermute_b32 v5, v48, v3
	s_waitcnt lgkmcnt(1)
	v_cndmask_b32_e64 v6, v40, 0, vcc_lo
	v_cmp_gt_u32_e32 vcc_lo, 24, v81
	v_add_nc_u32_e32 v4, v4, v6
	v_cndmask_b32_e64 v40, 0, 1, vcc_lo
	ds_bpermute_b32 v6, v48, v4
	v_cmp_eq_u32_e32 vcc_lo, 0, v4
	v_lshlrev_b32_e32 v40, 3, v40
	s_delay_alu instid0(VALU_DEP_1) | instskip(SKIP_3) | instid1(VALU_DEP_2)
	v_add_lshl_u32 v50, v40, v81, 2
	s_waitcnt lgkmcnt(1)
	v_cndmask_b32_e32 v5, 0, v5, vcc_lo
	v_cmp_gt_u32_e32 vcc_lo, v49, v8
	v_cndmask_b32_e64 v5, v5, 0, vcc_lo
	s_delay_alu instid0(VALU_DEP_1)
	v_add_nc_u32_e32 v3, v3, v5
	s_waitcnt lgkmcnt(0)
	v_cndmask_b32_e64 v6, v6, 0, vcc_lo
	v_cmp_gt_u32_e32 vcc_lo, 16, v81
	ds_bpermute_b32 v5, v50, v3
	v_add_nc_u32_e32 v4, v4, v6
	v_cndmask_b32_e64 v40, 0, 1, vcc_lo
	ds_bpermute_b32 v6, v50, v4
	v_cmp_eq_u32_e32 vcc_lo, 0, v4
	v_lshlrev_b32_e32 v40, 4, v40
	s_delay_alu instid0(VALU_DEP_1) | instskip(SKIP_3) | instid1(VALU_DEP_2)
	v_add_lshl_u32 v52, v40, v81, 2
	s_waitcnt lgkmcnt(1)
	v_dual_mov_b32 v40, 0 :: v_dual_cndmask_b32 v5, 0, v5
	v_cmp_gt_u32_e32 vcc_lo, v51, v8
	v_cndmask_b32_e64 v5, v5, 0, vcc_lo
	s_delay_alu instid0(VALU_DEP_1)
	v_add_nc_u32_e32 v3, v3, v5
	s_waitcnt lgkmcnt(0)
	v_cndmask_b32_e64 v5, v6, 0, vcc_lo
	ds_bpermute_b32 v6, v52, v3
	v_add_nc_u32_e32 v4, v4, v5
	ds_bpermute_b32 v5, v52, v4
	v_cmp_eq_u32_e32 vcc_lo, 0, v4
	s_waitcnt lgkmcnt(1)
	v_cndmask_b32_e32 v6, 0, v6, vcc_lo
	v_cmp_gt_u32_e32 vcc_lo, v53, v8
	s_delay_alu instid0(VALU_DEP_2) | instskip(SKIP_2) | instid1(VALU_DEP_2)
	v_cndmask_b32_e64 v6, v6, 0, vcc_lo
	s_waitcnt lgkmcnt(0)
	v_cndmask_b32_e64 v5, v5, 0, vcc_lo
	v_add_nc_u32_e32 v6, v6, v3
	s_delay_alu instid0(VALU_DEP_2)
	v_add_nc_u32_e32 v5, v5, v4
	s_branch .LBB947_104
.LBB947_103:                            ;   in Loop: Header=BB947_104 Depth=1
	s_or_b32 exec_lo, exec_lo, s15
	v_and_b32_e32 v8, 0xff, v7
	ds_bpermute_b32 v41, v2, v5
	v_subrev_nc_u32_e32 v39, 32, v39
	v_cmp_eq_u16_e32 vcc_lo, 2, v8
	ds_bpermute_b32 v8, v2, v6
	v_and_or_b32 v42, vcc_lo, v45, 0x80000000
	v_cmp_eq_u32_e32 vcc_lo, 0, v5
	s_delay_alu instid0(VALU_DEP_2) | instskip(NEXT) | instid1(VALU_DEP_1)
	v_ctz_i32_b32_e32 v42, v42
	v_cmp_lt_u32_e64 s15, v81, v42
	s_delay_alu instid0(VALU_DEP_1) | instskip(SKIP_4) | instid1(VALU_DEP_2)
	s_and_b32 vcc_lo, s15, vcc_lo
	s_waitcnt lgkmcnt(1)
	v_cndmask_b32_e64 v41, 0, v41, s15
	s_waitcnt lgkmcnt(0)
	v_cndmask_b32_e32 v8, 0, v8, vcc_lo
	v_add_nc_u32_e32 v5, v41, v5
	s_delay_alu instid0(VALU_DEP_2)
	v_add_nc_u32_e32 v6, v8, v6
	ds_bpermute_b32 v41, v46, v5
	ds_bpermute_b32 v8, v46, v6
	v_cmp_eq_u32_e32 vcc_lo, 0, v5
	s_waitcnt lgkmcnt(0)
	v_cndmask_b32_e32 v8, 0, v8, vcc_lo
	v_cmp_gt_u32_e32 vcc_lo, v47, v42
	v_cndmask_b32_e64 v41, v41, 0, vcc_lo
	s_delay_alu instid0(VALU_DEP_1) | instskip(NEXT) | instid1(VALU_DEP_4)
	v_add_nc_u32_e32 v5, v5, v41
	v_cndmask_b32_e64 v8, v8, 0, vcc_lo
	ds_bpermute_b32 v41, v48, v5
	v_add_nc_u32_e32 v6, v8, v6
	v_cmp_eq_u32_e32 vcc_lo, 0, v5
	ds_bpermute_b32 v8, v48, v6
	s_waitcnt lgkmcnt(0)
	v_cndmask_b32_e32 v8, 0, v8, vcc_lo
	v_cmp_gt_u32_e32 vcc_lo, v49, v42
	v_cndmask_b32_e64 v41, v41, 0, vcc_lo
	s_delay_alu instid0(VALU_DEP_1) | instskip(NEXT) | instid1(VALU_DEP_4)
	v_add_nc_u32_e32 v5, v5, v41
	v_cndmask_b32_e64 v8, v8, 0, vcc_lo
	ds_bpermute_b32 v41, v50, v5
	v_add_nc_u32_e32 v6, v6, v8
	v_cmp_eq_u32_e32 vcc_lo, 0, v5
	ds_bpermute_b32 v8, v50, v6
	;; [unrolled: 11-line block ×3, first 2 shown]
	s_waitcnt lgkmcnt(0)
	v_cndmask_b32_e32 v8, 0, v8, vcc_lo
	v_cmp_gt_u32_e32 vcc_lo, v53, v42
	s_delay_alu instid0(VALU_DEP_2) | instskip(NEXT) | instid1(VALU_DEP_1)
	v_cndmask_b32_e64 v8, v8, 0, vcc_lo
	v_add_nc_u32_e32 v6, v8, v6
	v_cndmask_b32_e64 v8, v41, 0, vcc_lo
	v_cmp_eq_u32_e32 vcc_lo, 0, v3
	s_delay_alu instid0(VALU_DEP_2) | instskip(NEXT) | instid1(VALU_DEP_4)
	v_add3_u32 v5, v5, v3, v8
	v_cndmask_b32_e32 v6, 0, v6, vcc_lo
	s_delay_alu instid0(VALU_DEP_1)
	v_add_nc_u32_e32 v6, v6, v4
.LBB947_104:                            ; =>This Loop Header: Depth=1
                                        ;     Child Loop BB947_107 Depth 2
	s_delay_alu instid0(VALU_DEP_1) | instskip(NEXT) | instid1(VALU_DEP_1)
	v_dual_mov_b32 v4, v6 :: v_dual_and_b32 v3, 0xff, v7
	v_cmp_ne_u16_e32 vcc_lo, 2, v3
	v_cndmask_b32_e64 v3, 0, 1, vcc_lo
	;;#ASMSTART
	;;#ASMEND
	s_delay_alu instid0(VALU_DEP_1)
	v_cmp_ne_u32_e32 vcc_lo, 0, v3
	v_mov_b32_e32 v3, v5
	s_cmp_lg_u32 vcc_lo, exec_lo
	s_cbranch_scc1 .LBB947_109
; %bb.105:                              ;   in Loop: Header=BB947_104 Depth=1
	v_lshlrev_b64 v[5:6], 4, v[39:40]
	s_mov_b32 s15, exec_lo
	s_delay_alu instid0(VALU_DEP_1) | instskip(NEXT) | instid1(VALU_DEP_2)
	v_add_co_u32 v41, vcc_lo, s20, v5
	v_add_co_ci_u32_e32 v42, vcc_lo, s21, v6, vcc_lo
	;;#ASMSTART
	global_load_dwordx4 v[5:8], v[41:42] off glc	
s_waitcnt vmcnt(0)
	;;#ASMEND
	v_and_b32_e32 v8, 0xff, v6
	v_and_b32_e32 v54, 0xff00, v6
	;; [unrolled: 1-line block ×3, first 2 shown]
	v_or3_b32 v5, v5, 0, 0
	v_and_b32_e32 v6, 0xff000000, v6
	s_delay_alu instid0(VALU_DEP_4) | instskip(SKIP_1) | instid1(VALU_DEP_4)
	v_or3_b32 v8, 0, v8, v54
	v_and_b32_e32 v54, 0xff, v7
	v_or3_b32 v5, v5, 0, 0
	s_delay_alu instid0(VALU_DEP_3) | instskip(NEXT) | instid1(VALU_DEP_3)
	v_or3_b32 v6, v8, v55, v6
	v_cmpx_eq_u16_e32 0, v54
	s_cbranch_execz .LBB947_103
; %bb.106:                              ;   in Loop: Header=BB947_104 Depth=1
	s_mov_b32 s24, 0
.LBB947_107:                            ;   Parent Loop BB947_104 Depth=1
                                        ; =>  This Inner Loop Header: Depth=2
	;;#ASMSTART
	global_load_dwordx4 v[5:8], v[41:42] off glc	
s_waitcnt vmcnt(0)
	;;#ASMEND
	v_and_b32_e32 v8, 0xff, v7
	s_delay_alu instid0(VALU_DEP_1) | instskip(SKIP_1) | instid1(SALU_CYCLE_1)
	v_cmp_ne_u16_e32 vcc_lo, 0, v8
	s_or_b32 s24, vcc_lo, s24
	s_and_not1_b32 exec_lo, exec_lo, s24
	s_cbranch_execnz .LBB947_107
; %bb.108:                              ;   in Loop: Header=BB947_104 Depth=1
	s_or_b32 exec_lo, exec_lo, s24
	s_branch .LBB947_103
.LBB947_109:                            ;   in Loop: Header=BB947_104 Depth=1
                                        ; implicit-def: $vgpr6
                                        ; implicit-def: $vgpr5
                                        ; implicit-def: $vgpr7
	s_cbranch_execz .LBB947_104
; %bb.110:
	s_and_saveexec_b32 s15, s14
	s_cbranch_execz .LBB947_112
; %bb.111:
	v_cmp_eq_u32_e32 vcc_lo, 0, v1
	s_mov_b32 s25, 0
	s_add_i32 s24, s33, 32
	v_add_nc_u32_e32 v5, v3, v1
	s_lshl_b64 s[24:25], s[24:25], 4
	v_cndmask_b32_e32 v2, 0, v4, vcc_lo
	s_add_u32 s24, s20, s24
	s_addc_u32 s25, s21, s25
	v_mov_b32_e32 v8, 0
	s_delay_alu instid0(VALU_DEP_2) | instskip(NEXT) | instid1(VALU_DEP_1)
	v_add_nc_u32_e32 v2, s23, v2
	v_and_b32_e32 v6, 0xff000000, v2
	v_and_b32_e32 v7, 0xff0000, v2
	s_delay_alu instid0(VALU_DEP_1) | instskip(SKIP_3) | instid1(VALU_DEP_1)
	v_or_b32_e32 v6, v7, v6
	v_mov_b32_e32 v7, 2
	v_and_b32_e32 v39, 0xff00, v2
	v_and_b32_e32 v2, 0xff, v2
	v_or3_b32 v6, v6, v39, v2
	v_mov_b32_e32 v2, s23
	v_dual_mov_b32 v40, s25 :: v_dual_mov_b32 v39, s24
	;;#ASMSTART
	global_store_dwordx4 v[39:40], v[5:8] off	
s_waitcnt vmcnt(0)
	;;#ASMEND
	ds_store_b128 v8, v[1:4] offset:2048
.LBB947_112:
	s_or_b32 exec_lo, exec_lo, s15
	s_delay_alu instid0(SALU_CYCLE_1)
	s_and_b32 exec_lo, exec_lo, s2
	s_cbranch_execz .LBB947_114
; %bb.113:
	v_mov_b32_e32 v1, 0
	ds_store_b64 v1, v[3:4] offset:2120
.LBB947_114:
	s_or_b32 exec_lo, exec_lo, s22
	s_waitcnt lgkmcnt(1)
	v_cndmask_b32_e64 v4, v43, v37, s14
	s_waitcnt lgkmcnt(0)
	s_barrier
	buffer_gl0_inv
	v_cndmask_b32_e64 v5, v44, v38, s14
	v_cmp_eq_u32_e32 vcc_lo, 0, v4
	v_mov_b32_e32 v3, 0
	ds_load_b64 v[1:2], v3 offset:2120
	s_waitcnt lgkmcnt(0)
	s_barrier
	buffer_gl0_inv
	v_cndmask_b32_e32 v6, 0, v2, vcc_lo
	v_cmp_eq_u32_e32 vcc_lo, 0, v79
	s_delay_alu instid0(VALU_DEP_2) | instskip(NEXT) | instid1(VALU_DEP_1)
	v_add_nc_u32_e32 v5, v6, v5
	v_cndmask_b32_e64 v54, v5, v2, s2
	s_delay_alu instid0(VALU_DEP_1) | instskip(NEXT) | instid1(VALU_DEP_1)
	v_cndmask_b32_e32 v2, 0, v54, vcc_lo
	v_add_nc_u32_e32 v60, v2, v35
	s_delay_alu instid0(VALU_DEP_1) | instskip(NEXT) | instid1(VALU_DEP_1)
	v_cndmask_b32_e64 v2, 0, v60, s13
	v_add_nc_u32_e32 v56, v2, v36
	s_delay_alu instid0(VALU_DEP_1) | instskip(NEXT) | instid1(VALU_DEP_1)
	v_cndmask_b32_e64 v2, 0, v56, s12
	;; [unrolled: 3-line block ×5, first 2 shown]
	v_add_nc_u32_e32 v40, v2, v32
	v_cndmask_b32_e64 v2, v4, 0, s2
	s_delay_alu instid0(VALU_DEP_2) | instskip(NEXT) | instid1(VALU_DEP_2)
	v_cndmask_b32_e64 v4, 0, v40, s8
	v_add_nc_u32_e32 v53, v1, v2
	s_delay_alu instid0(VALU_DEP_2) | instskip(NEXT) | instid1(VALU_DEP_1)
	v_add_nc_u32_e32 v44, v4, v29
	v_cndmask_b32_e64 v1, 0, v44, s7
	s_delay_alu instid0(VALU_DEP_1) | instskip(NEXT) | instid1(VALU_DEP_1)
	v_add_nc_u32_e32 v48, v1, v30
	v_cndmask_b32_e64 v1, 0, v48, s6
	s_delay_alu instid0(VALU_DEP_1) | instskip(NEXT) | instid1(VALU_DEP_1)
	;; [unrolled: 3-line block ×3, first 2 shown]
	v_add_nc_u32_e32 v8, v1, v28
	v_cndmask_b32_e64 v1, 0, v8, s4
	s_delay_alu instid0(VALU_DEP_1) | instskip(SKIP_2) | instid1(VALU_DEP_1)
	v_add_nc_u32_e32 v38, v1, v25
	ds_load_b128 v[1:4], v3 offset:2048
	v_cndmask_b32_e64 v37, 0, v38, s3
	v_add_nc_u32_e32 v62, v37, v26
	s_delay_alu instid0(VALU_DEP_1) | instskip(NEXT) | instid1(VALU_DEP_1)
	v_cndmask_b32_e64 v49, 0, v62, s1
	v_add_nc_u32_e32 v58, v49, v23
	s_waitcnt lgkmcnt(0)
	v_cmp_eq_u32_e32 vcc_lo, 0, v1
	s_delay_alu instid0(VALU_DEP_2) | instskip(SKIP_1) | instid1(VALU_DEP_2)
	v_cndmask_b32_e64 v50, 0, v58, s0
	v_dual_cndmask_b32 v4, 0, v4 :: v_dual_add_nc_u32 v59, v53, v79
	v_add_nc_u32_e32 v50, v50, v24
	s_delay_alu instid0(VALU_DEP_2) | instskip(NEXT) | instid1(VALU_DEP_3)
	v_add_nc_u32_e32 v80, v4, v2
	v_add_nc_u32_e32 v55, v59, v77
	s_delay_alu instid0(VALU_DEP_1) | instskip(NEXT) | instid1(VALU_DEP_1)
	v_add_nc_u32_e32 v51, v55, v76
	v_add_nc_u32_e32 v45, v51, v75
	s_delay_alu instid0(VALU_DEP_1) | instskip(NEXT) | instid1(VALU_DEP_1)
	;; [unrolled: 3-line block ×6, first 2 shown]
	v_add_nc_u32_e32 v57, v61, v65
	v_add_nc_u32_e32 v49, v57, v64
	s_branch .LBB947_127
.LBB947_115:
                                        ; implicit-def: $vgpr1
                                        ; implicit-def: $vgpr80
                                        ; implicit-def: $vgpr53_vgpr54
                                        ; implicit-def: $vgpr59_vgpr60
                                        ; implicit-def: $vgpr55_vgpr56
                                        ; implicit-def: $vgpr51_vgpr52
                                        ; implicit-def: $vgpr45_vgpr46
                                        ; implicit-def: $vgpr41_vgpr42
                                        ; implicit-def: $vgpr39_vgpr40
                                        ; implicit-def: $vgpr43_vgpr44
                                        ; implicit-def: $vgpr47_vgpr48
                                        ; implicit-def: $vgpr5_vgpr6
                                        ; implicit-def: $vgpr7_vgpr8
                                        ; implicit-def: $vgpr37_vgpr38
                                        ; implicit-def: $vgpr61_vgpr62
                                        ; implicit-def: $vgpr57_vgpr58
                                        ; implicit-def: $vgpr49_vgpr50
	s_cbranch_execz .LBB947_127
; %bb.116:
	s_and_b32 s0, s16, exec_lo
	v_mov_b32_e32 v49, v35
	s_cselect_b32 s1, 0, s19
	s_cselect_b32 s0, 0, s18
	s_delay_alu instid0(SALU_CYCLE_1)
	s_cmp_eq_u64 s[0:1], 0
	s_cbranch_scc1 .LBB947_118
; %bb.117:
	v_mov_b32_e32 v1, 0
	global_load_b32 v49, v1, s[0:1]
.LBB947_118:
	v_cmp_eq_u32_e64 s7, 0, v77
	v_cmp_eq_u32_e64 s8, 0, v76
	;; [unrolled: 1-line block ×5, first 2 shown]
	v_cndmask_b32_e64 v1, 0, v35, s7
	v_cmp_eq_u32_e64 s12, 0, v72
	v_cmp_eq_u32_e64 s6, 0, v71
	;; [unrolled: 1-line block ×4, first 2 shown]
	v_add_nc_u32_e32 v1, v1, v36
	v_cmp_eq_u32_e64 s3, 0, v67
	v_add3_u32 v2, v84, v73, v72
	v_cmp_eq_u32_e64 s1, 0, v66
	v_cmp_eq_u32_e32 vcc_lo, 0, v65
	v_cndmask_b32_e64 v1, 0, v1, s8
	v_cmp_eq_u32_e64 s0, 0, v64
	v_add3_u32 v2, v2, v71, v70
	v_cmp_eq_u32_e64 s13, 0, v69
	v_and_b32_e32 v4, 15, v81
	v_add_nc_u32_e32 v1, v1, v33
	s_delay_alu instid0(VALU_DEP_4) | instskip(NEXT) | instid1(VALU_DEP_3)
	v_add3_u32 v2, v2, v68, v67
	v_cmp_lt_u32_e64 s14, 1, v4
	s_delay_alu instid0(VALU_DEP_3) | instskip(NEXT) | instid1(VALU_DEP_3)
	v_cndmask_b32_e64 v1, 0, v1, s9
	v_add3_u32 v2, v2, v66, v65
	s_delay_alu instid0(VALU_DEP_2) | instskip(NEXT) | instid1(VALU_DEP_2)
	v_add_nc_u32_e32 v1, v1, v34
	v_add3_u32 v2, v2, v64, v69
	s_delay_alu instid0(VALU_DEP_2) | instskip(NEXT) | instid1(VALU_DEP_2)
	v_cndmask_b32_e64 v1, 0, v1, s10
	v_mov_b32_dpp v5, v2 row_shr:1 row_mask:0xf bank_mask:0xf
	s_delay_alu instid0(VALU_DEP_2) | instskip(NEXT) | instid1(VALU_DEP_1)
	v_add_nc_u32_e32 v1, v1, v31
	v_cndmask_b32_e64 v1, 0, v1, s11
	s_delay_alu instid0(VALU_DEP_1) | instskip(NEXT) | instid1(VALU_DEP_1)
	v_add_nc_u32_e32 v1, v1, v32
	v_cndmask_b32_e64 v1, 0, v1, s12
	s_delay_alu instid0(VALU_DEP_1) | instskip(NEXT) | instid1(VALU_DEP_1)
	;; [unrolled: 3-line block ×7, first 2 shown]
	v_add_nc_u32_e32 v1, v1, v26
	v_cndmask_b32_e32 v1, 0, v1, vcc_lo
	s_delay_alu instid0(VALU_DEP_1) | instskip(NEXT) | instid1(VALU_DEP_1)
	v_add_nc_u32_e32 v1, v1, v23
	v_cndmask_b32_e64 v1, 0, v1, s0
	s_delay_alu instid0(VALU_DEP_1) | instskip(NEXT) | instid1(VALU_DEP_1)
	v_add_nc_u32_e32 v1, v1, v24
	v_cndmask_b32_e64 v1, 0, v1, s13
	v_cmp_eq_u32_e64 s13, 0, v2
	s_delay_alu instid0(VALU_DEP_2) | instskip(NEXT) | instid1(VALU_DEP_1)
	v_add_nc_u32_e32 v1, v1, v78
	v_mov_b32_dpp v3, v1 row_shr:1 row_mask:0xf bank_mask:0xf
	s_delay_alu instid0(VALU_DEP_1) | instskip(SKIP_1) | instid1(VALU_DEP_1)
	v_cndmask_b32_e64 v3, 0, v3, s13
	v_cmp_eq_u32_e64 s13, 0, v4
	v_cndmask_b32_e64 v5, v5, 0, s13
	s_delay_alu instid0(VALU_DEP_3) | instskip(NEXT) | instid1(VALU_DEP_2)
	v_cndmask_b32_e64 v3, v3, 0, s13
	v_add_nc_u32_e32 v2, v5, v2
	s_delay_alu instid0(VALU_DEP_2) | instskip(NEXT) | instid1(VALU_DEP_2)
	v_add_nc_u32_e32 v1, v3, v1
	v_mov_b32_dpp v3, v2 row_shr:2 row_mask:0xf bank_mask:0xf
	v_cmp_eq_u32_e64 s13, 0, v2
	s_delay_alu instid0(VALU_DEP_3) | instskip(NEXT) | instid1(VALU_DEP_3)
	v_mov_b32_dpp v5, v1 row_shr:2 row_mask:0xf bank_mask:0xf
	v_cndmask_b32_e64 v3, 0, v3, s14
	s_delay_alu instid0(VALU_DEP_3) | instskip(SKIP_1) | instid1(VALU_DEP_3)
	s_and_b32 s13, s14, s13
	v_cmp_lt_u32_e64 s14, 3, v4
	v_cndmask_b32_e64 v5, 0, v5, s13
	s_delay_alu instid0(VALU_DEP_3) | instskip(NEXT) | instid1(VALU_DEP_2)
	v_add_nc_u32_e32 v2, v2, v3
	v_add_nc_u32_e32 v1, v5, v1
	s_delay_alu instid0(VALU_DEP_2) | instskip(SKIP_1) | instid1(VALU_DEP_3)
	v_mov_b32_dpp v3, v2 row_shr:4 row_mask:0xf bank_mask:0xf
	v_cmp_eq_u32_e64 s13, 0, v2
	v_mov_b32_dpp v5, v1 row_shr:4 row_mask:0xf bank_mask:0xf
	s_delay_alu instid0(VALU_DEP_3) | instskip(NEXT) | instid1(VALU_DEP_3)
	v_cndmask_b32_e64 v3, 0, v3, s14
	s_and_b32 s13, s14, s13
	v_cmp_lt_u32_e64 s14, 7, v4
	s_delay_alu instid0(VALU_DEP_3) | instskip(NEXT) | instid1(VALU_DEP_3)
	v_cndmask_b32_e64 v5, 0, v5, s13
	v_add_nc_u32_e32 v2, v3, v2
	s_delay_alu instid0(VALU_DEP_2) | instskip(SKIP_1) | instid1(VALU_DEP_3)
	v_add_nc_u32_e32 v1, v1, v5
	v_bfe_i32 v5, v81, 4, 1
	v_cmp_eq_u32_e64 s13, 0, v2
	v_mov_b32_dpp v3, v2 row_shr:8 row_mask:0xf bank_mask:0xf
	s_delay_alu instid0(VALU_DEP_4) | instskip(NEXT) | instid1(VALU_DEP_3)
	v_mov_b32_dpp v4, v1 row_shr:8 row_mask:0xf bank_mask:0xf
	s_and_b32 s13, s14, s13
	s_delay_alu instid0(VALU_DEP_2) | instskip(SKIP_1) | instid1(VALU_DEP_2)
	v_cndmask_b32_e64 v3, 0, v3, s14
	s_mov_b32 s14, exec_lo
	v_cndmask_b32_e64 v4, 0, v4, s13
	s_delay_alu instid0(VALU_DEP_1) | instskip(NEXT) | instid1(VALU_DEP_3)
	v_add_nc_u32_e32 v4, v4, v1
	v_add_nc_u32_e32 v1, v3, v2
	ds_swizzle_b32 v2, v4 offset:swizzle(BROADCAST,32,15)
	ds_swizzle_b32 v3, v1 offset:swizzle(BROADCAST,32,15)
	v_cmp_eq_u32_e64 s13, 0, v1
	s_waitcnt lgkmcnt(1)
	s_delay_alu instid0(VALU_DEP_1) | instskip(SKIP_2) | instid1(VALU_DEP_2)
	v_cndmask_b32_e64 v2, 0, v2, s13
	s_waitcnt lgkmcnt(0)
	v_and_b32_e32 v3, v5, v3
	v_and_b32_e32 v2, v5, v2
	s_delay_alu instid0(VALU_DEP_2) | instskip(NEXT) | instid1(VALU_DEP_2)
	v_add_nc_u32_e32 v1, v3, v1
	v_add_nc_u32_e32 v2, v2, v4
	v_lshlrev_b32_e32 v4, 3, v82
	v_cmpx_eq_u32_e64 v83, v0
	s_cbranch_execz .LBB947_120
; %bb.119:
	ds_store_b64 v4, v[1:2] offset:2064
.LBB947_120:
	s_or_b32 exec_lo, exec_lo, s14
	s_delay_alu instid0(SALU_CYCLE_1)
	s_mov_b32 s15, exec_lo
	s_waitcnt vmcnt(0) lgkmcnt(0)
	s_barrier
	buffer_gl0_inv
	v_cmpx_gt_u32_e32 8, v0
	s_cbranch_execz .LBB947_122
; %bb.121:
	v_lshlrev_b32_e32 v3, 3, v0
	v_and_b32_e32 v8, 7, v81
	ds_load_b64 v[5:6], v3 offset:2064
	v_cmp_lt_u32_e64 s14, 1, v8
	s_waitcnt lgkmcnt(0)
	v_mov_b32_dpp v7, v6 row_shr:1 row_mask:0xf bank_mask:0xf
	v_cmp_eq_u32_e64 s13, 0, v5
	v_mov_b32_dpp v37, v5 row_shr:1 row_mask:0xf bank_mask:0xf
	s_delay_alu instid0(VALU_DEP_2) | instskip(SKIP_1) | instid1(VALU_DEP_1)
	v_cndmask_b32_e64 v7, 0, v7, s13
	v_cmp_eq_u32_e64 s13, 0, v8
	v_cndmask_b32_e64 v37, v37, 0, s13
	s_delay_alu instid0(VALU_DEP_3) | instskip(NEXT) | instid1(VALU_DEP_2)
	v_cndmask_b32_e64 v7, v7, 0, s13
	v_add_nc_u32_e32 v5, v37, v5
	s_delay_alu instid0(VALU_DEP_2) | instskip(NEXT) | instid1(VALU_DEP_2)
	v_add_nc_u32_e32 v6, v7, v6
	v_mov_b32_dpp v7, v5 row_shr:2 row_mask:0xf bank_mask:0xf
	v_cmp_eq_u32_e64 s13, 0, v5
	s_delay_alu instid0(VALU_DEP_3) | instskip(NEXT) | instid1(VALU_DEP_3)
	v_mov_b32_dpp v37, v6 row_shr:2 row_mask:0xf bank_mask:0xf
	v_cndmask_b32_e64 v7, 0, v7, s14
	s_delay_alu instid0(VALU_DEP_3) | instskip(SKIP_1) | instid1(VALU_DEP_3)
	s_and_b32 s13, s14, s13
	v_cmp_lt_u32_e64 s14, 3, v8
	v_cndmask_b32_e64 v37, 0, v37, s13
	s_delay_alu instid0(VALU_DEP_3) | instskip(NEXT) | instid1(VALU_DEP_2)
	v_add_nc_u32_e32 v5, v7, v5
	v_add_nc_u32_e32 v6, v37, v6
	s_delay_alu instid0(VALU_DEP_2) | instskip(SKIP_1) | instid1(VALU_DEP_3)
	v_cmp_eq_u32_e64 s13, 0, v5
	v_mov_b32_dpp v7, v5 row_shr:4 row_mask:0xf bank_mask:0xf
	v_mov_b32_dpp v8, v6 row_shr:4 row_mask:0xf bank_mask:0xf
	s_delay_alu instid0(VALU_DEP_3) | instskip(NEXT) | instid1(VALU_DEP_2)
	s_and_b32 s13, s14, s13
	v_cndmask_b32_e64 v7, 0, v7, s14
	s_delay_alu instid0(VALU_DEP_2) | instskip(NEXT) | instid1(VALU_DEP_2)
	v_cndmask_b32_e64 v8, 0, v8, s13
	v_add_nc_u32_e32 v5, v7, v5
	s_delay_alu instid0(VALU_DEP_2)
	v_add_nc_u32_e32 v6, v8, v6
	ds_store_b64 v3, v[5:6] offset:2064
.LBB947_122:
	s_or_b32 exec_lo, exec_lo, s15
	v_mov_b32_e32 v7, 0
	v_mov_b32_e32 v3, 0
	;; [unrolled: 1-line block ×3, first 2 shown]
	s_mov_b32 s14, exec_lo
	s_waitcnt lgkmcnt(0)
	s_barrier
	buffer_gl0_inv
	v_cmpx_lt_u32_e32 31, v0
	s_cbranch_execz .LBB947_124
; %bb.123:
	ds_load_b64 v[3:4], v4 offset:2056
	s_waitcnt lgkmcnt(0)
	v_cmp_eq_u32_e64 s13, 0, v3
	s_delay_alu instid0(VALU_DEP_1) | instskip(NEXT) | instid1(VALU_DEP_1)
	v_cndmask_b32_e64 v5, 0, v49, s13
	v_add_nc_u32_e32 v5, v5, v4
.LBB947_124:
	s_or_b32 exec_lo, exec_lo, s14
	v_add_nc_u32_e32 v4, -1, v81
	s_delay_alu instid0(VALU_DEP_1) | instskip(NEXT) | instid1(VALU_DEP_1)
	v_cmp_gt_i32_e64 s13, 0, v4
	v_cndmask_b32_e64 v4, v4, v81, s13
	v_cmp_eq_u32_e64 s13, 0, v1
	v_add_nc_u32_e32 v1, v3, v1
	s_delay_alu instid0(VALU_DEP_3) | instskip(NEXT) | instid1(VALU_DEP_3)
	v_lshlrev_b32_e32 v4, 2, v4
	v_cndmask_b32_e64 v6, 0, v5, s13
	v_cmp_eq_u32_e64 s13, 0, v81
	ds_bpermute_b32 v1, v4, v1
	v_add_nc_u32_e32 v2, v6, v2
	ds_bpermute_b32 v2, v4, v2
	s_waitcnt lgkmcnt(1)
	v_cndmask_b32_e64 v1, v1, v3, s13
	s_delay_alu instid0(VALU_DEP_1) | instskip(SKIP_3) | instid1(VALU_DEP_2)
	v_cndmask_b32_e64 v53, v1, 0, s2
	s_waitcnt lgkmcnt(0)
	v_cndmask_b32_e64 v2, v2, v5, s13
	v_cmp_eq_u32_e64 s13, 0, v79
	v_cndmask_b32_e64 v54, v2, v49, s2
	s_delay_alu instid0(VALU_DEP_1) | instskip(NEXT) | instid1(VALU_DEP_1)
	v_cndmask_b32_e64 v2, 0, v54, s13
	v_add_nc_u32_e32 v60, v2, v35
	s_delay_alu instid0(VALU_DEP_1) | instskip(NEXT) | instid1(VALU_DEP_1)
	v_cndmask_b32_e64 v2, 0, v60, s7
	v_add_nc_u32_e32 v56, v2, v36
	;; [unrolled: 3-line block ×11, first 2 shown]
	ds_load_b64 v[1:2], v7 offset:2120
	v_cndmask_b32_e64 v3, 0, v38, s1
	s_delay_alu instid0(VALU_DEP_1) | instskip(NEXT) | instid1(VALU_DEP_1)
	v_add_nc_u32_e32 v62, v3, v26
	v_cndmask_b32_e32 v3, 0, v62, vcc_lo
	s_delay_alu instid0(VALU_DEP_1) | instskip(SKIP_3) | instid1(VALU_DEP_3)
	v_add_nc_u32_e32 v58, v3, v23
	s_waitcnt lgkmcnt(0)
	v_cmp_eq_u32_e32 vcc_lo, 0, v1
	v_add_nc_u32_e32 v59, v53, v79
	v_cndmask_b32_e64 v3, 0, v58, s0
	v_cndmask_b32_e32 v4, 0, v49, vcc_lo
	s_delay_alu instid0(VALU_DEP_3) | instskip(NEXT) | instid1(VALU_DEP_3)
	v_add_nc_u32_e32 v55, v59, v77
	v_add_nc_u32_e32 v50, v3, v24
	s_delay_alu instid0(VALU_DEP_3) | instskip(NEXT) | instid1(VALU_DEP_3)
	v_add_nc_u32_e32 v80, v4, v2
	v_add_nc_u32_e32 v51, v55, v76
	s_delay_alu instid0(VALU_DEP_1) | instskip(NEXT) | instid1(VALU_DEP_1)
	v_add_nc_u32_e32 v45, v51, v75
	v_add_nc_u32_e32 v41, v45, v74
	s_delay_alu instid0(VALU_DEP_1) | instskip(NEXT) | instid1(VALU_DEP_1)
	;; [unrolled: 3-line block ×5, first 2 shown]
	v_add_nc_u32_e32 v61, v37, v66
	v_add_nc_u32_e32 v57, v61, v65
	s_delay_alu instid0(VALU_DEP_1)
	v_add_nc_u32_e32 v49, v57, v64
	s_and_saveexec_b32 s0, s2
	s_cbranch_execz .LBB947_126
; %bb.125:
	v_and_b32_e32 v2, 0xff000000, v80
	v_dual_mov_b32 v4, 0 :: v_dual_and_b32 v3, 0xff0000, v80
	s_add_u32 s4, s20, 0x200
	v_and_b32_e32 v23, 0xff00, v80
	s_addc_u32 s5, s21, 0
	v_and_b32_e32 v24, 0xff, v80
	v_or_b32_e32 v2, v3, v2
	v_mov_b32_e32 v3, 2
	s_delay_alu instid0(VALU_DEP_2)
	v_or3_b32 v2, v2, v23, v24
	v_dual_mov_b32 v24, s5 :: v_dual_mov_b32 v23, s4
	;;#ASMSTART
	global_store_dwordx4 v[23:24], v[1:4] off	
s_waitcnt vmcnt(0)
	;;#ASMEND
.LBB947_126:
	s_or_b32 exec_lo, exec_lo, s0
	v_mov_b32_e32 v3, 0
.LBB947_127:
	v_mov_b32_e32 v23, 0
	s_and_b32 s0, s16, exec_lo
	v_mov_b32_e32 v24, 0
	s_cselect_b32 s1, 0, s39
	s_cselect_b32 s0, 0, s38
	s_delay_alu instid0(SALU_CYCLE_1)
	s_cmp_eq_u64 s[0:1], 0
	s_barrier
	buffer_gl0_inv
	s_cbranch_scc1 .LBB947_129
; %bb.128:
	v_mov_b32_e32 v2, 0
	global_load_b64 v[23:24], v2, s[0:1]
.LBB947_129:
	v_cmp_gt_u32_e32 vcc_lo, 0x100, v1
	s_cbranch_vccnz .LBB947_136
; %bb.130:
	v_cmp_eq_u32_e32 vcc_lo, 0, v77
	v_cmp_eq_u32_e64 s0, 0, v65
	v_cmp_eq_u32_e64 s1, 0, v64
	v_cmp_ne_u32_e64 s12, 0, v79
	v_cmp_ne_u32_e64 s3, 0, v66
	v_cndmask_b32_e64 v2, 1, 2, vcc_lo
	v_cmp_eq_u32_e32 vcc_lo, 0, v79
	v_cndmask_b32_e64 v26, 1, 2, s1
	v_cmp_ne_u32_e64 s1, 0, v65
	v_cmp_ne_u32_e64 s4, 0, v67
	v_cmp_ne_u32_e64 s5, 0, v68
	v_cndmask_b32_e64 v4, 1, 2, vcc_lo
	v_cmp_eq_u32_e32 vcc_lo, 0, v76
	v_cmp_ne_u32_e64 s6, 0, v70
	v_cmp_ne_u32_e64 s7, 0, v71
	;; [unrolled: 1-line block ×3, first 2 shown]
	v_and_b32_e32 v2, v2, v4
	v_cndmask_b32_e64 v25, 1, 2, vcc_lo
	v_cmp_eq_u32_e32 vcc_lo, 0, v75
	v_cmp_ne_u32_e64 s9, 0, v73
	v_cmp_ne_u32_e64 s10, 0, v74
	;; [unrolled: 1-line block ×3, first 2 shown]
	v_and_b32_e32 v2, v2, v25
	v_cndmask_b32_e64 v4, 1, 2, vcc_lo
	v_cmp_eq_u32_e32 vcc_lo, 0, v74
	v_cmp_ne_u32_e64 s13, 0, v76
	v_cmp_ne_u32_e64 s14, 0, v77
	s_mov_b32 s18, 0
	v_and_b32_e32 v2, v2, v4
	v_cndmask_b32_e64 v25, 1, 2, vcc_lo
	v_cmp_eq_u32_e32 vcc_lo, 0, v73
	s_mov_b32 s16, exec_lo
	s_delay_alu instid0(VALU_DEP_2) | instskip(SKIP_2) | instid1(VALU_DEP_2)
	v_and_b32_e32 v2, v2, v25
	v_cndmask_b32_e64 v4, 1, 2, vcc_lo
	v_cmp_eq_u32_e32 vcc_lo, 0, v72
	v_and_b32_e32 v2, v2, v4
	v_cndmask_b32_e64 v25, 1, 2, vcc_lo
	v_cmp_eq_u32_e32 vcc_lo, 0, v71
	s_delay_alu instid0(VALU_DEP_2) | instskip(SKIP_2) | instid1(VALU_DEP_2)
	v_and_b32_e32 v2, v2, v25
	v_cndmask_b32_e64 v4, 1, 2, vcc_lo
	v_cmp_eq_u32_e32 vcc_lo, 0, v70
	v_and_b32_e32 v2, v2, v4
	v_cndmask_b32_e64 v25, 1, 2, vcc_lo
	v_cmp_eq_u32_e32 vcc_lo, 0, v68
	s_delay_alu instid0(VALU_DEP_2) | instskip(SKIP_2) | instid1(VALU_DEP_2)
	v_and_b32_e32 v2, v2, v25
	v_cndmask_b32_e64 v4, 1, 2, vcc_lo
	v_cmp_eq_u32_e32 vcc_lo, 0, v67
	v_and_b32_e32 v2, v2, v4
	v_cndmask_b32_e64 v25, 1, 2, vcc_lo
	v_cmp_eq_u32_e32 vcc_lo, 0, v66
	s_delay_alu instid0(VALU_DEP_2) | instskip(SKIP_4) | instid1(VALU_DEP_4)
	v_and_b32_e32 v2, v2, v25
	v_cndmask_b32_e64 v4, 1, 2, vcc_lo
	v_cndmask_b32_e64 v25, 1, 2, s0
	v_cmp_eq_u32_e64 s0, 0, v69
	v_cmp_ne_u32_e32 vcc_lo, 0, v69
	v_and_b32_e32 v2, v2, v4
	s_delay_alu instid0(VALU_DEP_3) | instskip(SKIP_1) | instid1(VALU_DEP_3)
	v_cndmask_b32_e64 v4, 1, 2, s0
	v_cmp_ne_u32_e64 s0, 0, v64
	v_and_b32_e32 v2, v2, v25
	s_delay_alu instid0(VALU_DEP_1) | instskip(NEXT) | instid1(VALU_DEP_1)
	v_and_b32_e32 v2, v2, v26
	v_and_b32_e32 v2, v2, v4
	s_delay_alu instid0(VALU_DEP_1)
	v_cmpx_gt_i16_e32 2, v2
	s_cbranch_execz .LBB947_135
; %bb.131:
	v_cmp_ne_u16_e64 s15, 1, v2
	s_delay_alu instid0(VALU_DEP_1) | instskip(NEXT) | instid1(SALU_CYCLE_1)
	s_and_saveexec_b32 s19, s15
	s_xor_b32 s15, exec_lo, s19
	s_cbranch_execnz .LBB947_158
; %bb.132:
	s_and_not1_saveexec_b32 s0, s15
	s_cbranch_execnz .LBB947_174
.LBB947_133:
	s_or_b32 exec_lo, exec_lo, s0
	s_delay_alu instid0(SALU_CYCLE_1)
	s_and_b32 exec_lo, exec_lo, s18
	s_cbranch_execz .LBB947_135
.LBB947_134:
	v_sub_nc_u32_e32 v2, v49, v3
	s_delay_alu instid0(VALU_DEP_1)
	v_lshlrev_b32_e32 v2, 2, v2
	ds_store_b32 v2, v63
.LBB947_135:
	s_or_b32 exec_lo, exec_lo, s16
	s_waitcnt vmcnt(0) lgkmcnt(0)
	s_barrier
	buffer_gl0_inv
.LBB947_136:
	s_cmpk_lg_i32 s26, 0xf00
	v_cndmask_b32_e64 v13, 0, 1, s27
	s_cselect_b32 s0, -1, 0
	v_mad_i32_i24 v10, v0, -15, s26
	s_and_b32 s0, s0, s17
	s_and_b32 s1, s2, s27
	v_cndmask_b32_e64 v9, 0, 1, s0
	s_mul_hi_u32 s0, s26, 0x88888889
	v_sub_nc_u32_e32 v2, v1, v13
	s_lshr_b32 s0, s0, 3
	v_cndmask_b32_e64 v11, v79, 0, s1
	v_cmp_eq_u32_e32 vcc_lo, s0, v0
	v_cmp_ne_u32_e64 s0, 0, v10
	s_mov_b32 s16, -1
	s_waitcnt vmcnt(0)
	s_barrier
	s_and_b32 vcc_lo, vcc_lo, s17
	v_add_nc_u32_e32 v2, v2, v9
	v_cndmask_b32_e64 v9, 1, v11, s0
	v_cmp_ne_u32_e64 s0, 1, v10
	buffer_gl0_inv
	v_cndmask_b32_e32 v18, v11, v9, vcc_lo
	v_cndmask_b32_e64 v12, 1, v77, s0
	v_cmp_ne_u32_e64 s0, 2, v10
	s_delay_alu instid0(VALU_DEP_2) | instskip(NEXT) | instid1(VALU_DEP_2)
	v_cndmask_b32_e32 v19, v77, v12, vcc_lo
	v_cndmask_b32_e64 v14, 1, v76, s0
	v_cmp_ne_u32_e64 s0, 14, v10
	s_delay_alu instid0(VALU_DEP_3) | instskip(NEXT) | instid1(VALU_DEP_2)
	v_cmp_ne_u32_e64 s13, 0, v19
	v_cndmask_b32_e64 v15, 1, v69, s0
	v_cmp_ne_u32_e64 s0, 3, v10
	s_delay_alu instid0(VALU_DEP_2) | instskip(NEXT) | instid1(VALU_DEP_2)
	v_dual_mov_b32 v4, 0 :: v_dual_cndmask_b32 v15, v69, v15
	v_cndmask_b32_e64 v16, 1, v75, s0
	v_cmp_ne_u32_e64 s0, 4, v10
	s_delay_alu instid0(VALU_DEP_1) | instskip(SKIP_1) | instid1(VALU_DEP_2)
	v_cndmask_b32_e64 v17, 1, v74, s0
	v_cmp_ne_u32_e64 s0, 5, v10
	v_dual_cndmask_b32 v14, v76, v14 :: v_dual_cndmask_b32 v17, v74, v17
	s_delay_alu instid0(VALU_DEP_2) | instskip(SKIP_2) | instid1(VALU_DEP_4)
	v_cndmask_b32_e64 v9, 1, v73, s0
	v_cmp_ne_u32_e64 s0, 6, v10
	v_cndmask_b32_e32 v16, v75, v16, vcc_lo
	v_cmp_ne_u32_e64 s12, 0, v14
	v_cmp_ne_u32_e64 s10, 0, v17
	v_cndmask_b32_e32 v27, v73, v9, vcc_lo
	v_cndmask_b32_e64 v11, 1, v72, s0
	v_cmp_eq_u32_e64 s0, 0, v18
	v_cmp_ne_u32_e64 s11, 0, v16
	s_delay_alu instid0(VALU_DEP_4) | instskip(NEXT) | instid1(VALU_DEP_3)
	v_cmp_ne_u32_e64 s9, 0, v27
	v_cndmask_b32_e64 v12, 1, 2, s0
	v_cmp_eq_u32_e64 s0, 0, v19
	s_delay_alu instid0(VALU_DEP_1) | instskip(SKIP_1) | instid1(VALU_DEP_1)
	v_cndmask_b32_e64 v20, 1, 2, s0
	v_cmp_ne_u32_e64 s0, 7, v10
	v_cndmask_b32_e64 v21, 1, v71, s0
	v_cmp_eq_u32_e64 s0, 0, v14
	s_delay_alu instid0(VALU_DEP_2) | instskip(NEXT) | instid1(VALU_DEP_2)
	v_dual_cndmask_b32 v21, v71, v21 :: v_dual_and_b32 v12, v20, v12
	v_cndmask_b32_e64 v20, 1, 2, s0
	v_cmp_ne_u32_e64 s0, 8, v10
	s_delay_alu instid0(VALU_DEP_3) | instskip(NEXT) | instid1(VALU_DEP_3)
	v_cmp_ne_u32_e64 s7, 0, v21
	v_and_b32_e32 v12, v12, v20
	s_delay_alu instid0(VALU_DEP_3) | instskip(SKIP_1) | instid1(VALU_DEP_2)
	v_cndmask_b32_e64 v22, 1, v70, s0
	v_cmp_ne_u32_e64 s0, 9, v10
	v_cndmask_b32_e32 v22, v70, v22, vcc_lo
	s_delay_alu instid0(VALU_DEP_2) | instskip(SKIP_1) | instid1(VALU_DEP_3)
	v_cndmask_b32_e64 v25, 1, v68, s0
	v_cmp_eq_u32_e64 s0, 0, v16
	v_cmp_ne_u32_e64 s6, 0, v22
	s_delay_alu instid0(VALU_DEP_3) | instskip(NEXT) | instid1(VALU_DEP_3)
	v_cndmask_b32_e32 v25, v68, v25, vcc_lo
	v_cndmask_b32_e64 v20, 1, 2, s0
	v_cmp_ne_u32_e64 s0, 10, v10
	s_delay_alu instid0(VALU_DEP_3) | instskip(NEXT) | instid1(VALU_DEP_3)
	v_cmp_ne_u32_e64 s5, 0, v25
	v_and_b32_e32 v9, v12, v20
	s_delay_alu instid0(VALU_DEP_3) | instskip(SKIP_2) | instid1(VALU_DEP_3)
	v_cndmask_b32_e64 v26, 1, v67, s0
	v_cmp_eq_u32_e64 s0, 0, v17
	v_cmp_ne_u32_e64 s14, 0, v18
	v_cndmask_b32_e32 v26, v67, v26, vcc_lo
	s_delay_alu instid0(VALU_DEP_3) | instskip(SKIP_1) | instid1(VALU_DEP_3)
	v_cndmask_b32_e64 v12, 1, 2, s0
	v_cmp_ne_u32_e64 s0, 11, v10
	v_cmp_ne_u32_e64 s4, 0, v26
	s_delay_alu instid0(VALU_DEP_3) | instskip(NEXT) | instid1(VALU_DEP_3)
	v_and_b32_e32 v9, v9, v12
	v_cndmask_b32_e64 v20, 1, v66, s0
	v_cmp_ne_u32_e64 s0, 13, v10
	s_delay_alu instid0(VALU_DEP_2) | instskip(NEXT) | instid1(VALU_DEP_2)
	v_cndmask_b32_e32 v20, v66, v20, vcc_lo
	v_cndmask_b32_e64 v28, 1, v64, s0
	v_cmp_eq_u32_e64 s0, 0, v27
	s_delay_alu instid0(VALU_DEP_3) | instskip(NEXT) | instid1(VALU_DEP_2)
	v_cmp_ne_u32_e64 s3, 0, v20
	v_cndmask_b32_e64 v12, 1, 2, s0
	v_cmp_ne_u32_e64 s0, 12, v10
	s_delay_alu instid0(VALU_DEP_2) | instskip(NEXT) | instid1(VALU_DEP_2)
	v_and_b32_e32 v9, v9, v12
	v_cndmask_b32_e64 v10, 1, v65, s0
	s_delay_alu instid0(VALU_DEP_1) | instskip(NEXT) | instid1(VALU_DEP_1)
	v_dual_cndmask_b32 v29, v72, v11 :: v_dual_cndmask_b32 v30, v65, v10
	v_cmp_eq_u32_e64 s0, 0, v29
	v_cmp_ne_u32_e64 s8, 0, v29
	s_delay_alu instid0(VALU_DEP_3) | instskip(NEXT) | instid1(VALU_DEP_3)
	v_cmp_ne_u32_e64 s2, 0, v30
	v_cndmask_b32_e64 v11, 1, 2, s0
	v_cmp_eq_u32_e64 s0, 0, v21
	v_cndmask_b32_e32 v28, v64, v28, vcc_lo
	v_cmp_eq_u32_e32 vcc_lo, 0, v22
	s_delay_alu instid0(VALU_DEP_4)
	v_and_b32_e32 v31, v9, v11
	v_lshlrev_b64 v[9:10], 2, v[23:24]
	v_cndmask_b32_e64 v32, 1, 2, s0
	v_lshlrev_b64 v[11:12], 2, v[3:4]
	v_cmp_ne_u32_e64 s1, 0, v28
	v_cmp_ne_u32_e64 s0, 0, v15
	s_delay_alu instid0(VALU_DEP_4) | instskip(SKIP_4) | instid1(VALU_DEP_4)
	v_and_b32_e32 v4, v31, v32
	v_cndmask_b32_e64 v31, 1, 2, vcc_lo
	v_add_co_u32 v9, vcc_lo, s28, v9
	v_add_co_ci_u32_e32 v10, vcc_lo, s29, v10, vcc_lo
	v_cmp_eq_u32_e32 vcc_lo, 0, v25
	v_and_b32_e32 v4, v4, v31
	v_cndmask_b32_e64 v31, 1, 2, vcc_lo
	v_add_co_u32 v9, vcc_lo, v9, v11
	v_add_co_ci_u32_e32 v10, vcc_lo, v10, v12, vcc_lo
	v_lshlrev_b32_e32 v11, 2, v13
	v_cmp_eq_u32_e32 vcc_lo, 0, v26
	v_and_b32_e32 v4, v4, v31
	v_cndmask_b32_e64 v12, 1, 2, vcc_lo
	s_delay_alu instid0(VALU_DEP_4) | instskip(SKIP_2) | instid1(VALU_DEP_4)
	v_add_co_u32 v11, vcc_lo, v11, v9
	v_add_co_ci_u32_e32 v31, vcc_lo, 0, v10, vcc_lo
	v_cmp_eq_u32_e32 vcc_lo, 0, v20
	v_and_b32_e32 v32, v4, v12
	v_add_nc_u32_e32 v4, v3, v13
	v_cndmask_b32_e64 v33, 1, 2, vcc_lo
	v_add_co_u32 v11, vcc_lo, v11, -4
	v_add_co_ci_u32_e32 v12, vcc_lo, -1, v31, vcc_lo
	v_cmp_eq_u32_e32 vcc_lo, 0, v30
	s_delay_alu instid0(VALU_DEP_4) | instskip(SKIP_2) | instid1(VALU_DEP_2)
	v_and_b32_e32 v13, v32, v33
	v_cndmask_b32_e64 v31, 1, 2, vcc_lo
	v_cmp_eq_u32_e32 vcc_lo, 0, v28
	v_and_b32_e32 v13, v13, v31
	v_cndmask_b32_e64 v14, 1, 2, vcc_lo
	v_cmp_eq_u32_e32 vcc_lo, 0, v15
	s_delay_alu instid0(VALU_DEP_2) | instskip(SKIP_2) | instid1(VALU_DEP_2)
	v_and_b32_e32 v13, v13, v14
	v_cndmask_b32_e64 v14, 1, 2, vcc_lo
	v_cmp_gt_u32_e32 vcc_lo, 0x100, v2
	v_and_b32_e32 v13, v13, v14
	s_delay_alu instid0(VALU_DEP_1)
	v_cmp_gt_i16_e64 s15, 2, v13
	s_cbranch_vccnz .LBB947_140
; %bb.137:
	s_and_b32 vcc_lo, exec_lo, s16
	s_cbranch_vccnz .LBB947_146
.LBB947_138:
	v_cmp_eq_u32_e32 vcc_lo, 0xff, v0
	s_and_b32 s0, vcc_lo, s17
	s_delay_alu instid0(SALU_CYCLE_1)
	s_and_saveexec_b32 s1, s0
	s_cbranch_execnz .LBB947_155
.LBB947_139:
	s_nop 0
	s_sendmsg sendmsg(MSG_DEALLOC_VGPRS)
	s_endpgm
.LBB947_140:
	s_delay_alu instid0(VALU_DEP_1)
	s_and_saveexec_b32 s16, s15
	s_cbranch_execz .LBB947_145
; %bb.141:
	s_mov_b32 s18, 0
	s_mov_b32 s15, exec_lo
	v_cmpx_ne_u16_e32 1, v13
	s_xor_b32 s15, exec_lo, s15
	s_cbranch_execnz .LBB947_175
; %bb.142:
	s_and_not1_saveexec_b32 s15, s15
	s_cbranch_execnz .LBB947_191
.LBB947_143:
	s_or_b32 exec_lo, exec_lo, s15
	s_delay_alu instid0(SALU_CYCLE_1)
	s_and_b32 exec_lo, exec_lo, s18
	s_cbranch_execz .LBB947_145
.LBB947_144:
	v_sub_nc_u32_e32 v14, v49, v4
	v_mov_b32_e32 v15, 0
	s_delay_alu instid0(VALU_DEP_1) | instskip(NEXT) | instid1(VALU_DEP_1)
	v_lshlrev_b64 v[14:15], 2, v[14:15]
	v_add_co_u32 v14, vcc_lo, v11, v14
	s_delay_alu instid0(VALU_DEP_2)
	v_add_co_ci_u32_e32 v15, vcc_lo, v12, v15, vcc_lo
	global_store_b32 v[14:15], v50, off
.LBB947_145:
	s_or_b32 exec_lo, exec_lo, s16
	s_branch .LBB947_138
.LBB947_146:
	s_mov_b32 s15, exec_lo
	v_cmpx_gt_i16_e32 2, v13
	s_cbranch_execz .LBB947_151
; %bb.147:
	s_mov_b32 s18, 0
	s_mov_b32 s16, exec_lo
	v_cmpx_ne_u16_e32 1, v13
	s_xor_b32 s16, exec_lo, s16
	s_cbranch_execnz .LBB947_192
; %bb.148:
	s_and_not1_saveexec_b32 s0, s16
	s_cbranch_execnz .LBB947_208
.LBB947_149:
	s_or_b32 exec_lo, exec_lo, s0
	s_delay_alu instid0(SALU_CYCLE_1)
	s_and_b32 exec_lo, exec_lo, s18
	s_cbranch_execz .LBB947_151
.LBB947_150:
	v_sub_nc_u32_e32 v4, v49, v4
	s_delay_alu instid0(VALU_DEP_1)
	v_lshlrev_b32_e32 v4, 2, v4
	ds_store_b32 v4, v50
.LBB947_151:
	s_or_b32 exec_lo, exec_lo, s15
	s_delay_alu instid0(SALU_CYCLE_1)
	s_mov_b32 s1, exec_lo
	s_waitcnt lgkmcnt(0)
	s_waitcnt_vscnt null, 0x0
	s_barrier
	buffer_gl0_inv
	v_cmpx_lt_u32_e64 v0, v2
	s_cbranch_execz .LBB947_154
; %bb.152:
	v_dual_mov_b32 v5, 0 :: v_dual_lshlrev_b32 v6, 2, v0
	v_mov_b32_e32 v4, v0
	s_mov_b32 s2, 0
	.p2align	6
.LBB947_153:                            ; =>This Inner Loop Header: Depth=1
	ds_load_b32 v13, v6
	v_lshlrev_b64 v[7:8], 2, v[4:5]
	v_add_nc_u32_e32 v4, 0x100, v4
	v_add_nc_u32_e32 v6, 0x400, v6
	s_delay_alu instid0(VALU_DEP_2) | instskip(NEXT) | instid1(VALU_DEP_4)
	v_cmp_ge_u32_e32 vcc_lo, v4, v2
	v_add_co_u32 v7, s0, v11, v7
	s_delay_alu instid0(VALU_DEP_1)
	v_add_co_ci_u32_e64 v8, s0, v12, v8, s0
	s_or_b32 s2, vcc_lo, s2
	s_waitcnt lgkmcnt(0)
	global_store_b32 v[7:8], v13, off
	s_and_not1_b32 exec_lo, exec_lo, s2
	s_cbranch_execnz .LBB947_153
.LBB947_154:
	s_or_b32 exec_lo, exec_lo, s1
	v_cmp_eq_u32_e32 vcc_lo, 0xff, v0
	s_and_b32 s0, vcc_lo, s17
	s_delay_alu instid0(SALU_CYCLE_1)
	s_and_saveexec_b32 s1, s0
	s_cbranch_execz .LBB947_139
.LBB947_155:
	v_add_co_u32 v0, s0, v1, v3
	s_delay_alu instid0(VALU_DEP_1) | instskip(SKIP_1) | instid1(VALU_DEP_3)
	v_add_co_ci_u32_e64 v4, null, 0, 0, s0
	v_mov_b32_e32 v2, 0
	v_add_co_u32 v3, vcc_lo, v0, v23
	s_delay_alu instid0(VALU_DEP_3)
	v_add_co_ci_u32_e32 v4, vcc_lo, v4, v24, vcc_lo
	s_cmpk_lg_i32 s26, 0xf00
	global_store_b64 v2, v[3:4], s[30:31]
	s_cbranch_scc1 .LBB947_139
; %bb.156:
	v_lshlrev_b64 v[0:1], 2, v[1:2]
	s_delay_alu instid0(VALU_DEP_1) | instskip(NEXT) | instid1(VALU_DEP_2)
	v_add_co_u32 v0, vcc_lo, v9, v0
	v_add_co_ci_u32_e32 v1, vcc_lo, v10, v1, vcc_lo
	global_store_b32 v[0:1], v80, off offset:-4
	s_nop 0
	s_sendmsg sendmsg(MSG_DEALLOC_VGPRS)
	s_endpgm
.LBB947_157:
	s_or_b32 exec_lo, exec_lo, s4
	v_mov_b32_e32 v79, s1
	s_and_saveexec_b32 s1, s34
	s_cbranch_execnz .LBB947_88
	s_branch .LBB947_89
.LBB947_158:
	s_and_saveexec_b32 s18, s12
	s_cbranch_execnz .LBB947_209
; %bb.159:
	s_or_b32 exec_lo, exec_lo, s18
	s_and_saveexec_b32 s12, s14
	s_cbranch_execnz .LBB947_210
.LBB947_160:
	s_or_b32 exec_lo, exec_lo, s12
	s_and_saveexec_b32 s12, s13
	s_cbranch_execnz .LBB947_211
.LBB947_161:
	s_or_b32 exec_lo, exec_lo, s12
	s_and_saveexec_b32 s12, s11
	s_cbranch_execnz .LBB947_212
.LBB947_162:
	s_or_b32 exec_lo, exec_lo, s12
	s_and_saveexec_b32 s11, s10
	s_cbranch_execnz .LBB947_213
.LBB947_163:
	s_or_b32 exec_lo, exec_lo, s11
	s_and_saveexec_b32 s10, s9
	s_cbranch_execnz .LBB947_214
.LBB947_164:
	s_or_b32 exec_lo, exec_lo, s10
	s_and_saveexec_b32 s9, s8
	s_cbranch_execnz .LBB947_215
.LBB947_165:
	s_or_b32 exec_lo, exec_lo, s9
	s_and_saveexec_b32 s8, s7
	s_cbranch_execnz .LBB947_216
.LBB947_166:
	s_or_b32 exec_lo, exec_lo, s8
	s_and_saveexec_b32 s7, s6
	s_cbranch_execnz .LBB947_217
.LBB947_167:
	s_or_b32 exec_lo, exec_lo, s7
	s_and_saveexec_b32 s6, s5
	s_cbranch_execnz .LBB947_218
.LBB947_168:
	s_or_b32 exec_lo, exec_lo, s6
	s_and_saveexec_b32 s5, s4
	s_cbranch_execnz .LBB947_219
.LBB947_169:
	s_or_b32 exec_lo, exec_lo, s5
	s_and_saveexec_b32 s4, s3
	s_cbranch_execnz .LBB947_220
.LBB947_170:
	s_or_b32 exec_lo, exec_lo, s4
	s_and_saveexec_b32 s3, s1
	s_cbranch_execnz .LBB947_221
.LBB947_171:
	s_or_b32 exec_lo, exec_lo, s3
	s_and_saveexec_b32 s1, s0
	s_cbranch_execz .LBB947_173
.LBB947_172:
	v_sub_nc_u32_e32 v2, v57, v3
	s_delay_alu instid0(VALU_DEP_1)
	v_lshlrev_b32_e32 v2, 2, v2
	ds_store_b32 v2, v10
.LBB947_173:
	s_or_b32 exec_lo, exec_lo, s1
	s_delay_alu instid0(SALU_CYCLE_1)
	s_and_b32 s18, vcc_lo, exec_lo
                                        ; implicit-def: $vgpr21
                                        ; implicit-def: $vgpr19
                                        ; implicit-def: $vgpr17
                                        ; implicit-def: $vgpr15
                                        ; implicit-def: $vgpr13
                                        ; implicit-def: $vgpr11
                                        ; implicit-def: $vgpr9
	s_and_not1_saveexec_b32 s0, s15
	s_cbranch_execz .LBB947_133
.LBB947_174:
	v_sub_nc_u32_e32 v2, v53, v3
	v_sub_nc_u32_e32 v4, v59, v3
	;; [unrolled: 1-line block ×4, first 2 shown]
	s_or_b32 s18, s18, exec_lo
	v_lshlrev_b32_e32 v2, 2, v2
	v_lshlrev_b32_e32 v4, 2, v4
	;; [unrolled: 1-line block ×4, first 2 shown]
	ds_store_b32 v2, v21
	ds_store_b32 v4, v22
	;; [unrolled: 1-line block ×3, first 2 shown]
	v_sub_nc_u32_e32 v2, v45, v3
	v_sub_nc_u32_e32 v4, v41, v3
	;; [unrolled: 1-line block ×3, first 2 shown]
	ds_store_b32 v26, v20
	v_sub_nc_u32_e32 v20, v43, v3
	v_lshlrev_b32_e32 v2, 2, v2
	v_sub_nc_u32_e32 v21, v47, v3
	v_lshlrev_b32_e32 v4, 2, v4
	v_lshlrev_b32_e32 v19, 2, v19
	;; [unrolled: 1-line block ×3, first 2 shown]
	ds_store_b32 v2, v17
	v_lshlrev_b32_e32 v2, 2, v21
	ds_store_b32 v4, v18
	ds_store_b32 v19, v15
	;; [unrolled: 1-line block ×3, first 2 shown]
	v_sub_nc_u32_e32 v4, v5, v3
	v_sub_nc_u32_e32 v16, v57, v3
	v_sub_nc_u32_e32 v15, v61, v3
	ds_store_b32 v2, v13
	v_sub_nc_u32_e32 v2, v7, v3
	v_lshlrev_b32_e32 v4, 2, v4
	v_sub_nc_u32_e32 v13, v37, v3
	v_lshlrev_b32_e32 v15, 2, v15
	s_delay_alu instid0(VALU_DEP_4)
	v_lshlrev_b32_e32 v2, 2, v2
	ds_store_b32 v4, v14
	v_lshlrev_b32_e32 v4, 2, v16
	v_lshlrev_b32_e32 v13, 2, v13
	ds_store_b32 v2, v11
	ds_store_b32 v13, v12
	;; [unrolled: 1-line block ×4, first 2 shown]
	s_or_b32 exec_lo, exec_lo, s0
	s_delay_alu instid0(SALU_CYCLE_1)
	s_and_b32 exec_lo, exec_lo, s18
	s_cbranch_execnz .LBB947_134
	s_branch .LBB947_135
.LBB947_175:
	s_and_saveexec_b32 s18, s14
	s_cbranch_execnz .LBB947_222
; %bb.176:
	s_or_b32 exec_lo, exec_lo, s18
	s_and_saveexec_b32 s18, s13
	s_cbranch_execnz .LBB947_223
.LBB947_177:
	s_or_b32 exec_lo, exec_lo, s18
	s_and_saveexec_b32 s18, s12
	s_cbranch_execnz .LBB947_224
.LBB947_178:
	s_or_b32 exec_lo, exec_lo, s18
	s_and_saveexec_b32 s18, s11
	s_cbranch_execnz .LBB947_225
.LBB947_179:
	s_or_b32 exec_lo, exec_lo, s18
	s_and_saveexec_b32 s18, s10
	s_cbranch_execnz .LBB947_226
.LBB947_180:
	s_or_b32 exec_lo, exec_lo, s18
	s_and_saveexec_b32 s18, s9
	s_cbranch_execnz .LBB947_227
.LBB947_181:
	s_or_b32 exec_lo, exec_lo, s18
	s_and_saveexec_b32 s18, s8
	s_cbranch_execnz .LBB947_228
.LBB947_182:
	s_or_b32 exec_lo, exec_lo, s18
	s_and_saveexec_b32 s18, s7
	s_cbranch_execnz .LBB947_229
.LBB947_183:
	s_or_b32 exec_lo, exec_lo, s18
	s_and_saveexec_b32 s18, s6
	s_cbranch_execnz .LBB947_230
.LBB947_184:
	s_or_b32 exec_lo, exec_lo, s18
	s_and_saveexec_b32 s18, s5
	s_cbranch_execnz .LBB947_231
.LBB947_185:
	s_or_b32 exec_lo, exec_lo, s18
	s_and_saveexec_b32 s18, s4
	s_cbranch_execnz .LBB947_232
.LBB947_186:
	s_or_b32 exec_lo, exec_lo, s18
	s_and_saveexec_b32 s18, s3
	s_cbranch_execnz .LBB947_233
.LBB947_187:
	s_or_b32 exec_lo, exec_lo, s18
	s_and_saveexec_b32 s18, s2
	s_cbranch_execnz .LBB947_234
.LBB947_188:
	s_or_b32 exec_lo, exec_lo, s18
	s_and_saveexec_b32 s18, s1
	s_cbranch_execz .LBB947_190
.LBB947_189:
	v_sub_nc_u32_e32 v14, v57, v4
	v_mov_b32_e32 v15, 0
	s_delay_alu instid0(VALU_DEP_1) | instskip(NEXT) | instid1(VALU_DEP_1)
	v_lshlrev_b64 v[14:15], 2, v[14:15]
	v_add_co_u32 v14, vcc_lo, v11, v14
	s_delay_alu instid0(VALU_DEP_2)
	v_add_co_ci_u32_e32 v15, vcc_lo, v12, v15, vcc_lo
	global_store_b32 v[14:15], v58, off
.LBB947_190:
	s_or_b32 exec_lo, exec_lo, s18
	s_delay_alu instid0(SALU_CYCLE_1)
	s_and_b32 s18, s0, exec_lo
	s_and_not1_saveexec_b32 s15, s15
	s_cbranch_execz .LBB947_143
.LBB947_191:
	v_sub_nc_u32_e32 v14, v53, v4
	v_mov_b32_e32 v15, 0
	s_or_b32 s18, s18, exec_lo
	s_delay_alu instid0(VALU_DEP_1) | instskip(SKIP_1) | instid1(VALU_DEP_1)
	v_lshlrev_b64 v[16:17], 2, v[14:15]
	v_sub_nc_u32_e32 v14, v59, v4
	v_lshlrev_b64 v[18:19], 2, v[14:15]
	v_sub_nc_u32_e32 v14, v55, v4
	s_delay_alu instid0(VALU_DEP_4) | instskip(SKIP_1) | instid1(VALU_DEP_3)
	v_add_co_u32 v16, vcc_lo, v11, v16
	v_add_co_ci_u32_e32 v17, vcc_lo, v12, v17, vcc_lo
	v_lshlrev_b64 v[20:21], 2, v[14:15]
	v_sub_nc_u32_e32 v14, v51, v4
	v_add_co_u32 v18, vcc_lo, v11, v18
	v_add_co_ci_u32_e32 v19, vcc_lo, v12, v19, vcc_lo
	global_store_b32 v[16:17], v54, off
	v_lshlrev_b64 v[16:17], 2, v[14:15]
	v_sub_nc_u32_e32 v14, v45, v4
	global_store_b32 v[18:19], v60, off
	v_add_co_u32 v18, vcc_lo, v11, v20
	v_add_co_ci_u32_e32 v19, vcc_lo, v12, v21, vcc_lo
	v_lshlrev_b64 v[20:21], 2, v[14:15]
	v_sub_nc_u32_e32 v14, v41, v4
	v_add_co_u32 v16, vcc_lo, v11, v16
	v_add_co_ci_u32_e32 v17, vcc_lo, v12, v17, vcc_lo
	s_delay_alu instid0(VALU_DEP_3) | instskip(SKIP_3) | instid1(VALU_DEP_3)
	v_lshlrev_b64 v[25:26], 2, v[14:15]
	v_sub_nc_u32_e32 v14, v39, v4
	v_add_co_u32 v20, vcc_lo, v11, v20
	v_add_co_ci_u32_e32 v21, vcc_lo, v12, v21, vcc_lo
	v_lshlrev_b64 v[27:28], 2, v[14:15]
	v_sub_nc_u32_e32 v14, v43, v4
	v_add_co_u32 v25, vcc_lo, v11, v25
	v_add_co_ci_u32_e32 v26, vcc_lo, v12, v26, vcc_lo
	s_clause 0x3
	global_store_b32 v[18:19], v56, off
	global_store_b32 v[16:17], v52, off
	;; [unrolled: 1-line block ×4, first 2 shown]
	v_lshlrev_b64 v[16:17], 2, v[14:15]
	v_sub_nc_u32_e32 v14, v47, v4
	v_add_co_u32 v18, vcc_lo, v11, v27
	v_add_co_ci_u32_e32 v19, vcc_lo, v12, v28, vcc_lo
	s_delay_alu instid0(VALU_DEP_3) | instskip(SKIP_3) | instid1(VALU_DEP_3)
	v_lshlrev_b64 v[20:21], 2, v[14:15]
	v_sub_nc_u32_e32 v14, v5, v4
	v_add_co_u32 v16, vcc_lo, v11, v16
	v_add_co_ci_u32_e32 v17, vcc_lo, v12, v17, vcc_lo
	v_lshlrev_b64 v[25:26], 2, v[14:15]
	v_sub_nc_u32_e32 v14, v7, v4
	v_add_co_u32 v20, vcc_lo, v11, v20
	v_add_co_ci_u32_e32 v21, vcc_lo, v12, v21, vcc_lo
	s_delay_alu instid0(VALU_DEP_3)
	v_lshlrev_b64 v[27:28], 2, v[14:15]
	v_sub_nc_u32_e32 v14, v37, v4
	v_add_co_u32 v25, vcc_lo, v11, v25
	v_add_co_ci_u32_e32 v26, vcc_lo, v12, v26, vcc_lo
	s_clause 0x3
	global_store_b32 v[18:19], v40, off
	global_store_b32 v[16:17], v44, off
	;; [unrolled: 1-line block ×4, first 2 shown]
	v_lshlrev_b64 v[16:17], 2, v[14:15]
	v_sub_nc_u32_e32 v14, v61, v4
	v_add_co_u32 v18, vcc_lo, v11, v27
	v_add_co_ci_u32_e32 v19, vcc_lo, v12, v28, vcc_lo
	s_delay_alu instid0(VALU_DEP_3) | instskip(SKIP_3) | instid1(VALU_DEP_3)
	v_lshlrev_b64 v[20:21], 2, v[14:15]
	v_sub_nc_u32_e32 v14, v57, v4
	v_add_co_u32 v16, vcc_lo, v11, v16
	v_add_co_ci_u32_e32 v17, vcc_lo, v12, v17, vcc_lo
	v_lshlrev_b64 v[14:15], 2, v[14:15]
	v_add_co_u32 v20, vcc_lo, v11, v20
	v_add_co_ci_u32_e32 v21, vcc_lo, v12, v21, vcc_lo
	s_clause 0x2
	global_store_b32 v[18:19], v8, off
	global_store_b32 v[16:17], v38, off
	;; [unrolled: 1-line block ×3, first 2 shown]
	v_add_co_u32 v14, vcc_lo, v11, v14
	v_add_co_ci_u32_e32 v15, vcc_lo, v12, v15, vcc_lo
	global_store_b32 v[14:15], v58, off
	s_or_b32 exec_lo, exec_lo, s15
	s_delay_alu instid0(SALU_CYCLE_1)
	s_and_b32 exec_lo, exec_lo, s18
	s_cbranch_execnz .LBB947_144
	s_branch .LBB947_145
.LBB947_192:
	s_and_saveexec_b32 s18, s14
	s_cbranch_execnz .LBB947_235
; %bb.193:
	s_or_b32 exec_lo, exec_lo, s18
	s_and_saveexec_b32 s14, s13
	s_cbranch_execnz .LBB947_236
.LBB947_194:
	s_or_b32 exec_lo, exec_lo, s14
	s_and_saveexec_b32 s13, s12
	s_cbranch_execnz .LBB947_237
.LBB947_195:
	s_or_b32 exec_lo, exec_lo, s13
	s_and_saveexec_b32 s12, s11
	s_cbranch_execnz .LBB947_238
.LBB947_196:
	s_or_b32 exec_lo, exec_lo, s12
	s_and_saveexec_b32 s11, s10
	s_cbranch_execnz .LBB947_239
.LBB947_197:
	s_or_b32 exec_lo, exec_lo, s11
	s_and_saveexec_b32 s10, s9
	s_cbranch_execnz .LBB947_240
.LBB947_198:
	s_or_b32 exec_lo, exec_lo, s10
	s_and_saveexec_b32 s9, s8
	s_cbranch_execnz .LBB947_241
.LBB947_199:
	s_or_b32 exec_lo, exec_lo, s9
	s_and_saveexec_b32 s8, s7
	s_cbranch_execnz .LBB947_242
.LBB947_200:
	s_or_b32 exec_lo, exec_lo, s8
	s_and_saveexec_b32 s7, s6
	s_cbranch_execnz .LBB947_243
.LBB947_201:
	s_or_b32 exec_lo, exec_lo, s7
	s_and_saveexec_b32 s6, s5
	s_cbranch_execnz .LBB947_244
.LBB947_202:
	s_or_b32 exec_lo, exec_lo, s6
	s_and_saveexec_b32 s5, s4
	s_cbranch_execnz .LBB947_245
.LBB947_203:
	s_or_b32 exec_lo, exec_lo, s5
	s_and_saveexec_b32 s4, s3
	s_cbranch_execnz .LBB947_246
.LBB947_204:
	s_or_b32 exec_lo, exec_lo, s4
	s_and_saveexec_b32 s3, s2
	s_cbranch_execnz .LBB947_247
.LBB947_205:
	s_or_b32 exec_lo, exec_lo, s3
	s_and_saveexec_b32 s2, s1
	s_cbranch_execz .LBB947_207
.LBB947_206:
	v_sub_nc_u32_e32 v5, v57, v4
	s_delay_alu instid0(VALU_DEP_1)
	v_lshlrev_b32_e32 v5, 2, v5
	ds_store_b32 v5, v58
.LBB947_207:
	s_or_b32 exec_lo, exec_lo, s2
	s_delay_alu instid0(SALU_CYCLE_1)
	s_and_b32 s18, s0, exec_lo
                                        ; implicit-def: $vgpr53_vgpr54
                                        ; implicit-def: $vgpr59_vgpr60
                                        ; implicit-def: $vgpr55_vgpr56
                                        ; implicit-def: $vgpr51_vgpr52
                                        ; implicit-def: $vgpr45_vgpr46
                                        ; implicit-def: $vgpr41_vgpr42
                                        ; implicit-def: $vgpr39_vgpr40
                                        ; implicit-def: $vgpr43_vgpr44
                                        ; implicit-def: $vgpr47_vgpr48
                                        ; implicit-def: $vgpr5_vgpr6
                                        ; implicit-def: $vgpr7_vgpr8
                                        ; implicit-def: $vgpr37_vgpr38
                                        ; implicit-def: $vgpr61_vgpr62
                                        ; implicit-def: $vgpr57_vgpr58
	s_and_not1_saveexec_b32 s0, s16
	s_cbranch_execz .LBB947_149
.LBB947_208:
	v_sub_nc_u32_e32 v13, v53, v4
	v_sub_nc_u32_e32 v14, v59, v4
	;; [unrolled: 1-line block ×5, first 2 shown]
	v_lshlrev_b32_e32 v13, 2, v13
	v_lshlrev_b32_e32 v14, 2, v14
	v_lshlrev_b32_e32 v15, 2, v15
	v_lshlrev_b32_e32 v16, 2, v16
	v_sub_nc_u32_e32 v5, v5, v4
	ds_store_b32 v13, v54
	ds_store_b32 v14, v60
	;; [unrolled: 1-line block ×3, first 2 shown]
	v_sub_nc_u32_e32 v13, v45, v4
	v_sub_nc_u32_e32 v14, v41, v4
	;; [unrolled: 1-line block ×3, first 2 shown]
	ds_store_b32 v16, v52
	v_sub_nc_u32_e32 v16, v43, v4
	v_lshlrev_b32_e32 v13, 2, v13
	v_lshlrev_b32_e32 v14, 2, v14
	;; [unrolled: 1-line block ×3, first 2 shown]
	v_sub_nc_u32_e32 v7, v7, v4
	v_lshlrev_b32_e32 v16, 2, v16
	ds_store_b32 v13, v46
	v_lshlrev_b32_e32 v13, 2, v17
	ds_store_b32 v14, v42
	ds_store_b32 v15, v40
	;; [unrolled: 1-line block ×3, first 2 shown]
	v_lshlrev_b32_e32 v5, 2, v5
	v_sub_nc_u32_e32 v15, v57, v4
	v_sub_nc_u32_e32 v14, v61, v4
	ds_store_b32 v13, v48
	v_sub_nc_u32_e32 v13, v37, v4
	v_lshlrev_b32_e32 v7, 2, v7
	ds_store_b32 v5, v6
	v_lshlrev_b32_e32 v5, 2, v15
	v_lshlrev_b32_e32 v14, 2, v14
	;; [unrolled: 1-line block ×3, first 2 shown]
	s_or_b32 s18, s18, exec_lo
	ds_store_b32 v7, v8
	ds_store_b32 v13, v38
	;; [unrolled: 1-line block ×4, first 2 shown]
	s_or_b32 exec_lo, exec_lo, s0
	s_delay_alu instid0(SALU_CYCLE_1)
	s_and_b32 exec_lo, exec_lo, s18
	s_cbranch_execnz .LBB947_150
	s_branch .LBB947_151
.LBB947_209:
	v_sub_nc_u32_e32 v2, v53, v3
	s_delay_alu instid0(VALU_DEP_1)
	v_lshlrev_b32_e32 v2, 2, v2
	ds_store_b32 v2, v21
	s_or_b32 exec_lo, exec_lo, s18
	s_and_saveexec_b32 s12, s14
	s_cbranch_execz .LBB947_160
.LBB947_210:
	v_sub_nc_u32_e32 v2, v59, v3
	s_delay_alu instid0(VALU_DEP_1)
	v_lshlrev_b32_e32 v2, 2, v2
	ds_store_b32 v2, v22
	s_or_b32 exec_lo, exec_lo, s12
	s_and_saveexec_b32 s12, s13
	s_cbranch_execz .LBB947_161
.LBB947_211:
	v_sub_nc_u32_e32 v2, v55, v3
	s_delay_alu instid0(VALU_DEP_1)
	v_lshlrev_b32_e32 v2, 2, v2
	ds_store_b32 v2, v19
	s_or_b32 exec_lo, exec_lo, s12
	s_and_saveexec_b32 s12, s11
	s_cbranch_execz .LBB947_162
.LBB947_212:
	v_sub_nc_u32_e32 v2, v51, v3
	s_delay_alu instid0(VALU_DEP_1)
	v_lshlrev_b32_e32 v2, 2, v2
	ds_store_b32 v2, v20
	s_or_b32 exec_lo, exec_lo, s12
	s_and_saveexec_b32 s11, s10
	s_cbranch_execz .LBB947_163
.LBB947_213:
	v_sub_nc_u32_e32 v2, v45, v3
	s_delay_alu instid0(VALU_DEP_1)
	v_lshlrev_b32_e32 v2, 2, v2
	ds_store_b32 v2, v17
	s_or_b32 exec_lo, exec_lo, s11
	s_and_saveexec_b32 s10, s9
	s_cbranch_execz .LBB947_164
.LBB947_214:
	v_sub_nc_u32_e32 v2, v41, v3
	s_delay_alu instid0(VALU_DEP_1)
	v_lshlrev_b32_e32 v2, 2, v2
	ds_store_b32 v2, v18
	s_or_b32 exec_lo, exec_lo, s10
	s_and_saveexec_b32 s9, s8
	s_cbranch_execz .LBB947_165
.LBB947_215:
	v_sub_nc_u32_e32 v2, v39, v3
	s_delay_alu instid0(VALU_DEP_1)
	v_lshlrev_b32_e32 v2, 2, v2
	ds_store_b32 v2, v15
	s_or_b32 exec_lo, exec_lo, s9
	s_and_saveexec_b32 s8, s7
	s_cbranch_execz .LBB947_166
.LBB947_216:
	v_sub_nc_u32_e32 v2, v43, v3
	s_delay_alu instid0(VALU_DEP_1)
	v_lshlrev_b32_e32 v2, 2, v2
	ds_store_b32 v2, v16
	s_or_b32 exec_lo, exec_lo, s8
	s_and_saveexec_b32 s7, s6
	s_cbranch_execz .LBB947_167
.LBB947_217:
	v_sub_nc_u32_e32 v2, v47, v3
	s_delay_alu instid0(VALU_DEP_1)
	v_lshlrev_b32_e32 v2, 2, v2
	ds_store_b32 v2, v13
	s_or_b32 exec_lo, exec_lo, s7
	s_and_saveexec_b32 s6, s5
	s_cbranch_execz .LBB947_168
.LBB947_218:
	v_sub_nc_u32_e32 v2, v5, v3
	s_delay_alu instid0(VALU_DEP_1)
	v_lshlrev_b32_e32 v2, 2, v2
	ds_store_b32 v2, v14
	s_or_b32 exec_lo, exec_lo, s6
	s_and_saveexec_b32 s5, s4
	s_cbranch_execz .LBB947_169
.LBB947_219:
	v_sub_nc_u32_e32 v2, v7, v3
	s_delay_alu instid0(VALU_DEP_1)
	v_lshlrev_b32_e32 v2, 2, v2
	ds_store_b32 v2, v11
	s_or_b32 exec_lo, exec_lo, s5
	s_and_saveexec_b32 s4, s3
	s_cbranch_execz .LBB947_170
.LBB947_220:
	v_sub_nc_u32_e32 v2, v37, v3
	s_delay_alu instid0(VALU_DEP_1)
	v_lshlrev_b32_e32 v2, 2, v2
	ds_store_b32 v2, v12
	s_or_b32 exec_lo, exec_lo, s4
	s_and_saveexec_b32 s3, s1
	s_cbranch_execz .LBB947_171
.LBB947_221:
	v_sub_nc_u32_e32 v2, v61, v3
	s_delay_alu instid0(VALU_DEP_1)
	v_lshlrev_b32_e32 v2, 2, v2
	ds_store_b32 v2, v9
	s_or_b32 exec_lo, exec_lo, s3
	s_and_saveexec_b32 s1, s0
	s_cbranch_execnz .LBB947_172
	s_branch .LBB947_173
.LBB947_222:
	v_sub_nc_u32_e32 v14, v53, v4
	v_mov_b32_e32 v15, 0
	s_delay_alu instid0(VALU_DEP_1) | instskip(NEXT) | instid1(VALU_DEP_1)
	v_lshlrev_b64 v[14:15], 2, v[14:15]
	v_add_co_u32 v14, vcc_lo, v11, v14
	s_delay_alu instid0(VALU_DEP_2)
	v_add_co_ci_u32_e32 v15, vcc_lo, v12, v15, vcc_lo
	global_store_b32 v[14:15], v54, off
	s_or_b32 exec_lo, exec_lo, s18
	s_and_saveexec_b32 s18, s13
	s_cbranch_execz .LBB947_177
.LBB947_223:
	v_sub_nc_u32_e32 v14, v59, v4
	v_mov_b32_e32 v15, 0
	s_delay_alu instid0(VALU_DEP_1) | instskip(NEXT) | instid1(VALU_DEP_1)
	v_lshlrev_b64 v[14:15], 2, v[14:15]
	v_add_co_u32 v14, vcc_lo, v11, v14
	s_delay_alu instid0(VALU_DEP_2)
	v_add_co_ci_u32_e32 v15, vcc_lo, v12, v15, vcc_lo
	global_store_b32 v[14:15], v60, off
	s_or_b32 exec_lo, exec_lo, s18
	s_and_saveexec_b32 s18, s12
	s_cbranch_execz .LBB947_178
.LBB947_224:
	v_sub_nc_u32_e32 v14, v55, v4
	v_mov_b32_e32 v15, 0
	s_delay_alu instid0(VALU_DEP_1) | instskip(NEXT) | instid1(VALU_DEP_1)
	v_lshlrev_b64 v[14:15], 2, v[14:15]
	v_add_co_u32 v14, vcc_lo, v11, v14
	s_delay_alu instid0(VALU_DEP_2)
	v_add_co_ci_u32_e32 v15, vcc_lo, v12, v15, vcc_lo
	global_store_b32 v[14:15], v56, off
	s_or_b32 exec_lo, exec_lo, s18
	s_and_saveexec_b32 s18, s11
	s_cbranch_execz .LBB947_179
.LBB947_225:
	v_sub_nc_u32_e32 v14, v51, v4
	v_mov_b32_e32 v15, 0
	s_delay_alu instid0(VALU_DEP_1) | instskip(NEXT) | instid1(VALU_DEP_1)
	v_lshlrev_b64 v[14:15], 2, v[14:15]
	v_add_co_u32 v14, vcc_lo, v11, v14
	s_delay_alu instid0(VALU_DEP_2)
	v_add_co_ci_u32_e32 v15, vcc_lo, v12, v15, vcc_lo
	global_store_b32 v[14:15], v52, off
	s_or_b32 exec_lo, exec_lo, s18
	s_and_saveexec_b32 s18, s10
	s_cbranch_execz .LBB947_180
.LBB947_226:
	v_sub_nc_u32_e32 v14, v45, v4
	v_mov_b32_e32 v15, 0
	s_delay_alu instid0(VALU_DEP_1) | instskip(NEXT) | instid1(VALU_DEP_1)
	v_lshlrev_b64 v[14:15], 2, v[14:15]
	v_add_co_u32 v14, vcc_lo, v11, v14
	s_delay_alu instid0(VALU_DEP_2)
	v_add_co_ci_u32_e32 v15, vcc_lo, v12, v15, vcc_lo
	global_store_b32 v[14:15], v46, off
	s_or_b32 exec_lo, exec_lo, s18
	s_and_saveexec_b32 s18, s9
	s_cbranch_execz .LBB947_181
.LBB947_227:
	v_sub_nc_u32_e32 v14, v41, v4
	v_mov_b32_e32 v15, 0
	s_delay_alu instid0(VALU_DEP_1) | instskip(NEXT) | instid1(VALU_DEP_1)
	v_lshlrev_b64 v[14:15], 2, v[14:15]
	v_add_co_u32 v14, vcc_lo, v11, v14
	s_delay_alu instid0(VALU_DEP_2)
	v_add_co_ci_u32_e32 v15, vcc_lo, v12, v15, vcc_lo
	global_store_b32 v[14:15], v42, off
	s_or_b32 exec_lo, exec_lo, s18
	s_and_saveexec_b32 s18, s8
	s_cbranch_execz .LBB947_182
.LBB947_228:
	v_sub_nc_u32_e32 v14, v39, v4
	v_mov_b32_e32 v15, 0
	s_delay_alu instid0(VALU_DEP_1) | instskip(NEXT) | instid1(VALU_DEP_1)
	v_lshlrev_b64 v[14:15], 2, v[14:15]
	v_add_co_u32 v14, vcc_lo, v11, v14
	s_delay_alu instid0(VALU_DEP_2)
	v_add_co_ci_u32_e32 v15, vcc_lo, v12, v15, vcc_lo
	global_store_b32 v[14:15], v40, off
	s_or_b32 exec_lo, exec_lo, s18
	s_and_saveexec_b32 s18, s7
	s_cbranch_execz .LBB947_183
.LBB947_229:
	v_sub_nc_u32_e32 v14, v43, v4
	v_mov_b32_e32 v15, 0
	s_delay_alu instid0(VALU_DEP_1) | instskip(NEXT) | instid1(VALU_DEP_1)
	v_lshlrev_b64 v[14:15], 2, v[14:15]
	v_add_co_u32 v14, vcc_lo, v11, v14
	s_delay_alu instid0(VALU_DEP_2)
	v_add_co_ci_u32_e32 v15, vcc_lo, v12, v15, vcc_lo
	global_store_b32 v[14:15], v44, off
	s_or_b32 exec_lo, exec_lo, s18
	s_and_saveexec_b32 s18, s6
	s_cbranch_execz .LBB947_184
.LBB947_230:
	v_sub_nc_u32_e32 v14, v47, v4
	v_mov_b32_e32 v15, 0
	s_delay_alu instid0(VALU_DEP_1) | instskip(NEXT) | instid1(VALU_DEP_1)
	v_lshlrev_b64 v[14:15], 2, v[14:15]
	v_add_co_u32 v14, vcc_lo, v11, v14
	s_delay_alu instid0(VALU_DEP_2)
	v_add_co_ci_u32_e32 v15, vcc_lo, v12, v15, vcc_lo
	global_store_b32 v[14:15], v48, off
	s_or_b32 exec_lo, exec_lo, s18
	s_and_saveexec_b32 s18, s5
	s_cbranch_execz .LBB947_185
.LBB947_231:
	v_sub_nc_u32_e32 v14, v5, v4
	v_mov_b32_e32 v15, 0
	s_delay_alu instid0(VALU_DEP_1) | instskip(NEXT) | instid1(VALU_DEP_1)
	v_lshlrev_b64 v[14:15], 2, v[14:15]
	v_add_co_u32 v14, vcc_lo, v11, v14
	s_delay_alu instid0(VALU_DEP_2)
	v_add_co_ci_u32_e32 v15, vcc_lo, v12, v15, vcc_lo
	global_store_b32 v[14:15], v6, off
	s_or_b32 exec_lo, exec_lo, s18
	s_and_saveexec_b32 s18, s4
	s_cbranch_execz .LBB947_186
.LBB947_232:
	v_sub_nc_u32_e32 v14, v7, v4
	v_mov_b32_e32 v15, 0
	s_delay_alu instid0(VALU_DEP_1) | instskip(NEXT) | instid1(VALU_DEP_1)
	v_lshlrev_b64 v[14:15], 2, v[14:15]
	v_add_co_u32 v14, vcc_lo, v11, v14
	s_delay_alu instid0(VALU_DEP_2)
	v_add_co_ci_u32_e32 v15, vcc_lo, v12, v15, vcc_lo
	global_store_b32 v[14:15], v8, off
	s_or_b32 exec_lo, exec_lo, s18
	s_and_saveexec_b32 s18, s3
	s_cbranch_execz .LBB947_187
.LBB947_233:
	v_sub_nc_u32_e32 v14, v37, v4
	v_mov_b32_e32 v15, 0
	s_delay_alu instid0(VALU_DEP_1) | instskip(NEXT) | instid1(VALU_DEP_1)
	v_lshlrev_b64 v[14:15], 2, v[14:15]
	v_add_co_u32 v14, vcc_lo, v11, v14
	s_delay_alu instid0(VALU_DEP_2)
	v_add_co_ci_u32_e32 v15, vcc_lo, v12, v15, vcc_lo
	global_store_b32 v[14:15], v38, off
	s_or_b32 exec_lo, exec_lo, s18
	s_and_saveexec_b32 s18, s2
	s_cbranch_execz .LBB947_188
.LBB947_234:
	v_sub_nc_u32_e32 v14, v61, v4
	v_mov_b32_e32 v15, 0
	s_delay_alu instid0(VALU_DEP_1) | instskip(NEXT) | instid1(VALU_DEP_1)
	v_lshlrev_b64 v[14:15], 2, v[14:15]
	v_add_co_u32 v14, vcc_lo, v11, v14
	s_delay_alu instid0(VALU_DEP_2)
	v_add_co_ci_u32_e32 v15, vcc_lo, v12, v15, vcc_lo
	global_store_b32 v[14:15], v62, off
	s_or_b32 exec_lo, exec_lo, s18
	s_and_saveexec_b32 s18, s1
	s_cbranch_execnz .LBB947_189
	s_branch .LBB947_190
.LBB947_235:
	v_sub_nc_u32_e32 v13, v53, v4
	s_delay_alu instid0(VALU_DEP_1)
	v_lshlrev_b32_e32 v13, 2, v13
	ds_store_b32 v13, v54
	s_or_b32 exec_lo, exec_lo, s18
	s_and_saveexec_b32 s14, s13
	s_cbranch_execz .LBB947_194
.LBB947_236:
	v_sub_nc_u32_e32 v13, v59, v4
	s_delay_alu instid0(VALU_DEP_1)
	v_lshlrev_b32_e32 v13, 2, v13
	ds_store_b32 v13, v60
	s_or_b32 exec_lo, exec_lo, s14
	s_and_saveexec_b32 s13, s12
	s_cbranch_execz .LBB947_195
.LBB947_237:
	v_sub_nc_u32_e32 v13, v55, v4
	s_delay_alu instid0(VALU_DEP_1)
	v_lshlrev_b32_e32 v13, 2, v13
	ds_store_b32 v13, v56
	s_or_b32 exec_lo, exec_lo, s13
	s_and_saveexec_b32 s12, s11
	s_cbranch_execz .LBB947_196
.LBB947_238:
	v_sub_nc_u32_e32 v13, v51, v4
	s_delay_alu instid0(VALU_DEP_1)
	v_lshlrev_b32_e32 v13, 2, v13
	ds_store_b32 v13, v52
	s_or_b32 exec_lo, exec_lo, s12
	s_and_saveexec_b32 s11, s10
	s_cbranch_execz .LBB947_197
.LBB947_239:
	v_sub_nc_u32_e32 v13, v45, v4
	s_delay_alu instid0(VALU_DEP_1)
	v_lshlrev_b32_e32 v13, 2, v13
	ds_store_b32 v13, v46
	s_or_b32 exec_lo, exec_lo, s11
	s_and_saveexec_b32 s10, s9
	s_cbranch_execz .LBB947_198
.LBB947_240:
	v_sub_nc_u32_e32 v13, v41, v4
	s_delay_alu instid0(VALU_DEP_1)
	v_lshlrev_b32_e32 v13, 2, v13
	ds_store_b32 v13, v42
	s_or_b32 exec_lo, exec_lo, s10
	s_and_saveexec_b32 s9, s8
	s_cbranch_execz .LBB947_199
.LBB947_241:
	v_sub_nc_u32_e32 v13, v39, v4
	s_delay_alu instid0(VALU_DEP_1)
	v_lshlrev_b32_e32 v13, 2, v13
	ds_store_b32 v13, v40
	s_or_b32 exec_lo, exec_lo, s9
	s_and_saveexec_b32 s8, s7
	s_cbranch_execz .LBB947_200
.LBB947_242:
	v_sub_nc_u32_e32 v13, v43, v4
	s_delay_alu instid0(VALU_DEP_1)
	v_lshlrev_b32_e32 v13, 2, v13
	ds_store_b32 v13, v44
	s_or_b32 exec_lo, exec_lo, s8
	s_and_saveexec_b32 s7, s6
	s_cbranch_execz .LBB947_201
.LBB947_243:
	v_sub_nc_u32_e32 v13, v47, v4
	s_delay_alu instid0(VALU_DEP_1)
	v_lshlrev_b32_e32 v13, 2, v13
	ds_store_b32 v13, v48
	s_or_b32 exec_lo, exec_lo, s7
	s_and_saveexec_b32 s6, s5
	s_cbranch_execz .LBB947_202
.LBB947_244:
	v_sub_nc_u32_e32 v5, v5, v4
	s_delay_alu instid0(VALU_DEP_1)
	v_lshlrev_b32_e32 v5, 2, v5
	ds_store_b32 v5, v6
	s_or_b32 exec_lo, exec_lo, s6
	s_and_saveexec_b32 s5, s4
	s_cbranch_execz .LBB947_203
.LBB947_245:
	v_sub_nc_u32_e32 v5, v7, v4
	s_delay_alu instid0(VALU_DEP_1)
	v_lshlrev_b32_e32 v5, 2, v5
	ds_store_b32 v5, v8
	s_or_b32 exec_lo, exec_lo, s5
	s_and_saveexec_b32 s4, s3
	s_cbranch_execz .LBB947_204
.LBB947_246:
	v_sub_nc_u32_e32 v5, v37, v4
	s_delay_alu instid0(VALU_DEP_1)
	v_lshlrev_b32_e32 v5, 2, v5
	ds_store_b32 v5, v38
	s_or_b32 exec_lo, exec_lo, s4
	s_and_saveexec_b32 s3, s2
	s_cbranch_execz .LBB947_205
.LBB947_247:
	v_sub_nc_u32_e32 v5, v61, v4
	s_delay_alu instid0(VALU_DEP_1)
	v_lshlrev_b32_e32 v5, 2, v5
	ds_store_b32 v5, v62
	s_or_b32 exec_lo, exec_lo, s3
	s_and_saveexec_b32 s2, s1
	s_cbranch_execnz .LBB947_206
	s_branch .LBB947_207
	.section	.rodata,"a",@progbits
	.p2align	6, 0x0
	.amdhsa_kernel _ZN7rocprim17ROCPRIM_400000_NS6detail17trampoline_kernelINS0_14default_configENS1_29reduce_by_key_config_selectorIjjN6thrust23THRUST_200600_302600_NS4plusIjEEEEZZNS1_33reduce_by_key_impl_wrapped_configILNS1_25lookback_scan_determinismE0ES3_S9_NS6_6detail15normal_iteratorINS6_10device_ptrIjEEEESG_NS6_16discard_iteratorINS6_11use_defaultEEESG_PmS8_NS6_8equal_toIjEEEE10hipError_tPvRmT2_T3_mT4_T5_T6_T7_T8_P12ihipStream_tbENKUlT_T0_E_clISt17integral_constantIbLb0EES13_IbLb1EEEEDaSZ_S10_EUlSZ_E_NS1_11comp_targetILNS1_3genE9ELNS1_11target_archE1100ELNS1_3gpuE3ELNS1_3repE0EEENS1_30default_config_static_selectorELNS0_4arch9wavefront6targetE0EEEvT1_
		.amdhsa_group_segment_fixed_size 15360
		.amdhsa_private_segment_fixed_size 0
		.amdhsa_kernarg_size 128
		.amdhsa_user_sgpr_count 15
		.amdhsa_user_sgpr_dispatch_ptr 0
		.amdhsa_user_sgpr_queue_ptr 0
		.amdhsa_user_sgpr_kernarg_segment_ptr 1
		.amdhsa_user_sgpr_dispatch_id 0
		.amdhsa_user_sgpr_private_segment_size 0
		.amdhsa_wavefront_size32 1
		.amdhsa_uses_dynamic_stack 0
		.amdhsa_enable_private_segment 0
		.amdhsa_system_sgpr_workgroup_id_x 1
		.amdhsa_system_sgpr_workgroup_id_y 0
		.amdhsa_system_sgpr_workgroup_id_z 0
		.amdhsa_system_sgpr_workgroup_info 0
		.amdhsa_system_vgpr_workitem_id 0
		.amdhsa_next_free_vgpr 85
		.amdhsa_next_free_sgpr 42
		.amdhsa_reserve_vcc 1
		.amdhsa_float_round_mode_32 0
		.amdhsa_float_round_mode_16_64 0
		.amdhsa_float_denorm_mode_32 3
		.amdhsa_float_denorm_mode_16_64 3
		.amdhsa_dx10_clamp 1
		.amdhsa_ieee_mode 1
		.amdhsa_fp16_overflow 0
		.amdhsa_workgroup_processor_mode 1
		.amdhsa_memory_ordered 1
		.amdhsa_forward_progress 0
		.amdhsa_shared_vgpr_count 0
		.amdhsa_exception_fp_ieee_invalid_op 0
		.amdhsa_exception_fp_denorm_src 0
		.amdhsa_exception_fp_ieee_div_zero 0
		.amdhsa_exception_fp_ieee_overflow 0
		.amdhsa_exception_fp_ieee_underflow 0
		.amdhsa_exception_fp_ieee_inexact 0
		.amdhsa_exception_int_div_zero 0
	.end_amdhsa_kernel
	.section	.text._ZN7rocprim17ROCPRIM_400000_NS6detail17trampoline_kernelINS0_14default_configENS1_29reduce_by_key_config_selectorIjjN6thrust23THRUST_200600_302600_NS4plusIjEEEEZZNS1_33reduce_by_key_impl_wrapped_configILNS1_25lookback_scan_determinismE0ES3_S9_NS6_6detail15normal_iteratorINS6_10device_ptrIjEEEESG_NS6_16discard_iteratorINS6_11use_defaultEEESG_PmS8_NS6_8equal_toIjEEEE10hipError_tPvRmT2_T3_mT4_T5_T6_T7_T8_P12ihipStream_tbENKUlT_T0_E_clISt17integral_constantIbLb0EES13_IbLb1EEEEDaSZ_S10_EUlSZ_E_NS1_11comp_targetILNS1_3genE9ELNS1_11target_archE1100ELNS1_3gpuE3ELNS1_3repE0EEENS1_30default_config_static_selectorELNS0_4arch9wavefront6targetE0EEEvT1_,"axG",@progbits,_ZN7rocprim17ROCPRIM_400000_NS6detail17trampoline_kernelINS0_14default_configENS1_29reduce_by_key_config_selectorIjjN6thrust23THRUST_200600_302600_NS4plusIjEEEEZZNS1_33reduce_by_key_impl_wrapped_configILNS1_25lookback_scan_determinismE0ES3_S9_NS6_6detail15normal_iteratorINS6_10device_ptrIjEEEESG_NS6_16discard_iteratorINS6_11use_defaultEEESG_PmS8_NS6_8equal_toIjEEEE10hipError_tPvRmT2_T3_mT4_T5_T6_T7_T8_P12ihipStream_tbENKUlT_T0_E_clISt17integral_constantIbLb0EES13_IbLb1EEEEDaSZ_S10_EUlSZ_E_NS1_11comp_targetILNS1_3genE9ELNS1_11target_archE1100ELNS1_3gpuE3ELNS1_3repE0EEENS1_30default_config_static_selectorELNS0_4arch9wavefront6targetE0EEEvT1_,comdat
.Lfunc_end947:
	.size	_ZN7rocprim17ROCPRIM_400000_NS6detail17trampoline_kernelINS0_14default_configENS1_29reduce_by_key_config_selectorIjjN6thrust23THRUST_200600_302600_NS4plusIjEEEEZZNS1_33reduce_by_key_impl_wrapped_configILNS1_25lookback_scan_determinismE0ES3_S9_NS6_6detail15normal_iteratorINS6_10device_ptrIjEEEESG_NS6_16discard_iteratorINS6_11use_defaultEEESG_PmS8_NS6_8equal_toIjEEEE10hipError_tPvRmT2_T3_mT4_T5_T6_T7_T8_P12ihipStream_tbENKUlT_T0_E_clISt17integral_constantIbLb0EES13_IbLb1EEEEDaSZ_S10_EUlSZ_E_NS1_11comp_targetILNS1_3genE9ELNS1_11target_archE1100ELNS1_3gpuE3ELNS1_3repE0EEENS1_30default_config_static_selectorELNS0_4arch9wavefront6targetE0EEEvT1_, .Lfunc_end947-_ZN7rocprim17ROCPRIM_400000_NS6detail17trampoline_kernelINS0_14default_configENS1_29reduce_by_key_config_selectorIjjN6thrust23THRUST_200600_302600_NS4plusIjEEEEZZNS1_33reduce_by_key_impl_wrapped_configILNS1_25lookback_scan_determinismE0ES3_S9_NS6_6detail15normal_iteratorINS6_10device_ptrIjEEEESG_NS6_16discard_iteratorINS6_11use_defaultEEESG_PmS8_NS6_8equal_toIjEEEE10hipError_tPvRmT2_T3_mT4_T5_T6_T7_T8_P12ihipStream_tbENKUlT_T0_E_clISt17integral_constantIbLb0EES13_IbLb1EEEEDaSZ_S10_EUlSZ_E_NS1_11comp_targetILNS1_3genE9ELNS1_11target_archE1100ELNS1_3gpuE3ELNS1_3repE0EEENS1_30default_config_static_selectorELNS0_4arch9wavefront6targetE0EEEvT1_
                                        ; -- End function
	.section	.AMDGPU.csdata,"",@progbits
; Kernel info:
; codeLenInByte = 15400
; NumSgprs: 44
; NumVgprs: 85
; ScratchSize: 0
; MemoryBound: 0
; FloatMode: 240
; IeeeMode: 1
; LDSByteSize: 15360 bytes/workgroup (compile time only)
; SGPRBlocks: 5
; VGPRBlocks: 10
; NumSGPRsForWavesPerEU: 44
; NumVGPRsForWavesPerEU: 85
; Occupancy: 16
; WaveLimiterHint : 1
; COMPUTE_PGM_RSRC2:SCRATCH_EN: 0
; COMPUTE_PGM_RSRC2:USER_SGPR: 15
; COMPUTE_PGM_RSRC2:TRAP_HANDLER: 0
; COMPUTE_PGM_RSRC2:TGID_X_EN: 1
; COMPUTE_PGM_RSRC2:TGID_Y_EN: 0
; COMPUTE_PGM_RSRC2:TGID_Z_EN: 0
; COMPUTE_PGM_RSRC2:TIDIG_COMP_CNT: 0
	.section	.text._ZN7rocprim17ROCPRIM_400000_NS6detail17trampoline_kernelINS0_14default_configENS1_29reduce_by_key_config_selectorIjjN6thrust23THRUST_200600_302600_NS4plusIjEEEEZZNS1_33reduce_by_key_impl_wrapped_configILNS1_25lookback_scan_determinismE0ES3_S9_NS6_6detail15normal_iteratorINS6_10device_ptrIjEEEESG_NS6_16discard_iteratorINS6_11use_defaultEEESG_PmS8_NS6_8equal_toIjEEEE10hipError_tPvRmT2_T3_mT4_T5_T6_T7_T8_P12ihipStream_tbENKUlT_T0_E_clISt17integral_constantIbLb0EES13_IbLb1EEEEDaSZ_S10_EUlSZ_E_NS1_11comp_targetILNS1_3genE8ELNS1_11target_archE1030ELNS1_3gpuE2ELNS1_3repE0EEENS1_30default_config_static_selectorELNS0_4arch9wavefront6targetE0EEEvT1_,"axG",@progbits,_ZN7rocprim17ROCPRIM_400000_NS6detail17trampoline_kernelINS0_14default_configENS1_29reduce_by_key_config_selectorIjjN6thrust23THRUST_200600_302600_NS4plusIjEEEEZZNS1_33reduce_by_key_impl_wrapped_configILNS1_25lookback_scan_determinismE0ES3_S9_NS6_6detail15normal_iteratorINS6_10device_ptrIjEEEESG_NS6_16discard_iteratorINS6_11use_defaultEEESG_PmS8_NS6_8equal_toIjEEEE10hipError_tPvRmT2_T3_mT4_T5_T6_T7_T8_P12ihipStream_tbENKUlT_T0_E_clISt17integral_constantIbLb0EES13_IbLb1EEEEDaSZ_S10_EUlSZ_E_NS1_11comp_targetILNS1_3genE8ELNS1_11target_archE1030ELNS1_3gpuE2ELNS1_3repE0EEENS1_30default_config_static_selectorELNS0_4arch9wavefront6targetE0EEEvT1_,comdat
	.protected	_ZN7rocprim17ROCPRIM_400000_NS6detail17trampoline_kernelINS0_14default_configENS1_29reduce_by_key_config_selectorIjjN6thrust23THRUST_200600_302600_NS4plusIjEEEEZZNS1_33reduce_by_key_impl_wrapped_configILNS1_25lookback_scan_determinismE0ES3_S9_NS6_6detail15normal_iteratorINS6_10device_ptrIjEEEESG_NS6_16discard_iteratorINS6_11use_defaultEEESG_PmS8_NS6_8equal_toIjEEEE10hipError_tPvRmT2_T3_mT4_T5_T6_T7_T8_P12ihipStream_tbENKUlT_T0_E_clISt17integral_constantIbLb0EES13_IbLb1EEEEDaSZ_S10_EUlSZ_E_NS1_11comp_targetILNS1_3genE8ELNS1_11target_archE1030ELNS1_3gpuE2ELNS1_3repE0EEENS1_30default_config_static_selectorELNS0_4arch9wavefront6targetE0EEEvT1_ ; -- Begin function _ZN7rocprim17ROCPRIM_400000_NS6detail17trampoline_kernelINS0_14default_configENS1_29reduce_by_key_config_selectorIjjN6thrust23THRUST_200600_302600_NS4plusIjEEEEZZNS1_33reduce_by_key_impl_wrapped_configILNS1_25lookback_scan_determinismE0ES3_S9_NS6_6detail15normal_iteratorINS6_10device_ptrIjEEEESG_NS6_16discard_iteratorINS6_11use_defaultEEESG_PmS8_NS6_8equal_toIjEEEE10hipError_tPvRmT2_T3_mT4_T5_T6_T7_T8_P12ihipStream_tbENKUlT_T0_E_clISt17integral_constantIbLb0EES13_IbLb1EEEEDaSZ_S10_EUlSZ_E_NS1_11comp_targetILNS1_3genE8ELNS1_11target_archE1030ELNS1_3gpuE2ELNS1_3repE0EEENS1_30default_config_static_selectorELNS0_4arch9wavefront6targetE0EEEvT1_
	.globl	_ZN7rocprim17ROCPRIM_400000_NS6detail17trampoline_kernelINS0_14default_configENS1_29reduce_by_key_config_selectorIjjN6thrust23THRUST_200600_302600_NS4plusIjEEEEZZNS1_33reduce_by_key_impl_wrapped_configILNS1_25lookback_scan_determinismE0ES3_S9_NS6_6detail15normal_iteratorINS6_10device_ptrIjEEEESG_NS6_16discard_iteratorINS6_11use_defaultEEESG_PmS8_NS6_8equal_toIjEEEE10hipError_tPvRmT2_T3_mT4_T5_T6_T7_T8_P12ihipStream_tbENKUlT_T0_E_clISt17integral_constantIbLb0EES13_IbLb1EEEEDaSZ_S10_EUlSZ_E_NS1_11comp_targetILNS1_3genE8ELNS1_11target_archE1030ELNS1_3gpuE2ELNS1_3repE0EEENS1_30default_config_static_selectorELNS0_4arch9wavefront6targetE0EEEvT1_
	.p2align	8
	.type	_ZN7rocprim17ROCPRIM_400000_NS6detail17trampoline_kernelINS0_14default_configENS1_29reduce_by_key_config_selectorIjjN6thrust23THRUST_200600_302600_NS4plusIjEEEEZZNS1_33reduce_by_key_impl_wrapped_configILNS1_25lookback_scan_determinismE0ES3_S9_NS6_6detail15normal_iteratorINS6_10device_ptrIjEEEESG_NS6_16discard_iteratorINS6_11use_defaultEEESG_PmS8_NS6_8equal_toIjEEEE10hipError_tPvRmT2_T3_mT4_T5_T6_T7_T8_P12ihipStream_tbENKUlT_T0_E_clISt17integral_constantIbLb0EES13_IbLb1EEEEDaSZ_S10_EUlSZ_E_NS1_11comp_targetILNS1_3genE8ELNS1_11target_archE1030ELNS1_3gpuE2ELNS1_3repE0EEENS1_30default_config_static_selectorELNS0_4arch9wavefront6targetE0EEEvT1_,@function
_ZN7rocprim17ROCPRIM_400000_NS6detail17trampoline_kernelINS0_14default_configENS1_29reduce_by_key_config_selectorIjjN6thrust23THRUST_200600_302600_NS4plusIjEEEEZZNS1_33reduce_by_key_impl_wrapped_configILNS1_25lookback_scan_determinismE0ES3_S9_NS6_6detail15normal_iteratorINS6_10device_ptrIjEEEESG_NS6_16discard_iteratorINS6_11use_defaultEEESG_PmS8_NS6_8equal_toIjEEEE10hipError_tPvRmT2_T3_mT4_T5_T6_T7_T8_P12ihipStream_tbENKUlT_T0_E_clISt17integral_constantIbLb0EES13_IbLb1EEEEDaSZ_S10_EUlSZ_E_NS1_11comp_targetILNS1_3genE8ELNS1_11target_archE1030ELNS1_3gpuE2ELNS1_3repE0EEENS1_30default_config_static_selectorELNS0_4arch9wavefront6targetE0EEEvT1_: ; @_ZN7rocprim17ROCPRIM_400000_NS6detail17trampoline_kernelINS0_14default_configENS1_29reduce_by_key_config_selectorIjjN6thrust23THRUST_200600_302600_NS4plusIjEEEEZZNS1_33reduce_by_key_impl_wrapped_configILNS1_25lookback_scan_determinismE0ES3_S9_NS6_6detail15normal_iteratorINS6_10device_ptrIjEEEESG_NS6_16discard_iteratorINS6_11use_defaultEEESG_PmS8_NS6_8equal_toIjEEEE10hipError_tPvRmT2_T3_mT4_T5_T6_T7_T8_P12ihipStream_tbENKUlT_T0_E_clISt17integral_constantIbLb0EES13_IbLb1EEEEDaSZ_S10_EUlSZ_E_NS1_11comp_targetILNS1_3genE8ELNS1_11target_archE1030ELNS1_3gpuE2ELNS1_3repE0EEENS1_30default_config_static_selectorELNS0_4arch9wavefront6targetE0EEEvT1_
; %bb.0:
	.section	.rodata,"a",@progbits
	.p2align	6, 0x0
	.amdhsa_kernel _ZN7rocprim17ROCPRIM_400000_NS6detail17trampoline_kernelINS0_14default_configENS1_29reduce_by_key_config_selectorIjjN6thrust23THRUST_200600_302600_NS4plusIjEEEEZZNS1_33reduce_by_key_impl_wrapped_configILNS1_25lookback_scan_determinismE0ES3_S9_NS6_6detail15normal_iteratorINS6_10device_ptrIjEEEESG_NS6_16discard_iteratorINS6_11use_defaultEEESG_PmS8_NS6_8equal_toIjEEEE10hipError_tPvRmT2_T3_mT4_T5_T6_T7_T8_P12ihipStream_tbENKUlT_T0_E_clISt17integral_constantIbLb0EES13_IbLb1EEEEDaSZ_S10_EUlSZ_E_NS1_11comp_targetILNS1_3genE8ELNS1_11target_archE1030ELNS1_3gpuE2ELNS1_3repE0EEENS1_30default_config_static_selectorELNS0_4arch9wavefront6targetE0EEEvT1_
		.amdhsa_group_segment_fixed_size 0
		.amdhsa_private_segment_fixed_size 0
		.amdhsa_kernarg_size 128
		.amdhsa_user_sgpr_count 15
		.amdhsa_user_sgpr_dispatch_ptr 0
		.amdhsa_user_sgpr_queue_ptr 0
		.amdhsa_user_sgpr_kernarg_segment_ptr 1
		.amdhsa_user_sgpr_dispatch_id 0
		.amdhsa_user_sgpr_private_segment_size 0
		.amdhsa_wavefront_size32 1
		.amdhsa_uses_dynamic_stack 0
		.amdhsa_enable_private_segment 0
		.amdhsa_system_sgpr_workgroup_id_x 1
		.amdhsa_system_sgpr_workgroup_id_y 0
		.amdhsa_system_sgpr_workgroup_id_z 0
		.amdhsa_system_sgpr_workgroup_info 0
		.amdhsa_system_vgpr_workitem_id 0
		.amdhsa_next_free_vgpr 1
		.amdhsa_next_free_sgpr 1
		.amdhsa_reserve_vcc 0
		.amdhsa_float_round_mode_32 0
		.amdhsa_float_round_mode_16_64 0
		.amdhsa_float_denorm_mode_32 3
		.amdhsa_float_denorm_mode_16_64 3
		.amdhsa_dx10_clamp 1
		.amdhsa_ieee_mode 1
		.amdhsa_fp16_overflow 0
		.amdhsa_workgroup_processor_mode 1
		.amdhsa_memory_ordered 1
		.amdhsa_forward_progress 0
		.amdhsa_shared_vgpr_count 0
		.amdhsa_exception_fp_ieee_invalid_op 0
		.amdhsa_exception_fp_denorm_src 0
		.amdhsa_exception_fp_ieee_div_zero 0
		.amdhsa_exception_fp_ieee_overflow 0
		.amdhsa_exception_fp_ieee_underflow 0
		.amdhsa_exception_fp_ieee_inexact 0
		.amdhsa_exception_int_div_zero 0
	.end_amdhsa_kernel
	.section	.text._ZN7rocprim17ROCPRIM_400000_NS6detail17trampoline_kernelINS0_14default_configENS1_29reduce_by_key_config_selectorIjjN6thrust23THRUST_200600_302600_NS4plusIjEEEEZZNS1_33reduce_by_key_impl_wrapped_configILNS1_25lookback_scan_determinismE0ES3_S9_NS6_6detail15normal_iteratorINS6_10device_ptrIjEEEESG_NS6_16discard_iteratorINS6_11use_defaultEEESG_PmS8_NS6_8equal_toIjEEEE10hipError_tPvRmT2_T3_mT4_T5_T6_T7_T8_P12ihipStream_tbENKUlT_T0_E_clISt17integral_constantIbLb0EES13_IbLb1EEEEDaSZ_S10_EUlSZ_E_NS1_11comp_targetILNS1_3genE8ELNS1_11target_archE1030ELNS1_3gpuE2ELNS1_3repE0EEENS1_30default_config_static_selectorELNS0_4arch9wavefront6targetE0EEEvT1_,"axG",@progbits,_ZN7rocprim17ROCPRIM_400000_NS6detail17trampoline_kernelINS0_14default_configENS1_29reduce_by_key_config_selectorIjjN6thrust23THRUST_200600_302600_NS4plusIjEEEEZZNS1_33reduce_by_key_impl_wrapped_configILNS1_25lookback_scan_determinismE0ES3_S9_NS6_6detail15normal_iteratorINS6_10device_ptrIjEEEESG_NS6_16discard_iteratorINS6_11use_defaultEEESG_PmS8_NS6_8equal_toIjEEEE10hipError_tPvRmT2_T3_mT4_T5_T6_T7_T8_P12ihipStream_tbENKUlT_T0_E_clISt17integral_constantIbLb0EES13_IbLb1EEEEDaSZ_S10_EUlSZ_E_NS1_11comp_targetILNS1_3genE8ELNS1_11target_archE1030ELNS1_3gpuE2ELNS1_3repE0EEENS1_30default_config_static_selectorELNS0_4arch9wavefront6targetE0EEEvT1_,comdat
.Lfunc_end948:
	.size	_ZN7rocprim17ROCPRIM_400000_NS6detail17trampoline_kernelINS0_14default_configENS1_29reduce_by_key_config_selectorIjjN6thrust23THRUST_200600_302600_NS4plusIjEEEEZZNS1_33reduce_by_key_impl_wrapped_configILNS1_25lookback_scan_determinismE0ES3_S9_NS6_6detail15normal_iteratorINS6_10device_ptrIjEEEESG_NS6_16discard_iteratorINS6_11use_defaultEEESG_PmS8_NS6_8equal_toIjEEEE10hipError_tPvRmT2_T3_mT4_T5_T6_T7_T8_P12ihipStream_tbENKUlT_T0_E_clISt17integral_constantIbLb0EES13_IbLb1EEEEDaSZ_S10_EUlSZ_E_NS1_11comp_targetILNS1_3genE8ELNS1_11target_archE1030ELNS1_3gpuE2ELNS1_3repE0EEENS1_30default_config_static_selectorELNS0_4arch9wavefront6targetE0EEEvT1_, .Lfunc_end948-_ZN7rocprim17ROCPRIM_400000_NS6detail17trampoline_kernelINS0_14default_configENS1_29reduce_by_key_config_selectorIjjN6thrust23THRUST_200600_302600_NS4plusIjEEEEZZNS1_33reduce_by_key_impl_wrapped_configILNS1_25lookback_scan_determinismE0ES3_S9_NS6_6detail15normal_iteratorINS6_10device_ptrIjEEEESG_NS6_16discard_iteratorINS6_11use_defaultEEESG_PmS8_NS6_8equal_toIjEEEE10hipError_tPvRmT2_T3_mT4_T5_T6_T7_T8_P12ihipStream_tbENKUlT_T0_E_clISt17integral_constantIbLb0EES13_IbLb1EEEEDaSZ_S10_EUlSZ_E_NS1_11comp_targetILNS1_3genE8ELNS1_11target_archE1030ELNS1_3gpuE2ELNS1_3repE0EEENS1_30default_config_static_selectorELNS0_4arch9wavefront6targetE0EEEvT1_
                                        ; -- End function
	.section	.AMDGPU.csdata,"",@progbits
; Kernel info:
; codeLenInByte = 0
; NumSgprs: 0
; NumVgprs: 0
; ScratchSize: 0
; MemoryBound: 0
; FloatMode: 240
; IeeeMode: 1
; LDSByteSize: 0 bytes/workgroup (compile time only)
; SGPRBlocks: 0
; VGPRBlocks: 0
; NumSGPRsForWavesPerEU: 1
; NumVGPRsForWavesPerEU: 1
; Occupancy: 16
; WaveLimiterHint : 0
; COMPUTE_PGM_RSRC2:SCRATCH_EN: 0
; COMPUTE_PGM_RSRC2:USER_SGPR: 15
; COMPUTE_PGM_RSRC2:TRAP_HANDLER: 0
; COMPUTE_PGM_RSRC2:TGID_X_EN: 1
; COMPUTE_PGM_RSRC2:TGID_Y_EN: 0
; COMPUTE_PGM_RSRC2:TGID_Z_EN: 0
; COMPUTE_PGM_RSRC2:TIDIG_COMP_CNT: 0
	.section	.text._ZN7rocprim17ROCPRIM_400000_NS6detail17trampoline_kernelINS0_14default_configENS1_29reduce_by_key_config_selectorIjtN6thrust23THRUST_200600_302600_NS4plusItEEEEZZNS1_33reduce_by_key_impl_wrapped_configILNS1_25lookback_scan_determinismE0ES3_S9_NS6_6detail15normal_iteratorINS6_10device_ptrIjEEEENSD_INSE_ItEEEENS6_16discard_iteratorINS6_11use_defaultEEESI_PmS8_NS6_8equal_toIjEEEE10hipError_tPvRmT2_T3_mT4_T5_T6_T7_T8_P12ihipStream_tbENKUlT_T0_E_clISt17integral_constantIbLb0EES16_EEDaS11_S12_EUlS11_E_NS1_11comp_targetILNS1_3genE0ELNS1_11target_archE4294967295ELNS1_3gpuE0ELNS1_3repE0EEENS1_30default_config_static_selectorELNS0_4arch9wavefront6targetE0EEEvT1_,"axG",@progbits,_ZN7rocprim17ROCPRIM_400000_NS6detail17trampoline_kernelINS0_14default_configENS1_29reduce_by_key_config_selectorIjtN6thrust23THRUST_200600_302600_NS4plusItEEEEZZNS1_33reduce_by_key_impl_wrapped_configILNS1_25lookback_scan_determinismE0ES3_S9_NS6_6detail15normal_iteratorINS6_10device_ptrIjEEEENSD_INSE_ItEEEENS6_16discard_iteratorINS6_11use_defaultEEESI_PmS8_NS6_8equal_toIjEEEE10hipError_tPvRmT2_T3_mT4_T5_T6_T7_T8_P12ihipStream_tbENKUlT_T0_E_clISt17integral_constantIbLb0EES16_EEDaS11_S12_EUlS11_E_NS1_11comp_targetILNS1_3genE0ELNS1_11target_archE4294967295ELNS1_3gpuE0ELNS1_3repE0EEENS1_30default_config_static_selectorELNS0_4arch9wavefront6targetE0EEEvT1_,comdat
	.protected	_ZN7rocprim17ROCPRIM_400000_NS6detail17trampoline_kernelINS0_14default_configENS1_29reduce_by_key_config_selectorIjtN6thrust23THRUST_200600_302600_NS4plusItEEEEZZNS1_33reduce_by_key_impl_wrapped_configILNS1_25lookback_scan_determinismE0ES3_S9_NS6_6detail15normal_iteratorINS6_10device_ptrIjEEEENSD_INSE_ItEEEENS6_16discard_iteratorINS6_11use_defaultEEESI_PmS8_NS6_8equal_toIjEEEE10hipError_tPvRmT2_T3_mT4_T5_T6_T7_T8_P12ihipStream_tbENKUlT_T0_E_clISt17integral_constantIbLb0EES16_EEDaS11_S12_EUlS11_E_NS1_11comp_targetILNS1_3genE0ELNS1_11target_archE4294967295ELNS1_3gpuE0ELNS1_3repE0EEENS1_30default_config_static_selectorELNS0_4arch9wavefront6targetE0EEEvT1_ ; -- Begin function _ZN7rocprim17ROCPRIM_400000_NS6detail17trampoline_kernelINS0_14default_configENS1_29reduce_by_key_config_selectorIjtN6thrust23THRUST_200600_302600_NS4plusItEEEEZZNS1_33reduce_by_key_impl_wrapped_configILNS1_25lookback_scan_determinismE0ES3_S9_NS6_6detail15normal_iteratorINS6_10device_ptrIjEEEENSD_INSE_ItEEEENS6_16discard_iteratorINS6_11use_defaultEEESI_PmS8_NS6_8equal_toIjEEEE10hipError_tPvRmT2_T3_mT4_T5_T6_T7_T8_P12ihipStream_tbENKUlT_T0_E_clISt17integral_constantIbLb0EES16_EEDaS11_S12_EUlS11_E_NS1_11comp_targetILNS1_3genE0ELNS1_11target_archE4294967295ELNS1_3gpuE0ELNS1_3repE0EEENS1_30default_config_static_selectorELNS0_4arch9wavefront6targetE0EEEvT1_
	.globl	_ZN7rocprim17ROCPRIM_400000_NS6detail17trampoline_kernelINS0_14default_configENS1_29reduce_by_key_config_selectorIjtN6thrust23THRUST_200600_302600_NS4plusItEEEEZZNS1_33reduce_by_key_impl_wrapped_configILNS1_25lookback_scan_determinismE0ES3_S9_NS6_6detail15normal_iteratorINS6_10device_ptrIjEEEENSD_INSE_ItEEEENS6_16discard_iteratorINS6_11use_defaultEEESI_PmS8_NS6_8equal_toIjEEEE10hipError_tPvRmT2_T3_mT4_T5_T6_T7_T8_P12ihipStream_tbENKUlT_T0_E_clISt17integral_constantIbLb0EES16_EEDaS11_S12_EUlS11_E_NS1_11comp_targetILNS1_3genE0ELNS1_11target_archE4294967295ELNS1_3gpuE0ELNS1_3repE0EEENS1_30default_config_static_selectorELNS0_4arch9wavefront6targetE0EEEvT1_
	.p2align	8
	.type	_ZN7rocprim17ROCPRIM_400000_NS6detail17trampoline_kernelINS0_14default_configENS1_29reduce_by_key_config_selectorIjtN6thrust23THRUST_200600_302600_NS4plusItEEEEZZNS1_33reduce_by_key_impl_wrapped_configILNS1_25lookback_scan_determinismE0ES3_S9_NS6_6detail15normal_iteratorINS6_10device_ptrIjEEEENSD_INSE_ItEEEENS6_16discard_iteratorINS6_11use_defaultEEESI_PmS8_NS6_8equal_toIjEEEE10hipError_tPvRmT2_T3_mT4_T5_T6_T7_T8_P12ihipStream_tbENKUlT_T0_E_clISt17integral_constantIbLb0EES16_EEDaS11_S12_EUlS11_E_NS1_11comp_targetILNS1_3genE0ELNS1_11target_archE4294967295ELNS1_3gpuE0ELNS1_3repE0EEENS1_30default_config_static_selectorELNS0_4arch9wavefront6targetE0EEEvT1_,@function
_ZN7rocprim17ROCPRIM_400000_NS6detail17trampoline_kernelINS0_14default_configENS1_29reduce_by_key_config_selectorIjtN6thrust23THRUST_200600_302600_NS4plusItEEEEZZNS1_33reduce_by_key_impl_wrapped_configILNS1_25lookback_scan_determinismE0ES3_S9_NS6_6detail15normal_iteratorINS6_10device_ptrIjEEEENSD_INSE_ItEEEENS6_16discard_iteratorINS6_11use_defaultEEESI_PmS8_NS6_8equal_toIjEEEE10hipError_tPvRmT2_T3_mT4_T5_T6_T7_T8_P12ihipStream_tbENKUlT_T0_E_clISt17integral_constantIbLb0EES16_EEDaS11_S12_EUlS11_E_NS1_11comp_targetILNS1_3genE0ELNS1_11target_archE4294967295ELNS1_3gpuE0ELNS1_3repE0EEENS1_30default_config_static_selectorELNS0_4arch9wavefront6targetE0EEEvT1_: ; @_ZN7rocprim17ROCPRIM_400000_NS6detail17trampoline_kernelINS0_14default_configENS1_29reduce_by_key_config_selectorIjtN6thrust23THRUST_200600_302600_NS4plusItEEEEZZNS1_33reduce_by_key_impl_wrapped_configILNS1_25lookback_scan_determinismE0ES3_S9_NS6_6detail15normal_iteratorINS6_10device_ptrIjEEEENSD_INSE_ItEEEENS6_16discard_iteratorINS6_11use_defaultEEESI_PmS8_NS6_8equal_toIjEEEE10hipError_tPvRmT2_T3_mT4_T5_T6_T7_T8_P12ihipStream_tbENKUlT_T0_E_clISt17integral_constantIbLb0EES16_EEDaS11_S12_EUlS11_E_NS1_11comp_targetILNS1_3genE0ELNS1_11target_archE4294967295ELNS1_3gpuE0ELNS1_3repE0EEENS1_30default_config_static_selectorELNS0_4arch9wavefront6targetE0EEEvT1_
; %bb.0:
	.section	.rodata,"a",@progbits
	.p2align	6, 0x0
	.amdhsa_kernel _ZN7rocprim17ROCPRIM_400000_NS6detail17trampoline_kernelINS0_14default_configENS1_29reduce_by_key_config_selectorIjtN6thrust23THRUST_200600_302600_NS4plusItEEEEZZNS1_33reduce_by_key_impl_wrapped_configILNS1_25lookback_scan_determinismE0ES3_S9_NS6_6detail15normal_iteratorINS6_10device_ptrIjEEEENSD_INSE_ItEEEENS6_16discard_iteratorINS6_11use_defaultEEESI_PmS8_NS6_8equal_toIjEEEE10hipError_tPvRmT2_T3_mT4_T5_T6_T7_T8_P12ihipStream_tbENKUlT_T0_E_clISt17integral_constantIbLb0EES16_EEDaS11_S12_EUlS11_E_NS1_11comp_targetILNS1_3genE0ELNS1_11target_archE4294967295ELNS1_3gpuE0ELNS1_3repE0EEENS1_30default_config_static_selectorELNS0_4arch9wavefront6targetE0EEEvT1_
		.amdhsa_group_segment_fixed_size 0
		.amdhsa_private_segment_fixed_size 0
		.amdhsa_kernarg_size 128
		.amdhsa_user_sgpr_count 15
		.amdhsa_user_sgpr_dispatch_ptr 0
		.amdhsa_user_sgpr_queue_ptr 0
		.amdhsa_user_sgpr_kernarg_segment_ptr 1
		.amdhsa_user_sgpr_dispatch_id 0
		.amdhsa_user_sgpr_private_segment_size 0
		.amdhsa_wavefront_size32 1
		.amdhsa_uses_dynamic_stack 0
		.amdhsa_enable_private_segment 0
		.amdhsa_system_sgpr_workgroup_id_x 1
		.amdhsa_system_sgpr_workgroup_id_y 0
		.amdhsa_system_sgpr_workgroup_id_z 0
		.amdhsa_system_sgpr_workgroup_info 0
		.amdhsa_system_vgpr_workitem_id 0
		.amdhsa_next_free_vgpr 1
		.amdhsa_next_free_sgpr 1
		.amdhsa_reserve_vcc 0
		.amdhsa_float_round_mode_32 0
		.amdhsa_float_round_mode_16_64 0
		.amdhsa_float_denorm_mode_32 3
		.amdhsa_float_denorm_mode_16_64 3
		.amdhsa_dx10_clamp 1
		.amdhsa_ieee_mode 1
		.amdhsa_fp16_overflow 0
		.amdhsa_workgroup_processor_mode 1
		.amdhsa_memory_ordered 1
		.amdhsa_forward_progress 0
		.amdhsa_shared_vgpr_count 0
		.amdhsa_exception_fp_ieee_invalid_op 0
		.amdhsa_exception_fp_denorm_src 0
		.amdhsa_exception_fp_ieee_div_zero 0
		.amdhsa_exception_fp_ieee_overflow 0
		.amdhsa_exception_fp_ieee_underflow 0
		.amdhsa_exception_fp_ieee_inexact 0
		.amdhsa_exception_int_div_zero 0
	.end_amdhsa_kernel
	.section	.text._ZN7rocprim17ROCPRIM_400000_NS6detail17trampoline_kernelINS0_14default_configENS1_29reduce_by_key_config_selectorIjtN6thrust23THRUST_200600_302600_NS4plusItEEEEZZNS1_33reduce_by_key_impl_wrapped_configILNS1_25lookback_scan_determinismE0ES3_S9_NS6_6detail15normal_iteratorINS6_10device_ptrIjEEEENSD_INSE_ItEEEENS6_16discard_iteratorINS6_11use_defaultEEESI_PmS8_NS6_8equal_toIjEEEE10hipError_tPvRmT2_T3_mT4_T5_T6_T7_T8_P12ihipStream_tbENKUlT_T0_E_clISt17integral_constantIbLb0EES16_EEDaS11_S12_EUlS11_E_NS1_11comp_targetILNS1_3genE0ELNS1_11target_archE4294967295ELNS1_3gpuE0ELNS1_3repE0EEENS1_30default_config_static_selectorELNS0_4arch9wavefront6targetE0EEEvT1_,"axG",@progbits,_ZN7rocprim17ROCPRIM_400000_NS6detail17trampoline_kernelINS0_14default_configENS1_29reduce_by_key_config_selectorIjtN6thrust23THRUST_200600_302600_NS4plusItEEEEZZNS1_33reduce_by_key_impl_wrapped_configILNS1_25lookback_scan_determinismE0ES3_S9_NS6_6detail15normal_iteratorINS6_10device_ptrIjEEEENSD_INSE_ItEEEENS6_16discard_iteratorINS6_11use_defaultEEESI_PmS8_NS6_8equal_toIjEEEE10hipError_tPvRmT2_T3_mT4_T5_T6_T7_T8_P12ihipStream_tbENKUlT_T0_E_clISt17integral_constantIbLb0EES16_EEDaS11_S12_EUlS11_E_NS1_11comp_targetILNS1_3genE0ELNS1_11target_archE4294967295ELNS1_3gpuE0ELNS1_3repE0EEENS1_30default_config_static_selectorELNS0_4arch9wavefront6targetE0EEEvT1_,comdat
.Lfunc_end949:
	.size	_ZN7rocprim17ROCPRIM_400000_NS6detail17trampoline_kernelINS0_14default_configENS1_29reduce_by_key_config_selectorIjtN6thrust23THRUST_200600_302600_NS4plusItEEEEZZNS1_33reduce_by_key_impl_wrapped_configILNS1_25lookback_scan_determinismE0ES3_S9_NS6_6detail15normal_iteratorINS6_10device_ptrIjEEEENSD_INSE_ItEEEENS6_16discard_iteratorINS6_11use_defaultEEESI_PmS8_NS6_8equal_toIjEEEE10hipError_tPvRmT2_T3_mT4_T5_T6_T7_T8_P12ihipStream_tbENKUlT_T0_E_clISt17integral_constantIbLb0EES16_EEDaS11_S12_EUlS11_E_NS1_11comp_targetILNS1_3genE0ELNS1_11target_archE4294967295ELNS1_3gpuE0ELNS1_3repE0EEENS1_30default_config_static_selectorELNS0_4arch9wavefront6targetE0EEEvT1_, .Lfunc_end949-_ZN7rocprim17ROCPRIM_400000_NS6detail17trampoline_kernelINS0_14default_configENS1_29reduce_by_key_config_selectorIjtN6thrust23THRUST_200600_302600_NS4plusItEEEEZZNS1_33reduce_by_key_impl_wrapped_configILNS1_25lookback_scan_determinismE0ES3_S9_NS6_6detail15normal_iteratorINS6_10device_ptrIjEEEENSD_INSE_ItEEEENS6_16discard_iteratorINS6_11use_defaultEEESI_PmS8_NS6_8equal_toIjEEEE10hipError_tPvRmT2_T3_mT4_T5_T6_T7_T8_P12ihipStream_tbENKUlT_T0_E_clISt17integral_constantIbLb0EES16_EEDaS11_S12_EUlS11_E_NS1_11comp_targetILNS1_3genE0ELNS1_11target_archE4294967295ELNS1_3gpuE0ELNS1_3repE0EEENS1_30default_config_static_selectorELNS0_4arch9wavefront6targetE0EEEvT1_
                                        ; -- End function
	.section	.AMDGPU.csdata,"",@progbits
; Kernel info:
; codeLenInByte = 0
; NumSgprs: 0
; NumVgprs: 0
; ScratchSize: 0
; MemoryBound: 0
; FloatMode: 240
; IeeeMode: 1
; LDSByteSize: 0 bytes/workgroup (compile time only)
; SGPRBlocks: 0
; VGPRBlocks: 0
; NumSGPRsForWavesPerEU: 1
; NumVGPRsForWavesPerEU: 1
; Occupancy: 16
; WaveLimiterHint : 0
; COMPUTE_PGM_RSRC2:SCRATCH_EN: 0
; COMPUTE_PGM_RSRC2:USER_SGPR: 15
; COMPUTE_PGM_RSRC2:TRAP_HANDLER: 0
; COMPUTE_PGM_RSRC2:TGID_X_EN: 1
; COMPUTE_PGM_RSRC2:TGID_Y_EN: 0
; COMPUTE_PGM_RSRC2:TGID_Z_EN: 0
; COMPUTE_PGM_RSRC2:TIDIG_COMP_CNT: 0
	.section	.text._ZN7rocprim17ROCPRIM_400000_NS6detail17trampoline_kernelINS0_14default_configENS1_29reduce_by_key_config_selectorIjtN6thrust23THRUST_200600_302600_NS4plusItEEEEZZNS1_33reduce_by_key_impl_wrapped_configILNS1_25lookback_scan_determinismE0ES3_S9_NS6_6detail15normal_iteratorINS6_10device_ptrIjEEEENSD_INSE_ItEEEENS6_16discard_iteratorINS6_11use_defaultEEESI_PmS8_NS6_8equal_toIjEEEE10hipError_tPvRmT2_T3_mT4_T5_T6_T7_T8_P12ihipStream_tbENKUlT_T0_E_clISt17integral_constantIbLb0EES16_EEDaS11_S12_EUlS11_E_NS1_11comp_targetILNS1_3genE5ELNS1_11target_archE942ELNS1_3gpuE9ELNS1_3repE0EEENS1_30default_config_static_selectorELNS0_4arch9wavefront6targetE0EEEvT1_,"axG",@progbits,_ZN7rocprim17ROCPRIM_400000_NS6detail17trampoline_kernelINS0_14default_configENS1_29reduce_by_key_config_selectorIjtN6thrust23THRUST_200600_302600_NS4plusItEEEEZZNS1_33reduce_by_key_impl_wrapped_configILNS1_25lookback_scan_determinismE0ES3_S9_NS6_6detail15normal_iteratorINS6_10device_ptrIjEEEENSD_INSE_ItEEEENS6_16discard_iteratorINS6_11use_defaultEEESI_PmS8_NS6_8equal_toIjEEEE10hipError_tPvRmT2_T3_mT4_T5_T6_T7_T8_P12ihipStream_tbENKUlT_T0_E_clISt17integral_constantIbLb0EES16_EEDaS11_S12_EUlS11_E_NS1_11comp_targetILNS1_3genE5ELNS1_11target_archE942ELNS1_3gpuE9ELNS1_3repE0EEENS1_30default_config_static_selectorELNS0_4arch9wavefront6targetE0EEEvT1_,comdat
	.protected	_ZN7rocprim17ROCPRIM_400000_NS6detail17trampoline_kernelINS0_14default_configENS1_29reduce_by_key_config_selectorIjtN6thrust23THRUST_200600_302600_NS4plusItEEEEZZNS1_33reduce_by_key_impl_wrapped_configILNS1_25lookback_scan_determinismE0ES3_S9_NS6_6detail15normal_iteratorINS6_10device_ptrIjEEEENSD_INSE_ItEEEENS6_16discard_iteratorINS6_11use_defaultEEESI_PmS8_NS6_8equal_toIjEEEE10hipError_tPvRmT2_T3_mT4_T5_T6_T7_T8_P12ihipStream_tbENKUlT_T0_E_clISt17integral_constantIbLb0EES16_EEDaS11_S12_EUlS11_E_NS1_11comp_targetILNS1_3genE5ELNS1_11target_archE942ELNS1_3gpuE9ELNS1_3repE0EEENS1_30default_config_static_selectorELNS0_4arch9wavefront6targetE0EEEvT1_ ; -- Begin function _ZN7rocprim17ROCPRIM_400000_NS6detail17trampoline_kernelINS0_14default_configENS1_29reduce_by_key_config_selectorIjtN6thrust23THRUST_200600_302600_NS4plusItEEEEZZNS1_33reduce_by_key_impl_wrapped_configILNS1_25lookback_scan_determinismE0ES3_S9_NS6_6detail15normal_iteratorINS6_10device_ptrIjEEEENSD_INSE_ItEEEENS6_16discard_iteratorINS6_11use_defaultEEESI_PmS8_NS6_8equal_toIjEEEE10hipError_tPvRmT2_T3_mT4_T5_T6_T7_T8_P12ihipStream_tbENKUlT_T0_E_clISt17integral_constantIbLb0EES16_EEDaS11_S12_EUlS11_E_NS1_11comp_targetILNS1_3genE5ELNS1_11target_archE942ELNS1_3gpuE9ELNS1_3repE0EEENS1_30default_config_static_selectorELNS0_4arch9wavefront6targetE0EEEvT1_
	.globl	_ZN7rocprim17ROCPRIM_400000_NS6detail17trampoline_kernelINS0_14default_configENS1_29reduce_by_key_config_selectorIjtN6thrust23THRUST_200600_302600_NS4plusItEEEEZZNS1_33reduce_by_key_impl_wrapped_configILNS1_25lookback_scan_determinismE0ES3_S9_NS6_6detail15normal_iteratorINS6_10device_ptrIjEEEENSD_INSE_ItEEEENS6_16discard_iteratorINS6_11use_defaultEEESI_PmS8_NS6_8equal_toIjEEEE10hipError_tPvRmT2_T3_mT4_T5_T6_T7_T8_P12ihipStream_tbENKUlT_T0_E_clISt17integral_constantIbLb0EES16_EEDaS11_S12_EUlS11_E_NS1_11comp_targetILNS1_3genE5ELNS1_11target_archE942ELNS1_3gpuE9ELNS1_3repE0EEENS1_30default_config_static_selectorELNS0_4arch9wavefront6targetE0EEEvT1_
	.p2align	8
	.type	_ZN7rocprim17ROCPRIM_400000_NS6detail17trampoline_kernelINS0_14default_configENS1_29reduce_by_key_config_selectorIjtN6thrust23THRUST_200600_302600_NS4plusItEEEEZZNS1_33reduce_by_key_impl_wrapped_configILNS1_25lookback_scan_determinismE0ES3_S9_NS6_6detail15normal_iteratorINS6_10device_ptrIjEEEENSD_INSE_ItEEEENS6_16discard_iteratorINS6_11use_defaultEEESI_PmS8_NS6_8equal_toIjEEEE10hipError_tPvRmT2_T3_mT4_T5_T6_T7_T8_P12ihipStream_tbENKUlT_T0_E_clISt17integral_constantIbLb0EES16_EEDaS11_S12_EUlS11_E_NS1_11comp_targetILNS1_3genE5ELNS1_11target_archE942ELNS1_3gpuE9ELNS1_3repE0EEENS1_30default_config_static_selectorELNS0_4arch9wavefront6targetE0EEEvT1_,@function
_ZN7rocprim17ROCPRIM_400000_NS6detail17trampoline_kernelINS0_14default_configENS1_29reduce_by_key_config_selectorIjtN6thrust23THRUST_200600_302600_NS4plusItEEEEZZNS1_33reduce_by_key_impl_wrapped_configILNS1_25lookback_scan_determinismE0ES3_S9_NS6_6detail15normal_iteratorINS6_10device_ptrIjEEEENSD_INSE_ItEEEENS6_16discard_iteratorINS6_11use_defaultEEESI_PmS8_NS6_8equal_toIjEEEE10hipError_tPvRmT2_T3_mT4_T5_T6_T7_T8_P12ihipStream_tbENKUlT_T0_E_clISt17integral_constantIbLb0EES16_EEDaS11_S12_EUlS11_E_NS1_11comp_targetILNS1_3genE5ELNS1_11target_archE942ELNS1_3gpuE9ELNS1_3repE0EEENS1_30default_config_static_selectorELNS0_4arch9wavefront6targetE0EEEvT1_: ; @_ZN7rocprim17ROCPRIM_400000_NS6detail17trampoline_kernelINS0_14default_configENS1_29reduce_by_key_config_selectorIjtN6thrust23THRUST_200600_302600_NS4plusItEEEEZZNS1_33reduce_by_key_impl_wrapped_configILNS1_25lookback_scan_determinismE0ES3_S9_NS6_6detail15normal_iteratorINS6_10device_ptrIjEEEENSD_INSE_ItEEEENS6_16discard_iteratorINS6_11use_defaultEEESI_PmS8_NS6_8equal_toIjEEEE10hipError_tPvRmT2_T3_mT4_T5_T6_T7_T8_P12ihipStream_tbENKUlT_T0_E_clISt17integral_constantIbLb0EES16_EEDaS11_S12_EUlS11_E_NS1_11comp_targetILNS1_3genE5ELNS1_11target_archE942ELNS1_3gpuE9ELNS1_3repE0EEENS1_30default_config_static_selectorELNS0_4arch9wavefront6targetE0EEEvT1_
; %bb.0:
	.section	.rodata,"a",@progbits
	.p2align	6, 0x0
	.amdhsa_kernel _ZN7rocprim17ROCPRIM_400000_NS6detail17trampoline_kernelINS0_14default_configENS1_29reduce_by_key_config_selectorIjtN6thrust23THRUST_200600_302600_NS4plusItEEEEZZNS1_33reduce_by_key_impl_wrapped_configILNS1_25lookback_scan_determinismE0ES3_S9_NS6_6detail15normal_iteratorINS6_10device_ptrIjEEEENSD_INSE_ItEEEENS6_16discard_iteratorINS6_11use_defaultEEESI_PmS8_NS6_8equal_toIjEEEE10hipError_tPvRmT2_T3_mT4_T5_T6_T7_T8_P12ihipStream_tbENKUlT_T0_E_clISt17integral_constantIbLb0EES16_EEDaS11_S12_EUlS11_E_NS1_11comp_targetILNS1_3genE5ELNS1_11target_archE942ELNS1_3gpuE9ELNS1_3repE0EEENS1_30default_config_static_selectorELNS0_4arch9wavefront6targetE0EEEvT1_
		.amdhsa_group_segment_fixed_size 0
		.amdhsa_private_segment_fixed_size 0
		.amdhsa_kernarg_size 128
		.amdhsa_user_sgpr_count 15
		.amdhsa_user_sgpr_dispatch_ptr 0
		.amdhsa_user_sgpr_queue_ptr 0
		.amdhsa_user_sgpr_kernarg_segment_ptr 1
		.amdhsa_user_sgpr_dispatch_id 0
		.amdhsa_user_sgpr_private_segment_size 0
		.amdhsa_wavefront_size32 1
		.amdhsa_uses_dynamic_stack 0
		.amdhsa_enable_private_segment 0
		.amdhsa_system_sgpr_workgroup_id_x 1
		.amdhsa_system_sgpr_workgroup_id_y 0
		.amdhsa_system_sgpr_workgroup_id_z 0
		.amdhsa_system_sgpr_workgroup_info 0
		.amdhsa_system_vgpr_workitem_id 0
		.amdhsa_next_free_vgpr 1
		.amdhsa_next_free_sgpr 1
		.amdhsa_reserve_vcc 0
		.amdhsa_float_round_mode_32 0
		.amdhsa_float_round_mode_16_64 0
		.amdhsa_float_denorm_mode_32 3
		.amdhsa_float_denorm_mode_16_64 3
		.amdhsa_dx10_clamp 1
		.amdhsa_ieee_mode 1
		.amdhsa_fp16_overflow 0
		.amdhsa_workgroup_processor_mode 1
		.amdhsa_memory_ordered 1
		.amdhsa_forward_progress 0
		.amdhsa_shared_vgpr_count 0
		.amdhsa_exception_fp_ieee_invalid_op 0
		.amdhsa_exception_fp_denorm_src 0
		.amdhsa_exception_fp_ieee_div_zero 0
		.amdhsa_exception_fp_ieee_overflow 0
		.amdhsa_exception_fp_ieee_underflow 0
		.amdhsa_exception_fp_ieee_inexact 0
		.amdhsa_exception_int_div_zero 0
	.end_amdhsa_kernel
	.section	.text._ZN7rocprim17ROCPRIM_400000_NS6detail17trampoline_kernelINS0_14default_configENS1_29reduce_by_key_config_selectorIjtN6thrust23THRUST_200600_302600_NS4plusItEEEEZZNS1_33reduce_by_key_impl_wrapped_configILNS1_25lookback_scan_determinismE0ES3_S9_NS6_6detail15normal_iteratorINS6_10device_ptrIjEEEENSD_INSE_ItEEEENS6_16discard_iteratorINS6_11use_defaultEEESI_PmS8_NS6_8equal_toIjEEEE10hipError_tPvRmT2_T3_mT4_T5_T6_T7_T8_P12ihipStream_tbENKUlT_T0_E_clISt17integral_constantIbLb0EES16_EEDaS11_S12_EUlS11_E_NS1_11comp_targetILNS1_3genE5ELNS1_11target_archE942ELNS1_3gpuE9ELNS1_3repE0EEENS1_30default_config_static_selectorELNS0_4arch9wavefront6targetE0EEEvT1_,"axG",@progbits,_ZN7rocprim17ROCPRIM_400000_NS6detail17trampoline_kernelINS0_14default_configENS1_29reduce_by_key_config_selectorIjtN6thrust23THRUST_200600_302600_NS4plusItEEEEZZNS1_33reduce_by_key_impl_wrapped_configILNS1_25lookback_scan_determinismE0ES3_S9_NS6_6detail15normal_iteratorINS6_10device_ptrIjEEEENSD_INSE_ItEEEENS6_16discard_iteratorINS6_11use_defaultEEESI_PmS8_NS6_8equal_toIjEEEE10hipError_tPvRmT2_T3_mT4_T5_T6_T7_T8_P12ihipStream_tbENKUlT_T0_E_clISt17integral_constantIbLb0EES16_EEDaS11_S12_EUlS11_E_NS1_11comp_targetILNS1_3genE5ELNS1_11target_archE942ELNS1_3gpuE9ELNS1_3repE0EEENS1_30default_config_static_selectorELNS0_4arch9wavefront6targetE0EEEvT1_,comdat
.Lfunc_end950:
	.size	_ZN7rocprim17ROCPRIM_400000_NS6detail17trampoline_kernelINS0_14default_configENS1_29reduce_by_key_config_selectorIjtN6thrust23THRUST_200600_302600_NS4plusItEEEEZZNS1_33reduce_by_key_impl_wrapped_configILNS1_25lookback_scan_determinismE0ES3_S9_NS6_6detail15normal_iteratorINS6_10device_ptrIjEEEENSD_INSE_ItEEEENS6_16discard_iteratorINS6_11use_defaultEEESI_PmS8_NS6_8equal_toIjEEEE10hipError_tPvRmT2_T3_mT4_T5_T6_T7_T8_P12ihipStream_tbENKUlT_T0_E_clISt17integral_constantIbLb0EES16_EEDaS11_S12_EUlS11_E_NS1_11comp_targetILNS1_3genE5ELNS1_11target_archE942ELNS1_3gpuE9ELNS1_3repE0EEENS1_30default_config_static_selectorELNS0_4arch9wavefront6targetE0EEEvT1_, .Lfunc_end950-_ZN7rocprim17ROCPRIM_400000_NS6detail17trampoline_kernelINS0_14default_configENS1_29reduce_by_key_config_selectorIjtN6thrust23THRUST_200600_302600_NS4plusItEEEEZZNS1_33reduce_by_key_impl_wrapped_configILNS1_25lookback_scan_determinismE0ES3_S9_NS6_6detail15normal_iteratorINS6_10device_ptrIjEEEENSD_INSE_ItEEEENS6_16discard_iteratorINS6_11use_defaultEEESI_PmS8_NS6_8equal_toIjEEEE10hipError_tPvRmT2_T3_mT4_T5_T6_T7_T8_P12ihipStream_tbENKUlT_T0_E_clISt17integral_constantIbLb0EES16_EEDaS11_S12_EUlS11_E_NS1_11comp_targetILNS1_3genE5ELNS1_11target_archE942ELNS1_3gpuE9ELNS1_3repE0EEENS1_30default_config_static_selectorELNS0_4arch9wavefront6targetE0EEEvT1_
                                        ; -- End function
	.section	.AMDGPU.csdata,"",@progbits
; Kernel info:
; codeLenInByte = 0
; NumSgprs: 0
; NumVgprs: 0
; ScratchSize: 0
; MemoryBound: 0
; FloatMode: 240
; IeeeMode: 1
; LDSByteSize: 0 bytes/workgroup (compile time only)
; SGPRBlocks: 0
; VGPRBlocks: 0
; NumSGPRsForWavesPerEU: 1
; NumVGPRsForWavesPerEU: 1
; Occupancy: 16
; WaveLimiterHint : 0
; COMPUTE_PGM_RSRC2:SCRATCH_EN: 0
; COMPUTE_PGM_RSRC2:USER_SGPR: 15
; COMPUTE_PGM_RSRC2:TRAP_HANDLER: 0
; COMPUTE_PGM_RSRC2:TGID_X_EN: 1
; COMPUTE_PGM_RSRC2:TGID_Y_EN: 0
; COMPUTE_PGM_RSRC2:TGID_Z_EN: 0
; COMPUTE_PGM_RSRC2:TIDIG_COMP_CNT: 0
	.section	.text._ZN7rocprim17ROCPRIM_400000_NS6detail17trampoline_kernelINS0_14default_configENS1_29reduce_by_key_config_selectorIjtN6thrust23THRUST_200600_302600_NS4plusItEEEEZZNS1_33reduce_by_key_impl_wrapped_configILNS1_25lookback_scan_determinismE0ES3_S9_NS6_6detail15normal_iteratorINS6_10device_ptrIjEEEENSD_INSE_ItEEEENS6_16discard_iteratorINS6_11use_defaultEEESI_PmS8_NS6_8equal_toIjEEEE10hipError_tPvRmT2_T3_mT4_T5_T6_T7_T8_P12ihipStream_tbENKUlT_T0_E_clISt17integral_constantIbLb0EES16_EEDaS11_S12_EUlS11_E_NS1_11comp_targetILNS1_3genE4ELNS1_11target_archE910ELNS1_3gpuE8ELNS1_3repE0EEENS1_30default_config_static_selectorELNS0_4arch9wavefront6targetE0EEEvT1_,"axG",@progbits,_ZN7rocprim17ROCPRIM_400000_NS6detail17trampoline_kernelINS0_14default_configENS1_29reduce_by_key_config_selectorIjtN6thrust23THRUST_200600_302600_NS4plusItEEEEZZNS1_33reduce_by_key_impl_wrapped_configILNS1_25lookback_scan_determinismE0ES3_S9_NS6_6detail15normal_iteratorINS6_10device_ptrIjEEEENSD_INSE_ItEEEENS6_16discard_iteratorINS6_11use_defaultEEESI_PmS8_NS6_8equal_toIjEEEE10hipError_tPvRmT2_T3_mT4_T5_T6_T7_T8_P12ihipStream_tbENKUlT_T0_E_clISt17integral_constantIbLb0EES16_EEDaS11_S12_EUlS11_E_NS1_11comp_targetILNS1_3genE4ELNS1_11target_archE910ELNS1_3gpuE8ELNS1_3repE0EEENS1_30default_config_static_selectorELNS0_4arch9wavefront6targetE0EEEvT1_,comdat
	.protected	_ZN7rocprim17ROCPRIM_400000_NS6detail17trampoline_kernelINS0_14default_configENS1_29reduce_by_key_config_selectorIjtN6thrust23THRUST_200600_302600_NS4plusItEEEEZZNS1_33reduce_by_key_impl_wrapped_configILNS1_25lookback_scan_determinismE0ES3_S9_NS6_6detail15normal_iteratorINS6_10device_ptrIjEEEENSD_INSE_ItEEEENS6_16discard_iteratorINS6_11use_defaultEEESI_PmS8_NS6_8equal_toIjEEEE10hipError_tPvRmT2_T3_mT4_T5_T6_T7_T8_P12ihipStream_tbENKUlT_T0_E_clISt17integral_constantIbLb0EES16_EEDaS11_S12_EUlS11_E_NS1_11comp_targetILNS1_3genE4ELNS1_11target_archE910ELNS1_3gpuE8ELNS1_3repE0EEENS1_30default_config_static_selectorELNS0_4arch9wavefront6targetE0EEEvT1_ ; -- Begin function _ZN7rocprim17ROCPRIM_400000_NS6detail17trampoline_kernelINS0_14default_configENS1_29reduce_by_key_config_selectorIjtN6thrust23THRUST_200600_302600_NS4plusItEEEEZZNS1_33reduce_by_key_impl_wrapped_configILNS1_25lookback_scan_determinismE0ES3_S9_NS6_6detail15normal_iteratorINS6_10device_ptrIjEEEENSD_INSE_ItEEEENS6_16discard_iteratorINS6_11use_defaultEEESI_PmS8_NS6_8equal_toIjEEEE10hipError_tPvRmT2_T3_mT4_T5_T6_T7_T8_P12ihipStream_tbENKUlT_T0_E_clISt17integral_constantIbLb0EES16_EEDaS11_S12_EUlS11_E_NS1_11comp_targetILNS1_3genE4ELNS1_11target_archE910ELNS1_3gpuE8ELNS1_3repE0EEENS1_30default_config_static_selectorELNS0_4arch9wavefront6targetE0EEEvT1_
	.globl	_ZN7rocprim17ROCPRIM_400000_NS6detail17trampoline_kernelINS0_14default_configENS1_29reduce_by_key_config_selectorIjtN6thrust23THRUST_200600_302600_NS4plusItEEEEZZNS1_33reduce_by_key_impl_wrapped_configILNS1_25lookback_scan_determinismE0ES3_S9_NS6_6detail15normal_iteratorINS6_10device_ptrIjEEEENSD_INSE_ItEEEENS6_16discard_iteratorINS6_11use_defaultEEESI_PmS8_NS6_8equal_toIjEEEE10hipError_tPvRmT2_T3_mT4_T5_T6_T7_T8_P12ihipStream_tbENKUlT_T0_E_clISt17integral_constantIbLb0EES16_EEDaS11_S12_EUlS11_E_NS1_11comp_targetILNS1_3genE4ELNS1_11target_archE910ELNS1_3gpuE8ELNS1_3repE0EEENS1_30default_config_static_selectorELNS0_4arch9wavefront6targetE0EEEvT1_
	.p2align	8
	.type	_ZN7rocprim17ROCPRIM_400000_NS6detail17trampoline_kernelINS0_14default_configENS1_29reduce_by_key_config_selectorIjtN6thrust23THRUST_200600_302600_NS4plusItEEEEZZNS1_33reduce_by_key_impl_wrapped_configILNS1_25lookback_scan_determinismE0ES3_S9_NS6_6detail15normal_iteratorINS6_10device_ptrIjEEEENSD_INSE_ItEEEENS6_16discard_iteratorINS6_11use_defaultEEESI_PmS8_NS6_8equal_toIjEEEE10hipError_tPvRmT2_T3_mT4_T5_T6_T7_T8_P12ihipStream_tbENKUlT_T0_E_clISt17integral_constantIbLb0EES16_EEDaS11_S12_EUlS11_E_NS1_11comp_targetILNS1_3genE4ELNS1_11target_archE910ELNS1_3gpuE8ELNS1_3repE0EEENS1_30default_config_static_selectorELNS0_4arch9wavefront6targetE0EEEvT1_,@function
_ZN7rocprim17ROCPRIM_400000_NS6detail17trampoline_kernelINS0_14default_configENS1_29reduce_by_key_config_selectorIjtN6thrust23THRUST_200600_302600_NS4plusItEEEEZZNS1_33reduce_by_key_impl_wrapped_configILNS1_25lookback_scan_determinismE0ES3_S9_NS6_6detail15normal_iteratorINS6_10device_ptrIjEEEENSD_INSE_ItEEEENS6_16discard_iteratorINS6_11use_defaultEEESI_PmS8_NS6_8equal_toIjEEEE10hipError_tPvRmT2_T3_mT4_T5_T6_T7_T8_P12ihipStream_tbENKUlT_T0_E_clISt17integral_constantIbLb0EES16_EEDaS11_S12_EUlS11_E_NS1_11comp_targetILNS1_3genE4ELNS1_11target_archE910ELNS1_3gpuE8ELNS1_3repE0EEENS1_30default_config_static_selectorELNS0_4arch9wavefront6targetE0EEEvT1_: ; @_ZN7rocprim17ROCPRIM_400000_NS6detail17trampoline_kernelINS0_14default_configENS1_29reduce_by_key_config_selectorIjtN6thrust23THRUST_200600_302600_NS4plusItEEEEZZNS1_33reduce_by_key_impl_wrapped_configILNS1_25lookback_scan_determinismE0ES3_S9_NS6_6detail15normal_iteratorINS6_10device_ptrIjEEEENSD_INSE_ItEEEENS6_16discard_iteratorINS6_11use_defaultEEESI_PmS8_NS6_8equal_toIjEEEE10hipError_tPvRmT2_T3_mT4_T5_T6_T7_T8_P12ihipStream_tbENKUlT_T0_E_clISt17integral_constantIbLb0EES16_EEDaS11_S12_EUlS11_E_NS1_11comp_targetILNS1_3genE4ELNS1_11target_archE910ELNS1_3gpuE8ELNS1_3repE0EEENS1_30default_config_static_selectorELNS0_4arch9wavefront6targetE0EEEvT1_
; %bb.0:
	.section	.rodata,"a",@progbits
	.p2align	6, 0x0
	.amdhsa_kernel _ZN7rocprim17ROCPRIM_400000_NS6detail17trampoline_kernelINS0_14default_configENS1_29reduce_by_key_config_selectorIjtN6thrust23THRUST_200600_302600_NS4plusItEEEEZZNS1_33reduce_by_key_impl_wrapped_configILNS1_25lookback_scan_determinismE0ES3_S9_NS6_6detail15normal_iteratorINS6_10device_ptrIjEEEENSD_INSE_ItEEEENS6_16discard_iteratorINS6_11use_defaultEEESI_PmS8_NS6_8equal_toIjEEEE10hipError_tPvRmT2_T3_mT4_T5_T6_T7_T8_P12ihipStream_tbENKUlT_T0_E_clISt17integral_constantIbLb0EES16_EEDaS11_S12_EUlS11_E_NS1_11comp_targetILNS1_3genE4ELNS1_11target_archE910ELNS1_3gpuE8ELNS1_3repE0EEENS1_30default_config_static_selectorELNS0_4arch9wavefront6targetE0EEEvT1_
		.amdhsa_group_segment_fixed_size 0
		.amdhsa_private_segment_fixed_size 0
		.amdhsa_kernarg_size 128
		.amdhsa_user_sgpr_count 15
		.amdhsa_user_sgpr_dispatch_ptr 0
		.amdhsa_user_sgpr_queue_ptr 0
		.amdhsa_user_sgpr_kernarg_segment_ptr 1
		.amdhsa_user_sgpr_dispatch_id 0
		.amdhsa_user_sgpr_private_segment_size 0
		.amdhsa_wavefront_size32 1
		.amdhsa_uses_dynamic_stack 0
		.amdhsa_enable_private_segment 0
		.amdhsa_system_sgpr_workgroup_id_x 1
		.amdhsa_system_sgpr_workgroup_id_y 0
		.amdhsa_system_sgpr_workgroup_id_z 0
		.amdhsa_system_sgpr_workgroup_info 0
		.amdhsa_system_vgpr_workitem_id 0
		.amdhsa_next_free_vgpr 1
		.amdhsa_next_free_sgpr 1
		.amdhsa_reserve_vcc 0
		.amdhsa_float_round_mode_32 0
		.amdhsa_float_round_mode_16_64 0
		.amdhsa_float_denorm_mode_32 3
		.amdhsa_float_denorm_mode_16_64 3
		.amdhsa_dx10_clamp 1
		.amdhsa_ieee_mode 1
		.amdhsa_fp16_overflow 0
		.amdhsa_workgroup_processor_mode 1
		.amdhsa_memory_ordered 1
		.amdhsa_forward_progress 0
		.amdhsa_shared_vgpr_count 0
		.amdhsa_exception_fp_ieee_invalid_op 0
		.amdhsa_exception_fp_denorm_src 0
		.amdhsa_exception_fp_ieee_div_zero 0
		.amdhsa_exception_fp_ieee_overflow 0
		.amdhsa_exception_fp_ieee_underflow 0
		.amdhsa_exception_fp_ieee_inexact 0
		.amdhsa_exception_int_div_zero 0
	.end_amdhsa_kernel
	.section	.text._ZN7rocprim17ROCPRIM_400000_NS6detail17trampoline_kernelINS0_14default_configENS1_29reduce_by_key_config_selectorIjtN6thrust23THRUST_200600_302600_NS4plusItEEEEZZNS1_33reduce_by_key_impl_wrapped_configILNS1_25lookback_scan_determinismE0ES3_S9_NS6_6detail15normal_iteratorINS6_10device_ptrIjEEEENSD_INSE_ItEEEENS6_16discard_iteratorINS6_11use_defaultEEESI_PmS8_NS6_8equal_toIjEEEE10hipError_tPvRmT2_T3_mT4_T5_T6_T7_T8_P12ihipStream_tbENKUlT_T0_E_clISt17integral_constantIbLb0EES16_EEDaS11_S12_EUlS11_E_NS1_11comp_targetILNS1_3genE4ELNS1_11target_archE910ELNS1_3gpuE8ELNS1_3repE0EEENS1_30default_config_static_selectorELNS0_4arch9wavefront6targetE0EEEvT1_,"axG",@progbits,_ZN7rocprim17ROCPRIM_400000_NS6detail17trampoline_kernelINS0_14default_configENS1_29reduce_by_key_config_selectorIjtN6thrust23THRUST_200600_302600_NS4plusItEEEEZZNS1_33reduce_by_key_impl_wrapped_configILNS1_25lookback_scan_determinismE0ES3_S9_NS6_6detail15normal_iteratorINS6_10device_ptrIjEEEENSD_INSE_ItEEEENS6_16discard_iteratorINS6_11use_defaultEEESI_PmS8_NS6_8equal_toIjEEEE10hipError_tPvRmT2_T3_mT4_T5_T6_T7_T8_P12ihipStream_tbENKUlT_T0_E_clISt17integral_constantIbLb0EES16_EEDaS11_S12_EUlS11_E_NS1_11comp_targetILNS1_3genE4ELNS1_11target_archE910ELNS1_3gpuE8ELNS1_3repE0EEENS1_30default_config_static_selectorELNS0_4arch9wavefront6targetE0EEEvT1_,comdat
.Lfunc_end951:
	.size	_ZN7rocprim17ROCPRIM_400000_NS6detail17trampoline_kernelINS0_14default_configENS1_29reduce_by_key_config_selectorIjtN6thrust23THRUST_200600_302600_NS4plusItEEEEZZNS1_33reduce_by_key_impl_wrapped_configILNS1_25lookback_scan_determinismE0ES3_S9_NS6_6detail15normal_iteratorINS6_10device_ptrIjEEEENSD_INSE_ItEEEENS6_16discard_iteratorINS6_11use_defaultEEESI_PmS8_NS6_8equal_toIjEEEE10hipError_tPvRmT2_T3_mT4_T5_T6_T7_T8_P12ihipStream_tbENKUlT_T0_E_clISt17integral_constantIbLb0EES16_EEDaS11_S12_EUlS11_E_NS1_11comp_targetILNS1_3genE4ELNS1_11target_archE910ELNS1_3gpuE8ELNS1_3repE0EEENS1_30default_config_static_selectorELNS0_4arch9wavefront6targetE0EEEvT1_, .Lfunc_end951-_ZN7rocprim17ROCPRIM_400000_NS6detail17trampoline_kernelINS0_14default_configENS1_29reduce_by_key_config_selectorIjtN6thrust23THRUST_200600_302600_NS4plusItEEEEZZNS1_33reduce_by_key_impl_wrapped_configILNS1_25lookback_scan_determinismE0ES3_S9_NS6_6detail15normal_iteratorINS6_10device_ptrIjEEEENSD_INSE_ItEEEENS6_16discard_iteratorINS6_11use_defaultEEESI_PmS8_NS6_8equal_toIjEEEE10hipError_tPvRmT2_T3_mT4_T5_T6_T7_T8_P12ihipStream_tbENKUlT_T0_E_clISt17integral_constantIbLb0EES16_EEDaS11_S12_EUlS11_E_NS1_11comp_targetILNS1_3genE4ELNS1_11target_archE910ELNS1_3gpuE8ELNS1_3repE0EEENS1_30default_config_static_selectorELNS0_4arch9wavefront6targetE0EEEvT1_
                                        ; -- End function
	.section	.AMDGPU.csdata,"",@progbits
; Kernel info:
; codeLenInByte = 0
; NumSgprs: 0
; NumVgprs: 0
; ScratchSize: 0
; MemoryBound: 0
; FloatMode: 240
; IeeeMode: 1
; LDSByteSize: 0 bytes/workgroup (compile time only)
; SGPRBlocks: 0
; VGPRBlocks: 0
; NumSGPRsForWavesPerEU: 1
; NumVGPRsForWavesPerEU: 1
; Occupancy: 16
; WaveLimiterHint : 0
; COMPUTE_PGM_RSRC2:SCRATCH_EN: 0
; COMPUTE_PGM_RSRC2:USER_SGPR: 15
; COMPUTE_PGM_RSRC2:TRAP_HANDLER: 0
; COMPUTE_PGM_RSRC2:TGID_X_EN: 1
; COMPUTE_PGM_RSRC2:TGID_Y_EN: 0
; COMPUTE_PGM_RSRC2:TGID_Z_EN: 0
; COMPUTE_PGM_RSRC2:TIDIG_COMP_CNT: 0
	.section	.text._ZN7rocprim17ROCPRIM_400000_NS6detail17trampoline_kernelINS0_14default_configENS1_29reduce_by_key_config_selectorIjtN6thrust23THRUST_200600_302600_NS4plusItEEEEZZNS1_33reduce_by_key_impl_wrapped_configILNS1_25lookback_scan_determinismE0ES3_S9_NS6_6detail15normal_iteratorINS6_10device_ptrIjEEEENSD_INSE_ItEEEENS6_16discard_iteratorINS6_11use_defaultEEESI_PmS8_NS6_8equal_toIjEEEE10hipError_tPvRmT2_T3_mT4_T5_T6_T7_T8_P12ihipStream_tbENKUlT_T0_E_clISt17integral_constantIbLb0EES16_EEDaS11_S12_EUlS11_E_NS1_11comp_targetILNS1_3genE3ELNS1_11target_archE908ELNS1_3gpuE7ELNS1_3repE0EEENS1_30default_config_static_selectorELNS0_4arch9wavefront6targetE0EEEvT1_,"axG",@progbits,_ZN7rocprim17ROCPRIM_400000_NS6detail17trampoline_kernelINS0_14default_configENS1_29reduce_by_key_config_selectorIjtN6thrust23THRUST_200600_302600_NS4plusItEEEEZZNS1_33reduce_by_key_impl_wrapped_configILNS1_25lookback_scan_determinismE0ES3_S9_NS6_6detail15normal_iteratorINS6_10device_ptrIjEEEENSD_INSE_ItEEEENS6_16discard_iteratorINS6_11use_defaultEEESI_PmS8_NS6_8equal_toIjEEEE10hipError_tPvRmT2_T3_mT4_T5_T6_T7_T8_P12ihipStream_tbENKUlT_T0_E_clISt17integral_constantIbLb0EES16_EEDaS11_S12_EUlS11_E_NS1_11comp_targetILNS1_3genE3ELNS1_11target_archE908ELNS1_3gpuE7ELNS1_3repE0EEENS1_30default_config_static_selectorELNS0_4arch9wavefront6targetE0EEEvT1_,comdat
	.protected	_ZN7rocprim17ROCPRIM_400000_NS6detail17trampoline_kernelINS0_14default_configENS1_29reduce_by_key_config_selectorIjtN6thrust23THRUST_200600_302600_NS4plusItEEEEZZNS1_33reduce_by_key_impl_wrapped_configILNS1_25lookback_scan_determinismE0ES3_S9_NS6_6detail15normal_iteratorINS6_10device_ptrIjEEEENSD_INSE_ItEEEENS6_16discard_iteratorINS6_11use_defaultEEESI_PmS8_NS6_8equal_toIjEEEE10hipError_tPvRmT2_T3_mT4_T5_T6_T7_T8_P12ihipStream_tbENKUlT_T0_E_clISt17integral_constantIbLb0EES16_EEDaS11_S12_EUlS11_E_NS1_11comp_targetILNS1_3genE3ELNS1_11target_archE908ELNS1_3gpuE7ELNS1_3repE0EEENS1_30default_config_static_selectorELNS0_4arch9wavefront6targetE0EEEvT1_ ; -- Begin function _ZN7rocprim17ROCPRIM_400000_NS6detail17trampoline_kernelINS0_14default_configENS1_29reduce_by_key_config_selectorIjtN6thrust23THRUST_200600_302600_NS4plusItEEEEZZNS1_33reduce_by_key_impl_wrapped_configILNS1_25lookback_scan_determinismE0ES3_S9_NS6_6detail15normal_iteratorINS6_10device_ptrIjEEEENSD_INSE_ItEEEENS6_16discard_iteratorINS6_11use_defaultEEESI_PmS8_NS6_8equal_toIjEEEE10hipError_tPvRmT2_T3_mT4_T5_T6_T7_T8_P12ihipStream_tbENKUlT_T0_E_clISt17integral_constantIbLb0EES16_EEDaS11_S12_EUlS11_E_NS1_11comp_targetILNS1_3genE3ELNS1_11target_archE908ELNS1_3gpuE7ELNS1_3repE0EEENS1_30default_config_static_selectorELNS0_4arch9wavefront6targetE0EEEvT1_
	.globl	_ZN7rocprim17ROCPRIM_400000_NS6detail17trampoline_kernelINS0_14default_configENS1_29reduce_by_key_config_selectorIjtN6thrust23THRUST_200600_302600_NS4plusItEEEEZZNS1_33reduce_by_key_impl_wrapped_configILNS1_25lookback_scan_determinismE0ES3_S9_NS6_6detail15normal_iteratorINS6_10device_ptrIjEEEENSD_INSE_ItEEEENS6_16discard_iteratorINS6_11use_defaultEEESI_PmS8_NS6_8equal_toIjEEEE10hipError_tPvRmT2_T3_mT4_T5_T6_T7_T8_P12ihipStream_tbENKUlT_T0_E_clISt17integral_constantIbLb0EES16_EEDaS11_S12_EUlS11_E_NS1_11comp_targetILNS1_3genE3ELNS1_11target_archE908ELNS1_3gpuE7ELNS1_3repE0EEENS1_30default_config_static_selectorELNS0_4arch9wavefront6targetE0EEEvT1_
	.p2align	8
	.type	_ZN7rocprim17ROCPRIM_400000_NS6detail17trampoline_kernelINS0_14default_configENS1_29reduce_by_key_config_selectorIjtN6thrust23THRUST_200600_302600_NS4plusItEEEEZZNS1_33reduce_by_key_impl_wrapped_configILNS1_25lookback_scan_determinismE0ES3_S9_NS6_6detail15normal_iteratorINS6_10device_ptrIjEEEENSD_INSE_ItEEEENS6_16discard_iteratorINS6_11use_defaultEEESI_PmS8_NS6_8equal_toIjEEEE10hipError_tPvRmT2_T3_mT4_T5_T6_T7_T8_P12ihipStream_tbENKUlT_T0_E_clISt17integral_constantIbLb0EES16_EEDaS11_S12_EUlS11_E_NS1_11comp_targetILNS1_3genE3ELNS1_11target_archE908ELNS1_3gpuE7ELNS1_3repE0EEENS1_30default_config_static_selectorELNS0_4arch9wavefront6targetE0EEEvT1_,@function
_ZN7rocprim17ROCPRIM_400000_NS6detail17trampoline_kernelINS0_14default_configENS1_29reduce_by_key_config_selectorIjtN6thrust23THRUST_200600_302600_NS4plusItEEEEZZNS1_33reduce_by_key_impl_wrapped_configILNS1_25lookback_scan_determinismE0ES3_S9_NS6_6detail15normal_iteratorINS6_10device_ptrIjEEEENSD_INSE_ItEEEENS6_16discard_iteratorINS6_11use_defaultEEESI_PmS8_NS6_8equal_toIjEEEE10hipError_tPvRmT2_T3_mT4_T5_T6_T7_T8_P12ihipStream_tbENKUlT_T0_E_clISt17integral_constantIbLb0EES16_EEDaS11_S12_EUlS11_E_NS1_11comp_targetILNS1_3genE3ELNS1_11target_archE908ELNS1_3gpuE7ELNS1_3repE0EEENS1_30default_config_static_selectorELNS0_4arch9wavefront6targetE0EEEvT1_: ; @_ZN7rocprim17ROCPRIM_400000_NS6detail17trampoline_kernelINS0_14default_configENS1_29reduce_by_key_config_selectorIjtN6thrust23THRUST_200600_302600_NS4plusItEEEEZZNS1_33reduce_by_key_impl_wrapped_configILNS1_25lookback_scan_determinismE0ES3_S9_NS6_6detail15normal_iteratorINS6_10device_ptrIjEEEENSD_INSE_ItEEEENS6_16discard_iteratorINS6_11use_defaultEEESI_PmS8_NS6_8equal_toIjEEEE10hipError_tPvRmT2_T3_mT4_T5_T6_T7_T8_P12ihipStream_tbENKUlT_T0_E_clISt17integral_constantIbLb0EES16_EEDaS11_S12_EUlS11_E_NS1_11comp_targetILNS1_3genE3ELNS1_11target_archE908ELNS1_3gpuE7ELNS1_3repE0EEENS1_30default_config_static_selectorELNS0_4arch9wavefront6targetE0EEEvT1_
; %bb.0:
	.section	.rodata,"a",@progbits
	.p2align	6, 0x0
	.amdhsa_kernel _ZN7rocprim17ROCPRIM_400000_NS6detail17trampoline_kernelINS0_14default_configENS1_29reduce_by_key_config_selectorIjtN6thrust23THRUST_200600_302600_NS4plusItEEEEZZNS1_33reduce_by_key_impl_wrapped_configILNS1_25lookback_scan_determinismE0ES3_S9_NS6_6detail15normal_iteratorINS6_10device_ptrIjEEEENSD_INSE_ItEEEENS6_16discard_iteratorINS6_11use_defaultEEESI_PmS8_NS6_8equal_toIjEEEE10hipError_tPvRmT2_T3_mT4_T5_T6_T7_T8_P12ihipStream_tbENKUlT_T0_E_clISt17integral_constantIbLb0EES16_EEDaS11_S12_EUlS11_E_NS1_11comp_targetILNS1_3genE3ELNS1_11target_archE908ELNS1_3gpuE7ELNS1_3repE0EEENS1_30default_config_static_selectorELNS0_4arch9wavefront6targetE0EEEvT1_
		.amdhsa_group_segment_fixed_size 0
		.amdhsa_private_segment_fixed_size 0
		.amdhsa_kernarg_size 128
		.amdhsa_user_sgpr_count 15
		.amdhsa_user_sgpr_dispatch_ptr 0
		.amdhsa_user_sgpr_queue_ptr 0
		.amdhsa_user_sgpr_kernarg_segment_ptr 1
		.amdhsa_user_sgpr_dispatch_id 0
		.amdhsa_user_sgpr_private_segment_size 0
		.amdhsa_wavefront_size32 1
		.amdhsa_uses_dynamic_stack 0
		.amdhsa_enable_private_segment 0
		.amdhsa_system_sgpr_workgroup_id_x 1
		.amdhsa_system_sgpr_workgroup_id_y 0
		.amdhsa_system_sgpr_workgroup_id_z 0
		.amdhsa_system_sgpr_workgroup_info 0
		.amdhsa_system_vgpr_workitem_id 0
		.amdhsa_next_free_vgpr 1
		.amdhsa_next_free_sgpr 1
		.amdhsa_reserve_vcc 0
		.amdhsa_float_round_mode_32 0
		.amdhsa_float_round_mode_16_64 0
		.amdhsa_float_denorm_mode_32 3
		.amdhsa_float_denorm_mode_16_64 3
		.amdhsa_dx10_clamp 1
		.amdhsa_ieee_mode 1
		.amdhsa_fp16_overflow 0
		.amdhsa_workgroup_processor_mode 1
		.amdhsa_memory_ordered 1
		.amdhsa_forward_progress 0
		.amdhsa_shared_vgpr_count 0
		.amdhsa_exception_fp_ieee_invalid_op 0
		.amdhsa_exception_fp_denorm_src 0
		.amdhsa_exception_fp_ieee_div_zero 0
		.amdhsa_exception_fp_ieee_overflow 0
		.amdhsa_exception_fp_ieee_underflow 0
		.amdhsa_exception_fp_ieee_inexact 0
		.amdhsa_exception_int_div_zero 0
	.end_amdhsa_kernel
	.section	.text._ZN7rocprim17ROCPRIM_400000_NS6detail17trampoline_kernelINS0_14default_configENS1_29reduce_by_key_config_selectorIjtN6thrust23THRUST_200600_302600_NS4plusItEEEEZZNS1_33reduce_by_key_impl_wrapped_configILNS1_25lookback_scan_determinismE0ES3_S9_NS6_6detail15normal_iteratorINS6_10device_ptrIjEEEENSD_INSE_ItEEEENS6_16discard_iteratorINS6_11use_defaultEEESI_PmS8_NS6_8equal_toIjEEEE10hipError_tPvRmT2_T3_mT4_T5_T6_T7_T8_P12ihipStream_tbENKUlT_T0_E_clISt17integral_constantIbLb0EES16_EEDaS11_S12_EUlS11_E_NS1_11comp_targetILNS1_3genE3ELNS1_11target_archE908ELNS1_3gpuE7ELNS1_3repE0EEENS1_30default_config_static_selectorELNS0_4arch9wavefront6targetE0EEEvT1_,"axG",@progbits,_ZN7rocprim17ROCPRIM_400000_NS6detail17trampoline_kernelINS0_14default_configENS1_29reduce_by_key_config_selectorIjtN6thrust23THRUST_200600_302600_NS4plusItEEEEZZNS1_33reduce_by_key_impl_wrapped_configILNS1_25lookback_scan_determinismE0ES3_S9_NS6_6detail15normal_iteratorINS6_10device_ptrIjEEEENSD_INSE_ItEEEENS6_16discard_iteratorINS6_11use_defaultEEESI_PmS8_NS6_8equal_toIjEEEE10hipError_tPvRmT2_T3_mT4_T5_T6_T7_T8_P12ihipStream_tbENKUlT_T0_E_clISt17integral_constantIbLb0EES16_EEDaS11_S12_EUlS11_E_NS1_11comp_targetILNS1_3genE3ELNS1_11target_archE908ELNS1_3gpuE7ELNS1_3repE0EEENS1_30default_config_static_selectorELNS0_4arch9wavefront6targetE0EEEvT1_,comdat
.Lfunc_end952:
	.size	_ZN7rocprim17ROCPRIM_400000_NS6detail17trampoline_kernelINS0_14default_configENS1_29reduce_by_key_config_selectorIjtN6thrust23THRUST_200600_302600_NS4plusItEEEEZZNS1_33reduce_by_key_impl_wrapped_configILNS1_25lookback_scan_determinismE0ES3_S9_NS6_6detail15normal_iteratorINS6_10device_ptrIjEEEENSD_INSE_ItEEEENS6_16discard_iteratorINS6_11use_defaultEEESI_PmS8_NS6_8equal_toIjEEEE10hipError_tPvRmT2_T3_mT4_T5_T6_T7_T8_P12ihipStream_tbENKUlT_T0_E_clISt17integral_constantIbLb0EES16_EEDaS11_S12_EUlS11_E_NS1_11comp_targetILNS1_3genE3ELNS1_11target_archE908ELNS1_3gpuE7ELNS1_3repE0EEENS1_30default_config_static_selectorELNS0_4arch9wavefront6targetE0EEEvT1_, .Lfunc_end952-_ZN7rocprim17ROCPRIM_400000_NS6detail17trampoline_kernelINS0_14default_configENS1_29reduce_by_key_config_selectorIjtN6thrust23THRUST_200600_302600_NS4plusItEEEEZZNS1_33reduce_by_key_impl_wrapped_configILNS1_25lookback_scan_determinismE0ES3_S9_NS6_6detail15normal_iteratorINS6_10device_ptrIjEEEENSD_INSE_ItEEEENS6_16discard_iteratorINS6_11use_defaultEEESI_PmS8_NS6_8equal_toIjEEEE10hipError_tPvRmT2_T3_mT4_T5_T6_T7_T8_P12ihipStream_tbENKUlT_T0_E_clISt17integral_constantIbLb0EES16_EEDaS11_S12_EUlS11_E_NS1_11comp_targetILNS1_3genE3ELNS1_11target_archE908ELNS1_3gpuE7ELNS1_3repE0EEENS1_30default_config_static_selectorELNS0_4arch9wavefront6targetE0EEEvT1_
                                        ; -- End function
	.section	.AMDGPU.csdata,"",@progbits
; Kernel info:
; codeLenInByte = 0
; NumSgprs: 0
; NumVgprs: 0
; ScratchSize: 0
; MemoryBound: 0
; FloatMode: 240
; IeeeMode: 1
; LDSByteSize: 0 bytes/workgroup (compile time only)
; SGPRBlocks: 0
; VGPRBlocks: 0
; NumSGPRsForWavesPerEU: 1
; NumVGPRsForWavesPerEU: 1
; Occupancy: 16
; WaveLimiterHint : 0
; COMPUTE_PGM_RSRC2:SCRATCH_EN: 0
; COMPUTE_PGM_RSRC2:USER_SGPR: 15
; COMPUTE_PGM_RSRC2:TRAP_HANDLER: 0
; COMPUTE_PGM_RSRC2:TGID_X_EN: 1
; COMPUTE_PGM_RSRC2:TGID_Y_EN: 0
; COMPUTE_PGM_RSRC2:TGID_Z_EN: 0
; COMPUTE_PGM_RSRC2:TIDIG_COMP_CNT: 0
	.section	.text._ZN7rocprim17ROCPRIM_400000_NS6detail17trampoline_kernelINS0_14default_configENS1_29reduce_by_key_config_selectorIjtN6thrust23THRUST_200600_302600_NS4plusItEEEEZZNS1_33reduce_by_key_impl_wrapped_configILNS1_25lookback_scan_determinismE0ES3_S9_NS6_6detail15normal_iteratorINS6_10device_ptrIjEEEENSD_INSE_ItEEEENS6_16discard_iteratorINS6_11use_defaultEEESI_PmS8_NS6_8equal_toIjEEEE10hipError_tPvRmT2_T3_mT4_T5_T6_T7_T8_P12ihipStream_tbENKUlT_T0_E_clISt17integral_constantIbLb0EES16_EEDaS11_S12_EUlS11_E_NS1_11comp_targetILNS1_3genE2ELNS1_11target_archE906ELNS1_3gpuE6ELNS1_3repE0EEENS1_30default_config_static_selectorELNS0_4arch9wavefront6targetE0EEEvT1_,"axG",@progbits,_ZN7rocprim17ROCPRIM_400000_NS6detail17trampoline_kernelINS0_14default_configENS1_29reduce_by_key_config_selectorIjtN6thrust23THRUST_200600_302600_NS4plusItEEEEZZNS1_33reduce_by_key_impl_wrapped_configILNS1_25lookback_scan_determinismE0ES3_S9_NS6_6detail15normal_iteratorINS6_10device_ptrIjEEEENSD_INSE_ItEEEENS6_16discard_iteratorINS6_11use_defaultEEESI_PmS8_NS6_8equal_toIjEEEE10hipError_tPvRmT2_T3_mT4_T5_T6_T7_T8_P12ihipStream_tbENKUlT_T0_E_clISt17integral_constantIbLb0EES16_EEDaS11_S12_EUlS11_E_NS1_11comp_targetILNS1_3genE2ELNS1_11target_archE906ELNS1_3gpuE6ELNS1_3repE0EEENS1_30default_config_static_selectorELNS0_4arch9wavefront6targetE0EEEvT1_,comdat
	.protected	_ZN7rocprim17ROCPRIM_400000_NS6detail17trampoline_kernelINS0_14default_configENS1_29reduce_by_key_config_selectorIjtN6thrust23THRUST_200600_302600_NS4plusItEEEEZZNS1_33reduce_by_key_impl_wrapped_configILNS1_25lookback_scan_determinismE0ES3_S9_NS6_6detail15normal_iteratorINS6_10device_ptrIjEEEENSD_INSE_ItEEEENS6_16discard_iteratorINS6_11use_defaultEEESI_PmS8_NS6_8equal_toIjEEEE10hipError_tPvRmT2_T3_mT4_T5_T6_T7_T8_P12ihipStream_tbENKUlT_T0_E_clISt17integral_constantIbLb0EES16_EEDaS11_S12_EUlS11_E_NS1_11comp_targetILNS1_3genE2ELNS1_11target_archE906ELNS1_3gpuE6ELNS1_3repE0EEENS1_30default_config_static_selectorELNS0_4arch9wavefront6targetE0EEEvT1_ ; -- Begin function _ZN7rocprim17ROCPRIM_400000_NS6detail17trampoline_kernelINS0_14default_configENS1_29reduce_by_key_config_selectorIjtN6thrust23THRUST_200600_302600_NS4plusItEEEEZZNS1_33reduce_by_key_impl_wrapped_configILNS1_25lookback_scan_determinismE0ES3_S9_NS6_6detail15normal_iteratorINS6_10device_ptrIjEEEENSD_INSE_ItEEEENS6_16discard_iteratorINS6_11use_defaultEEESI_PmS8_NS6_8equal_toIjEEEE10hipError_tPvRmT2_T3_mT4_T5_T6_T7_T8_P12ihipStream_tbENKUlT_T0_E_clISt17integral_constantIbLb0EES16_EEDaS11_S12_EUlS11_E_NS1_11comp_targetILNS1_3genE2ELNS1_11target_archE906ELNS1_3gpuE6ELNS1_3repE0EEENS1_30default_config_static_selectorELNS0_4arch9wavefront6targetE0EEEvT1_
	.globl	_ZN7rocprim17ROCPRIM_400000_NS6detail17trampoline_kernelINS0_14default_configENS1_29reduce_by_key_config_selectorIjtN6thrust23THRUST_200600_302600_NS4plusItEEEEZZNS1_33reduce_by_key_impl_wrapped_configILNS1_25lookback_scan_determinismE0ES3_S9_NS6_6detail15normal_iteratorINS6_10device_ptrIjEEEENSD_INSE_ItEEEENS6_16discard_iteratorINS6_11use_defaultEEESI_PmS8_NS6_8equal_toIjEEEE10hipError_tPvRmT2_T3_mT4_T5_T6_T7_T8_P12ihipStream_tbENKUlT_T0_E_clISt17integral_constantIbLb0EES16_EEDaS11_S12_EUlS11_E_NS1_11comp_targetILNS1_3genE2ELNS1_11target_archE906ELNS1_3gpuE6ELNS1_3repE0EEENS1_30default_config_static_selectorELNS0_4arch9wavefront6targetE0EEEvT1_
	.p2align	8
	.type	_ZN7rocprim17ROCPRIM_400000_NS6detail17trampoline_kernelINS0_14default_configENS1_29reduce_by_key_config_selectorIjtN6thrust23THRUST_200600_302600_NS4plusItEEEEZZNS1_33reduce_by_key_impl_wrapped_configILNS1_25lookback_scan_determinismE0ES3_S9_NS6_6detail15normal_iteratorINS6_10device_ptrIjEEEENSD_INSE_ItEEEENS6_16discard_iteratorINS6_11use_defaultEEESI_PmS8_NS6_8equal_toIjEEEE10hipError_tPvRmT2_T3_mT4_T5_T6_T7_T8_P12ihipStream_tbENKUlT_T0_E_clISt17integral_constantIbLb0EES16_EEDaS11_S12_EUlS11_E_NS1_11comp_targetILNS1_3genE2ELNS1_11target_archE906ELNS1_3gpuE6ELNS1_3repE0EEENS1_30default_config_static_selectorELNS0_4arch9wavefront6targetE0EEEvT1_,@function
_ZN7rocprim17ROCPRIM_400000_NS6detail17trampoline_kernelINS0_14default_configENS1_29reduce_by_key_config_selectorIjtN6thrust23THRUST_200600_302600_NS4plusItEEEEZZNS1_33reduce_by_key_impl_wrapped_configILNS1_25lookback_scan_determinismE0ES3_S9_NS6_6detail15normal_iteratorINS6_10device_ptrIjEEEENSD_INSE_ItEEEENS6_16discard_iteratorINS6_11use_defaultEEESI_PmS8_NS6_8equal_toIjEEEE10hipError_tPvRmT2_T3_mT4_T5_T6_T7_T8_P12ihipStream_tbENKUlT_T0_E_clISt17integral_constantIbLb0EES16_EEDaS11_S12_EUlS11_E_NS1_11comp_targetILNS1_3genE2ELNS1_11target_archE906ELNS1_3gpuE6ELNS1_3repE0EEENS1_30default_config_static_selectorELNS0_4arch9wavefront6targetE0EEEvT1_: ; @_ZN7rocprim17ROCPRIM_400000_NS6detail17trampoline_kernelINS0_14default_configENS1_29reduce_by_key_config_selectorIjtN6thrust23THRUST_200600_302600_NS4plusItEEEEZZNS1_33reduce_by_key_impl_wrapped_configILNS1_25lookback_scan_determinismE0ES3_S9_NS6_6detail15normal_iteratorINS6_10device_ptrIjEEEENSD_INSE_ItEEEENS6_16discard_iteratorINS6_11use_defaultEEESI_PmS8_NS6_8equal_toIjEEEE10hipError_tPvRmT2_T3_mT4_T5_T6_T7_T8_P12ihipStream_tbENKUlT_T0_E_clISt17integral_constantIbLb0EES16_EEDaS11_S12_EUlS11_E_NS1_11comp_targetILNS1_3genE2ELNS1_11target_archE906ELNS1_3gpuE6ELNS1_3repE0EEENS1_30default_config_static_selectorELNS0_4arch9wavefront6targetE0EEEvT1_
; %bb.0:
	.section	.rodata,"a",@progbits
	.p2align	6, 0x0
	.amdhsa_kernel _ZN7rocprim17ROCPRIM_400000_NS6detail17trampoline_kernelINS0_14default_configENS1_29reduce_by_key_config_selectorIjtN6thrust23THRUST_200600_302600_NS4plusItEEEEZZNS1_33reduce_by_key_impl_wrapped_configILNS1_25lookback_scan_determinismE0ES3_S9_NS6_6detail15normal_iteratorINS6_10device_ptrIjEEEENSD_INSE_ItEEEENS6_16discard_iteratorINS6_11use_defaultEEESI_PmS8_NS6_8equal_toIjEEEE10hipError_tPvRmT2_T3_mT4_T5_T6_T7_T8_P12ihipStream_tbENKUlT_T0_E_clISt17integral_constantIbLb0EES16_EEDaS11_S12_EUlS11_E_NS1_11comp_targetILNS1_3genE2ELNS1_11target_archE906ELNS1_3gpuE6ELNS1_3repE0EEENS1_30default_config_static_selectorELNS0_4arch9wavefront6targetE0EEEvT1_
		.amdhsa_group_segment_fixed_size 0
		.amdhsa_private_segment_fixed_size 0
		.amdhsa_kernarg_size 128
		.amdhsa_user_sgpr_count 15
		.amdhsa_user_sgpr_dispatch_ptr 0
		.amdhsa_user_sgpr_queue_ptr 0
		.amdhsa_user_sgpr_kernarg_segment_ptr 1
		.amdhsa_user_sgpr_dispatch_id 0
		.amdhsa_user_sgpr_private_segment_size 0
		.amdhsa_wavefront_size32 1
		.amdhsa_uses_dynamic_stack 0
		.amdhsa_enable_private_segment 0
		.amdhsa_system_sgpr_workgroup_id_x 1
		.amdhsa_system_sgpr_workgroup_id_y 0
		.amdhsa_system_sgpr_workgroup_id_z 0
		.amdhsa_system_sgpr_workgroup_info 0
		.amdhsa_system_vgpr_workitem_id 0
		.amdhsa_next_free_vgpr 1
		.amdhsa_next_free_sgpr 1
		.amdhsa_reserve_vcc 0
		.amdhsa_float_round_mode_32 0
		.amdhsa_float_round_mode_16_64 0
		.amdhsa_float_denorm_mode_32 3
		.amdhsa_float_denorm_mode_16_64 3
		.amdhsa_dx10_clamp 1
		.amdhsa_ieee_mode 1
		.amdhsa_fp16_overflow 0
		.amdhsa_workgroup_processor_mode 1
		.amdhsa_memory_ordered 1
		.amdhsa_forward_progress 0
		.amdhsa_shared_vgpr_count 0
		.amdhsa_exception_fp_ieee_invalid_op 0
		.amdhsa_exception_fp_denorm_src 0
		.amdhsa_exception_fp_ieee_div_zero 0
		.amdhsa_exception_fp_ieee_overflow 0
		.amdhsa_exception_fp_ieee_underflow 0
		.amdhsa_exception_fp_ieee_inexact 0
		.amdhsa_exception_int_div_zero 0
	.end_amdhsa_kernel
	.section	.text._ZN7rocprim17ROCPRIM_400000_NS6detail17trampoline_kernelINS0_14default_configENS1_29reduce_by_key_config_selectorIjtN6thrust23THRUST_200600_302600_NS4plusItEEEEZZNS1_33reduce_by_key_impl_wrapped_configILNS1_25lookback_scan_determinismE0ES3_S9_NS6_6detail15normal_iteratorINS6_10device_ptrIjEEEENSD_INSE_ItEEEENS6_16discard_iteratorINS6_11use_defaultEEESI_PmS8_NS6_8equal_toIjEEEE10hipError_tPvRmT2_T3_mT4_T5_T6_T7_T8_P12ihipStream_tbENKUlT_T0_E_clISt17integral_constantIbLb0EES16_EEDaS11_S12_EUlS11_E_NS1_11comp_targetILNS1_3genE2ELNS1_11target_archE906ELNS1_3gpuE6ELNS1_3repE0EEENS1_30default_config_static_selectorELNS0_4arch9wavefront6targetE0EEEvT1_,"axG",@progbits,_ZN7rocprim17ROCPRIM_400000_NS6detail17trampoline_kernelINS0_14default_configENS1_29reduce_by_key_config_selectorIjtN6thrust23THRUST_200600_302600_NS4plusItEEEEZZNS1_33reduce_by_key_impl_wrapped_configILNS1_25lookback_scan_determinismE0ES3_S9_NS6_6detail15normal_iteratorINS6_10device_ptrIjEEEENSD_INSE_ItEEEENS6_16discard_iteratorINS6_11use_defaultEEESI_PmS8_NS6_8equal_toIjEEEE10hipError_tPvRmT2_T3_mT4_T5_T6_T7_T8_P12ihipStream_tbENKUlT_T0_E_clISt17integral_constantIbLb0EES16_EEDaS11_S12_EUlS11_E_NS1_11comp_targetILNS1_3genE2ELNS1_11target_archE906ELNS1_3gpuE6ELNS1_3repE0EEENS1_30default_config_static_selectorELNS0_4arch9wavefront6targetE0EEEvT1_,comdat
.Lfunc_end953:
	.size	_ZN7rocprim17ROCPRIM_400000_NS6detail17trampoline_kernelINS0_14default_configENS1_29reduce_by_key_config_selectorIjtN6thrust23THRUST_200600_302600_NS4plusItEEEEZZNS1_33reduce_by_key_impl_wrapped_configILNS1_25lookback_scan_determinismE0ES3_S9_NS6_6detail15normal_iteratorINS6_10device_ptrIjEEEENSD_INSE_ItEEEENS6_16discard_iteratorINS6_11use_defaultEEESI_PmS8_NS6_8equal_toIjEEEE10hipError_tPvRmT2_T3_mT4_T5_T6_T7_T8_P12ihipStream_tbENKUlT_T0_E_clISt17integral_constantIbLb0EES16_EEDaS11_S12_EUlS11_E_NS1_11comp_targetILNS1_3genE2ELNS1_11target_archE906ELNS1_3gpuE6ELNS1_3repE0EEENS1_30default_config_static_selectorELNS0_4arch9wavefront6targetE0EEEvT1_, .Lfunc_end953-_ZN7rocprim17ROCPRIM_400000_NS6detail17trampoline_kernelINS0_14default_configENS1_29reduce_by_key_config_selectorIjtN6thrust23THRUST_200600_302600_NS4plusItEEEEZZNS1_33reduce_by_key_impl_wrapped_configILNS1_25lookback_scan_determinismE0ES3_S9_NS6_6detail15normal_iteratorINS6_10device_ptrIjEEEENSD_INSE_ItEEEENS6_16discard_iteratorINS6_11use_defaultEEESI_PmS8_NS6_8equal_toIjEEEE10hipError_tPvRmT2_T3_mT4_T5_T6_T7_T8_P12ihipStream_tbENKUlT_T0_E_clISt17integral_constantIbLb0EES16_EEDaS11_S12_EUlS11_E_NS1_11comp_targetILNS1_3genE2ELNS1_11target_archE906ELNS1_3gpuE6ELNS1_3repE0EEENS1_30default_config_static_selectorELNS0_4arch9wavefront6targetE0EEEvT1_
                                        ; -- End function
	.section	.AMDGPU.csdata,"",@progbits
; Kernel info:
; codeLenInByte = 0
; NumSgprs: 0
; NumVgprs: 0
; ScratchSize: 0
; MemoryBound: 0
; FloatMode: 240
; IeeeMode: 1
; LDSByteSize: 0 bytes/workgroup (compile time only)
; SGPRBlocks: 0
; VGPRBlocks: 0
; NumSGPRsForWavesPerEU: 1
; NumVGPRsForWavesPerEU: 1
; Occupancy: 16
; WaveLimiterHint : 0
; COMPUTE_PGM_RSRC2:SCRATCH_EN: 0
; COMPUTE_PGM_RSRC2:USER_SGPR: 15
; COMPUTE_PGM_RSRC2:TRAP_HANDLER: 0
; COMPUTE_PGM_RSRC2:TGID_X_EN: 1
; COMPUTE_PGM_RSRC2:TGID_Y_EN: 0
; COMPUTE_PGM_RSRC2:TGID_Z_EN: 0
; COMPUTE_PGM_RSRC2:TIDIG_COMP_CNT: 0
	.section	.text._ZN7rocprim17ROCPRIM_400000_NS6detail17trampoline_kernelINS0_14default_configENS1_29reduce_by_key_config_selectorIjtN6thrust23THRUST_200600_302600_NS4plusItEEEEZZNS1_33reduce_by_key_impl_wrapped_configILNS1_25lookback_scan_determinismE0ES3_S9_NS6_6detail15normal_iteratorINS6_10device_ptrIjEEEENSD_INSE_ItEEEENS6_16discard_iteratorINS6_11use_defaultEEESI_PmS8_NS6_8equal_toIjEEEE10hipError_tPvRmT2_T3_mT4_T5_T6_T7_T8_P12ihipStream_tbENKUlT_T0_E_clISt17integral_constantIbLb0EES16_EEDaS11_S12_EUlS11_E_NS1_11comp_targetILNS1_3genE10ELNS1_11target_archE1201ELNS1_3gpuE5ELNS1_3repE0EEENS1_30default_config_static_selectorELNS0_4arch9wavefront6targetE0EEEvT1_,"axG",@progbits,_ZN7rocprim17ROCPRIM_400000_NS6detail17trampoline_kernelINS0_14default_configENS1_29reduce_by_key_config_selectorIjtN6thrust23THRUST_200600_302600_NS4plusItEEEEZZNS1_33reduce_by_key_impl_wrapped_configILNS1_25lookback_scan_determinismE0ES3_S9_NS6_6detail15normal_iteratorINS6_10device_ptrIjEEEENSD_INSE_ItEEEENS6_16discard_iteratorINS6_11use_defaultEEESI_PmS8_NS6_8equal_toIjEEEE10hipError_tPvRmT2_T3_mT4_T5_T6_T7_T8_P12ihipStream_tbENKUlT_T0_E_clISt17integral_constantIbLb0EES16_EEDaS11_S12_EUlS11_E_NS1_11comp_targetILNS1_3genE10ELNS1_11target_archE1201ELNS1_3gpuE5ELNS1_3repE0EEENS1_30default_config_static_selectorELNS0_4arch9wavefront6targetE0EEEvT1_,comdat
	.protected	_ZN7rocprim17ROCPRIM_400000_NS6detail17trampoline_kernelINS0_14default_configENS1_29reduce_by_key_config_selectorIjtN6thrust23THRUST_200600_302600_NS4plusItEEEEZZNS1_33reduce_by_key_impl_wrapped_configILNS1_25lookback_scan_determinismE0ES3_S9_NS6_6detail15normal_iteratorINS6_10device_ptrIjEEEENSD_INSE_ItEEEENS6_16discard_iteratorINS6_11use_defaultEEESI_PmS8_NS6_8equal_toIjEEEE10hipError_tPvRmT2_T3_mT4_T5_T6_T7_T8_P12ihipStream_tbENKUlT_T0_E_clISt17integral_constantIbLb0EES16_EEDaS11_S12_EUlS11_E_NS1_11comp_targetILNS1_3genE10ELNS1_11target_archE1201ELNS1_3gpuE5ELNS1_3repE0EEENS1_30default_config_static_selectorELNS0_4arch9wavefront6targetE0EEEvT1_ ; -- Begin function _ZN7rocprim17ROCPRIM_400000_NS6detail17trampoline_kernelINS0_14default_configENS1_29reduce_by_key_config_selectorIjtN6thrust23THRUST_200600_302600_NS4plusItEEEEZZNS1_33reduce_by_key_impl_wrapped_configILNS1_25lookback_scan_determinismE0ES3_S9_NS6_6detail15normal_iteratorINS6_10device_ptrIjEEEENSD_INSE_ItEEEENS6_16discard_iteratorINS6_11use_defaultEEESI_PmS8_NS6_8equal_toIjEEEE10hipError_tPvRmT2_T3_mT4_T5_T6_T7_T8_P12ihipStream_tbENKUlT_T0_E_clISt17integral_constantIbLb0EES16_EEDaS11_S12_EUlS11_E_NS1_11comp_targetILNS1_3genE10ELNS1_11target_archE1201ELNS1_3gpuE5ELNS1_3repE0EEENS1_30default_config_static_selectorELNS0_4arch9wavefront6targetE0EEEvT1_
	.globl	_ZN7rocprim17ROCPRIM_400000_NS6detail17trampoline_kernelINS0_14default_configENS1_29reduce_by_key_config_selectorIjtN6thrust23THRUST_200600_302600_NS4plusItEEEEZZNS1_33reduce_by_key_impl_wrapped_configILNS1_25lookback_scan_determinismE0ES3_S9_NS6_6detail15normal_iteratorINS6_10device_ptrIjEEEENSD_INSE_ItEEEENS6_16discard_iteratorINS6_11use_defaultEEESI_PmS8_NS6_8equal_toIjEEEE10hipError_tPvRmT2_T3_mT4_T5_T6_T7_T8_P12ihipStream_tbENKUlT_T0_E_clISt17integral_constantIbLb0EES16_EEDaS11_S12_EUlS11_E_NS1_11comp_targetILNS1_3genE10ELNS1_11target_archE1201ELNS1_3gpuE5ELNS1_3repE0EEENS1_30default_config_static_selectorELNS0_4arch9wavefront6targetE0EEEvT1_
	.p2align	8
	.type	_ZN7rocprim17ROCPRIM_400000_NS6detail17trampoline_kernelINS0_14default_configENS1_29reduce_by_key_config_selectorIjtN6thrust23THRUST_200600_302600_NS4plusItEEEEZZNS1_33reduce_by_key_impl_wrapped_configILNS1_25lookback_scan_determinismE0ES3_S9_NS6_6detail15normal_iteratorINS6_10device_ptrIjEEEENSD_INSE_ItEEEENS6_16discard_iteratorINS6_11use_defaultEEESI_PmS8_NS6_8equal_toIjEEEE10hipError_tPvRmT2_T3_mT4_T5_T6_T7_T8_P12ihipStream_tbENKUlT_T0_E_clISt17integral_constantIbLb0EES16_EEDaS11_S12_EUlS11_E_NS1_11comp_targetILNS1_3genE10ELNS1_11target_archE1201ELNS1_3gpuE5ELNS1_3repE0EEENS1_30default_config_static_selectorELNS0_4arch9wavefront6targetE0EEEvT1_,@function
_ZN7rocprim17ROCPRIM_400000_NS6detail17trampoline_kernelINS0_14default_configENS1_29reduce_by_key_config_selectorIjtN6thrust23THRUST_200600_302600_NS4plusItEEEEZZNS1_33reduce_by_key_impl_wrapped_configILNS1_25lookback_scan_determinismE0ES3_S9_NS6_6detail15normal_iteratorINS6_10device_ptrIjEEEENSD_INSE_ItEEEENS6_16discard_iteratorINS6_11use_defaultEEESI_PmS8_NS6_8equal_toIjEEEE10hipError_tPvRmT2_T3_mT4_T5_T6_T7_T8_P12ihipStream_tbENKUlT_T0_E_clISt17integral_constantIbLb0EES16_EEDaS11_S12_EUlS11_E_NS1_11comp_targetILNS1_3genE10ELNS1_11target_archE1201ELNS1_3gpuE5ELNS1_3repE0EEENS1_30default_config_static_selectorELNS0_4arch9wavefront6targetE0EEEvT1_: ; @_ZN7rocprim17ROCPRIM_400000_NS6detail17trampoline_kernelINS0_14default_configENS1_29reduce_by_key_config_selectorIjtN6thrust23THRUST_200600_302600_NS4plusItEEEEZZNS1_33reduce_by_key_impl_wrapped_configILNS1_25lookback_scan_determinismE0ES3_S9_NS6_6detail15normal_iteratorINS6_10device_ptrIjEEEENSD_INSE_ItEEEENS6_16discard_iteratorINS6_11use_defaultEEESI_PmS8_NS6_8equal_toIjEEEE10hipError_tPvRmT2_T3_mT4_T5_T6_T7_T8_P12ihipStream_tbENKUlT_T0_E_clISt17integral_constantIbLb0EES16_EEDaS11_S12_EUlS11_E_NS1_11comp_targetILNS1_3genE10ELNS1_11target_archE1201ELNS1_3gpuE5ELNS1_3repE0EEENS1_30default_config_static_selectorELNS0_4arch9wavefront6targetE0EEEvT1_
; %bb.0:
	.section	.rodata,"a",@progbits
	.p2align	6, 0x0
	.amdhsa_kernel _ZN7rocprim17ROCPRIM_400000_NS6detail17trampoline_kernelINS0_14default_configENS1_29reduce_by_key_config_selectorIjtN6thrust23THRUST_200600_302600_NS4plusItEEEEZZNS1_33reduce_by_key_impl_wrapped_configILNS1_25lookback_scan_determinismE0ES3_S9_NS6_6detail15normal_iteratorINS6_10device_ptrIjEEEENSD_INSE_ItEEEENS6_16discard_iteratorINS6_11use_defaultEEESI_PmS8_NS6_8equal_toIjEEEE10hipError_tPvRmT2_T3_mT4_T5_T6_T7_T8_P12ihipStream_tbENKUlT_T0_E_clISt17integral_constantIbLb0EES16_EEDaS11_S12_EUlS11_E_NS1_11comp_targetILNS1_3genE10ELNS1_11target_archE1201ELNS1_3gpuE5ELNS1_3repE0EEENS1_30default_config_static_selectorELNS0_4arch9wavefront6targetE0EEEvT1_
		.amdhsa_group_segment_fixed_size 0
		.amdhsa_private_segment_fixed_size 0
		.amdhsa_kernarg_size 128
		.amdhsa_user_sgpr_count 15
		.amdhsa_user_sgpr_dispatch_ptr 0
		.amdhsa_user_sgpr_queue_ptr 0
		.amdhsa_user_sgpr_kernarg_segment_ptr 1
		.amdhsa_user_sgpr_dispatch_id 0
		.amdhsa_user_sgpr_private_segment_size 0
		.amdhsa_wavefront_size32 1
		.amdhsa_uses_dynamic_stack 0
		.amdhsa_enable_private_segment 0
		.amdhsa_system_sgpr_workgroup_id_x 1
		.amdhsa_system_sgpr_workgroup_id_y 0
		.amdhsa_system_sgpr_workgroup_id_z 0
		.amdhsa_system_sgpr_workgroup_info 0
		.amdhsa_system_vgpr_workitem_id 0
		.amdhsa_next_free_vgpr 1
		.amdhsa_next_free_sgpr 1
		.amdhsa_reserve_vcc 0
		.amdhsa_float_round_mode_32 0
		.amdhsa_float_round_mode_16_64 0
		.amdhsa_float_denorm_mode_32 3
		.amdhsa_float_denorm_mode_16_64 3
		.amdhsa_dx10_clamp 1
		.amdhsa_ieee_mode 1
		.amdhsa_fp16_overflow 0
		.amdhsa_workgroup_processor_mode 1
		.amdhsa_memory_ordered 1
		.amdhsa_forward_progress 0
		.amdhsa_shared_vgpr_count 0
		.amdhsa_exception_fp_ieee_invalid_op 0
		.amdhsa_exception_fp_denorm_src 0
		.amdhsa_exception_fp_ieee_div_zero 0
		.amdhsa_exception_fp_ieee_overflow 0
		.amdhsa_exception_fp_ieee_underflow 0
		.amdhsa_exception_fp_ieee_inexact 0
		.amdhsa_exception_int_div_zero 0
	.end_amdhsa_kernel
	.section	.text._ZN7rocprim17ROCPRIM_400000_NS6detail17trampoline_kernelINS0_14default_configENS1_29reduce_by_key_config_selectorIjtN6thrust23THRUST_200600_302600_NS4plusItEEEEZZNS1_33reduce_by_key_impl_wrapped_configILNS1_25lookback_scan_determinismE0ES3_S9_NS6_6detail15normal_iteratorINS6_10device_ptrIjEEEENSD_INSE_ItEEEENS6_16discard_iteratorINS6_11use_defaultEEESI_PmS8_NS6_8equal_toIjEEEE10hipError_tPvRmT2_T3_mT4_T5_T6_T7_T8_P12ihipStream_tbENKUlT_T0_E_clISt17integral_constantIbLb0EES16_EEDaS11_S12_EUlS11_E_NS1_11comp_targetILNS1_3genE10ELNS1_11target_archE1201ELNS1_3gpuE5ELNS1_3repE0EEENS1_30default_config_static_selectorELNS0_4arch9wavefront6targetE0EEEvT1_,"axG",@progbits,_ZN7rocprim17ROCPRIM_400000_NS6detail17trampoline_kernelINS0_14default_configENS1_29reduce_by_key_config_selectorIjtN6thrust23THRUST_200600_302600_NS4plusItEEEEZZNS1_33reduce_by_key_impl_wrapped_configILNS1_25lookback_scan_determinismE0ES3_S9_NS6_6detail15normal_iteratorINS6_10device_ptrIjEEEENSD_INSE_ItEEEENS6_16discard_iteratorINS6_11use_defaultEEESI_PmS8_NS6_8equal_toIjEEEE10hipError_tPvRmT2_T3_mT4_T5_T6_T7_T8_P12ihipStream_tbENKUlT_T0_E_clISt17integral_constantIbLb0EES16_EEDaS11_S12_EUlS11_E_NS1_11comp_targetILNS1_3genE10ELNS1_11target_archE1201ELNS1_3gpuE5ELNS1_3repE0EEENS1_30default_config_static_selectorELNS0_4arch9wavefront6targetE0EEEvT1_,comdat
.Lfunc_end954:
	.size	_ZN7rocprim17ROCPRIM_400000_NS6detail17trampoline_kernelINS0_14default_configENS1_29reduce_by_key_config_selectorIjtN6thrust23THRUST_200600_302600_NS4plusItEEEEZZNS1_33reduce_by_key_impl_wrapped_configILNS1_25lookback_scan_determinismE0ES3_S9_NS6_6detail15normal_iteratorINS6_10device_ptrIjEEEENSD_INSE_ItEEEENS6_16discard_iteratorINS6_11use_defaultEEESI_PmS8_NS6_8equal_toIjEEEE10hipError_tPvRmT2_T3_mT4_T5_T6_T7_T8_P12ihipStream_tbENKUlT_T0_E_clISt17integral_constantIbLb0EES16_EEDaS11_S12_EUlS11_E_NS1_11comp_targetILNS1_3genE10ELNS1_11target_archE1201ELNS1_3gpuE5ELNS1_3repE0EEENS1_30default_config_static_selectorELNS0_4arch9wavefront6targetE0EEEvT1_, .Lfunc_end954-_ZN7rocprim17ROCPRIM_400000_NS6detail17trampoline_kernelINS0_14default_configENS1_29reduce_by_key_config_selectorIjtN6thrust23THRUST_200600_302600_NS4plusItEEEEZZNS1_33reduce_by_key_impl_wrapped_configILNS1_25lookback_scan_determinismE0ES3_S9_NS6_6detail15normal_iteratorINS6_10device_ptrIjEEEENSD_INSE_ItEEEENS6_16discard_iteratorINS6_11use_defaultEEESI_PmS8_NS6_8equal_toIjEEEE10hipError_tPvRmT2_T3_mT4_T5_T6_T7_T8_P12ihipStream_tbENKUlT_T0_E_clISt17integral_constantIbLb0EES16_EEDaS11_S12_EUlS11_E_NS1_11comp_targetILNS1_3genE10ELNS1_11target_archE1201ELNS1_3gpuE5ELNS1_3repE0EEENS1_30default_config_static_selectorELNS0_4arch9wavefront6targetE0EEEvT1_
                                        ; -- End function
	.section	.AMDGPU.csdata,"",@progbits
; Kernel info:
; codeLenInByte = 0
; NumSgprs: 0
; NumVgprs: 0
; ScratchSize: 0
; MemoryBound: 0
; FloatMode: 240
; IeeeMode: 1
; LDSByteSize: 0 bytes/workgroup (compile time only)
; SGPRBlocks: 0
; VGPRBlocks: 0
; NumSGPRsForWavesPerEU: 1
; NumVGPRsForWavesPerEU: 1
; Occupancy: 16
; WaveLimiterHint : 0
; COMPUTE_PGM_RSRC2:SCRATCH_EN: 0
; COMPUTE_PGM_RSRC2:USER_SGPR: 15
; COMPUTE_PGM_RSRC2:TRAP_HANDLER: 0
; COMPUTE_PGM_RSRC2:TGID_X_EN: 1
; COMPUTE_PGM_RSRC2:TGID_Y_EN: 0
; COMPUTE_PGM_RSRC2:TGID_Z_EN: 0
; COMPUTE_PGM_RSRC2:TIDIG_COMP_CNT: 0
	.section	.text._ZN7rocprim17ROCPRIM_400000_NS6detail17trampoline_kernelINS0_14default_configENS1_29reduce_by_key_config_selectorIjtN6thrust23THRUST_200600_302600_NS4plusItEEEEZZNS1_33reduce_by_key_impl_wrapped_configILNS1_25lookback_scan_determinismE0ES3_S9_NS6_6detail15normal_iteratorINS6_10device_ptrIjEEEENSD_INSE_ItEEEENS6_16discard_iteratorINS6_11use_defaultEEESI_PmS8_NS6_8equal_toIjEEEE10hipError_tPvRmT2_T3_mT4_T5_T6_T7_T8_P12ihipStream_tbENKUlT_T0_E_clISt17integral_constantIbLb0EES16_EEDaS11_S12_EUlS11_E_NS1_11comp_targetILNS1_3genE10ELNS1_11target_archE1200ELNS1_3gpuE4ELNS1_3repE0EEENS1_30default_config_static_selectorELNS0_4arch9wavefront6targetE0EEEvT1_,"axG",@progbits,_ZN7rocprim17ROCPRIM_400000_NS6detail17trampoline_kernelINS0_14default_configENS1_29reduce_by_key_config_selectorIjtN6thrust23THRUST_200600_302600_NS4plusItEEEEZZNS1_33reduce_by_key_impl_wrapped_configILNS1_25lookback_scan_determinismE0ES3_S9_NS6_6detail15normal_iteratorINS6_10device_ptrIjEEEENSD_INSE_ItEEEENS6_16discard_iteratorINS6_11use_defaultEEESI_PmS8_NS6_8equal_toIjEEEE10hipError_tPvRmT2_T3_mT4_T5_T6_T7_T8_P12ihipStream_tbENKUlT_T0_E_clISt17integral_constantIbLb0EES16_EEDaS11_S12_EUlS11_E_NS1_11comp_targetILNS1_3genE10ELNS1_11target_archE1200ELNS1_3gpuE4ELNS1_3repE0EEENS1_30default_config_static_selectorELNS0_4arch9wavefront6targetE0EEEvT1_,comdat
	.protected	_ZN7rocprim17ROCPRIM_400000_NS6detail17trampoline_kernelINS0_14default_configENS1_29reduce_by_key_config_selectorIjtN6thrust23THRUST_200600_302600_NS4plusItEEEEZZNS1_33reduce_by_key_impl_wrapped_configILNS1_25lookback_scan_determinismE0ES3_S9_NS6_6detail15normal_iteratorINS6_10device_ptrIjEEEENSD_INSE_ItEEEENS6_16discard_iteratorINS6_11use_defaultEEESI_PmS8_NS6_8equal_toIjEEEE10hipError_tPvRmT2_T3_mT4_T5_T6_T7_T8_P12ihipStream_tbENKUlT_T0_E_clISt17integral_constantIbLb0EES16_EEDaS11_S12_EUlS11_E_NS1_11comp_targetILNS1_3genE10ELNS1_11target_archE1200ELNS1_3gpuE4ELNS1_3repE0EEENS1_30default_config_static_selectorELNS0_4arch9wavefront6targetE0EEEvT1_ ; -- Begin function _ZN7rocprim17ROCPRIM_400000_NS6detail17trampoline_kernelINS0_14default_configENS1_29reduce_by_key_config_selectorIjtN6thrust23THRUST_200600_302600_NS4plusItEEEEZZNS1_33reduce_by_key_impl_wrapped_configILNS1_25lookback_scan_determinismE0ES3_S9_NS6_6detail15normal_iteratorINS6_10device_ptrIjEEEENSD_INSE_ItEEEENS6_16discard_iteratorINS6_11use_defaultEEESI_PmS8_NS6_8equal_toIjEEEE10hipError_tPvRmT2_T3_mT4_T5_T6_T7_T8_P12ihipStream_tbENKUlT_T0_E_clISt17integral_constantIbLb0EES16_EEDaS11_S12_EUlS11_E_NS1_11comp_targetILNS1_3genE10ELNS1_11target_archE1200ELNS1_3gpuE4ELNS1_3repE0EEENS1_30default_config_static_selectorELNS0_4arch9wavefront6targetE0EEEvT1_
	.globl	_ZN7rocprim17ROCPRIM_400000_NS6detail17trampoline_kernelINS0_14default_configENS1_29reduce_by_key_config_selectorIjtN6thrust23THRUST_200600_302600_NS4plusItEEEEZZNS1_33reduce_by_key_impl_wrapped_configILNS1_25lookback_scan_determinismE0ES3_S9_NS6_6detail15normal_iteratorINS6_10device_ptrIjEEEENSD_INSE_ItEEEENS6_16discard_iteratorINS6_11use_defaultEEESI_PmS8_NS6_8equal_toIjEEEE10hipError_tPvRmT2_T3_mT4_T5_T6_T7_T8_P12ihipStream_tbENKUlT_T0_E_clISt17integral_constantIbLb0EES16_EEDaS11_S12_EUlS11_E_NS1_11comp_targetILNS1_3genE10ELNS1_11target_archE1200ELNS1_3gpuE4ELNS1_3repE0EEENS1_30default_config_static_selectorELNS0_4arch9wavefront6targetE0EEEvT1_
	.p2align	8
	.type	_ZN7rocprim17ROCPRIM_400000_NS6detail17trampoline_kernelINS0_14default_configENS1_29reduce_by_key_config_selectorIjtN6thrust23THRUST_200600_302600_NS4plusItEEEEZZNS1_33reduce_by_key_impl_wrapped_configILNS1_25lookback_scan_determinismE0ES3_S9_NS6_6detail15normal_iteratorINS6_10device_ptrIjEEEENSD_INSE_ItEEEENS6_16discard_iteratorINS6_11use_defaultEEESI_PmS8_NS6_8equal_toIjEEEE10hipError_tPvRmT2_T3_mT4_T5_T6_T7_T8_P12ihipStream_tbENKUlT_T0_E_clISt17integral_constantIbLb0EES16_EEDaS11_S12_EUlS11_E_NS1_11comp_targetILNS1_3genE10ELNS1_11target_archE1200ELNS1_3gpuE4ELNS1_3repE0EEENS1_30default_config_static_selectorELNS0_4arch9wavefront6targetE0EEEvT1_,@function
_ZN7rocprim17ROCPRIM_400000_NS6detail17trampoline_kernelINS0_14default_configENS1_29reduce_by_key_config_selectorIjtN6thrust23THRUST_200600_302600_NS4plusItEEEEZZNS1_33reduce_by_key_impl_wrapped_configILNS1_25lookback_scan_determinismE0ES3_S9_NS6_6detail15normal_iteratorINS6_10device_ptrIjEEEENSD_INSE_ItEEEENS6_16discard_iteratorINS6_11use_defaultEEESI_PmS8_NS6_8equal_toIjEEEE10hipError_tPvRmT2_T3_mT4_T5_T6_T7_T8_P12ihipStream_tbENKUlT_T0_E_clISt17integral_constantIbLb0EES16_EEDaS11_S12_EUlS11_E_NS1_11comp_targetILNS1_3genE10ELNS1_11target_archE1200ELNS1_3gpuE4ELNS1_3repE0EEENS1_30default_config_static_selectorELNS0_4arch9wavefront6targetE0EEEvT1_: ; @_ZN7rocprim17ROCPRIM_400000_NS6detail17trampoline_kernelINS0_14default_configENS1_29reduce_by_key_config_selectorIjtN6thrust23THRUST_200600_302600_NS4plusItEEEEZZNS1_33reduce_by_key_impl_wrapped_configILNS1_25lookback_scan_determinismE0ES3_S9_NS6_6detail15normal_iteratorINS6_10device_ptrIjEEEENSD_INSE_ItEEEENS6_16discard_iteratorINS6_11use_defaultEEESI_PmS8_NS6_8equal_toIjEEEE10hipError_tPvRmT2_T3_mT4_T5_T6_T7_T8_P12ihipStream_tbENKUlT_T0_E_clISt17integral_constantIbLb0EES16_EEDaS11_S12_EUlS11_E_NS1_11comp_targetILNS1_3genE10ELNS1_11target_archE1200ELNS1_3gpuE4ELNS1_3repE0EEENS1_30default_config_static_selectorELNS0_4arch9wavefront6targetE0EEEvT1_
; %bb.0:
	.section	.rodata,"a",@progbits
	.p2align	6, 0x0
	.amdhsa_kernel _ZN7rocprim17ROCPRIM_400000_NS6detail17trampoline_kernelINS0_14default_configENS1_29reduce_by_key_config_selectorIjtN6thrust23THRUST_200600_302600_NS4plusItEEEEZZNS1_33reduce_by_key_impl_wrapped_configILNS1_25lookback_scan_determinismE0ES3_S9_NS6_6detail15normal_iteratorINS6_10device_ptrIjEEEENSD_INSE_ItEEEENS6_16discard_iteratorINS6_11use_defaultEEESI_PmS8_NS6_8equal_toIjEEEE10hipError_tPvRmT2_T3_mT4_T5_T6_T7_T8_P12ihipStream_tbENKUlT_T0_E_clISt17integral_constantIbLb0EES16_EEDaS11_S12_EUlS11_E_NS1_11comp_targetILNS1_3genE10ELNS1_11target_archE1200ELNS1_3gpuE4ELNS1_3repE0EEENS1_30default_config_static_selectorELNS0_4arch9wavefront6targetE0EEEvT1_
		.amdhsa_group_segment_fixed_size 0
		.amdhsa_private_segment_fixed_size 0
		.amdhsa_kernarg_size 128
		.amdhsa_user_sgpr_count 15
		.amdhsa_user_sgpr_dispatch_ptr 0
		.amdhsa_user_sgpr_queue_ptr 0
		.amdhsa_user_sgpr_kernarg_segment_ptr 1
		.amdhsa_user_sgpr_dispatch_id 0
		.amdhsa_user_sgpr_private_segment_size 0
		.amdhsa_wavefront_size32 1
		.amdhsa_uses_dynamic_stack 0
		.amdhsa_enable_private_segment 0
		.amdhsa_system_sgpr_workgroup_id_x 1
		.amdhsa_system_sgpr_workgroup_id_y 0
		.amdhsa_system_sgpr_workgroup_id_z 0
		.amdhsa_system_sgpr_workgroup_info 0
		.amdhsa_system_vgpr_workitem_id 0
		.amdhsa_next_free_vgpr 1
		.amdhsa_next_free_sgpr 1
		.amdhsa_reserve_vcc 0
		.amdhsa_float_round_mode_32 0
		.amdhsa_float_round_mode_16_64 0
		.amdhsa_float_denorm_mode_32 3
		.amdhsa_float_denorm_mode_16_64 3
		.amdhsa_dx10_clamp 1
		.amdhsa_ieee_mode 1
		.amdhsa_fp16_overflow 0
		.amdhsa_workgroup_processor_mode 1
		.amdhsa_memory_ordered 1
		.amdhsa_forward_progress 0
		.amdhsa_shared_vgpr_count 0
		.amdhsa_exception_fp_ieee_invalid_op 0
		.amdhsa_exception_fp_denorm_src 0
		.amdhsa_exception_fp_ieee_div_zero 0
		.amdhsa_exception_fp_ieee_overflow 0
		.amdhsa_exception_fp_ieee_underflow 0
		.amdhsa_exception_fp_ieee_inexact 0
		.amdhsa_exception_int_div_zero 0
	.end_amdhsa_kernel
	.section	.text._ZN7rocprim17ROCPRIM_400000_NS6detail17trampoline_kernelINS0_14default_configENS1_29reduce_by_key_config_selectorIjtN6thrust23THRUST_200600_302600_NS4plusItEEEEZZNS1_33reduce_by_key_impl_wrapped_configILNS1_25lookback_scan_determinismE0ES3_S9_NS6_6detail15normal_iteratorINS6_10device_ptrIjEEEENSD_INSE_ItEEEENS6_16discard_iteratorINS6_11use_defaultEEESI_PmS8_NS6_8equal_toIjEEEE10hipError_tPvRmT2_T3_mT4_T5_T6_T7_T8_P12ihipStream_tbENKUlT_T0_E_clISt17integral_constantIbLb0EES16_EEDaS11_S12_EUlS11_E_NS1_11comp_targetILNS1_3genE10ELNS1_11target_archE1200ELNS1_3gpuE4ELNS1_3repE0EEENS1_30default_config_static_selectorELNS0_4arch9wavefront6targetE0EEEvT1_,"axG",@progbits,_ZN7rocprim17ROCPRIM_400000_NS6detail17trampoline_kernelINS0_14default_configENS1_29reduce_by_key_config_selectorIjtN6thrust23THRUST_200600_302600_NS4plusItEEEEZZNS1_33reduce_by_key_impl_wrapped_configILNS1_25lookback_scan_determinismE0ES3_S9_NS6_6detail15normal_iteratorINS6_10device_ptrIjEEEENSD_INSE_ItEEEENS6_16discard_iteratorINS6_11use_defaultEEESI_PmS8_NS6_8equal_toIjEEEE10hipError_tPvRmT2_T3_mT4_T5_T6_T7_T8_P12ihipStream_tbENKUlT_T0_E_clISt17integral_constantIbLb0EES16_EEDaS11_S12_EUlS11_E_NS1_11comp_targetILNS1_3genE10ELNS1_11target_archE1200ELNS1_3gpuE4ELNS1_3repE0EEENS1_30default_config_static_selectorELNS0_4arch9wavefront6targetE0EEEvT1_,comdat
.Lfunc_end955:
	.size	_ZN7rocprim17ROCPRIM_400000_NS6detail17trampoline_kernelINS0_14default_configENS1_29reduce_by_key_config_selectorIjtN6thrust23THRUST_200600_302600_NS4plusItEEEEZZNS1_33reduce_by_key_impl_wrapped_configILNS1_25lookback_scan_determinismE0ES3_S9_NS6_6detail15normal_iteratorINS6_10device_ptrIjEEEENSD_INSE_ItEEEENS6_16discard_iteratorINS6_11use_defaultEEESI_PmS8_NS6_8equal_toIjEEEE10hipError_tPvRmT2_T3_mT4_T5_T6_T7_T8_P12ihipStream_tbENKUlT_T0_E_clISt17integral_constantIbLb0EES16_EEDaS11_S12_EUlS11_E_NS1_11comp_targetILNS1_3genE10ELNS1_11target_archE1200ELNS1_3gpuE4ELNS1_3repE0EEENS1_30default_config_static_selectorELNS0_4arch9wavefront6targetE0EEEvT1_, .Lfunc_end955-_ZN7rocprim17ROCPRIM_400000_NS6detail17trampoline_kernelINS0_14default_configENS1_29reduce_by_key_config_selectorIjtN6thrust23THRUST_200600_302600_NS4plusItEEEEZZNS1_33reduce_by_key_impl_wrapped_configILNS1_25lookback_scan_determinismE0ES3_S9_NS6_6detail15normal_iteratorINS6_10device_ptrIjEEEENSD_INSE_ItEEEENS6_16discard_iteratorINS6_11use_defaultEEESI_PmS8_NS6_8equal_toIjEEEE10hipError_tPvRmT2_T3_mT4_T5_T6_T7_T8_P12ihipStream_tbENKUlT_T0_E_clISt17integral_constantIbLb0EES16_EEDaS11_S12_EUlS11_E_NS1_11comp_targetILNS1_3genE10ELNS1_11target_archE1200ELNS1_3gpuE4ELNS1_3repE0EEENS1_30default_config_static_selectorELNS0_4arch9wavefront6targetE0EEEvT1_
                                        ; -- End function
	.section	.AMDGPU.csdata,"",@progbits
; Kernel info:
; codeLenInByte = 0
; NumSgprs: 0
; NumVgprs: 0
; ScratchSize: 0
; MemoryBound: 0
; FloatMode: 240
; IeeeMode: 1
; LDSByteSize: 0 bytes/workgroup (compile time only)
; SGPRBlocks: 0
; VGPRBlocks: 0
; NumSGPRsForWavesPerEU: 1
; NumVGPRsForWavesPerEU: 1
; Occupancy: 16
; WaveLimiterHint : 0
; COMPUTE_PGM_RSRC2:SCRATCH_EN: 0
; COMPUTE_PGM_RSRC2:USER_SGPR: 15
; COMPUTE_PGM_RSRC2:TRAP_HANDLER: 0
; COMPUTE_PGM_RSRC2:TGID_X_EN: 1
; COMPUTE_PGM_RSRC2:TGID_Y_EN: 0
; COMPUTE_PGM_RSRC2:TGID_Z_EN: 0
; COMPUTE_PGM_RSRC2:TIDIG_COMP_CNT: 0
	.section	.text._ZN7rocprim17ROCPRIM_400000_NS6detail17trampoline_kernelINS0_14default_configENS1_29reduce_by_key_config_selectorIjtN6thrust23THRUST_200600_302600_NS4plusItEEEEZZNS1_33reduce_by_key_impl_wrapped_configILNS1_25lookback_scan_determinismE0ES3_S9_NS6_6detail15normal_iteratorINS6_10device_ptrIjEEEENSD_INSE_ItEEEENS6_16discard_iteratorINS6_11use_defaultEEESI_PmS8_NS6_8equal_toIjEEEE10hipError_tPvRmT2_T3_mT4_T5_T6_T7_T8_P12ihipStream_tbENKUlT_T0_E_clISt17integral_constantIbLb0EES16_EEDaS11_S12_EUlS11_E_NS1_11comp_targetILNS1_3genE9ELNS1_11target_archE1100ELNS1_3gpuE3ELNS1_3repE0EEENS1_30default_config_static_selectorELNS0_4arch9wavefront6targetE0EEEvT1_,"axG",@progbits,_ZN7rocprim17ROCPRIM_400000_NS6detail17trampoline_kernelINS0_14default_configENS1_29reduce_by_key_config_selectorIjtN6thrust23THRUST_200600_302600_NS4plusItEEEEZZNS1_33reduce_by_key_impl_wrapped_configILNS1_25lookback_scan_determinismE0ES3_S9_NS6_6detail15normal_iteratorINS6_10device_ptrIjEEEENSD_INSE_ItEEEENS6_16discard_iteratorINS6_11use_defaultEEESI_PmS8_NS6_8equal_toIjEEEE10hipError_tPvRmT2_T3_mT4_T5_T6_T7_T8_P12ihipStream_tbENKUlT_T0_E_clISt17integral_constantIbLb0EES16_EEDaS11_S12_EUlS11_E_NS1_11comp_targetILNS1_3genE9ELNS1_11target_archE1100ELNS1_3gpuE3ELNS1_3repE0EEENS1_30default_config_static_selectorELNS0_4arch9wavefront6targetE0EEEvT1_,comdat
	.protected	_ZN7rocprim17ROCPRIM_400000_NS6detail17trampoline_kernelINS0_14default_configENS1_29reduce_by_key_config_selectorIjtN6thrust23THRUST_200600_302600_NS4plusItEEEEZZNS1_33reduce_by_key_impl_wrapped_configILNS1_25lookback_scan_determinismE0ES3_S9_NS6_6detail15normal_iteratorINS6_10device_ptrIjEEEENSD_INSE_ItEEEENS6_16discard_iteratorINS6_11use_defaultEEESI_PmS8_NS6_8equal_toIjEEEE10hipError_tPvRmT2_T3_mT4_T5_T6_T7_T8_P12ihipStream_tbENKUlT_T0_E_clISt17integral_constantIbLb0EES16_EEDaS11_S12_EUlS11_E_NS1_11comp_targetILNS1_3genE9ELNS1_11target_archE1100ELNS1_3gpuE3ELNS1_3repE0EEENS1_30default_config_static_selectorELNS0_4arch9wavefront6targetE0EEEvT1_ ; -- Begin function _ZN7rocprim17ROCPRIM_400000_NS6detail17trampoline_kernelINS0_14default_configENS1_29reduce_by_key_config_selectorIjtN6thrust23THRUST_200600_302600_NS4plusItEEEEZZNS1_33reduce_by_key_impl_wrapped_configILNS1_25lookback_scan_determinismE0ES3_S9_NS6_6detail15normal_iteratorINS6_10device_ptrIjEEEENSD_INSE_ItEEEENS6_16discard_iteratorINS6_11use_defaultEEESI_PmS8_NS6_8equal_toIjEEEE10hipError_tPvRmT2_T3_mT4_T5_T6_T7_T8_P12ihipStream_tbENKUlT_T0_E_clISt17integral_constantIbLb0EES16_EEDaS11_S12_EUlS11_E_NS1_11comp_targetILNS1_3genE9ELNS1_11target_archE1100ELNS1_3gpuE3ELNS1_3repE0EEENS1_30default_config_static_selectorELNS0_4arch9wavefront6targetE0EEEvT1_
	.globl	_ZN7rocprim17ROCPRIM_400000_NS6detail17trampoline_kernelINS0_14default_configENS1_29reduce_by_key_config_selectorIjtN6thrust23THRUST_200600_302600_NS4plusItEEEEZZNS1_33reduce_by_key_impl_wrapped_configILNS1_25lookback_scan_determinismE0ES3_S9_NS6_6detail15normal_iteratorINS6_10device_ptrIjEEEENSD_INSE_ItEEEENS6_16discard_iteratorINS6_11use_defaultEEESI_PmS8_NS6_8equal_toIjEEEE10hipError_tPvRmT2_T3_mT4_T5_T6_T7_T8_P12ihipStream_tbENKUlT_T0_E_clISt17integral_constantIbLb0EES16_EEDaS11_S12_EUlS11_E_NS1_11comp_targetILNS1_3genE9ELNS1_11target_archE1100ELNS1_3gpuE3ELNS1_3repE0EEENS1_30default_config_static_selectorELNS0_4arch9wavefront6targetE0EEEvT1_
	.p2align	8
	.type	_ZN7rocprim17ROCPRIM_400000_NS6detail17trampoline_kernelINS0_14default_configENS1_29reduce_by_key_config_selectorIjtN6thrust23THRUST_200600_302600_NS4plusItEEEEZZNS1_33reduce_by_key_impl_wrapped_configILNS1_25lookback_scan_determinismE0ES3_S9_NS6_6detail15normal_iteratorINS6_10device_ptrIjEEEENSD_INSE_ItEEEENS6_16discard_iteratorINS6_11use_defaultEEESI_PmS8_NS6_8equal_toIjEEEE10hipError_tPvRmT2_T3_mT4_T5_T6_T7_T8_P12ihipStream_tbENKUlT_T0_E_clISt17integral_constantIbLb0EES16_EEDaS11_S12_EUlS11_E_NS1_11comp_targetILNS1_3genE9ELNS1_11target_archE1100ELNS1_3gpuE3ELNS1_3repE0EEENS1_30default_config_static_selectorELNS0_4arch9wavefront6targetE0EEEvT1_,@function
_ZN7rocprim17ROCPRIM_400000_NS6detail17trampoline_kernelINS0_14default_configENS1_29reduce_by_key_config_selectorIjtN6thrust23THRUST_200600_302600_NS4plusItEEEEZZNS1_33reduce_by_key_impl_wrapped_configILNS1_25lookback_scan_determinismE0ES3_S9_NS6_6detail15normal_iteratorINS6_10device_ptrIjEEEENSD_INSE_ItEEEENS6_16discard_iteratorINS6_11use_defaultEEESI_PmS8_NS6_8equal_toIjEEEE10hipError_tPvRmT2_T3_mT4_T5_T6_T7_T8_P12ihipStream_tbENKUlT_T0_E_clISt17integral_constantIbLb0EES16_EEDaS11_S12_EUlS11_E_NS1_11comp_targetILNS1_3genE9ELNS1_11target_archE1100ELNS1_3gpuE3ELNS1_3repE0EEENS1_30default_config_static_selectorELNS0_4arch9wavefront6targetE0EEEvT1_: ; @_ZN7rocprim17ROCPRIM_400000_NS6detail17trampoline_kernelINS0_14default_configENS1_29reduce_by_key_config_selectorIjtN6thrust23THRUST_200600_302600_NS4plusItEEEEZZNS1_33reduce_by_key_impl_wrapped_configILNS1_25lookback_scan_determinismE0ES3_S9_NS6_6detail15normal_iteratorINS6_10device_ptrIjEEEENSD_INSE_ItEEEENS6_16discard_iteratorINS6_11use_defaultEEESI_PmS8_NS6_8equal_toIjEEEE10hipError_tPvRmT2_T3_mT4_T5_T6_T7_T8_P12ihipStream_tbENKUlT_T0_E_clISt17integral_constantIbLb0EES16_EEDaS11_S12_EUlS11_E_NS1_11comp_targetILNS1_3genE9ELNS1_11target_archE1100ELNS1_3gpuE3ELNS1_3repE0EEENS1_30default_config_static_selectorELNS0_4arch9wavefront6targetE0EEEvT1_
; %bb.0:
	s_clause 0x2
	s_load_b128 s[4:7], s[0:1], 0x0
	s_load_b256 s[20:27], s[0:1], 0x40
	s_load_b64 s[8:9], s[0:1], 0x10
	s_mov_b32 s3, 0
	s_clause 0x1
	s_load_b64 s[18:19], s[0:1], 0x70
	s_load_b128 s[28:31], s[0:1], 0x60
	s_mul_i32 s2, s15, 0xf00
	v_lshlrev_b32_e32 v5, 2, v0
	v_mad_u32_u24 v3, v0, 15, 1
	v_mad_u32_u24 v20, v0, 15, 2
	;; [unrolled: 1-line block ×13, first 2 shown]
	s_waitcnt lgkmcnt(0)
	s_lshl_b64 s[10:11], s[6:7], 2
	s_mul_i32 s12, s24, s23
	s_add_u32 s10, s4, s10
	s_addc_u32 s11, s5, s11
	s_lshl_b64 s[4:5], s[6:7], 1
	s_mul_hi_u32 s13, s24, s22
	s_add_u32 s7, s8, s4
	s_mul_i32 s6, s25, s22
	s_addc_u32 s8, s9, s5
	s_add_i32 s9, s13, s12
	s_lshl_b64 s[4:5], s[2:3], 2
	s_add_i32 s9, s9, s6
	s_add_u32 s38, s10, s4
	s_addc_u32 s37, s11, s5
	s_lshl_b64 s[4:5], s[2:3], 1
	s_mul_i32 s2, s24, s22
	s_add_u32 s24, s7, s4
	s_addc_u32 s25, s8, s5
	s_add_u32 s34, s2, s15
	s_addc_u32 s35, s9, 0
	s_add_u32 s4, s26, -1
	s_addc_u32 s5, s27, -1
	v_mad_u32_u24 v1, v0, 15, 14
	s_cmp_eq_u64 s[34:35], s[4:5]
	s_mul_i32 s33, s4, 0xfffff100
	s_cselect_b32 s17, -1, 0
	s_cmp_lg_u64 s[34:35], s[4:5]
	s_cselect_b32 s39, -1, 0
	s_and_b32 vcc_lo, exec_lo, s17
	s_cbranch_vccnz .LBB956_2
; %bb.1:
	v_add_co_u32 v6, s2, s38, v5
	s_delay_alu instid0(VALU_DEP_1) | instskip(SKIP_1) | instid1(VALU_DEP_3)
	v_add_co_ci_u32_e64 v7, null, s37, 0, s2
	v_mad_u32_u24 v21, v0, 56, v5
	v_add_co_u32 v8, vcc_lo, 0x1000, v6
	s_delay_alu instid0(VALU_DEP_3)
	v_add_co_ci_u32_e32 v9, vcc_lo, 0, v7, vcc_lo
	s_clause 0x7
	flat_load_b32 v2, v[6:7]
	flat_load_b32 v4, v[6:7] offset:1024
	flat_load_b32 v10, v[6:7] offset:2048
	;; [unrolled: 1-line block ×3, first 2 shown]
	flat_load_b32 v12, v[8:9]
	flat_load_b32 v13, v[8:9] offset:1024
	flat_load_b32 v14, v[8:9] offset:2048
	;; [unrolled: 1-line block ×3, first 2 shown]
	v_add_co_u32 v8, vcc_lo, 0x2000, v6
	v_add_co_ci_u32_e32 v9, vcc_lo, 0, v7, vcc_lo
	v_add_co_u32 v6, vcc_lo, 0x3000, v6
	v_add_co_ci_u32_e32 v7, vcc_lo, 0, v7, vcc_lo
	s_clause 0x6
	flat_load_b32 v16, v[8:9]
	flat_load_b32 v17, v[8:9] offset:1024
	flat_load_b32 v18, v[8:9] offset:2048
	;; [unrolled: 1-line block ×3, first 2 shown]
	flat_load_b32 v9, v[6:7]
	flat_load_b32 v19, v[6:7] offset:1024
	flat_load_b32 v6, v[6:7] offset:2048
	v_lshlrev_b32_e32 v7, 1, v0
	s_waitcnt vmcnt(13) lgkmcnt(13)
	ds_store_2addr_stride64_b32 v5, v2, v4 offset1:4
	s_waitcnt vmcnt(11) lgkmcnt(12)
	ds_store_2addr_stride64_b32 v5, v10, v11 offset0:8 offset1:12
	s_waitcnt vmcnt(9) lgkmcnt(11)
	ds_store_2addr_stride64_b32 v5, v12, v13 offset0:16 offset1:20
	;; [unrolled: 2-line block ×6, first 2 shown]
	s_waitcnt vmcnt(0) lgkmcnt(7)
	ds_store_b32 v5, v6 offset:14336
	v_add_co_u32 v43, s2, s24, v7
	s_delay_alu instid0(VALU_DEP_1) | instskip(SKIP_1) | instid1(VALU_DEP_2)
	v_add_co_ci_u32_e64 v44, null, s25, 0, s2
	s_waitcnt lgkmcnt(0)
	v_add_co_u32 v45, vcc_lo, 0x1000, v43
	s_delay_alu instid0(VALU_DEP_2)
	v_add_co_ci_u32_e32 v46, vcc_lo, 0, v44, vcc_lo
	s_barrier
	buffer_gl0_inv
	ds_load_2addr_b32 v[18:19], v21 offset1:1
	ds_load_2addr_b32 v[16:17], v21 offset0:2 offset1:3
	ds_load_2addr_b32 v[14:15], v21 offset0:4 offset1:5
	;; [unrolled: 1-line block ×6, first 2 shown]
	ds_load_b32 v52, v21 offset:56
	s_waitcnt lgkmcnt(0)
	s_barrier
	buffer_gl0_inv
	s_clause 0xe
	flat_load_u16 v4, v[43:44]
	flat_load_u16 v23, v[43:44] offset:512
	flat_load_u16 v25, v[43:44] offset:1024
	;; [unrolled: 1-line block ×7, first 2 shown]
	flat_load_u16 v37, v[45:46]
	flat_load_u16 v39, v[45:46] offset:512
	flat_load_u16 v41, v[45:46] offset:1024
	;; [unrolled: 1-line block ×6, first 2 shown]
	v_mad_i32_i24 v21, 0xffffffc6, v0, v21
	v_mul_u32_u24_e32 v2, 15, v0
	s_waitcnt vmcnt(14) lgkmcnt(14)
	ds_store_b16 v21, v4
	s_waitcnt vmcnt(13) lgkmcnt(14)
	ds_store_b16 v21, v23 offset:512
	s_waitcnt vmcnt(12) lgkmcnt(14)
	ds_store_b16 v21, v25 offset:1024
	;; [unrolled: 2-line block ×14, first 2 shown]
	s_waitcnt lgkmcnt(0)
	s_barrier
	s_branch .LBB956_3
.LBB956_2:
	s_mov_b32 s3, -1
                                        ; implicit-def: $vgpr2
                                        ; implicit-def: $vgpr18
                                        ; implicit-def: $vgpr16
                                        ; implicit-def: $vgpr14
                                        ; implicit-def: $vgpr12
                                        ; implicit-def: $vgpr10
                                        ; implicit-def: $vgpr8
                                        ; implicit-def: $vgpr6
                                        ; implicit-def: $vgpr52
.LBB956_3:
	v_dual_mov_b32 v4, v1 :: v_dual_mov_b32 v21, v42
	v_dual_mov_b32 v29, v40 :: v_dual_mov_b32 v54, v3
	;; [unrolled: 1-line block ×3, first 2 shown]
	v_mov_b32_e32 v23, v36
	v_dual_mov_b32 v25, v34 :: v_dual_mov_b32 v50, v24
	v_mov_b32_e32 v27, v32
	v_mov_b32_e32 v47, v30
	;; [unrolled: 1-line block ×5, first 2 shown]
	s_and_not1_b32 vcc_lo, exec_lo, s3
	s_add_i32 s33, s33, s28
	s_cbranch_vccnz .LBB956_65
; %bb.4:
	v_cmp_gt_u32_e32 vcc_lo, s33, v0
                                        ; implicit-def: $vgpr6
	s_and_saveexec_b32 s2, vcc_lo
	s_cbranch_execz .LBB956_6
; %bb.5:
	v_add_co_u32 v6, s3, s38, v5
	s_delay_alu instid0(VALU_DEP_1)
	v_add_co_ci_u32_e64 v7, null, s37, 0, s3
	flat_load_b32 v6, v[6:7]
.LBB956_6:
	s_or_b32 exec_lo, exec_lo, s2
	v_or_b32_e32 v2, 0x100, v0
                                        ; implicit-def: $vgpr7
	s_delay_alu instid0(VALU_DEP_1) | instskip(NEXT) | instid1(VALU_DEP_1)
	v_cmp_gt_u32_e64 s2, s33, v2
	s_and_saveexec_b32 s3, s2
	s_cbranch_execz .LBB956_8
; %bb.7:
	v_add_co_u32 v7, s4, s38, v5
	s_delay_alu instid0(VALU_DEP_1)
	v_add_co_ci_u32_e64 v8, null, s37, 0, s4
	flat_load_b32 v7, v[7:8] offset:1024
.LBB956_8:
	s_or_b32 exec_lo, exec_lo, s3
	v_or_b32_e32 v2, 0x200, v0
                                        ; implicit-def: $vgpr8
	s_delay_alu instid0(VALU_DEP_1) | instskip(NEXT) | instid1(VALU_DEP_1)
	v_cmp_gt_u32_e64 s3, s33, v2
	s_and_saveexec_b32 s4, s3
	s_cbranch_execz .LBB956_10
; %bb.9:
	v_add_co_u32 v8, s5, s38, v5
	s_delay_alu instid0(VALU_DEP_1)
	v_add_co_ci_u32_e64 v9, null, s37, 0, s5
	flat_load_b32 v8, v[8:9] offset:2048
.LBB956_10:
	s_or_b32 exec_lo, exec_lo, s4
	v_or_b32_e32 v2, 0x300, v0
                                        ; implicit-def: $vgpr9
	s_delay_alu instid0(VALU_DEP_1) | instskip(NEXT) | instid1(VALU_DEP_1)
	v_cmp_gt_u32_e64 s4, s33, v2
	s_and_saveexec_b32 s5, s4
	s_cbranch_execz .LBB956_12
; %bb.11:
	v_add_co_u32 v9, s6, s38, v5
	s_delay_alu instid0(VALU_DEP_1)
	v_add_co_ci_u32_e64 v10, null, s37, 0, s6
	flat_load_b32 v9, v[9:10] offset:3072
.LBB956_12:
	s_or_b32 exec_lo, exec_lo, s5
	v_or_b32_e32 v2, 0x400, v0
                                        ; implicit-def: $vgpr10
	s_delay_alu instid0(VALU_DEP_1) | instskip(NEXT) | instid1(VALU_DEP_1)
	v_cmp_gt_u32_e64 s5, s33, v2
	s_and_saveexec_b32 s6, s5
	s_cbranch_execz .LBB956_14
; %bb.13:
	v_lshlrev_b32_e32 v2, 2, v2
	s_delay_alu instid0(VALU_DEP_1) | instskip(NEXT) | instid1(VALU_DEP_1)
	v_add_co_u32 v10, s7, s38, v2
	v_add_co_ci_u32_e64 v11, null, s37, 0, s7
	flat_load_b32 v10, v[10:11]
.LBB956_14:
	s_or_b32 exec_lo, exec_lo, s6
	v_or_b32_e32 v2, 0x500, v0
                                        ; implicit-def: $vgpr11
	s_delay_alu instid0(VALU_DEP_1) | instskip(NEXT) | instid1(VALU_DEP_1)
	v_cmp_gt_u32_e64 s6, s33, v2
	s_and_saveexec_b32 s7, s6
	s_cbranch_execz .LBB956_16
; %bb.15:
	v_lshlrev_b32_e32 v2, 2, v2
	s_delay_alu instid0(VALU_DEP_1) | instskip(NEXT) | instid1(VALU_DEP_1)
	v_add_co_u32 v11, s8, s38, v2
	v_add_co_ci_u32_e64 v12, null, s37, 0, s8
	flat_load_b32 v11, v[11:12]
.LBB956_16:
	s_or_b32 exec_lo, exec_lo, s7
	v_or_b32_e32 v2, 0x600, v0
                                        ; implicit-def: $vgpr12
	s_delay_alu instid0(VALU_DEP_1) | instskip(NEXT) | instid1(VALU_DEP_1)
	v_cmp_gt_u32_e64 s7, s33, v2
	s_and_saveexec_b32 s8, s7
	s_cbranch_execz .LBB956_18
; %bb.17:
	v_lshlrev_b32_e32 v2, 2, v2
	s_delay_alu instid0(VALU_DEP_1) | instskip(NEXT) | instid1(VALU_DEP_1)
	v_add_co_u32 v12, s9, s38, v2
	v_add_co_ci_u32_e64 v13, null, s37, 0, s9
	flat_load_b32 v12, v[12:13]
.LBB956_18:
	s_or_b32 exec_lo, exec_lo, s8
	v_or_b32_e32 v2, 0x700, v0
                                        ; implicit-def: $vgpr13
	s_delay_alu instid0(VALU_DEP_1) | instskip(NEXT) | instid1(VALU_DEP_1)
	v_cmp_gt_u32_e64 s8, s33, v2
	s_and_saveexec_b32 s9, s8
	s_cbranch_execz .LBB956_20
; %bb.19:
	v_lshlrev_b32_e32 v2, 2, v2
	s_delay_alu instid0(VALU_DEP_1) | instskip(NEXT) | instid1(VALU_DEP_1)
	v_add_co_u32 v13, s10, s38, v2
	v_add_co_ci_u32_e64 v14, null, s37, 0, s10
	flat_load_b32 v13, v[13:14]
.LBB956_20:
	s_or_b32 exec_lo, exec_lo, s9
	v_or_b32_e32 v2, 0x800, v0
                                        ; implicit-def: $vgpr14
	s_delay_alu instid0(VALU_DEP_1) | instskip(NEXT) | instid1(VALU_DEP_1)
	v_cmp_gt_u32_e64 s9, s33, v2
	s_and_saveexec_b32 s10, s9
	s_cbranch_execz .LBB956_22
; %bb.21:
	v_lshlrev_b32_e32 v4, 2, v2
	s_delay_alu instid0(VALU_DEP_1) | instskip(NEXT) | instid1(VALU_DEP_1)
	v_add_co_u32 v14, s11, s38, v4
	v_add_co_ci_u32_e64 v15, null, s37, 0, s11
	flat_load_b32 v14, v[14:15]
.LBB956_22:
	s_or_b32 exec_lo, exec_lo, s10
	v_or_b32_e32 v4, 0x900, v0
                                        ; implicit-def: $vgpr15
	s_delay_alu instid0(VALU_DEP_1) | instskip(NEXT) | instid1(VALU_DEP_1)
	v_cmp_gt_u32_e64 s10, s33, v4
	s_and_saveexec_b32 s11, s10
	s_cbranch_execz .LBB956_24
; %bb.23:
	v_lshlrev_b32_e32 v15, 2, v4
	s_delay_alu instid0(VALU_DEP_1) | instskip(NEXT) | instid1(VALU_DEP_1)
	v_add_co_u32 v15, s12, s38, v15
	v_add_co_ci_u32_e64 v16, null, s37, 0, s12
	flat_load_b32 v15, v[15:16]
.LBB956_24:
	s_or_b32 exec_lo, exec_lo, s11
	v_or_b32_e32 v23, 0xa00, v0
                                        ; implicit-def: $vgpr16
	s_delay_alu instid0(VALU_DEP_1) | instskip(NEXT) | instid1(VALU_DEP_1)
	v_cmp_gt_u32_e64 s11, s33, v23
	s_and_saveexec_b32 s12, s11
	s_cbranch_execz .LBB956_26
; %bb.25:
	v_lshlrev_b32_e32 v16, 2, v23
	s_delay_alu instid0(VALU_DEP_1) | instskip(NEXT) | instid1(VALU_DEP_1)
	v_add_co_u32 v16, s13, s38, v16
	v_add_co_ci_u32_e64 v17, null, s37, 0, s13
	flat_load_b32 v16, v[16:17]
.LBB956_26:
	s_or_b32 exec_lo, exec_lo, s12
	v_or_b32_e32 v25, 0xb00, v0
                                        ; implicit-def: $vgpr17
	s_delay_alu instid0(VALU_DEP_1) | instskip(NEXT) | instid1(VALU_DEP_1)
	v_cmp_gt_u32_e64 s12, s33, v25
	s_and_saveexec_b32 s13, s12
	s_cbranch_execz .LBB956_28
; %bb.27:
	v_lshlrev_b32_e32 v17, 2, v25
	s_delay_alu instid0(VALU_DEP_1) | instskip(NEXT) | instid1(VALU_DEP_1)
	v_add_co_u32 v17, s14, s38, v17
	v_add_co_ci_u32_e64 v18, null, s37, 0, s14
	flat_load_b32 v17, v[17:18]
.LBB956_28:
	s_or_b32 exec_lo, exec_lo, s13
	v_or_b32_e32 v27, 0xc00, v0
                                        ; implicit-def: $vgpr18
	s_delay_alu instid0(VALU_DEP_1) | instskip(NEXT) | instid1(VALU_DEP_1)
	v_cmp_gt_u32_e64 s13, s33, v27
	s_and_saveexec_b32 s14, s13
	s_cbranch_execz .LBB956_30
; %bb.29:
	v_lshlrev_b32_e32 v18, 2, v27
	s_delay_alu instid0(VALU_DEP_1) | instskip(NEXT) | instid1(VALU_DEP_1)
	v_add_co_u32 v18, s16, s38, v18
	v_add_co_ci_u32_e64 v19, null, s37, 0, s16
	flat_load_b32 v18, v[18:19]
.LBB956_30:
	s_or_b32 exec_lo, exec_lo, s14
	v_or_b32_e32 v29, 0xd00, v0
                                        ; implicit-def: $vgpr19
	s_delay_alu instid0(VALU_DEP_1) | instskip(NEXT) | instid1(VALU_DEP_1)
	v_cmp_gt_u32_e64 s14, s33, v29
	s_and_saveexec_b32 s16, s14
	s_cbranch_execz .LBB956_32
; %bb.31:
	v_lshlrev_b32_e32 v19, 2, v29
	s_delay_alu instid0(VALU_DEP_1) | instskip(NEXT) | instid1(VALU_DEP_1)
	v_add_co_u32 v43, s26, s38, v19
	v_add_co_ci_u32_e64 v44, null, s37, 0, s26
	flat_load_b32 v19, v[43:44]
.LBB956_32:
	s_or_b32 exec_lo, exec_lo, s16
	v_or_b32_e32 v31, 0xe00, v0
                                        ; implicit-def: $vgpr33
	s_delay_alu instid0(VALU_DEP_1) | instskip(NEXT) | instid1(VALU_DEP_1)
	v_cmp_gt_u32_e64 s16, s33, v31
	s_and_saveexec_b32 s26, s16
	s_cbranch_execz .LBB956_34
; %bb.33:
	v_lshlrev_b32_e32 v21, 2, v31
	s_delay_alu instid0(VALU_DEP_1) | instskip(NEXT) | instid1(VALU_DEP_1)
	v_add_co_u32 v43, s27, s38, v21
	v_add_co_ci_u32_e64 v44, null, s37, 0, s27
	flat_load_b32 v33, v[43:44]
.LBB956_34:
	s_or_b32 exec_lo, exec_lo, s26
	v_mad_u32_u24 v21, v0, 56, v5
	s_waitcnt vmcnt(0) lgkmcnt(0)
	ds_store_2addr_stride64_b32 v5, v6, v7 offset1:4
	ds_store_2addr_stride64_b32 v5, v8, v9 offset0:8 offset1:12
	ds_store_2addr_stride64_b32 v5, v10, v11 offset0:16 offset1:20
	;; [unrolled: 1-line block ×6, first 2 shown]
	ds_store_b32 v5, v33 offset:14336
	s_waitcnt lgkmcnt(0)
	s_barrier
	buffer_gl0_inv
	ds_load_2addr_b32 v[18:19], v21 offset1:1
	ds_load_2addr_b32 v[16:17], v21 offset0:2 offset1:3
	ds_load_2addr_b32 v[14:15], v21 offset0:4 offset1:5
	;; [unrolled: 1-line block ×6, first 2 shown]
	ds_load_b32 v52, v21 offset:56
	s_waitcnt lgkmcnt(0)
	s_barrier
	buffer_gl0_inv
                                        ; implicit-def: $vgpr33
	s_and_saveexec_b32 s26, vcc_lo
	s_cbranch_execz .LBB956_48
; %bb.35:
	v_lshlrev_b32_e32 v33, 1, v0
	s_delay_alu instid0(VALU_DEP_1) | instskip(NEXT) | instid1(VALU_DEP_1)
	v_add_co_u32 v43, s27, s24, v33
	v_add_co_ci_u32_e64 v44, null, s25, 0, s27
	flat_load_u16 v33, v[43:44]
	s_or_b32 exec_lo, exec_lo, s26
                                        ; implicit-def: $vgpr35
	s_and_saveexec_b32 s26, s2
	s_cbranch_execnz .LBB956_49
.LBB956_36:
	s_or_b32 exec_lo, exec_lo, s26
                                        ; implicit-def: $vgpr37
	s_and_saveexec_b32 s2, s3
	s_cbranch_execz .LBB956_50
.LBB956_37:
	v_lshlrev_b32_e32 v37, 1, v0
	s_delay_alu instid0(VALU_DEP_1) | instskip(NEXT) | instid1(VALU_DEP_1)
	v_add_co_u32 v43, s3, s24, v37
	v_add_co_ci_u32_e64 v44, null, s25, 0, s3
	flat_load_u16 v37, v[43:44] offset:1024
	s_or_b32 exec_lo, exec_lo, s2
                                        ; implicit-def: $vgpr39
	s_and_saveexec_b32 s2, s4
	s_cbranch_execnz .LBB956_51
.LBB956_38:
	s_or_b32 exec_lo, exec_lo, s2
                                        ; implicit-def: $vgpr41
	s_and_saveexec_b32 s2, s5
	s_cbranch_execz .LBB956_52
.LBB956_39:
	v_lshlrev_b32_e32 v41, 1, v0
	s_delay_alu instid0(VALU_DEP_1) | instskip(NEXT) | instid1(VALU_DEP_1)
	v_add_co_u32 v43, s3, s24, v41
	v_add_co_ci_u32_e64 v44, null, s25, 0, s3
	flat_load_u16 v41, v[43:44] offset:2048
	s_or_b32 exec_lo, exec_lo, s2
                                        ; implicit-def: $vgpr43
	s_and_saveexec_b32 s2, s6
	s_cbranch_execnz .LBB956_53
.LBB956_40:
	s_or_b32 exec_lo, exec_lo, s2
                                        ; implicit-def: $vgpr44
	s_and_saveexec_b32 s2, s7
	s_cbranch_execz .LBB956_54
.LBB956_41:
	v_lshlrev_b32_e32 v44, 1, v0
	s_delay_alu instid0(VALU_DEP_1) | instskip(NEXT) | instid1(VALU_DEP_1)
	v_add_co_u32 v44, s3, s24, v44
	v_add_co_ci_u32_e64 v45, null, s25, 0, s3
	flat_load_u16 v44, v[44:45] offset:3072
	s_or_b32 exec_lo, exec_lo, s2
                                        ; implicit-def: $vgpr45
	s_and_saveexec_b32 s2, s8
	s_cbranch_execnz .LBB956_55
.LBB956_42:
	s_or_b32 exec_lo, exec_lo, s2
                                        ; implicit-def: $vgpr46
	s_and_saveexec_b32 s2, s9
	s_cbranch_execz .LBB956_56
.LBB956_43:
	v_lshlrev_b32_e32 v2, 1, v2
	s_delay_alu instid0(VALU_DEP_1) | instskip(NEXT) | instid1(VALU_DEP_1)
	v_add_co_u32 v46, s3, s24, v2
	v_add_co_ci_u32_e64 v47, null, s25, 0, s3
	flat_load_u16 v46, v[46:47]
	s_or_b32 exec_lo, exec_lo, s2
                                        ; implicit-def: $vgpr55
	s_and_saveexec_b32 s2, s10
	s_cbranch_execnz .LBB956_57
.LBB956_44:
	s_or_b32 exec_lo, exec_lo, s2
                                        ; implicit-def: $vgpr56
	s_and_saveexec_b32 s2, s11
	s_cbranch_execz .LBB956_58
.LBB956_45:
	v_lshlrev_b32_e32 v2, 1, v23
	s_delay_alu instid0(VALU_DEP_1) | instskip(NEXT) | instid1(VALU_DEP_1)
	v_add_co_u32 v47, s3, s24, v2
	v_add_co_ci_u32_e64 v48, null, s25, 0, s3
	flat_load_u16 v56, v[47:48]
	s_or_b32 exec_lo, exec_lo, s2
                                        ; implicit-def: $vgpr57
	s_and_saveexec_b32 s2, s12
	s_cbranch_execnz .LBB956_59
.LBB956_46:
	s_or_b32 exec_lo, exec_lo, s2
                                        ; implicit-def: $vgpr58
	s_and_saveexec_b32 s2, s13
	s_cbranch_execz .LBB956_60
.LBB956_47:
	v_lshlrev_b32_e32 v2, 1, v27
	s_delay_alu instid0(VALU_DEP_1) | instskip(NEXT) | instid1(VALU_DEP_1)
	v_add_co_u32 v47, s3, s24, v2
	v_add_co_ci_u32_e64 v48, null, s25, 0, s3
	flat_load_u16 v58, v[47:48]
	s_or_b32 exec_lo, exec_lo, s2
                                        ; implicit-def: $vgpr59
	s_and_saveexec_b32 s2, s14
	s_cbranch_execz .LBB956_62
	s_branch .LBB956_61
.LBB956_48:
	s_or_b32 exec_lo, exec_lo, s26
                                        ; implicit-def: $vgpr35
	s_and_saveexec_b32 s26, s2
	s_cbranch_execz .LBB956_36
.LBB956_49:
	v_lshlrev_b32_e32 v35, 1, v0
	s_delay_alu instid0(VALU_DEP_1) | instskip(NEXT) | instid1(VALU_DEP_1)
	v_add_co_u32 v43, s2, s24, v35
	v_add_co_ci_u32_e64 v44, null, s25, 0, s2
	flat_load_u16 v35, v[43:44] offset:512
	s_or_b32 exec_lo, exec_lo, s26
                                        ; implicit-def: $vgpr37
	s_and_saveexec_b32 s2, s3
	s_cbranch_execnz .LBB956_37
.LBB956_50:
	s_or_b32 exec_lo, exec_lo, s2
                                        ; implicit-def: $vgpr39
	s_and_saveexec_b32 s2, s4
	s_cbranch_execz .LBB956_38
.LBB956_51:
	v_lshlrev_b32_e32 v39, 1, v0
	s_delay_alu instid0(VALU_DEP_1) | instskip(NEXT) | instid1(VALU_DEP_1)
	v_add_co_u32 v43, s3, s24, v39
	v_add_co_ci_u32_e64 v44, null, s25, 0, s3
	flat_load_u16 v39, v[43:44] offset:1536
	s_or_b32 exec_lo, exec_lo, s2
                                        ; implicit-def: $vgpr41
	s_and_saveexec_b32 s2, s5
	s_cbranch_execnz .LBB956_39
.LBB956_52:
	s_or_b32 exec_lo, exec_lo, s2
                                        ; implicit-def: $vgpr43
	s_and_saveexec_b32 s2, s6
	s_cbranch_execz .LBB956_40
.LBB956_53:
	v_lshlrev_b32_e32 v43, 1, v0
	s_delay_alu instid0(VALU_DEP_1) | instskip(NEXT) | instid1(VALU_DEP_1)
	v_add_co_u32 v43, s3, s24, v43
	v_add_co_ci_u32_e64 v44, null, s25, 0, s3
	flat_load_u16 v43, v[43:44] offset:2560
	s_or_b32 exec_lo, exec_lo, s2
                                        ; implicit-def: $vgpr44
	s_and_saveexec_b32 s2, s7
	s_cbranch_execnz .LBB956_41
.LBB956_54:
	s_or_b32 exec_lo, exec_lo, s2
                                        ; implicit-def: $vgpr45
	s_and_saveexec_b32 s2, s8
	s_cbranch_execz .LBB956_42
.LBB956_55:
	v_lshlrev_b32_e32 v45, 1, v0
	s_delay_alu instid0(VALU_DEP_1) | instskip(NEXT) | instid1(VALU_DEP_1)
	v_add_co_u32 v45, s3, s24, v45
	v_add_co_ci_u32_e64 v46, null, s25, 0, s3
	flat_load_u16 v45, v[45:46] offset:3584
	s_or_b32 exec_lo, exec_lo, s2
                                        ; implicit-def: $vgpr46
	s_and_saveexec_b32 s2, s9
	s_cbranch_execnz .LBB956_43
.LBB956_56:
	s_or_b32 exec_lo, exec_lo, s2
                                        ; implicit-def: $vgpr55
	s_and_saveexec_b32 s2, s10
	s_cbranch_execz .LBB956_44
.LBB956_57:
	v_lshlrev_b32_e32 v2, 1, v4
	s_delay_alu instid0(VALU_DEP_1) | instskip(NEXT) | instid1(VALU_DEP_1)
	v_add_co_u32 v47, s3, s24, v2
	v_add_co_ci_u32_e64 v48, null, s25, 0, s3
	flat_load_u16 v55, v[47:48]
	s_or_b32 exec_lo, exec_lo, s2
                                        ; implicit-def: $vgpr56
	s_and_saveexec_b32 s2, s11
	s_cbranch_execnz .LBB956_45
.LBB956_58:
	s_or_b32 exec_lo, exec_lo, s2
                                        ; implicit-def: $vgpr57
	s_and_saveexec_b32 s2, s12
	s_cbranch_execz .LBB956_46
.LBB956_59:
	v_lshlrev_b32_e32 v2, 1, v25
	s_delay_alu instid0(VALU_DEP_1) | instskip(NEXT) | instid1(VALU_DEP_1)
	v_add_co_u32 v47, s3, s24, v2
	v_add_co_ci_u32_e64 v48, null, s25, 0, s3
	flat_load_u16 v57, v[47:48]
	s_or_b32 exec_lo, exec_lo, s2
                                        ; implicit-def: $vgpr58
	s_and_saveexec_b32 s2, s13
	s_cbranch_execnz .LBB956_47
.LBB956_60:
	s_or_b32 exec_lo, exec_lo, s2
                                        ; implicit-def: $vgpr59
	s_and_saveexec_b32 s2, s14
	s_cbranch_execz .LBB956_62
.LBB956_61:
	v_lshlrev_b32_e32 v2, 1, v29
	s_delay_alu instid0(VALU_DEP_1) | instskip(NEXT) | instid1(VALU_DEP_1)
	v_add_co_u32 v47, s3, s24, v2
	v_add_co_ci_u32_e64 v48, null, s25, 0, s3
	flat_load_u16 v59, v[47:48]
.LBB956_62:
	s_or_b32 exec_lo, exec_lo, s2
	v_mul_u32_u24_e32 v2, 15, v0
                                        ; implicit-def: $vgpr60
	s_and_saveexec_b32 s2, s16
	s_cbranch_execz .LBB956_64
; %bb.63:
	v_lshlrev_b32_e32 v4, 1, v31
	s_delay_alu instid0(VALU_DEP_1) | instskip(NEXT) | instid1(VALU_DEP_1)
	v_add_co_u32 v47, s3, s24, v4
	v_add_co_ci_u32_e64 v48, null, s25, 0, s3
	flat_load_u16 v60, v[47:48]
.LBB956_64:
	s_or_b32 exec_lo, exec_lo, s2
	s_delay_alu instid0(VALU_DEP_1)
	v_add_nc_u32_e32 v54, 1, v2
	v_add_nc_u32_e32 v53, 2, v2
	;; [unrolled: 1-line block ×10, first 2 shown]
	v_mad_i32_i24 v61, 0xffffffc6, v0, v21
	v_add_nc_u32_e32 v31, 11, v2
	v_add_nc_u32_e32 v29, 12, v2
	;; [unrolled: 1-line block ×4, first 2 shown]
	s_waitcnt vmcnt(0) lgkmcnt(0)
	ds_store_b16 v61, v33
	ds_store_b16 v61, v35 offset:512
	ds_store_b16 v61, v37 offset:1024
	;; [unrolled: 1-line block ×14, first 2 shown]
	s_waitcnt lgkmcnt(0)
	s_barrier
.LBB956_65:
	v_lshlrev_b32_e32 v2, 1, v2
	v_lshlrev_b32_e32 v33, 1, v54
	;; [unrolled: 1-line block ×5, first 2 shown]
	buffer_gl0_inv
	v_lshlrev_b32_e32 v41, 1, v49
	v_lshlrev_b32_e32 v43, 1, v48
	;; [unrolled: 1-line block ×3, first 2 shown]
	ds_load_u16 v80, v2
	ds_load_u16 v79, v33
	;; [unrolled: 1-line block ×8, first 2 shown]
	v_lshlrev_b32_e32 v2, 1, v27
	v_lshlrev_b32_e32 v25, 1, v25
	;; [unrolled: 1-line block ×7, first 2 shown]
	ds_load_u16 v74, v2
	ds_load_u16 v72, v25
	;; [unrolled: 1-line block ×7, first 2 shown]
	s_load_b128 s[24:27], s[0:1], 0x28
	s_cmp_eq_u64 s[34:35], 0
	s_waitcnt lgkmcnt(0)
	s_cselect_b32 s36, -1, 0
	s_cmp_lg_u64 s[34:35], 0
	s_barrier
	s_cselect_b32 s14, -1, 0
	s_and_b32 vcc_lo, exec_lo, s39
	buffer_gl0_inv
	s_cbranch_vccz .LBB956_71
; %bb.66:
	s_and_b32 vcc_lo, exec_lo, s14
	s_cbranch_vccz .LBB956_131
; %bb.67:
	v_add_co_u32 v43, s0, -4, s38
	s_delay_alu instid0(VALU_DEP_1)
	v_add_co_ci_u32_e64 v44, null, -1, s37, s0
	v_cmp_ne_u32_e32 vcc_lo, v7, v52
	v_cmp_ne_u32_e64 s0, v6, v7
	v_cmp_ne_u32_e64 s1, v9, v6
	flat_load_b32 v2, v[43:44]
	v_cmp_ne_u32_e64 s2, v8, v9
	v_cmp_ne_u32_e64 s3, v11, v8
	;; [unrolled: 1-line block ×11, first 2 shown]
	s_mov_b32 s39, -1
	s_mov_b32 s16, 0
	s_mov_b32 s40, exec_lo
	ds_store_b32 v5, v52
	s_waitcnt vmcnt(0) lgkmcnt(0)
	s_barrier
	buffer_gl0_inv
	v_cmpx_ne_u32_e32 0, v0
	s_cbranch_execz .LBB956_69
; %bb.68:
	v_add_nc_u32_e32 v2, -4, v5
	ds_load_b32 v2, v2
.LBB956_69:
	s_or_b32 exec_lo, exec_lo, s40
	v_cndmask_b32_e64 v59, 0, 1, vcc_lo
	v_cndmask_b32_e64 v53, 0, 1, s0
	v_cndmask_b32_e64 v54, 0, 1, s1
	;; [unrolled: 1-line block ×13, first 2 shown]
	s_waitcnt lgkmcnt(0)
	v_cmp_ne_u32_e64 s0, v2, v18
	s_and_b32 vcc_lo, exec_lo, s16
	s_cbranch_vccnz .LBB956_132
.LBB956_70:
                                        ; implicit-def: $sgpr1
	s_branch .LBB956_72
.LBB956_71:
	s_mov_b32 s39, 0
                                        ; implicit-def: $sgpr0
                                        ; implicit-def: $vgpr59
                                        ; implicit-def: $vgpr53
                                        ; implicit-def: $vgpr54
                                        ; implicit-def: $vgpr55
                                        ; implicit-def: $vgpr56
                                        ; implicit-def: $vgpr57
                                        ; implicit-def: $vgpr58
                                        ; implicit-def: $vgpr60
                                        ; implicit-def: $vgpr61
                                        ; implicit-def: $vgpr62
                                        ; implicit-def: $vgpr63
                                        ; implicit-def: $vgpr64
                                        ; implicit-def: $vgpr65
                                        ; implicit-def: $vgpr66
                                        ; implicit-def: $sgpr1
	s_cbranch_execnz .LBB956_135
.LBB956_72:
	v_mov_b32_e32 v83, s1
	s_and_saveexec_b32 s1, s39
.LBB956_73:
	v_cndmask_b32_e64 v83, 0, 1, s0
.LBB956_74:
	s_or_b32 exec_lo, exec_lo, s1
	s_delay_alu instid0(VALU_DEP_1)
	v_add3_u32 v1, v66, v83, v65
	v_cmp_eq_u32_e64 s12, 0, v66
	v_cmp_eq_u32_e64 s11, 0, v65
	v_cmp_eq_u32_e64 s10, 0, v64
	v_cmp_eq_u32_e64 s9, 0, v63
	v_add3_u32 v87, v1, v64, v63
	v_cmp_eq_u32_e64 s8, 0, v62
	v_cmp_eq_u32_e64 s7, 0, v61
	;; [unrolled: 1-line block ×9, first 2 shown]
	v_cmp_eq_u32_e32 vcc_lo, 0, v59
	v_mbcnt_lo_u32_b32 v84, -1, 0
	v_lshrrev_b32_e32 v85, 5, v0
	v_or_b32_e32 v86, 31, v0
	s_cmp_eq_u64 s[22:23], 0
	s_cselect_b32 s16, -1, 0
	s_cmp_lg_u32 s15, 0
	s_cbranch_scc0 .LBB956_100
; %bb.75:
	v_cndmask_b32_e64 v1, 0, v80, s12
	v_add3_u32 v2, v87, v62, v61
	v_and_b32_e32 v5, 15, v84
	s_delay_alu instid0(VALU_DEP_3) | instskip(NEXT) | instid1(VALU_DEP_3)
	v_add_nc_u16 v1, v1, v79
	v_add3_u32 v2, v2, v60, v58
	s_delay_alu instid0(VALU_DEP_2) | instskip(NEXT) | instid1(VALU_DEP_2)
	v_cndmask_b32_e64 v1, 0, v1, s11
	v_add3_u32 v2, v2, v57, v56
	s_delay_alu instid0(VALU_DEP_2) | instskip(NEXT) | instid1(VALU_DEP_2)
	v_add_nc_u16 v1, v1, v78
	v_add3_u32 v2, v2, v55, v54
	s_delay_alu instid0(VALU_DEP_2) | instskip(NEXT) | instid1(VALU_DEP_2)
	v_cndmask_b32_e64 v1, 0, v1, s10
	v_add3_u32 v2, v2, v53, v59
	s_delay_alu instid0(VALU_DEP_2) | instskip(NEXT) | instid1(VALU_DEP_2)
	v_add_nc_u16 v1, v1, v77
	v_mov_b32_dpp v20, v2 row_shr:1 row_mask:0xf bank_mask:0xf
	s_delay_alu instid0(VALU_DEP_2) | instskip(NEXT) | instid1(VALU_DEP_1)
	v_cndmask_b32_e64 v1, 0, v1, s9
	v_add_nc_u16 v1, v1, v76
	s_delay_alu instid0(VALU_DEP_1) | instskip(NEXT) | instid1(VALU_DEP_1)
	v_cndmask_b32_e64 v1, 0, v1, s8
	v_add_nc_u16 v1, v1, v75
	s_delay_alu instid0(VALU_DEP_1) | instskip(NEXT) | instid1(VALU_DEP_1)
	v_cndmask_b32_e64 v1, 0, v1, s7
	v_add_nc_u16 v1, v1, v73
	s_delay_alu instid0(VALU_DEP_1) | instskip(NEXT) | instid1(VALU_DEP_1)
	v_cndmask_b32_e64 v1, 0, v1, s6
	v_add_nc_u16 v1, v1, v71
	s_delay_alu instid0(VALU_DEP_1) | instskip(NEXT) | instid1(VALU_DEP_1)
	v_cndmask_b32_e64 v1, 0, v1, s5
	v_add_nc_u16 v1, v1, v74
	s_delay_alu instid0(VALU_DEP_1) | instskip(NEXT) | instid1(VALU_DEP_1)
	v_cndmask_b32_e64 v1, 0, v1, s4
	v_add_nc_u16 v1, v1, v72
	s_delay_alu instid0(VALU_DEP_1) | instskip(NEXT) | instid1(VALU_DEP_1)
	v_cndmask_b32_e64 v1, 0, v1, s3
	v_add_nc_u16 v1, v1, v70
	s_delay_alu instid0(VALU_DEP_1) | instskip(NEXT) | instid1(VALU_DEP_1)
	v_cndmask_b32_e64 v1, 0, v1, s2
	v_add_nc_u16 v1, v1, v69
	s_delay_alu instid0(VALU_DEP_1) | instskip(NEXT) | instid1(VALU_DEP_1)
	v_cndmask_b32_e64 v1, 0, v1, s1
	v_add_nc_u16 v1, v1, v68
	s_delay_alu instid0(VALU_DEP_1) | instskip(NEXT) | instid1(VALU_DEP_1)
	v_cndmask_b32_e64 v1, 0, v1, s0
	v_add_nc_u16 v1, v1, v67
	s_delay_alu instid0(VALU_DEP_1) | instskip(SKIP_1) | instid1(VALU_DEP_2)
	v_cndmask_b32_e32 v1, 0, v1, vcc_lo
	v_cmp_eq_u32_e32 vcc_lo, 0, v2
	v_add_nc_u16 v1, v1, v81
	s_delay_alu instid0(VALU_DEP_1) | instskip(NEXT) | instid1(VALU_DEP_1)
	v_and_b32_e32 v3, 0xffff, v1
	v_mov_b32_dpp v4, v3 row_shr:1 row_mask:0xf bank_mask:0xf
	s_delay_alu instid0(VALU_DEP_1) | instskip(SKIP_1) | instid1(VALU_DEP_2)
	v_cndmask_b32_e32 v4, 0, v4, vcc_lo
	v_cmp_eq_u32_e32 vcc_lo, 0, v5
	v_add_nc_u16 v4, v4, v1
	v_cndmask_b32_e64 v20, v20, 0, vcc_lo
	s_delay_alu instid0(VALU_DEP_2) | instskip(SKIP_1) | instid1(VALU_DEP_2)
	v_and_b32_e32 v21, 0xffff, v4
	v_cndmask_b32_e32 v1, v4, v1, vcc_lo
	v_dual_cndmask_b32 v3, v21, v3 :: v_dual_add_nc_u32 v2, v20, v2
	s_delay_alu instid0(VALU_DEP_1) | instskip(NEXT) | instid1(VALU_DEP_2)
	v_cmp_eq_u32_e32 vcc_lo, 0, v2
	v_mov_b32_dpp v20, v3 row_shr:2 row_mask:0xf bank_mask:0xf
	s_delay_alu instid0(VALU_DEP_1) | instskip(SKIP_2) | instid1(VALU_DEP_3)
	v_cndmask_b32_e32 v4, 0, v20, vcc_lo
	v_mov_b32_dpp v20, v2 row_shr:2 row_mask:0xf bank_mask:0xf
	v_cmp_lt_u32_e32 vcc_lo, 1, v5
	v_add_nc_u16 v4, v4, v1
	s_delay_alu instid0(VALU_DEP_1) | instskip(SKIP_1) | instid1(VALU_DEP_2)
	v_and_b32_e32 v21, 0xffff, v4
	v_cndmask_b32_e32 v1, v1, v4, vcc_lo
	v_dual_cndmask_b32 v4, 0, v20 :: v_dual_cndmask_b32 v3, v3, v21
	s_delay_alu instid0(VALU_DEP_1) | instskip(NEXT) | instid1(VALU_DEP_2)
	v_add_nc_u32_e32 v2, v2, v4
	v_mov_b32_dpp v4, v3 row_shr:4 row_mask:0xf bank_mask:0xf
	s_delay_alu instid0(VALU_DEP_2) | instskip(SKIP_1) | instid1(VALU_DEP_3)
	v_cmp_eq_u32_e32 vcc_lo, 0, v2
	v_mov_b32_dpp v20, v2 row_shr:4 row_mask:0xf bank_mask:0xf
	v_cndmask_b32_e32 v4, 0, v4, vcc_lo
	v_cmp_lt_u32_e32 vcc_lo, 3, v5
	s_delay_alu instid0(VALU_DEP_2) | instskip(NEXT) | instid1(VALU_DEP_1)
	v_add_nc_u16 v4, v4, v1
	v_and_b32_e32 v21, 0xffff, v4
	v_cndmask_b32_e32 v1, v1, v4, vcc_lo
	s_delay_alu instid0(VALU_DEP_2) | instskip(NEXT) | instid1(VALU_DEP_1)
	v_dual_cndmask_b32 v4, 0, v20 :: v_dual_cndmask_b32 v3, v3, v21
	v_add_nc_u32_e32 v2, v4, v2
	s_delay_alu instid0(VALU_DEP_2) | instskip(NEXT) | instid1(VALU_DEP_2)
	v_mov_b32_dpp v4, v3 row_shr:8 row_mask:0xf bank_mask:0xf
	v_cmp_eq_u32_e32 vcc_lo, 0, v2
	v_mov_b32_dpp v20, v2 row_shr:8 row_mask:0xf bank_mask:0xf
	s_delay_alu instid0(VALU_DEP_3) | instskip(SKIP_1) | instid1(VALU_DEP_2)
	v_cndmask_b32_e32 v4, 0, v4, vcc_lo
	v_cmp_lt_u32_e32 vcc_lo, 7, v5
	v_add_nc_u16 v4, v4, v1
	s_delay_alu instid0(VALU_DEP_4) | instskip(SKIP_1) | instid1(VALU_DEP_3)
	v_cndmask_b32_e32 v5, 0, v20, vcc_lo
	v_bfe_i32 v20, v84, 4, 1
	v_cndmask_b32_e32 v1, v1, v4, vcc_lo
	v_and_b32_e32 v4, 0xffff, v4
	s_delay_alu instid0(VALU_DEP_4) | instskip(SKIP_1) | instid1(VALU_DEP_3)
	v_add_nc_u32_e32 v2, v5, v2
	v_and_b32_e32 v5, 16, v84
	v_cndmask_b32_e32 v3, v3, v4, vcc_lo
	ds_swizzle_b32 v4, v2 offset:swizzle(BROADCAST,32,15)
	v_cmp_ne_u32_e32 vcc_lo, 0, v5
	v_cmp_eq_u32_e64 s13, 0, v2
	ds_swizzle_b32 v3, v3 offset:swizzle(BROADCAST,32,15)
	s_and_b32 vcc_lo, vcc_lo, s13
	s_mov_b32 s13, exec_lo
	s_waitcnt lgkmcnt(0)
	v_dual_cndmask_b32 v3, 0, v3 :: v_dual_and_b32 v4, v20, v4
	s_delay_alu instid0(VALU_DEP_1) | instskip(NEXT) | instid1(VALU_DEP_2)
	v_add_nc_u32_e32 v2, v4, v2
	v_add_nc_u16 v1, v3, v1
	v_lshlrev_b32_e32 v3, 3, v85
	v_cmpx_eq_u32_e64 v86, v0
	s_cbranch_execz .LBB956_77
; %bb.76:
	ds_store_b32 v3, v2 offset:2064
	ds_store_b16 v3, v1 offset:2068
.LBB956_77:
	s_or_b32 exec_lo, exec_lo, s13
	s_delay_alu instid0(SALU_CYCLE_1)
	s_mov_b32 s14, exec_lo
	s_waitcnt lgkmcnt(0)
	s_barrier
	buffer_gl0_inv
	v_cmpx_gt_u32_e32 8, v0
	s_cbranch_execz .LBB956_79
; %bb.78:
	v_lshlrev_b32_e32 v20, 3, v0
	ds_load_b64 v[4:5], v20 offset:2064
	s_waitcnt lgkmcnt(0)
	v_mov_b32_dpp v21, v5 row_shr:1 row_mask:0xf bank_mask:0xf
	v_cmp_eq_u32_e32 vcc_lo, 0, v4
	v_and_b32_e32 v22, 0xffff0000, v5
	v_mov_b32_dpp v25, v4 row_shr:1 row_mask:0xf bank_mask:0xf
	s_delay_alu instid0(VALU_DEP_4) | instskip(NEXT) | instid1(VALU_DEP_1)
	v_cndmask_b32_e32 v21, 0, v21, vcc_lo
	v_add_nc_u16 v21, v21, v5
	s_delay_alu instid0(VALU_DEP_1) | instskip(NEXT) | instid1(VALU_DEP_1)
	v_and_b32_e32 v23, 0xffff, v21
	v_or_b32_e32 v23, v22, v23
	v_and_b32_e32 v24, 7, v84
	s_delay_alu instid0(VALU_DEP_1) | instskip(NEXT) | instid1(VALU_DEP_3)
	v_cmp_eq_u32_e32 vcc_lo, 0, v24
	v_cndmask_b32_e32 v23, v23, v5, vcc_lo
	v_cndmask_b32_e64 v25, v25, 0, vcc_lo
	v_cndmask_b32_e32 v5, v21, v5, vcc_lo
	v_cmp_lt_u32_e64 s13, 3, v24
	s_delay_alu instid0(VALU_DEP_3) | instskip(SKIP_1) | instid1(VALU_DEP_2)
	v_add_nc_u32_e32 v4, v25, v4
	v_mov_b32_dpp v25, v23 row_shr:2 row_mask:0xf bank_mask:0xf
	v_cmp_eq_u32_e32 vcc_lo, 0, v4
	s_delay_alu instid0(VALU_DEP_2) | instskip(SKIP_2) | instid1(VALU_DEP_3)
	v_cndmask_b32_e32 v21, 0, v25, vcc_lo
	v_mov_b32_dpp v25, v4 row_shr:2 row_mask:0xf bank_mask:0xf
	v_cmp_lt_u32_e32 vcc_lo, 1, v24
	v_add_nc_u16 v21, v21, v5
	s_delay_alu instid0(VALU_DEP_1) | instskip(SKIP_2) | instid1(VALU_DEP_3)
	v_and_b32_e32 v26, 0xffff, v21
	v_cndmask_b32_e32 v5, v5, v21, vcc_lo
	v_cndmask_b32_e32 v21, 0, v25, vcc_lo
	v_or_b32_e32 v22, v22, v26
	s_delay_alu instid0(VALU_DEP_1) | instskip(NEXT) | instid1(VALU_DEP_1)
	v_dual_cndmask_b32 v21, v23, v22 :: v_dual_add_nc_u32 v4, v21, v4
	v_cmp_eq_u32_e32 vcc_lo, 0, v4
	s_delay_alu instid0(VALU_DEP_2) | instskip(SKIP_1) | instid1(VALU_DEP_1)
	v_mov_b32_dpp v21, v21 row_shr:4 row_mask:0xf bank_mask:0xf
	s_and_b32 vcc_lo, s13, vcc_lo
	v_cndmask_b32_e32 v21, 0, v21, vcc_lo
	v_mov_b32_dpp v22, v4 row_shr:4 row_mask:0xf bank_mask:0xf
	s_delay_alu instid0(VALU_DEP_2) | instskip(NEXT) | instid1(VALU_DEP_2)
	v_add_nc_u16 v5, v5, v21
	v_cndmask_b32_e64 v22, 0, v22, s13
	s_delay_alu instid0(VALU_DEP_1)
	v_add_nc_u32_e32 v4, v22, v4
	ds_store_b32 v20, v4 offset:2064
	ds_store_b16 v20, v5 offset:2068
.LBB956_79:
	s_or_b32 exec_lo, exec_lo, s14
	v_cmp_gt_u32_e32 vcc_lo, 32, v0
	v_dual_mov_b32 v25, 0 :: v_dual_mov_b32 v24, 0
	s_mov_b32 s14, exec_lo
	s_waitcnt lgkmcnt(0)
	s_barrier
	buffer_gl0_inv
	v_cmpx_lt_u32_e32 31, v0
	s_cbranch_execz .LBB956_81
; %bb.80:
	ds_load_u16 v24, v3 offset:2060
	ds_load_b32 v25, v3 offset:2056
	v_cmp_eq_u32_e64 s13, 0, v2
	s_waitcnt lgkmcnt(1)
	s_delay_alu instid0(VALU_DEP_1) | instskip(SKIP_2) | instid1(VALU_DEP_2)
	v_cndmask_b32_e64 v3, 0, v24, s13
	s_waitcnt lgkmcnt(0)
	v_add_nc_u32_e32 v2, v25, v2
	v_add_nc_u16 v1, v3, v1
.LBB956_81:
	s_or_b32 exec_lo, exec_lo, s14
	v_add_nc_u32_e32 v3, -1, v84
	s_delay_alu instid0(VALU_DEP_2) | instskip(NEXT) | instid1(VALU_DEP_2)
	v_and_b32_e32 v1, 0xffff, v1
	v_cmp_gt_i32_e64 s13, 0, v3
	s_delay_alu instid0(VALU_DEP_1) | instskip(SKIP_1) | instid1(VALU_DEP_2)
	v_cndmask_b32_e64 v3, v3, v84, s13
	v_cmp_eq_u32_e64 s13, 0, v84
	v_lshlrev_b32_e32 v3, 2, v3
	ds_bpermute_b32 v26, v3, v2
	ds_bpermute_b32 v27, v3, v1
	s_and_saveexec_b32 s22, vcc_lo
	s_cbranch_execz .LBB956_99
; %bb.82:
	v_mov_b32_e32 v4, 0
	ds_load_b64 v[1:2], v4 offset:2120
	s_waitcnt lgkmcnt(0)
	v_readfirstlane_b32 s23, v2
	s_and_saveexec_b32 s14, s13
	s_cbranch_execz .LBB956_84
; %bb.83:
	s_add_i32 s28, s15, 32
	s_mov_b32 s29, 0
	v_mov_b32_e32 v3, 1
	s_lshl_b64 s[34:35], s[28:29], 4
	s_mov_b32 s38, s29
	s_add_u32 s34, s20, s34
	s_addc_u32 s35, s21, s35
	s_and_b32 s39, s23, 0xff000000
	s_and_b32 s41, s23, 0xff0000
	s_mov_b32 s40, s29
	v_dual_mov_b32 v20, s34 :: v_dual_mov_b32 v21, s35
	s_or_b64 s[38:39], s[40:41], s[38:39]
	s_and_b32 s41, s23, 0xff00
	s_delay_alu instid0(SALU_CYCLE_1) | instskip(SKIP_1) | instid1(SALU_CYCLE_1)
	s_or_b64 s[38:39], s[38:39], s[40:41]
	s_and_b32 s41, s23, 0xff
	s_or_b64 s[28:29], s[38:39], s[40:41]
	s_delay_alu instid0(SALU_CYCLE_1)
	v_mov_b32_e32 v2, s29
	;;#ASMSTART
	global_store_dwordx4 v[20:21], v[1:4] off	
s_waitcnt vmcnt(0)
	;;#ASMEND
.LBB956_84:
	s_or_b32 exec_lo, exec_lo, s14
	v_xad_u32 v20, v84, -1, s15
	s_mov_b32 s28, 0
	s_mov_b32 s14, exec_lo
	s_delay_alu instid0(VALU_DEP_1) | instskip(NEXT) | instid1(VALU_DEP_1)
	v_add_nc_u32_e32 v3, 32, v20
	v_lshlrev_b64 v[2:3], 4, v[3:4]
	s_delay_alu instid0(VALU_DEP_1) | instskip(NEXT) | instid1(VALU_DEP_2)
	v_add_co_u32 v21, vcc_lo, s20, v2
	v_add_co_ci_u32_e32 v22, vcc_lo, s21, v3, vcc_lo
	;;#ASMSTART
	global_load_dwordx4 v[2:5], v[21:22] off glc	
s_waitcnt vmcnt(0)
	;;#ASMEND
	v_and_b32_e32 v5, 0xffffff, v2
	v_and_b32_e32 v2, 0xff000000, v2
	;; [unrolled: 1-line block ×4, first 2 shown]
	s_delay_alu instid0(VALU_DEP_3) | instskip(SKIP_1) | instid1(VALU_DEP_3)
	v_or_b32_e32 v2, v5, v2
	v_and_b32_e32 v5, 0xff, v4
	v_or3_b32 v3, 0, v23, v3
	s_delay_alu instid0(VALU_DEP_3) | instskip(NEXT) | instid1(VALU_DEP_3)
	v_or3_b32 v2, v2, 0, 0
	v_cmpx_eq_u16_e32 0, v5
	s_cbranch_execz .LBB956_87
.LBB956_85:                             ; =>This Inner Loop Header: Depth=1
	;;#ASMSTART
	global_load_dwordx4 v[2:5], v[21:22] off glc	
s_waitcnt vmcnt(0)
	;;#ASMEND
	v_and_b32_e32 v5, 0xff, v4
	s_delay_alu instid0(VALU_DEP_1) | instskip(SKIP_1) | instid1(SALU_CYCLE_1)
	v_cmp_ne_u16_e32 vcc_lo, 0, v5
	s_or_b32 s28, vcc_lo, s28
	s_and_not1_b32 exec_lo, exec_lo, s28
	s_cbranch_execnz .LBB956_85
; %bb.86:
	s_or_b32 exec_lo, exec_lo, s28
	v_and_b32_e32 v3, 0xffff, v3
.LBB956_87:
	s_or_b32 exec_lo, exec_lo, s14
	v_cmp_ne_u32_e32 vcc_lo, 31, v84
	v_and_b32_e32 v21, 0xff, v4
	v_lshlrev_b32_e64 v29, v84, -1
	v_cmp_eq_u32_e64 s14, 0, v2
	v_add_nc_u32_e32 v37, 8, v84
	v_add_co_ci_u32_e32 v5, vcc_lo, 0, v84, vcc_lo
	v_cmp_eq_u16_e32 vcc_lo, 2, v21
	v_add_nc_u32_e32 v39, 16, v84
	v_and_or_b32 v21, vcc_lo, v29, 0x80000000
	v_cmp_gt_u32_e32 vcc_lo, 30, v84
	s_delay_alu instid0(VALU_DEP_2) | instskip(SKIP_1) | instid1(VALU_DEP_2)
	v_ctz_i32_b32_e32 v21, v21
	v_cndmask_b32_e64 v22, 0, 1, vcc_lo
	v_cmp_lt_u32_e32 vcc_lo, v84, v21
	v_lshlrev_b32_e32 v28, 2, v5
	ds_bpermute_b32 v5, v28, v3
	s_waitcnt lgkmcnt(0)
	v_cndmask_b32_e64 v5, 0, v5, s14
	s_delay_alu instid0(VALU_DEP_1) | instskip(SKIP_1) | instid1(VALU_DEP_2)
	v_add_nc_u16 v5, v5, v3
	v_lshlrev_b32_e32 v22, 1, v22
	v_and_b32_e32 v31, 0xffff, v5
	v_cndmask_b32_e32 v5, v3, v5, vcc_lo
	s_delay_alu instid0(VALU_DEP_3) | instskip(NEXT) | instid1(VALU_DEP_3)
	v_add_lshl_u32 v30, v22, v84, 2
	v_cndmask_b32_e32 v3, v3, v31, vcc_lo
	ds_bpermute_b32 v23, v28, v2
	v_add_nc_u32_e32 v31, 2, v84
	ds_bpermute_b32 v22, v30, v3
	s_waitcnt lgkmcnt(1)
	v_cndmask_b32_e32 v23, 0, v23, vcc_lo
	s_delay_alu instid0(VALU_DEP_1) | instskip(NEXT) | instid1(VALU_DEP_1)
	v_add_nc_u32_e32 v2, v23, v2
	v_cmp_eq_u32_e32 vcc_lo, 0, v2
	s_waitcnt lgkmcnt(0)
	v_cndmask_b32_e32 v22, 0, v22, vcc_lo
	v_cmp_gt_u32_e32 vcc_lo, 28, v84
	s_delay_alu instid0(VALU_DEP_2) | instskip(SKIP_2) | instid1(VALU_DEP_3)
	v_add_nc_u16 v22, v22, v5
	v_cndmask_b32_e64 v23, 0, 1, vcc_lo
	v_cmp_gt_u32_e32 vcc_lo, v31, v21
	v_and_b32_e32 v34, 0xffff, v22
	s_delay_alu instid0(VALU_DEP_3)
	v_lshlrev_b32_e32 v23, 2, v23
	v_cndmask_b32_e32 v5, v22, v5, vcc_lo
	ds_bpermute_b32 v33, v30, v2
	v_cndmask_b32_e32 v3, v34, v3, vcc_lo
	v_add_lshl_u32 v32, v23, v84, 2
	ds_bpermute_b32 v22, v32, v3
	s_waitcnt lgkmcnt(1)
	v_cndmask_b32_e64 v23, v33, 0, vcc_lo
	v_add_nc_u32_e32 v33, 4, v84
	s_delay_alu instid0(VALU_DEP_2) | instskip(NEXT) | instid1(VALU_DEP_1)
	v_add_nc_u32_e32 v2, v2, v23
	v_cmp_eq_u32_e32 vcc_lo, 0, v2
	ds_bpermute_b32 v34, v32, v2
	s_waitcnt lgkmcnt(1)
	v_cndmask_b32_e32 v22, 0, v22, vcc_lo
	v_cmp_gt_u32_e32 vcc_lo, 24, v84
	s_delay_alu instid0(VALU_DEP_2) | instskip(SKIP_2) | instid1(VALU_DEP_3)
	v_add_nc_u16 v22, v5, v22
	v_cndmask_b32_e64 v23, 0, 1, vcc_lo
	v_cmp_gt_u32_e32 vcc_lo, v33, v21
	v_and_b32_e32 v36, 0xffff, v22
	s_delay_alu instid0(VALU_DEP_3) | instskip(SKIP_1) | instid1(VALU_DEP_3)
	v_lshlrev_b32_e32 v23, 3, v23
	v_cndmask_b32_e32 v5, v22, v5, vcc_lo
	v_cndmask_b32_e32 v3, v36, v3, vcc_lo
	s_delay_alu instid0(VALU_DEP_3) | instskip(SKIP_4) | instid1(VALU_DEP_1)
	v_add_lshl_u32 v35, v23, v84, 2
	s_waitcnt lgkmcnt(0)
	v_cndmask_b32_e64 v23, v34, 0, vcc_lo
	ds_bpermute_b32 v22, v35, v3
	v_add_nc_u32_e32 v2, v2, v23
	v_cmp_eq_u32_e32 vcc_lo, 0, v2
	ds_bpermute_b32 v23, v35, v2
	s_waitcnt lgkmcnt(1)
	v_cndmask_b32_e32 v22, 0, v22, vcc_lo
	v_cmp_gt_u32_e32 vcc_lo, 16, v84
	v_cndmask_b32_e64 v34, 0, 1, vcc_lo
	v_cmp_gt_u32_e32 vcc_lo, v37, v21
	s_delay_alu instid0(VALU_DEP_2) | instskip(SKIP_1) | instid1(VALU_DEP_2)
	v_lshlrev_b32_e32 v34, 4, v34
	v_add_nc_u16 v22, v5, v22
	v_add_lshl_u32 v38, v34, v84, 2
	s_delay_alu instid0(VALU_DEP_2) | instskip(SKIP_2) | instid1(VALU_DEP_1)
	v_dual_cndmask_b32 v5, v22, v5 :: v_dual_and_b32 v36, 0xffff, v22
	s_waitcnt lgkmcnt(0)
	v_cndmask_b32_e64 v22, v23, 0, vcc_lo
	v_dual_cndmask_b32 v3, v36, v3 :: v_dual_add_nc_u32 v2, v2, v22
	ds_bpermute_b32 v3, v38, v3
	ds_bpermute_b32 v22, v38, v2
	v_cmp_eq_u32_e32 vcc_lo, 0, v2
	s_waitcnt lgkmcnt(1)
	v_cndmask_b32_e32 v3, 0, v3, vcc_lo
	v_cmp_gt_u32_e32 vcc_lo, v39, v21
	s_delay_alu instid0(VALU_DEP_2) | instskip(SKIP_2) | instid1(VALU_DEP_1)
	v_cndmask_b32_e64 v3, v3, 0, vcc_lo
	s_waitcnt lgkmcnt(0)
	v_cndmask_b32_e64 v21, v22, 0, vcc_lo
	v_add_nc_u32_e32 v2, v21, v2
	s_delay_alu instid0(VALU_DEP_3)
	v_add_nc_u16 v3, v5, v3
	v_mov_b32_e32 v21, 0
	s_branch .LBB956_89
.LBB956_88:                             ;   in Loop: Header=BB956_89 Depth=1
	s_or_b32 exec_lo, exec_lo, s14
	ds_bpermute_b32 v5, v28, v3
	v_cmp_eq_u32_e64 s14, 0, v2
	ds_bpermute_b32 v23, v28, v2
	v_subrev_nc_u32_e32 v20, 32, v20
	s_waitcnt lgkmcnt(1)
	v_cndmask_b32_e64 v5, 0, v5, s14
	s_delay_alu instid0(VALU_DEP_1) | instskip(SKIP_1) | instid1(VALU_DEP_1)
	v_add_nc_u16 v5, v5, v3
	v_and_b32_e32 v22, 0xff, v4
	v_cmp_eq_u16_e32 vcc_lo, 2, v22
	v_and_or_b32 v22, vcc_lo, v29, 0x80000000
	s_delay_alu instid0(VALU_DEP_1) | instskip(NEXT) | instid1(VALU_DEP_1)
	v_ctz_i32_b32_e32 v22, v22
	v_cmp_lt_u32_e32 vcc_lo, v84, v22
	s_waitcnt lgkmcnt(0)
	v_dual_cndmask_b32 v23, 0, v23 :: v_dual_and_b32 v40, 0xffff, v5
	v_cndmask_b32_e32 v5, v3, v5, vcc_lo
	s_delay_alu instid0(VALU_DEP_2) | instskip(SKIP_2) | instid1(VALU_DEP_1)
	v_cndmask_b32_e32 v3, v3, v40, vcc_lo
	ds_bpermute_b32 v40, v30, v3
	v_add_nc_u32_e32 v2, v23, v2
	v_cmp_eq_u32_e32 vcc_lo, 0, v2
	s_waitcnt lgkmcnt(0)
	v_cndmask_b32_e32 v23, 0, v40, vcc_lo
	ds_bpermute_b32 v40, v30, v2
	v_cmp_gt_u32_e32 vcc_lo, v31, v22
	v_add_nc_u16 v23, v23, v5
	s_delay_alu instid0(VALU_DEP_1) | instskip(SKIP_2) | instid1(VALU_DEP_1)
	v_and_b32_e32 v41, 0xffff, v23
	s_waitcnt lgkmcnt(0)
	v_cndmask_b32_e64 v40, v40, 0, vcc_lo
	v_dual_cndmask_b32 v5, v23, v5 :: v_dual_add_nc_u32 v2, v2, v40
	s_delay_alu instid0(VALU_DEP_3)
	v_cndmask_b32_e32 v3, v41, v3, vcc_lo
	ds_bpermute_b32 v40, v32, v2
	ds_bpermute_b32 v23, v32, v3
	v_cmp_eq_u32_e32 vcc_lo, 0, v2
	s_waitcnt lgkmcnt(0)
	v_cndmask_b32_e32 v23, 0, v23, vcc_lo
	v_cmp_gt_u32_e32 vcc_lo, v33, v22
	s_delay_alu instid0(VALU_DEP_2) | instskip(SKIP_1) | instid1(VALU_DEP_2)
	v_add_nc_u16 v23, v5, v23
	v_cndmask_b32_e64 v40, v40, 0, vcc_lo
	v_and_b32_e32 v41, 0xffff, v23
	s_delay_alu instid0(VALU_DEP_2) | instskip(NEXT) | instid1(VALU_DEP_2)
	v_dual_cndmask_b32 v5, v23, v5 :: v_dual_add_nc_u32 v2, v2, v40
	v_cndmask_b32_e32 v3, v41, v3, vcc_lo
	s_delay_alu instid0(VALU_DEP_2)
	v_cmp_eq_u32_e32 vcc_lo, 0, v2
	ds_bpermute_b32 v40, v35, v2
	ds_bpermute_b32 v23, v35, v3
	s_waitcnt lgkmcnt(0)
	v_cndmask_b32_e32 v23, 0, v23, vcc_lo
	v_cmp_gt_u32_e32 vcc_lo, v37, v22
	s_delay_alu instid0(VALU_DEP_2) | instskip(NEXT) | instid1(VALU_DEP_1)
	v_add_nc_u16 v23, v5, v23
	v_and_b32_e32 v41, 0xffff, v23
	v_cndmask_b32_e32 v5, v23, v5, vcc_lo
	v_cndmask_b32_e64 v23, v40, 0, vcc_lo
	s_delay_alu instid0(VALU_DEP_3) | instskip(NEXT) | instid1(VALU_DEP_2)
	v_cndmask_b32_e32 v3, v41, v3, vcc_lo
	v_add_nc_u32_e32 v2, v2, v23
	ds_bpermute_b32 v3, v38, v3
	ds_bpermute_b32 v23, v38, v2
	v_cmp_eq_u32_e32 vcc_lo, 0, v2
	s_waitcnt lgkmcnt(1)
	v_cndmask_b32_e32 v3, 0, v3, vcc_lo
	v_cmp_gt_u32_e32 vcc_lo, v39, v22
	s_delay_alu instid0(VALU_DEP_2) | instskip(NEXT) | instid1(VALU_DEP_1)
	v_cndmask_b32_e64 v3, v3, 0, vcc_lo
	v_add_nc_u16 v3, v5, v3
	s_waitcnt lgkmcnt(0)
	v_cndmask_b32_e64 v5, v23, 0, vcc_lo
	v_cmp_eq_u32_e32 vcc_lo, 0, v36
	s_delay_alu instid0(VALU_DEP_2) | instskip(SKIP_1) | instid1(VALU_DEP_1)
	v_add3_u32 v2, v2, v36, v5
	v_cndmask_b32_e32 v3, 0, v3, vcc_lo
	v_add_nc_u16 v3, v3, v34
.LBB956_89:                             ; =>This Loop Header: Depth=1
                                        ;     Child Loop BB956_92 Depth 2
	v_and_b32_e32 v4, 0xff, v4
	s_delay_alu instid0(VALU_DEP_2) | instskip(SKIP_1) | instid1(VALU_DEP_3)
	v_mov_b32_e32 v34, v3
	v_mov_b32_e32 v36, v2
	v_cmp_ne_u16_e32 vcc_lo, 2, v4
	v_cndmask_b32_e64 v4, 0, 1, vcc_lo
	;;#ASMSTART
	;;#ASMEND
	s_delay_alu instid0(VALU_DEP_1)
	v_cmp_ne_u32_e32 vcc_lo, 0, v4
	s_cmp_lg_u32 vcc_lo, exec_lo
	s_cbranch_scc1 .LBB956_94
; %bb.90:                               ;   in Loop: Header=BB956_89 Depth=1
	v_lshlrev_b64 v[2:3], 4, v[20:21]
	s_mov_b32 s14, exec_lo
	s_delay_alu instid0(VALU_DEP_1) | instskip(NEXT) | instid1(VALU_DEP_2)
	v_add_co_u32 v22, vcc_lo, s20, v2
	v_add_co_ci_u32_e32 v23, vcc_lo, s21, v3, vcc_lo
	;;#ASMSTART
	global_load_dwordx4 v[2:5], v[22:23] off glc	
s_waitcnt vmcnt(0)
	;;#ASMEND
	v_and_b32_e32 v5, 0xffffff, v2
	v_and_b32_e32 v2, 0xff000000, v2
	;; [unrolled: 1-line block ×4, first 2 shown]
	s_delay_alu instid0(VALU_DEP_3) | instskip(SKIP_1) | instid1(VALU_DEP_3)
	v_or_b32_e32 v2, v5, v2
	v_and_b32_e32 v5, 0xff, v4
	v_or3_b32 v3, 0, v40, v3
	s_delay_alu instid0(VALU_DEP_3) | instskip(NEXT) | instid1(VALU_DEP_3)
	v_or3_b32 v2, v2, 0, 0
	v_cmpx_eq_u16_e32 0, v5
	s_cbranch_execz .LBB956_88
; %bb.91:                               ;   in Loop: Header=BB956_89 Depth=1
	s_mov_b32 s28, 0
.LBB956_92:                             ;   Parent Loop BB956_89 Depth=1
                                        ; =>  This Inner Loop Header: Depth=2
	;;#ASMSTART
	global_load_dwordx4 v[2:5], v[22:23] off glc	
s_waitcnt vmcnt(0)
	;;#ASMEND
	v_and_b32_e32 v5, 0xff, v4
	s_delay_alu instid0(VALU_DEP_1) | instskip(SKIP_1) | instid1(SALU_CYCLE_1)
	v_cmp_ne_u16_e32 vcc_lo, 0, v5
	s_or_b32 s28, vcc_lo, s28
	s_and_not1_b32 exec_lo, exec_lo, s28
	s_cbranch_execnz .LBB956_92
; %bb.93:                               ;   in Loop: Header=BB956_89 Depth=1
	s_or_b32 exec_lo, exec_lo, s28
	v_and_b32_e32 v3, 0xffff, v3
	s_branch .LBB956_88
.LBB956_94:                             ;   in Loop: Header=BB956_89 Depth=1
                                        ; implicit-def: $vgpr3
                                        ; implicit-def: $vgpr2
                                        ; implicit-def: $vgpr4
	s_cbranch_execz .LBB956_89
; %bb.95:
	s_and_saveexec_b32 s14, s13
	s_cbranch_execz .LBB956_97
; %bb.96:
	v_cmp_eq_u32_e32 vcc_lo, 0, v1
	s_mov_b32 s29, 0
	s_add_i32 s28, s15, 32
	v_add_nc_u32_e64 v22, 0x800, 0
	s_lshl_b64 s[28:29], s[28:29], 4
	v_dual_cndmask_b32 v2, 0, v34 :: v_dual_mov_b32 v5, 0
	s_add_u32 s28, s20, s28
	s_addc_u32 s29, s21, s29
	v_mov_b32_e32 v4, 2
	s_delay_alu instid0(VALU_DEP_2) | instskip(SKIP_1) | instid1(VALU_DEP_2)
	v_add_nc_u16 v3, v2, s23
	v_dual_mov_b32 v23, s23 :: v_dual_add_nc_u32 v2, v36, v1
	v_and_b32_e32 v20, 0xff00, v3
	v_and_b32_e32 v3, 0xff, v3
	s_delay_alu instid0(VALU_DEP_1)
	v_or_b32_e32 v3, v20, v3
	v_dual_mov_b32 v20, s28 :: v_dual_mov_b32 v21, s29
	;;#ASMSTART
	global_store_dwordx4 v[20:21], v[2:5] off	
s_waitcnt vmcnt(0)
	;;#ASMEND
	ds_store_2addr_b32 v22, v1, v36 offset1:2
	ds_store_b16 v5, v23 offset:2052
	ds_store_b16 v5, v34 offset:2060
.LBB956_97:
	s_or_b32 exec_lo, exec_lo, s14
	v_cmp_eq_u32_e32 vcc_lo, 0, v0
	s_and_b32 exec_lo, exec_lo, vcc_lo
	s_cbranch_execz .LBB956_99
; %bb.98:
	v_mov_b32_e32 v1, 0
	ds_store_b32 v1, v36 offset:2120
	ds_store_b16 v1, v34 offset:2124
.LBB956_99:
	s_or_b32 exec_lo, exec_lo, s22
	s_waitcnt lgkmcnt(1)
	v_cndmask_b32_e64 v4, v26, v25, s13
	s_waitcnt lgkmcnt(0)
	s_barrier
	buffer_gl0_inv
	v_cndmask_b32_e64 v5, v27, v24, s13
	v_cmp_eq_u32_e32 vcc_lo, 0, v4
	v_mov_b32_e32 v3, 0
	v_cmp_eq_u32_e64 s13, 0, v83
	ds_load_b64 v[1:2], v3 offset:2120
	s_waitcnt lgkmcnt(0)
	s_barrier
	buffer_gl0_inv
	v_cndmask_b32_e32 v20, 0, v2, vcc_lo
	v_cmp_eq_u32_e32 vcc_lo, 0, v0
	s_delay_alu instid0(VALU_DEP_2) | instskip(NEXT) | instid1(VALU_DEP_1)
	v_add_nc_u16 v5, v20, v5
	v_cndmask_b32_e32 v20, v5, v2, vcc_lo
	s_delay_alu instid0(VALU_DEP_1) | instskip(NEXT) | instid1(VALU_DEP_1)
	v_cndmask_b32_e64 v2, 0, v20, s13
	v_add_nc_u16 v21, v2, v80
	s_delay_alu instid0(VALU_DEP_1) | instskip(SKIP_1) | instid1(VALU_DEP_2)
	v_cndmask_b32_e64 v2, 0, v21, s12
	v_and_b32_e32 v43, 0xffff, v21
	v_add_nc_u16 v22, v2, v79
	s_delay_alu instid0(VALU_DEP_1) | instskip(SKIP_1) | instid1(VALU_DEP_2)
	v_cndmask_b32_e64 v2, 0, v22, s11
	v_and_b32_e32 v45, 0xffff, v22
	;; [unrolled: 4-line block ×3, first 2 shown]
	v_add_nc_u16 v25, v2, v77
	s_delay_alu instid0(VALU_DEP_1) | instskip(NEXT) | instid1(VALU_DEP_1)
	v_cndmask_b32_e64 v2, 0, v25, s9
	v_add_nc_u16 v27, v2, v76
	s_delay_alu instid0(VALU_DEP_1) | instskip(NEXT) | instid1(VALU_DEP_1)
	v_cndmask_b32_e64 v2, 0, v27, s8
	v_add_nc_u16 v31, v2, v75
	v_cndmask_b32_e64 v2, v4, 0, vcc_lo
	s_delay_alu instid0(VALU_DEP_2) | instskip(NEXT) | instid1(VALU_DEP_2)
	v_cndmask_b32_e64 v4, 0, v31, s7
	v_add_nc_u32_e32 v48, v1, v2
	s_delay_alu instid0(VALU_DEP_2) | instskip(NEXT) | instid1(VALU_DEP_2)
	v_add_nc_u16 v1, v4, v73
	v_add_nc_u32_e32 v42, v48, v83
	s_delay_alu instid0(VALU_DEP_2) | instskip(NEXT) | instid1(VALU_DEP_2)
	v_cndmask_b32_e64 v2, 0, v1, s6
	v_add_nc_u32_e32 v44, v42, v66
	v_and_b32_e32 v47, 0xffff, v1
	s_delay_alu instid0(VALU_DEP_3) | instskip(NEXT) | instid1(VALU_DEP_3)
	v_add_nc_u16 v33, v2, v71
	v_add_nc_u32_e32 v40, v44, v65
	s_delay_alu instid0(VALU_DEP_2) | instskip(NEXT) | instid1(VALU_DEP_2)
	v_cndmask_b32_e64 v2, 0, v33, s5
	v_add_nc_u32_e32 v28, v40, v64
	v_and_b32_e32 v51, 0xffff, v33
	s_delay_alu instid0(VALU_DEP_3) | instskip(NEXT) | instid1(VALU_DEP_3)
	v_add_nc_u16 v35, v2, v74
	v_add_nc_u32_e32 v24, v28, v63
	s_delay_alu instid0(VALU_DEP_2) | instskip(NEXT) | instid1(VALU_DEP_2)
	v_cndmask_b32_e64 v2, 0, v35, s4
	v_add_nc_u32_e32 v26, v24, v62
	v_and_b32_e32 v39, 0xffff, v35
	s_delay_alu instid0(VALU_DEP_3) | instskip(SKIP_4) | instid1(VALU_DEP_3)
	v_add_nc_u16 v37, v2, v72
	ds_load_b128 v[2:5], v3 offset:2048
	v_add_nc_u32_e32 v46, v26, v61
	v_cndmask_b32_e64 v29, 0, v37, s3
	v_and_b32_e32 v37, 0xffff, v37
	v_add_nc_u32_e32 v50, v46, v60
	s_delay_alu instid0(VALU_DEP_3) | instskip(NEXT) | instid1(VALU_DEP_2)
	v_add_nc_u16 v82, v29, v70
	v_add_nc_u32_e32 v38, v50, v58
	s_delay_alu instid0(VALU_DEP_2) | instskip(NEXT) | instid1(VALU_DEP_2)
	v_cndmask_b32_e64 v29, 0, v82, s2
	v_add_nc_u32_e32 v36, v38, v57
	s_delay_alu instid0(VALU_DEP_2) | instskip(SKIP_2) | instid1(VALU_DEP_3)
	v_add_nc_u16 v88, v29, v69
	s_waitcnt lgkmcnt(0)
	v_cmp_eq_u32_e32 vcc_lo, 0, v2
	v_add_nc_u32_e32 v30, v36, v56
	v_and_b32_e32 v29, 0xffff, v25
	v_and_b32_e32 v25, 0xffff, v27
	;; [unrolled: 1-line block ×3, first 2 shown]
	v_cndmask_b32_e32 v5, 0, v5, vcc_lo
	v_and_b32_e32 v49, 0xffff, v20
	v_cndmask_b32_e64 v20, 0, v88, s1
	v_add_nc_u32_e32 v34, v30, v55
	v_and_b32_e32 v31, 0xffff, v82
	v_and_b32_e32 v35, 0xffff, v88
	v_add_nc_u32_e32 v82, v5, v3
	v_add_nc_u16 v20, v20, v68
	v_add_nc_u32_e32 v32, v34, v54
	s_delay_alu instid0(VALU_DEP_2) | instskip(NEXT) | instid1(VALU_DEP_2)
	v_cndmask_b32_e64 v21, 0, v20, s0
	v_add_nc_u32_e32 v22, v32, v53
	v_and_b32_e32 v33, 0xffff, v20
	s_delay_alu instid0(VALU_DEP_3) | instskip(NEXT) | instid1(VALU_DEP_1)
	v_add_nc_u16 v1, v21, v67
	v_and_b32_e32 v23, 0xffff, v1
	s_branch .LBB956_112
.LBB956_100:
                                        ; implicit-def: $vgpr2
                                        ; implicit-def: $vgpr82
                                        ; implicit-def: $vgpr48_vgpr49
                                        ; implicit-def: $vgpr42_vgpr43
                                        ; implicit-def: $vgpr44_vgpr45
                                        ; implicit-def: $vgpr40_vgpr41
                                        ; implicit-def: $vgpr28_vgpr29
                                        ; implicit-def: $vgpr24_vgpr25
                                        ; implicit-def: $vgpr26_vgpr27
                                        ; implicit-def: $vgpr46_vgpr47
                                        ; implicit-def: $vgpr50_vgpr51
                                        ; implicit-def: $vgpr38_vgpr39
                                        ; implicit-def: $vgpr36_vgpr37
                                        ; implicit-def: $vgpr30_vgpr31
                                        ; implicit-def: $vgpr34_vgpr35
                                        ; implicit-def: $vgpr32_vgpr33
                                        ; implicit-def: $vgpr22_vgpr23
	s_cbranch_execz .LBB956_112
; %bb.101:
	s_and_b32 s0, s16, exec_lo
	v_mov_b32_e32 v1, v80
	s_cselect_b32 s1, 0, s19
	s_cselect_b32 s0, 0, s18
	s_delay_alu instid0(SALU_CYCLE_1)
	s_cmp_eq_u64 s[0:1], 0
	s_cbranch_scc1 .LBB956_103
; %bb.102:
	v_mov_b32_e32 v1, 0
	global_load_u16 v1, v1, s[0:1]
.LBB956_103:
	v_cmp_eq_u32_e64 s11, 0, v66
	v_cmp_eq_u32_e64 s10, 0, v65
	;; [unrolled: 1-line block ×5, first 2 shown]
	v_cndmask_b32_e64 v2, 0, v80, s11
	v_cmp_eq_u32_e64 s7, 0, v61
	v_cmp_eq_u32_e64 s5, 0, v60
	;; [unrolled: 1-line block ×4, first 2 shown]
	v_add_nc_u16 v2, v2, v79
	v_cmp_eq_u32_e64 s2, 0, v56
	v_cmp_eq_u32_e64 s1, 0, v55
	v_add3_u32 v3, v87, v62, v61
	v_cmp_eq_u32_e64 s0, 0, v54
	v_cndmask_b32_e64 v2, 0, v2, s10
	v_cmp_eq_u32_e32 vcc_lo, 0, v53
	v_cmp_eq_u32_e64 s12, 0, v59
	v_add3_u32 v3, v3, v60, v58
	v_and_b32_e32 v20, 15, v84
	v_add_nc_u16 v2, v2, v78
	s_delay_alu instid0(VALU_DEP_3) | instskip(NEXT) | instid1(VALU_DEP_2)
	v_add3_u32 v3, v3, v57, v56
	v_cndmask_b32_e64 v2, 0, v2, s9
	s_delay_alu instid0(VALU_DEP_2) | instskip(NEXT) | instid1(VALU_DEP_2)
	v_add3_u32 v3, v3, v55, v54
	v_add_nc_u16 v2, v2, v77
	s_delay_alu instid0(VALU_DEP_2) | instskip(NEXT) | instid1(VALU_DEP_2)
	v_add3_u32 v3, v3, v53, v59
	v_cndmask_b32_e64 v2, 0, v2, s8
	s_delay_alu instid0(VALU_DEP_2) | instskip(NEXT) | instid1(VALU_DEP_2)
	v_mov_b32_dpp v21, v3 row_shr:1 row_mask:0xf bank_mask:0xf
	v_add_nc_u16 v2, v2, v76
	s_delay_alu instid0(VALU_DEP_1) | instskip(NEXT) | instid1(VALU_DEP_1)
	v_cndmask_b32_e64 v2, 0, v2, s6
	v_add_nc_u16 v2, v2, v75
	s_delay_alu instid0(VALU_DEP_1) | instskip(NEXT) | instid1(VALU_DEP_1)
	v_cndmask_b32_e64 v2, 0, v2, s7
	;; [unrolled: 3-line block ×8, first 2 shown]
	v_add_nc_u16 v2, v2, v68
	s_delay_alu instid0(VALU_DEP_1) | instskip(NEXT) | instid1(VALU_DEP_1)
	v_cndmask_b32_e32 v2, 0, v2, vcc_lo
	v_add_nc_u16 v2, v2, v67
	s_delay_alu instid0(VALU_DEP_1) | instskip(SKIP_1) | instid1(VALU_DEP_2)
	v_cndmask_b32_e64 v2, 0, v2, s12
	v_cmp_eq_u32_e64 s12, 0, v3
	v_add_nc_u16 v2, v2, v81
	s_delay_alu instid0(VALU_DEP_1) | instskip(NEXT) | instid1(VALU_DEP_1)
	v_and_b32_e32 v4, 0xffff, v2
	v_mov_b32_dpp v5, v4 row_shr:1 row_mask:0xf bank_mask:0xf
	s_delay_alu instid0(VALU_DEP_1) | instskip(SKIP_1) | instid1(VALU_DEP_2)
	v_cndmask_b32_e64 v5, 0, v5, s12
	v_cmp_eq_u32_e64 s12, 0, v20
	v_add_nc_u16 v5, v5, v2
	s_delay_alu instid0(VALU_DEP_2) | instskip(NEXT) | instid1(VALU_DEP_2)
	v_cndmask_b32_e64 v21, v21, 0, s12
	v_and_b32_e32 v22, 0xffff, v5
	s_delay_alu instid0(VALU_DEP_2) | instskip(SKIP_1) | instid1(VALU_DEP_3)
	v_add_nc_u32_e32 v3, v21, v3
	v_cndmask_b32_e64 v2, v5, v2, s12
	v_cndmask_b32_e64 v4, v22, v4, s12
	s_delay_alu instid0(VALU_DEP_3) | instskip(NEXT) | instid1(VALU_DEP_2)
	v_cmp_eq_u32_e64 s12, 0, v3
	v_mov_b32_dpp v21, v4 row_shr:2 row_mask:0xf bank_mask:0xf
	s_delay_alu instid0(VALU_DEP_1) | instskip(SKIP_2) | instid1(VALU_DEP_3)
	v_cndmask_b32_e64 v5, 0, v21, s12
	v_mov_b32_dpp v21, v3 row_shr:2 row_mask:0xf bank_mask:0xf
	v_cmp_lt_u32_e64 s12, 1, v20
	v_add_nc_u16 v5, v5, v2
	s_delay_alu instid0(VALU_DEP_1) | instskip(NEXT) | instid1(VALU_DEP_3)
	v_and_b32_e32 v22, 0xffff, v5
	v_cndmask_b32_e64 v2, v2, v5, s12
	v_cndmask_b32_e64 v5, 0, v21, s12
	s_delay_alu instid0(VALU_DEP_3) | instskip(NEXT) | instid1(VALU_DEP_2)
	v_cndmask_b32_e64 v4, v4, v22, s12
	v_add_nc_u32_e32 v3, v3, v5
	s_delay_alu instid0(VALU_DEP_2) | instskip(NEXT) | instid1(VALU_DEP_2)
	v_mov_b32_dpp v5, v4 row_shr:4 row_mask:0xf bank_mask:0xf
	v_cmp_eq_u32_e64 s12, 0, v3
	v_mov_b32_dpp v21, v3 row_shr:4 row_mask:0xf bank_mask:0xf
	s_delay_alu instid0(VALU_DEP_2) | instskip(SKIP_1) | instid1(VALU_DEP_2)
	v_cndmask_b32_e64 v5, 0, v5, s12
	v_cmp_lt_u32_e64 s12, 3, v20
	v_add_nc_u16 v5, v5, v2
	s_delay_alu instid0(VALU_DEP_1) | instskip(NEXT) | instid1(VALU_DEP_3)
	v_and_b32_e32 v22, 0xffff, v5
	v_cndmask_b32_e64 v2, v2, v5, s12
	v_cndmask_b32_e64 v5, 0, v21, s12
	s_delay_alu instid0(VALU_DEP_3) | instskip(NEXT) | instid1(VALU_DEP_2)
	v_cndmask_b32_e64 v4, v4, v22, s12
	v_add_nc_u32_e32 v3, v5, v3
	s_delay_alu instid0(VALU_DEP_2) | instskip(NEXT) | instid1(VALU_DEP_2)
	v_mov_b32_dpp v5, v4 row_shr:8 row_mask:0xf bank_mask:0xf
	v_cmp_eq_u32_e64 s12, 0, v3
	v_mov_b32_dpp v21, v3 row_shr:8 row_mask:0xf bank_mask:0xf
	s_delay_alu instid0(VALU_DEP_2) | instskip(SKIP_1) | instid1(VALU_DEP_2)
	v_cndmask_b32_e64 v5, 0, v5, s12
	v_cmp_lt_u32_e64 s12, 7, v20
	v_add_nc_u16 v5, v5, v2
	s_delay_alu instid0(VALU_DEP_1) | instskip(SKIP_3) | instid1(VALU_DEP_3)
	v_cndmask_b32_e64 v20, v2, v5, s12
	v_cndmask_b32_e64 v2, 0, v21, s12
	v_and_b32_e32 v5, 0xffff, v5
	v_bfe_i32 v21, v84, 4, 1
	v_add_nc_u32_e32 v2, v2, v3
	s_delay_alu instid0(VALU_DEP_3)
	v_cndmask_b32_e64 v3, v4, v5, s12
	v_and_b32_e32 v5, 16, v84
	ds_swizzle_b32 v4, v2 offset:swizzle(BROADCAST,32,15)
	ds_swizzle_b32 v3, v3 offset:swizzle(BROADCAST,32,15)
	v_cmp_ne_u32_e64 s12, 0, v5
	v_cmp_eq_u32_e64 s13, 0, v2
	v_lshlrev_b32_e32 v5, 3, v85
	s_delay_alu instid0(VALU_DEP_2)
	s_and_b32 s12, s12, s13
	s_mov_b32 s13, exec_lo
	s_waitcnt lgkmcnt(1)
	v_and_b32_e32 v4, v21, v4
	s_waitcnt lgkmcnt(0)
	v_cndmask_b32_e64 v3, 0, v3, s12
	s_delay_alu instid0(VALU_DEP_2) | instskip(NEXT) | instid1(VALU_DEP_2)
	v_add_nc_u32_e32 v2, v4, v2
	v_add_nc_u16 v4, v3, v20
	v_cmpx_eq_u32_e64 v86, v0
	s_cbranch_execz .LBB956_105
; %bb.104:
	ds_store_b32 v5, v2 offset:2064
	ds_store_b16 v5, v4 offset:2068
.LBB956_105:
	s_or_b32 exec_lo, exec_lo, s13
	s_delay_alu instid0(SALU_CYCLE_1)
	s_mov_b32 s14, exec_lo
	s_waitcnt vmcnt(0) lgkmcnt(0)
	s_barrier
	buffer_gl0_inv
	v_cmpx_gt_u32_e32 8, v0
	s_cbranch_execz .LBB956_107
; %bb.106:
	v_lshlrev_b32_e32 v3, 3, v0
	v_and_b32_e32 v25, 7, v84
	ds_load_b64 v[20:21], v3 offset:2064
	v_cmp_lt_u32_e64 s13, 3, v25
	s_waitcnt lgkmcnt(0)
	v_mov_b32_dpp v22, v21 row_shr:1 row_mask:0xf bank_mask:0xf
	v_cmp_eq_u32_e64 s12, 0, v20
	v_and_b32_e32 v23, 0xffff0000, v21
	v_mov_b32_dpp v26, v20 row_shr:1 row_mask:0xf bank_mask:0xf
	s_delay_alu instid0(VALU_DEP_3) | instskip(SKIP_1) | instid1(VALU_DEP_2)
	v_cndmask_b32_e64 v22, 0, v22, s12
	v_cmp_eq_u32_e64 s12, 0, v25
	v_add_nc_u16 v22, v22, v21
	s_delay_alu instid0(VALU_DEP_2) | instskip(NEXT) | instid1(VALU_DEP_2)
	v_cndmask_b32_e64 v26, v26, 0, s12
	v_and_b32_e32 v24, 0xffff, v22
	s_delay_alu instid0(VALU_DEP_2) | instskip(NEXT) | instid1(VALU_DEP_2)
	v_add_nc_u32_e32 v20, v26, v20
	v_or_b32_e32 v24, v23, v24
	s_delay_alu instid0(VALU_DEP_1) | instskip(SKIP_1) | instid1(VALU_DEP_4)
	v_cndmask_b32_e64 v24, v24, v21, s12
	v_cndmask_b32_e64 v21, v22, v21, s12
	v_cmp_eq_u32_e64 s12, 0, v20
	s_delay_alu instid0(VALU_DEP_3) | instskip(NEXT) | instid1(VALU_DEP_1)
	v_mov_b32_dpp v26, v24 row_shr:2 row_mask:0xf bank_mask:0xf
	v_cndmask_b32_e64 v22, 0, v26, s12
	v_mov_b32_dpp v26, v20 row_shr:2 row_mask:0xf bank_mask:0xf
	v_cmp_lt_u32_e64 s12, 1, v25
	s_delay_alu instid0(VALU_DEP_3) | instskip(NEXT) | instid1(VALU_DEP_1)
	v_add_nc_u16 v22, v22, v21
	v_and_b32_e32 v27, 0xffff, v22
	s_delay_alu instid0(VALU_DEP_3) | instskip(SKIP_1) | instid1(VALU_DEP_3)
	v_cndmask_b32_e64 v21, v21, v22, s12
	v_cndmask_b32_e64 v22, 0, v26, s12
	v_or_b32_e32 v23, v23, v27
	s_delay_alu instid0(VALU_DEP_2) | instskip(NEXT) | instid1(VALU_DEP_2)
	v_add_nc_u32_e32 v20, v22, v20
	v_cndmask_b32_e64 v22, v24, v23, s12
	s_delay_alu instid0(VALU_DEP_2) | instskip(SKIP_1) | instid1(VALU_DEP_3)
	v_cmp_eq_u32_e64 s12, 0, v20
	v_mov_b32_dpp v23, v20 row_shr:4 row_mask:0xf bank_mask:0xf
	v_mov_b32_dpp v22, v22 row_shr:4 row_mask:0xf bank_mask:0xf
	s_delay_alu instid0(VALU_DEP_3) | instskip(NEXT) | instid1(VALU_DEP_2)
	s_and_b32 s12, s13, s12
	v_cndmask_b32_e64 v23, 0, v23, s13
	s_delay_alu instid0(VALU_DEP_2) | instskip(NEXT) | instid1(VALU_DEP_2)
	v_cndmask_b32_e64 v22, 0, v22, s12
	v_add_nc_u32_e32 v20, v23, v20
	s_delay_alu instid0(VALU_DEP_2)
	v_add_nc_u16 v21, v21, v22
	ds_store_b32 v3, v20 offset:2064
	ds_store_b16 v3, v21 offset:2068
.LBB956_107:
	s_or_b32 exec_lo, exec_lo, s14
	v_dual_mov_b32 v3, 0 :: v_dual_mov_b32 v20, 0
	v_mov_b32_e32 v21, v1
	s_mov_b32 s13, exec_lo
	s_waitcnt lgkmcnt(0)
	s_barrier
	buffer_gl0_inv
	v_cmpx_lt_u32_e32 31, v0
	s_cbranch_execz .LBB956_109
; %bb.108:
	ds_load_b32 v20, v5 offset:2056
	ds_load_u16 v5, v5 offset:2060
	s_waitcnt lgkmcnt(1)
	v_cmp_eq_u32_e64 s12, 0, v20
	s_delay_alu instid0(VALU_DEP_1) | instskip(SKIP_1) | instid1(VALU_DEP_1)
	v_cndmask_b32_e64 v21, 0, v1, s12
	s_waitcnt lgkmcnt(0)
	v_add_nc_u16 v21, v21, v5
.LBB956_109:
	s_or_b32 exec_lo, exec_lo, s13
	v_add_nc_u32_e32 v5, -1, v84
	v_cmp_eq_u32_e64 s12, 0, v2
	v_add_nc_u32_e32 v2, v20, v2
	v_cmp_eq_u32_e64 s13, 0, v83
	s_delay_alu instid0(VALU_DEP_3) | instskip(SKIP_1) | instid1(VALU_DEP_2)
	v_cndmask_b32_e64 v22, 0, v21, s12
	v_cmp_gt_i32_e64 s12, 0, v5
	v_add_nc_u16 v4, v22, v4
	s_delay_alu instid0(VALU_DEP_2) | instskip(SKIP_1) | instid1(VALU_DEP_3)
	v_cndmask_b32_e64 v5, v5, v84, s12
	v_cmp_eq_u32_e64 s12, 0, v84
	v_and_b32_e32 v4, 0xffff, v4
	s_delay_alu instid0(VALU_DEP_3)
	v_lshlrev_b32_e32 v5, 2, v5
	ds_bpermute_b32 v2, v5, v2
	ds_bpermute_b32 v4, v5, v4
	s_waitcnt lgkmcnt(1)
	v_cndmask_b32_e64 v2, v2, v20, s12
	s_waitcnt lgkmcnt(0)
	v_cndmask_b32_e64 v4, v4, v21, s12
	v_cmp_eq_u32_e64 s12, 0, v0
	s_delay_alu instid0(VALU_DEP_1) | instskip(SKIP_1) | instid1(VALU_DEP_2)
	v_cndmask_b32_e64 v4, v4, v1, s12
	v_cndmask_b32_e64 v48, v2, 0, s12
	;; [unrolled: 1-line block ×3, first 2 shown]
	s_delay_alu instid0(VALU_DEP_2) | instskip(SKIP_1) | instid1(VALU_DEP_3)
	v_add_nc_u32_e32 v42, v48, v83
	v_and_b32_e32 v49, 0xffff, v4
	v_add_nc_u16 v5, v5, v80
	s_delay_alu instid0(VALU_DEP_3) | instskip(NEXT) | instid1(VALU_DEP_2)
	v_add_nc_u32_e32 v44, v42, v66
	v_cndmask_b32_e64 v20, 0, v5, s11
	s_delay_alu instid0(VALU_DEP_2) | instskip(SKIP_1) | instid1(VALU_DEP_3)
	v_add_nc_u32_e32 v40, v44, v65
	v_and_b32_e32 v43, 0xffff, v5
	v_add_nc_u16 v20, v20, v79
	s_delay_alu instid0(VALU_DEP_3) | instskip(NEXT) | instid1(VALU_DEP_2)
	v_add_nc_u32_e32 v28, v40, v64
	v_cndmask_b32_e64 v21, 0, v20, s10
	v_and_b32_e32 v45, 0xffff, v20
	s_delay_alu instid0(VALU_DEP_2) | instskip(NEXT) | instid1(VALU_DEP_1)
	v_add_nc_u16 v21, v21, v78
	v_cndmask_b32_e64 v22, 0, v21, s9
	v_and_b32_e32 v41, 0xffff, v21
	s_delay_alu instid0(VALU_DEP_2) | instskip(NEXT) | instid1(VALU_DEP_1)
	v_add_nc_u16 v22, v22, v77
	;; [unrolled: 4-line block ×3, first 2 shown]
	v_cndmask_b32_e64 v24, 0, v23, s6
	s_delay_alu instid0(VALU_DEP_1) | instskip(NEXT) | instid1(VALU_DEP_1)
	v_add_nc_u16 v27, v24, v75
	v_cndmask_b32_e64 v24, 0, v27, s7
	v_and_b32_e32 v27, 0xffff, v27
	s_delay_alu instid0(VALU_DEP_2) | instskip(SKIP_1) | instid1(VALU_DEP_2)
	v_add_nc_u16 v31, v24, v73
	v_add_nc_u32_e32 v24, v28, v63
	v_cndmask_b32_e64 v2, 0, v31, s5
	s_delay_alu instid0(VALU_DEP_2) | instskip(SKIP_1) | instid1(VALU_DEP_3)
	v_add_nc_u32_e32 v26, v24, v62
	v_and_b32_e32 v47, 0xffff, v31
	v_add_nc_u16 v33, v2, v71
	s_delay_alu instid0(VALU_DEP_3) | instskip(NEXT) | instid1(VALU_DEP_2)
	v_add_nc_u32_e32 v46, v26, v61
	v_cndmask_b32_e64 v2, 0, v33, s4
	s_delay_alu instid0(VALU_DEP_2) | instskip(SKIP_1) | instid1(VALU_DEP_3)
	v_add_nc_u32_e32 v50, v46, v60
	v_and_b32_e32 v51, 0xffff, v33
	v_add_nc_u16 v35, v2, v74
	s_delay_alu instid0(VALU_DEP_3) | instskip(NEXT) | instid1(VALU_DEP_2)
	v_add_nc_u32_e32 v38, v50, v58
	v_cndmask_b32_e64 v2, 0, v35, s3
	s_delay_alu instid0(VALU_DEP_2) | instskip(SKIP_1) | instid1(VALU_DEP_3)
	v_add_nc_u32_e32 v36, v38, v57
	v_and_b32_e32 v39, 0xffff, v35
	v_add_nc_u16 v37, v2, v72
	ds_load_b32 v2, v3 offset:2120
	ds_load_u16 v3, v3 offset:2124
	v_add_nc_u32_e32 v30, v36, v56
	v_cndmask_b32_e64 v25, 0, v37, s2
	v_and_b32_e32 v37, 0xffff, v37
	s_delay_alu instid0(VALU_DEP_3) | instskip(NEXT) | instid1(VALU_DEP_3)
	v_add_nc_u32_e32 v34, v30, v55
	v_add_nc_u16 v70, v25, v70
	s_delay_alu instid0(VALU_DEP_2) | instskip(NEXT) | instid1(VALU_DEP_2)
	v_add_nc_u32_e32 v32, v34, v54
	v_cndmask_b32_e64 v25, 0, v70, s1
	v_and_b32_e32 v31, 0xffff, v70
	s_delay_alu instid0(VALU_DEP_3) | instskip(NEXT) | instid1(VALU_DEP_3)
	v_add_nc_u32_e32 v22, v32, v53
	v_add_nc_u16 v69, v25, v69
	s_waitcnt lgkmcnt(1)
	v_cmp_eq_u32_e64 s1, 0, v2
	v_and_b32_e32 v25, 0xffff, v23
	s_delay_alu instid0(VALU_DEP_3) | instskip(NEXT) | instid1(VALU_DEP_3)
	v_cndmask_b32_e64 v4, 0, v69, s0
	v_cndmask_b32_e64 v1, 0, v1, s1
	v_and_b32_e32 v35, 0xffff, v69
	s_delay_alu instid0(VALU_DEP_3) | instskip(SKIP_1) | instid1(VALU_DEP_3)
	v_add_nc_u16 v4, v4, v68
	s_waitcnt lgkmcnt(0)
	v_add_nc_u16 v82, v1, v3
	s_delay_alu instid0(VALU_DEP_2) | instskip(SKIP_1) | instid1(VALU_DEP_2)
	v_cndmask_b32_e32 v5, 0, v4, vcc_lo
	v_and_b32_e32 v33, 0xffff, v4
	v_add_nc_u16 v5, v5, v67
	s_delay_alu instid0(VALU_DEP_1)
	v_and_b32_e32 v23, 0xffff, v5
	s_and_saveexec_b32 s0, s12
	s_cbranch_execz .LBB956_111
; %bb.110:
	s_add_u32 s2, s20, 0x200
	v_dual_mov_b32 v4, 2 :: v_dual_and_b32 v1, 0xff00, v82
	s_addc_u32 s3, s21, 0
	v_and_b32_e32 v3, 0xff, v82
	v_dual_mov_b32 v21, s3 :: v_dual_mov_b32 v20, s2
	v_mov_b32_e32 v5, 0
	s_delay_alu instid0(VALU_DEP_3)
	v_or_b32_e32 v3, v1, v3
	;;#ASMSTART
	global_store_dwordx4 v[20:21], v[2:5] off	
s_waitcnt vmcnt(0)
	;;#ASMEND
.LBB956_111:
	s_or_b32 exec_lo, exec_lo, s0
	v_mov_b32_e32 v4, 0
.LBB956_112:
	v_mov_b32_e32 v20, 0
	s_and_b32 s0, s16, exec_lo
	v_mov_b32_e32 v21, 0
	s_cselect_b32 s1, 0, s31
	s_cselect_b32 s0, 0, s30
	s_delay_alu instid0(SALU_CYCLE_1)
	s_cmp_eq_u64 s[0:1], 0
	s_barrier
	buffer_gl0_inv
	s_cbranch_scc1 .LBB956_114
; %bb.113:
	v_mov_b32_e32 v1, 0
	global_load_b64 v[20:21], v1, s[0:1]
.LBB956_114:
	v_cmp_gt_u32_e32 vcc_lo, 0x100, v2
	s_cbranch_vccnz .LBB956_163
; %bb.115:
	v_cmp_eq_u32_e32 vcc_lo, 0, v66
	v_cmp_eq_u32_e64 s0, 0, v54
	v_cmp_eq_u32_e64 s1, 0, v53
	v_cmp_ne_u32_e64 s11, 0, v83
	v_cmp_ne_u32_e64 s2, 0, v55
	v_cndmask_b32_e64 v1, 1, 2, vcc_lo
	v_cmp_eq_u32_e32 vcc_lo, 0, v83
	v_cndmask_b32_e64 v67, 1, 2, s1
	v_cmp_ne_u32_e64 s1, 0, v54
	v_cmp_ne_u32_e64 s3, 0, v56
	;; [unrolled: 1-line block ×3, first 2 shown]
	v_cndmask_b32_e64 v3, 1, 2, vcc_lo
	v_cmp_eq_u32_e32 vcc_lo, 0, v65
	v_cmp_ne_u32_e64 s5, 0, v58
	v_cmp_ne_u32_e64 s6, 0, v60
	v_cmp_ne_u32_e64 s7, 0, v61
	v_and_b32_e32 v1, v1, v3
	v_cndmask_b32_e64 v5, 1, 2, vcc_lo
	v_cmp_eq_u32_e32 vcc_lo, 0, v64
	v_cmp_ne_u32_e64 s8, 0, v62
	v_cmp_ne_u32_e64 s9, 0, v63
	;; [unrolled: 1-line block ×3, first 2 shown]
	v_and_b32_e32 v1, v1, v5
	v_cndmask_b32_e64 v3, 1, 2, vcc_lo
	v_cmp_eq_u32_e32 vcc_lo, 0, v63
	v_cmp_ne_u32_e64 s12, 0, v65
	v_cmp_ne_u32_e64 s13, 0, v66
	s_mov_b32 s16, 0
	v_and_b32_e32 v1, v1, v3
	v_cndmask_b32_e64 v5, 1, 2, vcc_lo
	v_cmp_eq_u32_e32 vcc_lo, 0, v62
	s_mov_b32 s15, exec_lo
	s_delay_alu instid0(VALU_DEP_2) | instskip(SKIP_2) | instid1(VALU_DEP_2)
	v_and_b32_e32 v1, v1, v5
	v_cndmask_b32_e64 v3, 1, 2, vcc_lo
	v_cmp_eq_u32_e32 vcc_lo, 0, v61
	v_and_b32_e32 v1, v1, v3
	v_cndmask_b32_e64 v5, 1, 2, vcc_lo
	v_cmp_eq_u32_e32 vcc_lo, 0, v60
	s_delay_alu instid0(VALU_DEP_2) | instskip(SKIP_2) | instid1(VALU_DEP_2)
	v_and_b32_e32 v1, v1, v5
	v_cndmask_b32_e64 v3, 1, 2, vcc_lo
	v_cmp_eq_u32_e32 vcc_lo, 0, v58
	v_and_b32_e32 v1, v1, v3
	v_cndmask_b32_e64 v5, 1, 2, vcc_lo
	v_cmp_eq_u32_e32 vcc_lo, 0, v57
	;; [unrolled: 7-line block ×3, first 2 shown]
	s_delay_alu instid0(VALU_DEP_2) | instskip(SKIP_4) | instid1(VALU_DEP_4)
	v_and_b32_e32 v1, v1, v5
	v_cndmask_b32_e64 v3, 1, 2, vcc_lo
	v_cndmask_b32_e64 v5, 1, 2, s0
	v_cmp_eq_u32_e64 s0, 0, v59
	v_cmp_ne_u32_e32 vcc_lo, 0, v59
	v_and_b32_e32 v1, v1, v3
	s_delay_alu instid0(VALU_DEP_3) | instskip(SKIP_1) | instid1(VALU_DEP_3)
	v_cndmask_b32_e64 v3, 1, 2, s0
	v_cmp_ne_u32_e64 s0, 0, v53
	v_and_b32_e32 v1, v1, v5
	s_delay_alu instid0(VALU_DEP_1) | instskip(NEXT) | instid1(VALU_DEP_1)
	v_and_b32_e32 v1, v1, v67
	v_and_b32_e32 v1, v1, v3
	s_delay_alu instid0(VALU_DEP_1)
	v_cmpx_gt_i16_e32 2, v1
	s_cbranch_execz .LBB956_162
; %bb.116:
	v_cmp_ne_u16_e64 s14, 1, v1
	s_delay_alu instid0(VALU_DEP_1) | instskip(NEXT) | instid1(SALU_CYCLE_1)
	s_and_saveexec_b32 s18, s14
	s_xor_b32 s14, exec_lo, s18
	s_cbranch_execz .LBB956_140
; %bb.117:
	s_and_saveexec_b32 s16, s11
	s_cbranch_execz .LBB956_145
; %bb.118:
	v_sub_nc_u32_e32 v1, v48, v4
	s_delay_alu instid0(VALU_DEP_1)
	v_lshlrev_b32_e32 v1, 2, v1
	ds_store_b32 v1, v18
	s_or_b32 exec_lo, exec_lo, s16
	s_and_saveexec_b32 s11, s13
	s_cbranch_execnz .LBB956_146
.LBB956_119:
	s_or_b32 exec_lo, exec_lo, s11
	s_and_saveexec_b32 s11, s12
	s_cbranch_execz .LBB956_147
.LBB956_120:
	v_sub_nc_u32_e32 v1, v44, v4
	s_delay_alu instid0(VALU_DEP_1)
	v_lshlrev_b32_e32 v1, 2, v1
	ds_store_b32 v1, v16
	s_or_b32 exec_lo, exec_lo, s11
	s_and_saveexec_b32 s11, s10
	s_cbranch_execnz .LBB956_148
.LBB956_121:
	s_or_b32 exec_lo, exec_lo, s11
	s_and_saveexec_b32 s10, s9
	s_cbranch_execz .LBB956_149
.LBB956_122:
	v_sub_nc_u32_e32 v1, v28, v4
	s_delay_alu instid0(VALU_DEP_1)
	v_lshlrev_b32_e32 v1, 2, v1
	ds_store_b32 v1, v14
	s_or_b32 exec_lo, exec_lo, s10
	s_and_saveexec_b32 s9, s8
	s_cbranch_execnz .LBB956_150
.LBB956_123:
	s_or_b32 exec_lo, exec_lo, s9
	s_and_saveexec_b32 s8, s7
	s_cbranch_execz .LBB956_151
.LBB956_124:
	v_sub_nc_u32_e32 v1, v26, v4
	s_delay_alu instid0(VALU_DEP_1)
	v_lshlrev_b32_e32 v1, 2, v1
	ds_store_b32 v1, v12
	s_or_b32 exec_lo, exec_lo, s8
	s_and_saveexec_b32 s7, s6
	s_cbranch_execnz .LBB956_152
.LBB956_125:
	s_or_b32 exec_lo, exec_lo, s7
	s_and_saveexec_b32 s6, s5
	s_cbranch_execz .LBB956_153
.LBB956_126:
	v_sub_nc_u32_e32 v1, v50, v4
	s_delay_alu instid0(VALU_DEP_1)
	v_lshlrev_b32_e32 v1, 2, v1
	ds_store_b32 v1, v10
	s_or_b32 exec_lo, exec_lo, s6
	s_and_saveexec_b32 s5, s4
	s_cbranch_execnz .LBB956_154
.LBB956_127:
	s_or_b32 exec_lo, exec_lo, s5
	s_and_saveexec_b32 s4, s3
	s_cbranch_execz .LBB956_155
.LBB956_128:
	v_sub_nc_u32_e32 v1, v36, v4
	s_delay_alu instid0(VALU_DEP_1)
	v_lshlrev_b32_e32 v1, 2, v1
	ds_store_b32 v1, v8
	s_or_b32 exec_lo, exec_lo, s4
	s_and_saveexec_b32 s3, s2
	s_cbranch_execnz .LBB956_156
.LBB956_129:
	s_or_b32 exec_lo, exec_lo, s3
	s_and_saveexec_b32 s2, s1
	s_cbranch_execz .LBB956_157
.LBB956_130:
	v_sub_nc_u32_e32 v1, v34, v4
	s_delay_alu instid0(VALU_DEP_1)
	v_lshlrev_b32_e32 v1, 2, v1
	ds_store_b32 v1, v6
	s_or_b32 exec_lo, exec_lo, s2
	s_and_saveexec_b32 s1, s0
	s_cbranch_execnz .LBB956_158
	s_branch .LBB956_159
.LBB956_131:
	s_mov_b32 s39, 0
                                        ; implicit-def: $sgpr0
                                        ; implicit-def: $vgpr59
                                        ; implicit-def: $vgpr53
                                        ; implicit-def: $vgpr54
                                        ; implicit-def: $vgpr55
                                        ; implicit-def: $vgpr56
                                        ; implicit-def: $vgpr57
                                        ; implicit-def: $vgpr58
                                        ; implicit-def: $vgpr60
                                        ; implicit-def: $vgpr61
                                        ; implicit-def: $vgpr62
                                        ; implicit-def: $vgpr63
                                        ; implicit-def: $vgpr64
                                        ; implicit-def: $vgpr65
                                        ; implicit-def: $vgpr66
	s_cbranch_execz .LBB956_70
.LBB956_132:
	v_cmp_ne_u32_e32 vcc_lo, v7, v52
	s_mov_b32 s1, exec_lo
	ds_store_b32 v5, v52
	s_waitcnt lgkmcnt(0)
	s_barrier
	v_cndmask_b32_e64 v59, 0, 1, vcc_lo
	v_cmp_ne_u32_e32 vcc_lo, v6, v7
	buffer_gl0_inv
                                        ; implicit-def: $sgpr0
	v_cndmask_b32_e64 v53, 0, 1, vcc_lo
	v_cmp_ne_u32_e32 vcc_lo, v9, v6
	v_cndmask_b32_e64 v54, 0, 1, vcc_lo
	v_cmp_ne_u32_e32 vcc_lo, v8, v9
	;; [unrolled: 2-line block ×12, first 2 shown]
	v_cndmask_b32_e64 v66, 0, 1, vcc_lo
	v_cmpx_ne_u32_e32 0, v0
	s_xor_b32 s1, exec_lo, s1
	s_cbranch_execz .LBB956_134
; %bb.133:
	v_add_nc_u32_e32 v2, -4, v5
	s_or_b32 s39, s39, exec_lo
	ds_load_b32 v2, v2
	s_waitcnt lgkmcnt(0)
	v_cmp_ne_u32_e32 vcc_lo, v2, v18
	s_and_b32 s0, vcc_lo, exec_lo
.LBB956_134:
	s_or_b32 exec_lo, exec_lo, s1
	s_mov_b32 s1, 1
	s_branch .LBB956_72
.LBB956_135:
	s_mul_hi_u32 s0, s34, 0xfffff100
	s_mul_i32 s1, s35, 0xfffff100
	s_sub_i32 s0, s0, s34
	s_mul_i32 s2, s34, 0xfffff100
	s_add_i32 s0, s0, s1
	s_add_u32 s28, s2, s28
	s_addc_u32 s29, s0, s29
	s_and_b32 vcc_lo, exec_lo, s14
	v_cmp_ne_u32_e64 s13, v7, v52
	v_cmp_ne_u32_e64 s14, v6, v7
	;; [unrolled: 1-line block ×15, first 2 shown]
	s_cbranch_vccz .LBB956_142
; %bb.136:
	v_add_co_u32 v43, s16, -4, s38
	s_delay_alu instid0(VALU_DEP_1)
	v_add_co_ci_u32_e64 v44, null, -1, s37, s16
	v_mov_b32_e32 v2, 0
	s_mov_b32 s39, -1
	s_mov_b32 s34, 0
	flat_load_b32 v45, v[43:44]
	ds_store_b32 v5, v52
	v_cmp_gt_u64_e32 vcc_lo, s[28:29], v[1:2]
	v_mov_b32_e32 v43, v2
	v_mov_b32_e32 v41, v2
	;; [unrolled: 1-line block ×5, first 2 shown]
	v_cmp_gt_u64_e64 s16, s[28:29], v[42:43]
	s_and_b32 s35, vcc_lo, s13
	v_cmp_gt_u64_e32 vcc_lo, s[28:29], v[40:41]
	v_mov_b32_e32 v33, v2
	v_mov_b32_e32 v31, v2
	v_cmp_gt_u64_e64 s13, s[28:29], v[38:39]
	s_and_b32 s37, s16, s14
	v_mov_b32_e32 v29, v2
	s_and_b32 s38, vcc_lo, s12
	v_cmp_gt_u64_e32 vcc_lo, s[28:29], v[36:37]
	v_cmp_gt_u64_e64 s12, s[28:29], v[34:35]
	v_cmp_gt_u64_e64 s14, s[28:29], v[32:33]
	;; [unrolled: 1-line block ×3, first 2 shown]
	v_mov_b32_e32 v27, v2
	v_mov_b32_e32 v25, v2
	;; [unrolled: 1-line block ×5, first 2 shown]
	s_and_b32 s13, s13, s11
	s_and_b32 s40, vcc_lo, s7
	s_and_b32 s12, s12, s8
	s_and_b32 s14, s14, s9
	;; [unrolled: 1-line block ×3, first 2 shown]
	v_cmp_gt_u64_e32 vcc_lo, s[28:29], v[28:29]
	v_cmp_gt_u64_e64 s7, s[28:29], v[26:27]
	v_cmp_gt_u64_e64 s8, s[28:29], v[24:25]
	v_cmp_gt_u64_e64 s9, s[28:29], v[22:23]
	v_cmp_gt_u64_e64 s10, s[28:29], v[20:21]
	v_cmp_gt_u64_e64 s11, s[28:29], v[3:4]
	v_mul_u32_u24_e32 v43, 15, v0
	s_and_b32 s41, vcc_lo, s1
	s_and_b32 s7, s7, s2
	s_and_b32 s3, s8, s3
	;; [unrolled: 1-line block ×5, first 2 shown]
	s_waitcnt vmcnt(0) lgkmcnt(0)
	s_barrier
	buffer_gl0_inv
	s_and_saveexec_b32 s5, s0
	s_cbranch_execz .LBB956_138
; %bb.137:
	v_add_nc_u32_e32 v4, -4, v5
	ds_load_b32 v45, v4
.LBB956_138:
	s_or_b32 exec_lo, exec_lo, s5
	v_mov_b32_e32 v44, v2
	s_waitcnt lgkmcnt(0)
	v_cmp_ne_u32_e64 s0, v45, v18
	v_cndmask_b32_e64 v59, 0, 1, s35
	v_cndmask_b32_e64 v53, 0, 1, s37
	;; [unrolled: 1-line block ×3, first 2 shown]
	v_cmp_gt_u64_e32 vcc_lo, s[28:29], v[43:44]
	v_cndmask_b32_e64 v55, 0, 1, s13
	v_cndmask_b32_e64 v56, 0, 1, s40
	;; [unrolled: 1-line block ×11, first 2 shown]
	s_and_b32 s0, vcc_lo, s0
	s_and_b32 vcc_lo, exec_lo, s34
	s_cbranch_vccnz .LBB956_143
.LBB956_139:
                                        ; implicit-def: $sgpr1
	v_mov_b32_e32 v83, s1
	s_and_saveexec_b32 s1, s39
	s_cbranch_execnz .LBB956_73
	s_branch .LBB956_74
.LBB956_140:
	s_and_not1_saveexec_b32 s0, s14
	s_cbranch_execz .LBB956_160
.LBB956_141:
	v_sub_nc_u32_e32 v1, v48, v4
	v_sub_nc_u32_e32 v3, v42, v4
	;; [unrolled: 1-line block ×4, first 2 shown]
	s_or_b32 s16, s16, exec_lo
	v_lshlrev_b32_e32 v1, 2, v1
	v_lshlrev_b32_e32 v3, 2, v3
	;; [unrolled: 1-line block ×4, first 2 shown]
	ds_store_b32 v1, v18
	ds_store_b32 v3, v19
	;; [unrolled: 1-line block ×3, first 2 shown]
	v_sub_nc_u32_e32 v1, v28, v4
	v_sub_nc_u32_e32 v3, v24, v4
	;; [unrolled: 1-line block ×4, first 2 shown]
	ds_store_b32 v67, v17
	v_lshlrev_b32_e32 v1, 2, v1
	v_sub_nc_u32_e32 v17, v50, v4
	v_lshlrev_b32_e32 v3, 2, v3
	v_lshlrev_b32_e32 v5, 2, v5
	;; [unrolled: 1-line block ×3, first 2 shown]
	ds_store_b32 v1, v14
	v_lshlrev_b32_e32 v1, 2, v17
	ds_store_b32 v3, v15
	ds_store_b32 v5, v12
	;; [unrolled: 1-line block ×3, first 2 shown]
	v_sub_nc_u32_e32 v3, v38, v4
	v_sub_nc_u32_e32 v12, v32, v4
	;; [unrolled: 1-line block ×3, first 2 shown]
	ds_store_b32 v1, v10
	v_sub_nc_u32_e32 v1, v36, v4
	v_lshlrev_b32_e32 v3, 2, v3
	v_sub_nc_u32_e32 v10, v34, v4
	v_lshlrev_b32_e32 v5, 2, v5
	s_delay_alu instid0(VALU_DEP_4)
	v_lshlrev_b32_e32 v1, 2, v1
	ds_store_b32 v3, v11
	v_lshlrev_b32_e32 v3, 2, v12
	v_lshlrev_b32_e32 v10, 2, v10
	ds_store_b32 v1, v8
	ds_store_b32 v5, v9
	;; [unrolled: 1-line block ×4, first 2 shown]
	s_or_b32 exec_lo, exec_lo, s0
	s_delay_alu instid0(SALU_CYCLE_1)
	s_and_b32 exec_lo, exec_lo, s16
	s_cbranch_execnz .LBB956_161
	s_branch .LBB956_162
.LBB956_142:
                                        ; implicit-def: $sgpr0
                                        ; implicit-def: $vgpr59
                                        ; implicit-def: $vgpr53
                                        ; implicit-def: $vgpr54
                                        ; implicit-def: $vgpr55
                                        ; implicit-def: $vgpr56
                                        ; implicit-def: $vgpr57
                                        ; implicit-def: $vgpr58
                                        ; implicit-def: $vgpr60
                                        ; implicit-def: $vgpr61
                                        ; implicit-def: $vgpr62
                                        ; implicit-def: $vgpr63
                                        ; implicit-def: $vgpr64
                                        ; implicit-def: $vgpr65
                                        ; implicit-def: $vgpr66
	s_cbranch_execz .LBB956_139
.LBB956_143:
	v_mov_b32_e32 v2, 0
	v_cmp_ne_u32_e64 s0, v6, v7
	v_cmp_ne_u32_e64 s2, v9, v6
	v_cmp_ne_u32_e32 vcc_lo, v7, v52
	ds_store_b32 v5, v52
	v_mov_b32_e32 v43, v2
	v_mov_b32_e32 v41, v2
	v_cmp_gt_u64_e64 s1, s[28:29], v[1:2]
	v_mov_b32_e32 v37, v2
	v_mov_b32_e32 v39, v2
	v_cmp_gt_u64_e64 s3, s[28:29], v[42:43]
	v_cmp_gt_u64_e64 s4, s[28:29], v[40:41]
	v_mov_b32_e32 v33, v2
	s_and_b32 s1, s1, vcc_lo
	v_cmp_gt_u64_e64 s5, s[28:29], v[38:39]
	v_cndmask_b32_e64 v59, 0, 1, s1
	s_and_b32 s0, s3, s0
	v_cmp_ne_u32_e64 s1, v11, v8
	v_cndmask_b32_e64 v53, 0, 1, s0
	s_and_b32 s0, s4, s2
	v_cmp_ne_u32_e32 vcc_lo, v8, v9
	v_cndmask_b32_e64 v54, 0, 1, s0
	v_cmp_gt_u64_e64 s0, s[28:29], v[36:37]
	v_mov_b32_e32 v35, v2
	v_mov_b32_e32 v29, v2
	s_and_b32 s2, s5, vcc_lo
	v_mov_b32_e32 v31, v2
	v_cndmask_b32_e64 v55, 0, 1, s2
	s_and_b32 s0, s0, s1
	v_cmp_ne_u32_e64 s1, v13, v10
	v_cndmask_b32_e64 v56, 0, 1, s0
	v_cmp_gt_u64_e64 s0, s[28:29], v[32:33]
	v_cmp_gt_u64_e32 vcc_lo, s[28:29], v[34:35]
	v_cmp_ne_u32_e64 s2, v10, v11
	v_mov_b32_e32 v25, v2
	v_mov_b32_e32 v27, v2
	;; [unrolled: 1-line block ×3, first 2 shown]
	s_and_b32 s0, s0, s1
	s_and_b32 s2, vcc_lo, s2
	v_cndmask_b32_e64 v58, 0, 1, s0
	v_cmp_gt_u64_e64 s0, s[28:29], v[28:29]
	v_cmp_ne_u32_e64 s1, v15, v12
	v_cmp_gt_u64_e32 vcc_lo, s[28:29], v[30:31]
	v_cndmask_b32_e64 v57, 0, 1, s2
	v_cmp_ne_u32_e64 s2, v12, v13
	v_mov_b32_e32 v21, v2
	s_and_b32 s0, s0, s1
	v_cmp_ne_u32_e64 s1, v17, v14
	v_cndmask_b32_e64 v61, 0, 1, s0
	s_and_b32 s2, vcc_lo, s2
	v_cmp_gt_u64_e64 s0, s[28:29], v[24:25]
	v_cmp_gt_u64_e32 vcc_lo, s[28:29], v[26:27]
	v_cndmask_b32_e64 v60, 0, 1, s2
	v_cmp_ne_u32_e64 s2, v14, v15
	v_mov_b32_e32 v4, v2
	v_cmp_ne_u32_e64 s4, v18, v19
	s_and_b32 s0, s0, s1
	v_cmp_gt_u64_e64 s1, s[28:29], v[20:21]
	s_and_b32 s2, vcc_lo, s2
	v_cmp_gt_u64_e32 vcc_lo, s[28:29], v[22:23]
	v_cndmask_b32_e64 v63, 0, 1, s0
	v_cmp_ne_u32_e64 s0, v16, v17
	v_cndmask_b32_e64 v62, 0, 1, s2
	v_cmp_ne_u32_e64 s2, v19, v16
	v_cmp_gt_u64_e64 s3, s[28:29], v[3:4]
	s_waitcnt lgkmcnt(0)
	s_and_b32 s0, vcc_lo, s0
	s_barrier
	v_cndmask_b32_e64 v64, 0, 1, s0
	s_and_b32 s0, s1, s2
	s_mov_b32 s1, 1
	v_cndmask_b32_e64 v65, 0, 1, s0
	s_and_b32 s0, s3, s4
	s_mov_b32 s2, exec_lo
	v_cndmask_b32_e64 v66, 0, 1, s0
	buffer_gl0_inv
                                        ; implicit-def: $sgpr0
	v_cmpx_ne_u32_e32 0, v0
	s_cbranch_execz .LBB956_201
; %bb.144:
	v_add_nc_u32_e32 v1, -4, v5
	s_or_b32 s39, s39, exec_lo
	ds_load_b32 v3, v1
	v_mul_u32_u24_e32 v1, 15, v0
	s_delay_alu instid0(VALU_DEP_1) | instskip(SKIP_2) | instid1(VALU_DEP_1)
	v_cmp_gt_u64_e32 vcc_lo, s[28:29], v[1:2]
	s_waitcnt lgkmcnt(0)
	v_cmp_ne_u32_e64 s0, v3, v18
	s_and_b32 s0, vcc_lo, s0
	s_delay_alu instid0(SALU_CYCLE_1)
	s_and_b32 s0, s0, exec_lo
	s_or_b32 exec_lo, exec_lo, s2
	v_mov_b32_e32 v83, s1
	s_and_saveexec_b32 s1, s39
	s_cbranch_execz .LBB956_74
	s_branch .LBB956_73
.LBB956_145:
	s_or_b32 exec_lo, exec_lo, s16
	s_and_saveexec_b32 s11, s13
	s_cbranch_execz .LBB956_119
.LBB956_146:
	v_sub_nc_u32_e32 v1, v42, v4
	s_delay_alu instid0(VALU_DEP_1)
	v_lshlrev_b32_e32 v1, 2, v1
	ds_store_b32 v1, v19
	s_or_b32 exec_lo, exec_lo, s11
	s_and_saveexec_b32 s11, s12
	s_cbranch_execnz .LBB956_120
.LBB956_147:
	s_or_b32 exec_lo, exec_lo, s11
	s_and_saveexec_b32 s11, s10
	s_cbranch_execz .LBB956_121
.LBB956_148:
	v_sub_nc_u32_e32 v1, v40, v4
	s_delay_alu instid0(VALU_DEP_1)
	v_lshlrev_b32_e32 v1, 2, v1
	ds_store_b32 v1, v17
	s_or_b32 exec_lo, exec_lo, s11
	s_and_saveexec_b32 s10, s9
	s_cbranch_execnz .LBB956_122
.LBB956_149:
	s_or_b32 exec_lo, exec_lo, s10
	s_and_saveexec_b32 s9, s8
	s_cbranch_execz .LBB956_123
.LBB956_150:
	v_sub_nc_u32_e32 v1, v24, v4
	s_delay_alu instid0(VALU_DEP_1)
	v_lshlrev_b32_e32 v1, 2, v1
	ds_store_b32 v1, v15
	s_or_b32 exec_lo, exec_lo, s9
	s_and_saveexec_b32 s8, s7
	s_cbranch_execnz .LBB956_124
.LBB956_151:
	s_or_b32 exec_lo, exec_lo, s8
	s_and_saveexec_b32 s7, s6
	s_cbranch_execz .LBB956_125
.LBB956_152:
	v_sub_nc_u32_e32 v1, v46, v4
	s_delay_alu instid0(VALU_DEP_1)
	v_lshlrev_b32_e32 v1, 2, v1
	ds_store_b32 v1, v13
	s_or_b32 exec_lo, exec_lo, s7
	s_and_saveexec_b32 s6, s5
	s_cbranch_execnz .LBB956_126
.LBB956_153:
	s_or_b32 exec_lo, exec_lo, s6
	s_and_saveexec_b32 s5, s4
	s_cbranch_execz .LBB956_127
.LBB956_154:
	v_sub_nc_u32_e32 v1, v38, v4
	s_delay_alu instid0(VALU_DEP_1)
	v_lshlrev_b32_e32 v1, 2, v1
	ds_store_b32 v1, v11
	s_or_b32 exec_lo, exec_lo, s5
	s_and_saveexec_b32 s4, s3
	s_cbranch_execnz .LBB956_128
.LBB956_155:
	s_or_b32 exec_lo, exec_lo, s4
	s_and_saveexec_b32 s3, s2
	s_cbranch_execz .LBB956_129
.LBB956_156:
	v_sub_nc_u32_e32 v1, v30, v4
	s_delay_alu instid0(VALU_DEP_1)
	v_lshlrev_b32_e32 v1, 2, v1
	ds_store_b32 v1, v9
	s_or_b32 exec_lo, exec_lo, s3
	s_and_saveexec_b32 s2, s1
	s_cbranch_execnz .LBB956_130
.LBB956_157:
	s_or_b32 exec_lo, exec_lo, s2
	s_and_saveexec_b32 s1, s0
	s_cbranch_execz .LBB956_159
.LBB956_158:
	v_sub_nc_u32_e32 v1, v32, v4
	s_delay_alu instid0(VALU_DEP_1)
	v_lshlrev_b32_e32 v1, 2, v1
	ds_store_b32 v1, v7
.LBB956_159:
	s_or_b32 exec_lo, exec_lo, s1
	s_delay_alu instid0(SALU_CYCLE_1)
	s_and_b32 s16, vcc_lo, exec_lo
                                        ; implicit-def: $vgpr18
                                        ; implicit-def: $vgpr16
                                        ; implicit-def: $vgpr14
                                        ; implicit-def: $vgpr12
                                        ; implicit-def: $vgpr10
                                        ; implicit-def: $vgpr8
                                        ; implicit-def: $vgpr6
	s_and_not1_saveexec_b32 s0, s14
	s_cbranch_execnz .LBB956_141
.LBB956_160:
	s_or_b32 exec_lo, exec_lo, s0
	s_delay_alu instid0(SALU_CYCLE_1)
	s_and_b32 exec_lo, exec_lo, s16
	s_cbranch_execz .LBB956_162
.LBB956_161:
	v_sub_nc_u32_e32 v1, v22, v4
	s_delay_alu instid0(VALU_DEP_1)
	v_lshlrev_b32_e32 v1, 2, v1
	ds_store_b32 v1, v52
.LBB956_162:
	s_or_b32 exec_lo, exec_lo, s15
	s_waitcnt vmcnt(0) lgkmcnt(0)
	s_barrier
	buffer_gl0_inv
.LBB956_163:
	s_cmpk_lg_i32 s33, 0xf00
	v_cmp_eq_u32_e32 vcc_lo, 0, v0
	s_cselect_b32 s0, -1, 0
	v_mad_i32_i24 v7, v0, -15, s33
	s_and_b32 s0, s17, s0
	v_cndmask_b32_e64 v1, 0, 1, s36
	v_cndmask_b32_e64 v6, 0, 1, s0
	s_mul_hi_u32 s0, s33, 0x88888889
	s_and_b32 s1, vcc_lo, s36
	s_lshr_b32 s0, s0, 3
	v_cndmask_b32_e64 v8, v83, 0, s1
	v_cmp_eq_u32_e32 vcc_lo, s0, v0
	v_cmp_ne_u32_e64 s0, 0, v7
	v_sub_nc_u32_e32 v3, v2, v1
	s_mov_b32 s16, -1
	s_waitcnt vmcnt(0)
	s_and_b32 vcc_lo, s17, vcc_lo
	v_cndmask_b32_e64 v9, 1, v8, s0
	v_cmp_ne_u32_e64 s0, 1, v7
	v_mov_b32_e32 v5, 0
	s_barrier
	buffer_gl0_inv
	v_cndmask_b32_e32 v16, v8, v9, vcc_lo
	v_cndmask_b32_e64 v10, 1, v66, s0
	v_cmp_ne_u32_e64 s0, 2, v7
	s_delay_alu instid0(VALU_DEP_3) | instskip(NEXT) | instid1(VALU_DEP_3)
	v_cmp_ne_u32_e64 s14, 0, v16
	v_cndmask_b32_e32 v17, v66, v10, vcc_lo
	s_delay_alu instid0(VALU_DEP_3) | instskip(SKIP_1) | instid1(VALU_DEP_2)
	v_cndmask_b32_e64 v11, 1, v65, s0
	v_cmp_ne_u32_e64 s0, 14, v7
	v_dual_cndmask_b32 v18, v65, v11 :: v_dual_add_nc_u32 v3, v3, v6
	s_delay_alu instid0(VALU_DEP_2) | instskip(SKIP_1) | instid1(VALU_DEP_3)
	v_cndmask_b32_e64 v12, 1, v59, s0
	v_cmp_ne_u32_e64 s0, 3, v7
	v_cmp_ne_u32_e64 s12, 0, v18
	s_delay_alu instid0(VALU_DEP_2) | instskip(SKIP_1) | instid1(VALU_DEP_1)
	v_cndmask_b32_e64 v13, 1, v64, s0
	v_cmp_ne_u32_e64 s0, 4, v7
	v_cndmask_b32_e64 v14, 1, v63, s0
	v_cmp_ne_u32_e64 s0, 5, v7
	s_delay_alu instid0(VALU_DEP_1) | instskip(SKIP_1) | instid1(VALU_DEP_2)
	v_cndmask_b32_e64 v8, 1, v62, s0
	v_cmp_ne_u32_e64 s0, 6, v7
	v_cndmask_b32_e32 v62, v62, v8, vcc_lo
	s_delay_alu instid0(VALU_DEP_2) | instskip(SKIP_1) | instid1(VALU_DEP_2)
	v_cndmask_b32_e64 v9, 1, v61, s0
	v_cmp_eq_u32_e64 s0, 0, v16
	v_dual_cndmask_b32 v14, v63, v14 :: v_dual_cndmask_b32 v61, v61, v9
	s_delay_alu instid0(VALU_DEP_2) | instskip(SKIP_2) | instid1(VALU_DEP_4)
	v_cndmask_b32_e64 v10, 1, 2, s0
	v_cmp_eq_u32_e64 s0, 0, v17
	v_cndmask_b32_e32 v15, v59, v12, vcc_lo
	v_cmp_ne_u32_e64 s10, 0, v14
	v_cmp_ne_u32_e64 s8, 0, v61
	s_delay_alu instid0(VALU_DEP_4) | instskip(SKIP_1) | instid1(VALU_DEP_2)
	v_cndmask_b32_e64 v12, 1, 2, s0
	v_cmp_ne_u32_e64 s0, 7, v7
	v_and_b32_e32 v10, v12, v10
	s_delay_alu instid0(VALU_DEP_2) | instskip(SKIP_1) | instid1(VALU_DEP_2)
	v_cndmask_b32_e64 v11, 1, v60, s0
	v_cmp_eq_u32_e64 s0, 0, v18
	v_cndmask_b32_e32 v60, v60, v11, vcc_lo
	s_delay_alu instid0(VALU_DEP_2)
	v_cndmask_b32_e64 v12, 1, 2, s0
	v_cmp_ne_u32_e64 s0, 8, v7
	v_cndmask_b32_e32 v13, v64, v13, vcc_lo
	v_cmp_ne_u32_e64 s13, 0, v17
	v_cmp_ne_u32_e64 s7, 0, v60
	v_and_b32_e32 v10, v10, v12
	v_cndmask_b32_e64 v19, 1, v58, s0
	v_cmp_ne_u32_e64 s0, 9, v7
	v_cmp_ne_u32_e64 s11, 0, v13
	s_delay_alu instid0(VALU_DEP_3) | instskip(NEXT) | instid1(VALU_DEP_3)
	v_cndmask_b32_e32 v19, v58, v19, vcc_lo
	v_cndmask_b32_e64 v52, 1, v57, s0
	v_cmp_eq_u32_e64 s0, 0, v13
	s_delay_alu instid0(VALU_DEP_3) | instskip(NEXT) | instid1(VALU_DEP_3)
	v_cmp_ne_u32_e64 s6, 0, v19
	v_cndmask_b32_e32 v52, v57, v52, vcc_lo
	s_delay_alu instid0(VALU_DEP_3) | instskip(SKIP_1) | instid1(VALU_DEP_2)
	v_cndmask_b32_e64 v12, 1, 2, s0
	v_cmp_ne_u32_e64 s0, 10, v7
	v_and_b32_e32 v8, v10, v12
	s_delay_alu instid0(VALU_DEP_2) | instskip(SKIP_1) | instid1(VALU_DEP_1)
	v_cndmask_b32_e64 v59, 1, v56, s0
	v_cmp_eq_u32_e64 s0, 0, v14
	v_cndmask_b32_e64 v10, 1, 2, s0
	v_cmp_ne_u32_e64 s0, 11, v7
	s_delay_alu instid0(VALU_DEP_1) | instskip(SKIP_1) | instid1(VALU_DEP_2)
	v_cndmask_b32_e64 v12, 1, v55, s0
	v_cmp_ne_u32_e64 s0, 13, v7
	v_dual_cndmask_b32 v55, v55, v12 :: v_dual_and_b32 v8, v8, v10
	s_delay_alu instid0(VALU_DEP_2) | instskip(NEXT) | instid1(VALU_DEP_2)
	v_cndmask_b32_e64 v63, 1, v53, s0
	v_cmp_ne_u32_e64 s3, 0, v55
	s_delay_alu instid0(VALU_DEP_2) | instskip(SKIP_2) | instid1(VALU_DEP_3)
	v_cndmask_b32_e32 v53, v53, v63, vcc_lo
	v_cmp_eq_u32_e64 s0, 0, v62
	v_cmp_ne_u32_e64 s9, 0, v62
	v_cmp_ne_u32_e64 s1, 0, v53
	s_delay_alu instid0(VALU_DEP_3) | instskip(SKIP_1) | instid1(VALU_DEP_2)
	v_cndmask_b32_e64 v10, 1, 2, s0
	v_cmp_ne_u32_e64 s0, 12, v7
	v_and_b32_e32 v8, v8, v10
	s_delay_alu instid0(VALU_DEP_2) | instskip(SKIP_1) | instid1(VALU_DEP_1)
	v_cndmask_b32_e64 v7, 1, v54, s0
	v_cmp_eq_u32_e64 s0, 0, v61
	v_cndmask_b32_e64 v9, 1, 2, s0
	v_cmp_eq_u32_e64 s0, 0, v60
	s_delay_alu instid0(VALU_DEP_2) | instskip(SKIP_1) | instid1(VALU_DEP_3)
	v_dual_cndmask_b32 v54, v54, v7 :: v_dual_and_b32 v11, v8, v9
	v_lshlrev_b64 v[7:8], 1, v[20:21]
	v_cndmask_b32_e64 v12, 1, 2, s0
	v_cndmask_b32_e32 v56, v56, v59, vcc_lo
	v_cmp_eq_u32_e32 vcc_lo, 0, v19
	v_lshlrev_b64 v[9:10], 1, v[4:5]
	v_cmp_ne_u32_e64 s2, 0, v54
	v_and_b32_e32 v5, v11, v12
	v_cmp_ne_u32_e64 s4, 0, v56
	v_cndmask_b32_e64 v11, 1, 2, vcc_lo
	v_add_co_u32 v7, vcc_lo, s24, v7
	v_add_co_ci_u32_e32 v8, vcc_lo, s25, v8, vcc_lo
	v_cmp_eq_u32_e32 vcc_lo, 0, v52
	s_delay_alu instid0(VALU_DEP_4)
	v_and_b32_e32 v5, v5, v11
	v_cmp_ne_u32_e64 s0, 0, v15
	v_cndmask_b32_e64 v11, 1, 2, vcc_lo
	v_add_co_u32 v9, vcc_lo, v7, v9
	v_add_co_ci_u32_e32 v10, vcc_lo, v8, v10, vcc_lo
	v_lshlrev_b32_e32 v7, 1, v1
	v_cmp_eq_u32_e32 vcc_lo, 0, v56
	v_and_b32_e32 v5, v5, v11
	v_cmp_ne_u32_e64 s5, 0, v52
	v_cndmask_b32_e64 v8, 1, 2, vcc_lo
	v_add_co_u32 v7, vcc_lo, v7, v9
	v_add_co_ci_u32_e32 v12, vcc_lo, 0, v10, vcc_lo
	v_cmp_eq_u32_e32 vcc_lo, 0, v55
	s_delay_alu instid0(VALU_DEP_4)
	v_and_b32_e32 v8, v5, v8
	v_add_nc_u32_e32 v5, v4, v1
	v_cndmask_b32_e64 v57, 1, 2, vcc_lo
	v_add_co_u32 v11, vcc_lo, v7, -2
	v_add_co_ci_u32_e32 v12, vcc_lo, -1, v12, vcc_lo
	v_cmp_eq_u32_e32 vcc_lo, 0, v54
	s_delay_alu instid0(VALU_DEP_4) | instskip(SKIP_2) | instid1(VALU_DEP_2)
	v_and_b32_e32 v7, v8, v57
	v_cndmask_b32_e64 v8, 1, 2, vcc_lo
	v_cmp_eq_u32_e32 vcc_lo, 0, v53
	v_and_b32_e32 v7, v7, v8
	v_cndmask_b32_e64 v8, 1, 2, vcc_lo
	v_cmp_eq_u32_e32 vcc_lo, 0, v15
	s_delay_alu instid0(VALU_DEP_2) | instskip(SKIP_2) | instid1(VALU_DEP_2)
	v_and_b32_e32 v7, v7, v8
	v_cndmask_b32_e64 v8, 1, 2, vcc_lo
	v_cmp_gt_u32_e32 vcc_lo, 0x100, v3
	v_and_b32_e32 v7, v7, v8
	s_delay_alu instid0(VALU_DEP_1)
	v_cmp_gt_i16_e64 s15, 2, v7
	s_cbranch_vccz .LBB956_180
; %bb.164:
	s_delay_alu instid0(VALU_DEP_1)
	s_and_saveexec_b32 s16, s15
	s_cbranch_execz .LBB956_219
; %bb.165:
	s_mov_b32 s18, 0
	s_mov_b32 s15, exec_lo
	v_cmpx_ne_u16_e32 1, v7
	s_xor_b32 s15, exec_lo, s15
	s_cbranch_execz .LBB956_197
; %bb.166:
	s_and_saveexec_b32 s18, s14
	s_cbranch_execz .LBB956_202
; %bb.167:
	v_sub_nc_u32_e32 v13, v48, v5
	v_mov_b32_e32 v14, 0
	s_delay_alu instid0(VALU_DEP_1) | instskip(NEXT) | instid1(VALU_DEP_1)
	v_lshlrev_b64 v[13:14], 1, v[13:14]
	v_add_co_u32 v13, vcc_lo, v11, v13
	s_delay_alu instid0(VALU_DEP_2)
	v_add_co_ci_u32_e32 v14, vcc_lo, v12, v14, vcc_lo
	global_store_b16 v[13:14], v49, off
	s_or_b32 exec_lo, exec_lo, s18
	s_and_saveexec_b32 s18, s13
	s_cbranch_execnz .LBB956_203
.LBB956_168:
	s_or_b32 exec_lo, exec_lo, s18
	s_and_saveexec_b32 s18, s12
	s_cbranch_execz .LBB956_204
.LBB956_169:
	v_sub_nc_u32_e32 v13, v44, v5
	v_mov_b32_e32 v14, 0
	s_delay_alu instid0(VALU_DEP_1) | instskip(NEXT) | instid1(VALU_DEP_1)
	v_lshlrev_b64 v[13:14], 1, v[13:14]
	v_add_co_u32 v13, vcc_lo, v11, v13
	s_delay_alu instid0(VALU_DEP_2)
	v_add_co_ci_u32_e32 v14, vcc_lo, v12, v14, vcc_lo
	global_store_b16 v[13:14], v45, off
	s_or_b32 exec_lo, exec_lo, s18
	s_and_saveexec_b32 s18, s11
	s_cbranch_execnz .LBB956_205
.LBB956_170:
	s_or_b32 exec_lo, exec_lo, s18
	s_and_saveexec_b32 s18, s10
	s_cbranch_execz .LBB956_206
.LBB956_171:
	v_sub_nc_u32_e32 v13, v28, v5
	v_mov_b32_e32 v14, 0
	s_delay_alu instid0(VALU_DEP_1) | instskip(NEXT) | instid1(VALU_DEP_1)
	v_lshlrev_b64 v[13:14], 1, v[13:14]
	v_add_co_u32 v13, vcc_lo, v11, v13
	s_delay_alu instid0(VALU_DEP_2)
	v_add_co_ci_u32_e32 v14, vcc_lo, v12, v14, vcc_lo
	global_store_b16 v[13:14], v29, off
	s_or_b32 exec_lo, exec_lo, s18
	s_and_saveexec_b32 s18, s9
	s_cbranch_execnz .LBB956_207
.LBB956_172:
	s_or_b32 exec_lo, exec_lo, s18
	s_and_saveexec_b32 s18, s8
	s_cbranch_execz .LBB956_208
.LBB956_173:
	v_sub_nc_u32_e32 v13, v26, v5
	v_mov_b32_e32 v14, 0
	s_delay_alu instid0(VALU_DEP_1) | instskip(NEXT) | instid1(VALU_DEP_1)
	v_lshlrev_b64 v[13:14], 1, v[13:14]
	v_add_co_u32 v13, vcc_lo, v11, v13
	s_delay_alu instid0(VALU_DEP_2)
	v_add_co_ci_u32_e32 v14, vcc_lo, v12, v14, vcc_lo
	global_store_b16 v[13:14], v27, off
	s_or_b32 exec_lo, exec_lo, s18
	s_and_saveexec_b32 s18, s7
	s_cbranch_execnz .LBB956_209
.LBB956_174:
	s_or_b32 exec_lo, exec_lo, s18
	s_and_saveexec_b32 s18, s6
	s_cbranch_execz .LBB956_210
.LBB956_175:
	v_sub_nc_u32_e32 v13, v50, v5
	v_mov_b32_e32 v14, 0
	s_delay_alu instid0(VALU_DEP_1) | instskip(NEXT) | instid1(VALU_DEP_1)
	v_lshlrev_b64 v[13:14], 1, v[13:14]
	v_add_co_u32 v13, vcc_lo, v11, v13
	s_delay_alu instid0(VALU_DEP_2)
	v_add_co_ci_u32_e32 v14, vcc_lo, v12, v14, vcc_lo
	global_store_b16 v[13:14], v51, off
	s_or_b32 exec_lo, exec_lo, s18
	s_and_saveexec_b32 s18, s5
	s_cbranch_execnz .LBB956_211
.LBB956_176:
	s_or_b32 exec_lo, exec_lo, s18
	s_and_saveexec_b32 s18, s4
	s_cbranch_execz .LBB956_212
.LBB956_177:
	v_sub_nc_u32_e32 v13, v36, v5
	v_mov_b32_e32 v14, 0
	s_delay_alu instid0(VALU_DEP_1) | instskip(NEXT) | instid1(VALU_DEP_1)
	v_lshlrev_b64 v[13:14], 1, v[13:14]
	v_add_co_u32 v13, vcc_lo, v11, v13
	s_delay_alu instid0(VALU_DEP_2)
	v_add_co_ci_u32_e32 v14, vcc_lo, v12, v14, vcc_lo
	global_store_b16 v[13:14], v37, off
	s_or_b32 exec_lo, exec_lo, s18
	s_and_saveexec_b32 s18, s3
	s_cbranch_execnz .LBB956_213
.LBB956_178:
	s_or_b32 exec_lo, exec_lo, s18
	s_and_saveexec_b32 s18, s2
	s_cbranch_execz .LBB956_214
.LBB956_179:
	v_sub_nc_u32_e32 v13, v34, v5
	v_mov_b32_e32 v14, 0
	s_delay_alu instid0(VALU_DEP_1) | instskip(NEXT) | instid1(VALU_DEP_1)
	v_lshlrev_b64 v[13:14], 1, v[13:14]
	v_add_co_u32 v13, vcc_lo, v11, v13
	s_delay_alu instid0(VALU_DEP_2)
	v_add_co_ci_u32_e32 v14, vcc_lo, v12, v14, vcc_lo
	global_store_b16 v[13:14], v35, off
	s_or_b32 exec_lo, exec_lo, s18
	s_and_saveexec_b32 s18, s1
	s_cbranch_execnz .LBB956_215
	s_branch .LBB956_216
.LBB956_180:
	s_and_b32 vcc_lo, exec_lo, s16
	s_cbranch_vccz .LBB956_220
; %bb.181:
	s_mov_b32 s15, exec_lo
	v_cmpx_gt_i16_e32 2, v7
	s_cbranch_execz .LBB956_238
; %bb.182:
	s_mov_b32 s18, 0
	s_mov_b32 s16, exec_lo
	v_cmpx_ne_u16_e32 1, v7
	s_xor_b32 s16, exec_lo, s16
	s_cbranch_execz .LBB956_199
; %bb.183:
	s_and_saveexec_b32 s18, s14
	s_cbranch_execz .LBB956_221
; %bb.184:
	v_sub_nc_u32_e32 v7, v48, v5
	s_delay_alu instid0(VALU_DEP_1)
	v_lshlrev_b32_e32 v7, 1, v7
	ds_store_b16 v7, v49
	s_or_b32 exec_lo, exec_lo, s18
	s_and_saveexec_b32 s14, s13
	s_cbranch_execnz .LBB956_222
.LBB956_185:
	s_or_b32 exec_lo, exec_lo, s14
	s_and_saveexec_b32 s13, s12
	s_cbranch_execz .LBB956_223
.LBB956_186:
	v_sub_nc_u32_e32 v7, v44, v5
	s_delay_alu instid0(VALU_DEP_1)
	v_lshlrev_b32_e32 v7, 1, v7
	ds_store_b16 v7, v45
	s_or_b32 exec_lo, exec_lo, s13
	s_and_saveexec_b32 s12, s11
	s_cbranch_execnz .LBB956_224
.LBB956_187:
	s_or_b32 exec_lo, exec_lo, s12
	s_and_saveexec_b32 s11, s10
	s_cbranch_execz .LBB956_225
.LBB956_188:
	v_sub_nc_u32_e32 v7, v28, v5
	s_delay_alu instid0(VALU_DEP_1)
	v_lshlrev_b32_e32 v7, 1, v7
	ds_store_b16 v7, v29
	s_or_b32 exec_lo, exec_lo, s11
	s_and_saveexec_b32 s10, s9
	s_cbranch_execnz .LBB956_226
.LBB956_189:
	s_or_b32 exec_lo, exec_lo, s10
	s_and_saveexec_b32 s9, s8
	s_cbranch_execz .LBB956_227
.LBB956_190:
	v_sub_nc_u32_e32 v7, v26, v5
	s_delay_alu instid0(VALU_DEP_1)
	v_lshlrev_b32_e32 v7, 1, v7
	ds_store_b16 v7, v27
	s_or_b32 exec_lo, exec_lo, s9
	s_and_saveexec_b32 s8, s7
	s_cbranch_execnz .LBB956_228
.LBB956_191:
	s_or_b32 exec_lo, exec_lo, s8
	s_and_saveexec_b32 s7, s6
	s_cbranch_execz .LBB956_229
.LBB956_192:
	v_sub_nc_u32_e32 v7, v50, v5
	s_delay_alu instid0(VALU_DEP_1)
	v_lshlrev_b32_e32 v7, 1, v7
	ds_store_b16 v7, v51
	s_or_b32 exec_lo, exec_lo, s7
	s_and_saveexec_b32 s6, s5
	s_cbranch_execnz .LBB956_230
.LBB956_193:
	s_or_b32 exec_lo, exec_lo, s6
	s_and_saveexec_b32 s5, s4
	s_cbranch_execz .LBB956_231
.LBB956_194:
	v_sub_nc_u32_e32 v7, v36, v5
	s_delay_alu instid0(VALU_DEP_1)
	v_lshlrev_b32_e32 v7, 1, v7
	ds_store_b16 v7, v37
	s_or_b32 exec_lo, exec_lo, s5
	s_and_saveexec_b32 s4, s3
	s_cbranch_execnz .LBB956_232
.LBB956_195:
	s_or_b32 exec_lo, exec_lo, s4
	s_and_saveexec_b32 s3, s2
	s_cbranch_execz .LBB956_233
.LBB956_196:
	v_sub_nc_u32_e32 v7, v34, v5
	s_delay_alu instid0(VALU_DEP_1)
	v_lshlrev_b32_e32 v7, 1, v7
	ds_store_b16 v7, v35
	s_or_b32 exec_lo, exec_lo, s3
	s_and_saveexec_b32 s2, s1
	s_cbranch_execnz .LBB956_234
	s_branch .LBB956_235
.LBB956_197:
	s_and_not1_saveexec_b32 s15, s15
	s_cbranch_execz .LBB956_217
.LBB956_198:
	v_sub_nc_u32_e32 v13, v48, v5
	v_mov_b32_e32 v14, 0
	s_or_b32 s18, s18, exec_lo
	s_delay_alu instid0(VALU_DEP_1) | instskip(SKIP_1) | instid1(VALU_DEP_1)
	v_lshlrev_b64 v[15:16], 1, v[13:14]
	v_sub_nc_u32_e32 v13, v42, v5
	v_lshlrev_b64 v[17:18], 1, v[13:14]
	v_sub_nc_u32_e32 v13, v44, v5
	s_delay_alu instid0(VALU_DEP_4) | instskip(SKIP_1) | instid1(VALU_DEP_3)
	v_add_co_u32 v15, vcc_lo, v11, v15
	v_add_co_ci_u32_e32 v16, vcc_lo, v12, v16, vcc_lo
	v_lshlrev_b64 v[52:53], 1, v[13:14]
	v_sub_nc_u32_e32 v13, v40, v5
	v_add_co_u32 v17, vcc_lo, v11, v17
	v_add_co_ci_u32_e32 v18, vcc_lo, v12, v18, vcc_lo
	global_store_b16 v[15:16], v49, off
	v_lshlrev_b64 v[15:16], 1, v[13:14]
	v_sub_nc_u32_e32 v13, v28, v5
	global_store_b16 v[17:18], v43, off
	v_add_co_u32 v17, vcc_lo, v11, v52
	v_add_co_ci_u32_e32 v18, vcc_lo, v12, v53, vcc_lo
	v_lshlrev_b64 v[52:53], 1, v[13:14]
	v_sub_nc_u32_e32 v13, v24, v5
	v_add_co_u32 v15, vcc_lo, v11, v15
	v_add_co_ci_u32_e32 v16, vcc_lo, v12, v16, vcc_lo
	s_delay_alu instid0(VALU_DEP_3) | instskip(SKIP_3) | instid1(VALU_DEP_3)
	v_lshlrev_b64 v[54:55], 1, v[13:14]
	v_sub_nc_u32_e32 v13, v26, v5
	v_add_co_u32 v52, vcc_lo, v11, v52
	v_add_co_ci_u32_e32 v53, vcc_lo, v12, v53, vcc_lo
	v_lshlrev_b64 v[56:57], 1, v[13:14]
	v_sub_nc_u32_e32 v13, v46, v5
	v_add_co_u32 v54, vcc_lo, v11, v54
	v_add_co_ci_u32_e32 v55, vcc_lo, v12, v55, vcc_lo
	s_clause 0x3
	global_store_b16 v[17:18], v45, off
	global_store_b16 v[15:16], v41, off
	;; [unrolled: 1-line block ×4, first 2 shown]
	v_lshlrev_b64 v[15:16], 1, v[13:14]
	v_sub_nc_u32_e32 v13, v50, v5
	v_add_co_u32 v17, vcc_lo, v11, v56
	v_add_co_ci_u32_e32 v18, vcc_lo, v12, v57, vcc_lo
	s_delay_alu instid0(VALU_DEP_3) | instskip(SKIP_3) | instid1(VALU_DEP_3)
	v_lshlrev_b64 v[52:53], 1, v[13:14]
	v_sub_nc_u32_e32 v13, v38, v5
	v_add_co_u32 v15, vcc_lo, v11, v15
	v_add_co_ci_u32_e32 v16, vcc_lo, v12, v16, vcc_lo
	v_lshlrev_b64 v[54:55], 1, v[13:14]
	v_sub_nc_u32_e32 v13, v36, v5
	v_add_co_u32 v52, vcc_lo, v11, v52
	v_add_co_ci_u32_e32 v53, vcc_lo, v12, v53, vcc_lo
	s_delay_alu instid0(VALU_DEP_3)
	v_lshlrev_b64 v[56:57], 1, v[13:14]
	v_sub_nc_u32_e32 v13, v30, v5
	v_add_co_u32 v54, vcc_lo, v11, v54
	v_add_co_ci_u32_e32 v55, vcc_lo, v12, v55, vcc_lo
	s_clause 0x3
	global_store_b16 v[17:18], v27, off
	global_store_b16 v[15:16], v47, off
	;; [unrolled: 1-line block ×4, first 2 shown]
	v_lshlrev_b64 v[15:16], 1, v[13:14]
	v_sub_nc_u32_e32 v13, v34, v5
	v_add_co_u32 v17, vcc_lo, v11, v56
	v_add_co_ci_u32_e32 v18, vcc_lo, v12, v57, vcc_lo
	s_delay_alu instid0(VALU_DEP_3) | instskip(SKIP_3) | instid1(VALU_DEP_3)
	v_lshlrev_b64 v[52:53], 1, v[13:14]
	v_sub_nc_u32_e32 v13, v32, v5
	v_add_co_u32 v15, vcc_lo, v11, v15
	v_add_co_ci_u32_e32 v16, vcc_lo, v12, v16, vcc_lo
	v_lshlrev_b64 v[13:14], 1, v[13:14]
	v_add_co_u32 v52, vcc_lo, v11, v52
	v_add_co_ci_u32_e32 v53, vcc_lo, v12, v53, vcc_lo
	s_clause 0x2
	global_store_b16 v[17:18], v37, off
	global_store_b16 v[15:16], v31, off
	;; [unrolled: 1-line block ×3, first 2 shown]
	v_add_co_u32 v13, vcc_lo, v11, v13
	v_add_co_ci_u32_e32 v14, vcc_lo, v12, v14, vcc_lo
	global_store_b16 v[13:14], v33, off
	s_or_b32 exec_lo, exec_lo, s15
	s_delay_alu instid0(SALU_CYCLE_1)
	s_and_b32 exec_lo, exec_lo, s18
	s_cbranch_execnz .LBB956_218
	s_branch .LBB956_219
.LBB956_199:
	s_and_not1_saveexec_b32 s0, s16
	s_cbranch_execz .LBB956_236
.LBB956_200:
	v_sub_nc_u32_e32 v7, v48, v5
	v_sub_nc_u32_e32 v8, v42, v5
	;; [unrolled: 1-line block ×5, first 2 shown]
	v_lshlrev_b32_e32 v7, 1, v7
	v_lshlrev_b32_e32 v8, 1, v8
	;; [unrolled: 1-line block ×4, first 2 shown]
	s_or_b32 s18, s18, exec_lo
	ds_store_b16 v7, v49
	ds_store_b16 v8, v43
	;; [unrolled: 1-line block ×3, first 2 shown]
	v_sub_nc_u32_e32 v7, v28, v5
	v_sub_nc_u32_e32 v8, v24, v5
	v_sub_nc_u32_e32 v13, v26, v5
	ds_store_b16 v14, v41
	v_sub_nc_u32_e32 v14, v46, v5
	v_lshlrev_b32_e32 v7, 1, v7
	v_lshlrev_b32_e32 v8, 1, v8
	;; [unrolled: 1-line block ×3, first 2 shown]
	s_delay_alu instid0(VALU_DEP_4)
	v_lshlrev_b32_e32 v14, 1, v14
	ds_store_b16 v7, v29
	v_lshlrev_b32_e32 v7, 1, v15
	ds_store_b16 v8, v25
	ds_store_b16 v13, v27
	;; [unrolled: 1-line block ×3, first 2 shown]
	v_sub_nc_u32_e32 v8, v38, v5
	v_sub_nc_u32_e32 v15, v32, v5
	;; [unrolled: 1-line block ×3, first 2 shown]
	ds_store_b16 v7, v51
	v_sub_nc_u32_e32 v7, v36, v5
	v_lshlrev_b32_e32 v8, 1, v8
	v_sub_nc_u32_e32 v14, v34, v5
	v_lshlrev_b32_e32 v13, 1, v13
	s_delay_alu instid0(VALU_DEP_4)
	v_lshlrev_b32_e32 v7, 1, v7
	ds_store_b16 v8, v39
	v_lshlrev_b32_e32 v8, 1, v15
	v_lshlrev_b32_e32 v14, 1, v14
	ds_store_b16 v7, v37
	ds_store_b16 v13, v31
	ds_store_b16 v14, v35
	ds_store_b16 v8, v33
	s_or_b32 exec_lo, exec_lo, s0
	s_delay_alu instid0(SALU_CYCLE_1)
	s_and_b32 exec_lo, exec_lo, s18
	s_cbranch_execnz .LBB956_237
	s_branch .LBB956_238
.LBB956_201:
	s_or_b32 exec_lo, exec_lo, s2
	v_mov_b32_e32 v83, s1
	s_and_saveexec_b32 s1, s39
	s_cbranch_execnz .LBB956_73
	s_branch .LBB956_74
.LBB956_202:
	s_or_b32 exec_lo, exec_lo, s18
	s_and_saveexec_b32 s18, s13
	s_cbranch_execz .LBB956_168
.LBB956_203:
	v_sub_nc_u32_e32 v13, v42, v5
	v_mov_b32_e32 v14, 0
	s_delay_alu instid0(VALU_DEP_1) | instskip(NEXT) | instid1(VALU_DEP_1)
	v_lshlrev_b64 v[13:14], 1, v[13:14]
	v_add_co_u32 v13, vcc_lo, v11, v13
	s_delay_alu instid0(VALU_DEP_2)
	v_add_co_ci_u32_e32 v14, vcc_lo, v12, v14, vcc_lo
	global_store_b16 v[13:14], v43, off
	s_or_b32 exec_lo, exec_lo, s18
	s_and_saveexec_b32 s18, s12
	s_cbranch_execnz .LBB956_169
.LBB956_204:
	s_or_b32 exec_lo, exec_lo, s18
	s_and_saveexec_b32 s18, s11
	s_cbranch_execz .LBB956_170
.LBB956_205:
	v_sub_nc_u32_e32 v13, v40, v5
	v_mov_b32_e32 v14, 0
	s_delay_alu instid0(VALU_DEP_1) | instskip(NEXT) | instid1(VALU_DEP_1)
	v_lshlrev_b64 v[13:14], 1, v[13:14]
	v_add_co_u32 v13, vcc_lo, v11, v13
	s_delay_alu instid0(VALU_DEP_2)
	v_add_co_ci_u32_e32 v14, vcc_lo, v12, v14, vcc_lo
	global_store_b16 v[13:14], v41, off
	s_or_b32 exec_lo, exec_lo, s18
	s_and_saveexec_b32 s18, s10
	s_cbranch_execnz .LBB956_171
.LBB956_206:
	s_or_b32 exec_lo, exec_lo, s18
	s_and_saveexec_b32 s18, s9
	s_cbranch_execz .LBB956_172
.LBB956_207:
	v_sub_nc_u32_e32 v13, v24, v5
	v_mov_b32_e32 v14, 0
	s_delay_alu instid0(VALU_DEP_1) | instskip(NEXT) | instid1(VALU_DEP_1)
	v_lshlrev_b64 v[13:14], 1, v[13:14]
	v_add_co_u32 v13, vcc_lo, v11, v13
	s_delay_alu instid0(VALU_DEP_2)
	v_add_co_ci_u32_e32 v14, vcc_lo, v12, v14, vcc_lo
	global_store_b16 v[13:14], v25, off
	s_or_b32 exec_lo, exec_lo, s18
	s_and_saveexec_b32 s18, s8
	s_cbranch_execnz .LBB956_173
.LBB956_208:
	s_or_b32 exec_lo, exec_lo, s18
	s_and_saveexec_b32 s18, s7
	s_cbranch_execz .LBB956_174
.LBB956_209:
	v_sub_nc_u32_e32 v13, v46, v5
	v_mov_b32_e32 v14, 0
	s_delay_alu instid0(VALU_DEP_1) | instskip(NEXT) | instid1(VALU_DEP_1)
	v_lshlrev_b64 v[13:14], 1, v[13:14]
	v_add_co_u32 v13, vcc_lo, v11, v13
	s_delay_alu instid0(VALU_DEP_2)
	v_add_co_ci_u32_e32 v14, vcc_lo, v12, v14, vcc_lo
	global_store_b16 v[13:14], v47, off
	s_or_b32 exec_lo, exec_lo, s18
	s_and_saveexec_b32 s18, s6
	s_cbranch_execnz .LBB956_175
.LBB956_210:
	s_or_b32 exec_lo, exec_lo, s18
	s_and_saveexec_b32 s18, s5
	s_cbranch_execz .LBB956_176
.LBB956_211:
	v_sub_nc_u32_e32 v13, v38, v5
	v_mov_b32_e32 v14, 0
	s_delay_alu instid0(VALU_DEP_1) | instskip(NEXT) | instid1(VALU_DEP_1)
	v_lshlrev_b64 v[13:14], 1, v[13:14]
	v_add_co_u32 v13, vcc_lo, v11, v13
	s_delay_alu instid0(VALU_DEP_2)
	v_add_co_ci_u32_e32 v14, vcc_lo, v12, v14, vcc_lo
	global_store_b16 v[13:14], v39, off
	s_or_b32 exec_lo, exec_lo, s18
	s_and_saveexec_b32 s18, s4
	s_cbranch_execnz .LBB956_177
.LBB956_212:
	s_or_b32 exec_lo, exec_lo, s18
	s_and_saveexec_b32 s18, s3
	s_cbranch_execz .LBB956_178
.LBB956_213:
	v_sub_nc_u32_e32 v13, v30, v5
	v_mov_b32_e32 v14, 0
	s_delay_alu instid0(VALU_DEP_1) | instskip(NEXT) | instid1(VALU_DEP_1)
	v_lshlrev_b64 v[13:14], 1, v[13:14]
	v_add_co_u32 v13, vcc_lo, v11, v13
	s_delay_alu instid0(VALU_DEP_2)
	v_add_co_ci_u32_e32 v14, vcc_lo, v12, v14, vcc_lo
	global_store_b16 v[13:14], v31, off
	s_or_b32 exec_lo, exec_lo, s18
	s_and_saveexec_b32 s18, s2
	s_cbranch_execnz .LBB956_179
.LBB956_214:
	s_or_b32 exec_lo, exec_lo, s18
	s_and_saveexec_b32 s18, s1
	s_cbranch_execz .LBB956_216
.LBB956_215:
	v_sub_nc_u32_e32 v13, v32, v5
	v_mov_b32_e32 v14, 0
	s_delay_alu instid0(VALU_DEP_1) | instskip(NEXT) | instid1(VALU_DEP_1)
	v_lshlrev_b64 v[13:14], 1, v[13:14]
	v_add_co_u32 v13, vcc_lo, v11, v13
	s_delay_alu instid0(VALU_DEP_2)
	v_add_co_ci_u32_e32 v14, vcc_lo, v12, v14, vcc_lo
	global_store_b16 v[13:14], v33, off
.LBB956_216:
	s_or_b32 exec_lo, exec_lo, s18
	s_delay_alu instid0(SALU_CYCLE_1)
	s_and_b32 s18, s0, exec_lo
	s_and_not1_saveexec_b32 s15, s15
	s_cbranch_execnz .LBB956_198
.LBB956_217:
	s_or_b32 exec_lo, exec_lo, s15
	s_delay_alu instid0(SALU_CYCLE_1)
	s_and_b32 exec_lo, exec_lo, s18
	s_cbranch_execz .LBB956_219
.LBB956_218:
	v_sub_nc_u32_e32 v13, v22, v5
	v_mov_b32_e32 v14, 0
	s_delay_alu instid0(VALU_DEP_1) | instskip(NEXT) | instid1(VALU_DEP_1)
	v_lshlrev_b64 v[13:14], 1, v[13:14]
	v_add_co_u32 v13, vcc_lo, v11, v13
	s_delay_alu instid0(VALU_DEP_2)
	v_add_co_ci_u32_e32 v14, vcc_lo, v12, v14, vcc_lo
	global_store_b16 v[13:14], v23, off
.LBB956_219:
	s_or_b32 exec_lo, exec_lo, s16
.LBB956_220:
	v_cmp_eq_u32_e32 vcc_lo, 0xff, v0
	s_and_b32 s0, vcc_lo, s17
	s_delay_alu instid0(SALU_CYCLE_1)
	s_and_saveexec_b32 s1, s0
	s_cbranch_execnz .LBB956_254
	s_branch .LBB956_256
.LBB956_221:
	s_or_b32 exec_lo, exec_lo, s18
	s_and_saveexec_b32 s14, s13
	s_cbranch_execz .LBB956_185
.LBB956_222:
	v_sub_nc_u32_e32 v7, v42, v5
	s_delay_alu instid0(VALU_DEP_1)
	v_lshlrev_b32_e32 v7, 1, v7
	ds_store_b16 v7, v43
	s_or_b32 exec_lo, exec_lo, s14
	s_and_saveexec_b32 s13, s12
	s_cbranch_execnz .LBB956_186
.LBB956_223:
	s_or_b32 exec_lo, exec_lo, s13
	s_and_saveexec_b32 s12, s11
	s_cbranch_execz .LBB956_187
.LBB956_224:
	v_sub_nc_u32_e32 v7, v40, v5
	s_delay_alu instid0(VALU_DEP_1)
	v_lshlrev_b32_e32 v7, 1, v7
	ds_store_b16 v7, v41
	s_or_b32 exec_lo, exec_lo, s12
	s_and_saveexec_b32 s11, s10
	s_cbranch_execnz .LBB956_188
.LBB956_225:
	s_or_b32 exec_lo, exec_lo, s11
	s_and_saveexec_b32 s10, s9
	s_cbranch_execz .LBB956_189
.LBB956_226:
	v_sub_nc_u32_e32 v7, v24, v5
	s_delay_alu instid0(VALU_DEP_1)
	v_lshlrev_b32_e32 v7, 1, v7
	ds_store_b16 v7, v25
	s_or_b32 exec_lo, exec_lo, s10
	s_and_saveexec_b32 s9, s8
	s_cbranch_execnz .LBB956_190
.LBB956_227:
	s_or_b32 exec_lo, exec_lo, s9
	s_and_saveexec_b32 s8, s7
	s_cbranch_execz .LBB956_191
.LBB956_228:
	v_sub_nc_u32_e32 v7, v46, v5
	s_delay_alu instid0(VALU_DEP_1)
	v_lshlrev_b32_e32 v7, 1, v7
	ds_store_b16 v7, v47
	s_or_b32 exec_lo, exec_lo, s8
	s_and_saveexec_b32 s7, s6
	s_cbranch_execnz .LBB956_192
.LBB956_229:
	s_or_b32 exec_lo, exec_lo, s7
	s_and_saveexec_b32 s6, s5
	s_cbranch_execz .LBB956_193
.LBB956_230:
	v_sub_nc_u32_e32 v7, v38, v5
	s_delay_alu instid0(VALU_DEP_1)
	v_lshlrev_b32_e32 v7, 1, v7
	ds_store_b16 v7, v39
	s_or_b32 exec_lo, exec_lo, s6
	s_and_saveexec_b32 s5, s4
	s_cbranch_execnz .LBB956_194
.LBB956_231:
	s_or_b32 exec_lo, exec_lo, s5
	s_and_saveexec_b32 s4, s3
	s_cbranch_execz .LBB956_195
.LBB956_232:
	v_sub_nc_u32_e32 v7, v30, v5
	s_delay_alu instid0(VALU_DEP_1)
	v_lshlrev_b32_e32 v7, 1, v7
	ds_store_b16 v7, v31
	s_or_b32 exec_lo, exec_lo, s4
	s_and_saveexec_b32 s3, s2
	s_cbranch_execnz .LBB956_196
.LBB956_233:
	s_or_b32 exec_lo, exec_lo, s3
	s_and_saveexec_b32 s2, s1
	s_cbranch_execz .LBB956_235
.LBB956_234:
	v_sub_nc_u32_e32 v7, v32, v5
	s_delay_alu instid0(VALU_DEP_1)
	v_lshlrev_b32_e32 v7, 1, v7
	ds_store_b16 v7, v33
.LBB956_235:
	s_or_b32 exec_lo, exec_lo, s2
	s_delay_alu instid0(SALU_CYCLE_1)
	s_and_b32 s18, s0, exec_lo
                                        ; implicit-def: $vgpr48_vgpr49
                                        ; implicit-def: $vgpr42_vgpr43
                                        ; implicit-def: $vgpr44_vgpr45
                                        ; implicit-def: $vgpr40_vgpr41
                                        ; implicit-def: $vgpr28_vgpr29
                                        ; implicit-def: $vgpr24_vgpr25
                                        ; implicit-def: $vgpr26_vgpr27
                                        ; implicit-def: $vgpr46_vgpr47
                                        ; implicit-def: $vgpr50_vgpr51
                                        ; implicit-def: $vgpr38_vgpr39
                                        ; implicit-def: $vgpr36_vgpr37
                                        ; implicit-def: $vgpr30_vgpr31
                                        ; implicit-def: $vgpr34_vgpr35
                                        ; implicit-def: $vgpr32_vgpr33
	s_and_not1_saveexec_b32 s0, s16
	s_cbranch_execnz .LBB956_200
.LBB956_236:
	s_or_b32 exec_lo, exec_lo, s0
	s_delay_alu instid0(SALU_CYCLE_1)
	s_and_b32 exec_lo, exec_lo, s18
	s_cbranch_execz .LBB956_238
.LBB956_237:
	v_sub_nc_u32_e32 v5, v22, v5
	s_delay_alu instid0(VALU_DEP_1)
	v_lshlrev_b32_e32 v5, 1, v5
	ds_store_b16 v5, v23
.LBB956_238:
	s_or_b32 exec_lo, exec_lo, s15
	s_delay_alu instid0(SALU_CYCLE_1)
	s_mov_b32 s1, exec_lo
	s_waitcnt lgkmcnt(0)
	s_waitcnt_vscnt null, 0x0
	s_barrier
	buffer_gl0_inv
	v_cmpx_lt_u32_e64 v0, v3
	s_cbranch_execz .LBB956_253
; %bb.239:
	v_add_nc_u32_e32 v7, v2, v6
	s_mov_b32 s0, -1
	s_mov_b32 s3, exec_lo
	s_delay_alu instid0(VALU_DEP_1) | instskip(NEXT) | instid1(VALU_DEP_1)
	v_xad_u32 v5, v0, -1, v7
	v_sub_nc_u32_e32 v6, v5, v1
	v_mov_b32_e32 v5, v0
	s_delay_alu instid0(VALU_DEP_2)
	v_cmp_gt_u32_e64 s2, 0x1b00, v6
	v_cmpx_lt_u32_e32 0x1aff, v6
	s_cbranch_execz .LBB956_250
; %bb.240:
	v_sub_nc_u32_e32 v5, v0, v7
	s_mov_b32 s4, exec_lo
	s_delay_alu instid0(VALU_DEP_1) | instskip(SKIP_1) | instid1(VALU_DEP_2)
	v_add_nc_u32_e32 v1, v5, v1
	v_mov_b32_e32 v5, v0
	v_or_b32_e32 v1, 0xff, v1
	s_delay_alu instid0(VALU_DEP_1)
	v_cmpx_ge_u32_e64 v1, v0
	s_cbranch_execz .LBB956_249
; %bb.241:
	v_lshrrev_b32_e32 v13, 8, v6
	v_or_b32_e32 v1, 0x100, v0
	v_lshlrev_b32_e32 v14, 1, v0
	s_delay_alu instid0(VALU_DEP_3) | instskip(NEXT) | instid1(VALU_DEP_1)
	v_dual_mov_b32 v18, 0 :: v_dual_add_nc_u32 v5, -1, v13
	v_lshrrev_b32_e32 v6, 1, v5
	v_cmp_lt_u32_e32 vcc_lo, 13, v5
	s_delay_alu instid0(VALU_DEP_2)
	v_dual_mov_b32 v6, v1 :: v_dual_add_nc_u32 v15, 1, v6
	v_mov_b32_e32 v5, v0
	s_and_saveexec_b32 s0, vcc_lo
	s_cbranch_execz .LBB956_245
; %bb.242:
	v_mov_b32_e32 v6, v1
	v_dual_mov_b32 v17, v14 :: v_dual_and_b32 v16, -8, v15
	v_dual_mov_b32 v8, 0 :: v_dual_mov_b32 v5, v0
	s_mov_b32 s5, 0
	s_mov_b32 s6, 0
.LBB956_243:                            ; =>This Inner Loop Header: Depth=1
	s_delay_alu instid0(VALU_DEP_1) | instskip(NEXT) | instid1(VALU_DEP_2)
	v_dual_mov_b32 v7, v5 :: v_dual_add_nc_u32 v22, 0x200, v6
	v_dual_mov_b32 v35, v8 :: v_dual_add_nc_u32 v16, -8, v16
	v_dual_mov_b32 v23, v8 :: v_dual_add_nc_u32 v24, 0x400, v6
	s_delay_alu instid0(VALU_DEP_3) | instskip(SKIP_1) | instid1(VALU_DEP_4)
	v_lshlrev_b64 v[36:37], 1, v[7:8]
	v_dual_mov_b32 v25, v8 :: v_dual_add_nc_u32 v26, 0x600, v6
	v_cmp_eq_u32_e32 vcc_lo, 0, v16
	s_delay_alu instid0(VALU_DEP_4)
	v_lshlrev_b64 v[22:23], 1, v[22:23]
	v_dual_mov_b32 v27, v8 :: v_dual_add_nc_u32 v28, 0x800, v6
	s_add_i32 s6, s6, 16
	v_lshlrev_b64 v[24:25], 1, v[24:25]
	s_or_b32 s5, vcc_lo, s5
	v_add_co_u32 v36, vcc_lo, v11, v36
	v_dual_mov_b32 v29, v8 :: v_dual_add_nc_u32 v30, 0xa00, v6
	v_add_co_ci_u32_e32 v37, vcc_lo, v12, v37, vcc_lo
	v_lshlrev_b64 v[26:27], 1, v[26:27]
	v_add_co_u32 v22, vcc_lo, v11, v22
	v_dual_mov_b32 v31, v8 :: v_dual_add_nc_u32 v32, 0xc00, v6
	v_add_co_ci_u32_e32 v23, vcc_lo, v12, v23, vcc_lo
	v_lshlrev_b64 v[28:29], 1, v[28:29]
	;; [unrolled: 4-line block ×4, first 2 shown]
	v_add_co_u32 v28, vcc_lo, v11, v28
	ds_load_u16 v1, v17
	ds_load_u16 v19, v17 offset:512
	ds_load_u16 v42, v17 offset:1024
	ds_load_u16 v43, v17 offset:1536
	ds_load_u16 v44, v17 offset:2048
	ds_load_u16 v45, v17 offset:2560
	ds_load_u16 v46, v17 offset:3072
	ds_load_u16 v47, v17 offset:3584
	v_add_co_ci_u32_e32 v29, vcc_lo, v12, v29, vcc_lo
	v_lshlrev_b64 v[34:35], 1, v[34:35]
	v_add_co_u32 v30, vcc_lo, v11, v30
	v_lshlrev_b64 v[38:39], 1, v[7:8]
	v_add_nc_u32_e32 v7, 0x200, v5
	v_add_co_ci_u32_e32 v31, vcc_lo, v12, v31, vcc_lo
	v_add_co_u32 v32, vcc_lo, v11, v32
	v_add_co_ci_u32_e32 v33, vcc_lo, v12, v33, vcc_lo
	v_add_co_u32 v34, vcc_lo, v11, v34
	v_lshlrev_b64 v[40:41], 1, v[7:8]
	v_add_nc_u32_e32 v7, 0x400, v5
	v_add_co_ci_u32_e32 v35, vcc_lo, v12, v35, vcc_lo
	v_add_co_u32 v38, vcc_lo, v11, v38
	ds_load_u16 v48, v17 offset:4096
	ds_load_u16 v49, v17 offset:4608
	;; [unrolled: 1-line block ×8, first 2 shown]
	v_add_co_ci_u32_e32 v39, vcc_lo, v12, v39, vcc_lo
	s_waitcnt lgkmcnt(15)
	global_store_b16 v[36:37], v1, off
	v_lshlrev_b64 v[36:37], 1, v[7:8]
	v_add_nc_u32_e32 v7, 0x600, v5
	v_add_co_u32 v40, vcc_lo, v11, v40
	v_add_co_ci_u32_e32 v41, vcc_lo, v12, v41, vcc_lo
	s_waitcnt lgkmcnt(14)
	global_store_b16 v[38:39], v19, off
	v_lshlrev_b64 v[38:39], 1, v[7:8]
	v_add_nc_u32_e32 v7, 0x800, v5
	s_waitcnt lgkmcnt(13)
	global_store_b16 v[40:41], v42, off
	s_waitcnt lgkmcnt(12)
	global_store_b16 v[22:23], v43, off
	v_add_co_u32 v22, vcc_lo, v11, v36
	v_add_co_ci_u32_e32 v23, vcc_lo, v12, v37, vcc_lo
	v_lshlrev_b64 v[36:37], 1, v[7:8]
	v_add_nc_u32_e32 v7, 0xa00, v5
	v_add_co_u32 v38, vcc_lo, v11, v38
	v_add_co_ci_u32_e32 v39, vcc_lo, v12, v39, vcc_lo
	s_waitcnt lgkmcnt(11)
	global_store_b16 v[22:23], v44, off
	s_waitcnt lgkmcnt(10)
	global_store_b16 v[24:25], v45, off
	v_lshlrev_b64 v[22:23], 1, v[7:8]
	v_add_nc_u32_e32 v7, 0xc00, v5
	v_add_co_u32 v24, vcc_lo, v11, v36
	s_waitcnt lgkmcnt(9)
	global_store_b16 v[38:39], v46, off
	s_waitcnt lgkmcnt(8)
	global_store_b16 v[26:27], v47, off
	v_add_co_ci_u32_e32 v25, vcc_lo, v12, v37, vcc_lo
	v_lshlrev_b64 v[26:27], 1, v[7:8]
	v_add_nc_u32_e32 v7, 0xe00, v5
	v_add_co_u32 v22, vcc_lo, v11, v22
	v_add_co_ci_u32_e32 v23, vcc_lo, v12, v23, vcc_lo
	s_waitcnt lgkmcnt(7)
	global_store_b16 v[24:25], v48, off
	s_waitcnt lgkmcnt(6)
	global_store_b16 v[28:29], v49, off
	v_lshlrev_b64 v[24:25], 1, v[7:8]
	v_dual_mov_b32 v18, s6 :: v_dual_add_nc_u32 v17, 0x2000, v17
	s_waitcnt lgkmcnt(5)
	global_store_b16 v[22:23], v50, off
	v_add_co_u32 v22, vcc_lo, v11, v26
	v_add_nc_u32_e32 v5, 0x1000, v5
	v_add_co_ci_u32_e32 v23, vcc_lo, v12, v27, vcc_lo
	v_add_co_u32 v24, vcc_lo, v11, v24
	v_add_co_ci_u32_e32 v25, vcc_lo, v12, v25, vcc_lo
	s_waitcnt lgkmcnt(4)
	global_store_b16 v[30:31], v51, off
	s_waitcnt lgkmcnt(3)
	global_store_b16 v[22:23], v52, off
	;; [unrolled: 2-line block ×5, first 2 shown]
	s_and_not1_b32 exec_lo, exec_lo, s5
	s_cbranch_execnz .LBB956_243
; %bb.244:
	s_or_b32 exec_lo, exec_lo, s5
.LBB956_245:
	s_delay_alu instid0(SALU_CYCLE_1) | instskip(SKIP_3) | instid1(VALU_DEP_1)
	s_or_b32 exec_lo, exec_lo, s0
	v_and_b32_e32 v1, 7, v15
	s_mov_b32 s6, 0
	s_mov_b32 s5, exec_lo
	v_cmpx_ne_u32_e32 0, v1
	s_cbranch_execz .LBB956_248
; %bb.246:
	v_lshl_or_b32 v14, v18, 9, v14
	v_mov_b32_e32 v8, 0
	s_set_inst_prefetch_distance 0x1
	.p2align	6
.LBB956_247:                            ; =>This Inner Loop Header: Depth=1
	v_mov_b32_e32 v7, v5
	ds_load_u16 v19, v14
	ds_load_u16 v22, v14 offset:512
	v_add_nc_u32_e32 v14, 0x400, v14
	v_add_nc_u32_e32 v1, -1, v1
	v_add_nc_u32_e32 v5, 0x200, v5
	v_lshlrev_b64 v[15:16], 1, v[7:8]
	v_dual_mov_b32 v7, v6 :: v_dual_add_nc_u32 v6, 0x200, v6
	s_delay_alu instid0(VALU_DEP_4) | instskip(NEXT) | instid1(VALU_DEP_2)
	v_cmp_eq_u32_e32 vcc_lo, 0, v1
	v_lshlrev_b64 v[17:18], 1, v[7:8]
	s_delay_alu instid0(VALU_DEP_4) | instskip(NEXT) | instid1(VALU_DEP_1)
	v_add_co_u32 v15, s0, v11, v15
	v_add_co_ci_u32_e64 v16, s0, v12, v16, s0
	s_or_b32 s6, vcc_lo, s6
	s_delay_alu instid0(VALU_DEP_3) | instskip(NEXT) | instid1(VALU_DEP_1)
	v_add_co_u32 v17, s0, v11, v17
	v_add_co_ci_u32_e64 v18, s0, v12, v18, s0
	s_waitcnt lgkmcnt(1)
	global_store_b16 v[15:16], v19, off
	s_waitcnt lgkmcnt(0)
	global_store_b16 v[17:18], v22, off
	s_and_not1_b32 exec_lo, exec_lo, s6
	s_cbranch_execnz .LBB956_247
.LBB956_248:
	s_set_inst_prefetch_distance 0x2
	s_or_b32 exec_lo, exec_lo, s5
	v_add_nc_u32_e32 v1, 1, v13
	s_delay_alu instid0(VALU_DEP_1) | instskip(NEXT) | instid1(VALU_DEP_1)
	v_and_b32_e32 v5, 0x1fffffe, v1
	v_cmp_ne_u32_e32 vcc_lo, v1, v5
	v_lshl_or_b32 v5, v5, 8, v0
	s_or_not1_b32 s0, vcc_lo, exec_lo
.LBB956_249:
	s_or_b32 exec_lo, exec_lo, s4
	s_delay_alu instid0(SALU_CYCLE_1) | instskip(SKIP_1) | instid1(SALU_CYCLE_1)
	s_and_not1_b32 s2, s2, exec_lo
	s_and_b32 s0, s0, exec_lo
	s_or_b32 s2, s2, s0
.LBB956_250:
	s_or_b32 exec_lo, exec_lo, s3
	s_delay_alu instid0(VALU_DEP_2) | instid1(SALU_CYCLE_1)
	s_and_b32 exec_lo, exec_lo, s2
	s_cbranch_execz .LBB956_253
; %bb.251:
	v_dual_mov_b32 v6, 0 :: v_dual_lshlrev_b32 v1, 1, v5
	s_mov_b32 s2, 0
	.p2align	6
.LBB956_252:                            ; =>This Inner Loop Header: Depth=1
	ds_load_u16 v13, v1
	v_lshlrev_b64 v[7:8], 1, v[5:6]
	v_add_nc_u32_e32 v5, 0x100, v5
	v_add_nc_u32_e32 v1, 0x200, v1
	s_delay_alu instid0(VALU_DEP_2) | instskip(NEXT) | instid1(VALU_DEP_4)
	v_cmp_ge_u32_e32 vcc_lo, v5, v3
	v_add_co_u32 v7, s0, v11, v7
	s_delay_alu instid0(VALU_DEP_1)
	v_add_co_ci_u32_e64 v8, s0, v12, v8, s0
	s_or_b32 s2, vcc_lo, s2
	s_waitcnt lgkmcnt(0)
	global_store_b16 v[7:8], v13, off
	s_and_not1_b32 exec_lo, exec_lo, s2
	s_cbranch_execnz .LBB956_252
.LBB956_253:
	s_or_b32 exec_lo, exec_lo, s1
	v_cmp_eq_u32_e32 vcc_lo, 0xff, v0
	s_and_b32 s0, vcc_lo, s17
	s_delay_alu instid0(SALU_CYCLE_1)
	s_and_saveexec_b32 s1, s0
	s_cbranch_execz .LBB956_256
.LBB956_254:
	v_add_co_u32 v0, s0, v2, v4
	s_delay_alu instid0(VALU_DEP_1) | instskip(SKIP_1) | instid1(VALU_DEP_3)
	v_add_co_ci_u32_e64 v1, null, 0, 0, s0
	v_mov_b32_e32 v3, 0
	v_add_co_u32 v0, vcc_lo, v0, v20
	s_delay_alu instid0(VALU_DEP_3)
	v_add_co_ci_u32_e32 v1, vcc_lo, v1, v21, vcc_lo
	s_cmpk_lg_i32 s33, 0xf00
	global_store_b64 v3, v[0:1], s[26:27]
	s_cbranch_scc1 .LBB956_256
; %bb.255:
	v_lshlrev_b64 v[0:1], 1, v[2:3]
	s_delay_alu instid0(VALU_DEP_1) | instskip(NEXT) | instid1(VALU_DEP_2)
	v_add_co_u32 v0, vcc_lo, v9, v0
	v_add_co_ci_u32_e32 v1, vcc_lo, v10, v1, vcc_lo
	global_store_b16 v[0:1], v82, off offset:-2
	s_nop 0
	s_sendmsg sendmsg(MSG_DEALLOC_VGPRS)
	s_endpgm
.LBB956_256:
	s_nop 0
	s_sendmsg sendmsg(MSG_DEALLOC_VGPRS)
	s_endpgm
	.section	.rodata,"a",@progbits
	.p2align	6, 0x0
	.amdhsa_kernel _ZN7rocprim17ROCPRIM_400000_NS6detail17trampoline_kernelINS0_14default_configENS1_29reduce_by_key_config_selectorIjtN6thrust23THRUST_200600_302600_NS4plusItEEEEZZNS1_33reduce_by_key_impl_wrapped_configILNS1_25lookback_scan_determinismE0ES3_S9_NS6_6detail15normal_iteratorINS6_10device_ptrIjEEEENSD_INSE_ItEEEENS6_16discard_iteratorINS6_11use_defaultEEESI_PmS8_NS6_8equal_toIjEEEE10hipError_tPvRmT2_T3_mT4_T5_T6_T7_T8_P12ihipStream_tbENKUlT_T0_E_clISt17integral_constantIbLb0EES16_EEDaS11_S12_EUlS11_E_NS1_11comp_targetILNS1_3genE9ELNS1_11target_archE1100ELNS1_3gpuE3ELNS1_3repE0EEENS1_30default_config_static_selectorELNS0_4arch9wavefront6targetE0EEEvT1_
		.amdhsa_group_segment_fixed_size 15360
		.amdhsa_private_segment_fixed_size 0
		.amdhsa_kernarg_size 128
		.amdhsa_user_sgpr_count 15
		.amdhsa_user_sgpr_dispatch_ptr 0
		.amdhsa_user_sgpr_queue_ptr 0
		.amdhsa_user_sgpr_kernarg_segment_ptr 1
		.amdhsa_user_sgpr_dispatch_id 0
		.amdhsa_user_sgpr_private_segment_size 0
		.amdhsa_wavefront_size32 1
		.amdhsa_uses_dynamic_stack 0
		.amdhsa_enable_private_segment 0
		.amdhsa_system_sgpr_workgroup_id_x 1
		.amdhsa_system_sgpr_workgroup_id_y 0
		.amdhsa_system_sgpr_workgroup_id_z 0
		.amdhsa_system_sgpr_workgroup_info 0
		.amdhsa_system_vgpr_workitem_id 0
		.amdhsa_next_free_vgpr 89
		.amdhsa_next_free_sgpr 42
		.amdhsa_reserve_vcc 1
		.amdhsa_float_round_mode_32 0
		.amdhsa_float_round_mode_16_64 0
		.amdhsa_float_denorm_mode_32 3
		.amdhsa_float_denorm_mode_16_64 3
		.amdhsa_dx10_clamp 1
		.amdhsa_ieee_mode 1
		.amdhsa_fp16_overflow 0
		.amdhsa_workgroup_processor_mode 1
		.amdhsa_memory_ordered 1
		.amdhsa_forward_progress 0
		.amdhsa_shared_vgpr_count 0
		.amdhsa_exception_fp_ieee_invalid_op 0
		.amdhsa_exception_fp_denorm_src 0
		.amdhsa_exception_fp_ieee_div_zero 0
		.amdhsa_exception_fp_ieee_overflow 0
		.amdhsa_exception_fp_ieee_underflow 0
		.amdhsa_exception_fp_ieee_inexact 0
		.amdhsa_exception_int_div_zero 0
	.end_amdhsa_kernel
	.section	.text._ZN7rocprim17ROCPRIM_400000_NS6detail17trampoline_kernelINS0_14default_configENS1_29reduce_by_key_config_selectorIjtN6thrust23THRUST_200600_302600_NS4plusItEEEEZZNS1_33reduce_by_key_impl_wrapped_configILNS1_25lookback_scan_determinismE0ES3_S9_NS6_6detail15normal_iteratorINS6_10device_ptrIjEEEENSD_INSE_ItEEEENS6_16discard_iteratorINS6_11use_defaultEEESI_PmS8_NS6_8equal_toIjEEEE10hipError_tPvRmT2_T3_mT4_T5_T6_T7_T8_P12ihipStream_tbENKUlT_T0_E_clISt17integral_constantIbLb0EES16_EEDaS11_S12_EUlS11_E_NS1_11comp_targetILNS1_3genE9ELNS1_11target_archE1100ELNS1_3gpuE3ELNS1_3repE0EEENS1_30default_config_static_selectorELNS0_4arch9wavefront6targetE0EEEvT1_,"axG",@progbits,_ZN7rocprim17ROCPRIM_400000_NS6detail17trampoline_kernelINS0_14default_configENS1_29reduce_by_key_config_selectorIjtN6thrust23THRUST_200600_302600_NS4plusItEEEEZZNS1_33reduce_by_key_impl_wrapped_configILNS1_25lookback_scan_determinismE0ES3_S9_NS6_6detail15normal_iteratorINS6_10device_ptrIjEEEENSD_INSE_ItEEEENS6_16discard_iteratorINS6_11use_defaultEEESI_PmS8_NS6_8equal_toIjEEEE10hipError_tPvRmT2_T3_mT4_T5_T6_T7_T8_P12ihipStream_tbENKUlT_T0_E_clISt17integral_constantIbLb0EES16_EEDaS11_S12_EUlS11_E_NS1_11comp_targetILNS1_3genE9ELNS1_11target_archE1100ELNS1_3gpuE3ELNS1_3repE0EEENS1_30default_config_static_selectorELNS0_4arch9wavefront6targetE0EEEvT1_,comdat
.Lfunc_end956:
	.size	_ZN7rocprim17ROCPRIM_400000_NS6detail17trampoline_kernelINS0_14default_configENS1_29reduce_by_key_config_selectorIjtN6thrust23THRUST_200600_302600_NS4plusItEEEEZZNS1_33reduce_by_key_impl_wrapped_configILNS1_25lookback_scan_determinismE0ES3_S9_NS6_6detail15normal_iteratorINS6_10device_ptrIjEEEENSD_INSE_ItEEEENS6_16discard_iteratorINS6_11use_defaultEEESI_PmS8_NS6_8equal_toIjEEEE10hipError_tPvRmT2_T3_mT4_T5_T6_T7_T8_P12ihipStream_tbENKUlT_T0_E_clISt17integral_constantIbLb0EES16_EEDaS11_S12_EUlS11_E_NS1_11comp_targetILNS1_3genE9ELNS1_11target_archE1100ELNS1_3gpuE3ELNS1_3repE0EEENS1_30default_config_static_selectorELNS0_4arch9wavefront6targetE0EEEvT1_, .Lfunc_end956-_ZN7rocprim17ROCPRIM_400000_NS6detail17trampoline_kernelINS0_14default_configENS1_29reduce_by_key_config_selectorIjtN6thrust23THRUST_200600_302600_NS4plusItEEEEZZNS1_33reduce_by_key_impl_wrapped_configILNS1_25lookback_scan_determinismE0ES3_S9_NS6_6detail15normal_iteratorINS6_10device_ptrIjEEEENSD_INSE_ItEEEENS6_16discard_iteratorINS6_11use_defaultEEESI_PmS8_NS6_8equal_toIjEEEE10hipError_tPvRmT2_T3_mT4_T5_T6_T7_T8_P12ihipStream_tbENKUlT_T0_E_clISt17integral_constantIbLb0EES16_EEDaS11_S12_EUlS11_E_NS1_11comp_targetILNS1_3genE9ELNS1_11target_archE1100ELNS1_3gpuE3ELNS1_3repE0EEENS1_30default_config_static_selectorELNS0_4arch9wavefront6targetE0EEEvT1_
                                        ; -- End function
	.section	.AMDGPU.csdata,"",@progbits
; Kernel info:
; codeLenInByte = 18124
; NumSgprs: 44
; NumVgprs: 89
; ScratchSize: 0
; MemoryBound: 0
; FloatMode: 240
; IeeeMode: 1
; LDSByteSize: 15360 bytes/workgroup (compile time only)
; SGPRBlocks: 5
; VGPRBlocks: 11
; NumSGPRsForWavesPerEU: 44
; NumVGPRsForWavesPerEU: 89
; Occupancy: 16
; WaveLimiterHint : 1
; COMPUTE_PGM_RSRC2:SCRATCH_EN: 0
; COMPUTE_PGM_RSRC2:USER_SGPR: 15
; COMPUTE_PGM_RSRC2:TRAP_HANDLER: 0
; COMPUTE_PGM_RSRC2:TGID_X_EN: 1
; COMPUTE_PGM_RSRC2:TGID_Y_EN: 0
; COMPUTE_PGM_RSRC2:TGID_Z_EN: 0
; COMPUTE_PGM_RSRC2:TIDIG_COMP_CNT: 0
	.section	.text._ZN7rocprim17ROCPRIM_400000_NS6detail17trampoline_kernelINS0_14default_configENS1_29reduce_by_key_config_selectorIjtN6thrust23THRUST_200600_302600_NS4plusItEEEEZZNS1_33reduce_by_key_impl_wrapped_configILNS1_25lookback_scan_determinismE0ES3_S9_NS6_6detail15normal_iteratorINS6_10device_ptrIjEEEENSD_INSE_ItEEEENS6_16discard_iteratorINS6_11use_defaultEEESI_PmS8_NS6_8equal_toIjEEEE10hipError_tPvRmT2_T3_mT4_T5_T6_T7_T8_P12ihipStream_tbENKUlT_T0_E_clISt17integral_constantIbLb0EES16_EEDaS11_S12_EUlS11_E_NS1_11comp_targetILNS1_3genE8ELNS1_11target_archE1030ELNS1_3gpuE2ELNS1_3repE0EEENS1_30default_config_static_selectorELNS0_4arch9wavefront6targetE0EEEvT1_,"axG",@progbits,_ZN7rocprim17ROCPRIM_400000_NS6detail17trampoline_kernelINS0_14default_configENS1_29reduce_by_key_config_selectorIjtN6thrust23THRUST_200600_302600_NS4plusItEEEEZZNS1_33reduce_by_key_impl_wrapped_configILNS1_25lookback_scan_determinismE0ES3_S9_NS6_6detail15normal_iteratorINS6_10device_ptrIjEEEENSD_INSE_ItEEEENS6_16discard_iteratorINS6_11use_defaultEEESI_PmS8_NS6_8equal_toIjEEEE10hipError_tPvRmT2_T3_mT4_T5_T6_T7_T8_P12ihipStream_tbENKUlT_T0_E_clISt17integral_constantIbLb0EES16_EEDaS11_S12_EUlS11_E_NS1_11comp_targetILNS1_3genE8ELNS1_11target_archE1030ELNS1_3gpuE2ELNS1_3repE0EEENS1_30default_config_static_selectorELNS0_4arch9wavefront6targetE0EEEvT1_,comdat
	.protected	_ZN7rocprim17ROCPRIM_400000_NS6detail17trampoline_kernelINS0_14default_configENS1_29reduce_by_key_config_selectorIjtN6thrust23THRUST_200600_302600_NS4plusItEEEEZZNS1_33reduce_by_key_impl_wrapped_configILNS1_25lookback_scan_determinismE0ES3_S9_NS6_6detail15normal_iteratorINS6_10device_ptrIjEEEENSD_INSE_ItEEEENS6_16discard_iteratorINS6_11use_defaultEEESI_PmS8_NS6_8equal_toIjEEEE10hipError_tPvRmT2_T3_mT4_T5_T6_T7_T8_P12ihipStream_tbENKUlT_T0_E_clISt17integral_constantIbLb0EES16_EEDaS11_S12_EUlS11_E_NS1_11comp_targetILNS1_3genE8ELNS1_11target_archE1030ELNS1_3gpuE2ELNS1_3repE0EEENS1_30default_config_static_selectorELNS0_4arch9wavefront6targetE0EEEvT1_ ; -- Begin function _ZN7rocprim17ROCPRIM_400000_NS6detail17trampoline_kernelINS0_14default_configENS1_29reduce_by_key_config_selectorIjtN6thrust23THRUST_200600_302600_NS4plusItEEEEZZNS1_33reduce_by_key_impl_wrapped_configILNS1_25lookback_scan_determinismE0ES3_S9_NS6_6detail15normal_iteratorINS6_10device_ptrIjEEEENSD_INSE_ItEEEENS6_16discard_iteratorINS6_11use_defaultEEESI_PmS8_NS6_8equal_toIjEEEE10hipError_tPvRmT2_T3_mT4_T5_T6_T7_T8_P12ihipStream_tbENKUlT_T0_E_clISt17integral_constantIbLb0EES16_EEDaS11_S12_EUlS11_E_NS1_11comp_targetILNS1_3genE8ELNS1_11target_archE1030ELNS1_3gpuE2ELNS1_3repE0EEENS1_30default_config_static_selectorELNS0_4arch9wavefront6targetE0EEEvT1_
	.globl	_ZN7rocprim17ROCPRIM_400000_NS6detail17trampoline_kernelINS0_14default_configENS1_29reduce_by_key_config_selectorIjtN6thrust23THRUST_200600_302600_NS4plusItEEEEZZNS1_33reduce_by_key_impl_wrapped_configILNS1_25lookback_scan_determinismE0ES3_S9_NS6_6detail15normal_iteratorINS6_10device_ptrIjEEEENSD_INSE_ItEEEENS6_16discard_iteratorINS6_11use_defaultEEESI_PmS8_NS6_8equal_toIjEEEE10hipError_tPvRmT2_T3_mT4_T5_T6_T7_T8_P12ihipStream_tbENKUlT_T0_E_clISt17integral_constantIbLb0EES16_EEDaS11_S12_EUlS11_E_NS1_11comp_targetILNS1_3genE8ELNS1_11target_archE1030ELNS1_3gpuE2ELNS1_3repE0EEENS1_30default_config_static_selectorELNS0_4arch9wavefront6targetE0EEEvT1_
	.p2align	8
	.type	_ZN7rocprim17ROCPRIM_400000_NS6detail17trampoline_kernelINS0_14default_configENS1_29reduce_by_key_config_selectorIjtN6thrust23THRUST_200600_302600_NS4plusItEEEEZZNS1_33reduce_by_key_impl_wrapped_configILNS1_25lookback_scan_determinismE0ES3_S9_NS6_6detail15normal_iteratorINS6_10device_ptrIjEEEENSD_INSE_ItEEEENS6_16discard_iteratorINS6_11use_defaultEEESI_PmS8_NS6_8equal_toIjEEEE10hipError_tPvRmT2_T3_mT4_T5_T6_T7_T8_P12ihipStream_tbENKUlT_T0_E_clISt17integral_constantIbLb0EES16_EEDaS11_S12_EUlS11_E_NS1_11comp_targetILNS1_3genE8ELNS1_11target_archE1030ELNS1_3gpuE2ELNS1_3repE0EEENS1_30default_config_static_selectorELNS0_4arch9wavefront6targetE0EEEvT1_,@function
_ZN7rocprim17ROCPRIM_400000_NS6detail17trampoline_kernelINS0_14default_configENS1_29reduce_by_key_config_selectorIjtN6thrust23THRUST_200600_302600_NS4plusItEEEEZZNS1_33reduce_by_key_impl_wrapped_configILNS1_25lookback_scan_determinismE0ES3_S9_NS6_6detail15normal_iteratorINS6_10device_ptrIjEEEENSD_INSE_ItEEEENS6_16discard_iteratorINS6_11use_defaultEEESI_PmS8_NS6_8equal_toIjEEEE10hipError_tPvRmT2_T3_mT4_T5_T6_T7_T8_P12ihipStream_tbENKUlT_T0_E_clISt17integral_constantIbLb0EES16_EEDaS11_S12_EUlS11_E_NS1_11comp_targetILNS1_3genE8ELNS1_11target_archE1030ELNS1_3gpuE2ELNS1_3repE0EEENS1_30default_config_static_selectorELNS0_4arch9wavefront6targetE0EEEvT1_: ; @_ZN7rocprim17ROCPRIM_400000_NS6detail17trampoline_kernelINS0_14default_configENS1_29reduce_by_key_config_selectorIjtN6thrust23THRUST_200600_302600_NS4plusItEEEEZZNS1_33reduce_by_key_impl_wrapped_configILNS1_25lookback_scan_determinismE0ES3_S9_NS6_6detail15normal_iteratorINS6_10device_ptrIjEEEENSD_INSE_ItEEEENS6_16discard_iteratorINS6_11use_defaultEEESI_PmS8_NS6_8equal_toIjEEEE10hipError_tPvRmT2_T3_mT4_T5_T6_T7_T8_P12ihipStream_tbENKUlT_T0_E_clISt17integral_constantIbLb0EES16_EEDaS11_S12_EUlS11_E_NS1_11comp_targetILNS1_3genE8ELNS1_11target_archE1030ELNS1_3gpuE2ELNS1_3repE0EEENS1_30default_config_static_selectorELNS0_4arch9wavefront6targetE0EEEvT1_
; %bb.0:
	.section	.rodata,"a",@progbits
	.p2align	6, 0x0
	.amdhsa_kernel _ZN7rocprim17ROCPRIM_400000_NS6detail17trampoline_kernelINS0_14default_configENS1_29reduce_by_key_config_selectorIjtN6thrust23THRUST_200600_302600_NS4plusItEEEEZZNS1_33reduce_by_key_impl_wrapped_configILNS1_25lookback_scan_determinismE0ES3_S9_NS6_6detail15normal_iteratorINS6_10device_ptrIjEEEENSD_INSE_ItEEEENS6_16discard_iteratorINS6_11use_defaultEEESI_PmS8_NS6_8equal_toIjEEEE10hipError_tPvRmT2_T3_mT4_T5_T6_T7_T8_P12ihipStream_tbENKUlT_T0_E_clISt17integral_constantIbLb0EES16_EEDaS11_S12_EUlS11_E_NS1_11comp_targetILNS1_3genE8ELNS1_11target_archE1030ELNS1_3gpuE2ELNS1_3repE0EEENS1_30default_config_static_selectorELNS0_4arch9wavefront6targetE0EEEvT1_
		.amdhsa_group_segment_fixed_size 0
		.amdhsa_private_segment_fixed_size 0
		.amdhsa_kernarg_size 128
		.amdhsa_user_sgpr_count 15
		.amdhsa_user_sgpr_dispatch_ptr 0
		.amdhsa_user_sgpr_queue_ptr 0
		.amdhsa_user_sgpr_kernarg_segment_ptr 1
		.amdhsa_user_sgpr_dispatch_id 0
		.amdhsa_user_sgpr_private_segment_size 0
		.amdhsa_wavefront_size32 1
		.amdhsa_uses_dynamic_stack 0
		.amdhsa_enable_private_segment 0
		.amdhsa_system_sgpr_workgroup_id_x 1
		.amdhsa_system_sgpr_workgroup_id_y 0
		.amdhsa_system_sgpr_workgroup_id_z 0
		.amdhsa_system_sgpr_workgroup_info 0
		.amdhsa_system_vgpr_workitem_id 0
		.amdhsa_next_free_vgpr 1
		.amdhsa_next_free_sgpr 1
		.amdhsa_reserve_vcc 0
		.amdhsa_float_round_mode_32 0
		.amdhsa_float_round_mode_16_64 0
		.amdhsa_float_denorm_mode_32 3
		.amdhsa_float_denorm_mode_16_64 3
		.amdhsa_dx10_clamp 1
		.amdhsa_ieee_mode 1
		.amdhsa_fp16_overflow 0
		.amdhsa_workgroup_processor_mode 1
		.amdhsa_memory_ordered 1
		.amdhsa_forward_progress 0
		.amdhsa_shared_vgpr_count 0
		.amdhsa_exception_fp_ieee_invalid_op 0
		.amdhsa_exception_fp_denorm_src 0
		.amdhsa_exception_fp_ieee_div_zero 0
		.amdhsa_exception_fp_ieee_overflow 0
		.amdhsa_exception_fp_ieee_underflow 0
		.amdhsa_exception_fp_ieee_inexact 0
		.amdhsa_exception_int_div_zero 0
	.end_amdhsa_kernel
	.section	.text._ZN7rocprim17ROCPRIM_400000_NS6detail17trampoline_kernelINS0_14default_configENS1_29reduce_by_key_config_selectorIjtN6thrust23THRUST_200600_302600_NS4plusItEEEEZZNS1_33reduce_by_key_impl_wrapped_configILNS1_25lookback_scan_determinismE0ES3_S9_NS6_6detail15normal_iteratorINS6_10device_ptrIjEEEENSD_INSE_ItEEEENS6_16discard_iteratorINS6_11use_defaultEEESI_PmS8_NS6_8equal_toIjEEEE10hipError_tPvRmT2_T3_mT4_T5_T6_T7_T8_P12ihipStream_tbENKUlT_T0_E_clISt17integral_constantIbLb0EES16_EEDaS11_S12_EUlS11_E_NS1_11comp_targetILNS1_3genE8ELNS1_11target_archE1030ELNS1_3gpuE2ELNS1_3repE0EEENS1_30default_config_static_selectorELNS0_4arch9wavefront6targetE0EEEvT1_,"axG",@progbits,_ZN7rocprim17ROCPRIM_400000_NS6detail17trampoline_kernelINS0_14default_configENS1_29reduce_by_key_config_selectorIjtN6thrust23THRUST_200600_302600_NS4plusItEEEEZZNS1_33reduce_by_key_impl_wrapped_configILNS1_25lookback_scan_determinismE0ES3_S9_NS6_6detail15normal_iteratorINS6_10device_ptrIjEEEENSD_INSE_ItEEEENS6_16discard_iteratorINS6_11use_defaultEEESI_PmS8_NS6_8equal_toIjEEEE10hipError_tPvRmT2_T3_mT4_T5_T6_T7_T8_P12ihipStream_tbENKUlT_T0_E_clISt17integral_constantIbLb0EES16_EEDaS11_S12_EUlS11_E_NS1_11comp_targetILNS1_3genE8ELNS1_11target_archE1030ELNS1_3gpuE2ELNS1_3repE0EEENS1_30default_config_static_selectorELNS0_4arch9wavefront6targetE0EEEvT1_,comdat
.Lfunc_end957:
	.size	_ZN7rocprim17ROCPRIM_400000_NS6detail17trampoline_kernelINS0_14default_configENS1_29reduce_by_key_config_selectorIjtN6thrust23THRUST_200600_302600_NS4plusItEEEEZZNS1_33reduce_by_key_impl_wrapped_configILNS1_25lookback_scan_determinismE0ES3_S9_NS6_6detail15normal_iteratorINS6_10device_ptrIjEEEENSD_INSE_ItEEEENS6_16discard_iteratorINS6_11use_defaultEEESI_PmS8_NS6_8equal_toIjEEEE10hipError_tPvRmT2_T3_mT4_T5_T6_T7_T8_P12ihipStream_tbENKUlT_T0_E_clISt17integral_constantIbLb0EES16_EEDaS11_S12_EUlS11_E_NS1_11comp_targetILNS1_3genE8ELNS1_11target_archE1030ELNS1_3gpuE2ELNS1_3repE0EEENS1_30default_config_static_selectorELNS0_4arch9wavefront6targetE0EEEvT1_, .Lfunc_end957-_ZN7rocprim17ROCPRIM_400000_NS6detail17trampoline_kernelINS0_14default_configENS1_29reduce_by_key_config_selectorIjtN6thrust23THRUST_200600_302600_NS4plusItEEEEZZNS1_33reduce_by_key_impl_wrapped_configILNS1_25lookback_scan_determinismE0ES3_S9_NS6_6detail15normal_iteratorINS6_10device_ptrIjEEEENSD_INSE_ItEEEENS6_16discard_iteratorINS6_11use_defaultEEESI_PmS8_NS6_8equal_toIjEEEE10hipError_tPvRmT2_T3_mT4_T5_T6_T7_T8_P12ihipStream_tbENKUlT_T0_E_clISt17integral_constantIbLb0EES16_EEDaS11_S12_EUlS11_E_NS1_11comp_targetILNS1_3genE8ELNS1_11target_archE1030ELNS1_3gpuE2ELNS1_3repE0EEENS1_30default_config_static_selectorELNS0_4arch9wavefront6targetE0EEEvT1_
                                        ; -- End function
	.section	.AMDGPU.csdata,"",@progbits
; Kernel info:
; codeLenInByte = 0
; NumSgprs: 0
; NumVgprs: 0
; ScratchSize: 0
; MemoryBound: 0
; FloatMode: 240
; IeeeMode: 1
; LDSByteSize: 0 bytes/workgroup (compile time only)
; SGPRBlocks: 0
; VGPRBlocks: 0
; NumSGPRsForWavesPerEU: 1
; NumVGPRsForWavesPerEU: 1
; Occupancy: 16
; WaveLimiterHint : 0
; COMPUTE_PGM_RSRC2:SCRATCH_EN: 0
; COMPUTE_PGM_RSRC2:USER_SGPR: 15
; COMPUTE_PGM_RSRC2:TRAP_HANDLER: 0
; COMPUTE_PGM_RSRC2:TGID_X_EN: 1
; COMPUTE_PGM_RSRC2:TGID_Y_EN: 0
; COMPUTE_PGM_RSRC2:TGID_Z_EN: 0
; COMPUTE_PGM_RSRC2:TIDIG_COMP_CNT: 0
	.section	.text._ZN7rocprim17ROCPRIM_400000_NS6detail17trampoline_kernelINS0_14default_configENS1_29reduce_by_key_config_selectorIjtN6thrust23THRUST_200600_302600_NS4plusItEEEEZZNS1_33reduce_by_key_impl_wrapped_configILNS1_25lookback_scan_determinismE0ES3_S9_NS6_6detail15normal_iteratorINS6_10device_ptrIjEEEENSD_INSE_ItEEEENS6_16discard_iteratorINS6_11use_defaultEEESI_PmS8_NS6_8equal_toIjEEEE10hipError_tPvRmT2_T3_mT4_T5_T6_T7_T8_P12ihipStream_tbENKUlT_T0_E_clISt17integral_constantIbLb1EES16_EEDaS11_S12_EUlS11_E_NS1_11comp_targetILNS1_3genE0ELNS1_11target_archE4294967295ELNS1_3gpuE0ELNS1_3repE0EEENS1_30default_config_static_selectorELNS0_4arch9wavefront6targetE0EEEvT1_,"axG",@progbits,_ZN7rocprim17ROCPRIM_400000_NS6detail17trampoline_kernelINS0_14default_configENS1_29reduce_by_key_config_selectorIjtN6thrust23THRUST_200600_302600_NS4plusItEEEEZZNS1_33reduce_by_key_impl_wrapped_configILNS1_25lookback_scan_determinismE0ES3_S9_NS6_6detail15normal_iteratorINS6_10device_ptrIjEEEENSD_INSE_ItEEEENS6_16discard_iteratorINS6_11use_defaultEEESI_PmS8_NS6_8equal_toIjEEEE10hipError_tPvRmT2_T3_mT4_T5_T6_T7_T8_P12ihipStream_tbENKUlT_T0_E_clISt17integral_constantIbLb1EES16_EEDaS11_S12_EUlS11_E_NS1_11comp_targetILNS1_3genE0ELNS1_11target_archE4294967295ELNS1_3gpuE0ELNS1_3repE0EEENS1_30default_config_static_selectorELNS0_4arch9wavefront6targetE0EEEvT1_,comdat
	.protected	_ZN7rocprim17ROCPRIM_400000_NS6detail17trampoline_kernelINS0_14default_configENS1_29reduce_by_key_config_selectorIjtN6thrust23THRUST_200600_302600_NS4plusItEEEEZZNS1_33reduce_by_key_impl_wrapped_configILNS1_25lookback_scan_determinismE0ES3_S9_NS6_6detail15normal_iteratorINS6_10device_ptrIjEEEENSD_INSE_ItEEEENS6_16discard_iteratorINS6_11use_defaultEEESI_PmS8_NS6_8equal_toIjEEEE10hipError_tPvRmT2_T3_mT4_T5_T6_T7_T8_P12ihipStream_tbENKUlT_T0_E_clISt17integral_constantIbLb1EES16_EEDaS11_S12_EUlS11_E_NS1_11comp_targetILNS1_3genE0ELNS1_11target_archE4294967295ELNS1_3gpuE0ELNS1_3repE0EEENS1_30default_config_static_selectorELNS0_4arch9wavefront6targetE0EEEvT1_ ; -- Begin function _ZN7rocprim17ROCPRIM_400000_NS6detail17trampoline_kernelINS0_14default_configENS1_29reduce_by_key_config_selectorIjtN6thrust23THRUST_200600_302600_NS4plusItEEEEZZNS1_33reduce_by_key_impl_wrapped_configILNS1_25lookback_scan_determinismE0ES3_S9_NS6_6detail15normal_iteratorINS6_10device_ptrIjEEEENSD_INSE_ItEEEENS6_16discard_iteratorINS6_11use_defaultEEESI_PmS8_NS6_8equal_toIjEEEE10hipError_tPvRmT2_T3_mT4_T5_T6_T7_T8_P12ihipStream_tbENKUlT_T0_E_clISt17integral_constantIbLb1EES16_EEDaS11_S12_EUlS11_E_NS1_11comp_targetILNS1_3genE0ELNS1_11target_archE4294967295ELNS1_3gpuE0ELNS1_3repE0EEENS1_30default_config_static_selectorELNS0_4arch9wavefront6targetE0EEEvT1_
	.globl	_ZN7rocprim17ROCPRIM_400000_NS6detail17trampoline_kernelINS0_14default_configENS1_29reduce_by_key_config_selectorIjtN6thrust23THRUST_200600_302600_NS4plusItEEEEZZNS1_33reduce_by_key_impl_wrapped_configILNS1_25lookback_scan_determinismE0ES3_S9_NS6_6detail15normal_iteratorINS6_10device_ptrIjEEEENSD_INSE_ItEEEENS6_16discard_iteratorINS6_11use_defaultEEESI_PmS8_NS6_8equal_toIjEEEE10hipError_tPvRmT2_T3_mT4_T5_T6_T7_T8_P12ihipStream_tbENKUlT_T0_E_clISt17integral_constantIbLb1EES16_EEDaS11_S12_EUlS11_E_NS1_11comp_targetILNS1_3genE0ELNS1_11target_archE4294967295ELNS1_3gpuE0ELNS1_3repE0EEENS1_30default_config_static_selectorELNS0_4arch9wavefront6targetE0EEEvT1_
	.p2align	8
	.type	_ZN7rocprim17ROCPRIM_400000_NS6detail17trampoline_kernelINS0_14default_configENS1_29reduce_by_key_config_selectorIjtN6thrust23THRUST_200600_302600_NS4plusItEEEEZZNS1_33reduce_by_key_impl_wrapped_configILNS1_25lookback_scan_determinismE0ES3_S9_NS6_6detail15normal_iteratorINS6_10device_ptrIjEEEENSD_INSE_ItEEEENS6_16discard_iteratorINS6_11use_defaultEEESI_PmS8_NS6_8equal_toIjEEEE10hipError_tPvRmT2_T3_mT4_T5_T6_T7_T8_P12ihipStream_tbENKUlT_T0_E_clISt17integral_constantIbLb1EES16_EEDaS11_S12_EUlS11_E_NS1_11comp_targetILNS1_3genE0ELNS1_11target_archE4294967295ELNS1_3gpuE0ELNS1_3repE0EEENS1_30default_config_static_selectorELNS0_4arch9wavefront6targetE0EEEvT1_,@function
_ZN7rocprim17ROCPRIM_400000_NS6detail17trampoline_kernelINS0_14default_configENS1_29reduce_by_key_config_selectorIjtN6thrust23THRUST_200600_302600_NS4plusItEEEEZZNS1_33reduce_by_key_impl_wrapped_configILNS1_25lookback_scan_determinismE0ES3_S9_NS6_6detail15normal_iteratorINS6_10device_ptrIjEEEENSD_INSE_ItEEEENS6_16discard_iteratorINS6_11use_defaultEEESI_PmS8_NS6_8equal_toIjEEEE10hipError_tPvRmT2_T3_mT4_T5_T6_T7_T8_P12ihipStream_tbENKUlT_T0_E_clISt17integral_constantIbLb1EES16_EEDaS11_S12_EUlS11_E_NS1_11comp_targetILNS1_3genE0ELNS1_11target_archE4294967295ELNS1_3gpuE0ELNS1_3repE0EEENS1_30default_config_static_selectorELNS0_4arch9wavefront6targetE0EEEvT1_: ; @_ZN7rocprim17ROCPRIM_400000_NS6detail17trampoline_kernelINS0_14default_configENS1_29reduce_by_key_config_selectorIjtN6thrust23THRUST_200600_302600_NS4plusItEEEEZZNS1_33reduce_by_key_impl_wrapped_configILNS1_25lookback_scan_determinismE0ES3_S9_NS6_6detail15normal_iteratorINS6_10device_ptrIjEEEENSD_INSE_ItEEEENS6_16discard_iteratorINS6_11use_defaultEEESI_PmS8_NS6_8equal_toIjEEEE10hipError_tPvRmT2_T3_mT4_T5_T6_T7_T8_P12ihipStream_tbENKUlT_T0_E_clISt17integral_constantIbLb1EES16_EEDaS11_S12_EUlS11_E_NS1_11comp_targetILNS1_3genE0ELNS1_11target_archE4294967295ELNS1_3gpuE0ELNS1_3repE0EEENS1_30default_config_static_selectorELNS0_4arch9wavefront6targetE0EEEvT1_
; %bb.0:
	.section	.rodata,"a",@progbits
	.p2align	6, 0x0
	.amdhsa_kernel _ZN7rocprim17ROCPRIM_400000_NS6detail17trampoline_kernelINS0_14default_configENS1_29reduce_by_key_config_selectorIjtN6thrust23THRUST_200600_302600_NS4plusItEEEEZZNS1_33reduce_by_key_impl_wrapped_configILNS1_25lookback_scan_determinismE0ES3_S9_NS6_6detail15normal_iteratorINS6_10device_ptrIjEEEENSD_INSE_ItEEEENS6_16discard_iteratorINS6_11use_defaultEEESI_PmS8_NS6_8equal_toIjEEEE10hipError_tPvRmT2_T3_mT4_T5_T6_T7_T8_P12ihipStream_tbENKUlT_T0_E_clISt17integral_constantIbLb1EES16_EEDaS11_S12_EUlS11_E_NS1_11comp_targetILNS1_3genE0ELNS1_11target_archE4294967295ELNS1_3gpuE0ELNS1_3repE0EEENS1_30default_config_static_selectorELNS0_4arch9wavefront6targetE0EEEvT1_
		.amdhsa_group_segment_fixed_size 0
		.amdhsa_private_segment_fixed_size 0
		.amdhsa_kernarg_size 128
		.amdhsa_user_sgpr_count 15
		.amdhsa_user_sgpr_dispatch_ptr 0
		.amdhsa_user_sgpr_queue_ptr 0
		.amdhsa_user_sgpr_kernarg_segment_ptr 1
		.amdhsa_user_sgpr_dispatch_id 0
		.amdhsa_user_sgpr_private_segment_size 0
		.amdhsa_wavefront_size32 1
		.amdhsa_uses_dynamic_stack 0
		.amdhsa_enable_private_segment 0
		.amdhsa_system_sgpr_workgroup_id_x 1
		.amdhsa_system_sgpr_workgroup_id_y 0
		.amdhsa_system_sgpr_workgroup_id_z 0
		.amdhsa_system_sgpr_workgroup_info 0
		.amdhsa_system_vgpr_workitem_id 0
		.amdhsa_next_free_vgpr 1
		.amdhsa_next_free_sgpr 1
		.amdhsa_reserve_vcc 0
		.amdhsa_float_round_mode_32 0
		.amdhsa_float_round_mode_16_64 0
		.amdhsa_float_denorm_mode_32 3
		.amdhsa_float_denorm_mode_16_64 3
		.amdhsa_dx10_clamp 1
		.amdhsa_ieee_mode 1
		.amdhsa_fp16_overflow 0
		.amdhsa_workgroup_processor_mode 1
		.amdhsa_memory_ordered 1
		.amdhsa_forward_progress 0
		.amdhsa_shared_vgpr_count 0
		.amdhsa_exception_fp_ieee_invalid_op 0
		.amdhsa_exception_fp_denorm_src 0
		.amdhsa_exception_fp_ieee_div_zero 0
		.amdhsa_exception_fp_ieee_overflow 0
		.amdhsa_exception_fp_ieee_underflow 0
		.amdhsa_exception_fp_ieee_inexact 0
		.amdhsa_exception_int_div_zero 0
	.end_amdhsa_kernel
	.section	.text._ZN7rocprim17ROCPRIM_400000_NS6detail17trampoline_kernelINS0_14default_configENS1_29reduce_by_key_config_selectorIjtN6thrust23THRUST_200600_302600_NS4plusItEEEEZZNS1_33reduce_by_key_impl_wrapped_configILNS1_25lookback_scan_determinismE0ES3_S9_NS6_6detail15normal_iteratorINS6_10device_ptrIjEEEENSD_INSE_ItEEEENS6_16discard_iteratorINS6_11use_defaultEEESI_PmS8_NS6_8equal_toIjEEEE10hipError_tPvRmT2_T3_mT4_T5_T6_T7_T8_P12ihipStream_tbENKUlT_T0_E_clISt17integral_constantIbLb1EES16_EEDaS11_S12_EUlS11_E_NS1_11comp_targetILNS1_3genE0ELNS1_11target_archE4294967295ELNS1_3gpuE0ELNS1_3repE0EEENS1_30default_config_static_selectorELNS0_4arch9wavefront6targetE0EEEvT1_,"axG",@progbits,_ZN7rocprim17ROCPRIM_400000_NS6detail17trampoline_kernelINS0_14default_configENS1_29reduce_by_key_config_selectorIjtN6thrust23THRUST_200600_302600_NS4plusItEEEEZZNS1_33reduce_by_key_impl_wrapped_configILNS1_25lookback_scan_determinismE0ES3_S9_NS6_6detail15normal_iteratorINS6_10device_ptrIjEEEENSD_INSE_ItEEEENS6_16discard_iteratorINS6_11use_defaultEEESI_PmS8_NS6_8equal_toIjEEEE10hipError_tPvRmT2_T3_mT4_T5_T6_T7_T8_P12ihipStream_tbENKUlT_T0_E_clISt17integral_constantIbLb1EES16_EEDaS11_S12_EUlS11_E_NS1_11comp_targetILNS1_3genE0ELNS1_11target_archE4294967295ELNS1_3gpuE0ELNS1_3repE0EEENS1_30default_config_static_selectorELNS0_4arch9wavefront6targetE0EEEvT1_,comdat
.Lfunc_end958:
	.size	_ZN7rocprim17ROCPRIM_400000_NS6detail17trampoline_kernelINS0_14default_configENS1_29reduce_by_key_config_selectorIjtN6thrust23THRUST_200600_302600_NS4plusItEEEEZZNS1_33reduce_by_key_impl_wrapped_configILNS1_25lookback_scan_determinismE0ES3_S9_NS6_6detail15normal_iteratorINS6_10device_ptrIjEEEENSD_INSE_ItEEEENS6_16discard_iteratorINS6_11use_defaultEEESI_PmS8_NS6_8equal_toIjEEEE10hipError_tPvRmT2_T3_mT4_T5_T6_T7_T8_P12ihipStream_tbENKUlT_T0_E_clISt17integral_constantIbLb1EES16_EEDaS11_S12_EUlS11_E_NS1_11comp_targetILNS1_3genE0ELNS1_11target_archE4294967295ELNS1_3gpuE0ELNS1_3repE0EEENS1_30default_config_static_selectorELNS0_4arch9wavefront6targetE0EEEvT1_, .Lfunc_end958-_ZN7rocprim17ROCPRIM_400000_NS6detail17trampoline_kernelINS0_14default_configENS1_29reduce_by_key_config_selectorIjtN6thrust23THRUST_200600_302600_NS4plusItEEEEZZNS1_33reduce_by_key_impl_wrapped_configILNS1_25lookback_scan_determinismE0ES3_S9_NS6_6detail15normal_iteratorINS6_10device_ptrIjEEEENSD_INSE_ItEEEENS6_16discard_iteratorINS6_11use_defaultEEESI_PmS8_NS6_8equal_toIjEEEE10hipError_tPvRmT2_T3_mT4_T5_T6_T7_T8_P12ihipStream_tbENKUlT_T0_E_clISt17integral_constantIbLb1EES16_EEDaS11_S12_EUlS11_E_NS1_11comp_targetILNS1_3genE0ELNS1_11target_archE4294967295ELNS1_3gpuE0ELNS1_3repE0EEENS1_30default_config_static_selectorELNS0_4arch9wavefront6targetE0EEEvT1_
                                        ; -- End function
	.section	.AMDGPU.csdata,"",@progbits
; Kernel info:
; codeLenInByte = 0
; NumSgprs: 0
; NumVgprs: 0
; ScratchSize: 0
; MemoryBound: 0
; FloatMode: 240
; IeeeMode: 1
; LDSByteSize: 0 bytes/workgroup (compile time only)
; SGPRBlocks: 0
; VGPRBlocks: 0
; NumSGPRsForWavesPerEU: 1
; NumVGPRsForWavesPerEU: 1
; Occupancy: 16
; WaveLimiterHint : 0
; COMPUTE_PGM_RSRC2:SCRATCH_EN: 0
; COMPUTE_PGM_RSRC2:USER_SGPR: 15
; COMPUTE_PGM_RSRC2:TRAP_HANDLER: 0
; COMPUTE_PGM_RSRC2:TGID_X_EN: 1
; COMPUTE_PGM_RSRC2:TGID_Y_EN: 0
; COMPUTE_PGM_RSRC2:TGID_Z_EN: 0
; COMPUTE_PGM_RSRC2:TIDIG_COMP_CNT: 0
	.section	.text._ZN7rocprim17ROCPRIM_400000_NS6detail17trampoline_kernelINS0_14default_configENS1_29reduce_by_key_config_selectorIjtN6thrust23THRUST_200600_302600_NS4plusItEEEEZZNS1_33reduce_by_key_impl_wrapped_configILNS1_25lookback_scan_determinismE0ES3_S9_NS6_6detail15normal_iteratorINS6_10device_ptrIjEEEENSD_INSE_ItEEEENS6_16discard_iteratorINS6_11use_defaultEEESI_PmS8_NS6_8equal_toIjEEEE10hipError_tPvRmT2_T3_mT4_T5_T6_T7_T8_P12ihipStream_tbENKUlT_T0_E_clISt17integral_constantIbLb1EES16_EEDaS11_S12_EUlS11_E_NS1_11comp_targetILNS1_3genE5ELNS1_11target_archE942ELNS1_3gpuE9ELNS1_3repE0EEENS1_30default_config_static_selectorELNS0_4arch9wavefront6targetE0EEEvT1_,"axG",@progbits,_ZN7rocprim17ROCPRIM_400000_NS6detail17trampoline_kernelINS0_14default_configENS1_29reduce_by_key_config_selectorIjtN6thrust23THRUST_200600_302600_NS4plusItEEEEZZNS1_33reduce_by_key_impl_wrapped_configILNS1_25lookback_scan_determinismE0ES3_S9_NS6_6detail15normal_iteratorINS6_10device_ptrIjEEEENSD_INSE_ItEEEENS6_16discard_iteratorINS6_11use_defaultEEESI_PmS8_NS6_8equal_toIjEEEE10hipError_tPvRmT2_T3_mT4_T5_T6_T7_T8_P12ihipStream_tbENKUlT_T0_E_clISt17integral_constantIbLb1EES16_EEDaS11_S12_EUlS11_E_NS1_11comp_targetILNS1_3genE5ELNS1_11target_archE942ELNS1_3gpuE9ELNS1_3repE0EEENS1_30default_config_static_selectorELNS0_4arch9wavefront6targetE0EEEvT1_,comdat
	.protected	_ZN7rocprim17ROCPRIM_400000_NS6detail17trampoline_kernelINS0_14default_configENS1_29reduce_by_key_config_selectorIjtN6thrust23THRUST_200600_302600_NS4plusItEEEEZZNS1_33reduce_by_key_impl_wrapped_configILNS1_25lookback_scan_determinismE0ES3_S9_NS6_6detail15normal_iteratorINS6_10device_ptrIjEEEENSD_INSE_ItEEEENS6_16discard_iteratorINS6_11use_defaultEEESI_PmS8_NS6_8equal_toIjEEEE10hipError_tPvRmT2_T3_mT4_T5_T6_T7_T8_P12ihipStream_tbENKUlT_T0_E_clISt17integral_constantIbLb1EES16_EEDaS11_S12_EUlS11_E_NS1_11comp_targetILNS1_3genE5ELNS1_11target_archE942ELNS1_3gpuE9ELNS1_3repE0EEENS1_30default_config_static_selectorELNS0_4arch9wavefront6targetE0EEEvT1_ ; -- Begin function _ZN7rocprim17ROCPRIM_400000_NS6detail17trampoline_kernelINS0_14default_configENS1_29reduce_by_key_config_selectorIjtN6thrust23THRUST_200600_302600_NS4plusItEEEEZZNS1_33reduce_by_key_impl_wrapped_configILNS1_25lookback_scan_determinismE0ES3_S9_NS6_6detail15normal_iteratorINS6_10device_ptrIjEEEENSD_INSE_ItEEEENS6_16discard_iteratorINS6_11use_defaultEEESI_PmS8_NS6_8equal_toIjEEEE10hipError_tPvRmT2_T3_mT4_T5_T6_T7_T8_P12ihipStream_tbENKUlT_T0_E_clISt17integral_constantIbLb1EES16_EEDaS11_S12_EUlS11_E_NS1_11comp_targetILNS1_3genE5ELNS1_11target_archE942ELNS1_3gpuE9ELNS1_3repE0EEENS1_30default_config_static_selectorELNS0_4arch9wavefront6targetE0EEEvT1_
	.globl	_ZN7rocprim17ROCPRIM_400000_NS6detail17trampoline_kernelINS0_14default_configENS1_29reduce_by_key_config_selectorIjtN6thrust23THRUST_200600_302600_NS4plusItEEEEZZNS1_33reduce_by_key_impl_wrapped_configILNS1_25lookback_scan_determinismE0ES3_S9_NS6_6detail15normal_iteratorINS6_10device_ptrIjEEEENSD_INSE_ItEEEENS6_16discard_iteratorINS6_11use_defaultEEESI_PmS8_NS6_8equal_toIjEEEE10hipError_tPvRmT2_T3_mT4_T5_T6_T7_T8_P12ihipStream_tbENKUlT_T0_E_clISt17integral_constantIbLb1EES16_EEDaS11_S12_EUlS11_E_NS1_11comp_targetILNS1_3genE5ELNS1_11target_archE942ELNS1_3gpuE9ELNS1_3repE0EEENS1_30default_config_static_selectorELNS0_4arch9wavefront6targetE0EEEvT1_
	.p2align	8
	.type	_ZN7rocprim17ROCPRIM_400000_NS6detail17trampoline_kernelINS0_14default_configENS1_29reduce_by_key_config_selectorIjtN6thrust23THRUST_200600_302600_NS4plusItEEEEZZNS1_33reduce_by_key_impl_wrapped_configILNS1_25lookback_scan_determinismE0ES3_S9_NS6_6detail15normal_iteratorINS6_10device_ptrIjEEEENSD_INSE_ItEEEENS6_16discard_iteratorINS6_11use_defaultEEESI_PmS8_NS6_8equal_toIjEEEE10hipError_tPvRmT2_T3_mT4_T5_T6_T7_T8_P12ihipStream_tbENKUlT_T0_E_clISt17integral_constantIbLb1EES16_EEDaS11_S12_EUlS11_E_NS1_11comp_targetILNS1_3genE5ELNS1_11target_archE942ELNS1_3gpuE9ELNS1_3repE0EEENS1_30default_config_static_selectorELNS0_4arch9wavefront6targetE0EEEvT1_,@function
_ZN7rocprim17ROCPRIM_400000_NS6detail17trampoline_kernelINS0_14default_configENS1_29reduce_by_key_config_selectorIjtN6thrust23THRUST_200600_302600_NS4plusItEEEEZZNS1_33reduce_by_key_impl_wrapped_configILNS1_25lookback_scan_determinismE0ES3_S9_NS6_6detail15normal_iteratorINS6_10device_ptrIjEEEENSD_INSE_ItEEEENS6_16discard_iteratorINS6_11use_defaultEEESI_PmS8_NS6_8equal_toIjEEEE10hipError_tPvRmT2_T3_mT4_T5_T6_T7_T8_P12ihipStream_tbENKUlT_T0_E_clISt17integral_constantIbLb1EES16_EEDaS11_S12_EUlS11_E_NS1_11comp_targetILNS1_3genE5ELNS1_11target_archE942ELNS1_3gpuE9ELNS1_3repE0EEENS1_30default_config_static_selectorELNS0_4arch9wavefront6targetE0EEEvT1_: ; @_ZN7rocprim17ROCPRIM_400000_NS6detail17trampoline_kernelINS0_14default_configENS1_29reduce_by_key_config_selectorIjtN6thrust23THRUST_200600_302600_NS4plusItEEEEZZNS1_33reduce_by_key_impl_wrapped_configILNS1_25lookback_scan_determinismE0ES3_S9_NS6_6detail15normal_iteratorINS6_10device_ptrIjEEEENSD_INSE_ItEEEENS6_16discard_iteratorINS6_11use_defaultEEESI_PmS8_NS6_8equal_toIjEEEE10hipError_tPvRmT2_T3_mT4_T5_T6_T7_T8_P12ihipStream_tbENKUlT_T0_E_clISt17integral_constantIbLb1EES16_EEDaS11_S12_EUlS11_E_NS1_11comp_targetILNS1_3genE5ELNS1_11target_archE942ELNS1_3gpuE9ELNS1_3repE0EEENS1_30default_config_static_selectorELNS0_4arch9wavefront6targetE0EEEvT1_
; %bb.0:
	.section	.rodata,"a",@progbits
	.p2align	6, 0x0
	.amdhsa_kernel _ZN7rocprim17ROCPRIM_400000_NS6detail17trampoline_kernelINS0_14default_configENS1_29reduce_by_key_config_selectorIjtN6thrust23THRUST_200600_302600_NS4plusItEEEEZZNS1_33reduce_by_key_impl_wrapped_configILNS1_25lookback_scan_determinismE0ES3_S9_NS6_6detail15normal_iteratorINS6_10device_ptrIjEEEENSD_INSE_ItEEEENS6_16discard_iteratorINS6_11use_defaultEEESI_PmS8_NS6_8equal_toIjEEEE10hipError_tPvRmT2_T3_mT4_T5_T6_T7_T8_P12ihipStream_tbENKUlT_T0_E_clISt17integral_constantIbLb1EES16_EEDaS11_S12_EUlS11_E_NS1_11comp_targetILNS1_3genE5ELNS1_11target_archE942ELNS1_3gpuE9ELNS1_3repE0EEENS1_30default_config_static_selectorELNS0_4arch9wavefront6targetE0EEEvT1_
		.amdhsa_group_segment_fixed_size 0
		.amdhsa_private_segment_fixed_size 0
		.amdhsa_kernarg_size 128
		.amdhsa_user_sgpr_count 15
		.amdhsa_user_sgpr_dispatch_ptr 0
		.amdhsa_user_sgpr_queue_ptr 0
		.amdhsa_user_sgpr_kernarg_segment_ptr 1
		.amdhsa_user_sgpr_dispatch_id 0
		.amdhsa_user_sgpr_private_segment_size 0
		.amdhsa_wavefront_size32 1
		.amdhsa_uses_dynamic_stack 0
		.amdhsa_enable_private_segment 0
		.amdhsa_system_sgpr_workgroup_id_x 1
		.amdhsa_system_sgpr_workgroup_id_y 0
		.amdhsa_system_sgpr_workgroup_id_z 0
		.amdhsa_system_sgpr_workgroup_info 0
		.amdhsa_system_vgpr_workitem_id 0
		.amdhsa_next_free_vgpr 1
		.amdhsa_next_free_sgpr 1
		.amdhsa_reserve_vcc 0
		.amdhsa_float_round_mode_32 0
		.amdhsa_float_round_mode_16_64 0
		.amdhsa_float_denorm_mode_32 3
		.amdhsa_float_denorm_mode_16_64 3
		.amdhsa_dx10_clamp 1
		.amdhsa_ieee_mode 1
		.amdhsa_fp16_overflow 0
		.amdhsa_workgroup_processor_mode 1
		.amdhsa_memory_ordered 1
		.amdhsa_forward_progress 0
		.amdhsa_shared_vgpr_count 0
		.amdhsa_exception_fp_ieee_invalid_op 0
		.amdhsa_exception_fp_denorm_src 0
		.amdhsa_exception_fp_ieee_div_zero 0
		.amdhsa_exception_fp_ieee_overflow 0
		.amdhsa_exception_fp_ieee_underflow 0
		.amdhsa_exception_fp_ieee_inexact 0
		.amdhsa_exception_int_div_zero 0
	.end_amdhsa_kernel
	.section	.text._ZN7rocprim17ROCPRIM_400000_NS6detail17trampoline_kernelINS0_14default_configENS1_29reduce_by_key_config_selectorIjtN6thrust23THRUST_200600_302600_NS4plusItEEEEZZNS1_33reduce_by_key_impl_wrapped_configILNS1_25lookback_scan_determinismE0ES3_S9_NS6_6detail15normal_iteratorINS6_10device_ptrIjEEEENSD_INSE_ItEEEENS6_16discard_iteratorINS6_11use_defaultEEESI_PmS8_NS6_8equal_toIjEEEE10hipError_tPvRmT2_T3_mT4_T5_T6_T7_T8_P12ihipStream_tbENKUlT_T0_E_clISt17integral_constantIbLb1EES16_EEDaS11_S12_EUlS11_E_NS1_11comp_targetILNS1_3genE5ELNS1_11target_archE942ELNS1_3gpuE9ELNS1_3repE0EEENS1_30default_config_static_selectorELNS0_4arch9wavefront6targetE0EEEvT1_,"axG",@progbits,_ZN7rocprim17ROCPRIM_400000_NS6detail17trampoline_kernelINS0_14default_configENS1_29reduce_by_key_config_selectorIjtN6thrust23THRUST_200600_302600_NS4plusItEEEEZZNS1_33reduce_by_key_impl_wrapped_configILNS1_25lookback_scan_determinismE0ES3_S9_NS6_6detail15normal_iteratorINS6_10device_ptrIjEEEENSD_INSE_ItEEEENS6_16discard_iteratorINS6_11use_defaultEEESI_PmS8_NS6_8equal_toIjEEEE10hipError_tPvRmT2_T3_mT4_T5_T6_T7_T8_P12ihipStream_tbENKUlT_T0_E_clISt17integral_constantIbLb1EES16_EEDaS11_S12_EUlS11_E_NS1_11comp_targetILNS1_3genE5ELNS1_11target_archE942ELNS1_3gpuE9ELNS1_3repE0EEENS1_30default_config_static_selectorELNS0_4arch9wavefront6targetE0EEEvT1_,comdat
.Lfunc_end959:
	.size	_ZN7rocprim17ROCPRIM_400000_NS6detail17trampoline_kernelINS0_14default_configENS1_29reduce_by_key_config_selectorIjtN6thrust23THRUST_200600_302600_NS4plusItEEEEZZNS1_33reduce_by_key_impl_wrapped_configILNS1_25lookback_scan_determinismE0ES3_S9_NS6_6detail15normal_iteratorINS6_10device_ptrIjEEEENSD_INSE_ItEEEENS6_16discard_iteratorINS6_11use_defaultEEESI_PmS8_NS6_8equal_toIjEEEE10hipError_tPvRmT2_T3_mT4_T5_T6_T7_T8_P12ihipStream_tbENKUlT_T0_E_clISt17integral_constantIbLb1EES16_EEDaS11_S12_EUlS11_E_NS1_11comp_targetILNS1_3genE5ELNS1_11target_archE942ELNS1_3gpuE9ELNS1_3repE0EEENS1_30default_config_static_selectorELNS0_4arch9wavefront6targetE0EEEvT1_, .Lfunc_end959-_ZN7rocprim17ROCPRIM_400000_NS6detail17trampoline_kernelINS0_14default_configENS1_29reduce_by_key_config_selectorIjtN6thrust23THRUST_200600_302600_NS4plusItEEEEZZNS1_33reduce_by_key_impl_wrapped_configILNS1_25lookback_scan_determinismE0ES3_S9_NS6_6detail15normal_iteratorINS6_10device_ptrIjEEEENSD_INSE_ItEEEENS6_16discard_iteratorINS6_11use_defaultEEESI_PmS8_NS6_8equal_toIjEEEE10hipError_tPvRmT2_T3_mT4_T5_T6_T7_T8_P12ihipStream_tbENKUlT_T0_E_clISt17integral_constantIbLb1EES16_EEDaS11_S12_EUlS11_E_NS1_11comp_targetILNS1_3genE5ELNS1_11target_archE942ELNS1_3gpuE9ELNS1_3repE0EEENS1_30default_config_static_selectorELNS0_4arch9wavefront6targetE0EEEvT1_
                                        ; -- End function
	.section	.AMDGPU.csdata,"",@progbits
; Kernel info:
; codeLenInByte = 0
; NumSgprs: 0
; NumVgprs: 0
; ScratchSize: 0
; MemoryBound: 0
; FloatMode: 240
; IeeeMode: 1
; LDSByteSize: 0 bytes/workgroup (compile time only)
; SGPRBlocks: 0
; VGPRBlocks: 0
; NumSGPRsForWavesPerEU: 1
; NumVGPRsForWavesPerEU: 1
; Occupancy: 16
; WaveLimiterHint : 0
; COMPUTE_PGM_RSRC2:SCRATCH_EN: 0
; COMPUTE_PGM_RSRC2:USER_SGPR: 15
; COMPUTE_PGM_RSRC2:TRAP_HANDLER: 0
; COMPUTE_PGM_RSRC2:TGID_X_EN: 1
; COMPUTE_PGM_RSRC2:TGID_Y_EN: 0
; COMPUTE_PGM_RSRC2:TGID_Z_EN: 0
; COMPUTE_PGM_RSRC2:TIDIG_COMP_CNT: 0
	.section	.text._ZN7rocprim17ROCPRIM_400000_NS6detail17trampoline_kernelINS0_14default_configENS1_29reduce_by_key_config_selectorIjtN6thrust23THRUST_200600_302600_NS4plusItEEEEZZNS1_33reduce_by_key_impl_wrapped_configILNS1_25lookback_scan_determinismE0ES3_S9_NS6_6detail15normal_iteratorINS6_10device_ptrIjEEEENSD_INSE_ItEEEENS6_16discard_iteratorINS6_11use_defaultEEESI_PmS8_NS6_8equal_toIjEEEE10hipError_tPvRmT2_T3_mT4_T5_T6_T7_T8_P12ihipStream_tbENKUlT_T0_E_clISt17integral_constantIbLb1EES16_EEDaS11_S12_EUlS11_E_NS1_11comp_targetILNS1_3genE4ELNS1_11target_archE910ELNS1_3gpuE8ELNS1_3repE0EEENS1_30default_config_static_selectorELNS0_4arch9wavefront6targetE0EEEvT1_,"axG",@progbits,_ZN7rocprim17ROCPRIM_400000_NS6detail17trampoline_kernelINS0_14default_configENS1_29reduce_by_key_config_selectorIjtN6thrust23THRUST_200600_302600_NS4plusItEEEEZZNS1_33reduce_by_key_impl_wrapped_configILNS1_25lookback_scan_determinismE0ES3_S9_NS6_6detail15normal_iteratorINS6_10device_ptrIjEEEENSD_INSE_ItEEEENS6_16discard_iteratorINS6_11use_defaultEEESI_PmS8_NS6_8equal_toIjEEEE10hipError_tPvRmT2_T3_mT4_T5_T6_T7_T8_P12ihipStream_tbENKUlT_T0_E_clISt17integral_constantIbLb1EES16_EEDaS11_S12_EUlS11_E_NS1_11comp_targetILNS1_3genE4ELNS1_11target_archE910ELNS1_3gpuE8ELNS1_3repE0EEENS1_30default_config_static_selectorELNS0_4arch9wavefront6targetE0EEEvT1_,comdat
	.protected	_ZN7rocprim17ROCPRIM_400000_NS6detail17trampoline_kernelINS0_14default_configENS1_29reduce_by_key_config_selectorIjtN6thrust23THRUST_200600_302600_NS4plusItEEEEZZNS1_33reduce_by_key_impl_wrapped_configILNS1_25lookback_scan_determinismE0ES3_S9_NS6_6detail15normal_iteratorINS6_10device_ptrIjEEEENSD_INSE_ItEEEENS6_16discard_iteratorINS6_11use_defaultEEESI_PmS8_NS6_8equal_toIjEEEE10hipError_tPvRmT2_T3_mT4_T5_T6_T7_T8_P12ihipStream_tbENKUlT_T0_E_clISt17integral_constantIbLb1EES16_EEDaS11_S12_EUlS11_E_NS1_11comp_targetILNS1_3genE4ELNS1_11target_archE910ELNS1_3gpuE8ELNS1_3repE0EEENS1_30default_config_static_selectorELNS0_4arch9wavefront6targetE0EEEvT1_ ; -- Begin function _ZN7rocprim17ROCPRIM_400000_NS6detail17trampoline_kernelINS0_14default_configENS1_29reduce_by_key_config_selectorIjtN6thrust23THRUST_200600_302600_NS4plusItEEEEZZNS1_33reduce_by_key_impl_wrapped_configILNS1_25lookback_scan_determinismE0ES3_S9_NS6_6detail15normal_iteratorINS6_10device_ptrIjEEEENSD_INSE_ItEEEENS6_16discard_iteratorINS6_11use_defaultEEESI_PmS8_NS6_8equal_toIjEEEE10hipError_tPvRmT2_T3_mT4_T5_T6_T7_T8_P12ihipStream_tbENKUlT_T0_E_clISt17integral_constantIbLb1EES16_EEDaS11_S12_EUlS11_E_NS1_11comp_targetILNS1_3genE4ELNS1_11target_archE910ELNS1_3gpuE8ELNS1_3repE0EEENS1_30default_config_static_selectorELNS0_4arch9wavefront6targetE0EEEvT1_
	.globl	_ZN7rocprim17ROCPRIM_400000_NS6detail17trampoline_kernelINS0_14default_configENS1_29reduce_by_key_config_selectorIjtN6thrust23THRUST_200600_302600_NS4plusItEEEEZZNS1_33reduce_by_key_impl_wrapped_configILNS1_25lookback_scan_determinismE0ES3_S9_NS6_6detail15normal_iteratorINS6_10device_ptrIjEEEENSD_INSE_ItEEEENS6_16discard_iteratorINS6_11use_defaultEEESI_PmS8_NS6_8equal_toIjEEEE10hipError_tPvRmT2_T3_mT4_T5_T6_T7_T8_P12ihipStream_tbENKUlT_T0_E_clISt17integral_constantIbLb1EES16_EEDaS11_S12_EUlS11_E_NS1_11comp_targetILNS1_3genE4ELNS1_11target_archE910ELNS1_3gpuE8ELNS1_3repE0EEENS1_30default_config_static_selectorELNS0_4arch9wavefront6targetE0EEEvT1_
	.p2align	8
	.type	_ZN7rocprim17ROCPRIM_400000_NS6detail17trampoline_kernelINS0_14default_configENS1_29reduce_by_key_config_selectorIjtN6thrust23THRUST_200600_302600_NS4plusItEEEEZZNS1_33reduce_by_key_impl_wrapped_configILNS1_25lookback_scan_determinismE0ES3_S9_NS6_6detail15normal_iteratorINS6_10device_ptrIjEEEENSD_INSE_ItEEEENS6_16discard_iteratorINS6_11use_defaultEEESI_PmS8_NS6_8equal_toIjEEEE10hipError_tPvRmT2_T3_mT4_T5_T6_T7_T8_P12ihipStream_tbENKUlT_T0_E_clISt17integral_constantIbLb1EES16_EEDaS11_S12_EUlS11_E_NS1_11comp_targetILNS1_3genE4ELNS1_11target_archE910ELNS1_3gpuE8ELNS1_3repE0EEENS1_30default_config_static_selectorELNS0_4arch9wavefront6targetE0EEEvT1_,@function
_ZN7rocprim17ROCPRIM_400000_NS6detail17trampoline_kernelINS0_14default_configENS1_29reduce_by_key_config_selectorIjtN6thrust23THRUST_200600_302600_NS4plusItEEEEZZNS1_33reduce_by_key_impl_wrapped_configILNS1_25lookback_scan_determinismE0ES3_S9_NS6_6detail15normal_iteratorINS6_10device_ptrIjEEEENSD_INSE_ItEEEENS6_16discard_iteratorINS6_11use_defaultEEESI_PmS8_NS6_8equal_toIjEEEE10hipError_tPvRmT2_T3_mT4_T5_T6_T7_T8_P12ihipStream_tbENKUlT_T0_E_clISt17integral_constantIbLb1EES16_EEDaS11_S12_EUlS11_E_NS1_11comp_targetILNS1_3genE4ELNS1_11target_archE910ELNS1_3gpuE8ELNS1_3repE0EEENS1_30default_config_static_selectorELNS0_4arch9wavefront6targetE0EEEvT1_: ; @_ZN7rocprim17ROCPRIM_400000_NS6detail17trampoline_kernelINS0_14default_configENS1_29reduce_by_key_config_selectorIjtN6thrust23THRUST_200600_302600_NS4plusItEEEEZZNS1_33reduce_by_key_impl_wrapped_configILNS1_25lookback_scan_determinismE0ES3_S9_NS6_6detail15normal_iteratorINS6_10device_ptrIjEEEENSD_INSE_ItEEEENS6_16discard_iteratorINS6_11use_defaultEEESI_PmS8_NS6_8equal_toIjEEEE10hipError_tPvRmT2_T3_mT4_T5_T6_T7_T8_P12ihipStream_tbENKUlT_T0_E_clISt17integral_constantIbLb1EES16_EEDaS11_S12_EUlS11_E_NS1_11comp_targetILNS1_3genE4ELNS1_11target_archE910ELNS1_3gpuE8ELNS1_3repE0EEENS1_30default_config_static_selectorELNS0_4arch9wavefront6targetE0EEEvT1_
; %bb.0:
	.section	.rodata,"a",@progbits
	.p2align	6, 0x0
	.amdhsa_kernel _ZN7rocprim17ROCPRIM_400000_NS6detail17trampoline_kernelINS0_14default_configENS1_29reduce_by_key_config_selectorIjtN6thrust23THRUST_200600_302600_NS4plusItEEEEZZNS1_33reduce_by_key_impl_wrapped_configILNS1_25lookback_scan_determinismE0ES3_S9_NS6_6detail15normal_iteratorINS6_10device_ptrIjEEEENSD_INSE_ItEEEENS6_16discard_iteratorINS6_11use_defaultEEESI_PmS8_NS6_8equal_toIjEEEE10hipError_tPvRmT2_T3_mT4_T5_T6_T7_T8_P12ihipStream_tbENKUlT_T0_E_clISt17integral_constantIbLb1EES16_EEDaS11_S12_EUlS11_E_NS1_11comp_targetILNS1_3genE4ELNS1_11target_archE910ELNS1_3gpuE8ELNS1_3repE0EEENS1_30default_config_static_selectorELNS0_4arch9wavefront6targetE0EEEvT1_
		.amdhsa_group_segment_fixed_size 0
		.amdhsa_private_segment_fixed_size 0
		.amdhsa_kernarg_size 128
		.amdhsa_user_sgpr_count 15
		.amdhsa_user_sgpr_dispatch_ptr 0
		.amdhsa_user_sgpr_queue_ptr 0
		.amdhsa_user_sgpr_kernarg_segment_ptr 1
		.amdhsa_user_sgpr_dispatch_id 0
		.amdhsa_user_sgpr_private_segment_size 0
		.amdhsa_wavefront_size32 1
		.amdhsa_uses_dynamic_stack 0
		.amdhsa_enable_private_segment 0
		.amdhsa_system_sgpr_workgroup_id_x 1
		.amdhsa_system_sgpr_workgroup_id_y 0
		.amdhsa_system_sgpr_workgroup_id_z 0
		.amdhsa_system_sgpr_workgroup_info 0
		.amdhsa_system_vgpr_workitem_id 0
		.amdhsa_next_free_vgpr 1
		.amdhsa_next_free_sgpr 1
		.amdhsa_reserve_vcc 0
		.amdhsa_float_round_mode_32 0
		.amdhsa_float_round_mode_16_64 0
		.amdhsa_float_denorm_mode_32 3
		.amdhsa_float_denorm_mode_16_64 3
		.amdhsa_dx10_clamp 1
		.amdhsa_ieee_mode 1
		.amdhsa_fp16_overflow 0
		.amdhsa_workgroup_processor_mode 1
		.amdhsa_memory_ordered 1
		.amdhsa_forward_progress 0
		.amdhsa_shared_vgpr_count 0
		.amdhsa_exception_fp_ieee_invalid_op 0
		.amdhsa_exception_fp_denorm_src 0
		.amdhsa_exception_fp_ieee_div_zero 0
		.amdhsa_exception_fp_ieee_overflow 0
		.amdhsa_exception_fp_ieee_underflow 0
		.amdhsa_exception_fp_ieee_inexact 0
		.amdhsa_exception_int_div_zero 0
	.end_amdhsa_kernel
	.section	.text._ZN7rocprim17ROCPRIM_400000_NS6detail17trampoline_kernelINS0_14default_configENS1_29reduce_by_key_config_selectorIjtN6thrust23THRUST_200600_302600_NS4plusItEEEEZZNS1_33reduce_by_key_impl_wrapped_configILNS1_25lookback_scan_determinismE0ES3_S9_NS6_6detail15normal_iteratorINS6_10device_ptrIjEEEENSD_INSE_ItEEEENS6_16discard_iteratorINS6_11use_defaultEEESI_PmS8_NS6_8equal_toIjEEEE10hipError_tPvRmT2_T3_mT4_T5_T6_T7_T8_P12ihipStream_tbENKUlT_T0_E_clISt17integral_constantIbLb1EES16_EEDaS11_S12_EUlS11_E_NS1_11comp_targetILNS1_3genE4ELNS1_11target_archE910ELNS1_3gpuE8ELNS1_3repE0EEENS1_30default_config_static_selectorELNS0_4arch9wavefront6targetE0EEEvT1_,"axG",@progbits,_ZN7rocprim17ROCPRIM_400000_NS6detail17trampoline_kernelINS0_14default_configENS1_29reduce_by_key_config_selectorIjtN6thrust23THRUST_200600_302600_NS4plusItEEEEZZNS1_33reduce_by_key_impl_wrapped_configILNS1_25lookback_scan_determinismE0ES3_S9_NS6_6detail15normal_iteratorINS6_10device_ptrIjEEEENSD_INSE_ItEEEENS6_16discard_iteratorINS6_11use_defaultEEESI_PmS8_NS6_8equal_toIjEEEE10hipError_tPvRmT2_T3_mT4_T5_T6_T7_T8_P12ihipStream_tbENKUlT_T0_E_clISt17integral_constantIbLb1EES16_EEDaS11_S12_EUlS11_E_NS1_11comp_targetILNS1_3genE4ELNS1_11target_archE910ELNS1_3gpuE8ELNS1_3repE0EEENS1_30default_config_static_selectorELNS0_4arch9wavefront6targetE0EEEvT1_,comdat
.Lfunc_end960:
	.size	_ZN7rocprim17ROCPRIM_400000_NS6detail17trampoline_kernelINS0_14default_configENS1_29reduce_by_key_config_selectorIjtN6thrust23THRUST_200600_302600_NS4plusItEEEEZZNS1_33reduce_by_key_impl_wrapped_configILNS1_25lookback_scan_determinismE0ES3_S9_NS6_6detail15normal_iteratorINS6_10device_ptrIjEEEENSD_INSE_ItEEEENS6_16discard_iteratorINS6_11use_defaultEEESI_PmS8_NS6_8equal_toIjEEEE10hipError_tPvRmT2_T3_mT4_T5_T6_T7_T8_P12ihipStream_tbENKUlT_T0_E_clISt17integral_constantIbLb1EES16_EEDaS11_S12_EUlS11_E_NS1_11comp_targetILNS1_3genE4ELNS1_11target_archE910ELNS1_3gpuE8ELNS1_3repE0EEENS1_30default_config_static_selectorELNS0_4arch9wavefront6targetE0EEEvT1_, .Lfunc_end960-_ZN7rocprim17ROCPRIM_400000_NS6detail17trampoline_kernelINS0_14default_configENS1_29reduce_by_key_config_selectorIjtN6thrust23THRUST_200600_302600_NS4plusItEEEEZZNS1_33reduce_by_key_impl_wrapped_configILNS1_25lookback_scan_determinismE0ES3_S9_NS6_6detail15normal_iteratorINS6_10device_ptrIjEEEENSD_INSE_ItEEEENS6_16discard_iteratorINS6_11use_defaultEEESI_PmS8_NS6_8equal_toIjEEEE10hipError_tPvRmT2_T3_mT4_T5_T6_T7_T8_P12ihipStream_tbENKUlT_T0_E_clISt17integral_constantIbLb1EES16_EEDaS11_S12_EUlS11_E_NS1_11comp_targetILNS1_3genE4ELNS1_11target_archE910ELNS1_3gpuE8ELNS1_3repE0EEENS1_30default_config_static_selectorELNS0_4arch9wavefront6targetE0EEEvT1_
                                        ; -- End function
	.section	.AMDGPU.csdata,"",@progbits
; Kernel info:
; codeLenInByte = 0
; NumSgprs: 0
; NumVgprs: 0
; ScratchSize: 0
; MemoryBound: 0
; FloatMode: 240
; IeeeMode: 1
; LDSByteSize: 0 bytes/workgroup (compile time only)
; SGPRBlocks: 0
; VGPRBlocks: 0
; NumSGPRsForWavesPerEU: 1
; NumVGPRsForWavesPerEU: 1
; Occupancy: 16
; WaveLimiterHint : 0
; COMPUTE_PGM_RSRC2:SCRATCH_EN: 0
; COMPUTE_PGM_RSRC2:USER_SGPR: 15
; COMPUTE_PGM_RSRC2:TRAP_HANDLER: 0
; COMPUTE_PGM_RSRC2:TGID_X_EN: 1
; COMPUTE_PGM_RSRC2:TGID_Y_EN: 0
; COMPUTE_PGM_RSRC2:TGID_Z_EN: 0
; COMPUTE_PGM_RSRC2:TIDIG_COMP_CNT: 0
	.section	.text._ZN7rocprim17ROCPRIM_400000_NS6detail17trampoline_kernelINS0_14default_configENS1_29reduce_by_key_config_selectorIjtN6thrust23THRUST_200600_302600_NS4plusItEEEEZZNS1_33reduce_by_key_impl_wrapped_configILNS1_25lookback_scan_determinismE0ES3_S9_NS6_6detail15normal_iteratorINS6_10device_ptrIjEEEENSD_INSE_ItEEEENS6_16discard_iteratorINS6_11use_defaultEEESI_PmS8_NS6_8equal_toIjEEEE10hipError_tPvRmT2_T3_mT4_T5_T6_T7_T8_P12ihipStream_tbENKUlT_T0_E_clISt17integral_constantIbLb1EES16_EEDaS11_S12_EUlS11_E_NS1_11comp_targetILNS1_3genE3ELNS1_11target_archE908ELNS1_3gpuE7ELNS1_3repE0EEENS1_30default_config_static_selectorELNS0_4arch9wavefront6targetE0EEEvT1_,"axG",@progbits,_ZN7rocprim17ROCPRIM_400000_NS6detail17trampoline_kernelINS0_14default_configENS1_29reduce_by_key_config_selectorIjtN6thrust23THRUST_200600_302600_NS4plusItEEEEZZNS1_33reduce_by_key_impl_wrapped_configILNS1_25lookback_scan_determinismE0ES3_S9_NS6_6detail15normal_iteratorINS6_10device_ptrIjEEEENSD_INSE_ItEEEENS6_16discard_iteratorINS6_11use_defaultEEESI_PmS8_NS6_8equal_toIjEEEE10hipError_tPvRmT2_T3_mT4_T5_T6_T7_T8_P12ihipStream_tbENKUlT_T0_E_clISt17integral_constantIbLb1EES16_EEDaS11_S12_EUlS11_E_NS1_11comp_targetILNS1_3genE3ELNS1_11target_archE908ELNS1_3gpuE7ELNS1_3repE0EEENS1_30default_config_static_selectorELNS0_4arch9wavefront6targetE0EEEvT1_,comdat
	.protected	_ZN7rocprim17ROCPRIM_400000_NS6detail17trampoline_kernelINS0_14default_configENS1_29reduce_by_key_config_selectorIjtN6thrust23THRUST_200600_302600_NS4plusItEEEEZZNS1_33reduce_by_key_impl_wrapped_configILNS1_25lookback_scan_determinismE0ES3_S9_NS6_6detail15normal_iteratorINS6_10device_ptrIjEEEENSD_INSE_ItEEEENS6_16discard_iteratorINS6_11use_defaultEEESI_PmS8_NS6_8equal_toIjEEEE10hipError_tPvRmT2_T3_mT4_T5_T6_T7_T8_P12ihipStream_tbENKUlT_T0_E_clISt17integral_constantIbLb1EES16_EEDaS11_S12_EUlS11_E_NS1_11comp_targetILNS1_3genE3ELNS1_11target_archE908ELNS1_3gpuE7ELNS1_3repE0EEENS1_30default_config_static_selectorELNS0_4arch9wavefront6targetE0EEEvT1_ ; -- Begin function _ZN7rocprim17ROCPRIM_400000_NS6detail17trampoline_kernelINS0_14default_configENS1_29reduce_by_key_config_selectorIjtN6thrust23THRUST_200600_302600_NS4plusItEEEEZZNS1_33reduce_by_key_impl_wrapped_configILNS1_25lookback_scan_determinismE0ES3_S9_NS6_6detail15normal_iteratorINS6_10device_ptrIjEEEENSD_INSE_ItEEEENS6_16discard_iteratorINS6_11use_defaultEEESI_PmS8_NS6_8equal_toIjEEEE10hipError_tPvRmT2_T3_mT4_T5_T6_T7_T8_P12ihipStream_tbENKUlT_T0_E_clISt17integral_constantIbLb1EES16_EEDaS11_S12_EUlS11_E_NS1_11comp_targetILNS1_3genE3ELNS1_11target_archE908ELNS1_3gpuE7ELNS1_3repE0EEENS1_30default_config_static_selectorELNS0_4arch9wavefront6targetE0EEEvT1_
	.globl	_ZN7rocprim17ROCPRIM_400000_NS6detail17trampoline_kernelINS0_14default_configENS1_29reduce_by_key_config_selectorIjtN6thrust23THRUST_200600_302600_NS4plusItEEEEZZNS1_33reduce_by_key_impl_wrapped_configILNS1_25lookback_scan_determinismE0ES3_S9_NS6_6detail15normal_iteratorINS6_10device_ptrIjEEEENSD_INSE_ItEEEENS6_16discard_iteratorINS6_11use_defaultEEESI_PmS8_NS6_8equal_toIjEEEE10hipError_tPvRmT2_T3_mT4_T5_T6_T7_T8_P12ihipStream_tbENKUlT_T0_E_clISt17integral_constantIbLb1EES16_EEDaS11_S12_EUlS11_E_NS1_11comp_targetILNS1_3genE3ELNS1_11target_archE908ELNS1_3gpuE7ELNS1_3repE0EEENS1_30default_config_static_selectorELNS0_4arch9wavefront6targetE0EEEvT1_
	.p2align	8
	.type	_ZN7rocprim17ROCPRIM_400000_NS6detail17trampoline_kernelINS0_14default_configENS1_29reduce_by_key_config_selectorIjtN6thrust23THRUST_200600_302600_NS4plusItEEEEZZNS1_33reduce_by_key_impl_wrapped_configILNS1_25lookback_scan_determinismE0ES3_S9_NS6_6detail15normal_iteratorINS6_10device_ptrIjEEEENSD_INSE_ItEEEENS6_16discard_iteratorINS6_11use_defaultEEESI_PmS8_NS6_8equal_toIjEEEE10hipError_tPvRmT2_T3_mT4_T5_T6_T7_T8_P12ihipStream_tbENKUlT_T0_E_clISt17integral_constantIbLb1EES16_EEDaS11_S12_EUlS11_E_NS1_11comp_targetILNS1_3genE3ELNS1_11target_archE908ELNS1_3gpuE7ELNS1_3repE0EEENS1_30default_config_static_selectorELNS0_4arch9wavefront6targetE0EEEvT1_,@function
_ZN7rocprim17ROCPRIM_400000_NS6detail17trampoline_kernelINS0_14default_configENS1_29reduce_by_key_config_selectorIjtN6thrust23THRUST_200600_302600_NS4plusItEEEEZZNS1_33reduce_by_key_impl_wrapped_configILNS1_25lookback_scan_determinismE0ES3_S9_NS6_6detail15normal_iteratorINS6_10device_ptrIjEEEENSD_INSE_ItEEEENS6_16discard_iteratorINS6_11use_defaultEEESI_PmS8_NS6_8equal_toIjEEEE10hipError_tPvRmT2_T3_mT4_T5_T6_T7_T8_P12ihipStream_tbENKUlT_T0_E_clISt17integral_constantIbLb1EES16_EEDaS11_S12_EUlS11_E_NS1_11comp_targetILNS1_3genE3ELNS1_11target_archE908ELNS1_3gpuE7ELNS1_3repE0EEENS1_30default_config_static_selectorELNS0_4arch9wavefront6targetE0EEEvT1_: ; @_ZN7rocprim17ROCPRIM_400000_NS6detail17trampoline_kernelINS0_14default_configENS1_29reduce_by_key_config_selectorIjtN6thrust23THRUST_200600_302600_NS4plusItEEEEZZNS1_33reduce_by_key_impl_wrapped_configILNS1_25lookback_scan_determinismE0ES3_S9_NS6_6detail15normal_iteratorINS6_10device_ptrIjEEEENSD_INSE_ItEEEENS6_16discard_iteratorINS6_11use_defaultEEESI_PmS8_NS6_8equal_toIjEEEE10hipError_tPvRmT2_T3_mT4_T5_T6_T7_T8_P12ihipStream_tbENKUlT_T0_E_clISt17integral_constantIbLb1EES16_EEDaS11_S12_EUlS11_E_NS1_11comp_targetILNS1_3genE3ELNS1_11target_archE908ELNS1_3gpuE7ELNS1_3repE0EEENS1_30default_config_static_selectorELNS0_4arch9wavefront6targetE0EEEvT1_
; %bb.0:
	.section	.rodata,"a",@progbits
	.p2align	6, 0x0
	.amdhsa_kernel _ZN7rocprim17ROCPRIM_400000_NS6detail17trampoline_kernelINS0_14default_configENS1_29reduce_by_key_config_selectorIjtN6thrust23THRUST_200600_302600_NS4plusItEEEEZZNS1_33reduce_by_key_impl_wrapped_configILNS1_25lookback_scan_determinismE0ES3_S9_NS6_6detail15normal_iteratorINS6_10device_ptrIjEEEENSD_INSE_ItEEEENS6_16discard_iteratorINS6_11use_defaultEEESI_PmS8_NS6_8equal_toIjEEEE10hipError_tPvRmT2_T3_mT4_T5_T6_T7_T8_P12ihipStream_tbENKUlT_T0_E_clISt17integral_constantIbLb1EES16_EEDaS11_S12_EUlS11_E_NS1_11comp_targetILNS1_3genE3ELNS1_11target_archE908ELNS1_3gpuE7ELNS1_3repE0EEENS1_30default_config_static_selectorELNS0_4arch9wavefront6targetE0EEEvT1_
		.amdhsa_group_segment_fixed_size 0
		.amdhsa_private_segment_fixed_size 0
		.amdhsa_kernarg_size 128
		.amdhsa_user_sgpr_count 15
		.amdhsa_user_sgpr_dispatch_ptr 0
		.amdhsa_user_sgpr_queue_ptr 0
		.amdhsa_user_sgpr_kernarg_segment_ptr 1
		.amdhsa_user_sgpr_dispatch_id 0
		.amdhsa_user_sgpr_private_segment_size 0
		.amdhsa_wavefront_size32 1
		.amdhsa_uses_dynamic_stack 0
		.amdhsa_enable_private_segment 0
		.amdhsa_system_sgpr_workgroup_id_x 1
		.amdhsa_system_sgpr_workgroup_id_y 0
		.amdhsa_system_sgpr_workgroup_id_z 0
		.amdhsa_system_sgpr_workgroup_info 0
		.amdhsa_system_vgpr_workitem_id 0
		.amdhsa_next_free_vgpr 1
		.amdhsa_next_free_sgpr 1
		.amdhsa_reserve_vcc 0
		.amdhsa_float_round_mode_32 0
		.amdhsa_float_round_mode_16_64 0
		.amdhsa_float_denorm_mode_32 3
		.amdhsa_float_denorm_mode_16_64 3
		.amdhsa_dx10_clamp 1
		.amdhsa_ieee_mode 1
		.amdhsa_fp16_overflow 0
		.amdhsa_workgroup_processor_mode 1
		.amdhsa_memory_ordered 1
		.amdhsa_forward_progress 0
		.amdhsa_shared_vgpr_count 0
		.amdhsa_exception_fp_ieee_invalid_op 0
		.amdhsa_exception_fp_denorm_src 0
		.amdhsa_exception_fp_ieee_div_zero 0
		.amdhsa_exception_fp_ieee_overflow 0
		.amdhsa_exception_fp_ieee_underflow 0
		.amdhsa_exception_fp_ieee_inexact 0
		.amdhsa_exception_int_div_zero 0
	.end_amdhsa_kernel
	.section	.text._ZN7rocprim17ROCPRIM_400000_NS6detail17trampoline_kernelINS0_14default_configENS1_29reduce_by_key_config_selectorIjtN6thrust23THRUST_200600_302600_NS4plusItEEEEZZNS1_33reduce_by_key_impl_wrapped_configILNS1_25lookback_scan_determinismE0ES3_S9_NS6_6detail15normal_iteratorINS6_10device_ptrIjEEEENSD_INSE_ItEEEENS6_16discard_iteratorINS6_11use_defaultEEESI_PmS8_NS6_8equal_toIjEEEE10hipError_tPvRmT2_T3_mT4_T5_T6_T7_T8_P12ihipStream_tbENKUlT_T0_E_clISt17integral_constantIbLb1EES16_EEDaS11_S12_EUlS11_E_NS1_11comp_targetILNS1_3genE3ELNS1_11target_archE908ELNS1_3gpuE7ELNS1_3repE0EEENS1_30default_config_static_selectorELNS0_4arch9wavefront6targetE0EEEvT1_,"axG",@progbits,_ZN7rocprim17ROCPRIM_400000_NS6detail17trampoline_kernelINS0_14default_configENS1_29reduce_by_key_config_selectorIjtN6thrust23THRUST_200600_302600_NS4plusItEEEEZZNS1_33reduce_by_key_impl_wrapped_configILNS1_25lookback_scan_determinismE0ES3_S9_NS6_6detail15normal_iteratorINS6_10device_ptrIjEEEENSD_INSE_ItEEEENS6_16discard_iteratorINS6_11use_defaultEEESI_PmS8_NS6_8equal_toIjEEEE10hipError_tPvRmT2_T3_mT4_T5_T6_T7_T8_P12ihipStream_tbENKUlT_T0_E_clISt17integral_constantIbLb1EES16_EEDaS11_S12_EUlS11_E_NS1_11comp_targetILNS1_3genE3ELNS1_11target_archE908ELNS1_3gpuE7ELNS1_3repE0EEENS1_30default_config_static_selectorELNS0_4arch9wavefront6targetE0EEEvT1_,comdat
.Lfunc_end961:
	.size	_ZN7rocprim17ROCPRIM_400000_NS6detail17trampoline_kernelINS0_14default_configENS1_29reduce_by_key_config_selectorIjtN6thrust23THRUST_200600_302600_NS4plusItEEEEZZNS1_33reduce_by_key_impl_wrapped_configILNS1_25lookback_scan_determinismE0ES3_S9_NS6_6detail15normal_iteratorINS6_10device_ptrIjEEEENSD_INSE_ItEEEENS6_16discard_iteratorINS6_11use_defaultEEESI_PmS8_NS6_8equal_toIjEEEE10hipError_tPvRmT2_T3_mT4_T5_T6_T7_T8_P12ihipStream_tbENKUlT_T0_E_clISt17integral_constantIbLb1EES16_EEDaS11_S12_EUlS11_E_NS1_11comp_targetILNS1_3genE3ELNS1_11target_archE908ELNS1_3gpuE7ELNS1_3repE0EEENS1_30default_config_static_selectorELNS0_4arch9wavefront6targetE0EEEvT1_, .Lfunc_end961-_ZN7rocprim17ROCPRIM_400000_NS6detail17trampoline_kernelINS0_14default_configENS1_29reduce_by_key_config_selectorIjtN6thrust23THRUST_200600_302600_NS4plusItEEEEZZNS1_33reduce_by_key_impl_wrapped_configILNS1_25lookback_scan_determinismE0ES3_S9_NS6_6detail15normal_iteratorINS6_10device_ptrIjEEEENSD_INSE_ItEEEENS6_16discard_iteratorINS6_11use_defaultEEESI_PmS8_NS6_8equal_toIjEEEE10hipError_tPvRmT2_T3_mT4_T5_T6_T7_T8_P12ihipStream_tbENKUlT_T0_E_clISt17integral_constantIbLb1EES16_EEDaS11_S12_EUlS11_E_NS1_11comp_targetILNS1_3genE3ELNS1_11target_archE908ELNS1_3gpuE7ELNS1_3repE0EEENS1_30default_config_static_selectorELNS0_4arch9wavefront6targetE0EEEvT1_
                                        ; -- End function
	.section	.AMDGPU.csdata,"",@progbits
; Kernel info:
; codeLenInByte = 0
; NumSgprs: 0
; NumVgprs: 0
; ScratchSize: 0
; MemoryBound: 0
; FloatMode: 240
; IeeeMode: 1
; LDSByteSize: 0 bytes/workgroup (compile time only)
; SGPRBlocks: 0
; VGPRBlocks: 0
; NumSGPRsForWavesPerEU: 1
; NumVGPRsForWavesPerEU: 1
; Occupancy: 16
; WaveLimiterHint : 0
; COMPUTE_PGM_RSRC2:SCRATCH_EN: 0
; COMPUTE_PGM_RSRC2:USER_SGPR: 15
; COMPUTE_PGM_RSRC2:TRAP_HANDLER: 0
; COMPUTE_PGM_RSRC2:TGID_X_EN: 1
; COMPUTE_PGM_RSRC2:TGID_Y_EN: 0
; COMPUTE_PGM_RSRC2:TGID_Z_EN: 0
; COMPUTE_PGM_RSRC2:TIDIG_COMP_CNT: 0
	.section	.text._ZN7rocprim17ROCPRIM_400000_NS6detail17trampoline_kernelINS0_14default_configENS1_29reduce_by_key_config_selectorIjtN6thrust23THRUST_200600_302600_NS4plusItEEEEZZNS1_33reduce_by_key_impl_wrapped_configILNS1_25lookback_scan_determinismE0ES3_S9_NS6_6detail15normal_iteratorINS6_10device_ptrIjEEEENSD_INSE_ItEEEENS6_16discard_iteratorINS6_11use_defaultEEESI_PmS8_NS6_8equal_toIjEEEE10hipError_tPvRmT2_T3_mT4_T5_T6_T7_T8_P12ihipStream_tbENKUlT_T0_E_clISt17integral_constantIbLb1EES16_EEDaS11_S12_EUlS11_E_NS1_11comp_targetILNS1_3genE2ELNS1_11target_archE906ELNS1_3gpuE6ELNS1_3repE0EEENS1_30default_config_static_selectorELNS0_4arch9wavefront6targetE0EEEvT1_,"axG",@progbits,_ZN7rocprim17ROCPRIM_400000_NS6detail17trampoline_kernelINS0_14default_configENS1_29reduce_by_key_config_selectorIjtN6thrust23THRUST_200600_302600_NS4plusItEEEEZZNS1_33reduce_by_key_impl_wrapped_configILNS1_25lookback_scan_determinismE0ES3_S9_NS6_6detail15normal_iteratorINS6_10device_ptrIjEEEENSD_INSE_ItEEEENS6_16discard_iteratorINS6_11use_defaultEEESI_PmS8_NS6_8equal_toIjEEEE10hipError_tPvRmT2_T3_mT4_T5_T6_T7_T8_P12ihipStream_tbENKUlT_T0_E_clISt17integral_constantIbLb1EES16_EEDaS11_S12_EUlS11_E_NS1_11comp_targetILNS1_3genE2ELNS1_11target_archE906ELNS1_3gpuE6ELNS1_3repE0EEENS1_30default_config_static_selectorELNS0_4arch9wavefront6targetE0EEEvT1_,comdat
	.protected	_ZN7rocprim17ROCPRIM_400000_NS6detail17trampoline_kernelINS0_14default_configENS1_29reduce_by_key_config_selectorIjtN6thrust23THRUST_200600_302600_NS4plusItEEEEZZNS1_33reduce_by_key_impl_wrapped_configILNS1_25lookback_scan_determinismE0ES3_S9_NS6_6detail15normal_iteratorINS6_10device_ptrIjEEEENSD_INSE_ItEEEENS6_16discard_iteratorINS6_11use_defaultEEESI_PmS8_NS6_8equal_toIjEEEE10hipError_tPvRmT2_T3_mT4_T5_T6_T7_T8_P12ihipStream_tbENKUlT_T0_E_clISt17integral_constantIbLb1EES16_EEDaS11_S12_EUlS11_E_NS1_11comp_targetILNS1_3genE2ELNS1_11target_archE906ELNS1_3gpuE6ELNS1_3repE0EEENS1_30default_config_static_selectorELNS0_4arch9wavefront6targetE0EEEvT1_ ; -- Begin function _ZN7rocprim17ROCPRIM_400000_NS6detail17trampoline_kernelINS0_14default_configENS1_29reduce_by_key_config_selectorIjtN6thrust23THRUST_200600_302600_NS4plusItEEEEZZNS1_33reduce_by_key_impl_wrapped_configILNS1_25lookback_scan_determinismE0ES3_S9_NS6_6detail15normal_iteratorINS6_10device_ptrIjEEEENSD_INSE_ItEEEENS6_16discard_iteratorINS6_11use_defaultEEESI_PmS8_NS6_8equal_toIjEEEE10hipError_tPvRmT2_T3_mT4_T5_T6_T7_T8_P12ihipStream_tbENKUlT_T0_E_clISt17integral_constantIbLb1EES16_EEDaS11_S12_EUlS11_E_NS1_11comp_targetILNS1_3genE2ELNS1_11target_archE906ELNS1_3gpuE6ELNS1_3repE0EEENS1_30default_config_static_selectorELNS0_4arch9wavefront6targetE0EEEvT1_
	.globl	_ZN7rocprim17ROCPRIM_400000_NS6detail17trampoline_kernelINS0_14default_configENS1_29reduce_by_key_config_selectorIjtN6thrust23THRUST_200600_302600_NS4plusItEEEEZZNS1_33reduce_by_key_impl_wrapped_configILNS1_25lookback_scan_determinismE0ES3_S9_NS6_6detail15normal_iteratorINS6_10device_ptrIjEEEENSD_INSE_ItEEEENS6_16discard_iteratorINS6_11use_defaultEEESI_PmS8_NS6_8equal_toIjEEEE10hipError_tPvRmT2_T3_mT4_T5_T6_T7_T8_P12ihipStream_tbENKUlT_T0_E_clISt17integral_constantIbLb1EES16_EEDaS11_S12_EUlS11_E_NS1_11comp_targetILNS1_3genE2ELNS1_11target_archE906ELNS1_3gpuE6ELNS1_3repE0EEENS1_30default_config_static_selectorELNS0_4arch9wavefront6targetE0EEEvT1_
	.p2align	8
	.type	_ZN7rocprim17ROCPRIM_400000_NS6detail17trampoline_kernelINS0_14default_configENS1_29reduce_by_key_config_selectorIjtN6thrust23THRUST_200600_302600_NS4plusItEEEEZZNS1_33reduce_by_key_impl_wrapped_configILNS1_25lookback_scan_determinismE0ES3_S9_NS6_6detail15normal_iteratorINS6_10device_ptrIjEEEENSD_INSE_ItEEEENS6_16discard_iteratorINS6_11use_defaultEEESI_PmS8_NS6_8equal_toIjEEEE10hipError_tPvRmT2_T3_mT4_T5_T6_T7_T8_P12ihipStream_tbENKUlT_T0_E_clISt17integral_constantIbLb1EES16_EEDaS11_S12_EUlS11_E_NS1_11comp_targetILNS1_3genE2ELNS1_11target_archE906ELNS1_3gpuE6ELNS1_3repE0EEENS1_30default_config_static_selectorELNS0_4arch9wavefront6targetE0EEEvT1_,@function
_ZN7rocprim17ROCPRIM_400000_NS6detail17trampoline_kernelINS0_14default_configENS1_29reduce_by_key_config_selectorIjtN6thrust23THRUST_200600_302600_NS4plusItEEEEZZNS1_33reduce_by_key_impl_wrapped_configILNS1_25lookback_scan_determinismE0ES3_S9_NS6_6detail15normal_iteratorINS6_10device_ptrIjEEEENSD_INSE_ItEEEENS6_16discard_iteratorINS6_11use_defaultEEESI_PmS8_NS6_8equal_toIjEEEE10hipError_tPvRmT2_T3_mT4_T5_T6_T7_T8_P12ihipStream_tbENKUlT_T0_E_clISt17integral_constantIbLb1EES16_EEDaS11_S12_EUlS11_E_NS1_11comp_targetILNS1_3genE2ELNS1_11target_archE906ELNS1_3gpuE6ELNS1_3repE0EEENS1_30default_config_static_selectorELNS0_4arch9wavefront6targetE0EEEvT1_: ; @_ZN7rocprim17ROCPRIM_400000_NS6detail17trampoline_kernelINS0_14default_configENS1_29reduce_by_key_config_selectorIjtN6thrust23THRUST_200600_302600_NS4plusItEEEEZZNS1_33reduce_by_key_impl_wrapped_configILNS1_25lookback_scan_determinismE0ES3_S9_NS6_6detail15normal_iteratorINS6_10device_ptrIjEEEENSD_INSE_ItEEEENS6_16discard_iteratorINS6_11use_defaultEEESI_PmS8_NS6_8equal_toIjEEEE10hipError_tPvRmT2_T3_mT4_T5_T6_T7_T8_P12ihipStream_tbENKUlT_T0_E_clISt17integral_constantIbLb1EES16_EEDaS11_S12_EUlS11_E_NS1_11comp_targetILNS1_3genE2ELNS1_11target_archE906ELNS1_3gpuE6ELNS1_3repE0EEENS1_30default_config_static_selectorELNS0_4arch9wavefront6targetE0EEEvT1_
; %bb.0:
	.section	.rodata,"a",@progbits
	.p2align	6, 0x0
	.amdhsa_kernel _ZN7rocprim17ROCPRIM_400000_NS6detail17trampoline_kernelINS0_14default_configENS1_29reduce_by_key_config_selectorIjtN6thrust23THRUST_200600_302600_NS4plusItEEEEZZNS1_33reduce_by_key_impl_wrapped_configILNS1_25lookback_scan_determinismE0ES3_S9_NS6_6detail15normal_iteratorINS6_10device_ptrIjEEEENSD_INSE_ItEEEENS6_16discard_iteratorINS6_11use_defaultEEESI_PmS8_NS6_8equal_toIjEEEE10hipError_tPvRmT2_T3_mT4_T5_T6_T7_T8_P12ihipStream_tbENKUlT_T0_E_clISt17integral_constantIbLb1EES16_EEDaS11_S12_EUlS11_E_NS1_11comp_targetILNS1_3genE2ELNS1_11target_archE906ELNS1_3gpuE6ELNS1_3repE0EEENS1_30default_config_static_selectorELNS0_4arch9wavefront6targetE0EEEvT1_
		.amdhsa_group_segment_fixed_size 0
		.amdhsa_private_segment_fixed_size 0
		.amdhsa_kernarg_size 128
		.amdhsa_user_sgpr_count 15
		.amdhsa_user_sgpr_dispatch_ptr 0
		.amdhsa_user_sgpr_queue_ptr 0
		.amdhsa_user_sgpr_kernarg_segment_ptr 1
		.amdhsa_user_sgpr_dispatch_id 0
		.amdhsa_user_sgpr_private_segment_size 0
		.amdhsa_wavefront_size32 1
		.amdhsa_uses_dynamic_stack 0
		.amdhsa_enable_private_segment 0
		.amdhsa_system_sgpr_workgroup_id_x 1
		.amdhsa_system_sgpr_workgroup_id_y 0
		.amdhsa_system_sgpr_workgroup_id_z 0
		.amdhsa_system_sgpr_workgroup_info 0
		.amdhsa_system_vgpr_workitem_id 0
		.amdhsa_next_free_vgpr 1
		.amdhsa_next_free_sgpr 1
		.amdhsa_reserve_vcc 0
		.amdhsa_float_round_mode_32 0
		.amdhsa_float_round_mode_16_64 0
		.amdhsa_float_denorm_mode_32 3
		.amdhsa_float_denorm_mode_16_64 3
		.amdhsa_dx10_clamp 1
		.amdhsa_ieee_mode 1
		.amdhsa_fp16_overflow 0
		.amdhsa_workgroup_processor_mode 1
		.amdhsa_memory_ordered 1
		.amdhsa_forward_progress 0
		.amdhsa_shared_vgpr_count 0
		.amdhsa_exception_fp_ieee_invalid_op 0
		.amdhsa_exception_fp_denorm_src 0
		.amdhsa_exception_fp_ieee_div_zero 0
		.amdhsa_exception_fp_ieee_overflow 0
		.amdhsa_exception_fp_ieee_underflow 0
		.amdhsa_exception_fp_ieee_inexact 0
		.amdhsa_exception_int_div_zero 0
	.end_amdhsa_kernel
	.section	.text._ZN7rocprim17ROCPRIM_400000_NS6detail17trampoline_kernelINS0_14default_configENS1_29reduce_by_key_config_selectorIjtN6thrust23THRUST_200600_302600_NS4plusItEEEEZZNS1_33reduce_by_key_impl_wrapped_configILNS1_25lookback_scan_determinismE0ES3_S9_NS6_6detail15normal_iteratorINS6_10device_ptrIjEEEENSD_INSE_ItEEEENS6_16discard_iteratorINS6_11use_defaultEEESI_PmS8_NS6_8equal_toIjEEEE10hipError_tPvRmT2_T3_mT4_T5_T6_T7_T8_P12ihipStream_tbENKUlT_T0_E_clISt17integral_constantIbLb1EES16_EEDaS11_S12_EUlS11_E_NS1_11comp_targetILNS1_3genE2ELNS1_11target_archE906ELNS1_3gpuE6ELNS1_3repE0EEENS1_30default_config_static_selectorELNS0_4arch9wavefront6targetE0EEEvT1_,"axG",@progbits,_ZN7rocprim17ROCPRIM_400000_NS6detail17trampoline_kernelINS0_14default_configENS1_29reduce_by_key_config_selectorIjtN6thrust23THRUST_200600_302600_NS4plusItEEEEZZNS1_33reduce_by_key_impl_wrapped_configILNS1_25lookback_scan_determinismE0ES3_S9_NS6_6detail15normal_iteratorINS6_10device_ptrIjEEEENSD_INSE_ItEEEENS6_16discard_iteratorINS6_11use_defaultEEESI_PmS8_NS6_8equal_toIjEEEE10hipError_tPvRmT2_T3_mT4_T5_T6_T7_T8_P12ihipStream_tbENKUlT_T0_E_clISt17integral_constantIbLb1EES16_EEDaS11_S12_EUlS11_E_NS1_11comp_targetILNS1_3genE2ELNS1_11target_archE906ELNS1_3gpuE6ELNS1_3repE0EEENS1_30default_config_static_selectorELNS0_4arch9wavefront6targetE0EEEvT1_,comdat
.Lfunc_end962:
	.size	_ZN7rocprim17ROCPRIM_400000_NS6detail17trampoline_kernelINS0_14default_configENS1_29reduce_by_key_config_selectorIjtN6thrust23THRUST_200600_302600_NS4plusItEEEEZZNS1_33reduce_by_key_impl_wrapped_configILNS1_25lookback_scan_determinismE0ES3_S9_NS6_6detail15normal_iteratorINS6_10device_ptrIjEEEENSD_INSE_ItEEEENS6_16discard_iteratorINS6_11use_defaultEEESI_PmS8_NS6_8equal_toIjEEEE10hipError_tPvRmT2_T3_mT4_T5_T6_T7_T8_P12ihipStream_tbENKUlT_T0_E_clISt17integral_constantIbLb1EES16_EEDaS11_S12_EUlS11_E_NS1_11comp_targetILNS1_3genE2ELNS1_11target_archE906ELNS1_3gpuE6ELNS1_3repE0EEENS1_30default_config_static_selectorELNS0_4arch9wavefront6targetE0EEEvT1_, .Lfunc_end962-_ZN7rocprim17ROCPRIM_400000_NS6detail17trampoline_kernelINS0_14default_configENS1_29reduce_by_key_config_selectorIjtN6thrust23THRUST_200600_302600_NS4plusItEEEEZZNS1_33reduce_by_key_impl_wrapped_configILNS1_25lookback_scan_determinismE0ES3_S9_NS6_6detail15normal_iteratorINS6_10device_ptrIjEEEENSD_INSE_ItEEEENS6_16discard_iteratorINS6_11use_defaultEEESI_PmS8_NS6_8equal_toIjEEEE10hipError_tPvRmT2_T3_mT4_T5_T6_T7_T8_P12ihipStream_tbENKUlT_T0_E_clISt17integral_constantIbLb1EES16_EEDaS11_S12_EUlS11_E_NS1_11comp_targetILNS1_3genE2ELNS1_11target_archE906ELNS1_3gpuE6ELNS1_3repE0EEENS1_30default_config_static_selectorELNS0_4arch9wavefront6targetE0EEEvT1_
                                        ; -- End function
	.section	.AMDGPU.csdata,"",@progbits
; Kernel info:
; codeLenInByte = 0
; NumSgprs: 0
; NumVgprs: 0
; ScratchSize: 0
; MemoryBound: 0
; FloatMode: 240
; IeeeMode: 1
; LDSByteSize: 0 bytes/workgroup (compile time only)
; SGPRBlocks: 0
; VGPRBlocks: 0
; NumSGPRsForWavesPerEU: 1
; NumVGPRsForWavesPerEU: 1
; Occupancy: 16
; WaveLimiterHint : 0
; COMPUTE_PGM_RSRC2:SCRATCH_EN: 0
; COMPUTE_PGM_RSRC2:USER_SGPR: 15
; COMPUTE_PGM_RSRC2:TRAP_HANDLER: 0
; COMPUTE_PGM_RSRC2:TGID_X_EN: 1
; COMPUTE_PGM_RSRC2:TGID_Y_EN: 0
; COMPUTE_PGM_RSRC2:TGID_Z_EN: 0
; COMPUTE_PGM_RSRC2:TIDIG_COMP_CNT: 0
	.section	.text._ZN7rocprim17ROCPRIM_400000_NS6detail17trampoline_kernelINS0_14default_configENS1_29reduce_by_key_config_selectorIjtN6thrust23THRUST_200600_302600_NS4plusItEEEEZZNS1_33reduce_by_key_impl_wrapped_configILNS1_25lookback_scan_determinismE0ES3_S9_NS6_6detail15normal_iteratorINS6_10device_ptrIjEEEENSD_INSE_ItEEEENS6_16discard_iteratorINS6_11use_defaultEEESI_PmS8_NS6_8equal_toIjEEEE10hipError_tPvRmT2_T3_mT4_T5_T6_T7_T8_P12ihipStream_tbENKUlT_T0_E_clISt17integral_constantIbLb1EES16_EEDaS11_S12_EUlS11_E_NS1_11comp_targetILNS1_3genE10ELNS1_11target_archE1201ELNS1_3gpuE5ELNS1_3repE0EEENS1_30default_config_static_selectorELNS0_4arch9wavefront6targetE0EEEvT1_,"axG",@progbits,_ZN7rocprim17ROCPRIM_400000_NS6detail17trampoline_kernelINS0_14default_configENS1_29reduce_by_key_config_selectorIjtN6thrust23THRUST_200600_302600_NS4plusItEEEEZZNS1_33reduce_by_key_impl_wrapped_configILNS1_25lookback_scan_determinismE0ES3_S9_NS6_6detail15normal_iteratorINS6_10device_ptrIjEEEENSD_INSE_ItEEEENS6_16discard_iteratorINS6_11use_defaultEEESI_PmS8_NS6_8equal_toIjEEEE10hipError_tPvRmT2_T3_mT4_T5_T6_T7_T8_P12ihipStream_tbENKUlT_T0_E_clISt17integral_constantIbLb1EES16_EEDaS11_S12_EUlS11_E_NS1_11comp_targetILNS1_3genE10ELNS1_11target_archE1201ELNS1_3gpuE5ELNS1_3repE0EEENS1_30default_config_static_selectorELNS0_4arch9wavefront6targetE0EEEvT1_,comdat
	.protected	_ZN7rocprim17ROCPRIM_400000_NS6detail17trampoline_kernelINS0_14default_configENS1_29reduce_by_key_config_selectorIjtN6thrust23THRUST_200600_302600_NS4plusItEEEEZZNS1_33reduce_by_key_impl_wrapped_configILNS1_25lookback_scan_determinismE0ES3_S9_NS6_6detail15normal_iteratorINS6_10device_ptrIjEEEENSD_INSE_ItEEEENS6_16discard_iteratorINS6_11use_defaultEEESI_PmS8_NS6_8equal_toIjEEEE10hipError_tPvRmT2_T3_mT4_T5_T6_T7_T8_P12ihipStream_tbENKUlT_T0_E_clISt17integral_constantIbLb1EES16_EEDaS11_S12_EUlS11_E_NS1_11comp_targetILNS1_3genE10ELNS1_11target_archE1201ELNS1_3gpuE5ELNS1_3repE0EEENS1_30default_config_static_selectorELNS0_4arch9wavefront6targetE0EEEvT1_ ; -- Begin function _ZN7rocprim17ROCPRIM_400000_NS6detail17trampoline_kernelINS0_14default_configENS1_29reduce_by_key_config_selectorIjtN6thrust23THRUST_200600_302600_NS4plusItEEEEZZNS1_33reduce_by_key_impl_wrapped_configILNS1_25lookback_scan_determinismE0ES3_S9_NS6_6detail15normal_iteratorINS6_10device_ptrIjEEEENSD_INSE_ItEEEENS6_16discard_iteratorINS6_11use_defaultEEESI_PmS8_NS6_8equal_toIjEEEE10hipError_tPvRmT2_T3_mT4_T5_T6_T7_T8_P12ihipStream_tbENKUlT_T0_E_clISt17integral_constantIbLb1EES16_EEDaS11_S12_EUlS11_E_NS1_11comp_targetILNS1_3genE10ELNS1_11target_archE1201ELNS1_3gpuE5ELNS1_3repE0EEENS1_30default_config_static_selectorELNS0_4arch9wavefront6targetE0EEEvT1_
	.globl	_ZN7rocprim17ROCPRIM_400000_NS6detail17trampoline_kernelINS0_14default_configENS1_29reduce_by_key_config_selectorIjtN6thrust23THRUST_200600_302600_NS4plusItEEEEZZNS1_33reduce_by_key_impl_wrapped_configILNS1_25lookback_scan_determinismE0ES3_S9_NS6_6detail15normal_iteratorINS6_10device_ptrIjEEEENSD_INSE_ItEEEENS6_16discard_iteratorINS6_11use_defaultEEESI_PmS8_NS6_8equal_toIjEEEE10hipError_tPvRmT2_T3_mT4_T5_T6_T7_T8_P12ihipStream_tbENKUlT_T0_E_clISt17integral_constantIbLb1EES16_EEDaS11_S12_EUlS11_E_NS1_11comp_targetILNS1_3genE10ELNS1_11target_archE1201ELNS1_3gpuE5ELNS1_3repE0EEENS1_30default_config_static_selectorELNS0_4arch9wavefront6targetE0EEEvT1_
	.p2align	8
	.type	_ZN7rocprim17ROCPRIM_400000_NS6detail17trampoline_kernelINS0_14default_configENS1_29reduce_by_key_config_selectorIjtN6thrust23THRUST_200600_302600_NS4plusItEEEEZZNS1_33reduce_by_key_impl_wrapped_configILNS1_25lookback_scan_determinismE0ES3_S9_NS6_6detail15normal_iteratorINS6_10device_ptrIjEEEENSD_INSE_ItEEEENS6_16discard_iteratorINS6_11use_defaultEEESI_PmS8_NS6_8equal_toIjEEEE10hipError_tPvRmT2_T3_mT4_T5_T6_T7_T8_P12ihipStream_tbENKUlT_T0_E_clISt17integral_constantIbLb1EES16_EEDaS11_S12_EUlS11_E_NS1_11comp_targetILNS1_3genE10ELNS1_11target_archE1201ELNS1_3gpuE5ELNS1_3repE0EEENS1_30default_config_static_selectorELNS0_4arch9wavefront6targetE0EEEvT1_,@function
_ZN7rocprim17ROCPRIM_400000_NS6detail17trampoline_kernelINS0_14default_configENS1_29reduce_by_key_config_selectorIjtN6thrust23THRUST_200600_302600_NS4plusItEEEEZZNS1_33reduce_by_key_impl_wrapped_configILNS1_25lookback_scan_determinismE0ES3_S9_NS6_6detail15normal_iteratorINS6_10device_ptrIjEEEENSD_INSE_ItEEEENS6_16discard_iteratorINS6_11use_defaultEEESI_PmS8_NS6_8equal_toIjEEEE10hipError_tPvRmT2_T3_mT4_T5_T6_T7_T8_P12ihipStream_tbENKUlT_T0_E_clISt17integral_constantIbLb1EES16_EEDaS11_S12_EUlS11_E_NS1_11comp_targetILNS1_3genE10ELNS1_11target_archE1201ELNS1_3gpuE5ELNS1_3repE0EEENS1_30default_config_static_selectorELNS0_4arch9wavefront6targetE0EEEvT1_: ; @_ZN7rocprim17ROCPRIM_400000_NS6detail17trampoline_kernelINS0_14default_configENS1_29reduce_by_key_config_selectorIjtN6thrust23THRUST_200600_302600_NS4plusItEEEEZZNS1_33reduce_by_key_impl_wrapped_configILNS1_25lookback_scan_determinismE0ES3_S9_NS6_6detail15normal_iteratorINS6_10device_ptrIjEEEENSD_INSE_ItEEEENS6_16discard_iteratorINS6_11use_defaultEEESI_PmS8_NS6_8equal_toIjEEEE10hipError_tPvRmT2_T3_mT4_T5_T6_T7_T8_P12ihipStream_tbENKUlT_T0_E_clISt17integral_constantIbLb1EES16_EEDaS11_S12_EUlS11_E_NS1_11comp_targetILNS1_3genE10ELNS1_11target_archE1201ELNS1_3gpuE5ELNS1_3repE0EEENS1_30default_config_static_selectorELNS0_4arch9wavefront6targetE0EEEvT1_
; %bb.0:
	.section	.rodata,"a",@progbits
	.p2align	6, 0x0
	.amdhsa_kernel _ZN7rocprim17ROCPRIM_400000_NS6detail17trampoline_kernelINS0_14default_configENS1_29reduce_by_key_config_selectorIjtN6thrust23THRUST_200600_302600_NS4plusItEEEEZZNS1_33reduce_by_key_impl_wrapped_configILNS1_25lookback_scan_determinismE0ES3_S9_NS6_6detail15normal_iteratorINS6_10device_ptrIjEEEENSD_INSE_ItEEEENS6_16discard_iteratorINS6_11use_defaultEEESI_PmS8_NS6_8equal_toIjEEEE10hipError_tPvRmT2_T3_mT4_T5_T6_T7_T8_P12ihipStream_tbENKUlT_T0_E_clISt17integral_constantIbLb1EES16_EEDaS11_S12_EUlS11_E_NS1_11comp_targetILNS1_3genE10ELNS1_11target_archE1201ELNS1_3gpuE5ELNS1_3repE0EEENS1_30default_config_static_selectorELNS0_4arch9wavefront6targetE0EEEvT1_
		.amdhsa_group_segment_fixed_size 0
		.amdhsa_private_segment_fixed_size 0
		.amdhsa_kernarg_size 128
		.amdhsa_user_sgpr_count 15
		.amdhsa_user_sgpr_dispatch_ptr 0
		.amdhsa_user_sgpr_queue_ptr 0
		.amdhsa_user_sgpr_kernarg_segment_ptr 1
		.amdhsa_user_sgpr_dispatch_id 0
		.amdhsa_user_sgpr_private_segment_size 0
		.amdhsa_wavefront_size32 1
		.amdhsa_uses_dynamic_stack 0
		.amdhsa_enable_private_segment 0
		.amdhsa_system_sgpr_workgroup_id_x 1
		.amdhsa_system_sgpr_workgroup_id_y 0
		.amdhsa_system_sgpr_workgroup_id_z 0
		.amdhsa_system_sgpr_workgroup_info 0
		.amdhsa_system_vgpr_workitem_id 0
		.amdhsa_next_free_vgpr 1
		.amdhsa_next_free_sgpr 1
		.amdhsa_reserve_vcc 0
		.amdhsa_float_round_mode_32 0
		.amdhsa_float_round_mode_16_64 0
		.amdhsa_float_denorm_mode_32 3
		.amdhsa_float_denorm_mode_16_64 3
		.amdhsa_dx10_clamp 1
		.amdhsa_ieee_mode 1
		.amdhsa_fp16_overflow 0
		.amdhsa_workgroup_processor_mode 1
		.amdhsa_memory_ordered 1
		.amdhsa_forward_progress 0
		.amdhsa_shared_vgpr_count 0
		.amdhsa_exception_fp_ieee_invalid_op 0
		.amdhsa_exception_fp_denorm_src 0
		.amdhsa_exception_fp_ieee_div_zero 0
		.amdhsa_exception_fp_ieee_overflow 0
		.amdhsa_exception_fp_ieee_underflow 0
		.amdhsa_exception_fp_ieee_inexact 0
		.amdhsa_exception_int_div_zero 0
	.end_amdhsa_kernel
	.section	.text._ZN7rocprim17ROCPRIM_400000_NS6detail17trampoline_kernelINS0_14default_configENS1_29reduce_by_key_config_selectorIjtN6thrust23THRUST_200600_302600_NS4plusItEEEEZZNS1_33reduce_by_key_impl_wrapped_configILNS1_25lookback_scan_determinismE0ES3_S9_NS6_6detail15normal_iteratorINS6_10device_ptrIjEEEENSD_INSE_ItEEEENS6_16discard_iteratorINS6_11use_defaultEEESI_PmS8_NS6_8equal_toIjEEEE10hipError_tPvRmT2_T3_mT4_T5_T6_T7_T8_P12ihipStream_tbENKUlT_T0_E_clISt17integral_constantIbLb1EES16_EEDaS11_S12_EUlS11_E_NS1_11comp_targetILNS1_3genE10ELNS1_11target_archE1201ELNS1_3gpuE5ELNS1_3repE0EEENS1_30default_config_static_selectorELNS0_4arch9wavefront6targetE0EEEvT1_,"axG",@progbits,_ZN7rocprim17ROCPRIM_400000_NS6detail17trampoline_kernelINS0_14default_configENS1_29reduce_by_key_config_selectorIjtN6thrust23THRUST_200600_302600_NS4plusItEEEEZZNS1_33reduce_by_key_impl_wrapped_configILNS1_25lookback_scan_determinismE0ES3_S9_NS6_6detail15normal_iteratorINS6_10device_ptrIjEEEENSD_INSE_ItEEEENS6_16discard_iteratorINS6_11use_defaultEEESI_PmS8_NS6_8equal_toIjEEEE10hipError_tPvRmT2_T3_mT4_T5_T6_T7_T8_P12ihipStream_tbENKUlT_T0_E_clISt17integral_constantIbLb1EES16_EEDaS11_S12_EUlS11_E_NS1_11comp_targetILNS1_3genE10ELNS1_11target_archE1201ELNS1_3gpuE5ELNS1_3repE0EEENS1_30default_config_static_selectorELNS0_4arch9wavefront6targetE0EEEvT1_,comdat
.Lfunc_end963:
	.size	_ZN7rocprim17ROCPRIM_400000_NS6detail17trampoline_kernelINS0_14default_configENS1_29reduce_by_key_config_selectorIjtN6thrust23THRUST_200600_302600_NS4plusItEEEEZZNS1_33reduce_by_key_impl_wrapped_configILNS1_25lookback_scan_determinismE0ES3_S9_NS6_6detail15normal_iteratorINS6_10device_ptrIjEEEENSD_INSE_ItEEEENS6_16discard_iteratorINS6_11use_defaultEEESI_PmS8_NS6_8equal_toIjEEEE10hipError_tPvRmT2_T3_mT4_T5_T6_T7_T8_P12ihipStream_tbENKUlT_T0_E_clISt17integral_constantIbLb1EES16_EEDaS11_S12_EUlS11_E_NS1_11comp_targetILNS1_3genE10ELNS1_11target_archE1201ELNS1_3gpuE5ELNS1_3repE0EEENS1_30default_config_static_selectorELNS0_4arch9wavefront6targetE0EEEvT1_, .Lfunc_end963-_ZN7rocprim17ROCPRIM_400000_NS6detail17trampoline_kernelINS0_14default_configENS1_29reduce_by_key_config_selectorIjtN6thrust23THRUST_200600_302600_NS4plusItEEEEZZNS1_33reduce_by_key_impl_wrapped_configILNS1_25lookback_scan_determinismE0ES3_S9_NS6_6detail15normal_iteratorINS6_10device_ptrIjEEEENSD_INSE_ItEEEENS6_16discard_iteratorINS6_11use_defaultEEESI_PmS8_NS6_8equal_toIjEEEE10hipError_tPvRmT2_T3_mT4_T5_T6_T7_T8_P12ihipStream_tbENKUlT_T0_E_clISt17integral_constantIbLb1EES16_EEDaS11_S12_EUlS11_E_NS1_11comp_targetILNS1_3genE10ELNS1_11target_archE1201ELNS1_3gpuE5ELNS1_3repE0EEENS1_30default_config_static_selectorELNS0_4arch9wavefront6targetE0EEEvT1_
                                        ; -- End function
	.section	.AMDGPU.csdata,"",@progbits
; Kernel info:
; codeLenInByte = 0
; NumSgprs: 0
; NumVgprs: 0
; ScratchSize: 0
; MemoryBound: 0
; FloatMode: 240
; IeeeMode: 1
; LDSByteSize: 0 bytes/workgroup (compile time only)
; SGPRBlocks: 0
; VGPRBlocks: 0
; NumSGPRsForWavesPerEU: 1
; NumVGPRsForWavesPerEU: 1
; Occupancy: 16
; WaveLimiterHint : 0
; COMPUTE_PGM_RSRC2:SCRATCH_EN: 0
; COMPUTE_PGM_RSRC2:USER_SGPR: 15
; COMPUTE_PGM_RSRC2:TRAP_HANDLER: 0
; COMPUTE_PGM_RSRC2:TGID_X_EN: 1
; COMPUTE_PGM_RSRC2:TGID_Y_EN: 0
; COMPUTE_PGM_RSRC2:TGID_Z_EN: 0
; COMPUTE_PGM_RSRC2:TIDIG_COMP_CNT: 0
	.section	.text._ZN7rocprim17ROCPRIM_400000_NS6detail17trampoline_kernelINS0_14default_configENS1_29reduce_by_key_config_selectorIjtN6thrust23THRUST_200600_302600_NS4plusItEEEEZZNS1_33reduce_by_key_impl_wrapped_configILNS1_25lookback_scan_determinismE0ES3_S9_NS6_6detail15normal_iteratorINS6_10device_ptrIjEEEENSD_INSE_ItEEEENS6_16discard_iteratorINS6_11use_defaultEEESI_PmS8_NS6_8equal_toIjEEEE10hipError_tPvRmT2_T3_mT4_T5_T6_T7_T8_P12ihipStream_tbENKUlT_T0_E_clISt17integral_constantIbLb1EES16_EEDaS11_S12_EUlS11_E_NS1_11comp_targetILNS1_3genE10ELNS1_11target_archE1200ELNS1_3gpuE4ELNS1_3repE0EEENS1_30default_config_static_selectorELNS0_4arch9wavefront6targetE0EEEvT1_,"axG",@progbits,_ZN7rocprim17ROCPRIM_400000_NS6detail17trampoline_kernelINS0_14default_configENS1_29reduce_by_key_config_selectorIjtN6thrust23THRUST_200600_302600_NS4plusItEEEEZZNS1_33reduce_by_key_impl_wrapped_configILNS1_25lookback_scan_determinismE0ES3_S9_NS6_6detail15normal_iteratorINS6_10device_ptrIjEEEENSD_INSE_ItEEEENS6_16discard_iteratorINS6_11use_defaultEEESI_PmS8_NS6_8equal_toIjEEEE10hipError_tPvRmT2_T3_mT4_T5_T6_T7_T8_P12ihipStream_tbENKUlT_T0_E_clISt17integral_constantIbLb1EES16_EEDaS11_S12_EUlS11_E_NS1_11comp_targetILNS1_3genE10ELNS1_11target_archE1200ELNS1_3gpuE4ELNS1_3repE0EEENS1_30default_config_static_selectorELNS0_4arch9wavefront6targetE0EEEvT1_,comdat
	.protected	_ZN7rocprim17ROCPRIM_400000_NS6detail17trampoline_kernelINS0_14default_configENS1_29reduce_by_key_config_selectorIjtN6thrust23THRUST_200600_302600_NS4plusItEEEEZZNS1_33reduce_by_key_impl_wrapped_configILNS1_25lookback_scan_determinismE0ES3_S9_NS6_6detail15normal_iteratorINS6_10device_ptrIjEEEENSD_INSE_ItEEEENS6_16discard_iteratorINS6_11use_defaultEEESI_PmS8_NS6_8equal_toIjEEEE10hipError_tPvRmT2_T3_mT4_T5_T6_T7_T8_P12ihipStream_tbENKUlT_T0_E_clISt17integral_constantIbLb1EES16_EEDaS11_S12_EUlS11_E_NS1_11comp_targetILNS1_3genE10ELNS1_11target_archE1200ELNS1_3gpuE4ELNS1_3repE0EEENS1_30default_config_static_selectorELNS0_4arch9wavefront6targetE0EEEvT1_ ; -- Begin function _ZN7rocprim17ROCPRIM_400000_NS6detail17trampoline_kernelINS0_14default_configENS1_29reduce_by_key_config_selectorIjtN6thrust23THRUST_200600_302600_NS4plusItEEEEZZNS1_33reduce_by_key_impl_wrapped_configILNS1_25lookback_scan_determinismE0ES3_S9_NS6_6detail15normal_iteratorINS6_10device_ptrIjEEEENSD_INSE_ItEEEENS6_16discard_iteratorINS6_11use_defaultEEESI_PmS8_NS6_8equal_toIjEEEE10hipError_tPvRmT2_T3_mT4_T5_T6_T7_T8_P12ihipStream_tbENKUlT_T0_E_clISt17integral_constantIbLb1EES16_EEDaS11_S12_EUlS11_E_NS1_11comp_targetILNS1_3genE10ELNS1_11target_archE1200ELNS1_3gpuE4ELNS1_3repE0EEENS1_30default_config_static_selectorELNS0_4arch9wavefront6targetE0EEEvT1_
	.globl	_ZN7rocprim17ROCPRIM_400000_NS6detail17trampoline_kernelINS0_14default_configENS1_29reduce_by_key_config_selectorIjtN6thrust23THRUST_200600_302600_NS4plusItEEEEZZNS1_33reduce_by_key_impl_wrapped_configILNS1_25lookback_scan_determinismE0ES3_S9_NS6_6detail15normal_iteratorINS6_10device_ptrIjEEEENSD_INSE_ItEEEENS6_16discard_iteratorINS6_11use_defaultEEESI_PmS8_NS6_8equal_toIjEEEE10hipError_tPvRmT2_T3_mT4_T5_T6_T7_T8_P12ihipStream_tbENKUlT_T0_E_clISt17integral_constantIbLb1EES16_EEDaS11_S12_EUlS11_E_NS1_11comp_targetILNS1_3genE10ELNS1_11target_archE1200ELNS1_3gpuE4ELNS1_3repE0EEENS1_30default_config_static_selectorELNS0_4arch9wavefront6targetE0EEEvT1_
	.p2align	8
	.type	_ZN7rocprim17ROCPRIM_400000_NS6detail17trampoline_kernelINS0_14default_configENS1_29reduce_by_key_config_selectorIjtN6thrust23THRUST_200600_302600_NS4plusItEEEEZZNS1_33reduce_by_key_impl_wrapped_configILNS1_25lookback_scan_determinismE0ES3_S9_NS6_6detail15normal_iteratorINS6_10device_ptrIjEEEENSD_INSE_ItEEEENS6_16discard_iteratorINS6_11use_defaultEEESI_PmS8_NS6_8equal_toIjEEEE10hipError_tPvRmT2_T3_mT4_T5_T6_T7_T8_P12ihipStream_tbENKUlT_T0_E_clISt17integral_constantIbLb1EES16_EEDaS11_S12_EUlS11_E_NS1_11comp_targetILNS1_3genE10ELNS1_11target_archE1200ELNS1_3gpuE4ELNS1_3repE0EEENS1_30default_config_static_selectorELNS0_4arch9wavefront6targetE0EEEvT1_,@function
_ZN7rocprim17ROCPRIM_400000_NS6detail17trampoline_kernelINS0_14default_configENS1_29reduce_by_key_config_selectorIjtN6thrust23THRUST_200600_302600_NS4plusItEEEEZZNS1_33reduce_by_key_impl_wrapped_configILNS1_25lookback_scan_determinismE0ES3_S9_NS6_6detail15normal_iteratorINS6_10device_ptrIjEEEENSD_INSE_ItEEEENS6_16discard_iteratorINS6_11use_defaultEEESI_PmS8_NS6_8equal_toIjEEEE10hipError_tPvRmT2_T3_mT4_T5_T6_T7_T8_P12ihipStream_tbENKUlT_T0_E_clISt17integral_constantIbLb1EES16_EEDaS11_S12_EUlS11_E_NS1_11comp_targetILNS1_3genE10ELNS1_11target_archE1200ELNS1_3gpuE4ELNS1_3repE0EEENS1_30default_config_static_selectorELNS0_4arch9wavefront6targetE0EEEvT1_: ; @_ZN7rocprim17ROCPRIM_400000_NS6detail17trampoline_kernelINS0_14default_configENS1_29reduce_by_key_config_selectorIjtN6thrust23THRUST_200600_302600_NS4plusItEEEEZZNS1_33reduce_by_key_impl_wrapped_configILNS1_25lookback_scan_determinismE0ES3_S9_NS6_6detail15normal_iteratorINS6_10device_ptrIjEEEENSD_INSE_ItEEEENS6_16discard_iteratorINS6_11use_defaultEEESI_PmS8_NS6_8equal_toIjEEEE10hipError_tPvRmT2_T3_mT4_T5_T6_T7_T8_P12ihipStream_tbENKUlT_T0_E_clISt17integral_constantIbLb1EES16_EEDaS11_S12_EUlS11_E_NS1_11comp_targetILNS1_3genE10ELNS1_11target_archE1200ELNS1_3gpuE4ELNS1_3repE0EEENS1_30default_config_static_selectorELNS0_4arch9wavefront6targetE0EEEvT1_
; %bb.0:
	.section	.rodata,"a",@progbits
	.p2align	6, 0x0
	.amdhsa_kernel _ZN7rocprim17ROCPRIM_400000_NS6detail17trampoline_kernelINS0_14default_configENS1_29reduce_by_key_config_selectorIjtN6thrust23THRUST_200600_302600_NS4plusItEEEEZZNS1_33reduce_by_key_impl_wrapped_configILNS1_25lookback_scan_determinismE0ES3_S9_NS6_6detail15normal_iteratorINS6_10device_ptrIjEEEENSD_INSE_ItEEEENS6_16discard_iteratorINS6_11use_defaultEEESI_PmS8_NS6_8equal_toIjEEEE10hipError_tPvRmT2_T3_mT4_T5_T6_T7_T8_P12ihipStream_tbENKUlT_T0_E_clISt17integral_constantIbLb1EES16_EEDaS11_S12_EUlS11_E_NS1_11comp_targetILNS1_3genE10ELNS1_11target_archE1200ELNS1_3gpuE4ELNS1_3repE0EEENS1_30default_config_static_selectorELNS0_4arch9wavefront6targetE0EEEvT1_
		.amdhsa_group_segment_fixed_size 0
		.amdhsa_private_segment_fixed_size 0
		.amdhsa_kernarg_size 128
		.amdhsa_user_sgpr_count 15
		.amdhsa_user_sgpr_dispatch_ptr 0
		.amdhsa_user_sgpr_queue_ptr 0
		.amdhsa_user_sgpr_kernarg_segment_ptr 1
		.amdhsa_user_sgpr_dispatch_id 0
		.amdhsa_user_sgpr_private_segment_size 0
		.amdhsa_wavefront_size32 1
		.amdhsa_uses_dynamic_stack 0
		.amdhsa_enable_private_segment 0
		.amdhsa_system_sgpr_workgroup_id_x 1
		.amdhsa_system_sgpr_workgroup_id_y 0
		.amdhsa_system_sgpr_workgroup_id_z 0
		.amdhsa_system_sgpr_workgroup_info 0
		.amdhsa_system_vgpr_workitem_id 0
		.amdhsa_next_free_vgpr 1
		.amdhsa_next_free_sgpr 1
		.amdhsa_reserve_vcc 0
		.amdhsa_float_round_mode_32 0
		.amdhsa_float_round_mode_16_64 0
		.amdhsa_float_denorm_mode_32 3
		.amdhsa_float_denorm_mode_16_64 3
		.amdhsa_dx10_clamp 1
		.amdhsa_ieee_mode 1
		.amdhsa_fp16_overflow 0
		.amdhsa_workgroup_processor_mode 1
		.amdhsa_memory_ordered 1
		.amdhsa_forward_progress 0
		.amdhsa_shared_vgpr_count 0
		.amdhsa_exception_fp_ieee_invalid_op 0
		.amdhsa_exception_fp_denorm_src 0
		.amdhsa_exception_fp_ieee_div_zero 0
		.amdhsa_exception_fp_ieee_overflow 0
		.amdhsa_exception_fp_ieee_underflow 0
		.amdhsa_exception_fp_ieee_inexact 0
		.amdhsa_exception_int_div_zero 0
	.end_amdhsa_kernel
	.section	.text._ZN7rocprim17ROCPRIM_400000_NS6detail17trampoline_kernelINS0_14default_configENS1_29reduce_by_key_config_selectorIjtN6thrust23THRUST_200600_302600_NS4plusItEEEEZZNS1_33reduce_by_key_impl_wrapped_configILNS1_25lookback_scan_determinismE0ES3_S9_NS6_6detail15normal_iteratorINS6_10device_ptrIjEEEENSD_INSE_ItEEEENS6_16discard_iteratorINS6_11use_defaultEEESI_PmS8_NS6_8equal_toIjEEEE10hipError_tPvRmT2_T3_mT4_T5_T6_T7_T8_P12ihipStream_tbENKUlT_T0_E_clISt17integral_constantIbLb1EES16_EEDaS11_S12_EUlS11_E_NS1_11comp_targetILNS1_3genE10ELNS1_11target_archE1200ELNS1_3gpuE4ELNS1_3repE0EEENS1_30default_config_static_selectorELNS0_4arch9wavefront6targetE0EEEvT1_,"axG",@progbits,_ZN7rocprim17ROCPRIM_400000_NS6detail17trampoline_kernelINS0_14default_configENS1_29reduce_by_key_config_selectorIjtN6thrust23THRUST_200600_302600_NS4plusItEEEEZZNS1_33reduce_by_key_impl_wrapped_configILNS1_25lookback_scan_determinismE0ES3_S9_NS6_6detail15normal_iteratorINS6_10device_ptrIjEEEENSD_INSE_ItEEEENS6_16discard_iteratorINS6_11use_defaultEEESI_PmS8_NS6_8equal_toIjEEEE10hipError_tPvRmT2_T3_mT4_T5_T6_T7_T8_P12ihipStream_tbENKUlT_T0_E_clISt17integral_constantIbLb1EES16_EEDaS11_S12_EUlS11_E_NS1_11comp_targetILNS1_3genE10ELNS1_11target_archE1200ELNS1_3gpuE4ELNS1_3repE0EEENS1_30default_config_static_selectorELNS0_4arch9wavefront6targetE0EEEvT1_,comdat
.Lfunc_end964:
	.size	_ZN7rocprim17ROCPRIM_400000_NS6detail17trampoline_kernelINS0_14default_configENS1_29reduce_by_key_config_selectorIjtN6thrust23THRUST_200600_302600_NS4plusItEEEEZZNS1_33reduce_by_key_impl_wrapped_configILNS1_25lookback_scan_determinismE0ES3_S9_NS6_6detail15normal_iteratorINS6_10device_ptrIjEEEENSD_INSE_ItEEEENS6_16discard_iteratorINS6_11use_defaultEEESI_PmS8_NS6_8equal_toIjEEEE10hipError_tPvRmT2_T3_mT4_T5_T6_T7_T8_P12ihipStream_tbENKUlT_T0_E_clISt17integral_constantIbLb1EES16_EEDaS11_S12_EUlS11_E_NS1_11comp_targetILNS1_3genE10ELNS1_11target_archE1200ELNS1_3gpuE4ELNS1_3repE0EEENS1_30default_config_static_selectorELNS0_4arch9wavefront6targetE0EEEvT1_, .Lfunc_end964-_ZN7rocprim17ROCPRIM_400000_NS6detail17trampoline_kernelINS0_14default_configENS1_29reduce_by_key_config_selectorIjtN6thrust23THRUST_200600_302600_NS4plusItEEEEZZNS1_33reduce_by_key_impl_wrapped_configILNS1_25lookback_scan_determinismE0ES3_S9_NS6_6detail15normal_iteratorINS6_10device_ptrIjEEEENSD_INSE_ItEEEENS6_16discard_iteratorINS6_11use_defaultEEESI_PmS8_NS6_8equal_toIjEEEE10hipError_tPvRmT2_T3_mT4_T5_T6_T7_T8_P12ihipStream_tbENKUlT_T0_E_clISt17integral_constantIbLb1EES16_EEDaS11_S12_EUlS11_E_NS1_11comp_targetILNS1_3genE10ELNS1_11target_archE1200ELNS1_3gpuE4ELNS1_3repE0EEENS1_30default_config_static_selectorELNS0_4arch9wavefront6targetE0EEEvT1_
                                        ; -- End function
	.section	.AMDGPU.csdata,"",@progbits
; Kernel info:
; codeLenInByte = 0
; NumSgprs: 0
; NumVgprs: 0
; ScratchSize: 0
; MemoryBound: 0
; FloatMode: 240
; IeeeMode: 1
; LDSByteSize: 0 bytes/workgroup (compile time only)
; SGPRBlocks: 0
; VGPRBlocks: 0
; NumSGPRsForWavesPerEU: 1
; NumVGPRsForWavesPerEU: 1
; Occupancy: 16
; WaveLimiterHint : 0
; COMPUTE_PGM_RSRC2:SCRATCH_EN: 0
; COMPUTE_PGM_RSRC2:USER_SGPR: 15
; COMPUTE_PGM_RSRC2:TRAP_HANDLER: 0
; COMPUTE_PGM_RSRC2:TGID_X_EN: 1
; COMPUTE_PGM_RSRC2:TGID_Y_EN: 0
; COMPUTE_PGM_RSRC2:TGID_Z_EN: 0
; COMPUTE_PGM_RSRC2:TIDIG_COMP_CNT: 0
	.section	.text._ZN7rocprim17ROCPRIM_400000_NS6detail17trampoline_kernelINS0_14default_configENS1_29reduce_by_key_config_selectorIjtN6thrust23THRUST_200600_302600_NS4plusItEEEEZZNS1_33reduce_by_key_impl_wrapped_configILNS1_25lookback_scan_determinismE0ES3_S9_NS6_6detail15normal_iteratorINS6_10device_ptrIjEEEENSD_INSE_ItEEEENS6_16discard_iteratorINS6_11use_defaultEEESI_PmS8_NS6_8equal_toIjEEEE10hipError_tPvRmT2_T3_mT4_T5_T6_T7_T8_P12ihipStream_tbENKUlT_T0_E_clISt17integral_constantIbLb1EES16_EEDaS11_S12_EUlS11_E_NS1_11comp_targetILNS1_3genE9ELNS1_11target_archE1100ELNS1_3gpuE3ELNS1_3repE0EEENS1_30default_config_static_selectorELNS0_4arch9wavefront6targetE0EEEvT1_,"axG",@progbits,_ZN7rocprim17ROCPRIM_400000_NS6detail17trampoline_kernelINS0_14default_configENS1_29reduce_by_key_config_selectorIjtN6thrust23THRUST_200600_302600_NS4plusItEEEEZZNS1_33reduce_by_key_impl_wrapped_configILNS1_25lookback_scan_determinismE0ES3_S9_NS6_6detail15normal_iteratorINS6_10device_ptrIjEEEENSD_INSE_ItEEEENS6_16discard_iteratorINS6_11use_defaultEEESI_PmS8_NS6_8equal_toIjEEEE10hipError_tPvRmT2_T3_mT4_T5_T6_T7_T8_P12ihipStream_tbENKUlT_T0_E_clISt17integral_constantIbLb1EES16_EEDaS11_S12_EUlS11_E_NS1_11comp_targetILNS1_3genE9ELNS1_11target_archE1100ELNS1_3gpuE3ELNS1_3repE0EEENS1_30default_config_static_selectorELNS0_4arch9wavefront6targetE0EEEvT1_,comdat
	.protected	_ZN7rocprim17ROCPRIM_400000_NS6detail17trampoline_kernelINS0_14default_configENS1_29reduce_by_key_config_selectorIjtN6thrust23THRUST_200600_302600_NS4plusItEEEEZZNS1_33reduce_by_key_impl_wrapped_configILNS1_25lookback_scan_determinismE0ES3_S9_NS6_6detail15normal_iteratorINS6_10device_ptrIjEEEENSD_INSE_ItEEEENS6_16discard_iteratorINS6_11use_defaultEEESI_PmS8_NS6_8equal_toIjEEEE10hipError_tPvRmT2_T3_mT4_T5_T6_T7_T8_P12ihipStream_tbENKUlT_T0_E_clISt17integral_constantIbLb1EES16_EEDaS11_S12_EUlS11_E_NS1_11comp_targetILNS1_3genE9ELNS1_11target_archE1100ELNS1_3gpuE3ELNS1_3repE0EEENS1_30default_config_static_selectorELNS0_4arch9wavefront6targetE0EEEvT1_ ; -- Begin function _ZN7rocprim17ROCPRIM_400000_NS6detail17trampoline_kernelINS0_14default_configENS1_29reduce_by_key_config_selectorIjtN6thrust23THRUST_200600_302600_NS4plusItEEEEZZNS1_33reduce_by_key_impl_wrapped_configILNS1_25lookback_scan_determinismE0ES3_S9_NS6_6detail15normal_iteratorINS6_10device_ptrIjEEEENSD_INSE_ItEEEENS6_16discard_iteratorINS6_11use_defaultEEESI_PmS8_NS6_8equal_toIjEEEE10hipError_tPvRmT2_T3_mT4_T5_T6_T7_T8_P12ihipStream_tbENKUlT_T0_E_clISt17integral_constantIbLb1EES16_EEDaS11_S12_EUlS11_E_NS1_11comp_targetILNS1_3genE9ELNS1_11target_archE1100ELNS1_3gpuE3ELNS1_3repE0EEENS1_30default_config_static_selectorELNS0_4arch9wavefront6targetE0EEEvT1_
	.globl	_ZN7rocprim17ROCPRIM_400000_NS6detail17trampoline_kernelINS0_14default_configENS1_29reduce_by_key_config_selectorIjtN6thrust23THRUST_200600_302600_NS4plusItEEEEZZNS1_33reduce_by_key_impl_wrapped_configILNS1_25lookback_scan_determinismE0ES3_S9_NS6_6detail15normal_iteratorINS6_10device_ptrIjEEEENSD_INSE_ItEEEENS6_16discard_iteratorINS6_11use_defaultEEESI_PmS8_NS6_8equal_toIjEEEE10hipError_tPvRmT2_T3_mT4_T5_T6_T7_T8_P12ihipStream_tbENKUlT_T0_E_clISt17integral_constantIbLb1EES16_EEDaS11_S12_EUlS11_E_NS1_11comp_targetILNS1_3genE9ELNS1_11target_archE1100ELNS1_3gpuE3ELNS1_3repE0EEENS1_30default_config_static_selectorELNS0_4arch9wavefront6targetE0EEEvT1_
	.p2align	8
	.type	_ZN7rocprim17ROCPRIM_400000_NS6detail17trampoline_kernelINS0_14default_configENS1_29reduce_by_key_config_selectorIjtN6thrust23THRUST_200600_302600_NS4plusItEEEEZZNS1_33reduce_by_key_impl_wrapped_configILNS1_25lookback_scan_determinismE0ES3_S9_NS6_6detail15normal_iteratorINS6_10device_ptrIjEEEENSD_INSE_ItEEEENS6_16discard_iteratorINS6_11use_defaultEEESI_PmS8_NS6_8equal_toIjEEEE10hipError_tPvRmT2_T3_mT4_T5_T6_T7_T8_P12ihipStream_tbENKUlT_T0_E_clISt17integral_constantIbLb1EES16_EEDaS11_S12_EUlS11_E_NS1_11comp_targetILNS1_3genE9ELNS1_11target_archE1100ELNS1_3gpuE3ELNS1_3repE0EEENS1_30default_config_static_selectorELNS0_4arch9wavefront6targetE0EEEvT1_,@function
_ZN7rocprim17ROCPRIM_400000_NS6detail17trampoline_kernelINS0_14default_configENS1_29reduce_by_key_config_selectorIjtN6thrust23THRUST_200600_302600_NS4plusItEEEEZZNS1_33reduce_by_key_impl_wrapped_configILNS1_25lookback_scan_determinismE0ES3_S9_NS6_6detail15normal_iteratorINS6_10device_ptrIjEEEENSD_INSE_ItEEEENS6_16discard_iteratorINS6_11use_defaultEEESI_PmS8_NS6_8equal_toIjEEEE10hipError_tPvRmT2_T3_mT4_T5_T6_T7_T8_P12ihipStream_tbENKUlT_T0_E_clISt17integral_constantIbLb1EES16_EEDaS11_S12_EUlS11_E_NS1_11comp_targetILNS1_3genE9ELNS1_11target_archE1100ELNS1_3gpuE3ELNS1_3repE0EEENS1_30default_config_static_selectorELNS0_4arch9wavefront6targetE0EEEvT1_: ; @_ZN7rocprim17ROCPRIM_400000_NS6detail17trampoline_kernelINS0_14default_configENS1_29reduce_by_key_config_selectorIjtN6thrust23THRUST_200600_302600_NS4plusItEEEEZZNS1_33reduce_by_key_impl_wrapped_configILNS1_25lookback_scan_determinismE0ES3_S9_NS6_6detail15normal_iteratorINS6_10device_ptrIjEEEENSD_INSE_ItEEEENS6_16discard_iteratorINS6_11use_defaultEEESI_PmS8_NS6_8equal_toIjEEEE10hipError_tPvRmT2_T3_mT4_T5_T6_T7_T8_P12ihipStream_tbENKUlT_T0_E_clISt17integral_constantIbLb1EES16_EEDaS11_S12_EUlS11_E_NS1_11comp_targetILNS1_3genE9ELNS1_11target_archE1100ELNS1_3gpuE3ELNS1_3repE0EEENS1_30default_config_static_selectorELNS0_4arch9wavefront6targetE0EEEvT1_
; %bb.0:
	s_clause 0x4
	s_load_b128 s[4:7], s[0:1], 0x0
	s_load_b64 s[8:9], s[0:1], 0x10
	s_load_b64 s[34:35], s[0:1], 0x70
	s_load_b128 s[40:43], s[0:1], 0x60
	s_load_b256 s[24:31], s[0:1], 0x40
	v_cmp_ne_u32_e64 s3, 0, v0
	v_cmp_eq_u32_e64 s2, 0, v0
	s_delay_alu instid0(VALU_DEP_1)
	s_and_saveexec_b32 s10, s2
	s_cbranch_execz .LBB965_4
; %bb.1:
	s_mov_b32 s12, exec_lo
	s_mov_b32 s11, exec_lo
	v_mbcnt_lo_u32_b32 v1, s12, 0
                                        ; implicit-def: $vgpr2
	s_delay_alu instid0(VALU_DEP_1)
	v_cmpx_eq_u32_e32 0, v1
	s_cbranch_execz .LBB965_3
; %bb.2:
	s_load_b64 s[14:15], s[0:1], 0x78
	s_bcnt1_i32_b32 s12, s12
	s_delay_alu instid0(SALU_CYCLE_1)
	v_dual_mov_b32 v2, 0 :: v_dual_mov_b32 v3, s12
	s_waitcnt lgkmcnt(0)
	global_atomic_add_u32 v2, v2, v3, s[14:15] glc
.LBB965_3:
	s_or_b32 exec_lo, exec_lo, s11
	s_waitcnt vmcnt(0)
	v_readfirstlane_b32 s11, v2
	s_delay_alu instid0(VALU_DEP_1)
	v_dual_mov_b32 v2, 0 :: v_dual_add_nc_u32 v1, s11, v1
	ds_store_b32 v2, v1
.LBB965_4:
	s_or_b32 exec_lo, exec_lo, s10
	v_mov_b32_e32 v2, 0
	s_waitcnt lgkmcnt(0)
	s_barrier
	buffer_gl0_inv
	s_load_b128 s[36:39], s[0:1], 0x28
	ds_load_b32 v1, v2
	s_lshl_b64 s[0:1], s[6:7], 2
	s_mul_i32 s10, s28, s27
	s_add_u32 s14, s4, s0
	s_addc_u32 s1, s5, s1
	s_lshl_b64 s[4:5], s[6:7], 1
	s_mul_hi_u32 s11, s28, s26
	s_add_u32 s6, s8, s4
	s_mul_i32 s12, s29, s26
	s_addc_u32 s7, s9, s5
	s_add_i32 s4, s11, s10
	s_mul_i32 s13, s28, s26
	s_add_i32 s4, s4, s12
	s_mov_b32 s0, 0
	s_waitcnt lgkmcnt(0)
	s_barrier
	buffer_gl0_inv
	v_readfirstlane_b32 s44, v1
	v_mul_lo_u32 v1, 0xf00, v1
	s_delay_alu instid0(VALU_DEP_2) | instskip(SKIP_3) | instid1(VALU_DEP_1)
	s_add_u32 s18, s13, s44
	s_addc_u32 s19, s4, 0
	s_add_u32 s4, s30, -1
	s_addc_u32 s5, s31, -1
	v_lshlrev_b64 v[3:4], 2, v[1:2]
	v_lshlrev_b64 v[5:6], 1, v[1:2]
	s_cmp_eq_u64 s[18:19], s[4:5]
	s_mul_i32 s31, s4, 0xfffff100
	s_cselect_b32 s30, -1, 0
	s_cmp_lg_u64 s[18:19], s[4:5]
	v_add_co_u32 v2, vcc_lo, s14, v3
	v_add_co_ci_u32_e32 v1, vcc_lo, s1, v4, vcc_lo
	v_add_co_u32 v3, vcc_lo, s6, v5
	v_add_co_ci_u32_e32 v4, vcc_lo, s7, v6, vcc_lo
	s_cselect_b32 s17, -1, 0
	s_and_b32 vcc_lo, exec_lo, s30
	s_cbranch_vccnz .LBB965_6
; %bb.5:
	v_lshlrev_b32_e32 v9, 2, v0
	v_mad_u32_u24 v33, v0, 15, 1
	v_mad_u32_u24 v28, v0, 15, 2
	;; [unrolled: 1-line block ×4, first 2 shown]
	v_add_co_u32 v5, vcc_lo, v2, v9
	v_add_co_ci_u32_e32 v6, vcc_lo, 0, v1, vcc_lo
	v_mad_u32_u24 v27, v0, 56, v9
	s_delay_alu instid0(VALU_DEP_3) | instskip(NEXT) | instid1(VALU_DEP_3)
	v_add_co_u32 v7, vcc_lo, 0x1000, v5
	v_add_co_ci_u32_e32 v8, vcc_lo, 0, v6, vcc_lo
	s_clause 0x7
	flat_load_b32 v10, v[5:6]
	flat_load_b32 v11, v[5:6] offset:1024
	flat_load_b32 v12, v[5:6] offset:2048
	;; [unrolled: 1-line block ×3, first 2 shown]
	flat_load_b32 v14, v[7:8]
	flat_load_b32 v15, v[7:8] offset:1024
	flat_load_b32 v16, v[7:8] offset:2048
	;; [unrolled: 1-line block ×3, first 2 shown]
	v_add_co_u32 v7, vcc_lo, 0x2000, v5
	v_add_co_ci_u32_e32 v8, vcc_lo, 0, v6, vcc_lo
	v_add_co_u32 v5, vcc_lo, 0x3000, v5
	v_add_co_ci_u32_e32 v6, vcc_lo, 0, v6, vcc_lo
	s_clause 0x6
	flat_load_b32 v18, v[7:8]
	flat_load_b32 v19, v[7:8] offset:1024
	flat_load_b32 v24, v[7:8] offset:2048
	;; [unrolled: 1-line block ×3, first 2 shown]
	flat_load_b32 v8, v[5:6]
	flat_load_b32 v25, v[5:6] offset:1024
	flat_load_b32 v5, v[5:6] offset:2048
	v_lshlrev_b32_e32 v6, 1, v0
	v_mad_u32_u24 v31, v0, 15, 5
	v_mad_u32_u24 v30, v0, 15, 7
	;; [unrolled: 1-line block ×4, first 2 shown]
	v_add_co_u32 v20, vcc_lo, v3, v6
	v_add_co_ci_u32_e32 v21, vcc_lo, 0, v4, vcc_lo
	s_waitcnt vmcnt(13) lgkmcnt(13)
	ds_store_2addr_stride64_b32 v9, v10, v11 offset1:4
	s_waitcnt vmcnt(11) lgkmcnt(12)
	ds_store_2addr_stride64_b32 v9, v12, v13 offset0:8 offset1:12
	s_waitcnt vmcnt(9) lgkmcnt(11)
	ds_store_2addr_stride64_b32 v9, v14, v15 offset0:16 offset1:20
	;; [unrolled: 2-line block ×6, first 2 shown]
	s_waitcnt vmcnt(0) lgkmcnt(7)
	ds_store_b32 v9, v5 offset:14336
	v_add_co_u32 v22, vcc_lo, 0x1000, v20
	v_add_co_ci_u32_e32 v23, vcc_lo, 0, v21, vcc_lo
	s_waitcnt lgkmcnt(0)
	s_barrier
	buffer_gl0_inv
	ds_load_2addr_b32 v[18:19], v27 offset1:1
	ds_load_2addr_b32 v[16:17], v27 offset0:2 offset1:3
	ds_load_2addr_b32 v[14:15], v27 offset0:4 offset1:5
	;; [unrolled: 1-line block ×6, first 2 shown]
	ds_load_b32 v52, v27 offset:56
	s_waitcnt lgkmcnt(0)
	s_barrier
	buffer_gl0_inv
	s_clause 0xe
	flat_load_u16 v35, v[20:21]
	flat_load_u16 v36, v[20:21] offset:512
	flat_load_u16 v37, v[20:21] offset:1024
	;; [unrolled: 1-line block ×7, first 2 shown]
	flat_load_u16 v43, v[22:23]
	flat_load_u16 v44, v[22:23] offset:512
	flat_load_u16 v45, v[22:23] offset:1024
	;; [unrolled: 1-line block ×6, first 2 shown]
	v_mul_u32_u24_e32 v5, 15, v0
	v_mad_u32_u24 v25, v0, 15, 6
	v_mad_u32_u24 v21, v0, 15, 8
	;; [unrolled: 1-line block ×4, first 2 shown]
	v_mad_i32_i24 v27, 0xffffffc6, v0, v27
	v_mad_u32_u24 v24, v0, 15, 13
	v_mad_u32_u24 v22, v0, 15, 14
	s_waitcnt vmcnt(14) lgkmcnt(14)
	ds_store_b16 v27, v35
	s_waitcnt vmcnt(13) lgkmcnt(14)
	ds_store_b16 v27, v36 offset:512
	s_waitcnt vmcnt(12) lgkmcnt(14)
	ds_store_b16 v27, v37 offset:1024
	;; [unrolled: 2-line block ×14, first 2 shown]
	s_waitcnt lgkmcnt(0)
	s_barrier
	s_and_not1_b32 vcc_lo, exec_lo, s0
	s_add_i32 s31, s31, s40
	s_cbranch_vccz .LBB965_7
	s_branch .LBB965_68
.LBB965_6:
                                        ; implicit-def: $vgpr22
                                        ; implicit-def: $vgpr24
                                        ; implicit-def: $vgpr29
                                        ; implicit-def: $vgpr34
                                        ; implicit-def: $vgpr20
                                        ; implicit-def: $vgpr23
                                        ; implicit-def: $vgpr21
                                        ; implicit-def: $vgpr30
                                        ; implicit-def: $vgpr25
                                        ; implicit-def: $vgpr31
                                        ; implicit-def: $vgpr26
                                        ; implicit-def: $vgpr32
                                        ; implicit-def: $vgpr28
                                        ; implicit-def: $vgpr33
                                        ; implicit-def: $vgpr5
                                        ; implicit-def: $vgpr18
                                        ; implicit-def: $vgpr16
                                        ; implicit-def: $vgpr14
                                        ; implicit-def: $vgpr12
                                        ; implicit-def: $vgpr10
                                        ; implicit-def: $vgpr8
                                        ; implicit-def: $vgpr6
                                        ; implicit-def: $vgpr52
	s_add_i32 s31, s31, s40
.LBB965_7:
	s_delay_alu instid0(SALU_CYCLE_1)
	v_cmp_gt_u32_e32 vcc_lo, s31, v0
                                        ; implicit-def: $vgpr6
	s_and_saveexec_b32 s1, vcc_lo
	s_cbranch_execz .LBB965_9
; %bb.8:
	v_lshlrev_b32_e32 v5, 2, v0
	s_delay_alu instid0(VALU_DEP_1) | instskip(NEXT) | instid1(VALU_DEP_1)
	v_add_co_u32 v5, s0, v2, v5
	v_add_co_ci_u32_e64 v6, s0, 0, v1, s0
	flat_load_b32 v6, v[5:6]
.LBB965_9:
	s_or_b32 exec_lo, exec_lo, s1
	v_or_b32_e32 v5, 0x100, v0
                                        ; implicit-def: $vgpr7
	s_delay_alu instid0(VALU_DEP_1) | instskip(NEXT) | instid1(VALU_DEP_1)
	v_cmp_gt_u32_e64 s0, s31, v5
	s_and_saveexec_b32 s4, s0
	s_cbranch_execz .LBB965_11
; %bb.10:
	v_lshlrev_b32_e32 v5, 2, v0
	s_delay_alu instid0(VALU_DEP_1) | instskip(NEXT) | instid1(VALU_DEP_1)
	v_add_co_u32 v7, s1, v2, v5
	v_add_co_ci_u32_e64 v8, s1, 0, v1, s1
	flat_load_b32 v7, v[7:8] offset:1024
.LBB965_11:
	s_or_b32 exec_lo, exec_lo, s4
	v_or_b32_e32 v5, 0x200, v0
                                        ; implicit-def: $vgpr8
	s_delay_alu instid0(VALU_DEP_1) | instskip(NEXT) | instid1(VALU_DEP_1)
	v_cmp_gt_u32_e64 s1, s31, v5
	s_and_saveexec_b32 s5, s1
	s_cbranch_execz .LBB965_13
; %bb.12:
	v_lshlrev_b32_e32 v5, 2, v0
	s_delay_alu instid0(VALU_DEP_1) | instskip(NEXT) | instid1(VALU_DEP_1)
	v_add_co_u32 v8, s4, v2, v5
	v_add_co_ci_u32_e64 v9, s4, 0, v1, s4
	flat_load_b32 v8, v[8:9] offset:2048
.LBB965_13:
	s_or_b32 exec_lo, exec_lo, s5
	v_or_b32_e32 v5, 0x300, v0
                                        ; implicit-def: $vgpr9
	s_delay_alu instid0(VALU_DEP_1) | instskip(NEXT) | instid1(VALU_DEP_1)
	v_cmp_gt_u32_e64 s4, s31, v5
	s_and_saveexec_b32 s6, s4
	s_cbranch_execz .LBB965_15
; %bb.14:
	v_lshlrev_b32_e32 v5, 2, v0
	s_delay_alu instid0(VALU_DEP_1) | instskip(NEXT) | instid1(VALU_DEP_1)
	v_add_co_u32 v9, s5, v2, v5
	v_add_co_ci_u32_e64 v10, s5, 0, v1, s5
	flat_load_b32 v9, v[9:10] offset:3072
.LBB965_15:
	s_or_b32 exec_lo, exec_lo, s6
	v_or_b32_e32 v5, 0x400, v0
                                        ; implicit-def: $vgpr10
	s_delay_alu instid0(VALU_DEP_1) | instskip(NEXT) | instid1(VALU_DEP_1)
	v_cmp_gt_u32_e64 s5, s31, v5
	s_and_saveexec_b32 s7, s5
	s_cbranch_execz .LBB965_17
; %bb.16:
	v_lshlrev_b32_e32 v5, 2, v5
	s_delay_alu instid0(VALU_DEP_1) | instskip(NEXT) | instid1(VALU_DEP_1)
	v_add_co_u32 v10, s6, v2, v5
	v_add_co_ci_u32_e64 v11, s6, 0, v1, s6
	flat_load_b32 v10, v[10:11]
.LBB965_17:
	s_or_b32 exec_lo, exec_lo, s7
	v_or_b32_e32 v5, 0x500, v0
                                        ; implicit-def: $vgpr11
	s_delay_alu instid0(VALU_DEP_1) | instskip(NEXT) | instid1(VALU_DEP_1)
	v_cmp_gt_u32_e64 s6, s31, v5
	s_and_saveexec_b32 s8, s6
	s_cbranch_execz .LBB965_19
; %bb.18:
	v_lshlrev_b32_e32 v5, 2, v5
	s_delay_alu instid0(VALU_DEP_1) | instskip(NEXT) | instid1(VALU_DEP_1)
	v_add_co_u32 v11, s7, v2, v5
	v_add_co_ci_u32_e64 v12, s7, 0, v1, s7
	flat_load_b32 v11, v[11:12]
.LBB965_19:
	s_or_b32 exec_lo, exec_lo, s8
	v_or_b32_e32 v5, 0x600, v0
                                        ; implicit-def: $vgpr12
	s_delay_alu instid0(VALU_DEP_1) | instskip(NEXT) | instid1(VALU_DEP_1)
	v_cmp_gt_u32_e64 s7, s31, v5
	s_and_saveexec_b32 s9, s7
	s_cbranch_execz .LBB965_21
; %bb.20:
	v_lshlrev_b32_e32 v5, 2, v5
	s_delay_alu instid0(VALU_DEP_1) | instskip(NEXT) | instid1(VALU_DEP_1)
	v_add_co_u32 v12, s8, v2, v5
	v_add_co_ci_u32_e64 v13, s8, 0, v1, s8
	flat_load_b32 v12, v[12:13]
.LBB965_21:
	s_or_b32 exec_lo, exec_lo, s9
	v_or_b32_e32 v5, 0x700, v0
                                        ; implicit-def: $vgpr13
	s_delay_alu instid0(VALU_DEP_1) | instskip(NEXT) | instid1(VALU_DEP_1)
	v_cmp_gt_u32_e64 s8, s31, v5
	s_and_saveexec_b32 s10, s8
	s_cbranch_execz .LBB965_23
; %bb.22:
	v_lshlrev_b32_e32 v5, 2, v5
	s_delay_alu instid0(VALU_DEP_1) | instskip(NEXT) | instid1(VALU_DEP_1)
	v_add_co_u32 v13, s9, v2, v5
	v_add_co_ci_u32_e64 v14, s9, 0, v1, s9
	flat_load_b32 v13, v[13:14]
.LBB965_23:
	s_or_b32 exec_lo, exec_lo, s10
	v_or_b32_e32 v5, 0x800, v0
                                        ; implicit-def: $vgpr14
	s_delay_alu instid0(VALU_DEP_1) | instskip(NEXT) | instid1(VALU_DEP_1)
	v_cmp_gt_u32_e64 s9, s31, v5
	s_and_saveexec_b32 s11, s9
	s_cbranch_execz .LBB965_25
; %bb.24:
	v_lshlrev_b32_e32 v14, 2, v5
	s_delay_alu instid0(VALU_DEP_1) | instskip(NEXT) | instid1(VALU_DEP_1)
	v_add_co_u32 v14, s10, v2, v14
	v_add_co_ci_u32_e64 v15, s10, 0, v1, s10
	flat_load_b32 v14, v[14:15]
.LBB965_25:
	s_or_b32 exec_lo, exec_lo, s11
	v_or_b32_e32 v20, 0x900, v0
                                        ; implicit-def: $vgpr15
	s_delay_alu instid0(VALU_DEP_1) | instskip(NEXT) | instid1(VALU_DEP_1)
	v_cmp_gt_u32_e64 s10, s31, v20
	s_and_saveexec_b32 s12, s10
	s_cbranch_execz .LBB965_27
; %bb.26:
	v_lshlrev_b32_e32 v15, 2, v20
	s_delay_alu instid0(VALU_DEP_1) | instskip(NEXT) | instid1(VALU_DEP_1)
	v_add_co_u32 v15, s11, v2, v15
	v_add_co_ci_u32_e64 v16, s11, 0, v1, s11
	flat_load_b32 v15, v[15:16]
.LBB965_27:
	s_or_b32 exec_lo, exec_lo, s12
	v_or_b32_e32 v21, 0xa00, v0
                                        ; implicit-def: $vgpr16
	s_delay_alu instid0(VALU_DEP_1) | instskip(NEXT) | instid1(VALU_DEP_1)
	v_cmp_gt_u32_e64 s11, s31, v21
	s_and_saveexec_b32 s13, s11
	s_cbranch_execz .LBB965_29
; %bb.28:
	v_lshlrev_b32_e32 v16, 2, v21
	s_delay_alu instid0(VALU_DEP_1) | instskip(NEXT) | instid1(VALU_DEP_1)
	v_add_co_u32 v16, s12, v2, v16
	v_add_co_ci_u32_e64 v17, s12, 0, v1, s12
	flat_load_b32 v16, v[16:17]
.LBB965_29:
	s_or_b32 exec_lo, exec_lo, s13
	v_or_b32_e32 v23, 0xb00, v0
                                        ; implicit-def: $vgpr17
	s_delay_alu instid0(VALU_DEP_1) | instskip(NEXT) | instid1(VALU_DEP_1)
	v_cmp_gt_u32_e64 s12, s31, v23
	s_and_saveexec_b32 s14, s12
	s_cbranch_execz .LBB965_31
; %bb.30:
	v_lshlrev_b32_e32 v17, 2, v23
	s_delay_alu instid0(VALU_DEP_1) | instskip(NEXT) | instid1(VALU_DEP_1)
	v_add_co_u32 v17, s13, v2, v17
	v_add_co_ci_u32_e64 v18, s13, 0, v1, s13
	flat_load_b32 v17, v[17:18]
.LBB965_31:
	s_or_b32 exec_lo, exec_lo, s14
	v_or_b32_e32 v24, 0xc00, v0
                                        ; implicit-def: $vgpr18
	s_delay_alu instid0(VALU_DEP_1) | instskip(NEXT) | instid1(VALU_DEP_1)
	v_cmp_gt_u32_e64 s13, s31, v24
	s_and_saveexec_b32 s15, s13
	s_cbranch_execz .LBB965_33
; %bb.32:
	v_lshlrev_b32_e32 v18, 2, v24
	s_delay_alu instid0(VALU_DEP_1) | instskip(NEXT) | instid1(VALU_DEP_1)
	v_add_co_u32 v18, s14, v2, v18
	v_add_co_ci_u32_e64 v19, s14, 0, v1, s14
	flat_load_b32 v18, v[18:19]
.LBB965_33:
	s_or_b32 exec_lo, exec_lo, s15
	v_or_b32_e32 v25, 0xd00, v0
                                        ; implicit-def: $vgpr19
	s_delay_alu instid0(VALU_DEP_1) | instskip(NEXT) | instid1(VALU_DEP_1)
	v_cmp_gt_u32_e64 s14, s31, v25
	s_and_saveexec_b32 s16, s14
	s_cbranch_execz .LBB965_35
; %bb.34:
	v_lshlrev_b32_e32 v19, 2, v25
	s_delay_alu instid0(VALU_DEP_1) | instskip(NEXT) | instid1(VALU_DEP_1)
	v_add_co_u32 v26, s15, v2, v19
	v_add_co_ci_u32_e64 v27, s15, 0, v1, s15
	flat_load_b32 v19, v[26:27]
.LBB965_35:
	s_or_b32 exec_lo, exec_lo, s16
	v_or_b32_e32 v26, 0xe00, v0
                                        ; implicit-def: $vgpr27
	s_delay_alu instid0(VALU_DEP_1) | instskip(NEXT) | instid1(VALU_DEP_1)
	v_cmp_gt_u32_e64 s15, s31, v26
	s_and_saveexec_b32 s20, s15
	s_cbranch_execz .LBB965_37
; %bb.36:
	v_lshlrev_b32_e32 v22, 2, v26
	s_delay_alu instid0(VALU_DEP_1) | instskip(NEXT) | instid1(VALU_DEP_1)
	v_add_co_u32 v27, s16, v2, v22
	v_add_co_ci_u32_e64 v28, s16, 0, v1, s16
	flat_load_b32 v27, v[27:28]
.LBB965_37:
	s_or_b32 exec_lo, exec_lo, s20
	v_lshlrev_b32_e32 v28, 2, v0
	s_waitcnt vmcnt(0) lgkmcnt(0)
	ds_store_2addr_stride64_b32 v28, v6, v7 offset1:4
	ds_store_2addr_stride64_b32 v28, v8, v9 offset0:8 offset1:12
	ds_store_2addr_stride64_b32 v28, v10, v11 offset0:16 offset1:20
	;; [unrolled: 1-line block ×6, first 2 shown]
	v_mad_u32_u24 v22, v0, 56, v28
	ds_store_b32 v28, v27 offset:14336
	s_waitcnt lgkmcnt(0)
	s_barrier
	buffer_gl0_inv
	ds_load_2addr_b32 v[18:19], v22 offset1:1
	ds_load_2addr_b32 v[16:17], v22 offset0:2 offset1:3
	ds_load_2addr_b32 v[14:15], v22 offset0:4 offset1:5
	ds_load_2addr_b32 v[12:13], v22 offset0:6 offset1:7
	ds_load_2addr_b32 v[10:11], v22 offset0:8 offset1:9
	ds_load_2addr_b32 v[8:9], v22 offset0:10 offset1:11
	ds_load_2addr_b32 v[6:7], v22 offset0:12 offset1:13
	ds_load_b32 v52, v22 offset:56
	s_waitcnt lgkmcnt(0)
	s_barrier
	buffer_gl0_inv
                                        ; implicit-def: $vgpr27
	s_and_saveexec_b32 s16, vcc_lo
	s_cbranch_execz .LBB965_51
; %bb.38:
	v_lshlrev_b32_e32 v27, 1, v0
	s_delay_alu instid0(VALU_DEP_1)
	v_add_co_u32 v27, vcc_lo, v3, v27
	v_add_co_ci_u32_e32 v28, vcc_lo, 0, v4, vcc_lo
	flat_load_u16 v27, v[27:28]
	s_or_b32 exec_lo, exec_lo, s16
                                        ; implicit-def: $vgpr35
	s_and_saveexec_b32 s16, s0
	s_cbranch_execnz .LBB965_52
.LBB965_39:
	s_or_b32 exec_lo, exec_lo, s16
                                        ; implicit-def: $vgpr36
	s_and_saveexec_b32 s0, s1
	s_cbranch_execz .LBB965_53
.LBB965_40:
	v_lshlrev_b32_e32 v28, 1, v0
	s_delay_alu instid0(VALU_DEP_1)
	v_add_co_u32 v28, vcc_lo, v3, v28
	v_add_co_ci_u32_e32 v29, vcc_lo, 0, v4, vcc_lo
	flat_load_u16 v36, v[28:29] offset:1024
	s_or_b32 exec_lo, exec_lo, s0
                                        ; implicit-def: $vgpr37
	s_and_saveexec_b32 s0, s4
	s_cbranch_execnz .LBB965_54
.LBB965_41:
	s_or_b32 exec_lo, exec_lo, s0
                                        ; implicit-def: $vgpr38
	s_and_saveexec_b32 s0, s5
	s_cbranch_execz .LBB965_55
.LBB965_42:
	v_lshlrev_b32_e32 v28, 1, v0
	s_delay_alu instid0(VALU_DEP_1)
	v_add_co_u32 v28, vcc_lo, v3, v28
	v_add_co_ci_u32_e32 v29, vcc_lo, 0, v4, vcc_lo
	flat_load_u16 v38, v[28:29] offset:2048
	s_or_b32 exec_lo, exec_lo, s0
                                        ; implicit-def: $vgpr39
	s_and_saveexec_b32 s0, s6
	s_cbranch_execnz .LBB965_56
.LBB965_43:
	s_or_b32 exec_lo, exec_lo, s0
                                        ; implicit-def: $vgpr40
	s_and_saveexec_b32 s0, s7
	s_cbranch_execz .LBB965_57
.LBB965_44:
	v_lshlrev_b32_e32 v28, 1, v0
	s_delay_alu instid0(VALU_DEP_1)
	v_add_co_u32 v28, vcc_lo, v3, v28
	v_add_co_ci_u32_e32 v29, vcc_lo, 0, v4, vcc_lo
	flat_load_u16 v40, v[28:29] offset:3072
	s_or_b32 exec_lo, exec_lo, s0
                                        ; implicit-def: $vgpr41
	s_and_saveexec_b32 s0, s8
	s_cbranch_execnz .LBB965_58
.LBB965_45:
	s_or_b32 exec_lo, exec_lo, s0
                                        ; implicit-def: $vgpr42
	s_and_saveexec_b32 s0, s9
	s_cbranch_execz .LBB965_59
.LBB965_46:
	v_lshlrev_b32_e32 v5, 1, v5
	s_delay_alu instid0(VALU_DEP_1)
	v_add_co_u32 v28, vcc_lo, v3, v5
	v_add_co_ci_u32_e32 v29, vcc_lo, 0, v4, vcc_lo
	flat_load_u16 v42, v[28:29]
	s_or_b32 exec_lo, exec_lo, s0
                                        ; implicit-def: $vgpr43
	s_and_saveexec_b32 s0, s10
	s_cbranch_execnz .LBB965_60
.LBB965_47:
	s_or_b32 exec_lo, exec_lo, s0
                                        ; implicit-def: $vgpr44
	s_and_saveexec_b32 s0, s11
	s_cbranch_execz .LBB965_61
.LBB965_48:
	v_lshlrev_b32_e32 v5, 1, v21
	s_delay_alu instid0(VALU_DEP_1)
	v_add_co_u32 v20, vcc_lo, v3, v5
	v_add_co_ci_u32_e32 v21, vcc_lo, 0, v4, vcc_lo
	flat_load_u16 v44, v[20:21]
	s_or_b32 exec_lo, exec_lo, s0
                                        ; implicit-def: $vgpr45
	s_and_saveexec_b32 s0, s12
	s_cbranch_execnz .LBB965_62
.LBB965_49:
	s_or_b32 exec_lo, exec_lo, s0
                                        ; implicit-def: $vgpr46
	s_and_saveexec_b32 s0, s13
	s_cbranch_execz .LBB965_63
.LBB965_50:
	v_lshlrev_b32_e32 v5, 1, v24
	s_delay_alu instid0(VALU_DEP_1)
	v_add_co_u32 v20, vcc_lo, v3, v5
	v_add_co_ci_u32_e32 v21, vcc_lo, 0, v4, vcc_lo
	flat_load_u16 v46, v[20:21]
	s_or_b32 exec_lo, exec_lo, s0
                                        ; implicit-def: $vgpr47
	s_and_saveexec_b32 s0, s14
	s_cbranch_execz .LBB965_65
	s_branch .LBB965_64
.LBB965_51:
	s_or_b32 exec_lo, exec_lo, s16
                                        ; implicit-def: $vgpr35
	s_and_saveexec_b32 s16, s0
	s_cbranch_execz .LBB965_39
.LBB965_52:
	v_lshlrev_b32_e32 v28, 1, v0
	s_delay_alu instid0(VALU_DEP_1)
	v_add_co_u32 v28, vcc_lo, v3, v28
	v_add_co_ci_u32_e32 v29, vcc_lo, 0, v4, vcc_lo
	flat_load_u16 v35, v[28:29] offset:512
	s_or_b32 exec_lo, exec_lo, s16
                                        ; implicit-def: $vgpr36
	s_and_saveexec_b32 s0, s1
	s_cbranch_execnz .LBB965_40
.LBB965_53:
	s_or_b32 exec_lo, exec_lo, s0
                                        ; implicit-def: $vgpr37
	s_and_saveexec_b32 s0, s4
	s_cbranch_execz .LBB965_41
.LBB965_54:
	v_lshlrev_b32_e32 v28, 1, v0
	s_delay_alu instid0(VALU_DEP_1)
	v_add_co_u32 v28, vcc_lo, v3, v28
	v_add_co_ci_u32_e32 v29, vcc_lo, 0, v4, vcc_lo
	flat_load_u16 v37, v[28:29] offset:1536
	s_or_b32 exec_lo, exec_lo, s0
                                        ; implicit-def: $vgpr38
	s_and_saveexec_b32 s0, s5
	s_cbranch_execnz .LBB965_42
.LBB965_55:
	s_or_b32 exec_lo, exec_lo, s0
                                        ; implicit-def: $vgpr39
	s_and_saveexec_b32 s0, s6
	s_cbranch_execz .LBB965_43
.LBB965_56:
	v_lshlrev_b32_e32 v28, 1, v0
	s_delay_alu instid0(VALU_DEP_1)
	v_add_co_u32 v28, vcc_lo, v3, v28
	v_add_co_ci_u32_e32 v29, vcc_lo, 0, v4, vcc_lo
	flat_load_u16 v39, v[28:29] offset:2560
	s_or_b32 exec_lo, exec_lo, s0
                                        ; implicit-def: $vgpr40
	s_and_saveexec_b32 s0, s7
	s_cbranch_execnz .LBB965_44
.LBB965_57:
	s_or_b32 exec_lo, exec_lo, s0
                                        ; implicit-def: $vgpr41
	s_and_saveexec_b32 s0, s8
	s_cbranch_execz .LBB965_45
.LBB965_58:
	v_lshlrev_b32_e32 v28, 1, v0
	s_delay_alu instid0(VALU_DEP_1)
	v_add_co_u32 v28, vcc_lo, v3, v28
	v_add_co_ci_u32_e32 v29, vcc_lo, 0, v4, vcc_lo
	flat_load_u16 v41, v[28:29] offset:3584
	s_or_b32 exec_lo, exec_lo, s0
                                        ; implicit-def: $vgpr42
	s_and_saveexec_b32 s0, s9
	s_cbranch_execnz .LBB965_46
.LBB965_59:
	s_or_b32 exec_lo, exec_lo, s0
                                        ; implicit-def: $vgpr43
	s_and_saveexec_b32 s0, s10
	s_cbranch_execz .LBB965_47
.LBB965_60:
	v_lshlrev_b32_e32 v5, 1, v20
	s_delay_alu instid0(VALU_DEP_1)
	v_add_co_u32 v28, vcc_lo, v3, v5
	v_add_co_ci_u32_e32 v29, vcc_lo, 0, v4, vcc_lo
	flat_load_u16 v43, v[28:29]
	s_or_b32 exec_lo, exec_lo, s0
                                        ; implicit-def: $vgpr44
	s_and_saveexec_b32 s0, s11
	s_cbranch_execnz .LBB965_48
.LBB965_61:
	s_or_b32 exec_lo, exec_lo, s0
                                        ; implicit-def: $vgpr45
	s_and_saveexec_b32 s0, s12
	s_cbranch_execz .LBB965_49
.LBB965_62:
	v_lshlrev_b32_e32 v5, 1, v23
	s_delay_alu instid0(VALU_DEP_1)
	v_add_co_u32 v20, vcc_lo, v3, v5
	v_add_co_ci_u32_e32 v21, vcc_lo, 0, v4, vcc_lo
	flat_load_u16 v45, v[20:21]
	s_or_b32 exec_lo, exec_lo, s0
                                        ; implicit-def: $vgpr46
	s_and_saveexec_b32 s0, s13
	s_cbranch_execnz .LBB965_50
.LBB965_63:
	s_or_b32 exec_lo, exec_lo, s0
                                        ; implicit-def: $vgpr47
	s_and_saveexec_b32 s0, s14
	s_cbranch_execz .LBB965_65
.LBB965_64:
	v_lshlrev_b32_e32 v5, 1, v25
	s_delay_alu instid0(VALU_DEP_1)
	v_add_co_u32 v20, vcc_lo, v3, v5
	v_add_co_ci_u32_e32 v21, vcc_lo, 0, v4, vcc_lo
	flat_load_u16 v47, v[20:21]
.LBB965_65:
	s_or_b32 exec_lo, exec_lo, s0
	v_mul_u32_u24_e32 v5, 15, v0
                                        ; implicit-def: $vgpr48
	s_and_saveexec_b32 s0, s15
	s_cbranch_execz .LBB965_67
; %bb.66:
	v_lshlrev_b32_e32 v20, 1, v26
	s_delay_alu instid0(VALU_DEP_1)
	v_add_co_u32 v3, vcc_lo, v3, v20
	v_add_co_ci_u32_e32 v4, vcc_lo, 0, v4, vcc_lo
	flat_load_u16 v48, v[3:4]
.LBB965_67:
	s_or_b32 exec_lo, exec_lo, s0
	s_delay_alu instid0(VALU_DEP_1)
	v_add_nc_u32_e32 v33, 1, v5
	v_add_nc_u32_e32 v28, 2, v5
	;; [unrolled: 1-line block ×10, first 2 shown]
	v_mad_i32_i24 v3, 0xffffffc6, v0, v22
	v_add_nc_u32_e32 v34, 11, v5
	v_add_nc_u32_e32 v29, 12, v5
	;; [unrolled: 1-line block ×4, first 2 shown]
	s_waitcnt vmcnt(0) lgkmcnt(0)
	ds_store_b16 v3, v27
	ds_store_b16 v3, v35 offset:512
	ds_store_b16 v3, v36 offset:1024
	;; [unrolled: 1-line block ×14, first 2 shown]
	s_waitcnt lgkmcnt(0)
	s_barrier
.LBB965_68:
	v_lshlrev_b32_e32 v3, 1, v5
	v_lshlrev_b32_e32 v4, 1, v33
	;; [unrolled: 1-line block ×5, first 2 shown]
	buffer_gl0_inv
	v_lshlrev_b32_e32 v28, 1, v31
	v_lshlrev_b32_e32 v25, 1, v25
	;; [unrolled: 1-line block ×3, first 2 shown]
	ds_load_u16 v80, v3
	ds_load_u16 v79, v4
	;; [unrolled: 1-line block ×8, first 2 shown]
	v_lshlrev_b32_e32 v3, 1, v21
	v_lshlrev_b32_e32 v4, 1, v23
	;; [unrolled: 1-line block ×7, first 2 shown]
	ds_load_u16 v74, v3
	ds_load_u16 v72, v4
	;; [unrolled: 1-line block ×7, first 2 shown]
	s_cmp_eq_u64 s[18:19], 0
	s_waitcnt lgkmcnt(0)
	s_cselect_b32 s33, -1, 0
	s_cmp_lg_u64 s[18:19], 0
	s_barrier
	s_cselect_b32 s15, -1, 0
	s_and_b32 vcc_lo, exec_lo, s17
	buffer_gl0_inv
	s_cbranch_vccz .LBB965_74
; %bb.69:
	s_and_b32 vcc_lo, exec_lo, s15
	s_cbranch_vccz .LBB965_139
; %bb.70:
	v_add_co_u32 v3, vcc_lo, -4, v2
	v_add_co_ci_u32_e32 v4, vcc_lo, -1, v1, vcc_lo
	v_cmp_ne_u32_e32 vcc_lo, v7, v52
	v_cmp_ne_u32_e64 s0, v6, v7
	v_cmp_ne_u32_e64 s1, v9, v6
	flat_load_b32 v3, v[3:4]
	v_lshlrev_b32_e32 v4, 2, v0
	v_cmp_ne_u32_e64 s4, v8, v9
	v_cmp_ne_u32_e64 s5, v11, v8
	v_cmp_ne_u32_e64 s6, v10, v11
	v_cmp_ne_u32_e64 s7, v13, v10
	v_cmp_ne_u32_e64 s8, v12, v13
	v_cmp_ne_u32_e64 s9, v15, v12
	v_cmp_ne_u32_e64 s10, v14, v15
	v_cmp_ne_u32_e64 s11, v17, v14
	v_cmp_ne_u32_e64 s12, v16, v17
	v_cmp_ne_u32_e64 s13, v19, v16
	v_cmp_ne_u32_e64 s14, v18, v19
	s_mov_b32 s45, -1
	ds_store_b32 v4, v52
	s_waitcnt vmcnt(0) lgkmcnt(0)
	s_barrier
	buffer_gl0_inv
	s_and_saveexec_b32 s16, s3
	s_cbranch_execz .LBB965_72
; %bb.71:
	v_add_nc_u32_e32 v3, -4, v4
	ds_load_b32 v3, v3
.LBB965_72:
	s_or_b32 exec_lo, exec_lo, s16
	v_cndmask_b32_e64 v60, 0, 1, vcc_lo
	v_cndmask_b32_e64 v53, 0, 1, s0
	v_cndmask_b32_e64 v54, 0, 1, s1
	;; [unrolled: 1-line block ×13, first 2 shown]
	s_waitcnt lgkmcnt(0)
	v_cmp_ne_u32_e64 s0, v3, v18
.LBB965_73:
                                        ; implicit-def: $sgpr1
	s_branch .LBB965_75
.LBB965_74:
	s_mov_b32 s45, 0
                                        ; implicit-def: $sgpr0
                                        ; implicit-def: $vgpr60
                                        ; implicit-def: $vgpr53
                                        ; implicit-def: $vgpr54
                                        ; implicit-def: $vgpr55
                                        ; implicit-def: $vgpr56
                                        ; implicit-def: $vgpr57
                                        ; implicit-def: $vgpr58
                                        ; implicit-def: $vgpr59
                                        ; implicit-def: $vgpr61
                                        ; implicit-def: $vgpr62
                                        ; implicit-def: $vgpr63
                                        ; implicit-def: $vgpr64
                                        ; implicit-def: $vgpr65
                                        ; implicit-def: $vgpr66
                                        ; implicit-def: $sgpr1
	s_cbranch_execnz .LBB965_143
.LBB965_75:
	v_mov_b32_e32 v83, s1
	s_and_saveexec_b32 s1, s45
.LBB965_76:
	s_delay_alu instid0(VALU_DEP_2)
	v_cndmask_b32_e64 v83, 0, 1, s0
.LBB965_77:
	s_or_b32 exec_lo, exec_lo, s1
	s_delay_alu instid0(VALU_DEP_1)
	v_add3_u32 v1, v66, v83, v65
	v_cmp_eq_u32_e64 s13, 0, v66
	v_cmp_eq_u32_e64 s12, 0, v65
	;; [unrolled: 1-line block ×4, first 2 shown]
	v_add3_u32 v87, v1, v64, v63
	v_cmp_eq_u32_e64 s9, 0, v62
	v_cmp_eq_u32_e64 s8, 0, v61
	;; [unrolled: 1-line block ×9, first 2 shown]
	v_cmp_eq_u32_e32 vcc_lo, 0, v60
	v_mbcnt_lo_u32_b32 v84, -1, 0
	v_lshrrev_b32_e32 v85, 5, v0
	v_or_b32_e32 v86, 31, v0
	s_cmp_eq_u64 s[26:27], 0
	s_cselect_b32 s16, -1, 0
	s_cmp_lg_u32 s44, 0
	s_cbranch_scc0 .LBB965_108
; %bb.78:
	v_cndmask_b32_e64 v1, 0, v80, s13
	v_add3_u32 v2, v87, v62, v61
	v_and_b32_e32 v5, 15, v84
	s_delay_alu instid0(VALU_DEP_3) | instskip(NEXT) | instid1(VALU_DEP_3)
	v_add_nc_u16 v1, v1, v79
	v_add3_u32 v2, v2, v59, v58
	s_delay_alu instid0(VALU_DEP_2) | instskip(NEXT) | instid1(VALU_DEP_2)
	v_cndmask_b32_e64 v1, 0, v1, s12
	v_add3_u32 v2, v2, v57, v56
	s_delay_alu instid0(VALU_DEP_2) | instskip(NEXT) | instid1(VALU_DEP_2)
	v_add_nc_u16 v1, v1, v78
	v_add3_u32 v2, v2, v55, v54
	s_delay_alu instid0(VALU_DEP_2) | instskip(NEXT) | instid1(VALU_DEP_2)
	v_cndmask_b32_e64 v1, 0, v1, s11
	v_add3_u32 v2, v2, v53, v60
	s_delay_alu instid0(VALU_DEP_2) | instskip(NEXT) | instid1(VALU_DEP_2)
	v_add_nc_u16 v1, v1, v77
	v_mov_b32_dpp v20, v2 row_shr:1 row_mask:0xf bank_mask:0xf
	s_delay_alu instid0(VALU_DEP_2) | instskip(NEXT) | instid1(VALU_DEP_1)
	v_cndmask_b32_e64 v1, 0, v1, s10
	v_add_nc_u16 v1, v1, v76
	s_delay_alu instid0(VALU_DEP_1) | instskip(NEXT) | instid1(VALU_DEP_1)
	v_cndmask_b32_e64 v1, 0, v1, s9
	v_add_nc_u16 v1, v1, v75
	s_delay_alu instid0(VALU_DEP_1) | instskip(NEXT) | instid1(VALU_DEP_1)
	;; [unrolled: 3-line block ×9, first 2 shown]
	v_cndmask_b32_e64 v1, 0, v1, s0
	v_add_nc_u16 v1, v1, v67
	s_delay_alu instid0(VALU_DEP_1) | instskip(SKIP_1) | instid1(VALU_DEP_2)
	v_cndmask_b32_e32 v1, 0, v1, vcc_lo
	v_cmp_eq_u32_e32 vcc_lo, 0, v2
	v_add_nc_u16 v1, v1, v81
	s_delay_alu instid0(VALU_DEP_1) | instskip(NEXT) | instid1(VALU_DEP_1)
	v_and_b32_e32 v3, 0xffff, v1
	v_mov_b32_dpp v4, v3 row_shr:1 row_mask:0xf bank_mask:0xf
	s_delay_alu instid0(VALU_DEP_1) | instskip(SKIP_1) | instid1(VALU_DEP_2)
	v_cndmask_b32_e32 v4, 0, v4, vcc_lo
	v_cmp_eq_u32_e32 vcc_lo, 0, v5
	v_add_nc_u16 v4, v4, v1
	v_cndmask_b32_e64 v20, v20, 0, vcc_lo
	s_delay_alu instid0(VALU_DEP_2) | instskip(SKIP_1) | instid1(VALU_DEP_2)
	v_and_b32_e32 v21, 0xffff, v4
	v_cndmask_b32_e32 v1, v4, v1, vcc_lo
	v_dual_cndmask_b32 v3, v21, v3 :: v_dual_add_nc_u32 v2, v20, v2
	s_delay_alu instid0(VALU_DEP_1) | instskip(NEXT) | instid1(VALU_DEP_2)
	v_cmp_eq_u32_e32 vcc_lo, 0, v2
	v_mov_b32_dpp v20, v3 row_shr:2 row_mask:0xf bank_mask:0xf
	s_delay_alu instid0(VALU_DEP_1) | instskip(SKIP_2) | instid1(VALU_DEP_3)
	v_cndmask_b32_e32 v4, 0, v20, vcc_lo
	v_mov_b32_dpp v20, v2 row_shr:2 row_mask:0xf bank_mask:0xf
	v_cmp_lt_u32_e32 vcc_lo, 1, v5
	v_add_nc_u16 v4, v4, v1
	s_delay_alu instid0(VALU_DEP_1) | instskip(SKIP_1) | instid1(VALU_DEP_2)
	v_and_b32_e32 v21, 0xffff, v4
	v_cndmask_b32_e32 v1, v1, v4, vcc_lo
	v_dual_cndmask_b32 v4, 0, v20 :: v_dual_cndmask_b32 v3, v3, v21
	s_delay_alu instid0(VALU_DEP_1) | instskip(NEXT) | instid1(VALU_DEP_2)
	v_add_nc_u32_e32 v2, v2, v4
	v_mov_b32_dpp v4, v3 row_shr:4 row_mask:0xf bank_mask:0xf
	s_delay_alu instid0(VALU_DEP_2) | instskip(SKIP_1) | instid1(VALU_DEP_3)
	v_cmp_eq_u32_e32 vcc_lo, 0, v2
	v_mov_b32_dpp v20, v2 row_shr:4 row_mask:0xf bank_mask:0xf
	v_cndmask_b32_e32 v4, 0, v4, vcc_lo
	v_cmp_lt_u32_e32 vcc_lo, 3, v5
	s_delay_alu instid0(VALU_DEP_2) | instskip(NEXT) | instid1(VALU_DEP_1)
	v_add_nc_u16 v4, v4, v1
	v_and_b32_e32 v21, 0xffff, v4
	v_cndmask_b32_e32 v1, v1, v4, vcc_lo
	s_delay_alu instid0(VALU_DEP_2) | instskip(NEXT) | instid1(VALU_DEP_1)
	v_dual_cndmask_b32 v4, 0, v20 :: v_dual_cndmask_b32 v3, v3, v21
	v_add_nc_u32_e32 v2, v4, v2
	s_delay_alu instid0(VALU_DEP_2) | instskip(NEXT) | instid1(VALU_DEP_2)
	v_mov_b32_dpp v4, v3 row_shr:8 row_mask:0xf bank_mask:0xf
	v_cmp_eq_u32_e32 vcc_lo, 0, v2
	v_mov_b32_dpp v20, v2 row_shr:8 row_mask:0xf bank_mask:0xf
	s_delay_alu instid0(VALU_DEP_3) | instskip(SKIP_1) | instid1(VALU_DEP_2)
	v_cndmask_b32_e32 v4, 0, v4, vcc_lo
	v_cmp_lt_u32_e32 vcc_lo, 7, v5
	v_add_nc_u16 v4, v4, v1
	s_delay_alu instid0(VALU_DEP_4) | instskip(SKIP_1) | instid1(VALU_DEP_3)
	v_cndmask_b32_e32 v5, 0, v20, vcc_lo
	v_bfe_i32 v20, v84, 4, 1
	v_cndmask_b32_e32 v1, v1, v4, vcc_lo
	v_and_b32_e32 v4, 0xffff, v4
	s_delay_alu instid0(VALU_DEP_4) | instskip(SKIP_1) | instid1(VALU_DEP_3)
	v_add_nc_u32_e32 v2, v5, v2
	v_and_b32_e32 v5, 16, v84
	v_cndmask_b32_e32 v3, v3, v4, vcc_lo
	ds_swizzle_b32 v4, v2 offset:swizzle(BROADCAST,32,15)
	v_cmp_ne_u32_e32 vcc_lo, 0, v5
	v_cmp_eq_u32_e64 s14, 0, v2
	ds_swizzle_b32 v3, v3 offset:swizzle(BROADCAST,32,15)
	s_and_b32 vcc_lo, vcc_lo, s14
	s_mov_b32 s14, exec_lo
	s_waitcnt lgkmcnt(0)
	v_dual_cndmask_b32 v3, 0, v3 :: v_dual_and_b32 v4, v20, v4
	s_delay_alu instid0(VALU_DEP_1) | instskip(NEXT) | instid1(VALU_DEP_2)
	v_add_nc_u32_e32 v2, v4, v2
	v_add_nc_u16 v1, v3, v1
	v_lshlrev_b32_e32 v3, 3, v85
	v_cmpx_eq_u32_e64 v86, v0
	s_cbranch_execz .LBB965_80
; %bb.79:
	ds_store_b32 v3, v2 offset:2064
	ds_store_b16 v3, v1 offset:2068
.LBB965_80:
	s_or_b32 exec_lo, exec_lo, s14
	s_delay_alu instid0(SALU_CYCLE_1)
	s_mov_b32 s15, exec_lo
	s_waitcnt lgkmcnt(0)
	s_barrier
	buffer_gl0_inv
	v_cmpx_gt_u32_e32 8, v0
	s_cbranch_execz .LBB965_82
; %bb.81:
	v_lshlrev_b32_e32 v20, 3, v0
	ds_load_b64 v[4:5], v20 offset:2064
	s_waitcnt lgkmcnt(0)
	v_mov_b32_dpp v21, v5 row_shr:1 row_mask:0xf bank_mask:0xf
	v_cmp_eq_u32_e32 vcc_lo, 0, v4
	v_and_b32_e32 v22, 0xffff0000, v5
	v_mov_b32_dpp v25, v4 row_shr:1 row_mask:0xf bank_mask:0xf
	s_delay_alu instid0(VALU_DEP_4) | instskip(NEXT) | instid1(VALU_DEP_1)
	v_cndmask_b32_e32 v21, 0, v21, vcc_lo
	v_add_nc_u16 v21, v21, v5
	s_delay_alu instid0(VALU_DEP_1) | instskip(NEXT) | instid1(VALU_DEP_1)
	v_and_b32_e32 v23, 0xffff, v21
	v_or_b32_e32 v23, v22, v23
	v_and_b32_e32 v24, 7, v84
	s_delay_alu instid0(VALU_DEP_1) | instskip(NEXT) | instid1(VALU_DEP_3)
	v_cmp_eq_u32_e32 vcc_lo, 0, v24
	v_cndmask_b32_e32 v23, v23, v5, vcc_lo
	v_cndmask_b32_e64 v25, v25, 0, vcc_lo
	v_cndmask_b32_e32 v5, v21, v5, vcc_lo
	v_cmp_lt_u32_e64 s14, 3, v24
	s_delay_alu instid0(VALU_DEP_3) | instskip(SKIP_1) | instid1(VALU_DEP_2)
	v_add_nc_u32_e32 v4, v25, v4
	v_mov_b32_dpp v25, v23 row_shr:2 row_mask:0xf bank_mask:0xf
	v_cmp_eq_u32_e32 vcc_lo, 0, v4
	s_delay_alu instid0(VALU_DEP_2) | instskip(SKIP_2) | instid1(VALU_DEP_3)
	v_cndmask_b32_e32 v21, 0, v25, vcc_lo
	v_mov_b32_dpp v25, v4 row_shr:2 row_mask:0xf bank_mask:0xf
	v_cmp_lt_u32_e32 vcc_lo, 1, v24
	v_add_nc_u16 v21, v21, v5
	s_delay_alu instid0(VALU_DEP_1) | instskip(SKIP_2) | instid1(VALU_DEP_3)
	v_and_b32_e32 v26, 0xffff, v21
	v_cndmask_b32_e32 v5, v5, v21, vcc_lo
	v_cndmask_b32_e32 v21, 0, v25, vcc_lo
	v_or_b32_e32 v22, v22, v26
	s_delay_alu instid0(VALU_DEP_1) | instskip(NEXT) | instid1(VALU_DEP_1)
	v_dual_cndmask_b32 v21, v23, v22 :: v_dual_add_nc_u32 v4, v21, v4
	v_cmp_eq_u32_e32 vcc_lo, 0, v4
	s_delay_alu instid0(VALU_DEP_2) | instskip(SKIP_1) | instid1(VALU_DEP_1)
	v_mov_b32_dpp v21, v21 row_shr:4 row_mask:0xf bank_mask:0xf
	s_and_b32 vcc_lo, s14, vcc_lo
	v_cndmask_b32_e32 v21, 0, v21, vcc_lo
	v_mov_b32_dpp v22, v4 row_shr:4 row_mask:0xf bank_mask:0xf
	s_delay_alu instid0(VALU_DEP_2) | instskip(NEXT) | instid1(VALU_DEP_2)
	v_add_nc_u16 v5, v5, v21
	v_cndmask_b32_e64 v22, 0, v22, s14
	s_delay_alu instid0(VALU_DEP_1)
	v_add_nc_u32_e32 v4, v22, v4
	ds_store_b32 v20, v4 offset:2064
	ds_store_b16 v20, v5 offset:2068
.LBB965_82:
	s_or_b32 exec_lo, exec_lo, s15
	v_cmp_gt_u32_e32 vcc_lo, 32, v0
	v_dual_mov_b32 v25, 0 :: v_dual_mov_b32 v24, 0
	s_mov_b32 s15, exec_lo
	s_waitcnt lgkmcnt(0)
	s_barrier
	buffer_gl0_inv
	v_cmpx_lt_u32_e32 31, v0
	s_cbranch_execz .LBB965_84
; %bb.83:
	ds_load_u16 v24, v3 offset:2060
	ds_load_b32 v25, v3 offset:2056
	v_cmp_eq_u32_e64 s14, 0, v2
	s_waitcnt lgkmcnt(1)
	s_delay_alu instid0(VALU_DEP_1) | instskip(SKIP_2) | instid1(VALU_DEP_2)
	v_cndmask_b32_e64 v3, 0, v24, s14
	s_waitcnt lgkmcnt(0)
	v_add_nc_u32_e32 v2, v25, v2
	v_add_nc_u16 v1, v3, v1
.LBB965_84:
	s_or_b32 exec_lo, exec_lo, s15
	v_add_nc_u32_e32 v3, -1, v84
	s_delay_alu instid0(VALU_DEP_2) | instskip(NEXT) | instid1(VALU_DEP_2)
	v_and_b32_e32 v1, 0xffff, v1
	v_cmp_gt_i32_e64 s14, 0, v3
	s_delay_alu instid0(VALU_DEP_1) | instskip(SKIP_1) | instid1(VALU_DEP_2)
	v_cndmask_b32_e64 v3, v3, v84, s14
	v_cmp_eq_u32_e64 s14, 0, v84
	v_lshlrev_b32_e32 v3, 2, v3
	ds_bpermute_b32 v26, v3, v2
	ds_bpermute_b32 v27, v3, v1
	s_and_saveexec_b32 s17, vcc_lo
	s_cbranch_execz .LBB965_107
; %bb.85:
	v_mov_b32_e32 v4, 0
	ds_load_b64 v[1:2], v4 offset:2120
	s_waitcnt lgkmcnt(0)
	v_readfirstlane_b32 s18, v2
	s_and_saveexec_b32 s15, s14
	s_cbranch_execz .LBB965_87
; %bb.86:
	s_add_i32 s20, s44, 32
	s_mov_b32 s21, 0
	v_mov_b32_e32 v3, 1
	s_lshl_b64 s[22:23], s[20:21], 4
	s_mov_b32 s26, s21
	s_add_u32 s22, s24, s22
	s_addc_u32 s23, s25, s23
	s_and_b32 s27, s18, 0xff000000
	s_and_b32 s29, s18, 0xff0000
	s_mov_b32 s28, s21
	v_dual_mov_b32 v20, s22 :: v_dual_mov_b32 v21, s23
	s_or_b64 s[26:27], s[28:29], s[26:27]
	s_and_b32 s29, s18, 0xff00
	s_delay_alu instid0(SALU_CYCLE_1) | instskip(SKIP_1) | instid1(SALU_CYCLE_1)
	s_or_b64 s[26:27], s[26:27], s[28:29]
	s_and_b32 s29, s18, 0xff
	s_or_b64 s[20:21], s[26:27], s[28:29]
	s_delay_alu instid0(SALU_CYCLE_1)
	v_mov_b32_e32 v2, s21
	;;#ASMSTART
	global_store_dwordx4 v[20:21], v[1:4] off	
s_waitcnt vmcnt(0)
	;;#ASMEND
.LBB965_87:
	s_or_b32 exec_lo, exec_lo, s15
	v_xad_u32 v20, v84, -1, s44
	s_mov_b32 s19, 0
	s_mov_b32 s15, exec_lo
	s_delay_alu instid0(VALU_DEP_1) | instskip(NEXT) | instid1(VALU_DEP_1)
	v_add_nc_u32_e32 v3, 32, v20
	v_lshlrev_b64 v[2:3], 4, v[3:4]
	s_delay_alu instid0(VALU_DEP_1) | instskip(NEXT) | instid1(VALU_DEP_2)
	v_add_co_u32 v21, vcc_lo, s24, v2
	v_add_co_ci_u32_e32 v22, vcc_lo, s25, v3, vcc_lo
	;;#ASMSTART
	global_load_dwordx4 v[2:5], v[21:22] off glc	
s_waitcnt vmcnt(0)
	;;#ASMEND
	v_and_b32_e32 v5, 0xffffff, v2
	v_and_b32_e32 v2, 0xff000000, v2
	;; [unrolled: 1-line block ×4, first 2 shown]
	s_delay_alu instid0(VALU_DEP_3) | instskip(SKIP_1) | instid1(VALU_DEP_3)
	v_or_b32_e32 v2, v5, v2
	v_and_b32_e32 v5, 0xff, v4
	v_or3_b32 v3, 0, v23, v3
	s_delay_alu instid0(VALU_DEP_3) | instskip(NEXT) | instid1(VALU_DEP_3)
	v_or3_b32 v2, v2, 0, 0
	v_cmpx_eq_u16_e32 0, v5
	s_cbranch_execz .LBB965_93
; %bb.88:
	s_mov_b32 s20, 1
	.p2align	6
.LBB965_89:                             ; =>This Loop Header: Depth=1
                                        ;     Child Loop BB965_90 Depth 2
	s_delay_alu instid0(SALU_CYCLE_1)
	s_max_u32 s21, s20, 1
.LBB965_90:                             ;   Parent Loop BB965_89 Depth=1
                                        ; =>  This Inner Loop Header: Depth=2
	s_delay_alu instid0(SALU_CYCLE_1)
	s_add_i32 s21, s21, -1
	s_sleep 1
	s_cmp_eq_u32 s21, 0
	s_cbranch_scc0 .LBB965_90
; %bb.91:                               ;   in Loop: Header=BB965_89 Depth=1
	;;#ASMSTART
	global_load_dwordx4 v[2:5], v[21:22] off glc	
s_waitcnt vmcnt(0)
	;;#ASMEND
	v_and_b32_e32 v5, 0xff, v4
	s_cmp_lt_u32 s20, 32
	s_cselect_b32 s21, -1, 0
	s_delay_alu instid0(SALU_CYCLE_1) | instskip(NEXT) | instid1(VALU_DEP_1)
	s_cmp_lg_u32 s21, 0
	v_cmp_ne_u16_e32 vcc_lo, 0, v5
	s_addc_u32 s20, s20, 0
	s_or_b32 s19, vcc_lo, s19
	s_delay_alu instid0(SALU_CYCLE_1)
	s_and_not1_b32 exec_lo, exec_lo, s19
	s_cbranch_execnz .LBB965_89
; %bb.92:
	s_or_b32 exec_lo, exec_lo, s19
	v_and_b32_e32 v3, 0xffff, v3
.LBB965_93:
	s_or_b32 exec_lo, exec_lo, s15
	v_cmp_ne_u32_e32 vcc_lo, 31, v84
	v_and_b32_e32 v21, 0xff, v4
	v_lshlrev_b32_e64 v29, v84, -1
	v_cmp_eq_u32_e64 s15, 0, v2
	v_add_nc_u32_e32 v37, 8, v84
	v_add_co_ci_u32_e32 v5, vcc_lo, 0, v84, vcc_lo
	v_cmp_eq_u16_e32 vcc_lo, 2, v21
	v_add_nc_u32_e32 v39, 16, v84
	v_and_or_b32 v21, vcc_lo, v29, 0x80000000
	v_cmp_gt_u32_e32 vcc_lo, 30, v84
	s_delay_alu instid0(VALU_DEP_2) | instskip(SKIP_1) | instid1(VALU_DEP_2)
	v_ctz_i32_b32_e32 v21, v21
	v_cndmask_b32_e64 v22, 0, 1, vcc_lo
	v_cmp_lt_u32_e32 vcc_lo, v84, v21
	v_lshlrev_b32_e32 v28, 2, v5
	ds_bpermute_b32 v5, v28, v3
	s_waitcnt lgkmcnt(0)
	v_cndmask_b32_e64 v5, 0, v5, s15
	s_delay_alu instid0(VALU_DEP_1) | instskip(SKIP_1) | instid1(VALU_DEP_2)
	v_add_nc_u16 v5, v5, v3
	v_lshlrev_b32_e32 v22, 1, v22
	v_and_b32_e32 v31, 0xffff, v5
	v_cndmask_b32_e32 v5, v3, v5, vcc_lo
	s_delay_alu instid0(VALU_DEP_3) | instskip(NEXT) | instid1(VALU_DEP_3)
	v_add_lshl_u32 v30, v22, v84, 2
	v_cndmask_b32_e32 v3, v3, v31, vcc_lo
	ds_bpermute_b32 v23, v28, v2
	v_add_nc_u32_e32 v31, 2, v84
	ds_bpermute_b32 v22, v30, v3
	s_waitcnt lgkmcnt(1)
	v_cndmask_b32_e32 v23, 0, v23, vcc_lo
	s_delay_alu instid0(VALU_DEP_1) | instskip(NEXT) | instid1(VALU_DEP_1)
	v_add_nc_u32_e32 v2, v23, v2
	v_cmp_eq_u32_e32 vcc_lo, 0, v2
	s_waitcnt lgkmcnt(0)
	v_cndmask_b32_e32 v22, 0, v22, vcc_lo
	v_cmp_gt_u32_e32 vcc_lo, 28, v84
	s_delay_alu instid0(VALU_DEP_2) | instskip(SKIP_2) | instid1(VALU_DEP_3)
	v_add_nc_u16 v22, v22, v5
	v_cndmask_b32_e64 v23, 0, 1, vcc_lo
	v_cmp_gt_u32_e32 vcc_lo, v31, v21
	v_and_b32_e32 v34, 0xffff, v22
	s_delay_alu instid0(VALU_DEP_3)
	v_lshlrev_b32_e32 v23, 2, v23
	v_cndmask_b32_e32 v5, v22, v5, vcc_lo
	ds_bpermute_b32 v33, v30, v2
	v_cndmask_b32_e32 v3, v34, v3, vcc_lo
	v_add_lshl_u32 v32, v23, v84, 2
	ds_bpermute_b32 v22, v32, v3
	s_waitcnt lgkmcnt(1)
	v_cndmask_b32_e64 v23, v33, 0, vcc_lo
	v_add_nc_u32_e32 v33, 4, v84
	s_delay_alu instid0(VALU_DEP_2) | instskip(NEXT) | instid1(VALU_DEP_1)
	v_add_nc_u32_e32 v2, v2, v23
	v_cmp_eq_u32_e32 vcc_lo, 0, v2
	ds_bpermute_b32 v35, v32, v2
	s_waitcnt lgkmcnt(1)
	v_cndmask_b32_e32 v22, 0, v22, vcc_lo
	v_cmp_gt_u32_e32 vcc_lo, 24, v84
	s_delay_alu instid0(VALU_DEP_2) | instskip(SKIP_2) | instid1(VALU_DEP_3)
	v_add_nc_u16 v22, v5, v22
	v_cndmask_b32_e64 v23, 0, 1, vcc_lo
	v_cmp_gt_u32_e32 vcc_lo, v33, v21
	v_and_b32_e32 v36, 0xffff, v22
	s_delay_alu instid0(VALU_DEP_3) | instskip(SKIP_1) | instid1(VALU_DEP_2)
	v_lshlrev_b32_e32 v23, 3, v23
	v_cndmask_b32_e32 v5, v22, v5, vcc_lo
	v_add_lshl_u32 v34, v23, v84, 2
	s_waitcnt lgkmcnt(0)
	v_cndmask_b32_e64 v23, v35, 0, vcc_lo
	s_delay_alu instid0(VALU_DEP_1)
	v_add_nc_u32_e32 v2, v2, v23
	v_cndmask_b32_e32 v3, v36, v3, vcc_lo
	ds_bpermute_b32 v23, v34, v2
	ds_bpermute_b32 v22, v34, v3
	v_cmp_eq_u32_e32 vcc_lo, 0, v2
	s_waitcnt lgkmcnt(0)
	v_cndmask_b32_e32 v22, 0, v22, vcc_lo
	v_cmp_gt_u32_e32 vcc_lo, 16, v84
	s_delay_alu instid0(VALU_DEP_2) | instskip(SKIP_2) | instid1(VALU_DEP_3)
	v_add_nc_u16 v22, v5, v22
	v_cndmask_b32_e64 v35, 0, 1, vcc_lo
	v_cmp_gt_u32_e32 vcc_lo, v37, v21
	v_and_b32_e32 v36, 0xffff, v22
	s_delay_alu instid0(VALU_DEP_3) | instskip(SKIP_2) | instid1(VALU_DEP_3)
	v_lshlrev_b32_e32 v35, 4, v35
	v_cndmask_b32_e32 v5, v22, v5, vcc_lo
	v_cndmask_b32_e64 v22, v23, 0, vcc_lo
	v_add_lshl_u32 v38, v35, v84, 2
	s_delay_alu instid0(VALU_DEP_2)
	v_dual_cndmask_b32 v3, v36, v3 :: v_dual_add_nc_u32 v2, v2, v22
	ds_bpermute_b32 v22, v38, v2
	ds_bpermute_b32 v3, v38, v3
	v_cmp_eq_u32_e32 vcc_lo, 0, v2
	s_waitcnt lgkmcnt(0)
	v_cndmask_b32_e32 v3, 0, v3, vcc_lo
	v_cmp_gt_u32_e32 vcc_lo, v39, v21
	s_delay_alu instid0(VALU_DEP_2) | instskip(SKIP_1) | instid1(VALU_DEP_1)
	v_cndmask_b32_e64 v3, v3, 0, vcc_lo
	v_cndmask_b32_e64 v21, v22, 0, vcc_lo
	v_add_nc_u32_e32 v2, v21, v2
	s_delay_alu instid0(VALU_DEP_3)
	v_add_nc_u16 v3, v5, v3
	v_mov_b32_e32 v21, 0
	s_branch .LBB965_95
.LBB965_94:                             ;   in Loop: Header=BB965_95 Depth=1
	s_or_b32 exec_lo, exec_lo, s15
	ds_bpermute_b32 v5, v28, v3
	v_cmp_eq_u32_e64 s15, 0, v2
	ds_bpermute_b32 v23, v28, v2
	v_subrev_nc_u32_e32 v20, 32, v20
	s_waitcnt lgkmcnt(1)
	v_cndmask_b32_e64 v5, 0, v5, s15
	s_delay_alu instid0(VALU_DEP_1) | instskip(SKIP_1) | instid1(VALU_DEP_1)
	v_add_nc_u16 v5, v5, v3
	v_and_b32_e32 v22, 0xff, v4
	v_cmp_eq_u16_e32 vcc_lo, 2, v22
	v_and_or_b32 v22, vcc_lo, v29, 0x80000000
	s_delay_alu instid0(VALU_DEP_1) | instskip(NEXT) | instid1(VALU_DEP_1)
	v_ctz_i32_b32_e32 v22, v22
	v_cmp_lt_u32_e32 vcc_lo, v84, v22
	s_waitcnt lgkmcnt(0)
	v_dual_cndmask_b32 v23, 0, v23 :: v_dual_and_b32 v40, 0xffff, v5
	v_cndmask_b32_e32 v5, v3, v5, vcc_lo
	s_delay_alu instid0(VALU_DEP_2) | instskip(SKIP_2) | instid1(VALU_DEP_1)
	v_cndmask_b32_e32 v3, v3, v40, vcc_lo
	ds_bpermute_b32 v40, v30, v3
	v_add_nc_u32_e32 v2, v23, v2
	v_cmp_eq_u32_e32 vcc_lo, 0, v2
	s_waitcnt lgkmcnt(0)
	v_cndmask_b32_e32 v23, 0, v40, vcc_lo
	ds_bpermute_b32 v40, v30, v2
	v_cmp_gt_u32_e32 vcc_lo, v31, v22
	v_add_nc_u16 v23, v23, v5
	s_delay_alu instid0(VALU_DEP_1) | instskip(SKIP_2) | instid1(VALU_DEP_1)
	v_and_b32_e32 v41, 0xffff, v23
	s_waitcnt lgkmcnt(0)
	v_cndmask_b32_e64 v40, v40, 0, vcc_lo
	v_dual_cndmask_b32 v5, v23, v5 :: v_dual_add_nc_u32 v2, v2, v40
	s_delay_alu instid0(VALU_DEP_3)
	v_cndmask_b32_e32 v3, v41, v3, vcc_lo
	ds_bpermute_b32 v40, v32, v2
	ds_bpermute_b32 v23, v32, v3
	v_cmp_eq_u32_e32 vcc_lo, 0, v2
	s_waitcnt lgkmcnt(0)
	v_cndmask_b32_e32 v23, 0, v23, vcc_lo
	v_cmp_gt_u32_e32 vcc_lo, v33, v22
	s_delay_alu instid0(VALU_DEP_2) | instskip(SKIP_1) | instid1(VALU_DEP_2)
	v_add_nc_u16 v23, v5, v23
	v_cndmask_b32_e64 v40, v40, 0, vcc_lo
	v_and_b32_e32 v41, 0xffff, v23
	s_delay_alu instid0(VALU_DEP_2) | instskip(NEXT) | instid1(VALU_DEP_2)
	v_dual_cndmask_b32 v5, v23, v5 :: v_dual_add_nc_u32 v2, v2, v40
	v_cndmask_b32_e32 v3, v41, v3, vcc_lo
	s_delay_alu instid0(VALU_DEP_2)
	v_cmp_eq_u32_e32 vcc_lo, 0, v2
	ds_bpermute_b32 v40, v34, v2
	ds_bpermute_b32 v23, v34, v3
	s_waitcnt lgkmcnt(0)
	v_cndmask_b32_e32 v23, 0, v23, vcc_lo
	v_cmp_gt_u32_e32 vcc_lo, v37, v22
	s_delay_alu instid0(VALU_DEP_2) | instskip(NEXT) | instid1(VALU_DEP_1)
	v_add_nc_u16 v23, v5, v23
	v_and_b32_e32 v41, 0xffff, v23
	v_cndmask_b32_e32 v5, v23, v5, vcc_lo
	v_cndmask_b32_e64 v23, v40, 0, vcc_lo
	s_delay_alu instid0(VALU_DEP_3) | instskip(NEXT) | instid1(VALU_DEP_2)
	v_cndmask_b32_e32 v3, v41, v3, vcc_lo
	v_add_nc_u32_e32 v2, v2, v23
	ds_bpermute_b32 v3, v38, v3
	ds_bpermute_b32 v23, v38, v2
	v_cmp_eq_u32_e32 vcc_lo, 0, v2
	s_waitcnt lgkmcnt(1)
	v_cndmask_b32_e32 v3, 0, v3, vcc_lo
	v_cmp_gt_u32_e32 vcc_lo, v39, v22
	s_delay_alu instid0(VALU_DEP_2) | instskip(NEXT) | instid1(VALU_DEP_1)
	v_cndmask_b32_e64 v3, v3, 0, vcc_lo
	v_add_nc_u16 v3, v5, v3
	s_waitcnt lgkmcnt(0)
	v_cndmask_b32_e64 v5, v23, 0, vcc_lo
	v_cmp_eq_u32_e32 vcc_lo, 0, v36
	s_delay_alu instid0(VALU_DEP_2) | instskip(SKIP_1) | instid1(VALU_DEP_1)
	v_add3_u32 v2, v2, v36, v5
	v_cndmask_b32_e32 v3, 0, v3, vcc_lo
	v_add_nc_u16 v3, v3, v35
.LBB965_95:                             ; =>This Loop Header: Depth=1
                                        ;     Child Loop BB965_98 Depth 2
                                        ;       Child Loop BB965_99 Depth 3
	s_delay_alu instid0(VALU_DEP_1) | instskip(NEXT) | instid1(VALU_DEP_4)
	v_dual_mov_b32 v35, v3 :: v_dual_and_b32 v4, 0xff, v4
	v_mov_b32_e32 v36, v2
	s_delay_alu instid0(VALU_DEP_2) | instskip(SKIP_2) | instid1(VALU_DEP_1)
	v_cmp_ne_u16_e32 vcc_lo, 2, v4
	v_cndmask_b32_e64 v4, 0, 1, vcc_lo
	;;#ASMSTART
	;;#ASMEND
	v_cmp_ne_u32_e32 vcc_lo, 0, v4
	s_cmp_lg_u32 vcc_lo, exec_lo
	s_cbranch_scc1 .LBB965_102
; %bb.96:                               ;   in Loop: Header=BB965_95 Depth=1
	v_lshlrev_b64 v[2:3], 4, v[20:21]
	s_mov_b32 s15, exec_lo
	s_delay_alu instid0(VALU_DEP_1) | instskip(NEXT) | instid1(VALU_DEP_2)
	v_add_co_u32 v22, vcc_lo, s24, v2
	v_add_co_ci_u32_e32 v23, vcc_lo, s25, v3, vcc_lo
	;;#ASMSTART
	global_load_dwordx4 v[2:5], v[22:23] off glc	
s_waitcnt vmcnt(0)
	;;#ASMEND
	v_and_b32_e32 v5, 0xffffff, v2
	v_and_b32_e32 v2, 0xff000000, v2
	;; [unrolled: 1-line block ×4, first 2 shown]
	s_delay_alu instid0(VALU_DEP_3) | instskip(SKIP_1) | instid1(VALU_DEP_3)
	v_or_b32_e32 v2, v5, v2
	v_and_b32_e32 v5, 0xff, v4
	v_or3_b32 v3, 0, v40, v3
	s_delay_alu instid0(VALU_DEP_3) | instskip(NEXT) | instid1(VALU_DEP_3)
	v_or3_b32 v2, v2, 0, 0
	v_cmpx_eq_u16_e32 0, v5
	s_cbranch_execz .LBB965_94
; %bb.97:                               ;   in Loop: Header=BB965_95 Depth=1
	s_mov_b32 s20, 1
	s_mov_b32 s19, 0
	.p2align	6
.LBB965_98:                             ;   Parent Loop BB965_95 Depth=1
                                        ; =>  This Loop Header: Depth=2
                                        ;       Child Loop BB965_99 Depth 3
	s_max_u32 s21, s20, 1
.LBB965_99:                             ;   Parent Loop BB965_95 Depth=1
                                        ;     Parent Loop BB965_98 Depth=2
                                        ; =>    This Inner Loop Header: Depth=3
	s_delay_alu instid0(SALU_CYCLE_1)
	s_add_i32 s21, s21, -1
	s_sleep 1
	s_cmp_eq_u32 s21, 0
	s_cbranch_scc0 .LBB965_99
; %bb.100:                              ;   in Loop: Header=BB965_98 Depth=2
	;;#ASMSTART
	global_load_dwordx4 v[2:5], v[22:23] off glc	
s_waitcnt vmcnt(0)
	;;#ASMEND
	v_and_b32_e32 v5, 0xff, v4
	s_cmp_lt_u32 s20, 32
	s_cselect_b32 s21, -1, 0
	s_delay_alu instid0(SALU_CYCLE_1) | instskip(NEXT) | instid1(VALU_DEP_1)
	s_cmp_lg_u32 s21, 0
	v_cmp_ne_u16_e32 vcc_lo, 0, v5
	s_addc_u32 s20, s20, 0
	s_or_b32 s19, vcc_lo, s19
	s_delay_alu instid0(SALU_CYCLE_1)
	s_and_not1_b32 exec_lo, exec_lo, s19
	s_cbranch_execnz .LBB965_98
; %bb.101:                              ;   in Loop: Header=BB965_95 Depth=1
	s_or_b32 exec_lo, exec_lo, s19
	v_and_b32_e32 v3, 0xffff, v3
	s_branch .LBB965_94
.LBB965_102:                            ;   in Loop: Header=BB965_95 Depth=1
                                        ; implicit-def: $vgpr3
                                        ; implicit-def: $vgpr2
                                        ; implicit-def: $vgpr4
	s_cbranch_execz .LBB965_95
; %bb.103:
	s_and_saveexec_b32 s15, s14
	s_cbranch_execz .LBB965_105
; %bb.104:
	v_cmp_eq_u32_e32 vcc_lo, 0, v1
	s_mov_b32 s21, 0
	s_add_i32 s20, s44, 32
	v_add_nc_u32_e64 v22, 0x800, 0
	s_lshl_b64 s[20:21], s[20:21], 4
	v_dual_cndmask_b32 v2, 0, v35 :: v_dual_mov_b32 v5, 0
	s_add_u32 s20, s24, s20
	s_addc_u32 s21, s25, s21
	v_mov_b32_e32 v4, 2
	s_delay_alu instid0(VALU_DEP_2) | instskip(SKIP_1) | instid1(VALU_DEP_2)
	v_add_nc_u16 v3, v2, s18
	v_dual_mov_b32 v23, s18 :: v_dual_add_nc_u32 v2, v36, v1
	v_and_b32_e32 v20, 0xff00, v3
	v_and_b32_e32 v3, 0xff, v3
	s_delay_alu instid0(VALU_DEP_1)
	v_or_b32_e32 v3, v20, v3
	v_dual_mov_b32 v20, s20 :: v_dual_mov_b32 v21, s21
	;;#ASMSTART
	global_store_dwordx4 v[20:21], v[2:5] off	
s_waitcnt vmcnt(0)
	;;#ASMEND
	ds_store_2addr_b32 v22, v1, v36 offset1:2
	ds_store_b16 v5, v23 offset:2052
	ds_store_b16 v5, v35 offset:2060
.LBB965_105:
	s_or_b32 exec_lo, exec_lo, s15
	s_delay_alu instid0(SALU_CYCLE_1)
	s_and_b32 exec_lo, exec_lo, s2
	s_cbranch_execz .LBB965_107
; %bb.106:
	v_mov_b32_e32 v1, 0
	ds_store_b32 v1, v36 offset:2120
	ds_store_b16 v1, v35 offset:2124
.LBB965_107:
	s_or_b32 exec_lo, exec_lo, s17
	s_waitcnt lgkmcnt(1)
	v_cndmask_b32_e64 v4, v26, v25, s14
	s_waitcnt lgkmcnt(0)
	s_barrier
	buffer_gl0_inv
	v_cndmask_b32_e64 v5, v27, v24, s14
	v_cmp_eq_u32_e32 vcc_lo, 0, v4
	v_mov_b32_e32 v3, 0
	v_cndmask_b32_e64 v4, v4, 0, s2
	ds_load_b64 v[1:2], v3 offset:2120
	s_waitcnt lgkmcnt(0)
	s_barrier
	buffer_gl0_inv
	v_cndmask_b32_e32 v20, 0, v2, vcc_lo
	v_cmp_eq_u32_e32 vcc_lo, 0, v83
	v_add_nc_u32_e32 v48, v1, v4
	s_delay_alu instid0(VALU_DEP_3) | instskip(NEXT) | instid1(VALU_DEP_2)
	v_add_nc_u16 v5, v20, v5
	v_add_nc_u32_e32 v44, v48, v83
	s_delay_alu instid0(VALU_DEP_2) | instskip(NEXT) | instid1(VALU_DEP_2)
	v_cndmask_b32_e64 v20, v5, v2, s2
	v_add_nc_u32_e32 v42, v44, v66
	s_delay_alu instid0(VALU_DEP_2) | instskip(SKIP_1) | instid1(VALU_DEP_3)
	v_cndmask_b32_e32 v2, 0, v20, vcc_lo
	v_and_b32_e32 v49, 0xffff, v20
	v_add_nc_u32_e32 v40, v42, v65
	s_delay_alu instid0(VALU_DEP_3) | instskip(NEXT) | instid1(VALU_DEP_2)
	v_add_nc_u16 v21, v2, v80
	v_add_nc_u32_e32 v28, v40, v64
	s_delay_alu instid0(VALU_DEP_2) | instskip(SKIP_1) | instid1(VALU_DEP_3)
	v_cndmask_b32_e64 v2, 0, v21, s13
	v_and_b32_e32 v45, 0xffff, v21
	v_add_nc_u32_e32 v26, v28, v63
	s_delay_alu instid0(VALU_DEP_3) | instskip(NEXT) | instid1(VALU_DEP_2)
	v_add_nc_u16 v22, v2, v79
	v_add_nc_u32_e32 v24, v26, v62
	s_delay_alu instid0(VALU_DEP_2) | instskip(SKIP_1) | instid1(VALU_DEP_3)
	v_cndmask_b32_e64 v2, 0, v22, s12
	;; [unrolled: 7-line block ×3, first 2 shown]
	v_and_b32_e32 v41, 0xffff, v23
	v_add_nc_u32_e32 v38, v50, v58
	s_delay_alu instid0(VALU_DEP_3) | instskip(NEXT) | instid1(VALU_DEP_2)
	v_add_nc_u16 v25, v2, v77
	v_add_nc_u32_e32 v36, v38, v57
	s_delay_alu instid0(VALU_DEP_2) | instskip(NEXT) | instid1(VALU_DEP_2)
	v_cndmask_b32_e64 v2, 0, v25, s10
	v_add_nc_u32_e32 v32, v36, v56
	s_delay_alu instid0(VALU_DEP_2) | instskip(NEXT) | instid1(VALU_DEP_2)
	v_add_nc_u16 v27, v2, v76
	v_add_nc_u32_e32 v34, v32, v55
	s_delay_alu instid0(VALU_DEP_2) | instskip(SKIP_1) | instid1(VALU_DEP_3)
	v_cndmask_b32_e64 v2, 0, v27, s9
	v_and_b32_e32 v27, 0xffff, v27
	v_add_nc_u32_e32 v30, v34, v54
	s_delay_alu instid0(VALU_DEP_3) | instskip(NEXT) | instid1(VALU_DEP_2)
	v_add_nc_u16 v31, v2, v75
	v_add_nc_u32_e32 v22, v30, v53
	s_delay_alu instid0(VALU_DEP_2) | instskip(NEXT) | instid1(VALU_DEP_1)
	v_cndmask_b32_e64 v1, 0, v31, s8
	v_add_nc_u16 v1, v1, v73
	s_delay_alu instid0(VALU_DEP_1) | instskip(SKIP_1) | instid1(VALU_DEP_2)
	v_cndmask_b32_e64 v2, 0, v1, s7
	v_and_b32_e32 v47, 0xffff, v1
	v_add_nc_u16 v33, v2, v71
	s_delay_alu instid0(VALU_DEP_1) | instskip(SKIP_1) | instid1(VALU_DEP_2)
	v_cndmask_b32_e64 v2, 0, v33, s6
	v_and_b32_e32 v51, 0xffff, v33
	;; [unrolled: 4-line block ×3, first 2 shown]
	v_add_nc_u16 v37, v2, v72
	ds_load_b128 v[2:5], v3 offset:2048
	v_cndmask_b32_e64 v29, 0, v37, s4
	v_and_b32_e32 v37, 0xffff, v37
	s_delay_alu instid0(VALU_DEP_2) | instskip(NEXT) | instid1(VALU_DEP_1)
	v_add_nc_u16 v82, v29, v70
	v_cndmask_b32_e64 v29, 0, v82, s3
	v_and_b32_e32 v33, 0xffff, v82
	s_delay_alu instid0(VALU_DEP_2) | instskip(SKIP_2) | instid1(VALU_DEP_2)
	v_add_nc_u16 v88, v29, v69
	s_waitcnt lgkmcnt(0)
	v_cmp_eq_u32_e32 vcc_lo, 0, v2
	v_cndmask_b32_e64 v29, 0, v88, s1
	v_cndmask_b32_e32 v5, 0, v5, vcc_lo
	v_and_b32_e32 v35, 0xffff, v88
	s_delay_alu instid0(VALU_DEP_3) | instskip(SKIP_3) | instid1(VALU_DEP_4)
	v_add_nc_u16 v20, v29, v68
	v_and_b32_e32 v29, 0xffff, v25
	v_and_b32_e32 v25, 0xffff, v31
	v_add_nc_u32_e32 v82, v5, v3
	v_cndmask_b32_e64 v21, 0, v20, s0
	v_and_b32_e32 v31, 0xffff, v20
	s_delay_alu instid0(VALU_DEP_2) | instskip(NEXT) | instid1(VALU_DEP_1)
	v_add_nc_u16 v1, v21, v67
	v_and_b32_e32 v23, 0xffff, v1
	s_branch .LBB965_120
.LBB965_108:
                                        ; implicit-def: $vgpr2
                                        ; implicit-def: $vgpr82
                                        ; implicit-def: $vgpr48_vgpr49
                                        ; implicit-def: $vgpr44_vgpr45
                                        ; implicit-def: $vgpr42_vgpr43
                                        ; implicit-def: $vgpr40_vgpr41
                                        ; implicit-def: $vgpr28_vgpr29
                                        ; implicit-def: $vgpr26_vgpr27
                                        ; implicit-def: $vgpr24_vgpr25
                                        ; implicit-def: $vgpr46_vgpr47
                                        ; implicit-def: $vgpr50_vgpr51
                                        ; implicit-def: $vgpr38_vgpr39
                                        ; implicit-def: $vgpr36_vgpr37
                                        ; implicit-def: $vgpr32_vgpr33
                                        ; implicit-def: $vgpr34_vgpr35
                                        ; implicit-def: $vgpr30_vgpr31
                                        ; implicit-def: $vgpr22_vgpr23
	s_cbranch_execz .LBB965_120
; %bb.109:
	s_and_b32 s0, s16, exec_lo
	v_mov_b32_e32 v1, v80
	s_cselect_b32 s1, 0, s35
	s_cselect_b32 s0, 0, s34
	s_delay_alu instid0(SALU_CYCLE_1)
	s_cmp_eq_u64 s[0:1], 0
	s_cbranch_scc1 .LBB965_111
; %bb.110:
	v_mov_b32_e32 v1, 0
	global_load_u16 v1, v1, s[0:1]
.LBB965_111:
	v_cmp_eq_u32_e64 s12, 0, v66
	v_cmp_eq_u32_e64 s11, 0, v65
	;; [unrolled: 1-line block ×5, first 2 shown]
	v_cndmask_b32_e64 v2, 0, v80, s12
	v_cmp_eq_u32_e64 s8, 0, v61
	v_cmp_eq_u32_e64 s6, 0, v59
	;; [unrolled: 1-line block ×4, first 2 shown]
	v_add_nc_u16 v2, v2, v79
	v_cmp_eq_u32_e64 s3, 0, v56
	v_cmp_eq_u32_e64 s1, 0, v55
	v_add3_u32 v3, v87, v62, v61
	v_cmp_eq_u32_e64 s0, 0, v54
	v_cndmask_b32_e64 v2, 0, v2, s11
	v_cmp_eq_u32_e32 vcc_lo, 0, v53
	v_cmp_eq_u32_e64 s13, 0, v60
	v_add3_u32 v3, v3, v59, v58
	v_and_b32_e32 v20, 15, v84
	v_add_nc_u16 v2, v2, v78
	s_delay_alu instid0(VALU_DEP_3) | instskip(NEXT) | instid1(VALU_DEP_2)
	v_add3_u32 v3, v3, v57, v56
	v_cndmask_b32_e64 v2, 0, v2, s10
	s_delay_alu instid0(VALU_DEP_2) | instskip(NEXT) | instid1(VALU_DEP_2)
	v_add3_u32 v3, v3, v55, v54
	v_add_nc_u16 v2, v2, v77
	s_delay_alu instid0(VALU_DEP_2) | instskip(NEXT) | instid1(VALU_DEP_2)
	v_add3_u32 v3, v3, v53, v60
	v_cndmask_b32_e64 v2, 0, v2, s9
	s_delay_alu instid0(VALU_DEP_2) | instskip(NEXT) | instid1(VALU_DEP_2)
	v_mov_b32_dpp v21, v3 row_shr:1 row_mask:0xf bank_mask:0xf
	v_add_nc_u16 v2, v2, v76
	s_delay_alu instid0(VALU_DEP_1) | instskip(NEXT) | instid1(VALU_DEP_1)
	v_cndmask_b32_e64 v2, 0, v2, s7
	v_add_nc_u16 v2, v2, v75
	s_delay_alu instid0(VALU_DEP_1) | instskip(NEXT) | instid1(VALU_DEP_1)
	v_cndmask_b32_e64 v2, 0, v2, s8
	;; [unrolled: 3-line block ×8, first 2 shown]
	v_add_nc_u16 v2, v2, v68
	s_delay_alu instid0(VALU_DEP_1) | instskip(NEXT) | instid1(VALU_DEP_1)
	v_cndmask_b32_e32 v2, 0, v2, vcc_lo
	v_add_nc_u16 v2, v2, v67
	s_delay_alu instid0(VALU_DEP_1) | instskip(SKIP_1) | instid1(VALU_DEP_2)
	v_cndmask_b32_e64 v2, 0, v2, s13
	v_cmp_eq_u32_e64 s13, 0, v3
	v_add_nc_u16 v2, v2, v81
	s_delay_alu instid0(VALU_DEP_1) | instskip(NEXT) | instid1(VALU_DEP_1)
	v_and_b32_e32 v4, 0xffff, v2
	v_mov_b32_dpp v5, v4 row_shr:1 row_mask:0xf bank_mask:0xf
	s_delay_alu instid0(VALU_DEP_1) | instskip(SKIP_1) | instid1(VALU_DEP_2)
	v_cndmask_b32_e64 v5, 0, v5, s13
	v_cmp_eq_u32_e64 s13, 0, v20
	v_add_nc_u16 v5, v5, v2
	s_delay_alu instid0(VALU_DEP_2) | instskip(NEXT) | instid1(VALU_DEP_2)
	v_cndmask_b32_e64 v21, v21, 0, s13
	v_and_b32_e32 v22, 0xffff, v5
	s_delay_alu instid0(VALU_DEP_2) | instskip(SKIP_1) | instid1(VALU_DEP_3)
	v_add_nc_u32_e32 v3, v21, v3
	v_cndmask_b32_e64 v2, v5, v2, s13
	v_cndmask_b32_e64 v4, v22, v4, s13
	s_delay_alu instid0(VALU_DEP_3) | instskip(NEXT) | instid1(VALU_DEP_2)
	v_cmp_eq_u32_e64 s13, 0, v3
	v_mov_b32_dpp v21, v4 row_shr:2 row_mask:0xf bank_mask:0xf
	s_delay_alu instid0(VALU_DEP_1) | instskip(SKIP_2) | instid1(VALU_DEP_3)
	v_cndmask_b32_e64 v5, 0, v21, s13
	v_mov_b32_dpp v21, v3 row_shr:2 row_mask:0xf bank_mask:0xf
	v_cmp_lt_u32_e64 s13, 1, v20
	v_add_nc_u16 v5, v5, v2
	s_delay_alu instid0(VALU_DEP_1) | instskip(NEXT) | instid1(VALU_DEP_3)
	v_and_b32_e32 v22, 0xffff, v5
	v_cndmask_b32_e64 v2, v2, v5, s13
	v_cndmask_b32_e64 v5, 0, v21, s13
	s_delay_alu instid0(VALU_DEP_3) | instskip(NEXT) | instid1(VALU_DEP_2)
	v_cndmask_b32_e64 v4, v4, v22, s13
	v_add_nc_u32_e32 v3, v3, v5
	s_delay_alu instid0(VALU_DEP_2) | instskip(NEXT) | instid1(VALU_DEP_2)
	v_mov_b32_dpp v5, v4 row_shr:4 row_mask:0xf bank_mask:0xf
	v_cmp_eq_u32_e64 s13, 0, v3
	v_mov_b32_dpp v21, v3 row_shr:4 row_mask:0xf bank_mask:0xf
	s_delay_alu instid0(VALU_DEP_2) | instskip(SKIP_1) | instid1(VALU_DEP_2)
	v_cndmask_b32_e64 v5, 0, v5, s13
	v_cmp_lt_u32_e64 s13, 3, v20
	v_add_nc_u16 v5, v5, v2
	s_delay_alu instid0(VALU_DEP_1) | instskip(NEXT) | instid1(VALU_DEP_3)
	v_and_b32_e32 v22, 0xffff, v5
	v_cndmask_b32_e64 v2, v2, v5, s13
	v_cndmask_b32_e64 v5, 0, v21, s13
	s_delay_alu instid0(VALU_DEP_3) | instskip(NEXT) | instid1(VALU_DEP_2)
	v_cndmask_b32_e64 v4, v4, v22, s13
	v_add_nc_u32_e32 v3, v5, v3
	s_delay_alu instid0(VALU_DEP_2) | instskip(NEXT) | instid1(VALU_DEP_2)
	v_mov_b32_dpp v5, v4 row_shr:8 row_mask:0xf bank_mask:0xf
	v_cmp_eq_u32_e64 s13, 0, v3
	v_mov_b32_dpp v21, v3 row_shr:8 row_mask:0xf bank_mask:0xf
	s_delay_alu instid0(VALU_DEP_2) | instskip(SKIP_1) | instid1(VALU_DEP_2)
	v_cndmask_b32_e64 v5, 0, v5, s13
	v_cmp_lt_u32_e64 s13, 7, v20
	v_add_nc_u16 v5, v5, v2
	s_delay_alu instid0(VALU_DEP_1) | instskip(SKIP_3) | instid1(VALU_DEP_3)
	v_cndmask_b32_e64 v20, v2, v5, s13
	v_cndmask_b32_e64 v2, 0, v21, s13
	v_and_b32_e32 v5, 0xffff, v5
	v_bfe_i32 v21, v84, 4, 1
	v_add_nc_u32_e32 v2, v2, v3
	s_delay_alu instid0(VALU_DEP_3)
	v_cndmask_b32_e64 v3, v4, v5, s13
	v_and_b32_e32 v5, 16, v84
	ds_swizzle_b32 v4, v2 offset:swizzle(BROADCAST,32,15)
	ds_swizzle_b32 v3, v3 offset:swizzle(BROADCAST,32,15)
	v_cmp_ne_u32_e64 s13, 0, v5
	v_cmp_eq_u32_e64 s14, 0, v2
	s_delay_alu instid0(VALU_DEP_1)
	s_and_b32 s13, s13, s14
	s_mov_b32 s14, exec_lo
	s_waitcnt lgkmcnt(1)
	v_and_b32_e32 v4, v21, v4
	s_waitcnt lgkmcnt(0)
	v_cndmask_b32_e64 v3, 0, v3, s13
	s_delay_alu instid0(VALU_DEP_2) | instskip(NEXT) | instid1(VALU_DEP_2)
	v_add_nc_u32_e32 v2, v4, v2
	v_add_nc_u16 v3, v3, v20
	v_cmpx_eq_u32_e64 v86, v0
	s_cbranch_execz .LBB965_113
; %bb.112:
	v_lshlrev_b32_e32 v4, 3, v85
	ds_store_b32 v4, v2 offset:2064
	ds_store_b16 v4, v3 offset:2068
.LBB965_113:
	s_or_b32 exec_lo, exec_lo, s14
	s_delay_alu instid0(SALU_CYCLE_1)
	s_mov_b32 s15, exec_lo
	s_waitcnt vmcnt(0) lgkmcnt(0)
	s_barrier
	buffer_gl0_inv
	v_cmpx_gt_u32_e32 8, v0
	s_cbranch_execz .LBB965_115
; %bb.114:
	v_lshlrev_b32_e32 v20, 3, v0
	v_and_b32_e32 v24, 7, v84
	ds_load_b64 v[4:5], v20 offset:2064
	v_cmp_lt_u32_e64 s14, 3, v24
	s_waitcnt lgkmcnt(0)
	v_mov_b32_dpp v21, v5 row_shr:1 row_mask:0xf bank_mask:0xf
	v_cmp_eq_u32_e64 s13, 0, v4
	v_and_b32_e32 v22, 0xffff0000, v5
	v_mov_b32_dpp v25, v4 row_shr:1 row_mask:0xf bank_mask:0xf
	s_delay_alu instid0(VALU_DEP_3) | instskip(SKIP_1) | instid1(VALU_DEP_2)
	v_cndmask_b32_e64 v21, 0, v21, s13
	v_cmp_eq_u32_e64 s13, 0, v24
	v_add_nc_u16 v21, v21, v5
	s_delay_alu instid0(VALU_DEP_2) | instskip(NEXT) | instid1(VALU_DEP_2)
	v_cndmask_b32_e64 v25, v25, 0, s13
	v_and_b32_e32 v23, 0xffff, v21
	s_delay_alu instid0(VALU_DEP_2) | instskip(NEXT) | instid1(VALU_DEP_2)
	v_add_nc_u32_e32 v4, v25, v4
	v_or_b32_e32 v23, v22, v23
	s_delay_alu instid0(VALU_DEP_1) | instskip(SKIP_1) | instid1(VALU_DEP_4)
	v_cndmask_b32_e64 v23, v23, v5, s13
	v_cndmask_b32_e64 v5, v21, v5, s13
	v_cmp_eq_u32_e64 s13, 0, v4
	s_delay_alu instid0(VALU_DEP_3) | instskip(NEXT) | instid1(VALU_DEP_1)
	v_mov_b32_dpp v25, v23 row_shr:2 row_mask:0xf bank_mask:0xf
	v_cndmask_b32_e64 v21, 0, v25, s13
	v_mov_b32_dpp v25, v4 row_shr:2 row_mask:0xf bank_mask:0xf
	v_cmp_lt_u32_e64 s13, 1, v24
	s_delay_alu instid0(VALU_DEP_3) | instskip(NEXT) | instid1(VALU_DEP_1)
	v_add_nc_u16 v21, v21, v5
	v_and_b32_e32 v26, 0xffff, v21
	s_delay_alu instid0(VALU_DEP_3) | instskip(SKIP_1) | instid1(VALU_DEP_3)
	v_cndmask_b32_e64 v5, v5, v21, s13
	v_cndmask_b32_e64 v21, 0, v25, s13
	v_or_b32_e32 v22, v22, v26
	s_delay_alu instid0(VALU_DEP_2) | instskip(NEXT) | instid1(VALU_DEP_2)
	v_add_nc_u32_e32 v4, v21, v4
	v_cndmask_b32_e64 v21, v23, v22, s13
	s_delay_alu instid0(VALU_DEP_2) | instskip(SKIP_1) | instid1(VALU_DEP_3)
	v_cmp_eq_u32_e64 s13, 0, v4
	v_mov_b32_dpp v22, v4 row_shr:4 row_mask:0xf bank_mask:0xf
	v_mov_b32_dpp v21, v21 row_shr:4 row_mask:0xf bank_mask:0xf
	s_delay_alu instid0(VALU_DEP_3) | instskip(NEXT) | instid1(VALU_DEP_2)
	s_and_b32 s13, s14, s13
	v_cndmask_b32_e64 v22, 0, v22, s14
	s_delay_alu instid0(VALU_DEP_2) | instskip(NEXT) | instid1(VALU_DEP_2)
	v_cndmask_b32_e64 v21, 0, v21, s13
	v_add_nc_u32_e32 v4, v22, v4
	s_delay_alu instid0(VALU_DEP_2)
	v_add_nc_u16 v5, v5, v21
	ds_store_b32 v20, v4 offset:2064
	ds_store_b16 v20, v5 offset:2068
.LBB965_115:
	s_or_b32 exec_lo, exec_lo, s15
	v_dual_mov_b32 v4, 0 :: v_dual_mov_b32 v5, 0
	v_mov_b32_e32 v20, v1
	s_mov_b32 s14, exec_lo
	s_waitcnt lgkmcnt(0)
	s_barrier
	buffer_gl0_inv
	v_cmpx_lt_u32_e32 31, v0
	s_cbranch_execz .LBB965_117
; %bb.116:
	v_lshlrev_b32_e32 v20, 3, v85
	ds_load_b32 v5, v20 offset:2056
	ds_load_u16 v20, v20 offset:2060
	s_waitcnt lgkmcnt(1)
	v_cmp_eq_u32_e64 s13, 0, v5
	s_delay_alu instid0(VALU_DEP_1) | instskip(SKIP_1) | instid1(VALU_DEP_1)
	v_cndmask_b32_e64 v21, 0, v1, s13
	s_waitcnt lgkmcnt(0)
	v_add_nc_u16 v20, v21, v20
.LBB965_117:
	s_or_b32 exec_lo, exec_lo, s14
	v_add_nc_u32_e32 v21, -1, v84
	v_cmp_eq_u32_e64 s13, 0, v2
	v_add_nc_u32_e32 v2, v5, v2
	s_delay_alu instid0(VALU_DEP_2) | instskip(NEXT) | instid1(VALU_DEP_4)
	v_cndmask_b32_e64 v22, 0, v20, s13
	v_cmp_gt_i32_e64 s13, 0, v21
	s_delay_alu instid0(VALU_DEP_2) | instskip(NEXT) | instid1(VALU_DEP_2)
	v_add_nc_u16 v3, v22, v3
	v_cndmask_b32_e64 v21, v21, v84, s13
	v_cmp_eq_u32_e64 s13, 0, v84
	s_delay_alu instid0(VALU_DEP_3) | instskip(NEXT) | instid1(VALU_DEP_3)
	v_and_b32_e32 v3, 0xffff, v3
	v_lshlrev_b32_e32 v21, 2, v21
	ds_bpermute_b32 v3, v21, v3
	ds_bpermute_b32 v2, v21, v2
	s_waitcnt lgkmcnt(1)
	v_cndmask_b32_e64 v3, v3, v20, s13
	s_waitcnt lgkmcnt(0)
	v_cndmask_b32_e64 v2, v2, v5, s13
	v_cmp_eq_u32_e64 s13, 0, v83
	s_delay_alu instid0(VALU_DEP_3) | instskip(NEXT) | instid1(VALU_DEP_3)
	v_cndmask_b32_e64 v3, v3, v1, s2
	v_cndmask_b32_e64 v48, v2, 0, s2
	s_delay_alu instid0(VALU_DEP_2) | instskip(NEXT) | instid1(VALU_DEP_2)
	v_cndmask_b32_e64 v5, 0, v3, s13
	v_add_nc_u32_e32 v44, v48, v83
	v_and_b32_e32 v49, 0xffff, v3
	s_delay_alu instid0(VALU_DEP_3) | instskip(NEXT) | instid1(VALU_DEP_3)
	v_add_nc_u16 v5, v5, v80
	v_add_nc_u32_e32 v42, v44, v66
	s_delay_alu instid0(VALU_DEP_2) | instskip(NEXT) | instid1(VALU_DEP_2)
	v_cndmask_b32_e64 v20, 0, v5, s12
	v_add_nc_u32_e32 v40, v42, v65
	v_and_b32_e32 v45, 0xffff, v5
	s_delay_alu instid0(VALU_DEP_3) | instskip(NEXT) | instid1(VALU_DEP_3)
	v_add_nc_u16 v20, v20, v79
	v_add_nc_u32_e32 v28, v40, v64
	s_delay_alu instid0(VALU_DEP_2) | instskip(NEXT) | instid1(VALU_DEP_2)
	v_cndmask_b32_e64 v21, 0, v20, s11
	v_add_nc_u32_e32 v26, v28, v63
	v_and_b32_e32 v43, 0xffff, v20
	s_delay_alu instid0(VALU_DEP_3) | instskip(NEXT) | instid1(VALU_DEP_1)
	v_add_nc_u16 v21, v21, v78
	v_cndmask_b32_e64 v22, 0, v21, s10
	v_and_b32_e32 v41, 0xffff, v21
	s_delay_alu instid0(VALU_DEP_2) | instskip(NEXT) | instid1(VALU_DEP_1)
	v_add_nc_u16 v22, v22, v77
	v_cndmask_b32_e64 v23, 0, v22, s9
	v_and_b32_e32 v29, 0xffff, v22
	s_delay_alu instid0(VALU_DEP_2) | instskip(NEXT) | instid1(VALU_DEP_1)
	v_add_nc_u16 v23, v23, v76
	v_cndmask_b32_e64 v24, 0, v23, s7
	s_delay_alu instid0(VALU_DEP_1) | instskip(NEXT) | instid1(VALU_DEP_1)
	v_add_nc_u16 v25, v24, v75
	v_cndmask_b32_e64 v24, 0, v25, s8
	v_and_b32_e32 v25, 0xffff, v25
	s_delay_alu instid0(VALU_DEP_2) | instskip(SKIP_1) | instid1(VALU_DEP_2)
	v_add_nc_u16 v31, v24, v73
	v_add_nc_u32_e32 v24, v26, v62
	v_cndmask_b32_e64 v2, 0, v31, s6
	s_delay_alu instid0(VALU_DEP_2) | instskip(SKIP_1) | instid1(VALU_DEP_3)
	v_add_nc_u32_e32 v46, v24, v61
	v_and_b32_e32 v47, 0xffff, v31
	v_add_nc_u16 v33, v2, v71
	s_delay_alu instid0(VALU_DEP_3) | instskip(NEXT) | instid1(VALU_DEP_2)
	v_add_nc_u32_e32 v50, v46, v59
	v_cndmask_b32_e64 v2, 0, v33, s5
	s_delay_alu instid0(VALU_DEP_2) | instskip(SKIP_1) | instid1(VALU_DEP_3)
	v_add_nc_u32_e32 v38, v50, v58
	v_and_b32_e32 v51, 0xffff, v33
	v_add_nc_u16 v35, v2, v74
	s_delay_alu instid0(VALU_DEP_3) | instskip(NEXT) | instid1(VALU_DEP_2)
	v_add_nc_u32_e32 v36, v38, v57
	v_cndmask_b32_e64 v2, 0, v35, s4
	s_delay_alu instid0(VALU_DEP_2) | instskip(SKIP_1) | instid1(VALU_DEP_3)
	v_add_nc_u32_e32 v32, v36, v56
	v_and_b32_e32 v39, 0xffff, v35
	v_add_nc_u16 v37, v2, v72
	ds_load_b32 v2, v4 offset:2120
	ds_load_u16 v4, v4 offset:2124
	v_add_nc_u32_e32 v34, v32, v55
	v_cndmask_b32_e64 v27, 0, v37, s3
	v_and_b32_e32 v37, 0xffff, v37
	s_delay_alu instid0(VALU_DEP_3) | instskip(NEXT) | instid1(VALU_DEP_3)
	v_add_nc_u32_e32 v30, v34, v54
	v_add_nc_u16 v70, v27, v70
	s_delay_alu instid0(VALU_DEP_2) | instskip(NEXT) | instid1(VALU_DEP_2)
	v_add_nc_u32_e32 v22, v30, v53
	v_cndmask_b32_e64 v27, 0, v70, s1
	v_and_b32_e32 v33, 0xffff, v70
	s_delay_alu instid0(VALU_DEP_2) | instskip(SKIP_3) | instid1(VALU_DEP_3)
	v_add_nc_u16 v69, v27, v69
	s_waitcnt lgkmcnt(1)
	v_cmp_eq_u32_e64 s1, 0, v2
	v_and_b32_e32 v27, 0xffff, v23
	v_cndmask_b32_e64 v3, 0, v69, s0
	s_delay_alu instid0(VALU_DEP_3) | instskip(SKIP_1) | instid1(VALU_DEP_3)
	v_cndmask_b32_e64 v1, 0, v1, s1
	v_and_b32_e32 v35, 0xffff, v69
	v_add_nc_u16 v3, v3, v68
	s_waitcnt lgkmcnt(0)
	s_delay_alu instid0(VALU_DEP_3) | instskip(NEXT) | instid1(VALU_DEP_2)
	v_add_nc_u16 v82, v1, v4
	v_cndmask_b32_e32 v5, 0, v3, vcc_lo
	v_and_b32_e32 v31, 0xffff, v3
	s_delay_alu instid0(VALU_DEP_2) | instskip(NEXT) | instid1(VALU_DEP_1)
	v_add_nc_u16 v5, v5, v67
	v_and_b32_e32 v23, 0xffff, v5
	s_and_saveexec_b32 s0, s2
	s_cbranch_execz .LBB965_119
; %bb.118:
	s_add_u32 s4, s24, 0x200
	v_dual_mov_b32 v4, 2 :: v_dual_and_b32 v1, 0xff00, v82
	s_addc_u32 s5, s25, 0
	v_and_b32_e32 v3, 0xff, v82
	v_dual_mov_b32 v21, s5 :: v_dual_mov_b32 v20, s4
	v_mov_b32_e32 v5, 0
	s_delay_alu instid0(VALU_DEP_3)
	v_or_b32_e32 v3, v1, v3
	;;#ASMSTART
	global_store_dwordx4 v[20:21], v[2:5] off	
s_waitcnt vmcnt(0)
	;;#ASMEND
.LBB965_119:
	s_or_b32 exec_lo, exec_lo, s0
	v_mov_b32_e32 v4, 0
.LBB965_120:
	v_mov_b32_e32 v20, 0
	s_and_b32 s0, s16, exec_lo
	v_mov_b32_e32 v21, 0
	s_cselect_b32 s1, 0, s43
	s_cselect_b32 s0, 0, s42
	s_delay_alu instid0(SALU_CYCLE_1)
	s_cmp_eq_u64 s[0:1], 0
	s_barrier
	buffer_gl0_inv
	s_cbranch_scc1 .LBB965_122
; %bb.121:
	v_mov_b32_e32 v1, 0
	global_load_b64 v[20:21], v1, s[0:1]
.LBB965_122:
	v_cmp_gt_u32_e32 vcc_lo, 0x100, v2
	s_cbranch_vccnz .LBB965_171
; %bb.123:
	v_cmp_eq_u32_e32 vcc_lo, 0, v66
	v_cmp_eq_u32_e64 s0, 0, v54
	v_cmp_eq_u32_e64 s1, 0, v53
	v_cmp_ne_u32_e64 s12, 0, v83
	v_cmp_ne_u32_e64 s3, 0, v55
	v_cndmask_b32_e64 v1, 1, 2, vcc_lo
	v_cmp_eq_u32_e32 vcc_lo, 0, v83
	v_cndmask_b32_e64 v67, 1, 2, s1
	v_cmp_ne_u32_e64 s1, 0, v54
	v_cmp_ne_u32_e64 s4, 0, v56
	;; [unrolled: 1-line block ×3, first 2 shown]
	v_cndmask_b32_e64 v3, 1, 2, vcc_lo
	v_cmp_eq_u32_e32 vcc_lo, 0, v65
	v_cmp_ne_u32_e64 s6, 0, v58
	v_cmp_ne_u32_e64 s7, 0, v59
	;; [unrolled: 1-line block ×3, first 2 shown]
	v_and_b32_e32 v1, v1, v3
	v_cndmask_b32_e64 v5, 1, 2, vcc_lo
	v_cmp_eq_u32_e32 vcc_lo, 0, v64
	v_cmp_ne_u32_e64 s9, 0, v62
	v_cmp_ne_u32_e64 s10, 0, v63
	;; [unrolled: 1-line block ×3, first 2 shown]
	v_and_b32_e32 v1, v1, v5
	v_cndmask_b32_e64 v3, 1, 2, vcc_lo
	v_cmp_eq_u32_e32 vcc_lo, 0, v63
	v_cmp_ne_u32_e64 s13, 0, v65
	v_cmp_ne_u32_e64 s14, 0, v66
	s_mov_b32 s17, 0
	v_and_b32_e32 v1, v1, v3
	v_cndmask_b32_e64 v5, 1, 2, vcc_lo
	v_cmp_eq_u32_e32 vcc_lo, 0, v62
	s_mov_b32 s16, exec_lo
	s_delay_alu instid0(VALU_DEP_2) | instskip(SKIP_2) | instid1(VALU_DEP_2)
	v_and_b32_e32 v1, v1, v5
	v_cndmask_b32_e64 v3, 1, 2, vcc_lo
	v_cmp_eq_u32_e32 vcc_lo, 0, v61
	v_and_b32_e32 v1, v1, v3
	v_cndmask_b32_e64 v5, 1, 2, vcc_lo
	v_cmp_eq_u32_e32 vcc_lo, 0, v59
	s_delay_alu instid0(VALU_DEP_2) | instskip(SKIP_2) | instid1(VALU_DEP_2)
	v_and_b32_e32 v1, v1, v5
	v_cndmask_b32_e64 v3, 1, 2, vcc_lo
	v_cmp_eq_u32_e32 vcc_lo, 0, v58
	v_and_b32_e32 v1, v1, v3
	v_cndmask_b32_e64 v5, 1, 2, vcc_lo
	v_cmp_eq_u32_e32 vcc_lo, 0, v57
	;; [unrolled: 7-line block ×3, first 2 shown]
	s_delay_alu instid0(VALU_DEP_2) | instskip(SKIP_4) | instid1(VALU_DEP_4)
	v_and_b32_e32 v1, v1, v5
	v_cndmask_b32_e64 v3, 1, 2, vcc_lo
	v_cndmask_b32_e64 v5, 1, 2, s0
	v_cmp_eq_u32_e64 s0, 0, v60
	v_cmp_ne_u32_e32 vcc_lo, 0, v60
	v_and_b32_e32 v1, v1, v3
	s_delay_alu instid0(VALU_DEP_3) | instskip(SKIP_1) | instid1(VALU_DEP_3)
	v_cndmask_b32_e64 v3, 1, 2, s0
	v_cmp_ne_u32_e64 s0, 0, v53
	v_and_b32_e32 v1, v1, v5
	s_delay_alu instid0(VALU_DEP_1) | instskip(NEXT) | instid1(VALU_DEP_1)
	v_and_b32_e32 v1, v1, v67
	v_and_b32_e32 v1, v1, v3
	s_delay_alu instid0(VALU_DEP_1)
	v_cmpx_gt_i16_e32 2, v1
	s_cbranch_execz .LBB965_170
; %bb.124:
	v_cmp_ne_u16_e64 s15, 1, v1
	s_delay_alu instid0(VALU_DEP_1) | instskip(NEXT) | instid1(SALU_CYCLE_1)
	s_and_saveexec_b32 s18, s15
	s_xor_b32 s15, exec_lo, s18
	s_cbranch_execz .LBB965_148
; %bb.125:
	s_and_saveexec_b32 s17, s12
	s_cbranch_execz .LBB965_153
; %bb.126:
	v_sub_nc_u32_e32 v1, v48, v4
	s_delay_alu instid0(VALU_DEP_1)
	v_lshlrev_b32_e32 v1, 2, v1
	ds_store_b32 v1, v18
	s_or_b32 exec_lo, exec_lo, s17
	s_and_saveexec_b32 s12, s14
	s_cbranch_execnz .LBB965_154
.LBB965_127:
	s_or_b32 exec_lo, exec_lo, s12
	s_and_saveexec_b32 s12, s13
	s_cbranch_execz .LBB965_155
.LBB965_128:
	v_sub_nc_u32_e32 v1, v42, v4
	s_delay_alu instid0(VALU_DEP_1)
	v_lshlrev_b32_e32 v1, 2, v1
	ds_store_b32 v1, v16
	s_or_b32 exec_lo, exec_lo, s12
	s_and_saveexec_b32 s12, s11
	s_cbranch_execnz .LBB965_156
.LBB965_129:
	s_or_b32 exec_lo, exec_lo, s12
	s_and_saveexec_b32 s11, s10
	s_cbranch_execz .LBB965_157
.LBB965_130:
	v_sub_nc_u32_e32 v1, v28, v4
	s_delay_alu instid0(VALU_DEP_1)
	v_lshlrev_b32_e32 v1, 2, v1
	ds_store_b32 v1, v14
	s_or_b32 exec_lo, exec_lo, s11
	s_and_saveexec_b32 s10, s9
	s_cbranch_execnz .LBB965_158
.LBB965_131:
	s_or_b32 exec_lo, exec_lo, s10
	s_and_saveexec_b32 s9, s8
	s_cbranch_execz .LBB965_159
.LBB965_132:
	v_sub_nc_u32_e32 v1, v24, v4
	s_delay_alu instid0(VALU_DEP_1)
	v_lshlrev_b32_e32 v1, 2, v1
	ds_store_b32 v1, v12
	s_or_b32 exec_lo, exec_lo, s9
	s_and_saveexec_b32 s8, s7
	s_cbranch_execnz .LBB965_160
.LBB965_133:
	s_or_b32 exec_lo, exec_lo, s8
	s_and_saveexec_b32 s7, s6
	s_cbranch_execz .LBB965_161
.LBB965_134:
	v_sub_nc_u32_e32 v1, v50, v4
	s_delay_alu instid0(VALU_DEP_1)
	v_lshlrev_b32_e32 v1, 2, v1
	ds_store_b32 v1, v10
	s_or_b32 exec_lo, exec_lo, s7
	s_and_saveexec_b32 s6, s5
	s_cbranch_execnz .LBB965_162
.LBB965_135:
	s_or_b32 exec_lo, exec_lo, s6
	s_and_saveexec_b32 s5, s4
	s_cbranch_execz .LBB965_163
.LBB965_136:
	v_sub_nc_u32_e32 v1, v36, v4
	s_delay_alu instid0(VALU_DEP_1)
	v_lshlrev_b32_e32 v1, 2, v1
	ds_store_b32 v1, v8
	s_or_b32 exec_lo, exec_lo, s5
	s_and_saveexec_b32 s4, s3
	s_cbranch_execnz .LBB965_164
.LBB965_137:
	s_or_b32 exec_lo, exec_lo, s4
	s_and_saveexec_b32 s3, s1
	s_cbranch_execz .LBB965_165
.LBB965_138:
	v_sub_nc_u32_e32 v1, v34, v4
	s_delay_alu instid0(VALU_DEP_1)
	v_lshlrev_b32_e32 v1, 2, v1
	ds_store_b32 v1, v6
	s_or_b32 exec_lo, exec_lo, s3
	s_and_saveexec_b32 s1, s0
	s_cbranch_execnz .LBB965_166
	s_branch .LBB965_167
.LBB965_139:
	s_mov_b32 s45, 0
                                        ; implicit-def: $sgpr0
                                        ; implicit-def: $vgpr60
                                        ; implicit-def: $vgpr53
                                        ; implicit-def: $vgpr54
                                        ; implicit-def: $vgpr55
                                        ; implicit-def: $vgpr56
                                        ; implicit-def: $vgpr57
                                        ; implicit-def: $vgpr58
                                        ; implicit-def: $vgpr59
                                        ; implicit-def: $vgpr61
                                        ; implicit-def: $vgpr62
                                        ; implicit-def: $vgpr63
                                        ; implicit-def: $vgpr64
                                        ; implicit-def: $vgpr65
                                        ; implicit-def: $vgpr66
	s_cbranch_execz .LBB965_73
; %bb.140:
	v_cmp_ne_u32_e32 vcc_lo, v7, v52
	v_lshlrev_b32_e32 v3, 2, v0
                                        ; implicit-def: $sgpr0
	v_cndmask_b32_e64 v60, 0, 1, vcc_lo
	v_cmp_ne_u32_e32 vcc_lo, v6, v7
	ds_store_b32 v3, v52
	s_waitcnt lgkmcnt(0)
	s_barrier
	buffer_gl0_inv
	v_cndmask_b32_e64 v53, 0, 1, vcc_lo
	v_cmp_ne_u32_e32 vcc_lo, v9, v6
	v_cndmask_b32_e64 v54, 0, 1, vcc_lo
	v_cmp_ne_u32_e32 vcc_lo, v8, v9
	v_cndmask_b32_e64 v55, 0, 1, vcc_lo
	v_cmp_ne_u32_e32 vcc_lo, v11, v8
	v_cndmask_b32_e64 v56, 0, 1, vcc_lo
	v_cmp_ne_u32_e32 vcc_lo, v10, v11
	v_cndmask_b32_e64 v57, 0, 1, vcc_lo
	v_cmp_ne_u32_e32 vcc_lo, v13, v10
	v_cndmask_b32_e64 v58, 0, 1, vcc_lo
	v_cmp_ne_u32_e32 vcc_lo, v12, v13
	v_cndmask_b32_e64 v59, 0, 1, vcc_lo
	v_cmp_ne_u32_e32 vcc_lo, v15, v12
	v_cndmask_b32_e64 v61, 0, 1, vcc_lo
	v_cmp_ne_u32_e32 vcc_lo, v14, v15
	v_cndmask_b32_e64 v62, 0, 1, vcc_lo
	v_cmp_ne_u32_e32 vcc_lo, v17, v14
	v_cndmask_b32_e64 v63, 0, 1, vcc_lo
	v_cmp_ne_u32_e32 vcc_lo, v16, v17
	v_cndmask_b32_e64 v64, 0, 1, vcc_lo
	v_cmp_ne_u32_e32 vcc_lo, v19, v16
	v_cndmask_b32_e64 v65, 0, 1, vcc_lo
	v_cmp_ne_u32_e32 vcc_lo, v18, v19
	v_cndmask_b32_e64 v66, 0, 1, vcc_lo
	s_and_saveexec_b32 s1, s3
	s_delay_alu instid0(SALU_CYCLE_1)
	s_xor_b32 s1, exec_lo, s1
	s_cbranch_execz .LBB965_142
; %bb.141:
	v_add_nc_u32_e32 v3, -4, v3
	s_or_b32 s45, s45, exec_lo
	ds_load_b32 v3, v3
	s_waitcnt lgkmcnt(0)
	v_cmp_ne_u32_e32 vcc_lo, v3, v18
	s_and_b32 s0, vcc_lo, exec_lo
.LBB965_142:
	s_or_b32 exec_lo, exec_lo, s1
	s_mov_b32 s1, 1
	s_branch .LBB965_75
.LBB965_143:
	s_mul_hi_u32 s0, s18, 0xfffff100
	s_mul_i32 s1, s19, 0xfffff100
	s_sub_i32 s0, s0, s18
	s_mul_i32 s4, s18, 0xfffff100
	s_add_i32 s0, s0, s1
	s_add_u32 s28, s4, s40
	s_addc_u32 s29, s0, s41
	s_and_b32 vcc_lo, exec_lo, s15
	s_cbranch_vccz .LBB965_150
; %bb.144:
	v_add_co_u32 v2, vcc_lo, -4, v2
	v_add_co_ci_u32_e32 v3, vcc_lo, -1, v1, vcc_lo
	v_mad_u32_u24 v1, v0, 15, 14
	v_cmp_ne_u32_e64 s8, v7, v52
	v_cmp_ne_u32_e64 s10, v9, v6
	flat_load_b32 v5, v[2:3]
	v_mov_b32_e32 v2, 0
	v_cmp_ne_u32_e64 s12, v11, v8
	v_cmp_ne_u32_e64 s11, v8, v9
	v_lshlrev_b32_e32 v4, 2, v0
	v_mul_u32_u24_e32 v3, 15, v0
	v_cmp_gt_u64_e32 vcc_lo, s[28:29], v[1:2]
	v_mad_u32_u24 v1, v0, 15, 13
	s_mov_b32 s45, -1
	s_mov_b32 s14, 0
	ds_store_b32 v4, v52
	s_waitcnt vmcnt(0) lgkmcnt(0)
	v_cmp_gt_u64_e64 s0, s[28:29], v[1:2]
	v_mad_u32_u24 v1, v0, 15, 12
	s_and_b32 s15, vcc_lo, s8
	v_cmp_ne_u32_e64 s8, v6, v7
	s_barrier
	buffer_gl0_inv
	v_cmp_gt_u64_e64 s1, s[28:29], v[1:2]
	v_mad_u32_u24 v1, v0, 15, 11
	s_and_b32 s16, s0, s8
	v_cmp_ne_u32_e64 s8, v15, v12
	s_delay_alu instid0(VALU_DEP_2) | instskip(SKIP_3) | instid1(VALU_DEP_2)
	v_cmp_gt_u64_e64 s4, s[28:29], v[1:2]
	v_mad_u32_u24 v1, v0, 15, 10
	s_and_b32 s17, s1, s10
	v_cmp_ne_u32_e64 s1, v10, v11
	v_cmp_gt_u64_e64 s5, s[28:29], v[1:2]
	v_mad_u32_u24 v1, v0, 15, 9
	s_and_b32 s11, s4, s11
	v_cmp_ne_u32_e64 s4, v13, v10
	s_delay_alu instid0(VALU_DEP_2) | instskip(SKIP_3) | instid1(VALU_DEP_2)
	v_cmp_gt_u64_e64 s6, s[28:29], v[1:2]
	v_mad_u32_u24 v1, v0, 15, 8
	s_and_b32 s12, s5, s12
	v_cmp_ne_u32_e64 s5, v12, v13
	v_cmp_gt_u64_e64 s7, s[28:29], v[1:2]
	v_mad_u32_u24 v1, v0, 15, 7
	s_and_b32 s18, s6, s1
	v_cmp_ne_u32_e64 s1, v14, v15
	v_cmp_ne_u32_e64 s6, v19, v16
	s_delay_alu instid0(VALU_DEP_3) | instskip(SKIP_3) | instid1(VALU_DEP_2)
	v_cmp_gt_u64_e64 s9, s[28:29], v[1:2]
	v_mad_u32_u24 v1, v0, 15, 6
	s_and_b32 s19, s7, s4
	v_cmp_ne_u32_e64 s4, v17, v14
	v_cmp_gt_u64_e32 vcc_lo, s[28:29], v[1:2]
	v_mad_u32_u24 v1, v0, 15, 5
	s_and_b32 s20, s9, s5
	v_cmp_ne_u32_e64 s5, v16, v17
	s_delay_alu instid0(VALU_DEP_2) | instskip(SKIP_3) | instid1(VALU_DEP_2)
	v_cmp_gt_u64_e64 s13, s[28:29], v[1:2]
	v_mad_u32_u24 v1, v0, 15, 4
	s_and_b32 s9, vcc_lo, s8
	v_cmp_ne_u32_e64 s8, v18, v19
	v_cmp_gt_u64_e64 s0, s[28:29], v[1:2]
	v_mad_u32_u24 v1, v0, 15, 3
	s_and_b32 s13, s13, s1
	s_delay_alu instid0(VALU_DEP_1) | instskip(SKIP_1) | instid1(VALU_DEP_4)
	v_cmp_gt_u64_e64 s10, s[28:29], v[1:2]
	v_mad_u32_u24 v1, v0, 15, 2
	s_and_b32 s0, s0, s4
	s_delay_alu instid0(VALU_DEP_1) | instskip(SKIP_1) | instid1(VALU_DEP_4)
	v_cmp_gt_u64_e32 vcc_lo, s[28:29], v[1:2]
	v_mad_u32_u24 v1, v0, 15, 1
	s_and_b32 s5, s10, s5
	s_delay_alu instid0(VALU_DEP_1) | instskip(SKIP_1) | instid1(VALU_DEP_1)
	v_cmp_gt_u64_e64 s7, s[28:29], v[1:2]
	s_and_b32 s1, vcc_lo, s6
	s_and_b32 s4, s7, s8
	s_and_saveexec_b32 s6, s3
	s_cbranch_execz .LBB965_146
; %bb.145:
	v_add_nc_u32_e32 v1, -4, v4
	ds_load_b32 v5, v1
.LBB965_146:
	s_or_b32 exec_lo, exec_lo, s6
	v_mov_b32_e32 v4, v2
	v_cndmask_b32_e64 v63, 0, 1, s0
	s_waitcnt lgkmcnt(0)
	v_cmp_ne_u32_e64 s0, v5, v18
	v_cndmask_b32_e64 v60, 0, 1, s15
	v_cndmask_b32_e64 v53, 0, 1, s16
	v_cmp_gt_u64_e32 vcc_lo, s[28:29], v[3:4]
	v_cndmask_b32_e64 v54, 0, 1, s17
	v_cndmask_b32_e64 v55, 0, 1, s11
	;; [unrolled: 1-line block ×11, first 2 shown]
	s_and_b32 s0, vcc_lo, s0
	s_and_b32 vcc_lo, exec_lo, s14
	s_cbranch_vccnz .LBB965_151
.LBB965_147:
                                        ; implicit-def: $sgpr1
	v_mov_b32_e32 v83, s1
	s_and_saveexec_b32 s1, s45
	s_cbranch_execnz .LBB965_76
	s_branch .LBB965_77
.LBB965_148:
	s_and_not1_saveexec_b32 s0, s15
	s_cbranch_execz .LBB965_168
.LBB965_149:
	v_sub_nc_u32_e32 v1, v48, v4
	v_sub_nc_u32_e32 v3, v44, v4
	;; [unrolled: 1-line block ×4, first 2 shown]
	s_or_b32 s17, s17, exec_lo
	v_lshlrev_b32_e32 v1, 2, v1
	v_lshlrev_b32_e32 v3, 2, v3
	v_lshlrev_b32_e32 v5, 2, v5
	v_lshlrev_b32_e32 v67, 2, v67
	ds_store_b32 v1, v18
	ds_store_b32 v3, v19
	;; [unrolled: 1-line block ×3, first 2 shown]
	v_sub_nc_u32_e32 v1, v28, v4
	v_sub_nc_u32_e32 v3, v26, v4
	;; [unrolled: 1-line block ×4, first 2 shown]
	ds_store_b32 v67, v17
	v_lshlrev_b32_e32 v1, 2, v1
	v_sub_nc_u32_e32 v17, v50, v4
	v_lshlrev_b32_e32 v3, 2, v3
	v_lshlrev_b32_e32 v5, 2, v5
	;; [unrolled: 1-line block ×3, first 2 shown]
	ds_store_b32 v1, v14
	v_lshlrev_b32_e32 v1, 2, v17
	ds_store_b32 v3, v15
	ds_store_b32 v5, v12
	;; [unrolled: 1-line block ×3, first 2 shown]
	v_sub_nc_u32_e32 v3, v38, v4
	v_sub_nc_u32_e32 v12, v30, v4
	;; [unrolled: 1-line block ×3, first 2 shown]
	ds_store_b32 v1, v10
	v_sub_nc_u32_e32 v1, v36, v4
	v_lshlrev_b32_e32 v3, 2, v3
	v_sub_nc_u32_e32 v10, v34, v4
	v_lshlrev_b32_e32 v5, 2, v5
	s_delay_alu instid0(VALU_DEP_4)
	v_lshlrev_b32_e32 v1, 2, v1
	ds_store_b32 v3, v11
	v_lshlrev_b32_e32 v3, 2, v12
	v_lshlrev_b32_e32 v10, 2, v10
	ds_store_b32 v1, v8
	ds_store_b32 v5, v9
	;; [unrolled: 1-line block ×4, first 2 shown]
	s_or_b32 exec_lo, exec_lo, s0
	s_delay_alu instid0(SALU_CYCLE_1)
	s_and_b32 exec_lo, exec_lo, s17
	s_cbranch_execnz .LBB965_169
	s_branch .LBB965_170
.LBB965_150:
                                        ; implicit-def: $sgpr0
                                        ; implicit-def: $vgpr60
                                        ; implicit-def: $vgpr53
                                        ; implicit-def: $vgpr54
                                        ; implicit-def: $vgpr55
                                        ; implicit-def: $vgpr56
                                        ; implicit-def: $vgpr57
                                        ; implicit-def: $vgpr58
                                        ; implicit-def: $vgpr59
                                        ; implicit-def: $vgpr61
                                        ; implicit-def: $vgpr62
                                        ; implicit-def: $vgpr63
                                        ; implicit-def: $vgpr64
                                        ; implicit-def: $vgpr65
                                        ; implicit-def: $vgpr66
	s_cbranch_execz .LBB965_147
.LBB965_151:
	v_mad_u32_u24 v1, v0, 15, 14
	v_dual_mov_b32 v2, 0 :: v_dual_lshlrev_b32 v3, 2, v0
	v_cmp_ne_u32_e64 s7, v6, v7
	v_cmp_ne_u32_e64 s6, v7, v52
	;; [unrolled: 1-line block ×3, first 2 shown]
	s_delay_alu instid0(VALU_DEP_4)
	v_cmp_gt_u64_e32 vcc_lo, s[28:29], v[1:2]
	v_mad_u32_u24 v1, v0, 15, 13
	v_cmp_ne_u32_e64 s10, v8, v9
	v_cmp_ne_u32_e64 s11, v11, v8
	;; [unrolled: 1-line block ×4, first 2 shown]
	v_cmp_gt_u64_e64 s0, s[28:29], v[1:2]
	v_mad_u32_u24 v1, v0, 15, 12
	s_and_b32 s6, vcc_lo, s6
	v_cmp_ne_u32_e64 s15, v12, v13
	v_cmp_ne_u32_e64 s16, v15, v12
	;; [unrolled: 1-line block ×3, first 2 shown]
	v_cmp_gt_u64_e64 s1, s[28:29], v[1:2]
	v_mad_u32_u24 v1, v0, 15, 11
	s_and_b32 s0, s0, s7
	v_cmp_ne_u32_e64 s18, v17, v14
	v_cndmask_b32_e64 v53, 0, 1, s0
	v_cmp_ne_u32_e64 s20, v16, v17
	v_cmp_gt_u64_e64 s4, s[28:29], v[1:2]
	v_mad_u32_u24 v1, v0, 15, 10
	s_and_b32 s0, s1, s8
	v_cmp_ne_u32_e64 s21, v19, v16
	v_cndmask_b32_e64 v54, 0, 1, s0
	v_cmp_ne_u32_e64 s22, v18, v19
	v_cmp_gt_u64_e64 s5, s[28:29], v[1:2]
	v_mad_u32_u24 v1, v0, 15, 9
	s_and_b32 s0, s4, s10
	v_cndmask_b32_e64 v60, 0, 1, s6
	v_cndmask_b32_e64 v55, 0, 1, s0
	ds_store_b32 v3, v52
	v_cmp_gt_u64_e64 s9, s[28:29], v[1:2]
	v_mad_u32_u24 v1, v0, 15, 8
	s_and_b32 s1, s5, s11
	s_waitcnt lgkmcnt(0)
	v_cndmask_b32_e64 v56, 0, 1, s1
	s_barrier
	v_cmp_gt_u64_e64 s14, s[28:29], v[1:2]
	v_mad_u32_u24 v1, v0, 15, 7
	s_and_b32 s1, s9, s12
	buffer_gl0_inv
	v_cndmask_b32_e64 v57, 0, 1, s1
	v_cmp_gt_u64_e64 s19, s[28:29], v[1:2]
	v_mad_u32_u24 v1, v0, 15, 6
	s_and_b32 s4, s14, s13
	s_delay_alu instid0(SALU_CYCLE_1) | instskip(NEXT) | instid1(VALU_DEP_2)
	v_cndmask_b32_e64 v58, 0, 1, s4
	v_cmp_gt_u64_e64 s23, s[28:29], v[1:2]
	v_mad_u32_u24 v1, v0, 15, 5
	s_and_b32 s4, s19, s15
	s_delay_alu instid0(SALU_CYCLE_1) | instskip(NEXT) | instid1(VALU_DEP_2)
	v_cndmask_b32_e64 v59, 0, 1, s4
	v_cmp_gt_u64_e32 vcc_lo, s[28:29], v[1:2]
	v_mad_u32_u24 v1, v0, 15, 4
	s_and_b32 s5, s23, s16
	s_delay_alu instid0(SALU_CYCLE_1) | instskip(NEXT) | instid1(VALU_DEP_2)
	v_cndmask_b32_e64 v61, 0, 1, s5
	v_cmp_gt_u64_e64 s0, s[28:29], v[1:2]
	v_mad_u32_u24 v1, v0, 15, 3
	s_and_b32 s5, vcc_lo, s17
	s_delay_alu instid0(SALU_CYCLE_1) | instskip(NEXT) | instid1(VALU_DEP_2)
	v_cndmask_b32_e64 v62, 0, 1, s5
	v_cmp_gt_u64_e64 s1, s[28:29], v[1:2]
	v_mad_u32_u24 v1, v0, 15, 2
	s_and_b32 s0, s0, s18
	s_delay_alu instid0(SALU_CYCLE_1) | instskip(NEXT) | instid1(VALU_DEP_2)
	v_cndmask_b32_e64 v63, 0, 1, s0
	v_cmp_gt_u64_e64 s4, s[28:29], v[1:2]
	v_mad_u32_u24 v1, v0, 15, 1
	s_and_b32 s0, s1, s20
	s_mov_b32 s1, 1
	v_cndmask_b32_e64 v64, 0, 1, s0
	s_delay_alu instid0(VALU_DEP_2) | instskip(SKIP_1) | instid1(SALU_CYCLE_1)
	v_cmp_gt_u64_e32 vcc_lo, s[28:29], v[1:2]
	s_and_b32 s0, s4, s21
	v_cndmask_b32_e64 v65, 0, 1, s0
	s_and_b32 s0, vcc_lo, s22
	s_delay_alu instid0(SALU_CYCLE_1)
	v_cndmask_b32_e64 v66, 0, 1, s0
                                        ; implicit-def: $sgpr0
	s_and_saveexec_b32 s4, s3
	s_cbranch_execz .LBB965_209
; %bb.152:
	v_add_nc_u32_e32 v1, -4, v3
	s_or_b32 s45, s45, exec_lo
	ds_load_b32 v3, v1
	v_mul_u32_u24_e32 v1, 15, v0
	s_delay_alu instid0(VALU_DEP_1) | instskip(SKIP_2) | instid1(VALU_DEP_1)
	v_cmp_gt_u64_e32 vcc_lo, s[28:29], v[1:2]
	s_waitcnt lgkmcnt(0)
	v_cmp_ne_u32_e64 s0, v3, v18
	s_and_b32 s0, vcc_lo, s0
	s_delay_alu instid0(SALU_CYCLE_1)
	s_and_b32 s0, s0, exec_lo
	s_or_b32 exec_lo, exec_lo, s4
	v_mov_b32_e32 v83, s1
	s_and_saveexec_b32 s1, s45
	s_cbranch_execz .LBB965_77
	s_branch .LBB965_76
.LBB965_153:
	s_or_b32 exec_lo, exec_lo, s17
	s_and_saveexec_b32 s12, s14
	s_cbranch_execz .LBB965_127
.LBB965_154:
	v_sub_nc_u32_e32 v1, v44, v4
	s_delay_alu instid0(VALU_DEP_1)
	v_lshlrev_b32_e32 v1, 2, v1
	ds_store_b32 v1, v19
	s_or_b32 exec_lo, exec_lo, s12
	s_and_saveexec_b32 s12, s13
	s_cbranch_execnz .LBB965_128
.LBB965_155:
	s_or_b32 exec_lo, exec_lo, s12
	s_and_saveexec_b32 s12, s11
	s_cbranch_execz .LBB965_129
.LBB965_156:
	v_sub_nc_u32_e32 v1, v40, v4
	s_delay_alu instid0(VALU_DEP_1)
	v_lshlrev_b32_e32 v1, 2, v1
	ds_store_b32 v1, v17
	s_or_b32 exec_lo, exec_lo, s12
	s_and_saveexec_b32 s11, s10
	s_cbranch_execnz .LBB965_130
.LBB965_157:
	s_or_b32 exec_lo, exec_lo, s11
	s_and_saveexec_b32 s10, s9
	s_cbranch_execz .LBB965_131
.LBB965_158:
	v_sub_nc_u32_e32 v1, v26, v4
	s_delay_alu instid0(VALU_DEP_1)
	v_lshlrev_b32_e32 v1, 2, v1
	ds_store_b32 v1, v15
	s_or_b32 exec_lo, exec_lo, s10
	s_and_saveexec_b32 s9, s8
	s_cbranch_execnz .LBB965_132
.LBB965_159:
	s_or_b32 exec_lo, exec_lo, s9
	s_and_saveexec_b32 s8, s7
	s_cbranch_execz .LBB965_133
.LBB965_160:
	v_sub_nc_u32_e32 v1, v46, v4
	s_delay_alu instid0(VALU_DEP_1)
	v_lshlrev_b32_e32 v1, 2, v1
	ds_store_b32 v1, v13
	s_or_b32 exec_lo, exec_lo, s8
	s_and_saveexec_b32 s7, s6
	s_cbranch_execnz .LBB965_134
.LBB965_161:
	s_or_b32 exec_lo, exec_lo, s7
	s_and_saveexec_b32 s6, s5
	s_cbranch_execz .LBB965_135
.LBB965_162:
	v_sub_nc_u32_e32 v1, v38, v4
	s_delay_alu instid0(VALU_DEP_1)
	v_lshlrev_b32_e32 v1, 2, v1
	ds_store_b32 v1, v11
	s_or_b32 exec_lo, exec_lo, s6
	s_and_saveexec_b32 s5, s4
	s_cbranch_execnz .LBB965_136
.LBB965_163:
	s_or_b32 exec_lo, exec_lo, s5
	s_and_saveexec_b32 s4, s3
	s_cbranch_execz .LBB965_137
.LBB965_164:
	v_sub_nc_u32_e32 v1, v32, v4
	s_delay_alu instid0(VALU_DEP_1)
	v_lshlrev_b32_e32 v1, 2, v1
	ds_store_b32 v1, v9
	s_or_b32 exec_lo, exec_lo, s4
	s_and_saveexec_b32 s3, s1
	s_cbranch_execnz .LBB965_138
.LBB965_165:
	s_or_b32 exec_lo, exec_lo, s3
	s_and_saveexec_b32 s1, s0
	s_cbranch_execz .LBB965_167
.LBB965_166:
	v_sub_nc_u32_e32 v1, v30, v4
	s_delay_alu instid0(VALU_DEP_1)
	v_lshlrev_b32_e32 v1, 2, v1
	ds_store_b32 v1, v7
.LBB965_167:
	s_or_b32 exec_lo, exec_lo, s1
	s_delay_alu instid0(SALU_CYCLE_1)
	s_and_b32 s17, vcc_lo, exec_lo
                                        ; implicit-def: $vgpr18
                                        ; implicit-def: $vgpr16
                                        ; implicit-def: $vgpr14
                                        ; implicit-def: $vgpr12
                                        ; implicit-def: $vgpr10
                                        ; implicit-def: $vgpr8
                                        ; implicit-def: $vgpr6
	s_and_not1_saveexec_b32 s0, s15
	s_cbranch_execnz .LBB965_149
.LBB965_168:
	s_or_b32 exec_lo, exec_lo, s0
	s_delay_alu instid0(SALU_CYCLE_1)
	s_and_b32 exec_lo, exec_lo, s17
	s_cbranch_execz .LBB965_170
.LBB965_169:
	v_sub_nc_u32_e32 v1, v22, v4
	s_delay_alu instid0(VALU_DEP_1)
	v_lshlrev_b32_e32 v1, 2, v1
	ds_store_b32 v1, v52
.LBB965_170:
	s_or_b32 exec_lo, exec_lo, s16
	s_waitcnt vmcnt(0) lgkmcnt(0)
	s_barrier
	buffer_gl0_inv
.LBB965_171:
	s_cmpk_lg_i32 s31, 0xf00
	v_mad_i32_i24 v7, v0, -15, s31
	s_cselect_b32 s0, -1, 0
	s_and_b32 s1, s2, s33
	s_and_b32 s0, s0, s30
	v_cndmask_b32_e64 v8, v83, 0, s1
	v_cndmask_b32_e64 v6, 0, 1, s0
	s_mul_hi_u32 s0, s31, 0x88888889
	v_cndmask_b32_e64 v1, 0, 1, s33
	s_lshr_b32 s0, s0, 3
	s_mov_b32 s16, -1
	v_cmp_eq_u32_e32 vcc_lo, s0, v0
	v_cmp_ne_u32_e64 s0, 0, v7
	v_sub_nc_u32_e32 v3, v2, v1
	s_waitcnt vmcnt(0)
	s_barrier
	s_and_b32 vcc_lo, vcc_lo, s30
	v_cndmask_b32_e64 v9, 1, v8, s0
	v_cmp_ne_u32_e64 s0, 1, v7
	v_mov_b32_e32 v5, 0
	buffer_gl0_inv
	v_cndmask_b32_e32 v16, v8, v9, vcc_lo
	v_cndmask_b32_e64 v10, 1, v66, s0
	v_cmp_ne_u32_e64 s0, 2, v7
	s_delay_alu instid0(VALU_DEP_3) | instskip(NEXT) | instid1(VALU_DEP_3)
	v_cmp_ne_u32_e64 s14, 0, v16
	v_cndmask_b32_e32 v17, v66, v10, vcc_lo
	s_delay_alu instid0(VALU_DEP_3) | instskip(SKIP_1) | instid1(VALU_DEP_2)
	v_cndmask_b32_e64 v11, 1, v65, s0
	v_cmp_ne_u32_e64 s0, 14, v7
	v_dual_cndmask_b32 v18, v65, v11 :: v_dual_add_nc_u32 v3, v3, v6
	s_delay_alu instid0(VALU_DEP_2) | instskip(SKIP_1) | instid1(VALU_DEP_3)
	v_cndmask_b32_e64 v12, 1, v60, s0
	v_cmp_ne_u32_e64 s0, 3, v7
	v_cmp_ne_u32_e64 s12, 0, v18
	s_delay_alu instid0(VALU_DEP_2) | instskip(SKIP_1) | instid1(VALU_DEP_1)
	v_cndmask_b32_e64 v13, 1, v64, s0
	v_cmp_ne_u32_e64 s0, 4, v7
	v_cndmask_b32_e64 v14, 1, v63, s0
	v_cmp_ne_u32_e64 s0, 5, v7
	s_delay_alu instid0(VALU_DEP_2) | instskip(NEXT) | instid1(VALU_DEP_2)
	v_dual_cndmask_b32 v15, v60, v12 :: v_dual_cndmask_b32 v14, v63, v14
	v_cndmask_b32_e64 v8, 1, v62, s0
	v_cmp_ne_u32_e64 s0, 6, v7
	s_delay_alu instid0(VALU_DEP_3) | instskip(NEXT) | instid1(VALU_DEP_3)
	v_cmp_ne_u32_e64 s10, 0, v14
	v_cndmask_b32_e32 v62, v62, v8, vcc_lo
	s_delay_alu instid0(VALU_DEP_3) | instskip(SKIP_1) | instid1(VALU_DEP_2)
	v_cndmask_b32_e64 v9, 1, v61, s0
	v_cmp_eq_u32_e64 s0, 0, v16
	v_cndmask_b32_e32 v61, v61, v9, vcc_lo
	s_delay_alu instid0(VALU_DEP_2) | instskip(SKIP_1) | instid1(VALU_DEP_3)
	v_cndmask_b32_e64 v10, 1, 2, s0
	v_cmp_eq_u32_e64 s0, 0, v17
	v_cmp_ne_u32_e64 s8, 0, v61
	s_delay_alu instid0(VALU_DEP_2) | instskip(SKIP_1) | instid1(VALU_DEP_2)
	v_cndmask_b32_e64 v12, 1, 2, s0
	v_cmp_ne_u32_e64 s0, 7, v7
	v_and_b32_e32 v10, v12, v10
	s_delay_alu instid0(VALU_DEP_2) | instskip(SKIP_1) | instid1(VALU_DEP_2)
	v_cndmask_b32_e64 v11, 1, v59, s0
	v_cmp_eq_u32_e64 s0, 0, v18
	v_cndmask_b32_e32 v59, v59, v11, vcc_lo
	s_delay_alu instid0(VALU_DEP_2) | instskip(SKIP_2) | instid1(VALU_DEP_4)
	v_cndmask_b32_e64 v12, 1, 2, s0
	v_cmp_ne_u32_e64 s0, 8, v7
	v_cndmask_b32_e32 v13, v64, v13, vcc_lo
	v_cmp_ne_u32_e64 s7, 0, v59
	s_delay_alu instid0(VALU_DEP_4) | instskip(NEXT) | instid1(VALU_DEP_4)
	v_and_b32_e32 v10, v10, v12
	v_cndmask_b32_e64 v19, 1, v58, s0
	v_cmp_ne_u32_e64 s0, 9, v7
	v_cmp_ne_u32_e64 s11, 0, v13
	s_delay_alu instid0(VALU_DEP_3) | instskip(NEXT) | instid1(VALU_DEP_3)
	v_cndmask_b32_e32 v19, v58, v19, vcc_lo
	v_cndmask_b32_e64 v52, 1, v57, s0
	v_cmp_eq_u32_e64 s0, 0, v13
	s_delay_alu instid0(VALU_DEP_3) | instskip(NEXT) | instid1(VALU_DEP_3)
	v_cmp_ne_u32_e64 s6, 0, v19
	v_cndmask_b32_e32 v52, v57, v52, vcc_lo
	s_delay_alu instid0(VALU_DEP_3) | instskip(SKIP_1) | instid1(VALU_DEP_2)
	v_cndmask_b32_e64 v12, 1, 2, s0
	v_cmp_ne_u32_e64 s0, 10, v7
	v_and_b32_e32 v8, v10, v12
	s_delay_alu instid0(VALU_DEP_2) | instskip(SKIP_1) | instid1(VALU_DEP_2)
	v_cndmask_b32_e64 v60, 1, v56, s0
	v_cmp_eq_u32_e64 s0, 0, v14
	v_cndmask_b32_e32 v56, v56, v60, vcc_lo
	s_delay_alu instid0(VALU_DEP_2) | instskip(SKIP_2) | instid1(VALU_DEP_4)
	v_cndmask_b32_e64 v10, 1, 2, s0
	v_cmp_ne_u32_e64 s0, 11, v7
	v_cmp_ne_u32_e64 s13, 0, v17
	;; [unrolled: 1-line block ×3, first 2 shown]
	s_delay_alu instid0(VALU_DEP_3) | instskip(SKIP_1) | instid1(VALU_DEP_2)
	v_cndmask_b32_e64 v12, 1, v55, s0
	v_cmp_ne_u32_e64 s0, 13, v7
	v_dual_cndmask_b32 v55, v55, v12 :: v_dual_and_b32 v8, v8, v10
	s_delay_alu instid0(VALU_DEP_2) | instskip(NEXT) | instid1(VALU_DEP_2)
	v_cndmask_b32_e64 v63, 1, v53, s0
	v_cmp_ne_u32_e64 s3, 0, v55
	s_delay_alu instid0(VALU_DEP_2) | instskip(SKIP_2) | instid1(VALU_DEP_3)
	v_cndmask_b32_e32 v53, v53, v63, vcc_lo
	v_cmp_eq_u32_e64 s0, 0, v62
	v_cmp_ne_u32_e64 s9, 0, v62
	v_cmp_ne_u32_e64 s1, 0, v53
	s_delay_alu instid0(VALU_DEP_3) | instskip(SKIP_1) | instid1(VALU_DEP_2)
	v_cndmask_b32_e64 v10, 1, 2, s0
	v_cmp_ne_u32_e64 s0, 12, v7
	v_and_b32_e32 v8, v8, v10
	s_delay_alu instid0(VALU_DEP_2) | instskip(SKIP_1) | instid1(VALU_DEP_1)
	v_cndmask_b32_e64 v7, 1, v54, s0
	v_cmp_eq_u32_e64 s0, 0, v61
	v_cndmask_b32_e64 v9, 1, 2, s0
	v_cmp_eq_u32_e64 s0, 0, v59
	s_delay_alu instid0(VALU_DEP_4) | instskip(SKIP_1) | instid1(VALU_DEP_4)
	v_cndmask_b32_e32 v54, v54, v7, vcc_lo
	v_cmp_eq_u32_e32 vcc_lo, 0, v19
	v_and_b32_e32 v11, v8, v9
	v_lshlrev_b64 v[7:8], 1, v[20:21]
	v_cndmask_b32_e64 v12, 1, 2, s0
	v_lshlrev_b64 v[9:10], 1, v[4:5]
	v_cmp_ne_u32_e64 s2, 0, v54
	v_cmp_ne_u32_e64 s0, 0, v15
	s_delay_alu instid0(VALU_DEP_4) | instskip(SKIP_4) | instid1(VALU_DEP_4)
	v_and_b32_e32 v5, v11, v12
	v_cndmask_b32_e64 v11, 1, 2, vcc_lo
	v_add_co_u32 v7, vcc_lo, s36, v7
	v_add_co_ci_u32_e32 v8, vcc_lo, s37, v8, vcc_lo
	v_cmp_eq_u32_e32 vcc_lo, 0, v52
	v_and_b32_e32 v5, v5, v11
	v_cndmask_b32_e64 v11, 1, 2, vcc_lo
	v_add_co_u32 v9, vcc_lo, v7, v9
	v_add_co_ci_u32_e32 v10, vcc_lo, v8, v10, vcc_lo
	v_lshlrev_b32_e32 v7, 1, v1
	v_cmp_eq_u32_e32 vcc_lo, 0, v56
	v_and_b32_e32 v5, v5, v11
	v_cmp_ne_u32_e64 s5, 0, v52
	v_cndmask_b32_e64 v8, 1, 2, vcc_lo
	v_add_co_u32 v7, vcc_lo, v7, v9
	v_add_co_ci_u32_e32 v12, vcc_lo, 0, v10, vcc_lo
	v_cmp_eq_u32_e32 vcc_lo, 0, v55
	s_delay_alu instid0(VALU_DEP_4)
	v_and_b32_e32 v8, v5, v8
	v_add_nc_u32_e32 v5, v4, v1
	v_cndmask_b32_e64 v57, 1, 2, vcc_lo
	v_add_co_u32 v11, vcc_lo, v7, -2
	v_add_co_ci_u32_e32 v12, vcc_lo, -1, v12, vcc_lo
	v_cmp_eq_u32_e32 vcc_lo, 0, v54
	s_delay_alu instid0(VALU_DEP_4) | instskip(SKIP_2) | instid1(VALU_DEP_2)
	v_and_b32_e32 v7, v8, v57
	v_cndmask_b32_e64 v8, 1, 2, vcc_lo
	v_cmp_eq_u32_e32 vcc_lo, 0, v53
	v_and_b32_e32 v7, v7, v8
	v_cndmask_b32_e64 v8, 1, 2, vcc_lo
	v_cmp_eq_u32_e32 vcc_lo, 0, v15
	s_delay_alu instid0(VALU_DEP_2) | instskip(SKIP_2) | instid1(VALU_DEP_2)
	v_and_b32_e32 v7, v7, v8
	v_cndmask_b32_e64 v8, 1, 2, vcc_lo
	v_cmp_gt_u32_e32 vcc_lo, 0x100, v3
	v_and_b32_e32 v7, v7, v8
	s_delay_alu instid0(VALU_DEP_1)
	v_cmp_gt_i16_e64 s15, 2, v7
	s_cbranch_vccz .LBB965_188
; %bb.172:
	s_delay_alu instid0(VALU_DEP_1)
	s_and_saveexec_b32 s16, s15
	s_cbranch_execz .LBB965_227
; %bb.173:
	s_mov_b32 s17, 0
	s_mov_b32 s15, exec_lo
	v_cmpx_ne_u16_e32 1, v7
	s_xor_b32 s15, exec_lo, s15
	s_cbranch_execz .LBB965_205
; %bb.174:
	s_and_saveexec_b32 s17, s14
	s_cbranch_execz .LBB965_210
; %bb.175:
	v_sub_nc_u32_e32 v13, v48, v5
	v_mov_b32_e32 v14, 0
	s_delay_alu instid0(VALU_DEP_1) | instskip(NEXT) | instid1(VALU_DEP_1)
	v_lshlrev_b64 v[13:14], 1, v[13:14]
	v_add_co_u32 v13, vcc_lo, v11, v13
	s_delay_alu instid0(VALU_DEP_2)
	v_add_co_ci_u32_e32 v14, vcc_lo, v12, v14, vcc_lo
	global_store_b16 v[13:14], v49, off
	s_or_b32 exec_lo, exec_lo, s17
	s_and_saveexec_b32 s17, s13
	s_cbranch_execnz .LBB965_211
.LBB965_176:
	s_or_b32 exec_lo, exec_lo, s17
	s_and_saveexec_b32 s17, s12
	s_cbranch_execz .LBB965_212
.LBB965_177:
	v_sub_nc_u32_e32 v13, v42, v5
	v_mov_b32_e32 v14, 0
	s_delay_alu instid0(VALU_DEP_1) | instskip(NEXT) | instid1(VALU_DEP_1)
	v_lshlrev_b64 v[13:14], 1, v[13:14]
	v_add_co_u32 v13, vcc_lo, v11, v13
	s_delay_alu instid0(VALU_DEP_2)
	v_add_co_ci_u32_e32 v14, vcc_lo, v12, v14, vcc_lo
	global_store_b16 v[13:14], v43, off
	s_or_b32 exec_lo, exec_lo, s17
	s_and_saveexec_b32 s17, s11
	s_cbranch_execnz .LBB965_213
.LBB965_178:
	s_or_b32 exec_lo, exec_lo, s17
	s_and_saveexec_b32 s17, s10
	s_cbranch_execz .LBB965_214
.LBB965_179:
	v_sub_nc_u32_e32 v13, v28, v5
	v_mov_b32_e32 v14, 0
	s_delay_alu instid0(VALU_DEP_1) | instskip(NEXT) | instid1(VALU_DEP_1)
	v_lshlrev_b64 v[13:14], 1, v[13:14]
	v_add_co_u32 v13, vcc_lo, v11, v13
	s_delay_alu instid0(VALU_DEP_2)
	v_add_co_ci_u32_e32 v14, vcc_lo, v12, v14, vcc_lo
	global_store_b16 v[13:14], v29, off
	s_or_b32 exec_lo, exec_lo, s17
	s_and_saveexec_b32 s17, s9
	s_cbranch_execnz .LBB965_215
.LBB965_180:
	s_or_b32 exec_lo, exec_lo, s17
	s_and_saveexec_b32 s17, s8
	s_cbranch_execz .LBB965_216
.LBB965_181:
	v_sub_nc_u32_e32 v13, v24, v5
	v_mov_b32_e32 v14, 0
	s_delay_alu instid0(VALU_DEP_1) | instskip(NEXT) | instid1(VALU_DEP_1)
	v_lshlrev_b64 v[13:14], 1, v[13:14]
	v_add_co_u32 v13, vcc_lo, v11, v13
	s_delay_alu instid0(VALU_DEP_2)
	v_add_co_ci_u32_e32 v14, vcc_lo, v12, v14, vcc_lo
	global_store_b16 v[13:14], v25, off
	s_or_b32 exec_lo, exec_lo, s17
	s_and_saveexec_b32 s17, s7
	s_cbranch_execnz .LBB965_217
.LBB965_182:
	s_or_b32 exec_lo, exec_lo, s17
	s_and_saveexec_b32 s17, s6
	s_cbranch_execz .LBB965_218
.LBB965_183:
	v_sub_nc_u32_e32 v13, v50, v5
	v_mov_b32_e32 v14, 0
	s_delay_alu instid0(VALU_DEP_1) | instskip(NEXT) | instid1(VALU_DEP_1)
	v_lshlrev_b64 v[13:14], 1, v[13:14]
	v_add_co_u32 v13, vcc_lo, v11, v13
	s_delay_alu instid0(VALU_DEP_2)
	v_add_co_ci_u32_e32 v14, vcc_lo, v12, v14, vcc_lo
	global_store_b16 v[13:14], v51, off
	s_or_b32 exec_lo, exec_lo, s17
	s_and_saveexec_b32 s17, s5
	s_cbranch_execnz .LBB965_219
.LBB965_184:
	s_or_b32 exec_lo, exec_lo, s17
	s_and_saveexec_b32 s17, s4
	s_cbranch_execz .LBB965_220
.LBB965_185:
	v_sub_nc_u32_e32 v13, v36, v5
	v_mov_b32_e32 v14, 0
	s_delay_alu instid0(VALU_DEP_1) | instskip(NEXT) | instid1(VALU_DEP_1)
	v_lshlrev_b64 v[13:14], 1, v[13:14]
	v_add_co_u32 v13, vcc_lo, v11, v13
	s_delay_alu instid0(VALU_DEP_2)
	v_add_co_ci_u32_e32 v14, vcc_lo, v12, v14, vcc_lo
	global_store_b16 v[13:14], v37, off
	s_or_b32 exec_lo, exec_lo, s17
	s_and_saveexec_b32 s17, s3
	s_cbranch_execnz .LBB965_221
.LBB965_186:
	s_or_b32 exec_lo, exec_lo, s17
	s_and_saveexec_b32 s17, s2
	s_cbranch_execz .LBB965_222
.LBB965_187:
	v_sub_nc_u32_e32 v13, v34, v5
	v_mov_b32_e32 v14, 0
	s_delay_alu instid0(VALU_DEP_1) | instskip(NEXT) | instid1(VALU_DEP_1)
	v_lshlrev_b64 v[13:14], 1, v[13:14]
	v_add_co_u32 v13, vcc_lo, v11, v13
	s_delay_alu instid0(VALU_DEP_2)
	v_add_co_ci_u32_e32 v14, vcc_lo, v12, v14, vcc_lo
	global_store_b16 v[13:14], v35, off
	s_or_b32 exec_lo, exec_lo, s17
	s_and_saveexec_b32 s17, s1
	s_cbranch_execnz .LBB965_223
	s_branch .LBB965_224
.LBB965_188:
	s_and_b32 vcc_lo, exec_lo, s16
	s_cbranch_vccz .LBB965_228
; %bb.189:
	s_mov_b32 s15, exec_lo
	v_cmpx_gt_i16_e32 2, v7
	s_cbranch_execz .LBB965_246
; %bb.190:
	s_mov_b32 s17, 0
	s_mov_b32 s16, exec_lo
	v_cmpx_ne_u16_e32 1, v7
	s_xor_b32 s16, exec_lo, s16
	s_cbranch_execz .LBB965_207
; %bb.191:
	s_and_saveexec_b32 s17, s14
	s_cbranch_execz .LBB965_229
; %bb.192:
	v_sub_nc_u32_e32 v7, v48, v5
	s_delay_alu instid0(VALU_DEP_1)
	v_lshlrev_b32_e32 v7, 1, v7
	ds_store_b16 v7, v49
	s_or_b32 exec_lo, exec_lo, s17
	s_and_saveexec_b32 s14, s13
	s_cbranch_execnz .LBB965_230
.LBB965_193:
	s_or_b32 exec_lo, exec_lo, s14
	s_and_saveexec_b32 s13, s12
	s_cbranch_execz .LBB965_231
.LBB965_194:
	v_sub_nc_u32_e32 v7, v42, v5
	s_delay_alu instid0(VALU_DEP_1)
	v_lshlrev_b32_e32 v7, 1, v7
	ds_store_b16 v7, v43
	s_or_b32 exec_lo, exec_lo, s13
	s_and_saveexec_b32 s12, s11
	s_cbranch_execnz .LBB965_232
.LBB965_195:
	s_or_b32 exec_lo, exec_lo, s12
	s_and_saveexec_b32 s11, s10
	s_cbranch_execz .LBB965_233
.LBB965_196:
	v_sub_nc_u32_e32 v7, v28, v5
	s_delay_alu instid0(VALU_DEP_1)
	v_lshlrev_b32_e32 v7, 1, v7
	ds_store_b16 v7, v29
	s_or_b32 exec_lo, exec_lo, s11
	s_and_saveexec_b32 s10, s9
	s_cbranch_execnz .LBB965_234
.LBB965_197:
	s_or_b32 exec_lo, exec_lo, s10
	s_and_saveexec_b32 s9, s8
	s_cbranch_execz .LBB965_235
.LBB965_198:
	v_sub_nc_u32_e32 v7, v24, v5
	s_delay_alu instid0(VALU_DEP_1)
	v_lshlrev_b32_e32 v7, 1, v7
	ds_store_b16 v7, v25
	s_or_b32 exec_lo, exec_lo, s9
	s_and_saveexec_b32 s8, s7
	s_cbranch_execnz .LBB965_236
.LBB965_199:
	s_or_b32 exec_lo, exec_lo, s8
	s_and_saveexec_b32 s7, s6
	s_cbranch_execz .LBB965_237
.LBB965_200:
	v_sub_nc_u32_e32 v7, v50, v5
	s_delay_alu instid0(VALU_DEP_1)
	v_lshlrev_b32_e32 v7, 1, v7
	ds_store_b16 v7, v51
	s_or_b32 exec_lo, exec_lo, s7
	s_and_saveexec_b32 s6, s5
	s_cbranch_execnz .LBB965_238
.LBB965_201:
	s_or_b32 exec_lo, exec_lo, s6
	s_and_saveexec_b32 s5, s4
	s_cbranch_execz .LBB965_239
.LBB965_202:
	v_sub_nc_u32_e32 v7, v36, v5
	s_delay_alu instid0(VALU_DEP_1)
	v_lshlrev_b32_e32 v7, 1, v7
	ds_store_b16 v7, v37
	s_or_b32 exec_lo, exec_lo, s5
	s_and_saveexec_b32 s4, s3
	s_cbranch_execnz .LBB965_240
.LBB965_203:
	s_or_b32 exec_lo, exec_lo, s4
	s_and_saveexec_b32 s3, s2
	s_cbranch_execz .LBB965_241
.LBB965_204:
	v_sub_nc_u32_e32 v7, v34, v5
	s_delay_alu instid0(VALU_DEP_1)
	v_lshlrev_b32_e32 v7, 1, v7
	ds_store_b16 v7, v35
	s_or_b32 exec_lo, exec_lo, s3
	s_and_saveexec_b32 s2, s1
	s_cbranch_execnz .LBB965_242
	s_branch .LBB965_243
.LBB965_205:
	s_and_not1_saveexec_b32 s15, s15
	s_cbranch_execz .LBB965_225
.LBB965_206:
	v_sub_nc_u32_e32 v13, v48, v5
	v_mov_b32_e32 v14, 0
	s_or_b32 s17, s17, exec_lo
	s_delay_alu instid0(VALU_DEP_1) | instskip(SKIP_1) | instid1(VALU_DEP_1)
	v_lshlrev_b64 v[15:16], 1, v[13:14]
	v_sub_nc_u32_e32 v13, v44, v5
	v_lshlrev_b64 v[17:18], 1, v[13:14]
	v_sub_nc_u32_e32 v13, v42, v5
	s_delay_alu instid0(VALU_DEP_4) | instskip(SKIP_1) | instid1(VALU_DEP_3)
	v_add_co_u32 v15, vcc_lo, v11, v15
	v_add_co_ci_u32_e32 v16, vcc_lo, v12, v16, vcc_lo
	v_lshlrev_b64 v[52:53], 1, v[13:14]
	v_sub_nc_u32_e32 v13, v40, v5
	v_add_co_u32 v17, vcc_lo, v11, v17
	v_add_co_ci_u32_e32 v18, vcc_lo, v12, v18, vcc_lo
	global_store_b16 v[15:16], v49, off
	v_lshlrev_b64 v[15:16], 1, v[13:14]
	v_sub_nc_u32_e32 v13, v28, v5
	global_store_b16 v[17:18], v45, off
	v_add_co_u32 v17, vcc_lo, v11, v52
	v_add_co_ci_u32_e32 v18, vcc_lo, v12, v53, vcc_lo
	v_lshlrev_b64 v[52:53], 1, v[13:14]
	v_sub_nc_u32_e32 v13, v26, v5
	v_add_co_u32 v15, vcc_lo, v11, v15
	v_add_co_ci_u32_e32 v16, vcc_lo, v12, v16, vcc_lo
	s_delay_alu instid0(VALU_DEP_3) | instskip(SKIP_3) | instid1(VALU_DEP_3)
	v_lshlrev_b64 v[54:55], 1, v[13:14]
	v_sub_nc_u32_e32 v13, v24, v5
	v_add_co_u32 v52, vcc_lo, v11, v52
	v_add_co_ci_u32_e32 v53, vcc_lo, v12, v53, vcc_lo
	v_lshlrev_b64 v[56:57], 1, v[13:14]
	v_sub_nc_u32_e32 v13, v46, v5
	v_add_co_u32 v54, vcc_lo, v11, v54
	v_add_co_ci_u32_e32 v55, vcc_lo, v12, v55, vcc_lo
	s_clause 0x3
	global_store_b16 v[17:18], v43, off
	global_store_b16 v[15:16], v41, off
	global_store_b16 v[52:53], v29, off
	global_store_b16 v[54:55], v27, off
	v_lshlrev_b64 v[15:16], 1, v[13:14]
	v_sub_nc_u32_e32 v13, v50, v5
	v_add_co_u32 v17, vcc_lo, v11, v56
	v_add_co_ci_u32_e32 v18, vcc_lo, v12, v57, vcc_lo
	s_delay_alu instid0(VALU_DEP_3) | instskip(SKIP_3) | instid1(VALU_DEP_3)
	v_lshlrev_b64 v[52:53], 1, v[13:14]
	v_sub_nc_u32_e32 v13, v38, v5
	v_add_co_u32 v15, vcc_lo, v11, v15
	v_add_co_ci_u32_e32 v16, vcc_lo, v12, v16, vcc_lo
	v_lshlrev_b64 v[54:55], 1, v[13:14]
	v_sub_nc_u32_e32 v13, v36, v5
	v_add_co_u32 v52, vcc_lo, v11, v52
	v_add_co_ci_u32_e32 v53, vcc_lo, v12, v53, vcc_lo
	s_delay_alu instid0(VALU_DEP_3)
	v_lshlrev_b64 v[56:57], 1, v[13:14]
	v_sub_nc_u32_e32 v13, v32, v5
	v_add_co_u32 v54, vcc_lo, v11, v54
	v_add_co_ci_u32_e32 v55, vcc_lo, v12, v55, vcc_lo
	s_clause 0x3
	global_store_b16 v[17:18], v25, off
	global_store_b16 v[15:16], v47, off
	;; [unrolled: 1-line block ×4, first 2 shown]
	v_lshlrev_b64 v[15:16], 1, v[13:14]
	v_sub_nc_u32_e32 v13, v34, v5
	v_add_co_u32 v17, vcc_lo, v11, v56
	v_add_co_ci_u32_e32 v18, vcc_lo, v12, v57, vcc_lo
	s_delay_alu instid0(VALU_DEP_3) | instskip(SKIP_3) | instid1(VALU_DEP_3)
	v_lshlrev_b64 v[52:53], 1, v[13:14]
	v_sub_nc_u32_e32 v13, v30, v5
	v_add_co_u32 v15, vcc_lo, v11, v15
	v_add_co_ci_u32_e32 v16, vcc_lo, v12, v16, vcc_lo
	v_lshlrev_b64 v[13:14], 1, v[13:14]
	v_add_co_u32 v52, vcc_lo, v11, v52
	v_add_co_ci_u32_e32 v53, vcc_lo, v12, v53, vcc_lo
	s_clause 0x2
	global_store_b16 v[17:18], v37, off
	global_store_b16 v[15:16], v33, off
	;; [unrolled: 1-line block ×3, first 2 shown]
	v_add_co_u32 v13, vcc_lo, v11, v13
	v_add_co_ci_u32_e32 v14, vcc_lo, v12, v14, vcc_lo
	global_store_b16 v[13:14], v31, off
	s_or_b32 exec_lo, exec_lo, s15
	s_delay_alu instid0(SALU_CYCLE_1)
	s_and_b32 exec_lo, exec_lo, s17
	s_cbranch_execnz .LBB965_226
	s_branch .LBB965_227
.LBB965_207:
	s_and_not1_saveexec_b32 s0, s16
	s_cbranch_execz .LBB965_244
.LBB965_208:
	v_sub_nc_u32_e32 v7, v48, v5
	v_sub_nc_u32_e32 v8, v44, v5
	;; [unrolled: 1-line block ×5, first 2 shown]
	v_lshlrev_b32_e32 v7, 1, v7
	v_lshlrev_b32_e32 v8, 1, v8
	;; [unrolled: 1-line block ×4, first 2 shown]
	s_or_b32 s17, s17, exec_lo
	ds_store_b16 v7, v49
	ds_store_b16 v8, v45
	;; [unrolled: 1-line block ×3, first 2 shown]
	v_sub_nc_u32_e32 v7, v28, v5
	v_sub_nc_u32_e32 v8, v26, v5
	;; [unrolled: 1-line block ×3, first 2 shown]
	ds_store_b16 v14, v41
	v_sub_nc_u32_e32 v14, v46, v5
	v_lshlrev_b32_e32 v7, 1, v7
	v_lshlrev_b32_e32 v8, 1, v8
	;; [unrolled: 1-line block ×3, first 2 shown]
	s_delay_alu instid0(VALU_DEP_4)
	v_lshlrev_b32_e32 v14, 1, v14
	ds_store_b16 v7, v29
	v_lshlrev_b32_e32 v7, 1, v15
	ds_store_b16 v8, v27
	ds_store_b16 v13, v25
	;; [unrolled: 1-line block ×3, first 2 shown]
	v_sub_nc_u32_e32 v8, v38, v5
	v_sub_nc_u32_e32 v15, v30, v5
	v_sub_nc_u32_e32 v13, v32, v5
	ds_store_b16 v7, v51
	v_sub_nc_u32_e32 v7, v36, v5
	v_lshlrev_b32_e32 v8, 1, v8
	v_sub_nc_u32_e32 v14, v34, v5
	v_lshlrev_b32_e32 v13, 1, v13
	s_delay_alu instid0(VALU_DEP_4)
	v_lshlrev_b32_e32 v7, 1, v7
	ds_store_b16 v8, v39
	v_lshlrev_b32_e32 v8, 1, v15
	v_lshlrev_b32_e32 v14, 1, v14
	ds_store_b16 v7, v37
	ds_store_b16 v13, v33
	ds_store_b16 v14, v35
	ds_store_b16 v8, v31
	s_or_b32 exec_lo, exec_lo, s0
	s_delay_alu instid0(SALU_CYCLE_1)
	s_and_b32 exec_lo, exec_lo, s17
	s_cbranch_execnz .LBB965_245
	s_branch .LBB965_246
.LBB965_209:
	s_or_b32 exec_lo, exec_lo, s4
	v_mov_b32_e32 v83, s1
	s_and_saveexec_b32 s1, s45
	s_cbranch_execnz .LBB965_76
	s_branch .LBB965_77
.LBB965_210:
	s_or_b32 exec_lo, exec_lo, s17
	s_and_saveexec_b32 s17, s13
	s_cbranch_execz .LBB965_176
.LBB965_211:
	v_sub_nc_u32_e32 v13, v44, v5
	v_mov_b32_e32 v14, 0
	s_delay_alu instid0(VALU_DEP_1) | instskip(NEXT) | instid1(VALU_DEP_1)
	v_lshlrev_b64 v[13:14], 1, v[13:14]
	v_add_co_u32 v13, vcc_lo, v11, v13
	s_delay_alu instid0(VALU_DEP_2)
	v_add_co_ci_u32_e32 v14, vcc_lo, v12, v14, vcc_lo
	global_store_b16 v[13:14], v45, off
	s_or_b32 exec_lo, exec_lo, s17
	s_and_saveexec_b32 s17, s12
	s_cbranch_execnz .LBB965_177
.LBB965_212:
	s_or_b32 exec_lo, exec_lo, s17
	s_and_saveexec_b32 s17, s11
	s_cbranch_execz .LBB965_178
.LBB965_213:
	v_sub_nc_u32_e32 v13, v40, v5
	v_mov_b32_e32 v14, 0
	s_delay_alu instid0(VALU_DEP_1) | instskip(NEXT) | instid1(VALU_DEP_1)
	v_lshlrev_b64 v[13:14], 1, v[13:14]
	v_add_co_u32 v13, vcc_lo, v11, v13
	s_delay_alu instid0(VALU_DEP_2)
	v_add_co_ci_u32_e32 v14, vcc_lo, v12, v14, vcc_lo
	global_store_b16 v[13:14], v41, off
	s_or_b32 exec_lo, exec_lo, s17
	s_and_saveexec_b32 s17, s10
	s_cbranch_execnz .LBB965_179
.LBB965_214:
	s_or_b32 exec_lo, exec_lo, s17
	s_and_saveexec_b32 s17, s9
	s_cbranch_execz .LBB965_180
.LBB965_215:
	v_sub_nc_u32_e32 v13, v26, v5
	v_mov_b32_e32 v14, 0
	s_delay_alu instid0(VALU_DEP_1) | instskip(NEXT) | instid1(VALU_DEP_1)
	v_lshlrev_b64 v[13:14], 1, v[13:14]
	v_add_co_u32 v13, vcc_lo, v11, v13
	s_delay_alu instid0(VALU_DEP_2)
	v_add_co_ci_u32_e32 v14, vcc_lo, v12, v14, vcc_lo
	global_store_b16 v[13:14], v27, off
	s_or_b32 exec_lo, exec_lo, s17
	s_and_saveexec_b32 s17, s8
	s_cbranch_execnz .LBB965_181
.LBB965_216:
	s_or_b32 exec_lo, exec_lo, s17
	s_and_saveexec_b32 s17, s7
	s_cbranch_execz .LBB965_182
.LBB965_217:
	v_sub_nc_u32_e32 v13, v46, v5
	v_mov_b32_e32 v14, 0
	s_delay_alu instid0(VALU_DEP_1) | instskip(NEXT) | instid1(VALU_DEP_1)
	v_lshlrev_b64 v[13:14], 1, v[13:14]
	v_add_co_u32 v13, vcc_lo, v11, v13
	s_delay_alu instid0(VALU_DEP_2)
	v_add_co_ci_u32_e32 v14, vcc_lo, v12, v14, vcc_lo
	global_store_b16 v[13:14], v47, off
	s_or_b32 exec_lo, exec_lo, s17
	s_and_saveexec_b32 s17, s6
	s_cbranch_execnz .LBB965_183
.LBB965_218:
	s_or_b32 exec_lo, exec_lo, s17
	s_and_saveexec_b32 s17, s5
	s_cbranch_execz .LBB965_184
.LBB965_219:
	v_sub_nc_u32_e32 v13, v38, v5
	v_mov_b32_e32 v14, 0
	s_delay_alu instid0(VALU_DEP_1) | instskip(NEXT) | instid1(VALU_DEP_1)
	v_lshlrev_b64 v[13:14], 1, v[13:14]
	v_add_co_u32 v13, vcc_lo, v11, v13
	s_delay_alu instid0(VALU_DEP_2)
	v_add_co_ci_u32_e32 v14, vcc_lo, v12, v14, vcc_lo
	global_store_b16 v[13:14], v39, off
	s_or_b32 exec_lo, exec_lo, s17
	s_and_saveexec_b32 s17, s4
	s_cbranch_execnz .LBB965_185
.LBB965_220:
	s_or_b32 exec_lo, exec_lo, s17
	s_and_saveexec_b32 s17, s3
	s_cbranch_execz .LBB965_186
.LBB965_221:
	v_sub_nc_u32_e32 v13, v32, v5
	v_mov_b32_e32 v14, 0
	s_delay_alu instid0(VALU_DEP_1) | instskip(NEXT) | instid1(VALU_DEP_1)
	v_lshlrev_b64 v[13:14], 1, v[13:14]
	v_add_co_u32 v13, vcc_lo, v11, v13
	s_delay_alu instid0(VALU_DEP_2)
	v_add_co_ci_u32_e32 v14, vcc_lo, v12, v14, vcc_lo
	global_store_b16 v[13:14], v33, off
	s_or_b32 exec_lo, exec_lo, s17
	s_and_saveexec_b32 s17, s2
	s_cbranch_execnz .LBB965_187
.LBB965_222:
	s_or_b32 exec_lo, exec_lo, s17
	s_and_saveexec_b32 s17, s1
	s_cbranch_execz .LBB965_224
.LBB965_223:
	v_sub_nc_u32_e32 v13, v30, v5
	v_mov_b32_e32 v14, 0
	s_delay_alu instid0(VALU_DEP_1) | instskip(NEXT) | instid1(VALU_DEP_1)
	v_lshlrev_b64 v[13:14], 1, v[13:14]
	v_add_co_u32 v13, vcc_lo, v11, v13
	s_delay_alu instid0(VALU_DEP_2)
	v_add_co_ci_u32_e32 v14, vcc_lo, v12, v14, vcc_lo
	global_store_b16 v[13:14], v31, off
.LBB965_224:
	s_or_b32 exec_lo, exec_lo, s17
	s_delay_alu instid0(SALU_CYCLE_1)
	s_and_b32 s17, s0, exec_lo
	s_and_not1_saveexec_b32 s15, s15
	s_cbranch_execnz .LBB965_206
.LBB965_225:
	s_or_b32 exec_lo, exec_lo, s15
	s_delay_alu instid0(SALU_CYCLE_1)
	s_and_b32 exec_lo, exec_lo, s17
	s_cbranch_execz .LBB965_227
.LBB965_226:
	v_sub_nc_u32_e32 v13, v22, v5
	v_mov_b32_e32 v14, 0
	s_delay_alu instid0(VALU_DEP_1) | instskip(NEXT) | instid1(VALU_DEP_1)
	v_lshlrev_b64 v[13:14], 1, v[13:14]
	v_add_co_u32 v13, vcc_lo, v11, v13
	s_delay_alu instid0(VALU_DEP_2)
	v_add_co_ci_u32_e32 v14, vcc_lo, v12, v14, vcc_lo
	global_store_b16 v[13:14], v23, off
.LBB965_227:
	s_or_b32 exec_lo, exec_lo, s16
.LBB965_228:
	v_cmp_eq_u32_e32 vcc_lo, 0xff, v0
	s_and_b32 s0, vcc_lo, s30
	s_delay_alu instid0(SALU_CYCLE_1)
	s_and_saveexec_b32 s1, s0
	s_cbranch_execnz .LBB965_262
	s_branch .LBB965_264
.LBB965_229:
	s_or_b32 exec_lo, exec_lo, s17
	s_and_saveexec_b32 s14, s13
	s_cbranch_execz .LBB965_193
.LBB965_230:
	v_sub_nc_u32_e32 v7, v44, v5
	s_delay_alu instid0(VALU_DEP_1)
	v_lshlrev_b32_e32 v7, 1, v7
	ds_store_b16 v7, v45
	s_or_b32 exec_lo, exec_lo, s14
	s_and_saveexec_b32 s13, s12
	s_cbranch_execnz .LBB965_194
.LBB965_231:
	s_or_b32 exec_lo, exec_lo, s13
	s_and_saveexec_b32 s12, s11
	s_cbranch_execz .LBB965_195
.LBB965_232:
	v_sub_nc_u32_e32 v7, v40, v5
	s_delay_alu instid0(VALU_DEP_1)
	v_lshlrev_b32_e32 v7, 1, v7
	ds_store_b16 v7, v41
	s_or_b32 exec_lo, exec_lo, s12
	s_and_saveexec_b32 s11, s10
	s_cbranch_execnz .LBB965_196
.LBB965_233:
	s_or_b32 exec_lo, exec_lo, s11
	s_and_saveexec_b32 s10, s9
	s_cbranch_execz .LBB965_197
.LBB965_234:
	v_sub_nc_u32_e32 v7, v26, v5
	s_delay_alu instid0(VALU_DEP_1)
	v_lshlrev_b32_e32 v7, 1, v7
	ds_store_b16 v7, v27
	s_or_b32 exec_lo, exec_lo, s10
	s_and_saveexec_b32 s9, s8
	s_cbranch_execnz .LBB965_198
.LBB965_235:
	s_or_b32 exec_lo, exec_lo, s9
	s_and_saveexec_b32 s8, s7
	s_cbranch_execz .LBB965_199
.LBB965_236:
	v_sub_nc_u32_e32 v7, v46, v5
	s_delay_alu instid0(VALU_DEP_1)
	v_lshlrev_b32_e32 v7, 1, v7
	ds_store_b16 v7, v47
	s_or_b32 exec_lo, exec_lo, s8
	s_and_saveexec_b32 s7, s6
	s_cbranch_execnz .LBB965_200
.LBB965_237:
	s_or_b32 exec_lo, exec_lo, s7
	s_and_saveexec_b32 s6, s5
	s_cbranch_execz .LBB965_201
.LBB965_238:
	v_sub_nc_u32_e32 v7, v38, v5
	s_delay_alu instid0(VALU_DEP_1)
	v_lshlrev_b32_e32 v7, 1, v7
	ds_store_b16 v7, v39
	s_or_b32 exec_lo, exec_lo, s6
	s_and_saveexec_b32 s5, s4
	s_cbranch_execnz .LBB965_202
.LBB965_239:
	s_or_b32 exec_lo, exec_lo, s5
	s_and_saveexec_b32 s4, s3
	s_cbranch_execz .LBB965_203
.LBB965_240:
	v_sub_nc_u32_e32 v7, v32, v5
	s_delay_alu instid0(VALU_DEP_1)
	v_lshlrev_b32_e32 v7, 1, v7
	ds_store_b16 v7, v33
	s_or_b32 exec_lo, exec_lo, s4
	s_and_saveexec_b32 s3, s2
	s_cbranch_execnz .LBB965_204
.LBB965_241:
	s_or_b32 exec_lo, exec_lo, s3
	s_and_saveexec_b32 s2, s1
	s_cbranch_execz .LBB965_243
.LBB965_242:
	v_sub_nc_u32_e32 v7, v30, v5
	s_delay_alu instid0(VALU_DEP_1)
	v_lshlrev_b32_e32 v7, 1, v7
	ds_store_b16 v7, v31
.LBB965_243:
	s_or_b32 exec_lo, exec_lo, s2
	s_delay_alu instid0(SALU_CYCLE_1)
	s_and_b32 s17, s0, exec_lo
                                        ; implicit-def: $vgpr48_vgpr49
                                        ; implicit-def: $vgpr44_vgpr45
                                        ; implicit-def: $vgpr42_vgpr43
                                        ; implicit-def: $vgpr40_vgpr41
                                        ; implicit-def: $vgpr28_vgpr29
                                        ; implicit-def: $vgpr26_vgpr27
                                        ; implicit-def: $vgpr24_vgpr25
                                        ; implicit-def: $vgpr46_vgpr47
                                        ; implicit-def: $vgpr50_vgpr51
                                        ; implicit-def: $vgpr38_vgpr39
                                        ; implicit-def: $vgpr36_vgpr37
                                        ; implicit-def: $vgpr32_vgpr33
                                        ; implicit-def: $vgpr34_vgpr35
                                        ; implicit-def: $vgpr30_vgpr31
	s_and_not1_saveexec_b32 s0, s16
	s_cbranch_execnz .LBB965_208
.LBB965_244:
	s_or_b32 exec_lo, exec_lo, s0
	s_delay_alu instid0(SALU_CYCLE_1)
	s_and_b32 exec_lo, exec_lo, s17
	s_cbranch_execz .LBB965_246
.LBB965_245:
	v_sub_nc_u32_e32 v5, v22, v5
	s_delay_alu instid0(VALU_DEP_1)
	v_lshlrev_b32_e32 v5, 1, v5
	ds_store_b16 v5, v23
.LBB965_246:
	s_or_b32 exec_lo, exec_lo, s15
	s_delay_alu instid0(SALU_CYCLE_1)
	s_mov_b32 s1, exec_lo
	s_waitcnt lgkmcnt(0)
	s_waitcnt_vscnt null, 0x0
	s_barrier
	buffer_gl0_inv
	v_cmpx_lt_u32_e64 v0, v3
	s_cbranch_execz .LBB965_261
; %bb.247:
	v_add_nc_u32_e32 v7, v2, v6
	s_mov_b32 s0, -1
	s_mov_b32 s3, exec_lo
	s_delay_alu instid0(VALU_DEP_1) | instskip(NEXT) | instid1(VALU_DEP_1)
	v_xad_u32 v5, v0, -1, v7
	v_sub_nc_u32_e32 v6, v5, v1
	v_mov_b32_e32 v5, v0
	s_delay_alu instid0(VALU_DEP_2)
	v_cmp_gt_u32_e64 s2, 0x1b00, v6
	v_cmpx_lt_u32_e32 0x1aff, v6
	s_cbranch_execz .LBB965_258
; %bb.248:
	v_sub_nc_u32_e32 v5, v0, v7
	s_mov_b32 s4, exec_lo
	s_delay_alu instid0(VALU_DEP_1) | instskip(SKIP_1) | instid1(VALU_DEP_2)
	v_add_nc_u32_e32 v1, v5, v1
	v_mov_b32_e32 v5, v0
	v_or_b32_e32 v1, 0xff, v1
	s_delay_alu instid0(VALU_DEP_1)
	v_cmpx_ge_u32_e64 v1, v0
	s_cbranch_execz .LBB965_257
; %bb.249:
	v_lshrrev_b32_e32 v13, 8, v6
	v_or_b32_e32 v1, 0x100, v0
	v_lshlrev_b32_e32 v14, 1, v0
	s_delay_alu instid0(VALU_DEP_3) | instskip(NEXT) | instid1(VALU_DEP_1)
	v_dual_mov_b32 v18, 0 :: v_dual_add_nc_u32 v5, -1, v13
	v_lshrrev_b32_e32 v6, 1, v5
	v_cmp_lt_u32_e32 vcc_lo, 13, v5
	s_delay_alu instid0(VALU_DEP_2)
	v_dual_mov_b32 v6, v1 :: v_dual_add_nc_u32 v15, 1, v6
	v_mov_b32_e32 v5, v0
	s_and_saveexec_b32 s0, vcc_lo
	s_cbranch_execz .LBB965_253
; %bb.250:
	v_mov_b32_e32 v6, v1
	v_dual_mov_b32 v17, v14 :: v_dual_and_b32 v16, -8, v15
	v_dual_mov_b32 v8, 0 :: v_dual_mov_b32 v5, v0
	s_mov_b32 s5, 0
	s_mov_b32 s6, 0
.LBB965_251:                            ; =>This Inner Loop Header: Depth=1
	s_delay_alu instid0(VALU_DEP_1) | instskip(NEXT) | instid1(VALU_DEP_2)
	v_dual_mov_b32 v7, v5 :: v_dual_add_nc_u32 v22, 0x200, v6
	v_dual_mov_b32 v35, v8 :: v_dual_add_nc_u32 v16, -8, v16
	v_dual_mov_b32 v23, v8 :: v_dual_add_nc_u32 v24, 0x400, v6
	s_delay_alu instid0(VALU_DEP_3) | instskip(SKIP_1) | instid1(VALU_DEP_4)
	v_lshlrev_b64 v[36:37], 1, v[7:8]
	v_dual_mov_b32 v25, v8 :: v_dual_add_nc_u32 v26, 0x600, v6
	v_cmp_eq_u32_e32 vcc_lo, 0, v16
	s_delay_alu instid0(VALU_DEP_4)
	v_lshlrev_b64 v[22:23], 1, v[22:23]
	v_dual_mov_b32 v27, v8 :: v_dual_add_nc_u32 v28, 0x800, v6
	s_add_i32 s6, s6, 16
	v_lshlrev_b64 v[24:25], 1, v[24:25]
	s_or_b32 s5, vcc_lo, s5
	v_add_co_u32 v36, vcc_lo, v11, v36
	v_dual_mov_b32 v29, v8 :: v_dual_add_nc_u32 v30, 0xa00, v6
	v_add_co_ci_u32_e32 v37, vcc_lo, v12, v37, vcc_lo
	v_lshlrev_b64 v[26:27], 1, v[26:27]
	v_add_co_u32 v22, vcc_lo, v11, v22
	v_dual_mov_b32 v31, v8 :: v_dual_add_nc_u32 v32, 0xc00, v6
	v_add_co_ci_u32_e32 v23, vcc_lo, v12, v23, vcc_lo
	v_lshlrev_b64 v[28:29], 1, v[28:29]
	;; [unrolled: 4-line block ×4, first 2 shown]
	v_add_co_u32 v28, vcc_lo, v11, v28
	ds_load_u16 v1, v17
	ds_load_u16 v19, v17 offset:512
	ds_load_u16 v42, v17 offset:1024
	ds_load_u16 v43, v17 offset:1536
	ds_load_u16 v44, v17 offset:2048
	ds_load_u16 v45, v17 offset:2560
	ds_load_u16 v46, v17 offset:3072
	ds_load_u16 v47, v17 offset:3584
	v_add_co_ci_u32_e32 v29, vcc_lo, v12, v29, vcc_lo
	v_lshlrev_b64 v[34:35], 1, v[34:35]
	v_add_co_u32 v30, vcc_lo, v11, v30
	v_lshlrev_b64 v[38:39], 1, v[7:8]
	v_add_nc_u32_e32 v7, 0x200, v5
	v_add_co_ci_u32_e32 v31, vcc_lo, v12, v31, vcc_lo
	v_add_co_u32 v32, vcc_lo, v11, v32
	v_add_co_ci_u32_e32 v33, vcc_lo, v12, v33, vcc_lo
	v_add_co_u32 v34, vcc_lo, v11, v34
	v_lshlrev_b64 v[40:41], 1, v[7:8]
	v_add_nc_u32_e32 v7, 0x400, v5
	v_add_co_ci_u32_e32 v35, vcc_lo, v12, v35, vcc_lo
	v_add_co_u32 v38, vcc_lo, v11, v38
	ds_load_u16 v48, v17 offset:4096
	ds_load_u16 v49, v17 offset:4608
	;; [unrolled: 1-line block ×8, first 2 shown]
	v_add_co_ci_u32_e32 v39, vcc_lo, v12, v39, vcc_lo
	s_waitcnt lgkmcnt(15)
	global_store_b16 v[36:37], v1, off
	v_lshlrev_b64 v[36:37], 1, v[7:8]
	v_add_nc_u32_e32 v7, 0x600, v5
	v_add_co_u32 v40, vcc_lo, v11, v40
	v_add_co_ci_u32_e32 v41, vcc_lo, v12, v41, vcc_lo
	s_waitcnt lgkmcnt(14)
	global_store_b16 v[38:39], v19, off
	v_lshlrev_b64 v[38:39], 1, v[7:8]
	v_add_nc_u32_e32 v7, 0x800, v5
	s_waitcnt lgkmcnt(13)
	global_store_b16 v[40:41], v42, off
	s_waitcnt lgkmcnt(12)
	global_store_b16 v[22:23], v43, off
	v_add_co_u32 v22, vcc_lo, v11, v36
	v_add_co_ci_u32_e32 v23, vcc_lo, v12, v37, vcc_lo
	v_lshlrev_b64 v[36:37], 1, v[7:8]
	v_add_nc_u32_e32 v7, 0xa00, v5
	v_add_co_u32 v38, vcc_lo, v11, v38
	v_add_co_ci_u32_e32 v39, vcc_lo, v12, v39, vcc_lo
	s_waitcnt lgkmcnt(11)
	global_store_b16 v[22:23], v44, off
	s_waitcnt lgkmcnt(10)
	global_store_b16 v[24:25], v45, off
	v_lshlrev_b64 v[22:23], 1, v[7:8]
	v_add_nc_u32_e32 v7, 0xc00, v5
	v_add_co_u32 v24, vcc_lo, v11, v36
	s_waitcnt lgkmcnt(9)
	global_store_b16 v[38:39], v46, off
	s_waitcnt lgkmcnt(8)
	global_store_b16 v[26:27], v47, off
	v_add_co_ci_u32_e32 v25, vcc_lo, v12, v37, vcc_lo
	v_lshlrev_b64 v[26:27], 1, v[7:8]
	v_add_nc_u32_e32 v7, 0xe00, v5
	v_add_co_u32 v22, vcc_lo, v11, v22
	v_add_co_ci_u32_e32 v23, vcc_lo, v12, v23, vcc_lo
	s_waitcnt lgkmcnt(7)
	global_store_b16 v[24:25], v48, off
	s_waitcnt lgkmcnt(6)
	global_store_b16 v[28:29], v49, off
	v_lshlrev_b64 v[24:25], 1, v[7:8]
	v_dual_mov_b32 v18, s6 :: v_dual_add_nc_u32 v17, 0x2000, v17
	s_waitcnt lgkmcnt(5)
	global_store_b16 v[22:23], v50, off
	v_add_co_u32 v22, vcc_lo, v11, v26
	v_add_nc_u32_e32 v5, 0x1000, v5
	v_add_co_ci_u32_e32 v23, vcc_lo, v12, v27, vcc_lo
	v_add_co_u32 v24, vcc_lo, v11, v24
	v_add_co_ci_u32_e32 v25, vcc_lo, v12, v25, vcc_lo
	s_waitcnt lgkmcnt(4)
	global_store_b16 v[30:31], v51, off
	s_waitcnt lgkmcnt(3)
	global_store_b16 v[22:23], v52, off
	;; [unrolled: 2-line block ×5, first 2 shown]
	s_and_not1_b32 exec_lo, exec_lo, s5
	s_cbranch_execnz .LBB965_251
; %bb.252:
	s_or_b32 exec_lo, exec_lo, s5
.LBB965_253:
	s_delay_alu instid0(SALU_CYCLE_1) | instskip(SKIP_3) | instid1(VALU_DEP_1)
	s_or_b32 exec_lo, exec_lo, s0
	v_and_b32_e32 v1, 7, v15
	s_mov_b32 s6, 0
	s_mov_b32 s5, exec_lo
	v_cmpx_ne_u32_e32 0, v1
	s_cbranch_execz .LBB965_256
; %bb.254:
	v_lshl_or_b32 v14, v18, 9, v14
	v_mov_b32_e32 v8, 0
	s_set_inst_prefetch_distance 0x1
	.p2align	6
.LBB965_255:                            ; =>This Inner Loop Header: Depth=1
	v_mov_b32_e32 v7, v5
	ds_load_u16 v19, v14
	ds_load_u16 v22, v14 offset:512
	v_add_nc_u32_e32 v14, 0x400, v14
	v_add_nc_u32_e32 v1, -1, v1
	v_add_nc_u32_e32 v5, 0x200, v5
	v_lshlrev_b64 v[15:16], 1, v[7:8]
	v_dual_mov_b32 v7, v6 :: v_dual_add_nc_u32 v6, 0x200, v6
	s_delay_alu instid0(VALU_DEP_4) | instskip(NEXT) | instid1(VALU_DEP_2)
	v_cmp_eq_u32_e32 vcc_lo, 0, v1
	v_lshlrev_b64 v[17:18], 1, v[7:8]
	s_delay_alu instid0(VALU_DEP_4) | instskip(NEXT) | instid1(VALU_DEP_1)
	v_add_co_u32 v15, s0, v11, v15
	v_add_co_ci_u32_e64 v16, s0, v12, v16, s0
	s_or_b32 s6, vcc_lo, s6
	s_delay_alu instid0(VALU_DEP_3) | instskip(NEXT) | instid1(VALU_DEP_1)
	v_add_co_u32 v17, s0, v11, v17
	v_add_co_ci_u32_e64 v18, s0, v12, v18, s0
	s_waitcnt lgkmcnt(1)
	global_store_b16 v[15:16], v19, off
	s_waitcnt lgkmcnt(0)
	global_store_b16 v[17:18], v22, off
	s_and_not1_b32 exec_lo, exec_lo, s6
	s_cbranch_execnz .LBB965_255
.LBB965_256:
	s_set_inst_prefetch_distance 0x2
	s_or_b32 exec_lo, exec_lo, s5
	v_add_nc_u32_e32 v1, 1, v13
	s_delay_alu instid0(VALU_DEP_1) | instskip(NEXT) | instid1(VALU_DEP_1)
	v_and_b32_e32 v5, 0x1fffffe, v1
	v_cmp_ne_u32_e32 vcc_lo, v1, v5
	v_lshl_or_b32 v5, v5, 8, v0
	s_or_not1_b32 s0, vcc_lo, exec_lo
.LBB965_257:
	s_or_b32 exec_lo, exec_lo, s4
	s_delay_alu instid0(SALU_CYCLE_1) | instskip(SKIP_1) | instid1(SALU_CYCLE_1)
	s_and_not1_b32 s2, s2, exec_lo
	s_and_b32 s0, s0, exec_lo
	s_or_b32 s2, s2, s0
.LBB965_258:
	s_or_b32 exec_lo, exec_lo, s3
	s_delay_alu instid0(VALU_DEP_2) | instid1(SALU_CYCLE_1)
	s_and_b32 exec_lo, exec_lo, s2
	s_cbranch_execz .LBB965_261
; %bb.259:
	v_dual_mov_b32 v6, 0 :: v_dual_lshlrev_b32 v1, 1, v5
	s_mov_b32 s2, 0
	.p2align	6
.LBB965_260:                            ; =>This Inner Loop Header: Depth=1
	ds_load_u16 v13, v1
	v_lshlrev_b64 v[7:8], 1, v[5:6]
	v_add_nc_u32_e32 v5, 0x100, v5
	v_add_nc_u32_e32 v1, 0x200, v1
	s_delay_alu instid0(VALU_DEP_2) | instskip(NEXT) | instid1(VALU_DEP_4)
	v_cmp_ge_u32_e32 vcc_lo, v5, v3
	v_add_co_u32 v7, s0, v11, v7
	s_delay_alu instid0(VALU_DEP_1)
	v_add_co_ci_u32_e64 v8, s0, v12, v8, s0
	s_or_b32 s2, vcc_lo, s2
	s_waitcnt lgkmcnt(0)
	global_store_b16 v[7:8], v13, off
	s_and_not1_b32 exec_lo, exec_lo, s2
	s_cbranch_execnz .LBB965_260
.LBB965_261:
	s_or_b32 exec_lo, exec_lo, s1
	v_cmp_eq_u32_e32 vcc_lo, 0xff, v0
	s_and_b32 s0, vcc_lo, s30
	s_delay_alu instid0(SALU_CYCLE_1)
	s_and_saveexec_b32 s1, s0
	s_cbranch_execz .LBB965_264
.LBB965_262:
	v_add_co_u32 v0, s0, v2, v4
	s_delay_alu instid0(VALU_DEP_1) | instskip(SKIP_1) | instid1(VALU_DEP_3)
	v_add_co_ci_u32_e64 v1, null, 0, 0, s0
	v_mov_b32_e32 v3, 0
	v_add_co_u32 v0, vcc_lo, v0, v20
	s_delay_alu instid0(VALU_DEP_3)
	v_add_co_ci_u32_e32 v1, vcc_lo, v1, v21, vcc_lo
	s_cmpk_lg_i32 s31, 0xf00
	global_store_b64 v3, v[0:1], s[38:39]
	s_cbranch_scc1 .LBB965_264
; %bb.263:
	v_lshlrev_b64 v[0:1], 1, v[2:3]
	s_delay_alu instid0(VALU_DEP_1) | instskip(NEXT) | instid1(VALU_DEP_2)
	v_add_co_u32 v0, vcc_lo, v9, v0
	v_add_co_ci_u32_e32 v1, vcc_lo, v10, v1, vcc_lo
	global_store_b16 v[0:1], v82, off offset:-2
	s_nop 0
	s_sendmsg sendmsg(MSG_DEALLOC_VGPRS)
	s_endpgm
.LBB965_264:
	s_nop 0
	s_sendmsg sendmsg(MSG_DEALLOC_VGPRS)
	s_endpgm
	.section	.rodata,"a",@progbits
	.p2align	6, 0x0
	.amdhsa_kernel _ZN7rocprim17ROCPRIM_400000_NS6detail17trampoline_kernelINS0_14default_configENS1_29reduce_by_key_config_selectorIjtN6thrust23THRUST_200600_302600_NS4plusItEEEEZZNS1_33reduce_by_key_impl_wrapped_configILNS1_25lookback_scan_determinismE0ES3_S9_NS6_6detail15normal_iteratorINS6_10device_ptrIjEEEENSD_INSE_ItEEEENS6_16discard_iteratorINS6_11use_defaultEEESI_PmS8_NS6_8equal_toIjEEEE10hipError_tPvRmT2_T3_mT4_T5_T6_T7_T8_P12ihipStream_tbENKUlT_T0_E_clISt17integral_constantIbLb1EES16_EEDaS11_S12_EUlS11_E_NS1_11comp_targetILNS1_3genE9ELNS1_11target_archE1100ELNS1_3gpuE3ELNS1_3repE0EEENS1_30default_config_static_selectorELNS0_4arch9wavefront6targetE0EEEvT1_
		.amdhsa_group_segment_fixed_size 15360
		.amdhsa_private_segment_fixed_size 0
		.amdhsa_kernarg_size 128
		.amdhsa_user_sgpr_count 15
		.amdhsa_user_sgpr_dispatch_ptr 0
		.amdhsa_user_sgpr_queue_ptr 0
		.amdhsa_user_sgpr_kernarg_segment_ptr 1
		.amdhsa_user_sgpr_dispatch_id 0
		.amdhsa_user_sgpr_private_segment_size 0
		.amdhsa_wavefront_size32 1
		.amdhsa_uses_dynamic_stack 0
		.amdhsa_enable_private_segment 0
		.amdhsa_system_sgpr_workgroup_id_x 1
		.amdhsa_system_sgpr_workgroup_id_y 0
		.amdhsa_system_sgpr_workgroup_id_z 0
		.amdhsa_system_sgpr_workgroup_info 0
		.amdhsa_system_vgpr_workitem_id 0
		.amdhsa_next_free_vgpr 89
		.amdhsa_next_free_sgpr 46
		.amdhsa_reserve_vcc 1
		.amdhsa_float_round_mode_32 0
		.amdhsa_float_round_mode_16_64 0
		.amdhsa_float_denorm_mode_32 3
		.amdhsa_float_denorm_mode_16_64 3
		.amdhsa_dx10_clamp 1
		.amdhsa_ieee_mode 1
		.amdhsa_fp16_overflow 0
		.amdhsa_workgroup_processor_mode 1
		.amdhsa_memory_ordered 1
		.amdhsa_forward_progress 0
		.amdhsa_shared_vgpr_count 0
		.amdhsa_exception_fp_ieee_invalid_op 0
		.amdhsa_exception_fp_denorm_src 0
		.amdhsa_exception_fp_ieee_div_zero 0
		.amdhsa_exception_fp_ieee_overflow 0
		.amdhsa_exception_fp_ieee_underflow 0
		.amdhsa_exception_fp_ieee_inexact 0
		.amdhsa_exception_int_div_zero 0
	.end_amdhsa_kernel
	.section	.text._ZN7rocprim17ROCPRIM_400000_NS6detail17trampoline_kernelINS0_14default_configENS1_29reduce_by_key_config_selectorIjtN6thrust23THRUST_200600_302600_NS4plusItEEEEZZNS1_33reduce_by_key_impl_wrapped_configILNS1_25lookback_scan_determinismE0ES3_S9_NS6_6detail15normal_iteratorINS6_10device_ptrIjEEEENSD_INSE_ItEEEENS6_16discard_iteratorINS6_11use_defaultEEESI_PmS8_NS6_8equal_toIjEEEE10hipError_tPvRmT2_T3_mT4_T5_T6_T7_T8_P12ihipStream_tbENKUlT_T0_E_clISt17integral_constantIbLb1EES16_EEDaS11_S12_EUlS11_E_NS1_11comp_targetILNS1_3genE9ELNS1_11target_archE1100ELNS1_3gpuE3ELNS1_3repE0EEENS1_30default_config_static_selectorELNS0_4arch9wavefront6targetE0EEEvT1_,"axG",@progbits,_ZN7rocprim17ROCPRIM_400000_NS6detail17trampoline_kernelINS0_14default_configENS1_29reduce_by_key_config_selectorIjtN6thrust23THRUST_200600_302600_NS4plusItEEEEZZNS1_33reduce_by_key_impl_wrapped_configILNS1_25lookback_scan_determinismE0ES3_S9_NS6_6detail15normal_iteratorINS6_10device_ptrIjEEEENSD_INSE_ItEEEENS6_16discard_iteratorINS6_11use_defaultEEESI_PmS8_NS6_8equal_toIjEEEE10hipError_tPvRmT2_T3_mT4_T5_T6_T7_T8_P12ihipStream_tbENKUlT_T0_E_clISt17integral_constantIbLb1EES16_EEDaS11_S12_EUlS11_E_NS1_11comp_targetILNS1_3genE9ELNS1_11target_archE1100ELNS1_3gpuE3ELNS1_3repE0EEENS1_30default_config_static_selectorELNS0_4arch9wavefront6targetE0EEEvT1_,comdat
.Lfunc_end965:
	.size	_ZN7rocprim17ROCPRIM_400000_NS6detail17trampoline_kernelINS0_14default_configENS1_29reduce_by_key_config_selectorIjtN6thrust23THRUST_200600_302600_NS4plusItEEEEZZNS1_33reduce_by_key_impl_wrapped_configILNS1_25lookback_scan_determinismE0ES3_S9_NS6_6detail15normal_iteratorINS6_10device_ptrIjEEEENSD_INSE_ItEEEENS6_16discard_iteratorINS6_11use_defaultEEESI_PmS8_NS6_8equal_toIjEEEE10hipError_tPvRmT2_T3_mT4_T5_T6_T7_T8_P12ihipStream_tbENKUlT_T0_E_clISt17integral_constantIbLb1EES16_EEDaS11_S12_EUlS11_E_NS1_11comp_targetILNS1_3genE9ELNS1_11target_archE1100ELNS1_3gpuE3ELNS1_3repE0EEENS1_30default_config_static_selectorELNS0_4arch9wavefront6targetE0EEEvT1_, .Lfunc_end965-_ZN7rocprim17ROCPRIM_400000_NS6detail17trampoline_kernelINS0_14default_configENS1_29reduce_by_key_config_selectorIjtN6thrust23THRUST_200600_302600_NS4plusItEEEEZZNS1_33reduce_by_key_impl_wrapped_configILNS1_25lookback_scan_determinismE0ES3_S9_NS6_6detail15normal_iteratorINS6_10device_ptrIjEEEENSD_INSE_ItEEEENS6_16discard_iteratorINS6_11use_defaultEEESI_PmS8_NS6_8equal_toIjEEEE10hipError_tPvRmT2_T3_mT4_T5_T6_T7_T8_P12ihipStream_tbENKUlT_T0_E_clISt17integral_constantIbLb1EES16_EEDaS11_S12_EUlS11_E_NS1_11comp_targetILNS1_3genE9ELNS1_11target_archE1100ELNS1_3gpuE3ELNS1_3repE0EEENS1_30default_config_static_selectorELNS0_4arch9wavefront6targetE0EEEvT1_
                                        ; -- End function
	.section	.AMDGPU.csdata,"",@progbits
; Kernel info:
; codeLenInByte = 18476
; NumSgprs: 48
; NumVgprs: 89
; ScratchSize: 0
; MemoryBound: 0
; FloatMode: 240
; IeeeMode: 1
; LDSByteSize: 15360 bytes/workgroup (compile time only)
; SGPRBlocks: 5
; VGPRBlocks: 11
; NumSGPRsForWavesPerEU: 48
; NumVGPRsForWavesPerEU: 89
; Occupancy: 16
; WaveLimiterHint : 1
; COMPUTE_PGM_RSRC2:SCRATCH_EN: 0
; COMPUTE_PGM_RSRC2:USER_SGPR: 15
; COMPUTE_PGM_RSRC2:TRAP_HANDLER: 0
; COMPUTE_PGM_RSRC2:TGID_X_EN: 1
; COMPUTE_PGM_RSRC2:TGID_Y_EN: 0
; COMPUTE_PGM_RSRC2:TGID_Z_EN: 0
; COMPUTE_PGM_RSRC2:TIDIG_COMP_CNT: 0
	.section	.text._ZN7rocprim17ROCPRIM_400000_NS6detail17trampoline_kernelINS0_14default_configENS1_29reduce_by_key_config_selectorIjtN6thrust23THRUST_200600_302600_NS4plusItEEEEZZNS1_33reduce_by_key_impl_wrapped_configILNS1_25lookback_scan_determinismE0ES3_S9_NS6_6detail15normal_iteratorINS6_10device_ptrIjEEEENSD_INSE_ItEEEENS6_16discard_iteratorINS6_11use_defaultEEESI_PmS8_NS6_8equal_toIjEEEE10hipError_tPvRmT2_T3_mT4_T5_T6_T7_T8_P12ihipStream_tbENKUlT_T0_E_clISt17integral_constantIbLb1EES16_EEDaS11_S12_EUlS11_E_NS1_11comp_targetILNS1_3genE8ELNS1_11target_archE1030ELNS1_3gpuE2ELNS1_3repE0EEENS1_30default_config_static_selectorELNS0_4arch9wavefront6targetE0EEEvT1_,"axG",@progbits,_ZN7rocprim17ROCPRIM_400000_NS6detail17trampoline_kernelINS0_14default_configENS1_29reduce_by_key_config_selectorIjtN6thrust23THRUST_200600_302600_NS4plusItEEEEZZNS1_33reduce_by_key_impl_wrapped_configILNS1_25lookback_scan_determinismE0ES3_S9_NS6_6detail15normal_iteratorINS6_10device_ptrIjEEEENSD_INSE_ItEEEENS6_16discard_iteratorINS6_11use_defaultEEESI_PmS8_NS6_8equal_toIjEEEE10hipError_tPvRmT2_T3_mT4_T5_T6_T7_T8_P12ihipStream_tbENKUlT_T0_E_clISt17integral_constantIbLb1EES16_EEDaS11_S12_EUlS11_E_NS1_11comp_targetILNS1_3genE8ELNS1_11target_archE1030ELNS1_3gpuE2ELNS1_3repE0EEENS1_30default_config_static_selectorELNS0_4arch9wavefront6targetE0EEEvT1_,comdat
	.protected	_ZN7rocprim17ROCPRIM_400000_NS6detail17trampoline_kernelINS0_14default_configENS1_29reduce_by_key_config_selectorIjtN6thrust23THRUST_200600_302600_NS4plusItEEEEZZNS1_33reduce_by_key_impl_wrapped_configILNS1_25lookback_scan_determinismE0ES3_S9_NS6_6detail15normal_iteratorINS6_10device_ptrIjEEEENSD_INSE_ItEEEENS6_16discard_iteratorINS6_11use_defaultEEESI_PmS8_NS6_8equal_toIjEEEE10hipError_tPvRmT2_T3_mT4_T5_T6_T7_T8_P12ihipStream_tbENKUlT_T0_E_clISt17integral_constantIbLb1EES16_EEDaS11_S12_EUlS11_E_NS1_11comp_targetILNS1_3genE8ELNS1_11target_archE1030ELNS1_3gpuE2ELNS1_3repE0EEENS1_30default_config_static_selectorELNS0_4arch9wavefront6targetE0EEEvT1_ ; -- Begin function _ZN7rocprim17ROCPRIM_400000_NS6detail17trampoline_kernelINS0_14default_configENS1_29reduce_by_key_config_selectorIjtN6thrust23THRUST_200600_302600_NS4plusItEEEEZZNS1_33reduce_by_key_impl_wrapped_configILNS1_25lookback_scan_determinismE0ES3_S9_NS6_6detail15normal_iteratorINS6_10device_ptrIjEEEENSD_INSE_ItEEEENS6_16discard_iteratorINS6_11use_defaultEEESI_PmS8_NS6_8equal_toIjEEEE10hipError_tPvRmT2_T3_mT4_T5_T6_T7_T8_P12ihipStream_tbENKUlT_T0_E_clISt17integral_constantIbLb1EES16_EEDaS11_S12_EUlS11_E_NS1_11comp_targetILNS1_3genE8ELNS1_11target_archE1030ELNS1_3gpuE2ELNS1_3repE0EEENS1_30default_config_static_selectorELNS0_4arch9wavefront6targetE0EEEvT1_
	.globl	_ZN7rocprim17ROCPRIM_400000_NS6detail17trampoline_kernelINS0_14default_configENS1_29reduce_by_key_config_selectorIjtN6thrust23THRUST_200600_302600_NS4plusItEEEEZZNS1_33reduce_by_key_impl_wrapped_configILNS1_25lookback_scan_determinismE0ES3_S9_NS6_6detail15normal_iteratorINS6_10device_ptrIjEEEENSD_INSE_ItEEEENS6_16discard_iteratorINS6_11use_defaultEEESI_PmS8_NS6_8equal_toIjEEEE10hipError_tPvRmT2_T3_mT4_T5_T6_T7_T8_P12ihipStream_tbENKUlT_T0_E_clISt17integral_constantIbLb1EES16_EEDaS11_S12_EUlS11_E_NS1_11comp_targetILNS1_3genE8ELNS1_11target_archE1030ELNS1_3gpuE2ELNS1_3repE0EEENS1_30default_config_static_selectorELNS0_4arch9wavefront6targetE0EEEvT1_
	.p2align	8
	.type	_ZN7rocprim17ROCPRIM_400000_NS6detail17trampoline_kernelINS0_14default_configENS1_29reduce_by_key_config_selectorIjtN6thrust23THRUST_200600_302600_NS4plusItEEEEZZNS1_33reduce_by_key_impl_wrapped_configILNS1_25lookback_scan_determinismE0ES3_S9_NS6_6detail15normal_iteratorINS6_10device_ptrIjEEEENSD_INSE_ItEEEENS6_16discard_iteratorINS6_11use_defaultEEESI_PmS8_NS6_8equal_toIjEEEE10hipError_tPvRmT2_T3_mT4_T5_T6_T7_T8_P12ihipStream_tbENKUlT_T0_E_clISt17integral_constantIbLb1EES16_EEDaS11_S12_EUlS11_E_NS1_11comp_targetILNS1_3genE8ELNS1_11target_archE1030ELNS1_3gpuE2ELNS1_3repE0EEENS1_30default_config_static_selectorELNS0_4arch9wavefront6targetE0EEEvT1_,@function
_ZN7rocprim17ROCPRIM_400000_NS6detail17trampoline_kernelINS0_14default_configENS1_29reduce_by_key_config_selectorIjtN6thrust23THRUST_200600_302600_NS4plusItEEEEZZNS1_33reduce_by_key_impl_wrapped_configILNS1_25lookback_scan_determinismE0ES3_S9_NS6_6detail15normal_iteratorINS6_10device_ptrIjEEEENSD_INSE_ItEEEENS6_16discard_iteratorINS6_11use_defaultEEESI_PmS8_NS6_8equal_toIjEEEE10hipError_tPvRmT2_T3_mT4_T5_T6_T7_T8_P12ihipStream_tbENKUlT_T0_E_clISt17integral_constantIbLb1EES16_EEDaS11_S12_EUlS11_E_NS1_11comp_targetILNS1_3genE8ELNS1_11target_archE1030ELNS1_3gpuE2ELNS1_3repE0EEENS1_30default_config_static_selectorELNS0_4arch9wavefront6targetE0EEEvT1_: ; @_ZN7rocprim17ROCPRIM_400000_NS6detail17trampoline_kernelINS0_14default_configENS1_29reduce_by_key_config_selectorIjtN6thrust23THRUST_200600_302600_NS4plusItEEEEZZNS1_33reduce_by_key_impl_wrapped_configILNS1_25lookback_scan_determinismE0ES3_S9_NS6_6detail15normal_iteratorINS6_10device_ptrIjEEEENSD_INSE_ItEEEENS6_16discard_iteratorINS6_11use_defaultEEESI_PmS8_NS6_8equal_toIjEEEE10hipError_tPvRmT2_T3_mT4_T5_T6_T7_T8_P12ihipStream_tbENKUlT_T0_E_clISt17integral_constantIbLb1EES16_EEDaS11_S12_EUlS11_E_NS1_11comp_targetILNS1_3genE8ELNS1_11target_archE1030ELNS1_3gpuE2ELNS1_3repE0EEENS1_30default_config_static_selectorELNS0_4arch9wavefront6targetE0EEEvT1_
; %bb.0:
	.section	.rodata,"a",@progbits
	.p2align	6, 0x0
	.amdhsa_kernel _ZN7rocprim17ROCPRIM_400000_NS6detail17trampoline_kernelINS0_14default_configENS1_29reduce_by_key_config_selectorIjtN6thrust23THRUST_200600_302600_NS4plusItEEEEZZNS1_33reduce_by_key_impl_wrapped_configILNS1_25lookback_scan_determinismE0ES3_S9_NS6_6detail15normal_iteratorINS6_10device_ptrIjEEEENSD_INSE_ItEEEENS6_16discard_iteratorINS6_11use_defaultEEESI_PmS8_NS6_8equal_toIjEEEE10hipError_tPvRmT2_T3_mT4_T5_T6_T7_T8_P12ihipStream_tbENKUlT_T0_E_clISt17integral_constantIbLb1EES16_EEDaS11_S12_EUlS11_E_NS1_11comp_targetILNS1_3genE8ELNS1_11target_archE1030ELNS1_3gpuE2ELNS1_3repE0EEENS1_30default_config_static_selectorELNS0_4arch9wavefront6targetE0EEEvT1_
		.amdhsa_group_segment_fixed_size 0
		.amdhsa_private_segment_fixed_size 0
		.amdhsa_kernarg_size 128
		.amdhsa_user_sgpr_count 15
		.amdhsa_user_sgpr_dispatch_ptr 0
		.amdhsa_user_sgpr_queue_ptr 0
		.amdhsa_user_sgpr_kernarg_segment_ptr 1
		.amdhsa_user_sgpr_dispatch_id 0
		.amdhsa_user_sgpr_private_segment_size 0
		.amdhsa_wavefront_size32 1
		.amdhsa_uses_dynamic_stack 0
		.amdhsa_enable_private_segment 0
		.amdhsa_system_sgpr_workgroup_id_x 1
		.amdhsa_system_sgpr_workgroup_id_y 0
		.amdhsa_system_sgpr_workgroup_id_z 0
		.amdhsa_system_sgpr_workgroup_info 0
		.amdhsa_system_vgpr_workitem_id 0
		.amdhsa_next_free_vgpr 1
		.amdhsa_next_free_sgpr 1
		.amdhsa_reserve_vcc 0
		.amdhsa_float_round_mode_32 0
		.amdhsa_float_round_mode_16_64 0
		.amdhsa_float_denorm_mode_32 3
		.amdhsa_float_denorm_mode_16_64 3
		.amdhsa_dx10_clamp 1
		.amdhsa_ieee_mode 1
		.amdhsa_fp16_overflow 0
		.amdhsa_workgroup_processor_mode 1
		.amdhsa_memory_ordered 1
		.amdhsa_forward_progress 0
		.amdhsa_shared_vgpr_count 0
		.amdhsa_exception_fp_ieee_invalid_op 0
		.amdhsa_exception_fp_denorm_src 0
		.amdhsa_exception_fp_ieee_div_zero 0
		.amdhsa_exception_fp_ieee_overflow 0
		.amdhsa_exception_fp_ieee_underflow 0
		.amdhsa_exception_fp_ieee_inexact 0
		.amdhsa_exception_int_div_zero 0
	.end_amdhsa_kernel
	.section	.text._ZN7rocprim17ROCPRIM_400000_NS6detail17trampoline_kernelINS0_14default_configENS1_29reduce_by_key_config_selectorIjtN6thrust23THRUST_200600_302600_NS4plusItEEEEZZNS1_33reduce_by_key_impl_wrapped_configILNS1_25lookback_scan_determinismE0ES3_S9_NS6_6detail15normal_iteratorINS6_10device_ptrIjEEEENSD_INSE_ItEEEENS6_16discard_iteratorINS6_11use_defaultEEESI_PmS8_NS6_8equal_toIjEEEE10hipError_tPvRmT2_T3_mT4_T5_T6_T7_T8_P12ihipStream_tbENKUlT_T0_E_clISt17integral_constantIbLb1EES16_EEDaS11_S12_EUlS11_E_NS1_11comp_targetILNS1_3genE8ELNS1_11target_archE1030ELNS1_3gpuE2ELNS1_3repE0EEENS1_30default_config_static_selectorELNS0_4arch9wavefront6targetE0EEEvT1_,"axG",@progbits,_ZN7rocprim17ROCPRIM_400000_NS6detail17trampoline_kernelINS0_14default_configENS1_29reduce_by_key_config_selectorIjtN6thrust23THRUST_200600_302600_NS4plusItEEEEZZNS1_33reduce_by_key_impl_wrapped_configILNS1_25lookback_scan_determinismE0ES3_S9_NS6_6detail15normal_iteratorINS6_10device_ptrIjEEEENSD_INSE_ItEEEENS6_16discard_iteratorINS6_11use_defaultEEESI_PmS8_NS6_8equal_toIjEEEE10hipError_tPvRmT2_T3_mT4_T5_T6_T7_T8_P12ihipStream_tbENKUlT_T0_E_clISt17integral_constantIbLb1EES16_EEDaS11_S12_EUlS11_E_NS1_11comp_targetILNS1_3genE8ELNS1_11target_archE1030ELNS1_3gpuE2ELNS1_3repE0EEENS1_30default_config_static_selectorELNS0_4arch9wavefront6targetE0EEEvT1_,comdat
.Lfunc_end966:
	.size	_ZN7rocprim17ROCPRIM_400000_NS6detail17trampoline_kernelINS0_14default_configENS1_29reduce_by_key_config_selectorIjtN6thrust23THRUST_200600_302600_NS4plusItEEEEZZNS1_33reduce_by_key_impl_wrapped_configILNS1_25lookback_scan_determinismE0ES3_S9_NS6_6detail15normal_iteratorINS6_10device_ptrIjEEEENSD_INSE_ItEEEENS6_16discard_iteratorINS6_11use_defaultEEESI_PmS8_NS6_8equal_toIjEEEE10hipError_tPvRmT2_T3_mT4_T5_T6_T7_T8_P12ihipStream_tbENKUlT_T0_E_clISt17integral_constantIbLb1EES16_EEDaS11_S12_EUlS11_E_NS1_11comp_targetILNS1_3genE8ELNS1_11target_archE1030ELNS1_3gpuE2ELNS1_3repE0EEENS1_30default_config_static_selectorELNS0_4arch9wavefront6targetE0EEEvT1_, .Lfunc_end966-_ZN7rocprim17ROCPRIM_400000_NS6detail17trampoline_kernelINS0_14default_configENS1_29reduce_by_key_config_selectorIjtN6thrust23THRUST_200600_302600_NS4plusItEEEEZZNS1_33reduce_by_key_impl_wrapped_configILNS1_25lookback_scan_determinismE0ES3_S9_NS6_6detail15normal_iteratorINS6_10device_ptrIjEEEENSD_INSE_ItEEEENS6_16discard_iteratorINS6_11use_defaultEEESI_PmS8_NS6_8equal_toIjEEEE10hipError_tPvRmT2_T3_mT4_T5_T6_T7_T8_P12ihipStream_tbENKUlT_T0_E_clISt17integral_constantIbLb1EES16_EEDaS11_S12_EUlS11_E_NS1_11comp_targetILNS1_3genE8ELNS1_11target_archE1030ELNS1_3gpuE2ELNS1_3repE0EEENS1_30default_config_static_selectorELNS0_4arch9wavefront6targetE0EEEvT1_
                                        ; -- End function
	.section	.AMDGPU.csdata,"",@progbits
; Kernel info:
; codeLenInByte = 0
; NumSgprs: 0
; NumVgprs: 0
; ScratchSize: 0
; MemoryBound: 0
; FloatMode: 240
; IeeeMode: 1
; LDSByteSize: 0 bytes/workgroup (compile time only)
; SGPRBlocks: 0
; VGPRBlocks: 0
; NumSGPRsForWavesPerEU: 1
; NumVGPRsForWavesPerEU: 1
; Occupancy: 16
; WaveLimiterHint : 0
; COMPUTE_PGM_RSRC2:SCRATCH_EN: 0
; COMPUTE_PGM_RSRC2:USER_SGPR: 15
; COMPUTE_PGM_RSRC2:TRAP_HANDLER: 0
; COMPUTE_PGM_RSRC2:TGID_X_EN: 1
; COMPUTE_PGM_RSRC2:TGID_Y_EN: 0
; COMPUTE_PGM_RSRC2:TGID_Z_EN: 0
; COMPUTE_PGM_RSRC2:TIDIG_COMP_CNT: 0
	.section	.text._ZN7rocprim17ROCPRIM_400000_NS6detail17trampoline_kernelINS0_14default_configENS1_29reduce_by_key_config_selectorIjtN6thrust23THRUST_200600_302600_NS4plusItEEEEZZNS1_33reduce_by_key_impl_wrapped_configILNS1_25lookback_scan_determinismE0ES3_S9_NS6_6detail15normal_iteratorINS6_10device_ptrIjEEEENSD_INSE_ItEEEENS6_16discard_iteratorINS6_11use_defaultEEESI_PmS8_NS6_8equal_toIjEEEE10hipError_tPvRmT2_T3_mT4_T5_T6_T7_T8_P12ihipStream_tbENKUlT_T0_E_clISt17integral_constantIbLb1EES15_IbLb0EEEEDaS11_S12_EUlS11_E_NS1_11comp_targetILNS1_3genE0ELNS1_11target_archE4294967295ELNS1_3gpuE0ELNS1_3repE0EEENS1_30default_config_static_selectorELNS0_4arch9wavefront6targetE0EEEvT1_,"axG",@progbits,_ZN7rocprim17ROCPRIM_400000_NS6detail17trampoline_kernelINS0_14default_configENS1_29reduce_by_key_config_selectorIjtN6thrust23THRUST_200600_302600_NS4plusItEEEEZZNS1_33reduce_by_key_impl_wrapped_configILNS1_25lookback_scan_determinismE0ES3_S9_NS6_6detail15normal_iteratorINS6_10device_ptrIjEEEENSD_INSE_ItEEEENS6_16discard_iteratorINS6_11use_defaultEEESI_PmS8_NS6_8equal_toIjEEEE10hipError_tPvRmT2_T3_mT4_T5_T6_T7_T8_P12ihipStream_tbENKUlT_T0_E_clISt17integral_constantIbLb1EES15_IbLb0EEEEDaS11_S12_EUlS11_E_NS1_11comp_targetILNS1_3genE0ELNS1_11target_archE4294967295ELNS1_3gpuE0ELNS1_3repE0EEENS1_30default_config_static_selectorELNS0_4arch9wavefront6targetE0EEEvT1_,comdat
	.protected	_ZN7rocprim17ROCPRIM_400000_NS6detail17trampoline_kernelINS0_14default_configENS1_29reduce_by_key_config_selectorIjtN6thrust23THRUST_200600_302600_NS4plusItEEEEZZNS1_33reduce_by_key_impl_wrapped_configILNS1_25lookback_scan_determinismE0ES3_S9_NS6_6detail15normal_iteratorINS6_10device_ptrIjEEEENSD_INSE_ItEEEENS6_16discard_iteratorINS6_11use_defaultEEESI_PmS8_NS6_8equal_toIjEEEE10hipError_tPvRmT2_T3_mT4_T5_T6_T7_T8_P12ihipStream_tbENKUlT_T0_E_clISt17integral_constantIbLb1EES15_IbLb0EEEEDaS11_S12_EUlS11_E_NS1_11comp_targetILNS1_3genE0ELNS1_11target_archE4294967295ELNS1_3gpuE0ELNS1_3repE0EEENS1_30default_config_static_selectorELNS0_4arch9wavefront6targetE0EEEvT1_ ; -- Begin function _ZN7rocprim17ROCPRIM_400000_NS6detail17trampoline_kernelINS0_14default_configENS1_29reduce_by_key_config_selectorIjtN6thrust23THRUST_200600_302600_NS4plusItEEEEZZNS1_33reduce_by_key_impl_wrapped_configILNS1_25lookback_scan_determinismE0ES3_S9_NS6_6detail15normal_iteratorINS6_10device_ptrIjEEEENSD_INSE_ItEEEENS6_16discard_iteratorINS6_11use_defaultEEESI_PmS8_NS6_8equal_toIjEEEE10hipError_tPvRmT2_T3_mT4_T5_T6_T7_T8_P12ihipStream_tbENKUlT_T0_E_clISt17integral_constantIbLb1EES15_IbLb0EEEEDaS11_S12_EUlS11_E_NS1_11comp_targetILNS1_3genE0ELNS1_11target_archE4294967295ELNS1_3gpuE0ELNS1_3repE0EEENS1_30default_config_static_selectorELNS0_4arch9wavefront6targetE0EEEvT1_
	.globl	_ZN7rocprim17ROCPRIM_400000_NS6detail17trampoline_kernelINS0_14default_configENS1_29reduce_by_key_config_selectorIjtN6thrust23THRUST_200600_302600_NS4plusItEEEEZZNS1_33reduce_by_key_impl_wrapped_configILNS1_25lookback_scan_determinismE0ES3_S9_NS6_6detail15normal_iteratorINS6_10device_ptrIjEEEENSD_INSE_ItEEEENS6_16discard_iteratorINS6_11use_defaultEEESI_PmS8_NS6_8equal_toIjEEEE10hipError_tPvRmT2_T3_mT4_T5_T6_T7_T8_P12ihipStream_tbENKUlT_T0_E_clISt17integral_constantIbLb1EES15_IbLb0EEEEDaS11_S12_EUlS11_E_NS1_11comp_targetILNS1_3genE0ELNS1_11target_archE4294967295ELNS1_3gpuE0ELNS1_3repE0EEENS1_30default_config_static_selectorELNS0_4arch9wavefront6targetE0EEEvT1_
	.p2align	8
	.type	_ZN7rocprim17ROCPRIM_400000_NS6detail17trampoline_kernelINS0_14default_configENS1_29reduce_by_key_config_selectorIjtN6thrust23THRUST_200600_302600_NS4plusItEEEEZZNS1_33reduce_by_key_impl_wrapped_configILNS1_25lookback_scan_determinismE0ES3_S9_NS6_6detail15normal_iteratorINS6_10device_ptrIjEEEENSD_INSE_ItEEEENS6_16discard_iteratorINS6_11use_defaultEEESI_PmS8_NS6_8equal_toIjEEEE10hipError_tPvRmT2_T3_mT4_T5_T6_T7_T8_P12ihipStream_tbENKUlT_T0_E_clISt17integral_constantIbLb1EES15_IbLb0EEEEDaS11_S12_EUlS11_E_NS1_11comp_targetILNS1_3genE0ELNS1_11target_archE4294967295ELNS1_3gpuE0ELNS1_3repE0EEENS1_30default_config_static_selectorELNS0_4arch9wavefront6targetE0EEEvT1_,@function
_ZN7rocprim17ROCPRIM_400000_NS6detail17trampoline_kernelINS0_14default_configENS1_29reduce_by_key_config_selectorIjtN6thrust23THRUST_200600_302600_NS4plusItEEEEZZNS1_33reduce_by_key_impl_wrapped_configILNS1_25lookback_scan_determinismE0ES3_S9_NS6_6detail15normal_iteratorINS6_10device_ptrIjEEEENSD_INSE_ItEEEENS6_16discard_iteratorINS6_11use_defaultEEESI_PmS8_NS6_8equal_toIjEEEE10hipError_tPvRmT2_T3_mT4_T5_T6_T7_T8_P12ihipStream_tbENKUlT_T0_E_clISt17integral_constantIbLb1EES15_IbLb0EEEEDaS11_S12_EUlS11_E_NS1_11comp_targetILNS1_3genE0ELNS1_11target_archE4294967295ELNS1_3gpuE0ELNS1_3repE0EEENS1_30default_config_static_selectorELNS0_4arch9wavefront6targetE0EEEvT1_: ; @_ZN7rocprim17ROCPRIM_400000_NS6detail17trampoline_kernelINS0_14default_configENS1_29reduce_by_key_config_selectorIjtN6thrust23THRUST_200600_302600_NS4plusItEEEEZZNS1_33reduce_by_key_impl_wrapped_configILNS1_25lookback_scan_determinismE0ES3_S9_NS6_6detail15normal_iteratorINS6_10device_ptrIjEEEENSD_INSE_ItEEEENS6_16discard_iteratorINS6_11use_defaultEEESI_PmS8_NS6_8equal_toIjEEEE10hipError_tPvRmT2_T3_mT4_T5_T6_T7_T8_P12ihipStream_tbENKUlT_T0_E_clISt17integral_constantIbLb1EES15_IbLb0EEEEDaS11_S12_EUlS11_E_NS1_11comp_targetILNS1_3genE0ELNS1_11target_archE4294967295ELNS1_3gpuE0ELNS1_3repE0EEENS1_30default_config_static_selectorELNS0_4arch9wavefront6targetE0EEEvT1_
; %bb.0:
	.section	.rodata,"a",@progbits
	.p2align	6, 0x0
	.amdhsa_kernel _ZN7rocprim17ROCPRIM_400000_NS6detail17trampoline_kernelINS0_14default_configENS1_29reduce_by_key_config_selectorIjtN6thrust23THRUST_200600_302600_NS4plusItEEEEZZNS1_33reduce_by_key_impl_wrapped_configILNS1_25lookback_scan_determinismE0ES3_S9_NS6_6detail15normal_iteratorINS6_10device_ptrIjEEEENSD_INSE_ItEEEENS6_16discard_iteratorINS6_11use_defaultEEESI_PmS8_NS6_8equal_toIjEEEE10hipError_tPvRmT2_T3_mT4_T5_T6_T7_T8_P12ihipStream_tbENKUlT_T0_E_clISt17integral_constantIbLb1EES15_IbLb0EEEEDaS11_S12_EUlS11_E_NS1_11comp_targetILNS1_3genE0ELNS1_11target_archE4294967295ELNS1_3gpuE0ELNS1_3repE0EEENS1_30default_config_static_selectorELNS0_4arch9wavefront6targetE0EEEvT1_
		.amdhsa_group_segment_fixed_size 0
		.amdhsa_private_segment_fixed_size 0
		.amdhsa_kernarg_size 128
		.amdhsa_user_sgpr_count 15
		.amdhsa_user_sgpr_dispatch_ptr 0
		.amdhsa_user_sgpr_queue_ptr 0
		.amdhsa_user_sgpr_kernarg_segment_ptr 1
		.amdhsa_user_sgpr_dispatch_id 0
		.amdhsa_user_sgpr_private_segment_size 0
		.amdhsa_wavefront_size32 1
		.amdhsa_uses_dynamic_stack 0
		.amdhsa_enable_private_segment 0
		.amdhsa_system_sgpr_workgroup_id_x 1
		.amdhsa_system_sgpr_workgroup_id_y 0
		.amdhsa_system_sgpr_workgroup_id_z 0
		.amdhsa_system_sgpr_workgroup_info 0
		.amdhsa_system_vgpr_workitem_id 0
		.amdhsa_next_free_vgpr 1
		.amdhsa_next_free_sgpr 1
		.amdhsa_reserve_vcc 0
		.amdhsa_float_round_mode_32 0
		.amdhsa_float_round_mode_16_64 0
		.amdhsa_float_denorm_mode_32 3
		.amdhsa_float_denorm_mode_16_64 3
		.amdhsa_dx10_clamp 1
		.amdhsa_ieee_mode 1
		.amdhsa_fp16_overflow 0
		.amdhsa_workgroup_processor_mode 1
		.amdhsa_memory_ordered 1
		.amdhsa_forward_progress 0
		.amdhsa_shared_vgpr_count 0
		.amdhsa_exception_fp_ieee_invalid_op 0
		.amdhsa_exception_fp_denorm_src 0
		.amdhsa_exception_fp_ieee_div_zero 0
		.amdhsa_exception_fp_ieee_overflow 0
		.amdhsa_exception_fp_ieee_underflow 0
		.amdhsa_exception_fp_ieee_inexact 0
		.amdhsa_exception_int_div_zero 0
	.end_amdhsa_kernel
	.section	.text._ZN7rocprim17ROCPRIM_400000_NS6detail17trampoline_kernelINS0_14default_configENS1_29reduce_by_key_config_selectorIjtN6thrust23THRUST_200600_302600_NS4plusItEEEEZZNS1_33reduce_by_key_impl_wrapped_configILNS1_25lookback_scan_determinismE0ES3_S9_NS6_6detail15normal_iteratorINS6_10device_ptrIjEEEENSD_INSE_ItEEEENS6_16discard_iteratorINS6_11use_defaultEEESI_PmS8_NS6_8equal_toIjEEEE10hipError_tPvRmT2_T3_mT4_T5_T6_T7_T8_P12ihipStream_tbENKUlT_T0_E_clISt17integral_constantIbLb1EES15_IbLb0EEEEDaS11_S12_EUlS11_E_NS1_11comp_targetILNS1_3genE0ELNS1_11target_archE4294967295ELNS1_3gpuE0ELNS1_3repE0EEENS1_30default_config_static_selectorELNS0_4arch9wavefront6targetE0EEEvT1_,"axG",@progbits,_ZN7rocprim17ROCPRIM_400000_NS6detail17trampoline_kernelINS0_14default_configENS1_29reduce_by_key_config_selectorIjtN6thrust23THRUST_200600_302600_NS4plusItEEEEZZNS1_33reduce_by_key_impl_wrapped_configILNS1_25lookback_scan_determinismE0ES3_S9_NS6_6detail15normal_iteratorINS6_10device_ptrIjEEEENSD_INSE_ItEEEENS6_16discard_iteratorINS6_11use_defaultEEESI_PmS8_NS6_8equal_toIjEEEE10hipError_tPvRmT2_T3_mT4_T5_T6_T7_T8_P12ihipStream_tbENKUlT_T0_E_clISt17integral_constantIbLb1EES15_IbLb0EEEEDaS11_S12_EUlS11_E_NS1_11comp_targetILNS1_3genE0ELNS1_11target_archE4294967295ELNS1_3gpuE0ELNS1_3repE0EEENS1_30default_config_static_selectorELNS0_4arch9wavefront6targetE0EEEvT1_,comdat
.Lfunc_end967:
	.size	_ZN7rocprim17ROCPRIM_400000_NS6detail17trampoline_kernelINS0_14default_configENS1_29reduce_by_key_config_selectorIjtN6thrust23THRUST_200600_302600_NS4plusItEEEEZZNS1_33reduce_by_key_impl_wrapped_configILNS1_25lookback_scan_determinismE0ES3_S9_NS6_6detail15normal_iteratorINS6_10device_ptrIjEEEENSD_INSE_ItEEEENS6_16discard_iteratorINS6_11use_defaultEEESI_PmS8_NS6_8equal_toIjEEEE10hipError_tPvRmT2_T3_mT4_T5_T6_T7_T8_P12ihipStream_tbENKUlT_T0_E_clISt17integral_constantIbLb1EES15_IbLb0EEEEDaS11_S12_EUlS11_E_NS1_11comp_targetILNS1_3genE0ELNS1_11target_archE4294967295ELNS1_3gpuE0ELNS1_3repE0EEENS1_30default_config_static_selectorELNS0_4arch9wavefront6targetE0EEEvT1_, .Lfunc_end967-_ZN7rocprim17ROCPRIM_400000_NS6detail17trampoline_kernelINS0_14default_configENS1_29reduce_by_key_config_selectorIjtN6thrust23THRUST_200600_302600_NS4plusItEEEEZZNS1_33reduce_by_key_impl_wrapped_configILNS1_25lookback_scan_determinismE0ES3_S9_NS6_6detail15normal_iteratorINS6_10device_ptrIjEEEENSD_INSE_ItEEEENS6_16discard_iteratorINS6_11use_defaultEEESI_PmS8_NS6_8equal_toIjEEEE10hipError_tPvRmT2_T3_mT4_T5_T6_T7_T8_P12ihipStream_tbENKUlT_T0_E_clISt17integral_constantIbLb1EES15_IbLb0EEEEDaS11_S12_EUlS11_E_NS1_11comp_targetILNS1_3genE0ELNS1_11target_archE4294967295ELNS1_3gpuE0ELNS1_3repE0EEENS1_30default_config_static_selectorELNS0_4arch9wavefront6targetE0EEEvT1_
                                        ; -- End function
	.section	.AMDGPU.csdata,"",@progbits
; Kernel info:
; codeLenInByte = 0
; NumSgprs: 0
; NumVgprs: 0
; ScratchSize: 0
; MemoryBound: 0
; FloatMode: 240
; IeeeMode: 1
; LDSByteSize: 0 bytes/workgroup (compile time only)
; SGPRBlocks: 0
; VGPRBlocks: 0
; NumSGPRsForWavesPerEU: 1
; NumVGPRsForWavesPerEU: 1
; Occupancy: 16
; WaveLimiterHint : 0
; COMPUTE_PGM_RSRC2:SCRATCH_EN: 0
; COMPUTE_PGM_RSRC2:USER_SGPR: 15
; COMPUTE_PGM_RSRC2:TRAP_HANDLER: 0
; COMPUTE_PGM_RSRC2:TGID_X_EN: 1
; COMPUTE_PGM_RSRC2:TGID_Y_EN: 0
; COMPUTE_PGM_RSRC2:TGID_Z_EN: 0
; COMPUTE_PGM_RSRC2:TIDIG_COMP_CNT: 0
	.section	.text._ZN7rocprim17ROCPRIM_400000_NS6detail17trampoline_kernelINS0_14default_configENS1_29reduce_by_key_config_selectorIjtN6thrust23THRUST_200600_302600_NS4plusItEEEEZZNS1_33reduce_by_key_impl_wrapped_configILNS1_25lookback_scan_determinismE0ES3_S9_NS6_6detail15normal_iteratorINS6_10device_ptrIjEEEENSD_INSE_ItEEEENS6_16discard_iteratorINS6_11use_defaultEEESI_PmS8_NS6_8equal_toIjEEEE10hipError_tPvRmT2_T3_mT4_T5_T6_T7_T8_P12ihipStream_tbENKUlT_T0_E_clISt17integral_constantIbLb1EES15_IbLb0EEEEDaS11_S12_EUlS11_E_NS1_11comp_targetILNS1_3genE5ELNS1_11target_archE942ELNS1_3gpuE9ELNS1_3repE0EEENS1_30default_config_static_selectorELNS0_4arch9wavefront6targetE0EEEvT1_,"axG",@progbits,_ZN7rocprim17ROCPRIM_400000_NS6detail17trampoline_kernelINS0_14default_configENS1_29reduce_by_key_config_selectorIjtN6thrust23THRUST_200600_302600_NS4plusItEEEEZZNS1_33reduce_by_key_impl_wrapped_configILNS1_25lookback_scan_determinismE0ES3_S9_NS6_6detail15normal_iteratorINS6_10device_ptrIjEEEENSD_INSE_ItEEEENS6_16discard_iteratorINS6_11use_defaultEEESI_PmS8_NS6_8equal_toIjEEEE10hipError_tPvRmT2_T3_mT4_T5_T6_T7_T8_P12ihipStream_tbENKUlT_T0_E_clISt17integral_constantIbLb1EES15_IbLb0EEEEDaS11_S12_EUlS11_E_NS1_11comp_targetILNS1_3genE5ELNS1_11target_archE942ELNS1_3gpuE9ELNS1_3repE0EEENS1_30default_config_static_selectorELNS0_4arch9wavefront6targetE0EEEvT1_,comdat
	.protected	_ZN7rocprim17ROCPRIM_400000_NS6detail17trampoline_kernelINS0_14default_configENS1_29reduce_by_key_config_selectorIjtN6thrust23THRUST_200600_302600_NS4plusItEEEEZZNS1_33reduce_by_key_impl_wrapped_configILNS1_25lookback_scan_determinismE0ES3_S9_NS6_6detail15normal_iteratorINS6_10device_ptrIjEEEENSD_INSE_ItEEEENS6_16discard_iteratorINS6_11use_defaultEEESI_PmS8_NS6_8equal_toIjEEEE10hipError_tPvRmT2_T3_mT4_T5_T6_T7_T8_P12ihipStream_tbENKUlT_T0_E_clISt17integral_constantIbLb1EES15_IbLb0EEEEDaS11_S12_EUlS11_E_NS1_11comp_targetILNS1_3genE5ELNS1_11target_archE942ELNS1_3gpuE9ELNS1_3repE0EEENS1_30default_config_static_selectorELNS0_4arch9wavefront6targetE0EEEvT1_ ; -- Begin function _ZN7rocprim17ROCPRIM_400000_NS6detail17trampoline_kernelINS0_14default_configENS1_29reduce_by_key_config_selectorIjtN6thrust23THRUST_200600_302600_NS4plusItEEEEZZNS1_33reduce_by_key_impl_wrapped_configILNS1_25lookback_scan_determinismE0ES3_S9_NS6_6detail15normal_iteratorINS6_10device_ptrIjEEEENSD_INSE_ItEEEENS6_16discard_iteratorINS6_11use_defaultEEESI_PmS8_NS6_8equal_toIjEEEE10hipError_tPvRmT2_T3_mT4_T5_T6_T7_T8_P12ihipStream_tbENKUlT_T0_E_clISt17integral_constantIbLb1EES15_IbLb0EEEEDaS11_S12_EUlS11_E_NS1_11comp_targetILNS1_3genE5ELNS1_11target_archE942ELNS1_3gpuE9ELNS1_3repE0EEENS1_30default_config_static_selectorELNS0_4arch9wavefront6targetE0EEEvT1_
	.globl	_ZN7rocprim17ROCPRIM_400000_NS6detail17trampoline_kernelINS0_14default_configENS1_29reduce_by_key_config_selectorIjtN6thrust23THRUST_200600_302600_NS4plusItEEEEZZNS1_33reduce_by_key_impl_wrapped_configILNS1_25lookback_scan_determinismE0ES3_S9_NS6_6detail15normal_iteratorINS6_10device_ptrIjEEEENSD_INSE_ItEEEENS6_16discard_iteratorINS6_11use_defaultEEESI_PmS8_NS6_8equal_toIjEEEE10hipError_tPvRmT2_T3_mT4_T5_T6_T7_T8_P12ihipStream_tbENKUlT_T0_E_clISt17integral_constantIbLb1EES15_IbLb0EEEEDaS11_S12_EUlS11_E_NS1_11comp_targetILNS1_3genE5ELNS1_11target_archE942ELNS1_3gpuE9ELNS1_3repE0EEENS1_30default_config_static_selectorELNS0_4arch9wavefront6targetE0EEEvT1_
	.p2align	8
	.type	_ZN7rocprim17ROCPRIM_400000_NS6detail17trampoline_kernelINS0_14default_configENS1_29reduce_by_key_config_selectorIjtN6thrust23THRUST_200600_302600_NS4plusItEEEEZZNS1_33reduce_by_key_impl_wrapped_configILNS1_25lookback_scan_determinismE0ES3_S9_NS6_6detail15normal_iteratorINS6_10device_ptrIjEEEENSD_INSE_ItEEEENS6_16discard_iteratorINS6_11use_defaultEEESI_PmS8_NS6_8equal_toIjEEEE10hipError_tPvRmT2_T3_mT4_T5_T6_T7_T8_P12ihipStream_tbENKUlT_T0_E_clISt17integral_constantIbLb1EES15_IbLb0EEEEDaS11_S12_EUlS11_E_NS1_11comp_targetILNS1_3genE5ELNS1_11target_archE942ELNS1_3gpuE9ELNS1_3repE0EEENS1_30default_config_static_selectorELNS0_4arch9wavefront6targetE0EEEvT1_,@function
_ZN7rocprim17ROCPRIM_400000_NS6detail17trampoline_kernelINS0_14default_configENS1_29reduce_by_key_config_selectorIjtN6thrust23THRUST_200600_302600_NS4plusItEEEEZZNS1_33reduce_by_key_impl_wrapped_configILNS1_25lookback_scan_determinismE0ES3_S9_NS6_6detail15normal_iteratorINS6_10device_ptrIjEEEENSD_INSE_ItEEEENS6_16discard_iteratorINS6_11use_defaultEEESI_PmS8_NS6_8equal_toIjEEEE10hipError_tPvRmT2_T3_mT4_T5_T6_T7_T8_P12ihipStream_tbENKUlT_T0_E_clISt17integral_constantIbLb1EES15_IbLb0EEEEDaS11_S12_EUlS11_E_NS1_11comp_targetILNS1_3genE5ELNS1_11target_archE942ELNS1_3gpuE9ELNS1_3repE0EEENS1_30default_config_static_selectorELNS0_4arch9wavefront6targetE0EEEvT1_: ; @_ZN7rocprim17ROCPRIM_400000_NS6detail17trampoline_kernelINS0_14default_configENS1_29reduce_by_key_config_selectorIjtN6thrust23THRUST_200600_302600_NS4plusItEEEEZZNS1_33reduce_by_key_impl_wrapped_configILNS1_25lookback_scan_determinismE0ES3_S9_NS6_6detail15normal_iteratorINS6_10device_ptrIjEEEENSD_INSE_ItEEEENS6_16discard_iteratorINS6_11use_defaultEEESI_PmS8_NS6_8equal_toIjEEEE10hipError_tPvRmT2_T3_mT4_T5_T6_T7_T8_P12ihipStream_tbENKUlT_T0_E_clISt17integral_constantIbLb1EES15_IbLb0EEEEDaS11_S12_EUlS11_E_NS1_11comp_targetILNS1_3genE5ELNS1_11target_archE942ELNS1_3gpuE9ELNS1_3repE0EEENS1_30default_config_static_selectorELNS0_4arch9wavefront6targetE0EEEvT1_
; %bb.0:
	.section	.rodata,"a",@progbits
	.p2align	6, 0x0
	.amdhsa_kernel _ZN7rocprim17ROCPRIM_400000_NS6detail17trampoline_kernelINS0_14default_configENS1_29reduce_by_key_config_selectorIjtN6thrust23THRUST_200600_302600_NS4plusItEEEEZZNS1_33reduce_by_key_impl_wrapped_configILNS1_25lookback_scan_determinismE0ES3_S9_NS6_6detail15normal_iteratorINS6_10device_ptrIjEEEENSD_INSE_ItEEEENS6_16discard_iteratorINS6_11use_defaultEEESI_PmS8_NS6_8equal_toIjEEEE10hipError_tPvRmT2_T3_mT4_T5_T6_T7_T8_P12ihipStream_tbENKUlT_T0_E_clISt17integral_constantIbLb1EES15_IbLb0EEEEDaS11_S12_EUlS11_E_NS1_11comp_targetILNS1_3genE5ELNS1_11target_archE942ELNS1_3gpuE9ELNS1_3repE0EEENS1_30default_config_static_selectorELNS0_4arch9wavefront6targetE0EEEvT1_
		.amdhsa_group_segment_fixed_size 0
		.amdhsa_private_segment_fixed_size 0
		.amdhsa_kernarg_size 128
		.amdhsa_user_sgpr_count 15
		.amdhsa_user_sgpr_dispatch_ptr 0
		.amdhsa_user_sgpr_queue_ptr 0
		.amdhsa_user_sgpr_kernarg_segment_ptr 1
		.amdhsa_user_sgpr_dispatch_id 0
		.amdhsa_user_sgpr_private_segment_size 0
		.amdhsa_wavefront_size32 1
		.amdhsa_uses_dynamic_stack 0
		.amdhsa_enable_private_segment 0
		.amdhsa_system_sgpr_workgroup_id_x 1
		.amdhsa_system_sgpr_workgroup_id_y 0
		.amdhsa_system_sgpr_workgroup_id_z 0
		.amdhsa_system_sgpr_workgroup_info 0
		.amdhsa_system_vgpr_workitem_id 0
		.amdhsa_next_free_vgpr 1
		.amdhsa_next_free_sgpr 1
		.amdhsa_reserve_vcc 0
		.amdhsa_float_round_mode_32 0
		.amdhsa_float_round_mode_16_64 0
		.amdhsa_float_denorm_mode_32 3
		.amdhsa_float_denorm_mode_16_64 3
		.amdhsa_dx10_clamp 1
		.amdhsa_ieee_mode 1
		.amdhsa_fp16_overflow 0
		.amdhsa_workgroup_processor_mode 1
		.amdhsa_memory_ordered 1
		.amdhsa_forward_progress 0
		.amdhsa_shared_vgpr_count 0
		.amdhsa_exception_fp_ieee_invalid_op 0
		.amdhsa_exception_fp_denorm_src 0
		.amdhsa_exception_fp_ieee_div_zero 0
		.amdhsa_exception_fp_ieee_overflow 0
		.amdhsa_exception_fp_ieee_underflow 0
		.amdhsa_exception_fp_ieee_inexact 0
		.amdhsa_exception_int_div_zero 0
	.end_amdhsa_kernel
	.section	.text._ZN7rocprim17ROCPRIM_400000_NS6detail17trampoline_kernelINS0_14default_configENS1_29reduce_by_key_config_selectorIjtN6thrust23THRUST_200600_302600_NS4plusItEEEEZZNS1_33reduce_by_key_impl_wrapped_configILNS1_25lookback_scan_determinismE0ES3_S9_NS6_6detail15normal_iteratorINS6_10device_ptrIjEEEENSD_INSE_ItEEEENS6_16discard_iteratorINS6_11use_defaultEEESI_PmS8_NS6_8equal_toIjEEEE10hipError_tPvRmT2_T3_mT4_T5_T6_T7_T8_P12ihipStream_tbENKUlT_T0_E_clISt17integral_constantIbLb1EES15_IbLb0EEEEDaS11_S12_EUlS11_E_NS1_11comp_targetILNS1_3genE5ELNS1_11target_archE942ELNS1_3gpuE9ELNS1_3repE0EEENS1_30default_config_static_selectorELNS0_4arch9wavefront6targetE0EEEvT1_,"axG",@progbits,_ZN7rocprim17ROCPRIM_400000_NS6detail17trampoline_kernelINS0_14default_configENS1_29reduce_by_key_config_selectorIjtN6thrust23THRUST_200600_302600_NS4plusItEEEEZZNS1_33reduce_by_key_impl_wrapped_configILNS1_25lookback_scan_determinismE0ES3_S9_NS6_6detail15normal_iteratorINS6_10device_ptrIjEEEENSD_INSE_ItEEEENS6_16discard_iteratorINS6_11use_defaultEEESI_PmS8_NS6_8equal_toIjEEEE10hipError_tPvRmT2_T3_mT4_T5_T6_T7_T8_P12ihipStream_tbENKUlT_T0_E_clISt17integral_constantIbLb1EES15_IbLb0EEEEDaS11_S12_EUlS11_E_NS1_11comp_targetILNS1_3genE5ELNS1_11target_archE942ELNS1_3gpuE9ELNS1_3repE0EEENS1_30default_config_static_selectorELNS0_4arch9wavefront6targetE0EEEvT1_,comdat
.Lfunc_end968:
	.size	_ZN7rocprim17ROCPRIM_400000_NS6detail17trampoline_kernelINS0_14default_configENS1_29reduce_by_key_config_selectorIjtN6thrust23THRUST_200600_302600_NS4plusItEEEEZZNS1_33reduce_by_key_impl_wrapped_configILNS1_25lookback_scan_determinismE0ES3_S9_NS6_6detail15normal_iteratorINS6_10device_ptrIjEEEENSD_INSE_ItEEEENS6_16discard_iteratorINS6_11use_defaultEEESI_PmS8_NS6_8equal_toIjEEEE10hipError_tPvRmT2_T3_mT4_T5_T6_T7_T8_P12ihipStream_tbENKUlT_T0_E_clISt17integral_constantIbLb1EES15_IbLb0EEEEDaS11_S12_EUlS11_E_NS1_11comp_targetILNS1_3genE5ELNS1_11target_archE942ELNS1_3gpuE9ELNS1_3repE0EEENS1_30default_config_static_selectorELNS0_4arch9wavefront6targetE0EEEvT1_, .Lfunc_end968-_ZN7rocprim17ROCPRIM_400000_NS6detail17trampoline_kernelINS0_14default_configENS1_29reduce_by_key_config_selectorIjtN6thrust23THRUST_200600_302600_NS4plusItEEEEZZNS1_33reduce_by_key_impl_wrapped_configILNS1_25lookback_scan_determinismE0ES3_S9_NS6_6detail15normal_iteratorINS6_10device_ptrIjEEEENSD_INSE_ItEEEENS6_16discard_iteratorINS6_11use_defaultEEESI_PmS8_NS6_8equal_toIjEEEE10hipError_tPvRmT2_T3_mT4_T5_T6_T7_T8_P12ihipStream_tbENKUlT_T0_E_clISt17integral_constantIbLb1EES15_IbLb0EEEEDaS11_S12_EUlS11_E_NS1_11comp_targetILNS1_3genE5ELNS1_11target_archE942ELNS1_3gpuE9ELNS1_3repE0EEENS1_30default_config_static_selectorELNS0_4arch9wavefront6targetE0EEEvT1_
                                        ; -- End function
	.section	.AMDGPU.csdata,"",@progbits
; Kernel info:
; codeLenInByte = 0
; NumSgprs: 0
; NumVgprs: 0
; ScratchSize: 0
; MemoryBound: 0
; FloatMode: 240
; IeeeMode: 1
; LDSByteSize: 0 bytes/workgroup (compile time only)
; SGPRBlocks: 0
; VGPRBlocks: 0
; NumSGPRsForWavesPerEU: 1
; NumVGPRsForWavesPerEU: 1
; Occupancy: 16
; WaveLimiterHint : 0
; COMPUTE_PGM_RSRC2:SCRATCH_EN: 0
; COMPUTE_PGM_RSRC2:USER_SGPR: 15
; COMPUTE_PGM_RSRC2:TRAP_HANDLER: 0
; COMPUTE_PGM_RSRC2:TGID_X_EN: 1
; COMPUTE_PGM_RSRC2:TGID_Y_EN: 0
; COMPUTE_PGM_RSRC2:TGID_Z_EN: 0
; COMPUTE_PGM_RSRC2:TIDIG_COMP_CNT: 0
	.section	.text._ZN7rocprim17ROCPRIM_400000_NS6detail17trampoline_kernelINS0_14default_configENS1_29reduce_by_key_config_selectorIjtN6thrust23THRUST_200600_302600_NS4plusItEEEEZZNS1_33reduce_by_key_impl_wrapped_configILNS1_25lookback_scan_determinismE0ES3_S9_NS6_6detail15normal_iteratorINS6_10device_ptrIjEEEENSD_INSE_ItEEEENS6_16discard_iteratorINS6_11use_defaultEEESI_PmS8_NS6_8equal_toIjEEEE10hipError_tPvRmT2_T3_mT4_T5_T6_T7_T8_P12ihipStream_tbENKUlT_T0_E_clISt17integral_constantIbLb1EES15_IbLb0EEEEDaS11_S12_EUlS11_E_NS1_11comp_targetILNS1_3genE4ELNS1_11target_archE910ELNS1_3gpuE8ELNS1_3repE0EEENS1_30default_config_static_selectorELNS0_4arch9wavefront6targetE0EEEvT1_,"axG",@progbits,_ZN7rocprim17ROCPRIM_400000_NS6detail17trampoline_kernelINS0_14default_configENS1_29reduce_by_key_config_selectorIjtN6thrust23THRUST_200600_302600_NS4plusItEEEEZZNS1_33reduce_by_key_impl_wrapped_configILNS1_25lookback_scan_determinismE0ES3_S9_NS6_6detail15normal_iteratorINS6_10device_ptrIjEEEENSD_INSE_ItEEEENS6_16discard_iteratorINS6_11use_defaultEEESI_PmS8_NS6_8equal_toIjEEEE10hipError_tPvRmT2_T3_mT4_T5_T6_T7_T8_P12ihipStream_tbENKUlT_T0_E_clISt17integral_constantIbLb1EES15_IbLb0EEEEDaS11_S12_EUlS11_E_NS1_11comp_targetILNS1_3genE4ELNS1_11target_archE910ELNS1_3gpuE8ELNS1_3repE0EEENS1_30default_config_static_selectorELNS0_4arch9wavefront6targetE0EEEvT1_,comdat
	.protected	_ZN7rocprim17ROCPRIM_400000_NS6detail17trampoline_kernelINS0_14default_configENS1_29reduce_by_key_config_selectorIjtN6thrust23THRUST_200600_302600_NS4plusItEEEEZZNS1_33reduce_by_key_impl_wrapped_configILNS1_25lookback_scan_determinismE0ES3_S9_NS6_6detail15normal_iteratorINS6_10device_ptrIjEEEENSD_INSE_ItEEEENS6_16discard_iteratorINS6_11use_defaultEEESI_PmS8_NS6_8equal_toIjEEEE10hipError_tPvRmT2_T3_mT4_T5_T6_T7_T8_P12ihipStream_tbENKUlT_T0_E_clISt17integral_constantIbLb1EES15_IbLb0EEEEDaS11_S12_EUlS11_E_NS1_11comp_targetILNS1_3genE4ELNS1_11target_archE910ELNS1_3gpuE8ELNS1_3repE0EEENS1_30default_config_static_selectorELNS0_4arch9wavefront6targetE0EEEvT1_ ; -- Begin function _ZN7rocprim17ROCPRIM_400000_NS6detail17trampoline_kernelINS0_14default_configENS1_29reduce_by_key_config_selectorIjtN6thrust23THRUST_200600_302600_NS4plusItEEEEZZNS1_33reduce_by_key_impl_wrapped_configILNS1_25lookback_scan_determinismE0ES3_S9_NS6_6detail15normal_iteratorINS6_10device_ptrIjEEEENSD_INSE_ItEEEENS6_16discard_iteratorINS6_11use_defaultEEESI_PmS8_NS6_8equal_toIjEEEE10hipError_tPvRmT2_T3_mT4_T5_T6_T7_T8_P12ihipStream_tbENKUlT_T0_E_clISt17integral_constantIbLb1EES15_IbLb0EEEEDaS11_S12_EUlS11_E_NS1_11comp_targetILNS1_3genE4ELNS1_11target_archE910ELNS1_3gpuE8ELNS1_3repE0EEENS1_30default_config_static_selectorELNS0_4arch9wavefront6targetE0EEEvT1_
	.globl	_ZN7rocprim17ROCPRIM_400000_NS6detail17trampoline_kernelINS0_14default_configENS1_29reduce_by_key_config_selectorIjtN6thrust23THRUST_200600_302600_NS4plusItEEEEZZNS1_33reduce_by_key_impl_wrapped_configILNS1_25lookback_scan_determinismE0ES3_S9_NS6_6detail15normal_iteratorINS6_10device_ptrIjEEEENSD_INSE_ItEEEENS6_16discard_iteratorINS6_11use_defaultEEESI_PmS8_NS6_8equal_toIjEEEE10hipError_tPvRmT2_T3_mT4_T5_T6_T7_T8_P12ihipStream_tbENKUlT_T0_E_clISt17integral_constantIbLb1EES15_IbLb0EEEEDaS11_S12_EUlS11_E_NS1_11comp_targetILNS1_3genE4ELNS1_11target_archE910ELNS1_3gpuE8ELNS1_3repE0EEENS1_30default_config_static_selectorELNS0_4arch9wavefront6targetE0EEEvT1_
	.p2align	8
	.type	_ZN7rocprim17ROCPRIM_400000_NS6detail17trampoline_kernelINS0_14default_configENS1_29reduce_by_key_config_selectorIjtN6thrust23THRUST_200600_302600_NS4plusItEEEEZZNS1_33reduce_by_key_impl_wrapped_configILNS1_25lookback_scan_determinismE0ES3_S9_NS6_6detail15normal_iteratorINS6_10device_ptrIjEEEENSD_INSE_ItEEEENS6_16discard_iteratorINS6_11use_defaultEEESI_PmS8_NS6_8equal_toIjEEEE10hipError_tPvRmT2_T3_mT4_T5_T6_T7_T8_P12ihipStream_tbENKUlT_T0_E_clISt17integral_constantIbLb1EES15_IbLb0EEEEDaS11_S12_EUlS11_E_NS1_11comp_targetILNS1_3genE4ELNS1_11target_archE910ELNS1_3gpuE8ELNS1_3repE0EEENS1_30default_config_static_selectorELNS0_4arch9wavefront6targetE0EEEvT1_,@function
_ZN7rocprim17ROCPRIM_400000_NS6detail17trampoline_kernelINS0_14default_configENS1_29reduce_by_key_config_selectorIjtN6thrust23THRUST_200600_302600_NS4plusItEEEEZZNS1_33reduce_by_key_impl_wrapped_configILNS1_25lookback_scan_determinismE0ES3_S9_NS6_6detail15normal_iteratorINS6_10device_ptrIjEEEENSD_INSE_ItEEEENS6_16discard_iteratorINS6_11use_defaultEEESI_PmS8_NS6_8equal_toIjEEEE10hipError_tPvRmT2_T3_mT4_T5_T6_T7_T8_P12ihipStream_tbENKUlT_T0_E_clISt17integral_constantIbLb1EES15_IbLb0EEEEDaS11_S12_EUlS11_E_NS1_11comp_targetILNS1_3genE4ELNS1_11target_archE910ELNS1_3gpuE8ELNS1_3repE0EEENS1_30default_config_static_selectorELNS0_4arch9wavefront6targetE0EEEvT1_: ; @_ZN7rocprim17ROCPRIM_400000_NS6detail17trampoline_kernelINS0_14default_configENS1_29reduce_by_key_config_selectorIjtN6thrust23THRUST_200600_302600_NS4plusItEEEEZZNS1_33reduce_by_key_impl_wrapped_configILNS1_25lookback_scan_determinismE0ES3_S9_NS6_6detail15normal_iteratorINS6_10device_ptrIjEEEENSD_INSE_ItEEEENS6_16discard_iteratorINS6_11use_defaultEEESI_PmS8_NS6_8equal_toIjEEEE10hipError_tPvRmT2_T3_mT4_T5_T6_T7_T8_P12ihipStream_tbENKUlT_T0_E_clISt17integral_constantIbLb1EES15_IbLb0EEEEDaS11_S12_EUlS11_E_NS1_11comp_targetILNS1_3genE4ELNS1_11target_archE910ELNS1_3gpuE8ELNS1_3repE0EEENS1_30default_config_static_selectorELNS0_4arch9wavefront6targetE0EEEvT1_
; %bb.0:
	.section	.rodata,"a",@progbits
	.p2align	6, 0x0
	.amdhsa_kernel _ZN7rocprim17ROCPRIM_400000_NS6detail17trampoline_kernelINS0_14default_configENS1_29reduce_by_key_config_selectorIjtN6thrust23THRUST_200600_302600_NS4plusItEEEEZZNS1_33reduce_by_key_impl_wrapped_configILNS1_25lookback_scan_determinismE0ES3_S9_NS6_6detail15normal_iteratorINS6_10device_ptrIjEEEENSD_INSE_ItEEEENS6_16discard_iteratorINS6_11use_defaultEEESI_PmS8_NS6_8equal_toIjEEEE10hipError_tPvRmT2_T3_mT4_T5_T6_T7_T8_P12ihipStream_tbENKUlT_T0_E_clISt17integral_constantIbLb1EES15_IbLb0EEEEDaS11_S12_EUlS11_E_NS1_11comp_targetILNS1_3genE4ELNS1_11target_archE910ELNS1_3gpuE8ELNS1_3repE0EEENS1_30default_config_static_selectorELNS0_4arch9wavefront6targetE0EEEvT1_
		.amdhsa_group_segment_fixed_size 0
		.amdhsa_private_segment_fixed_size 0
		.amdhsa_kernarg_size 128
		.amdhsa_user_sgpr_count 15
		.amdhsa_user_sgpr_dispatch_ptr 0
		.amdhsa_user_sgpr_queue_ptr 0
		.amdhsa_user_sgpr_kernarg_segment_ptr 1
		.amdhsa_user_sgpr_dispatch_id 0
		.amdhsa_user_sgpr_private_segment_size 0
		.amdhsa_wavefront_size32 1
		.amdhsa_uses_dynamic_stack 0
		.amdhsa_enable_private_segment 0
		.amdhsa_system_sgpr_workgroup_id_x 1
		.amdhsa_system_sgpr_workgroup_id_y 0
		.amdhsa_system_sgpr_workgroup_id_z 0
		.amdhsa_system_sgpr_workgroup_info 0
		.amdhsa_system_vgpr_workitem_id 0
		.amdhsa_next_free_vgpr 1
		.amdhsa_next_free_sgpr 1
		.amdhsa_reserve_vcc 0
		.amdhsa_float_round_mode_32 0
		.amdhsa_float_round_mode_16_64 0
		.amdhsa_float_denorm_mode_32 3
		.amdhsa_float_denorm_mode_16_64 3
		.amdhsa_dx10_clamp 1
		.amdhsa_ieee_mode 1
		.amdhsa_fp16_overflow 0
		.amdhsa_workgroup_processor_mode 1
		.amdhsa_memory_ordered 1
		.amdhsa_forward_progress 0
		.amdhsa_shared_vgpr_count 0
		.amdhsa_exception_fp_ieee_invalid_op 0
		.amdhsa_exception_fp_denorm_src 0
		.amdhsa_exception_fp_ieee_div_zero 0
		.amdhsa_exception_fp_ieee_overflow 0
		.amdhsa_exception_fp_ieee_underflow 0
		.amdhsa_exception_fp_ieee_inexact 0
		.amdhsa_exception_int_div_zero 0
	.end_amdhsa_kernel
	.section	.text._ZN7rocprim17ROCPRIM_400000_NS6detail17trampoline_kernelINS0_14default_configENS1_29reduce_by_key_config_selectorIjtN6thrust23THRUST_200600_302600_NS4plusItEEEEZZNS1_33reduce_by_key_impl_wrapped_configILNS1_25lookback_scan_determinismE0ES3_S9_NS6_6detail15normal_iteratorINS6_10device_ptrIjEEEENSD_INSE_ItEEEENS6_16discard_iteratorINS6_11use_defaultEEESI_PmS8_NS6_8equal_toIjEEEE10hipError_tPvRmT2_T3_mT4_T5_T6_T7_T8_P12ihipStream_tbENKUlT_T0_E_clISt17integral_constantIbLb1EES15_IbLb0EEEEDaS11_S12_EUlS11_E_NS1_11comp_targetILNS1_3genE4ELNS1_11target_archE910ELNS1_3gpuE8ELNS1_3repE0EEENS1_30default_config_static_selectorELNS0_4arch9wavefront6targetE0EEEvT1_,"axG",@progbits,_ZN7rocprim17ROCPRIM_400000_NS6detail17trampoline_kernelINS0_14default_configENS1_29reduce_by_key_config_selectorIjtN6thrust23THRUST_200600_302600_NS4plusItEEEEZZNS1_33reduce_by_key_impl_wrapped_configILNS1_25lookback_scan_determinismE0ES3_S9_NS6_6detail15normal_iteratorINS6_10device_ptrIjEEEENSD_INSE_ItEEEENS6_16discard_iteratorINS6_11use_defaultEEESI_PmS8_NS6_8equal_toIjEEEE10hipError_tPvRmT2_T3_mT4_T5_T6_T7_T8_P12ihipStream_tbENKUlT_T0_E_clISt17integral_constantIbLb1EES15_IbLb0EEEEDaS11_S12_EUlS11_E_NS1_11comp_targetILNS1_3genE4ELNS1_11target_archE910ELNS1_3gpuE8ELNS1_3repE0EEENS1_30default_config_static_selectorELNS0_4arch9wavefront6targetE0EEEvT1_,comdat
.Lfunc_end969:
	.size	_ZN7rocprim17ROCPRIM_400000_NS6detail17trampoline_kernelINS0_14default_configENS1_29reduce_by_key_config_selectorIjtN6thrust23THRUST_200600_302600_NS4plusItEEEEZZNS1_33reduce_by_key_impl_wrapped_configILNS1_25lookback_scan_determinismE0ES3_S9_NS6_6detail15normal_iteratorINS6_10device_ptrIjEEEENSD_INSE_ItEEEENS6_16discard_iteratorINS6_11use_defaultEEESI_PmS8_NS6_8equal_toIjEEEE10hipError_tPvRmT2_T3_mT4_T5_T6_T7_T8_P12ihipStream_tbENKUlT_T0_E_clISt17integral_constantIbLb1EES15_IbLb0EEEEDaS11_S12_EUlS11_E_NS1_11comp_targetILNS1_3genE4ELNS1_11target_archE910ELNS1_3gpuE8ELNS1_3repE0EEENS1_30default_config_static_selectorELNS0_4arch9wavefront6targetE0EEEvT1_, .Lfunc_end969-_ZN7rocprim17ROCPRIM_400000_NS6detail17trampoline_kernelINS0_14default_configENS1_29reduce_by_key_config_selectorIjtN6thrust23THRUST_200600_302600_NS4plusItEEEEZZNS1_33reduce_by_key_impl_wrapped_configILNS1_25lookback_scan_determinismE0ES3_S9_NS6_6detail15normal_iteratorINS6_10device_ptrIjEEEENSD_INSE_ItEEEENS6_16discard_iteratorINS6_11use_defaultEEESI_PmS8_NS6_8equal_toIjEEEE10hipError_tPvRmT2_T3_mT4_T5_T6_T7_T8_P12ihipStream_tbENKUlT_T0_E_clISt17integral_constantIbLb1EES15_IbLb0EEEEDaS11_S12_EUlS11_E_NS1_11comp_targetILNS1_3genE4ELNS1_11target_archE910ELNS1_3gpuE8ELNS1_3repE0EEENS1_30default_config_static_selectorELNS0_4arch9wavefront6targetE0EEEvT1_
                                        ; -- End function
	.section	.AMDGPU.csdata,"",@progbits
; Kernel info:
; codeLenInByte = 0
; NumSgprs: 0
; NumVgprs: 0
; ScratchSize: 0
; MemoryBound: 0
; FloatMode: 240
; IeeeMode: 1
; LDSByteSize: 0 bytes/workgroup (compile time only)
; SGPRBlocks: 0
; VGPRBlocks: 0
; NumSGPRsForWavesPerEU: 1
; NumVGPRsForWavesPerEU: 1
; Occupancy: 16
; WaveLimiterHint : 0
; COMPUTE_PGM_RSRC2:SCRATCH_EN: 0
; COMPUTE_PGM_RSRC2:USER_SGPR: 15
; COMPUTE_PGM_RSRC2:TRAP_HANDLER: 0
; COMPUTE_PGM_RSRC2:TGID_X_EN: 1
; COMPUTE_PGM_RSRC2:TGID_Y_EN: 0
; COMPUTE_PGM_RSRC2:TGID_Z_EN: 0
; COMPUTE_PGM_RSRC2:TIDIG_COMP_CNT: 0
	.section	.text._ZN7rocprim17ROCPRIM_400000_NS6detail17trampoline_kernelINS0_14default_configENS1_29reduce_by_key_config_selectorIjtN6thrust23THRUST_200600_302600_NS4plusItEEEEZZNS1_33reduce_by_key_impl_wrapped_configILNS1_25lookback_scan_determinismE0ES3_S9_NS6_6detail15normal_iteratorINS6_10device_ptrIjEEEENSD_INSE_ItEEEENS6_16discard_iteratorINS6_11use_defaultEEESI_PmS8_NS6_8equal_toIjEEEE10hipError_tPvRmT2_T3_mT4_T5_T6_T7_T8_P12ihipStream_tbENKUlT_T0_E_clISt17integral_constantIbLb1EES15_IbLb0EEEEDaS11_S12_EUlS11_E_NS1_11comp_targetILNS1_3genE3ELNS1_11target_archE908ELNS1_3gpuE7ELNS1_3repE0EEENS1_30default_config_static_selectorELNS0_4arch9wavefront6targetE0EEEvT1_,"axG",@progbits,_ZN7rocprim17ROCPRIM_400000_NS6detail17trampoline_kernelINS0_14default_configENS1_29reduce_by_key_config_selectorIjtN6thrust23THRUST_200600_302600_NS4plusItEEEEZZNS1_33reduce_by_key_impl_wrapped_configILNS1_25lookback_scan_determinismE0ES3_S9_NS6_6detail15normal_iteratorINS6_10device_ptrIjEEEENSD_INSE_ItEEEENS6_16discard_iteratorINS6_11use_defaultEEESI_PmS8_NS6_8equal_toIjEEEE10hipError_tPvRmT2_T3_mT4_T5_T6_T7_T8_P12ihipStream_tbENKUlT_T0_E_clISt17integral_constantIbLb1EES15_IbLb0EEEEDaS11_S12_EUlS11_E_NS1_11comp_targetILNS1_3genE3ELNS1_11target_archE908ELNS1_3gpuE7ELNS1_3repE0EEENS1_30default_config_static_selectorELNS0_4arch9wavefront6targetE0EEEvT1_,comdat
	.protected	_ZN7rocprim17ROCPRIM_400000_NS6detail17trampoline_kernelINS0_14default_configENS1_29reduce_by_key_config_selectorIjtN6thrust23THRUST_200600_302600_NS4plusItEEEEZZNS1_33reduce_by_key_impl_wrapped_configILNS1_25lookback_scan_determinismE0ES3_S9_NS6_6detail15normal_iteratorINS6_10device_ptrIjEEEENSD_INSE_ItEEEENS6_16discard_iteratorINS6_11use_defaultEEESI_PmS8_NS6_8equal_toIjEEEE10hipError_tPvRmT2_T3_mT4_T5_T6_T7_T8_P12ihipStream_tbENKUlT_T0_E_clISt17integral_constantIbLb1EES15_IbLb0EEEEDaS11_S12_EUlS11_E_NS1_11comp_targetILNS1_3genE3ELNS1_11target_archE908ELNS1_3gpuE7ELNS1_3repE0EEENS1_30default_config_static_selectorELNS0_4arch9wavefront6targetE0EEEvT1_ ; -- Begin function _ZN7rocprim17ROCPRIM_400000_NS6detail17trampoline_kernelINS0_14default_configENS1_29reduce_by_key_config_selectorIjtN6thrust23THRUST_200600_302600_NS4plusItEEEEZZNS1_33reduce_by_key_impl_wrapped_configILNS1_25lookback_scan_determinismE0ES3_S9_NS6_6detail15normal_iteratorINS6_10device_ptrIjEEEENSD_INSE_ItEEEENS6_16discard_iteratorINS6_11use_defaultEEESI_PmS8_NS6_8equal_toIjEEEE10hipError_tPvRmT2_T3_mT4_T5_T6_T7_T8_P12ihipStream_tbENKUlT_T0_E_clISt17integral_constantIbLb1EES15_IbLb0EEEEDaS11_S12_EUlS11_E_NS1_11comp_targetILNS1_3genE3ELNS1_11target_archE908ELNS1_3gpuE7ELNS1_3repE0EEENS1_30default_config_static_selectorELNS0_4arch9wavefront6targetE0EEEvT1_
	.globl	_ZN7rocprim17ROCPRIM_400000_NS6detail17trampoline_kernelINS0_14default_configENS1_29reduce_by_key_config_selectorIjtN6thrust23THRUST_200600_302600_NS4plusItEEEEZZNS1_33reduce_by_key_impl_wrapped_configILNS1_25lookback_scan_determinismE0ES3_S9_NS6_6detail15normal_iteratorINS6_10device_ptrIjEEEENSD_INSE_ItEEEENS6_16discard_iteratorINS6_11use_defaultEEESI_PmS8_NS6_8equal_toIjEEEE10hipError_tPvRmT2_T3_mT4_T5_T6_T7_T8_P12ihipStream_tbENKUlT_T0_E_clISt17integral_constantIbLb1EES15_IbLb0EEEEDaS11_S12_EUlS11_E_NS1_11comp_targetILNS1_3genE3ELNS1_11target_archE908ELNS1_3gpuE7ELNS1_3repE0EEENS1_30default_config_static_selectorELNS0_4arch9wavefront6targetE0EEEvT1_
	.p2align	8
	.type	_ZN7rocprim17ROCPRIM_400000_NS6detail17trampoline_kernelINS0_14default_configENS1_29reduce_by_key_config_selectorIjtN6thrust23THRUST_200600_302600_NS4plusItEEEEZZNS1_33reduce_by_key_impl_wrapped_configILNS1_25lookback_scan_determinismE0ES3_S9_NS6_6detail15normal_iteratorINS6_10device_ptrIjEEEENSD_INSE_ItEEEENS6_16discard_iteratorINS6_11use_defaultEEESI_PmS8_NS6_8equal_toIjEEEE10hipError_tPvRmT2_T3_mT4_T5_T6_T7_T8_P12ihipStream_tbENKUlT_T0_E_clISt17integral_constantIbLb1EES15_IbLb0EEEEDaS11_S12_EUlS11_E_NS1_11comp_targetILNS1_3genE3ELNS1_11target_archE908ELNS1_3gpuE7ELNS1_3repE0EEENS1_30default_config_static_selectorELNS0_4arch9wavefront6targetE0EEEvT1_,@function
_ZN7rocprim17ROCPRIM_400000_NS6detail17trampoline_kernelINS0_14default_configENS1_29reduce_by_key_config_selectorIjtN6thrust23THRUST_200600_302600_NS4plusItEEEEZZNS1_33reduce_by_key_impl_wrapped_configILNS1_25lookback_scan_determinismE0ES3_S9_NS6_6detail15normal_iteratorINS6_10device_ptrIjEEEENSD_INSE_ItEEEENS6_16discard_iteratorINS6_11use_defaultEEESI_PmS8_NS6_8equal_toIjEEEE10hipError_tPvRmT2_T3_mT4_T5_T6_T7_T8_P12ihipStream_tbENKUlT_T0_E_clISt17integral_constantIbLb1EES15_IbLb0EEEEDaS11_S12_EUlS11_E_NS1_11comp_targetILNS1_3genE3ELNS1_11target_archE908ELNS1_3gpuE7ELNS1_3repE0EEENS1_30default_config_static_selectorELNS0_4arch9wavefront6targetE0EEEvT1_: ; @_ZN7rocprim17ROCPRIM_400000_NS6detail17trampoline_kernelINS0_14default_configENS1_29reduce_by_key_config_selectorIjtN6thrust23THRUST_200600_302600_NS4plusItEEEEZZNS1_33reduce_by_key_impl_wrapped_configILNS1_25lookback_scan_determinismE0ES3_S9_NS6_6detail15normal_iteratorINS6_10device_ptrIjEEEENSD_INSE_ItEEEENS6_16discard_iteratorINS6_11use_defaultEEESI_PmS8_NS6_8equal_toIjEEEE10hipError_tPvRmT2_T3_mT4_T5_T6_T7_T8_P12ihipStream_tbENKUlT_T0_E_clISt17integral_constantIbLb1EES15_IbLb0EEEEDaS11_S12_EUlS11_E_NS1_11comp_targetILNS1_3genE3ELNS1_11target_archE908ELNS1_3gpuE7ELNS1_3repE0EEENS1_30default_config_static_selectorELNS0_4arch9wavefront6targetE0EEEvT1_
; %bb.0:
	.section	.rodata,"a",@progbits
	.p2align	6, 0x0
	.amdhsa_kernel _ZN7rocprim17ROCPRIM_400000_NS6detail17trampoline_kernelINS0_14default_configENS1_29reduce_by_key_config_selectorIjtN6thrust23THRUST_200600_302600_NS4plusItEEEEZZNS1_33reduce_by_key_impl_wrapped_configILNS1_25lookback_scan_determinismE0ES3_S9_NS6_6detail15normal_iteratorINS6_10device_ptrIjEEEENSD_INSE_ItEEEENS6_16discard_iteratorINS6_11use_defaultEEESI_PmS8_NS6_8equal_toIjEEEE10hipError_tPvRmT2_T3_mT4_T5_T6_T7_T8_P12ihipStream_tbENKUlT_T0_E_clISt17integral_constantIbLb1EES15_IbLb0EEEEDaS11_S12_EUlS11_E_NS1_11comp_targetILNS1_3genE3ELNS1_11target_archE908ELNS1_3gpuE7ELNS1_3repE0EEENS1_30default_config_static_selectorELNS0_4arch9wavefront6targetE0EEEvT1_
		.amdhsa_group_segment_fixed_size 0
		.amdhsa_private_segment_fixed_size 0
		.amdhsa_kernarg_size 128
		.amdhsa_user_sgpr_count 15
		.amdhsa_user_sgpr_dispatch_ptr 0
		.amdhsa_user_sgpr_queue_ptr 0
		.amdhsa_user_sgpr_kernarg_segment_ptr 1
		.amdhsa_user_sgpr_dispatch_id 0
		.amdhsa_user_sgpr_private_segment_size 0
		.amdhsa_wavefront_size32 1
		.amdhsa_uses_dynamic_stack 0
		.amdhsa_enable_private_segment 0
		.amdhsa_system_sgpr_workgroup_id_x 1
		.amdhsa_system_sgpr_workgroup_id_y 0
		.amdhsa_system_sgpr_workgroup_id_z 0
		.amdhsa_system_sgpr_workgroup_info 0
		.amdhsa_system_vgpr_workitem_id 0
		.amdhsa_next_free_vgpr 1
		.amdhsa_next_free_sgpr 1
		.amdhsa_reserve_vcc 0
		.amdhsa_float_round_mode_32 0
		.amdhsa_float_round_mode_16_64 0
		.amdhsa_float_denorm_mode_32 3
		.amdhsa_float_denorm_mode_16_64 3
		.amdhsa_dx10_clamp 1
		.amdhsa_ieee_mode 1
		.amdhsa_fp16_overflow 0
		.amdhsa_workgroup_processor_mode 1
		.amdhsa_memory_ordered 1
		.amdhsa_forward_progress 0
		.amdhsa_shared_vgpr_count 0
		.amdhsa_exception_fp_ieee_invalid_op 0
		.amdhsa_exception_fp_denorm_src 0
		.amdhsa_exception_fp_ieee_div_zero 0
		.amdhsa_exception_fp_ieee_overflow 0
		.amdhsa_exception_fp_ieee_underflow 0
		.amdhsa_exception_fp_ieee_inexact 0
		.amdhsa_exception_int_div_zero 0
	.end_amdhsa_kernel
	.section	.text._ZN7rocprim17ROCPRIM_400000_NS6detail17trampoline_kernelINS0_14default_configENS1_29reduce_by_key_config_selectorIjtN6thrust23THRUST_200600_302600_NS4plusItEEEEZZNS1_33reduce_by_key_impl_wrapped_configILNS1_25lookback_scan_determinismE0ES3_S9_NS6_6detail15normal_iteratorINS6_10device_ptrIjEEEENSD_INSE_ItEEEENS6_16discard_iteratorINS6_11use_defaultEEESI_PmS8_NS6_8equal_toIjEEEE10hipError_tPvRmT2_T3_mT4_T5_T6_T7_T8_P12ihipStream_tbENKUlT_T0_E_clISt17integral_constantIbLb1EES15_IbLb0EEEEDaS11_S12_EUlS11_E_NS1_11comp_targetILNS1_3genE3ELNS1_11target_archE908ELNS1_3gpuE7ELNS1_3repE0EEENS1_30default_config_static_selectorELNS0_4arch9wavefront6targetE0EEEvT1_,"axG",@progbits,_ZN7rocprim17ROCPRIM_400000_NS6detail17trampoline_kernelINS0_14default_configENS1_29reduce_by_key_config_selectorIjtN6thrust23THRUST_200600_302600_NS4plusItEEEEZZNS1_33reduce_by_key_impl_wrapped_configILNS1_25lookback_scan_determinismE0ES3_S9_NS6_6detail15normal_iteratorINS6_10device_ptrIjEEEENSD_INSE_ItEEEENS6_16discard_iteratorINS6_11use_defaultEEESI_PmS8_NS6_8equal_toIjEEEE10hipError_tPvRmT2_T3_mT4_T5_T6_T7_T8_P12ihipStream_tbENKUlT_T0_E_clISt17integral_constantIbLb1EES15_IbLb0EEEEDaS11_S12_EUlS11_E_NS1_11comp_targetILNS1_3genE3ELNS1_11target_archE908ELNS1_3gpuE7ELNS1_3repE0EEENS1_30default_config_static_selectorELNS0_4arch9wavefront6targetE0EEEvT1_,comdat
.Lfunc_end970:
	.size	_ZN7rocprim17ROCPRIM_400000_NS6detail17trampoline_kernelINS0_14default_configENS1_29reduce_by_key_config_selectorIjtN6thrust23THRUST_200600_302600_NS4plusItEEEEZZNS1_33reduce_by_key_impl_wrapped_configILNS1_25lookback_scan_determinismE0ES3_S9_NS6_6detail15normal_iteratorINS6_10device_ptrIjEEEENSD_INSE_ItEEEENS6_16discard_iteratorINS6_11use_defaultEEESI_PmS8_NS6_8equal_toIjEEEE10hipError_tPvRmT2_T3_mT4_T5_T6_T7_T8_P12ihipStream_tbENKUlT_T0_E_clISt17integral_constantIbLb1EES15_IbLb0EEEEDaS11_S12_EUlS11_E_NS1_11comp_targetILNS1_3genE3ELNS1_11target_archE908ELNS1_3gpuE7ELNS1_3repE0EEENS1_30default_config_static_selectorELNS0_4arch9wavefront6targetE0EEEvT1_, .Lfunc_end970-_ZN7rocprim17ROCPRIM_400000_NS6detail17trampoline_kernelINS0_14default_configENS1_29reduce_by_key_config_selectorIjtN6thrust23THRUST_200600_302600_NS4plusItEEEEZZNS1_33reduce_by_key_impl_wrapped_configILNS1_25lookback_scan_determinismE0ES3_S9_NS6_6detail15normal_iteratorINS6_10device_ptrIjEEEENSD_INSE_ItEEEENS6_16discard_iteratorINS6_11use_defaultEEESI_PmS8_NS6_8equal_toIjEEEE10hipError_tPvRmT2_T3_mT4_T5_T6_T7_T8_P12ihipStream_tbENKUlT_T0_E_clISt17integral_constantIbLb1EES15_IbLb0EEEEDaS11_S12_EUlS11_E_NS1_11comp_targetILNS1_3genE3ELNS1_11target_archE908ELNS1_3gpuE7ELNS1_3repE0EEENS1_30default_config_static_selectorELNS0_4arch9wavefront6targetE0EEEvT1_
                                        ; -- End function
	.section	.AMDGPU.csdata,"",@progbits
; Kernel info:
; codeLenInByte = 0
; NumSgprs: 0
; NumVgprs: 0
; ScratchSize: 0
; MemoryBound: 0
; FloatMode: 240
; IeeeMode: 1
; LDSByteSize: 0 bytes/workgroup (compile time only)
; SGPRBlocks: 0
; VGPRBlocks: 0
; NumSGPRsForWavesPerEU: 1
; NumVGPRsForWavesPerEU: 1
; Occupancy: 16
; WaveLimiterHint : 0
; COMPUTE_PGM_RSRC2:SCRATCH_EN: 0
; COMPUTE_PGM_RSRC2:USER_SGPR: 15
; COMPUTE_PGM_RSRC2:TRAP_HANDLER: 0
; COMPUTE_PGM_RSRC2:TGID_X_EN: 1
; COMPUTE_PGM_RSRC2:TGID_Y_EN: 0
; COMPUTE_PGM_RSRC2:TGID_Z_EN: 0
; COMPUTE_PGM_RSRC2:TIDIG_COMP_CNT: 0
	.section	.text._ZN7rocprim17ROCPRIM_400000_NS6detail17trampoline_kernelINS0_14default_configENS1_29reduce_by_key_config_selectorIjtN6thrust23THRUST_200600_302600_NS4plusItEEEEZZNS1_33reduce_by_key_impl_wrapped_configILNS1_25lookback_scan_determinismE0ES3_S9_NS6_6detail15normal_iteratorINS6_10device_ptrIjEEEENSD_INSE_ItEEEENS6_16discard_iteratorINS6_11use_defaultEEESI_PmS8_NS6_8equal_toIjEEEE10hipError_tPvRmT2_T3_mT4_T5_T6_T7_T8_P12ihipStream_tbENKUlT_T0_E_clISt17integral_constantIbLb1EES15_IbLb0EEEEDaS11_S12_EUlS11_E_NS1_11comp_targetILNS1_3genE2ELNS1_11target_archE906ELNS1_3gpuE6ELNS1_3repE0EEENS1_30default_config_static_selectorELNS0_4arch9wavefront6targetE0EEEvT1_,"axG",@progbits,_ZN7rocprim17ROCPRIM_400000_NS6detail17trampoline_kernelINS0_14default_configENS1_29reduce_by_key_config_selectorIjtN6thrust23THRUST_200600_302600_NS4plusItEEEEZZNS1_33reduce_by_key_impl_wrapped_configILNS1_25lookback_scan_determinismE0ES3_S9_NS6_6detail15normal_iteratorINS6_10device_ptrIjEEEENSD_INSE_ItEEEENS6_16discard_iteratorINS6_11use_defaultEEESI_PmS8_NS6_8equal_toIjEEEE10hipError_tPvRmT2_T3_mT4_T5_T6_T7_T8_P12ihipStream_tbENKUlT_T0_E_clISt17integral_constantIbLb1EES15_IbLb0EEEEDaS11_S12_EUlS11_E_NS1_11comp_targetILNS1_3genE2ELNS1_11target_archE906ELNS1_3gpuE6ELNS1_3repE0EEENS1_30default_config_static_selectorELNS0_4arch9wavefront6targetE0EEEvT1_,comdat
	.protected	_ZN7rocprim17ROCPRIM_400000_NS6detail17trampoline_kernelINS0_14default_configENS1_29reduce_by_key_config_selectorIjtN6thrust23THRUST_200600_302600_NS4plusItEEEEZZNS1_33reduce_by_key_impl_wrapped_configILNS1_25lookback_scan_determinismE0ES3_S9_NS6_6detail15normal_iteratorINS6_10device_ptrIjEEEENSD_INSE_ItEEEENS6_16discard_iteratorINS6_11use_defaultEEESI_PmS8_NS6_8equal_toIjEEEE10hipError_tPvRmT2_T3_mT4_T5_T6_T7_T8_P12ihipStream_tbENKUlT_T0_E_clISt17integral_constantIbLb1EES15_IbLb0EEEEDaS11_S12_EUlS11_E_NS1_11comp_targetILNS1_3genE2ELNS1_11target_archE906ELNS1_3gpuE6ELNS1_3repE0EEENS1_30default_config_static_selectorELNS0_4arch9wavefront6targetE0EEEvT1_ ; -- Begin function _ZN7rocprim17ROCPRIM_400000_NS6detail17trampoline_kernelINS0_14default_configENS1_29reduce_by_key_config_selectorIjtN6thrust23THRUST_200600_302600_NS4plusItEEEEZZNS1_33reduce_by_key_impl_wrapped_configILNS1_25lookback_scan_determinismE0ES3_S9_NS6_6detail15normal_iteratorINS6_10device_ptrIjEEEENSD_INSE_ItEEEENS6_16discard_iteratorINS6_11use_defaultEEESI_PmS8_NS6_8equal_toIjEEEE10hipError_tPvRmT2_T3_mT4_T5_T6_T7_T8_P12ihipStream_tbENKUlT_T0_E_clISt17integral_constantIbLb1EES15_IbLb0EEEEDaS11_S12_EUlS11_E_NS1_11comp_targetILNS1_3genE2ELNS1_11target_archE906ELNS1_3gpuE6ELNS1_3repE0EEENS1_30default_config_static_selectorELNS0_4arch9wavefront6targetE0EEEvT1_
	.globl	_ZN7rocprim17ROCPRIM_400000_NS6detail17trampoline_kernelINS0_14default_configENS1_29reduce_by_key_config_selectorIjtN6thrust23THRUST_200600_302600_NS4plusItEEEEZZNS1_33reduce_by_key_impl_wrapped_configILNS1_25lookback_scan_determinismE0ES3_S9_NS6_6detail15normal_iteratorINS6_10device_ptrIjEEEENSD_INSE_ItEEEENS6_16discard_iteratorINS6_11use_defaultEEESI_PmS8_NS6_8equal_toIjEEEE10hipError_tPvRmT2_T3_mT4_T5_T6_T7_T8_P12ihipStream_tbENKUlT_T0_E_clISt17integral_constantIbLb1EES15_IbLb0EEEEDaS11_S12_EUlS11_E_NS1_11comp_targetILNS1_3genE2ELNS1_11target_archE906ELNS1_3gpuE6ELNS1_3repE0EEENS1_30default_config_static_selectorELNS0_4arch9wavefront6targetE0EEEvT1_
	.p2align	8
	.type	_ZN7rocprim17ROCPRIM_400000_NS6detail17trampoline_kernelINS0_14default_configENS1_29reduce_by_key_config_selectorIjtN6thrust23THRUST_200600_302600_NS4plusItEEEEZZNS1_33reduce_by_key_impl_wrapped_configILNS1_25lookback_scan_determinismE0ES3_S9_NS6_6detail15normal_iteratorINS6_10device_ptrIjEEEENSD_INSE_ItEEEENS6_16discard_iteratorINS6_11use_defaultEEESI_PmS8_NS6_8equal_toIjEEEE10hipError_tPvRmT2_T3_mT4_T5_T6_T7_T8_P12ihipStream_tbENKUlT_T0_E_clISt17integral_constantIbLb1EES15_IbLb0EEEEDaS11_S12_EUlS11_E_NS1_11comp_targetILNS1_3genE2ELNS1_11target_archE906ELNS1_3gpuE6ELNS1_3repE0EEENS1_30default_config_static_selectorELNS0_4arch9wavefront6targetE0EEEvT1_,@function
_ZN7rocprim17ROCPRIM_400000_NS6detail17trampoline_kernelINS0_14default_configENS1_29reduce_by_key_config_selectorIjtN6thrust23THRUST_200600_302600_NS4plusItEEEEZZNS1_33reduce_by_key_impl_wrapped_configILNS1_25lookback_scan_determinismE0ES3_S9_NS6_6detail15normal_iteratorINS6_10device_ptrIjEEEENSD_INSE_ItEEEENS6_16discard_iteratorINS6_11use_defaultEEESI_PmS8_NS6_8equal_toIjEEEE10hipError_tPvRmT2_T3_mT4_T5_T6_T7_T8_P12ihipStream_tbENKUlT_T0_E_clISt17integral_constantIbLb1EES15_IbLb0EEEEDaS11_S12_EUlS11_E_NS1_11comp_targetILNS1_3genE2ELNS1_11target_archE906ELNS1_3gpuE6ELNS1_3repE0EEENS1_30default_config_static_selectorELNS0_4arch9wavefront6targetE0EEEvT1_: ; @_ZN7rocprim17ROCPRIM_400000_NS6detail17trampoline_kernelINS0_14default_configENS1_29reduce_by_key_config_selectorIjtN6thrust23THRUST_200600_302600_NS4plusItEEEEZZNS1_33reduce_by_key_impl_wrapped_configILNS1_25lookback_scan_determinismE0ES3_S9_NS6_6detail15normal_iteratorINS6_10device_ptrIjEEEENSD_INSE_ItEEEENS6_16discard_iteratorINS6_11use_defaultEEESI_PmS8_NS6_8equal_toIjEEEE10hipError_tPvRmT2_T3_mT4_T5_T6_T7_T8_P12ihipStream_tbENKUlT_T0_E_clISt17integral_constantIbLb1EES15_IbLb0EEEEDaS11_S12_EUlS11_E_NS1_11comp_targetILNS1_3genE2ELNS1_11target_archE906ELNS1_3gpuE6ELNS1_3repE0EEENS1_30default_config_static_selectorELNS0_4arch9wavefront6targetE0EEEvT1_
; %bb.0:
	.section	.rodata,"a",@progbits
	.p2align	6, 0x0
	.amdhsa_kernel _ZN7rocprim17ROCPRIM_400000_NS6detail17trampoline_kernelINS0_14default_configENS1_29reduce_by_key_config_selectorIjtN6thrust23THRUST_200600_302600_NS4plusItEEEEZZNS1_33reduce_by_key_impl_wrapped_configILNS1_25lookback_scan_determinismE0ES3_S9_NS6_6detail15normal_iteratorINS6_10device_ptrIjEEEENSD_INSE_ItEEEENS6_16discard_iteratorINS6_11use_defaultEEESI_PmS8_NS6_8equal_toIjEEEE10hipError_tPvRmT2_T3_mT4_T5_T6_T7_T8_P12ihipStream_tbENKUlT_T0_E_clISt17integral_constantIbLb1EES15_IbLb0EEEEDaS11_S12_EUlS11_E_NS1_11comp_targetILNS1_3genE2ELNS1_11target_archE906ELNS1_3gpuE6ELNS1_3repE0EEENS1_30default_config_static_selectorELNS0_4arch9wavefront6targetE0EEEvT1_
		.amdhsa_group_segment_fixed_size 0
		.amdhsa_private_segment_fixed_size 0
		.amdhsa_kernarg_size 128
		.amdhsa_user_sgpr_count 15
		.amdhsa_user_sgpr_dispatch_ptr 0
		.amdhsa_user_sgpr_queue_ptr 0
		.amdhsa_user_sgpr_kernarg_segment_ptr 1
		.amdhsa_user_sgpr_dispatch_id 0
		.amdhsa_user_sgpr_private_segment_size 0
		.amdhsa_wavefront_size32 1
		.amdhsa_uses_dynamic_stack 0
		.amdhsa_enable_private_segment 0
		.amdhsa_system_sgpr_workgroup_id_x 1
		.amdhsa_system_sgpr_workgroup_id_y 0
		.amdhsa_system_sgpr_workgroup_id_z 0
		.amdhsa_system_sgpr_workgroup_info 0
		.amdhsa_system_vgpr_workitem_id 0
		.amdhsa_next_free_vgpr 1
		.amdhsa_next_free_sgpr 1
		.amdhsa_reserve_vcc 0
		.amdhsa_float_round_mode_32 0
		.amdhsa_float_round_mode_16_64 0
		.amdhsa_float_denorm_mode_32 3
		.amdhsa_float_denorm_mode_16_64 3
		.amdhsa_dx10_clamp 1
		.amdhsa_ieee_mode 1
		.amdhsa_fp16_overflow 0
		.amdhsa_workgroup_processor_mode 1
		.amdhsa_memory_ordered 1
		.amdhsa_forward_progress 0
		.amdhsa_shared_vgpr_count 0
		.amdhsa_exception_fp_ieee_invalid_op 0
		.amdhsa_exception_fp_denorm_src 0
		.amdhsa_exception_fp_ieee_div_zero 0
		.amdhsa_exception_fp_ieee_overflow 0
		.amdhsa_exception_fp_ieee_underflow 0
		.amdhsa_exception_fp_ieee_inexact 0
		.amdhsa_exception_int_div_zero 0
	.end_amdhsa_kernel
	.section	.text._ZN7rocprim17ROCPRIM_400000_NS6detail17trampoline_kernelINS0_14default_configENS1_29reduce_by_key_config_selectorIjtN6thrust23THRUST_200600_302600_NS4plusItEEEEZZNS1_33reduce_by_key_impl_wrapped_configILNS1_25lookback_scan_determinismE0ES3_S9_NS6_6detail15normal_iteratorINS6_10device_ptrIjEEEENSD_INSE_ItEEEENS6_16discard_iteratorINS6_11use_defaultEEESI_PmS8_NS6_8equal_toIjEEEE10hipError_tPvRmT2_T3_mT4_T5_T6_T7_T8_P12ihipStream_tbENKUlT_T0_E_clISt17integral_constantIbLb1EES15_IbLb0EEEEDaS11_S12_EUlS11_E_NS1_11comp_targetILNS1_3genE2ELNS1_11target_archE906ELNS1_3gpuE6ELNS1_3repE0EEENS1_30default_config_static_selectorELNS0_4arch9wavefront6targetE0EEEvT1_,"axG",@progbits,_ZN7rocprim17ROCPRIM_400000_NS6detail17trampoline_kernelINS0_14default_configENS1_29reduce_by_key_config_selectorIjtN6thrust23THRUST_200600_302600_NS4plusItEEEEZZNS1_33reduce_by_key_impl_wrapped_configILNS1_25lookback_scan_determinismE0ES3_S9_NS6_6detail15normal_iteratorINS6_10device_ptrIjEEEENSD_INSE_ItEEEENS6_16discard_iteratorINS6_11use_defaultEEESI_PmS8_NS6_8equal_toIjEEEE10hipError_tPvRmT2_T3_mT4_T5_T6_T7_T8_P12ihipStream_tbENKUlT_T0_E_clISt17integral_constantIbLb1EES15_IbLb0EEEEDaS11_S12_EUlS11_E_NS1_11comp_targetILNS1_3genE2ELNS1_11target_archE906ELNS1_3gpuE6ELNS1_3repE0EEENS1_30default_config_static_selectorELNS0_4arch9wavefront6targetE0EEEvT1_,comdat
.Lfunc_end971:
	.size	_ZN7rocprim17ROCPRIM_400000_NS6detail17trampoline_kernelINS0_14default_configENS1_29reduce_by_key_config_selectorIjtN6thrust23THRUST_200600_302600_NS4plusItEEEEZZNS1_33reduce_by_key_impl_wrapped_configILNS1_25lookback_scan_determinismE0ES3_S9_NS6_6detail15normal_iteratorINS6_10device_ptrIjEEEENSD_INSE_ItEEEENS6_16discard_iteratorINS6_11use_defaultEEESI_PmS8_NS6_8equal_toIjEEEE10hipError_tPvRmT2_T3_mT4_T5_T6_T7_T8_P12ihipStream_tbENKUlT_T0_E_clISt17integral_constantIbLb1EES15_IbLb0EEEEDaS11_S12_EUlS11_E_NS1_11comp_targetILNS1_3genE2ELNS1_11target_archE906ELNS1_3gpuE6ELNS1_3repE0EEENS1_30default_config_static_selectorELNS0_4arch9wavefront6targetE0EEEvT1_, .Lfunc_end971-_ZN7rocprim17ROCPRIM_400000_NS6detail17trampoline_kernelINS0_14default_configENS1_29reduce_by_key_config_selectorIjtN6thrust23THRUST_200600_302600_NS4plusItEEEEZZNS1_33reduce_by_key_impl_wrapped_configILNS1_25lookback_scan_determinismE0ES3_S9_NS6_6detail15normal_iteratorINS6_10device_ptrIjEEEENSD_INSE_ItEEEENS6_16discard_iteratorINS6_11use_defaultEEESI_PmS8_NS6_8equal_toIjEEEE10hipError_tPvRmT2_T3_mT4_T5_T6_T7_T8_P12ihipStream_tbENKUlT_T0_E_clISt17integral_constantIbLb1EES15_IbLb0EEEEDaS11_S12_EUlS11_E_NS1_11comp_targetILNS1_3genE2ELNS1_11target_archE906ELNS1_3gpuE6ELNS1_3repE0EEENS1_30default_config_static_selectorELNS0_4arch9wavefront6targetE0EEEvT1_
                                        ; -- End function
	.section	.AMDGPU.csdata,"",@progbits
; Kernel info:
; codeLenInByte = 0
; NumSgprs: 0
; NumVgprs: 0
; ScratchSize: 0
; MemoryBound: 0
; FloatMode: 240
; IeeeMode: 1
; LDSByteSize: 0 bytes/workgroup (compile time only)
; SGPRBlocks: 0
; VGPRBlocks: 0
; NumSGPRsForWavesPerEU: 1
; NumVGPRsForWavesPerEU: 1
; Occupancy: 16
; WaveLimiterHint : 0
; COMPUTE_PGM_RSRC2:SCRATCH_EN: 0
; COMPUTE_PGM_RSRC2:USER_SGPR: 15
; COMPUTE_PGM_RSRC2:TRAP_HANDLER: 0
; COMPUTE_PGM_RSRC2:TGID_X_EN: 1
; COMPUTE_PGM_RSRC2:TGID_Y_EN: 0
; COMPUTE_PGM_RSRC2:TGID_Z_EN: 0
; COMPUTE_PGM_RSRC2:TIDIG_COMP_CNT: 0
	.section	.text._ZN7rocprim17ROCPRIM_400000_NS6detail17trampoline_kernelINS0_14default_configENS1_29reduce_by_key_config_selectorIjtN6thrust23THRUST_200600_302600_NS4plusItEEEEZZNS1_33reduce_by_key_impl_wrapped_configILNS1_25lookback_scan_determinismE0ES3_S9_NS6_6detail15normal_iteratorINS6_10device_ptrIjEEEENSD_INSE_ItEEEENS6_16discard_iteratorINS6_11use_defaultEEESI_PmS8_NS6_8equal_toIjEEEE10hipError_tPvRmT2_T3_mT4_T5_T6_T7_T8_P12ihipStream_tbENKUlT_T0_E_clISt17integral_constantIbLb1EES15_IbLb0EEEEDaS11_S12_EUlS11_E_NS1_11comp_targetILNS1_3genE10ELNS1_11target_archE1201ELNS1_3gpuE5ELNS1_3repE0EEENS1_30default_config_static_selectorELNS0_4arch9wavefront6targetE0EEEvT1_,"axG",@progbits,_ZN7rocprim17ROCPRIM_400000_NS6detail17trampoline_kernelINS0_14default_configENS1_29reduce_by_key_config_selectorIjtN6thrust23THRUST_200600_302600_NS4plusItEEEEZZNS1_33reduce_by_key_impl_wrapped_configILNS1_25lookback_scan_determinismE0ES3_S9_NS6_6detail15normal_iteratorINS6_10device_ptrIjEEEENSD_INSE_ItEEEENS6_16discard_iteratorINS6_11use_defaultEEESI_PmS8_NS6_8equal_toIjEEEE10hipError_tPvRmT2_T3_mT4_T5_T6_T7_T8_P12ihipStream_tbENKUlT_T0_E_clISt17integral_constantIbLb1EES15_IbLb0EEEEDaS11_S12_EUlS11_E_NS1_11comp_targetILNS1_3genE10ELNS1_11target_archE1201ELNS1_3gpuE5ELNS1_3repE0EEENS1_30default_config_static_selectorELNS0_4arch9wavefront6targetE0EEEvT1_,comdat
	.protected	_ZN7rocprim17ROCPRIM_400000_NS6detail17trampoline_kernelINS0_14default_configENS1_29reduce_by_key_config_selectorIjtN6thrust23THRUST_200600_302600_NS4plusItEEEEZZNS1_33reduce_by_key_impl_wrapped_configILNS1_25lookback_scan_determinismE0ES3_S9_NS6_6detail15normal_iteratorINS6_10device_ptrIjEEEENSD_INSE_ItEEEENS6_16discard_iteratorINS6_11use_defaultEEESI_PmS8_NS6_8equal_toIjEEEE10hipError_tPvRmT2_T3_mT4_T5_T6_T7_T8_P12ihipStream_tbENKUlT_T0_E_clISt17integral_constantIbLb1EES15_IbLb0EEEEDaS11_S12_EUlS11_E_NS1_11comp_targetILNS1_3genE10ELNS1_11target_archE1201ELNS1_3gpuE5ELNS1_3repE0EEENS1_30default_config_static_selectorELNS0_4arch9wavefront6targetE0EEEvT1_ ; -- Begin function _ZN7rocprim17ROCPRIM_400000_NS6detail17trampoline_kernelINS0_14default_configENS1_29reduce_by_key_config_selectorIjtN6thrust23THRUST_200600_302600_NS4plusItEEEEZZNS1_33reduce_by_key_impl_wrapped_configILNS1_25lookback_scan_determinismE0ES3_S9_NS6_6detail15normal_iteratorINS6_10device_ptrIjEEEENSD_INSE_ItEEEENS6_16discard_iteratorINS6_11use_defaultEEESI_PmS8_NS6_8equal_toIjEEEE10hipError_tPvRmT2_T3_mT4_T5_T6_T7_T8_P12ihipStream_tbENKUlT_T0_E_clISt17integral_constantIbLb1EES15_IbLb0EEEEDaS11_S12_EUlS11_E_NS1_11comp_targetILNS1_3genE10ELNS1_11target_archE1201ELNS1_3gpuE5ELNS1_3repE0EEENS1_30default_config_static_selectorELNS0_4arch9wavefront6targetE0EEEvT1_
	.globl	_ZN7rocprim17ROCPRIM_400000_NS6detail17trampoline_kernelINS0_14default_configENS1_29reduce_by_key_config_selectorIjtN6thrust23THRUST_200600_302600_NS4plusItEEEEZZNS1_33reduce_by_key_impl_wrapped_configILNS1_25lookback_scan_determinismE0ES3_S9_NS6_6detail15normal_iteratorINS6_10device_ptrIjEEEENSD_INSE_ItEEEENS6_16discard_iteratorINS6_11use_defaultEEESI_PmS8_NS6_8equal_toIjEEEE10hipError_tPvRmT2_T3_mT4_T5_T6_T7_T8_P12ihipStream_tbENKUlT_T0_E_clISt17integral_constantIbLb1EES15_IbLb0EEEEDaS11_S12_EUlS11_E_NS1_11comp_targetILNS1_3genE10ELNS1_11target_archE1201ELNS1_3gpuE5ELNS1_3repE0EEENS1_30default_config_static_selectorELNS0_4arch9wavefront6targetE0EEEvT1_
	.p2align	8
	.type	_ZN7rocprim17ROCPRIM_400000_NS6detail17trampoline_kernelINS0_14default_configENS1_29reduce_by_key_config_selectorIjtN6thrust23THRUST_200600_302600_NS4plusItEEEEZZNS1_33reduce_by_key_impl_wrapped_configILNS1_25lookback_scan_determinismE0ES3_S9_NS6_6detail15normal_iteratorINS6_10device_ptrIjEEEENSD_INSE_ItEEEENS6_16discard_iteratorINS6_11use_defaultEEESI_PmS8_NS6_8equal_toIjEEEE10hipError_tPvRmT2_T3_mT4_T5_T6_T7_T8_P12ihipStream_tbENKUlT_T0_E_clISt17integral_constantIbLb1EES15_IbLb0EEEEDaS11_S12_EUlS11_E_NS1_11comp_targetILNS1_3genE10ELNS1_11target_archE1201ELNS1_3gpuE5ELNS1_3repE0EEENS1_30default_config_static_selectorELNS0_4arch9wavefront6targetE0EEEvT1_,@function
_ZN7rocprim17ROCPRIM_400000_NS6detail17trampoline_kernelINS0_14default_configENS1_29reduce_by_key_config_selectorIjtN6thrust23THRUST_200600_302600_NS4plusItEEEEZZNS1_33reduce_by_key_impl_wrapped_configILNS1_25lookback_scan_determinismE0ES3_S9_NS6_6detail15normal_iteratorINS6_10device_ptrIjEEEENSD_INSE_ItEEEENS6_16discard_iteratorINS6_11use_defaultEEESI_PmS8_NS6_8equal_toIjEEEE10hipError_tPvRmT2_T3_mT4_T5_T6_T7_T8_P12ihipStream_tbENKUlT_T0_E_clISt17integral_constantIbLb1EES15_IbLb0EEEEDaS11_S12_EUlS11_E_NS1_11comp_targetILNS1_3genE10ELNS1_11target_archE1201ELNS1_3gpuE5ELNS1_3repE0EEENS1_30default_config_static_selectorELNS0_4arch9wavefront6targetE0EEEvT1_: ; @_ZN7rocprim17ROCPRIM_400000_NS6detail17trampoline_kernelINS0_14default_configENS1_29reduce_by_key_config_selectorIjtN6thrust23THRUST_200600_302600_NS4plusItEEEEZZNS1_33reduce_by_key_impl_wrapped_configILNS1_25lookback_scan_determinismE0ES3_S9_NS6_6detail15normal_iteratorINS6_10device_ptrIjEEEENSD_INSE_ItEEEENS6_16discard_iteratorINS6_11use_defaultEEESI_PmS8_NS6_8equal_toIjEEEE10hipError_tPvRmT2_T3_mT4_T5_T6_T7_T8_P12ihipStream_tbENKUlT_T0_E_clISt17integral_constantIbLb1EES15_IbLb0EEEEDaS11_S12_EUlS11_E_NS1_11comp_targetILNS1_3genE10ELNS1_11target_archE1201ELNS1_3gpuE5ELNS1_3repE0EEENS1_30default_config_static_selectorELNS0_4arch9wavefront6targetE0EEEvT1_
; %bb.0:
	.section	.rodata,"a",@progbits
	.p2align	6, 0x0
	.amdhsa_kernel _ZN7rocprim17ROCPRIM_400000_NS6detail17trampoline_kernelINS0_14default_configENS1_29reduce_by_key_config_selectorIjtN6thrust23THRUST_200600_302600_NS4plusItEEEEZZNS1_33reduce_by_key_impl_wrapped_configILNS1_25lookback_scan_determinismE0ES3_S9_NS6_6detail15normal_iteratorINS6_10device_ptrIjEEEENSD_INSE_ItEEEENS6_16discard_iteratorINS6_11use_defaultEEESI_PmS8_NS6_8equal_toIjEEEE10hipError_tPvRmT2_T3_mT4_T5_T6_T7_T8_P12ihipStream_tbENKUlT_T0_E_clISt17integral_constantIbLb1EES15_IbLb0EEEEDaS11_S12_EUlS11_E_NS1_11comp_targetILNS1_3genE10ELNS1_11target_archE1201ELNS1_3gpuE5ELNS1_3repE0EEENS1_30default_config_static_selectorELNS0_4arch9wavefront6targetE0EEEvT1_
		.amdhsa_group_segment_fixed_size 0
		.amdhsa_private_segment_fixed_size 0
		.amdhsa_kernarg_size 128
		.amdhsa_user_sgpr_count 15
		.amdhsa_user_sgpr_dispatch_ptr 0
		.amdhsa_user_sgpr_queue_ptr 0
		.amdhsa_user_sgpr_kernarg_segment_ptr 1
		.amdhsa_user_sgpr_dispatch_id 0
		.amdhsa_user_sgpr_private_segment_size 0
		.amdhsa_wavefront_size32 1
		.amdhsa_uses_dynamic_stack 0
		.amdhsa_enable_private_segment 0
		.amdhsa_system_sgpr_workgroup_id_x 1
		.amdhsa_system_sgpr_workgroup_id_y 0
		.amdhsa_system_sgpr_workgroup_id_z 0
		.amdhsa_system_sgpr_workgroup_info 0
		.amdhsa_system_vgpr_workitem_id 0
		.amdhsa_next_free_vgpr 1
		.amdhsa_next_free_sgpr 1
		.amdhsa_reserve_vcc 0
		.amdhsa_float_round_mode_32 0
		.amdhsa_float_round_mode_16_64 0
		.amdhsa_float_denorm_mode_32 3
		.amdhsa_float_denorm_mode_16_64 3
		.amdhsa_dx10_clamp 1
		.amdhsa_ieee_mode 1
		.amdhsa_fp16_overflow 0
		.amdhsa_workgroup_processor_mode 1
		.amdhsa_memory_ordered 1
		.amdhsa_forward_progress 0
		.amdhsa_shared_vgpr_count 0
		.amdhsa_exception_fp_ieee_invalid_op 0
		.amdhsa_exception_fp_denorm_src 0
		.amdhsa_exception_fp_ieee_div_zero 0
		.amdhsa_exception_fp_ieee_overflow 0
		.amdhsa_exception_fp_ieee_underflow 0
		.amdhsa_exception_fp_ieee_inexact 0
		.amdhsa_exception_int_div_zero 0
	.end_amdhsa_kernel
	.section	.text._ZN7rocprim17ROCPRIM_400000_NS6detail17trampoline_kernelINS0_14default_configENS1_29reduce_by_key_config_selectorIjtN6thrust23THRUST_200600_302600_NS4plusItEEEEZZNS1_33reduce_by_key_impl_wrapped_configILNS1_25lookback_scan_determinismE0ES3_S9_NS6_6detail15normal_iteratorINS6_10device_ptrIjEEEENSD_INSE_ItEEEENS6_16discard_iteratorINS6_11use_defaultEEESI_PmS8_NS6_8equal_toIjEEEE10hipError_tPvRmT2_T3_mT4_T5_T6_T7_T8_P12ihipStream_tbENKUlT_T0_E_clISt17integral_constantIbLb1EES15_IbLb0EEEEDaS11_S12_EUlS11_E_NS1_11comp_targetILNS1_3genE10ELNS1_11target_archE1201ELNS1_3gpuE5ELNS1_3repE0EEENS1_30default_config_static_selectorELNS0_4arch9wavefront6targetE0EEEvT1_,"axG",@progbits,_ZN7rocprim17ROCPRIM_400000_NS6detail17trampoline_kernelINS0_14default_configENS1_29reduce_by_key_config_selectorIjtN6thrust23THRUST_200600_302600_NS4plusItEEEEZZNS1_33reduce_by_key_impl_wrapped_configILNS1_25lookback_scan_determinismE0ES3_S9_NS6_6detail15normal_iteratorINS6_10device_ptrIjEEEENSD_INSE_ItEEEENS6_16discard_iteratorINS6_11use_defaultEEESI_PmS8_NS6_8equal_toIjEEEE10hipError_tPvRmT2_T3_mT4_T5_T6_T7_T8_P12ihipStream_tbENKUlT_T0_E_clISt17integral_constantIbLb1EES15_IbLb0EEEEDaS11_S12_EUlS11_E_NS1_11comp_targetILNS1_3genE10ELNS1_11target_archE1201ELNS1_3gpuE5ELNS1_3repE0EEENS1_30default_config_static_selectorELNS0_4arch9wavefront6targetE0EEEvT1_,comdat
.Lfunc_end972:
	.size	_ZN7rocprim17ROCPRIM_400000_NS6detail17trampoline_kernelINS0_14default_configENS1_29reduce_by_key_config_selectorIjtN6thrust23THRUST_200600_302600_NS4plusItEEEEZZNS1_33reduce_by_key_impl_wrapped_configILNS1_25lookback_scan_determinismE0ES3_S9_NS6_6detail15normal_iteratorINS6_10device_ptrIjEEEENSD_INSE_ItEEEENS6_16discard_iteratorINS6_11use_defaultEEESI_PmS8_NS6_8equal_toIjEEEE10hipError_tPvRmT2_T3_mT4_T5_T6_T7_T8_P12ihipStream_tbENKUlT_T0_E_clISt17integral_constantIbLb1EES15_IbLb0EEEEDaS11_S12_EUlS11_E_NS1_11comp_targetILNS1_3genE10ELNS1_11target_archE1201ELNS1_3gpuE5ELNS1_3repE0EEENS1_30default_config_static_selectorELNS0_4arch9wavefront6targetE0EEEvT1_, .Lfunc_end972-_ZN7rocprim17ROCPRIM_400000_NS6detail17trampoline_kernelINS0_14default_configENS1_29reduce_by_key_config_selectorIjtN6thrust23THRUST_200600_302600_NS4plusItEEEEZZNS1_33reduce_by_key_impl_wrapped_configILNS1_25lookback_scan_determinismE0ES3_S9_NS6_6detail15normal_iteratorINS6_10device_ptrIjEEEENSD_INSE_ItEEEENS6_16discard_iteratorINS6_11use_defaultEEESI_PmS8_NS6_8equal_toIjEEEE10hipError_tPvRmT2_T3_mT4_T5_T6_T7_T8_P12ihipStream_tbENKUlT_T0_E_clISt17integral_constantIbLb1EES15_IbLb0EEEEDaS11_S12_EUlS11_E_NS1_11comp_targetILNS1_3genE10ELNS1_11target_archE1201ELNS1_3gpuE5ELNS1_3repE0EEENS1_30default_config_static_selectorELNS0_4arch9wavefront6targetE0EEEvT1_
                                        ; -- End function
	.section	.AMDGPU.csdata,"",@progbits
; Kernel info:
; codeLenInByte = 0
; NumSgprs: 0
; NumVgprs: 0
; ScratchSize: 0
; MemoryBound: 0
; FloatMode: 240
; IeeeMode: 1
; LDSByteSize: 0 bytes/workgroup (compile time only)
; SGPRBlocks: 0
; VGPRBlocks: 0
; NumSGPRsForWavesPerEU: 1
; NumVGPRsForWavesPerEU: 1
; Occupancy: 16
; WaveLimiterHint : 0
; COMPUTE_PGM_RSRC2:SCRATCH_EN: 0
; COMPUTE_PGM_RSRC2:USER_SGPR: 15
; COMPUTE_PGM_RSRC2:TRAP_HANDLER: 0
; COMPUTE_PGM_RSRC2:TGID_X_EN: 1
; COMPUTE_PGM_RSRC2:TGID_Y_EN: 0
; COMPUTE_PGM_RSRC2:TGID_Z_EN: 0
; COMPUTE_PGM_RSRC2:TIDIG_COMP_CNT: 0
	.section	.text._ZN7rocprim17ROCPRIM_400000_NS6detail17trampoline_kernelINS0_14default_configENS1_29reduce_by_key_config_selectorIjtN6thrust23THRUST_200600_302600_NS4plusItEEEEZZNS1_33reduce_by_key_impl_wrapped_configILNS1_25lookback_scan_determinismE0ES3_S9_NS6_6detail15normal_iteratorINS6_10device_ptrIjEEEENSD_INSE_ItEEEENS6_16discard_iteratorINS6_11use_defaultEEESI_PmS8_NS6_8equal_toIjEEEE10hipError_tPvRmT2_T3_mT4_T5_T6_T7_T8_P12ihipStream_tbENKUlT_T0_E_clISt17integral_constantIbLb1EES15_IbLb0EEEEDaS11_S12_EUlS11_E_NS1_11comp_targetILNS1_3genE10ELNS1_11target_archE1200ELNS1_3gpuE4ELNS1_3repE0EEENS1_30default_config_static_selectorELNS0_4arch9wavefront6targetE0EEEvT1_,"axG",@progbits,_ZN7rocprim17ROCPRIM_400000_NS6detail17trampoline_kernelINS0_14default_configENS1_29reduce_by_key_config_selectorIjtN6thrust23THRUST_200600_302600_NS4plusItEEEEZZNS1_33reduce_by_key_impl_wrapped_configILNS1_25lookback_scan_determinismE0ES3_S9_NS6_6detail15normal_iteratorINS6_10device_ptrIjEEEENSD_INSE_ItEEEENS6_16discard_iteratorINS6_11use_defaultEEESI_PmS8_NS6_8equal_toIjEEEE10hipError_tPvRmT2_T3_mT4_T5_T6_T7_T8_P12ihipStream_tbENKUlT_T0_E_clISt17integral_constantIbLb1EES15_IbLb0EEEEDaS11_S12_EUlS11_E_NS1_11comp_targetILNS1_3genE10ELNS1_11target_archE1200ELNS1_3gpuE4ELNS1_3repE0EEENS1_30default_config_static_selectorELNS0_4arch9wavefront6targetE0EEEvT1_,comdat
	.protected	_ZN7rocprim17ROCPRIM_400000_NS6detail17trampoline_kernelINS0_14default_configENS1_29reduce_by_key_config_selectorIjtN6thrust23THRUST_200600_302600_NS4plusItEEEEZZNS1_33reduce_by_key_impl_wrapped_configILNS1_25lookback_scan_determinismE0ES3_S9_NS6_6detail15normal_iteratorINS6_10device_ptrIjEEEENSD_INSE_ItEEEENS6_16discard_iteratorINS6_11use_defaultEEESI_PmS8_NS6_8equal_toIjEEEE10hipError_tPvRmT2_T3_mT4_T5_T6_T7_T8_P12ihipStream_tbENKUlT_T0_E_clISt17integral_constantIbLb1EES15_IbLb0EEEEDaS11_S12_EUlS11_E_NS1_11comp_targetILNS1_3genE10ELNS1_11target_archE1200ELNS1_3gpuE4ELNS1_3repE0EEENS1_30default_config_static_selectorELNS0_4arch9wavefront6targetE0EEEvT1_ ; -- Begin function _ZN7rocprim17ROCPRIM_400000_NS6detail17trampoline_kernelINS0_14default_configENS1_29reduce_by_key_config_selectorIjtN6thrust23THRUST_200600_302600_NS4plusItEEEEZZNS1_33reduce_by_key_impl_wrapped_configILNS1_25lookback_scan_determinismE0ES3_S9_NS6_6detail15normal_iteratorINS6_10device_ptrIjEEEENSD_INSE_ItEEEENS6_16discard_iteratorINS6_11use_defaultEEESI_PmS8_NS6_8equal_toIjEEEE10hipError_tPvRmT2_T3_mT4_T5_T6_T7_T8_P12ihipStream_tbENKUlT_T0_E_clISt17integral_constantIbLb1EES15_IbLb0EEEEDaS11_S12_EUlS11_E_NS1_11comp_targetILNS1_3genE10ELNS1_11target_archE1200ELNS1_3gpuE4ELNS1_3repE0EEENS1_30default_config_static_selectorELNS0_4arch9wavefront6targetE0EEEvT1_
	.globl	_ZN7rocprim17ROCPRIM_400000_NS6detail17trampoline_kernelINS0_14default_configENS1_29reduce_by_key_config_selectorIjtN6thrust23THRUST_200600_302600_NS4plusItEEEEZZNS1_33reduce_by_key_impl_wrapped_configILNS1_25lookback_scan_determinismE0ES3_S9_NS6_6detail15normal_iteratorINS6_10device_ptrIjEEEENSD_INSE_ItEEEENS6_16discard_iteratorINS6_11use_defaultEEESI_PmS8_NS6_8equal_toIjEEEE10hipError_tPvRmT2_T3_mT4_T5_T6_T7_T8_P12ihipStream_tbENKUlT_T0_E_clISt17integral_constantIbLb1EES15_IbLb0EEEEDaS11_S12_EUlS11_E_NS1_11comp_targetILNS1_3genE10ELNS1_11target_archE1200ELNS1_3gpuE4ELNS1_3repE0EEENS1_30default_config_static_selectorELNS0_4arch9wavefront6targetE0EEEvT1_
	.p2align	8
	.type	_ZN7rocprim17ROCPRIM_400000_NS6detail17trampoline_kernelINS0_14default_configENS1_29reduce_by_key_config_selectorIjtN6thrust23THRUST_200600_302600_NS4plusItEEEEZZNS1_33reduce_by_key_impl_wrapped_configILNS1_25lookback_scan_determinismE0ES3_S9_NS6_6detail15normal_iteratorINS6_10device_ptrIjEEEENSD_INSE_ItEEEENS6_16discard_iteratorINS6_11use_defaultEEESI_PmS8_NS6_8equal_toIjEEEE10hipError_tPvRmT2_T3_mT4_T5_T6_T7_T8_P12ihipStream_tbENKUlT_T0_E_clISt17integral_constantIbLb1EES15_IbLb0EEEEDaS11_S12_EUlS11_E_NS1_11comp_targetILNS1_3genE10ELNS1_11target_archE1200ELNS1_3gpuE4ELNS1_3repE0EEENS1_30default_config_static_selectorELNS0_4arch9wavefront6targetE0EEEvT1_,@function
_ZN7rocprim17ROCPRIM_400000_NS6detail17trampoline_kernelINS0_14default_configENS1_29reduce_by_key_config_selectorIjtN6thrust23THRUST_200600_302600_NS4plusItEEEEZZNS1_33reduce_by_key_impl_wrapped_configILNS1_25lookback_scan_determinismE0ES3_S9_NS6_6detail15normal_iteratorINS6_10device_ptrIjEEEENSD_INSE_ItEEEENS6_16discard_iteratorINS6_11use_defaultEEESI_PmS8_NS6_8equal_toIjEEEE10hipError_tPvRmT2_T3_mT4_T5_T6_T7_T8_P12ihipStream_tbENKUlT_T0_E_clISt17integral_constantIbLb1EES15_IbLb0EEEEDaS11_S12_EUlS11_E_NS1_11comp_targetILNS1_3genE10ELNS1_11target_archE1200ELNS1_3gpuE4ELNS1_3repE0EEENS1_30default_config_static_selectorELNS0_4arch9wavefront6targetE0EEEvT1_: ; @_ZN7rocprim17ROCPRIM_400000_NS6detail17trampoline_kernelINS0_14default_configENS1_29reduce_by_key_config_selectorIjtN6thrust23THRUST_200600_302600_NS4plusItEEEEZZNS1_33reduce_by_key_impl_wrapped_configILNS1_25lookback_scan_determinismE0ES3_S9_NS6_6detail15normal_iteratorINS6_10device_ptrIjEEEENSD_INSE_ItEEEENS6_16discard_iteratorINS6_11use_defaultEEESI_PmS8_NS6_8equal_toIjEEEE10hipError_tPvRmT2_T3_mT4_T5_T6_T7_T8_P12ihipStream_tbENKUlT_T0_E_clISt17integral_constantIbLb1EES15_IbLb0EEEEDaS11_S12_EUlS11_E_NS1_11comp_targetILNS1_3genE10ELNS1_11target_archE1200ELNS1_3gpuE4ELNS1_3repE0EEENS1_30default_config_static_selectorELNS0_4arch9wavefront6targetE0EEEvT1_
; %bb.0:
	.section	.rodata,"a",@progbits
	.p2align	6, 0x0
	.amdhsa_kernel _ZN7rocprim17ROCPRIM_400000_NS6detail17trampoline_kernelINS0_14default_configENS1_29reduce_by_key_config_selectorIjtN6thrust23THRUST_200600_302600_NS4plusItEEEEZZNS1_33reduce_by_key_impl_wrapped_configILNS1_25lookback_scan_determinismE0ES3_S9_NS6_6detail15normal_iteratorINS6_10device_ptrIjEEEENSD_INSE_ItEEEENS6_16discard_iteratorINS6_11use_defaultEEESI_PmS8_NS6_8equal_toIjEEEE10hipError_tPvRmT2_T3_mT4_T5_T6_T7_T8_P12ihipStream_tbENKUlT_T0_E_clISt17integral_constantIbLb1EES15_IbLb0EEEEDaS11_S12_EUlS11_E_NS1_11comp_targetILNS1_3genE10ELNS1_11target_archE1200ELNS1_3gpuE4ELNS1_3repE0EEENS1_30default_config_static_selectorELNS0_4arch9wavefront6targetE0EEEvT1_
		.amdhsa_group_segment_fixed_size 0
		.amdhsa_private_segment_fixed_size 0
		.amdhsa_kernarg_size 128
		.amdhsa_user_sgpr_count 15
		.amdhsa_user_sgpr_dispatch_ptr 0
		.amdhsa_user_sgpr_queue_ptr 0
		.amdhsa_user_sgpr_kernarg_segment_ptr 1
		.amdhsa_user_sgpr_dispatch_id 0
		.amdhsa_user_sgpr_private_segment_size 0
		.amdhsa_wavefront_size32 1
		.amdhsa_uses_dynamic_stack 0
		.amdhsa_enable_private_segment 0
		.amdhsa_system_sgpr_workgroup_id_x 1
		.amdhsa_system_sgpr_workgroup_id_y 0
		.amdhsa_system_sgpr_workgroup_id_z 0
		.amdhsa_system_sgpr_workgroup_info 0
		.amdhsa_system_vgpr_workitem_id 0
		.amdhsa_next_free_vgpr 1
		.amdhsa_next_free_sgpr 1
		.amdhsa_reserve_vcc 0
		.amdhsa_float_round_mode_32 0
		.amdhsa_float_round_mode_16_64 0
		.amdhsa_float_denorm_mode_32 3
		.amdhsa_float_denorm_mode_16_64 3
		.amdhsa_dx10_clamp 1
		.amdhsa_ieee_mode 1
		.amdhsa_fp16_overflow 0
		.amdhsa_workgroup_processor_mode 1
		.amdhsa_memory_ordered 1
		.amdhsa_forward_progress 0
		.amdhsa_shared_vgpr_count 0
		.amdhsa_exception_fp_ieee_invalid_op 0
		.amdhsa_exception_fp_denorm_src 0
		.amdhsa_exception_fp_ieee_div_zero 0
		.amdhsa_exception_fp_ieee_overflow 0
		.amdhsa_exception_fp_ieee_underflow 0
		.amdhsa_exception_fp_ieee_inexact 0
		.amdhsa_exception_int_div_zero 0
	.end_amdhsa_kernel
	.section	.text._ZN7rocprim17ROCPRIM_400000_NS6detail17trampoline_kernelINS0_14default_configENS1_29reduce_by_key_config_selectorIjtN6thrust23THRUST_200600_302600_NS4plusItEEEEZZNS1_33reduce_by_key_impl_wrapped_configILNS1_25lookback_scan_determinismE0ES3_S9_NS6_6detail15normal_iteratorINS6_10device_ptrIjEEEENSD_INSE_ItEEEENS6_16discard_iteratorINS6_11use_defaultEEESI_PmS8_NS6_8equal_toIjEEEE10hipError_tPvRmT2_T3_mT4_T5_T6_T7_T8_P12ihipStream_tbENKUlT_T0_E_clISt17integral_constantIbLb1EES15_IbLb0EEEEDaS11_S12_EUlS11_E_NS1_11comp_targetILNS1_3genE10ELNS1_11target_archE1200ELNS1_3gpuE4ELNS1_3repE0EEENS1_30default_config_static_selectorELNS0_4arch9wavefront6targetE0EEEvT1_,"axG",@progbits,_ZN7rocprim17ROCPRIM_400000_NS6detail17trampoline_kernelINS0_14default_configENS1_29reduce_by_key_config_selectorIjtN6thrust23THRUST_200600_302600_NS4plusItEEEEZZNS1_33reduce_by_key_impl_wrapped_configILNS1_25lookback_scan_determinismE0ES3_S9_NS6_6detail15normal_iteratorINS6_10device_ptrIjEEEENSD_INSE_ItEEEENS6_16discard_iteratorINS6_11use_defaultEEESI_PmS8_NS6_8equal_toIjEEEE10hipError_tPvRmT2_T3_mT4_T5_T6_T7_T8_P12ihipStream_tbENKUlT_T0_E_clISt17integral_constantIbLb1EES15_IbLb0EEEEDaS11_S12_EUlS11_E_NS1_11comp_targetILNS1_3genE10ELNS1_11target_archE1200ELNS1_3gpuE4ELNS1_3repE0EEENS1_30default_config_static_selectorELNS0_4arch9wavefront6targetE0EEEvT1_,comdat
.Lfunc_end973:
	.size	_ZN7rocprim17ROCPRIM_400000_NS6detail17trampoline_kernelINS0_14default_configENS1_29reduce_by_key_config_selectorIjtN6thrust23THRUST_200600_302600_NS4plusItEEEEZZNS1_33reduce_by_key_impl_wrapped_configILNS1_25lookback_scan_determinismE0ES3_S9_NS6_6detail15normal_iteratorINS6_10device_ptrIjEEEENSD_INSE_ItEEEENS6_16discard_iteratorINS6_11use_defaultEEESI_PmS8_NS6_8equal_toIjEEEE10hipError_tPvRmT2_T3_mT4_T5_T6_T7_T8_P12ihipStream_tbENKUlT_T0_E_clISt17integral_constantIbLb1EES15_IbLb0EEEEDaS11_S12_EUlS11_E_NS1_11comp_targetILNS1_3genE10ELNS1_11target_archE1200ELNS1_3gpuE4ELNS1_3repE0EEENS1_30default_config_static_selectorELNS0_4arch9wavefront6targetE0EEEvT1_, .Lfunc_end973-_ZN7rocprim17ROCPRIM_400000_NS6detail17trampoline_kernelINS0_14default_configENS1_29reduce_by_key_config_selectorIjtN6thrust23THRUST_200600_302600_NS4plusItEEEEZZNS1_33reduce_by_key_impl_wrapped_configILNS1_25lookback_scan_determinismE0ES3_S9_NS6_6detail15normal_iteratorINS6_10device_ptrIjEEEENSD_INSE_ItEEEENS6_16discard_iteratorINS6_11use_defaultEEESI_PmS8_NS6_8equal_toIjEEEE10hipError_tPvRmT2_T3_mT4_T5_T6_T7_T8_P12ihipStream_tbENKUlT_T0_E_clISt17integral_constantIbLb1EES15_IbLb0EEEEDaS11_S12_EUlS11_E_NS1_11comp_targetILNS1_3genE10ELNS1_11target_archE1200ELNS1_3gpuE4ELNS1_3repE0EEENS1_30default_config_static_selectorELNS0_4arch9wavefront6targetE0EEEvT1_
                                        ; -- End function
	.section	.AMDGPU.csdata,"",@progbits
; Kernel info:
; codeLenInByte = 0
; NumSgprs: 0
; NumVgprs: 0
; ScratchSize: 0
; MemoryBound: 0
; FloatMode: 240
; IeeeMode: 1
; LDSByteSize: 0 bytes/workgroup (compile time only)
; SGPRBlocks: 0
; VGPRBlocks: 0
; NumSGPRsForWavesPerEU: 1
; NumVGPRsForWavesPerEU: 1
; Occupancy: 16
; WaveLimiterHint : 0
; COMPUTE_PGM_RSRC2:SCRATCH_EN: 0
; COMPUTE_PGM_RSRC2:USER_SGPR: 15
; COMPUTE_PGM_RSRC2:TRAP_HANDLER: 0
; COMPUTE_PGM_RSRC2:TGID_X_EN: 1
; COMPUTE_PGM_RSRC2:TGID_Y_EN: 0
; COMPUTE_PGM_RSRC2:TGID_Z_EN: 0
; COMPUTE_PGM_RSRC2:TIDIG_COMP_CNT: 0
	.section	.text._ZN7rocprim17ROCPRIM_400000_NS6detail17trampoline_kernelINS0_14default_configENS1_29reduce_by_key_config_selectorIjtN6thrust23THRUST_200600_302600_NS4plusItEEEEZZNS1_33reduce_by_key_impl_wrapped_configILNS1_25lookback_scan_determinismE0ES3_S9_NS6_6detail15normal_iteratorINS6_10device_ptrIjEEEENSD_INSE_ItEEEENS6_16discard_iteratorINS6_11use_defaultEEESI_PmS8_NS6_8equal_toIjEEEE10hipError_tPvRmT2_T3_mT4_T5_T6_T7_T8_P12ihipStream_tbENKUlT_T0_E_clISt17integral_constantIbLb1EES15_IbLb0EEEEDaS11_S12_EUlS11_E_NS1_11comp_targetILNS1_3genE9ELNS1_11target_archE1100ELNS1_3gpuE3ELNS1_3repE0EEENS1_30default_config_static_selectorELNS0_4arch9wavefront6targetE0EEEvT1_,"axG",@progbits,_ZN7rocprim17ROCPRIM_400000_NS6detail17trampoline_kernelINS0_14default_configENS1_29reduce_by_key_config_selectorIjtN6thrust23THRUST_200600_302600_NS4plusItEEEEZZNS1_33reduce_by_key_impl_wrapped_configILNS1_25lookback_scan_determinismE0ES3_S9_NS6_6detail15normal_iteratorINS6_10device_ptrIjEEEENSD_INSE_ItEEEENS6_16discard_iteratorINS6_11use_defaultEEESI_PmS8_NS6_8equal_toIjEEEE10hipError_tPvRmT2_T3_mT4_T5_T6_T7_T8_P12ihipStream_tbENKUlT_T0_E_clISt17integral_constantIbLb1EES15_IbLb0EEEEDaS11_S12_EUlS11_E_NS1_11comp_targetILNS1_3genE9ELNS1_11target_archE1100ELNS1_3gpuE3ELNS1_3repE0EEENS1_30default_config_static_selectorELNS0_4arch9wavefront6targetE0EEEvT1_,comdat
	.protected	_ZN7rocprim17ROCPRIM_400000_NS6detail17trampoline_kernelINS0_14default_configENS1_29reduce_by_key_config_selectorIjtN6thrust23THRUST_200600_302600_NS4plusItEEEEZZNS1_33reduce_by_key_impl_wrapped_configILNS1_25lookback_scan_determinismE0ES3_S9_NS6_6detail15normal_iteratorINS6_10device_ptrIjEEEENSD_INSE_ItEEEENS6_16discard_iteratorINS6_11use_defaultEEESI_PmS8_NS6_8equal_toIjEEEE10hipError_tPvRmT2_T3_mT4_T5_T6_T7_T8_P12ihipStream_tbENKUlT_T0_E_clISt17integral_constantIbLb1EES15_IbLb0EEEEDaS11_S12_EUlS11_E_NS1_11comp_targetILNS1_3genE9ELNS1_11target_archE1100ELNS1_3gpuE3ELNS1_3repE0EEENS1_30default_config_static_selectorELNS0_4arch9wavefront6targetE0EEEvT1_ ; -- Begin function _ZN7rocprim17ROCPRIM_400000_NS6detail17trampoline_kernelINS0_14default_configENS1_29reduce_by_key_config_selectorIjtN6thrust23THRUST_200600_302600_NS4plusItEEEEZZNS1_33reduce_by_key_impl_wrapped_configILNS1_25lookback_scan_determinismE0ES3_S9_NS6_6detail15normal_iteratorINS6_10device_ptrIjEEEENSD_INSE_ItEEEENS6_16discard_iteratorINS6_11use_defaultEEESI_PmS8_NS6_8equal_toIjEEEE10hipError_tPvRmT2_T3_mT4_T5_T6_T7_T8_P12ihipStream_tbENKUlT_T0_E_clISt17integral_constantIbLb1EES15_IbLb0EEEEDaS11_S12_EUlS11_E_NS1_11comp_targetILNS1_3genE9ELNS1_11target_archE1100ELNS1_3gpuE3ELNS1_3repE0EEENS1_30default_config_static_selectorELNS0_4arch9wavefront6targetE0EEEvT1_
	.globl	_ZN7rocprim17ROCPRIM_400000_NS6detail17trampoline_kernelINS0_14default_configENS1_29reduce_by_key_config_selectorIjtN6thrust23THRUST_200600_302600_NS4plusItEEEEZZNS1_33reduce_by_key_impl_wrapped_configILNS1_25lookback_scan_determinismE0ES3_S9_NS6_6detail15normal_iteratorINS6_10device_ptrIjEEEENSD_INSE_ItEEEENS6_16discard_iteratorINS6_11use_defaultEEESI_PmS8_NS6_8equal_toIjEEEE10hipError_tPvRmT2_T3_mT4_T5_T6_T7_T8_P12ihipStream_tbENKUlT_T0_E_clISt17integral_constantIbLb1EES15_IbLb0EEEEDaS11_S12_EUlS11_E_NS1_11comp_targetILNS1_3genE9ELNS1_11target_archE1100ELNS1_3gpuE3ELNS1_3repE0EEENS1_30default_config_static_selectorELNS0_4arch9wavefront6targetE0EEEvT1_
	.p2align	8
	.type	_ZN7rocprim17ROCPRIM_400000_NS6detail17trampoline_kernelINS0_14default_configENS1_29reduce_by_key_config_selectorIjtN6thrust23THRUST_200600_302600_NS4plusItEEEEZZNS1_33reduce_by_key_impl_wrapped_configILNS1_25lookback_scan_determinismE0ES3_S9_NS6_6detail15normal_iteratorINS6_10device_ptrIjEEEENSD_INSE_ItEEEENS6_16discard_iteratorINS6_11use_defaultEEESI_PmS8_NS6_8equal_toIjEEEE10hipError_tPvRmT2_T3_mT4_T5_T6_T7_T8_P12ihipStream_tbENKUlT_T0_E_clISt17integral_constantIbLb1EES15_IbLb0EEEEDaS11_S12_EUlS11_E_NS1_11comp_targetILNS1_3genE9ELNS1_11target_archE1100ELNS1_3gpuE3ELNS1_3repE0EEENS1_30default_config_static_selectorELNS0_4arch9wavefront6targetE0EEEvT1_,@function
_ZN7rocprim17ROCPRIM_400000_NS6detail17trampoline_kernelINS0_14default_configENS1_29reduce_by_key_config_selectorIjtN6thrust23THRUST_200600_302600_NS4plusItEEEEZZNS1_33reduce_by_key_impl_wrapped_configILNS1_25lookback_scan_determinismE0ES3_S9_NS6_6detail15normal_iteratorINS6_10device_ptrIjEEEENSD_INSE_ItEEEENS6_16discard_iteratorINS6_11use_defaultEEESI_PmS8_NS6_8equal_toIjEEEE10hipError_tPvRmT2_T3_mT4_T5_T6_T7_T8_P12ihipStream_tbENKUlT_T0_E_clISt17integral_constantIbLb1EES15_IbLb0EEEEDaS11_S12_EUlS11_E_NS1_11comp_targetILNS1_3genE9ELNS1_11target_archE1100ELNS1_3gpuE3ELNS1_3repE0EEENS1_30default_config_static_selectorELNS0_4arch9wavefront6targetE0EEEvT1_: ; @_ZN7rocprim17ROCPRIM_400000_NS6detail17trampoline_kernelINS0_14default_configENS1_29reduce_by_key_config_selectorIjtN6thrust23THRUST_200600_302600_NS4plusItEEEEZZNS1_33reduce_by_key_impl_wrapped_configILNS1_25lookback_scan_determinismE0ES3_S9_NS6_6detail15normal_iteratorINS6_10device_ptrIjEEEENSD_INSE_ItEEEENS6_16discard_iteratorINS6_11use_defaultEEESI_PmS8_NS6_8equal_toIjEEEE10hipError_tPvRmT2_T3_mT4_T5_T6_T7_T8_P12ihipStream_tbENKUlT_T0_E_clISt17integral_constantIbLb1EES15_IbLb0EEEEDaS11_S12_EUlS11_E_NS1_11comp_targetILNS1_3genE9ELNS1_11target_archE1100ELNS1_3gpuE3ELNS1_3repE0EEENS1_30default_config_static_selectorELNS0_4arch9wavefront6targetE0EEEvT1_
; %bb.0:
	s_clause 0x2
	s_load_b128 s[4:7], s[0:1], 0x0
	s_load_b256 s[24:31], s[0:1], 0x40
	s_load_b64 s[8:9], s[0:1], 0x10
	s_mov_b32 s3, 0
	s_clause 0x1
	s_load_b64 s[34:35], s[0:1], 0x70
	s_load_b128 s[36:39], s[0:1], 0x60
	s_mul_i32 s2, s15, 0xf00
	s_waitcnt lgkmcnt(0)
	s_lshl_b64 s[10:11], s[6:7], 2
	s_mul_i32 s12, s28, s27
	s_add_u32 s10, s4, s10
	s_addc_u32 s11, s5, s11
	s_lshl_b64 s[4:5], s[6:7], 1
	s_mul_hi_u32 s13, s28, s26
	s_add_u32 s7, s8, s4
	s_mul_i32 s6, s29, s26
	s_addc_u32 s8, s9, s5
	s_add_i32 s9, s13, s12
	s_lshl_b64 s[4:5], s[2:3], 2
	s_add_i32 s9, s9, s6
	s_add_u32 s20, s10, s4
	s_addc_u32 s17, s11, s5
	s_lshl_b64 s[4:5], s[2:3], 1
	s_mul_i32 s2, s28, s26
	s_add_u32 s22, s7, s4
	s_addc_u32 s28, s8, s5
	s_add_u32 s18, s2, s15
	s_addc_u32 s19, s9, 0
	s_add_u32 s4, s30, -1
	s_addc_u32 s5, s31, -1
	s_mul_i32 s33, s4, 0xfffff100
	s_cmp_eq_u64 s[18:19], s[4:5]
	s_cselect_b32 s23, -1, 0
	s_cmp_lg_u64 s[18:19], s[4:5]
	s_cselect_b32 s21, -1, 0
	s_and_b32 vcc_lo, exec_lo, s23
	s_cbranch_vccnz .LBB974_2
; %bb.1:
	v_lshlrev_b32_e32 v5, 2, v0
	v_mad_u32_u24 v29, v0, 15, 1
	v_mad_u32_u24 v24, v0, 15, 2
	;; [unrolled: 1-line block ×4, first 2 shown]
	v_add_co_u32 v1, s2, s20, v5
	s_delay_alu instid0(VALU_DEP_1) | instskip(SKIP_1) | instid1(VALU_DEP_3)
	v_add_co_ci_u32_e64 v2, null, s17, 0, s2
	v_mad_u32_u24 v23, v0, 56, v5
	v_add_co_u32 v3, vcc_lo, 0x1000, v1
	s_delay_alu instid0(VALU_DEP_3)
	v_add_co_ci_u32_e32 v4, vcc_lo, 0, v2, vcc_lo
	s_clause 0x7
	flat_load_b32 v6, v[1:2]
	flat_load_b32 v7, v[1:2] offset:1024
	flat_load_b32 v8, v[1:2] offset:2048
	;; [unrolled: 1-line block ×3, first 2 shown]
	flat_load_b32 v10, v[3:4]
	flat_load_b32 v11, v[3:4] offset:1024
	flat_load_b32 v12, v[3:4] offset:2048
	;; [unrolled: 1-line block ×3, first 2 shown]
	v_add_co_u32 v3, vcc_lo, 0x2000, v1
	v_add_co_ci_u32_e32 v4, vcc_lo, 0, v2, vcc_lo
	v_add_co_u32 v1, vcc_lo, 0x3000, v1
	v_add_co_ci_u32_e32 v2, vcc_lo, 0, v2, vcc_lo
	s_clause 0x6
	flat_load_b32 v14, v[3:4]
	flat_load_b32 v15, v[3:4] offset:1024
	flat_load_b32 v16, v[3:4] offset:2048
	;; [unrolled: 1-line block ×3, first 2 shown]
	flat_load_b32 v18, v[1:2]
	flat_load_b32 v19, v[1:2] offset:1024
	flat_load_b32 v20, v[1:2] offset:2048
	v_lshlrev_b32_e32 v1, 1, v0
	v_mad_u32_u24 v27, v0, 15, 5
	v_mad_u32_u24 v21, v0, 15, 6
	;; [unrolled: 1-line block ×4, first 2 shown]
	v_add_co_u32 v1, s2, s22, v1
	s_delay_alu instid0(VALU_DEP_1) | instskip(SKIP_1) | instid1(VALU_DEP_3)
	v_add_co_ci_u32_e64 v2, null, s28, 0, s2
	v_mad_u32_u24 v25, v0, 15, 12
	v_add_co_u32 v3, vcc_lo, 0x1000, v1
	s_delay_alu instid0(VALU_DEP_3)
	v_add_co_ci_u32_e32 v4, vcc_lo, 0, v2, vcc_lo
	s_waitcnt vmcnt(13) lgkmcnt(13)
	ds_store_2addr_stride64_b32 v5, v6, v7 offset1:4
	s_waitcnt vmcnt(11) lgkmcnt(12)
	ds_store_2addr_stride64_b32 v5, v8, v9 offset0:8 offset1:12
	s_waitcnt vmcnt(9) lgkmcnt(11)
	ds_store_2addr_stride64_b32 v5, v10, v11 offset0:16 offset1:20
	;; [unrolled: 2-line block ×6, first 2 shown]
	s_waitcnt vmcnt(0) lgkmcnt(7)
	ds_store_b32 v5, v20 offset:14336
	s_waitcnt lgkmcnt(0)
	s_barrier
	buffer_gl0_inv
	ds_load_2addr_b32 v[18:19], v23 offset1:1
	ds_load_2addr_b32 v[16:17], v23 offset0:2 offset1:3
	ds_load_2addr_b32 v[14:15], v23 offset0:4 offset1:5
	;; [unrolled: 1-line block ×6, first 2 shown]
	ds_load_b32 v52, v23 offset:56
	s_waitcnt lgkmcnt(0)
	s_barrier
	buffer_gl0_inv
	s_clause 0xe
	flat_load_u16 v31, v[1:2]
	flat_load_u16 v32, v[1:2] offset:512
	flat_load_u16 v33, v[1:2] offset:1024
	;; [unrolled: 1-line block ×7, first 2 shown]
	flat_load_u16 v39, v[3:4]
	flat_load_u16 v40, v[3:4] offset:512
	flat_load_u16 v41, v[3:4] offset:1024
	;; [unrolled: 1-line block ×6, first 2 shown]
	v_mul_u32_u24_e32 v1, 15, v0
	v_mad_u32_u24 v3, v0, 15, 8
	v_mad_u32_u24 v5, v0, 15, 9
	;; [unrolled: 1-line block ×3, first 2 shown]
	v_mad_i32_i24 v23, 0xffffffc6, v0, v23
	v_mad_u32_u24 v20, v0, 15, 13
	v_mad_u32_u24 v4, v0, 15, 14
	s_waitcnt vmcnt(14) lgkmcnt(14)
	ds_store_b16 v23, v31
	s_waitcnt vmcnt(13) lgkmcnt(14)
	ds_store_b16 v23, v32 offset:512
	s_waitcnt vmcnt(12) lgkmcnt(14)
	ds_store_b16 v23, v33 offset:1024
	;; [unrolled: 2-line block ×14, first 2 shown]
	s_waitcnt lgkmcnt(0)
	s_barrier
	s_and_not1_b32 vcc_lo, exec_lo, s3
	s_add_i32 s33, s33, s36
	s_cbranch_vccz .LBB974_3
	s_branch .LBB974_64
.LBB974_2:
                                        ; implicit-def: $vgpr4
                                        ; implicit-def: $vgpr20
                                        ; implicit-def: $vgpr25
                                        ; implicit-def: $vgpr30
                                        ; implicit-def: $vgpr2
                                        ; implicit-def: $vgpr5
                                        ; implicit-def: $vgpr3
                                        ; implicit-def: $vgpr26
                                        ; implicit-def: $vgpr21
                                        ; implicit-def: $vgpr27
                                        ; implicit-def: $vgpr22
                                        ; implicit-def: $vgpr28
                                        ; implicit-def: $vgpr24
                                        ; implicit-def: $vgpr29
                                        ; implicit-def: $vgpr1
                                        ; implicit-def: $vgpr18
                                        ; implicit-def: $vgpr16
                                        ; implicit-def: $vgpr14
                                        ; implicit-def: $vgpr12
                                        ; implicit-def: $vgpr10
                                        ; implicit-def: $vgpr8
                                        ; implicit-def: $vgpr6
                                        ; implicit-def: $vgpr52
	s_add_i32 s33, s33, s36
.LBB974_3:
	s_delay_alu instid0(SALU_CYCLE_1)
	v_cmp_gt_u32_e32 vcc_lo, s33, v0
                                        ; implicit-def: $vgpr4
	s_and_saveexec_b32 s2, vcc_lo
	s_cbranch_execz .LBB974_5
; %bb.4:
	v_lshlrev_b32_e32 v1, 2, v0
	s_delay_alu instid0(VALU_DEP_1) | instskip(NEXT) | instid1(VALU_DEP_1)
	v_add_co_u32 v1, s3, s20, v1
	v_add_co_ci_u32_e64 v2, null, s17, 0, s3
	flat_load_b32 v4, v[1:2]
.LBB974_5:
	s_or_b32 exec_lo, exec_lo, s2
	v_or_b32_e32 v1, 0x100, v0
                                        ; implicit-def: $vgpr6
	s_delay_alu instid0(VALU_DEP_1) | instskip(NEXT) | instid1(VALU_DEP_1)
	v_cmp_gt_u32_e64 s2, s33, v1
	s_and_saveexec_b32 s3, s2
	s_cbranch_execz .LBB974_7
; %bb.6:
	v_lshlrev_b32_e32 v1, 2, v0
	s_delay_alu instid0(VALU_DEP_1) | instskip(NEXT) | instid1(VALU_DEP_1)
	v_add_co_u32 v1, s4, s20, v1
	v_add_co_ci_u32_e64 v2, null, s17, 0, s4
	flat_load_b32 v6, v[1:2] offset:1024
.LBB974_7:
	s_or_b32 exec_lo, exec_lo, s3
	v_or_b32_e32 v1, 0x200, v0
                                        ; implicit-def: $vgpr7
	s_delay_alu instid0(VALU_DEP_1) | instskip(NEXT) | instid1(VALU_DEP_1)
	v_cmp_gt_u32_e64 s3, s33, v1
	s_and_saveexec_b32 s4, s3
	s_cbranch_execz .LBB974_9
; %bb.8:
	v_lshlrev_b32_e32 v1, 2, v0
	s_delay_alu instid0(VALU_DEP_1) | instskip(NEXT) | instid1(VALU_DEP_1)
	v_add_co_u32 v1, s5, s20, v1
	v_add_co_ci_u32_e64 v2, null, s17, 0, s5
	flat_load_b32 v7, v[1:2] offset:2048
.LBB974_9:
	s_or_b32 exec_lo, exec_lo, s4
	v_or_b32_e32 v1, 0x300, v0
                                        ; implicit-def: $vgpr8
	s_delay_alu instid0(VALU_DEP_1) | instskip(NEXT) | instid1(VALU_DEP_1)
	v_cmp_gt_u32_e64 s4, s33, v1
	s_and_saveexec_b32 s5, s4
	s_cbranch_execz .LBB974_11
; %bb.10:
	v_lshlrev_b32_e32 v1, 2, v0
	s_delay_alu instid0(VALU_DEP_1) | instskip(NEXT) | instid1(VALU_DEP_1)
	v_add_co_u32 v1, s6, s20, v1
	v_add_co_ci_u32_e64 v2, null, s17, 0, s6
	flat_load_b32 v8, v[1:2] offset:3072
.LBB974_11:
	s_or_b32 exec_lo, exec_lo, s5
	v_or_b32_e32 v1, 0x400, v0
                                        ; implicit-def: $vgpr9
	s_delay_alu instid0(VALU_DEP_1) | instskip(NEXT) | instid1(VALU_DEP_1)
	v_cmp_gt_u32_e64 s5, s33, v1
	s_and_saveexec_b32 s6, s5
	s_cbranch_execz .LBB974_13
; %bb.12:
	v_lshlrev_b32_e32 v1, 2, v1
	s_delay_alu instid0(VALU_DEP_1) | instskip(NEXT) | instid1(VALU_DEP_1)
	v_add_co_u32 v1, s7, s20, v1
	v_add_co_ci_u32_e64 v2, null, s17, 0, s7
	flat_load_b32 v9, v[1:2]
.LBB974_13:
	s_or_b32 exec_lo, exec_lo, s6
	v_or_b32_e32 v1, 0x500, v0
                                        ; implicit-def: $vgpr10
	s_delay_alu instid0(VALU_DEP_1) | instskip(NEXT) | instid1(VALU_DEP_1)
	v_cmp_gt_u32_e64 s6, s33, v1
	s_and_saveexec_b32 s7, s6
	s_cbranch_execz .LBB974_15
; %bb.14:
	v_lshlrev_b32_e32 v1, 2, v1
	s_delay_alu instid0(VALU_DEP_1) | instskip(NEXT) | instid1(VALU_DEP_1)
	v_add_co_u32 v1, s8, s20, v1
	v_add_co_ci_u32_e64 v2, null, s17, 0, s8
	flat_load_b32 v10, v[1:2]
.LBB974_15:
	s_or_b32 exec_lo, exec_lo, s7
	v_or_b32_e32 v1, 0x600, v0
                                        ; implicit-def: $vgpr11
	s_delay_alu instid0(VALU_DEP_1) | instskip(NEXT) | instid1(VALU_DEP_1)
	v_cmp_gt_u32_e64 s7, s33, v1
	s_and_saveexec_b32 s8, s7
	s_cbranch_execz .LBB974_17
; %bb.16:
	v_lshlrev_b32_e32 v1, 2, v1
	s_delay_alu instid0(VALU_DEP_1) | instskip(NEXT) | instid1(VALU_DEP_1)
	v_add_co_u32 v1, s9, s20, v1
	v_add_co_ci_u32_e64 v2, null, s17, 0, s9
	flat_load_b32 v11, v[1:2]
.LBB974_17:
	s_or_b32 exec_lo, exec_lo, s8
	v_or_b32_e32 v1, 0x700, v0
                                        ; implicit-def: $vgpr12
	s_delay_alu instid0(VALU_DEP_1) | instskip(NEXT) | instid1(VALU_DEP_1)
	v_cmp_gt_u32_e64 s8, s33, v1
	s_and_saveexec_b32 s9, s8
	s_cbranch_execz .LBB974_19
; %bb.18:
	v_lshlrev_b32_e32 v1, 2, v1
	s_delay_alu instid0(VALU_DEP_1) | instskip(NEXT) | instid1(VALU_DEP_1)
	v_add_co_u32 v1, s10, s20, v1
	v_add_co_ci_u32_e64 v2, null, s17, 0, s10
	flat_load_b32 v12, v[1:2]
.LBB974_19:
	s_or_b32 exec_lo, exec_lo, s9
	v_or_b32_e32 v1, 0x800, v0
                                        ; implicit-def: $vgpr13
	s_delay_alu instid0(VALU_DEP_1) | instskip(NEXT) | instid1(VALU_DEP_1)
	v_cmp_gt_u32_e64 s9, s33, v1
	s_and_saveexec_b32 s10, s9
	s_cbranch_execz .LBB974_21
; %bb.20:
	v_lshlrev_b32_e32 v2, 2, v1
	s_delay_alu instid0(VALU_DEP_1) | instskip(NEXT) | instid1(VALU_DEP_1)
	v_add_co_u32 v2, s11, s20, v2
	v_add_co_ci_u32_e64 v3, null, s17, 0, s11
	flat_load_b32 v13, v[2:3]
.LBB974_21:
	s_or_b32 exec_lo, exec_lo, s10
	v_or_b32_e32 v2, 0x900, v0
                                        ; implicit-def: $vgpr14
	s_delay_alu instid0(VALU_DEP_1) | instskip(NEXT) | instid1(VALU_DEP_1)
	v_cmp_gt_u32_e64 s10, s33, v2
	s_and_saveexec_b32 s11, s10
	s_cbranch_execz .LBB974_23
; %bb.22:
	v_lshlrev_b32_e32 v3, 2, v2
	s_delay_alu instid0(VALU_DEP_1) | instskip(NEXT) | instid1(VALU_DEP_1)
	v_add_co_u32 v14, s12, s20, v3
	v_add_co_ci_u32_e64 v15, null, s17, 0, s12
	flat_load_b32 v14, v[14:15]
.LBB974_23:
	s_or_b32 exec_lo, exec_lo, s11
	v_or_b32_e32 v3, 0xa00, v0
                                        ; implicit-def: $vgpr15
	s_delay_alu instid0(VALU_DEP_1) | instskip(NEXT) | instid1(VALU_DEP_1)
	v_cmp_gt_u32_e64 s11, s33, v3
	s_and_saveexec_b32 s12, s11
	s_cbranch_execz .LBB974_25
; %bb.24:
	v_lshlrev_b32_e32 v5, 2, v3
	s_delay_alu instid0(VALU_DEP_1) | instskip(NEXT) | instid1(VALU_DEP_1)
	v_add_co_u32 v15, s13, s20, v5
	v_add_co_ci_u32_e64 v16, null, s17, 0, s13
	flat_load_b32 v15, v[15:16]
.LBB974_25:
	s_or_b32 exec_lo, exec_lo, s12
	v_or_b32_e32 v5, 0xb00, v0
                                        ; implicit-def: $vgpr16
	s_delay_alu instid0(VALU_DEP_1) | instskip(NEXT) | instid1(VALU_DEP_1)
	v_cmp_gt_u32_e64 s12, s33, v5
	s_and_saveexec_b32 s13, s12
	s_cbranch_execz .LBB974_27
; %bb.26:
	v_lshlrev_b32_e32 v16, 2, v5
	s_delay_alu instid0(VALU_DEP_1) | instskip(NEXT) | instid1(VALU_DEP_1)
	v_add_co_u32 v16, s14, s20, v16
	v_add_co_ci_u32_e64 v17, null, s17, 0, s14
	flat_load_b32 v16, v[16:17]
.LBB974_27:
	s_or_b32 exec_lo, exec_lo, s13
	v_or_b32_e32 v20, 0xc00, v0
                                        ; implicit-def: $vgpr17
	s_delay_alu instid0(VALU_DEP_1) | instskip(NEXT) | instid1(VALU_DEP_1)
	v_cmp_gt_u32_e64 s13, s33, v20
	s_and_saveexec_b32 s14, s13
	s_cbranch_execz .LBB974_29
; %bb.28:
	v_lshlrev_b32_e32 v17, 2, v20
	s_delay_alu instid0(VALU_DEP_1) | instskip(NEXT) | instid1(VALU_DEP_1)
	v_add_co_u32 v17, s16, s20, v17
	v_add_co_ci_u32_e64 v18, null, s17, 0, s16
	flat_load_b32 v17, v[17:18]
.LBB974_29:
	s_or_b32 exec_lo, exec_lo, s14
	v_or_b32_e32 v21, 0xd00, v0
                                        ; implicit-def: $vgpr18
	s_delay_alu instid0(VALU_DEP_1) | instskip(NEXT) | instid1(VALU_DEP_1)
	v_cmp_gt_u32_e64 s14, s33, v21
	s_and_saveexec_b32 s16, s14
	s_cbranch_execz .LBB974_31
; %bb.30:
	v_lshlrev_b32_e32 v18, 2, v21
	s_delay_alu instid0(VALU_DEP_1) | instskip(NEXT) | instid1(VALU_DEP_1)
	v_add_co_u32 v18, s29, s20, v18
	v_add_co_ci_u32_e64 v19, null, s17, 0, s29
	flat_load_b32 v18, v[18:19]
.LBB974_31:
	s_or_b32 exec_lo, exec_lo, s16
	v_or_b32_e32 v22, 0xe00, v0
                                        ; implicit-def: $vgpr19
	s_delay_alu instid0(VALU_DEP_1) | instskip(NEXT) | instid1(VALU_DEP_1)
	v_cmp_gt_u32_e64 s16, s33, v22
	s_and_saveexec_b32 s29, s16
	s_cbranch_execz .LBB974_33
; %bb.32:
	v_lshlrev_b32_e32 v19, 2, v22
	s_delay_alu instid0(VALU_DEP_1) | instskip(NEXT) | instid1(VALU_DEP_1)
	v_add_co_u32 v23, s30, s20, v19
	v_add_co_ci_u32_e64 v24, null, s17, 0, s30
	flat_load_b32 v19, v[23:24]
.LBB974_33:
	s_or_b32 exec_lo, exec_lo, s29
	v_lshlrev_b32_e32 v23, 2, v0
	s_waitcnt vmcnt(0) lgkmcnt(0)
	ds_store_2addr_stride64_b32 v23, v4, v6 offset1:4
	ds_store_2addr_stride64_b32 v23, v7, v8 offset0:8 offset1:12
	ds_store_2addr_stride64_b32 v23, v9, v10 offset0:16 offset1:20
	;; [unrolled: 1-line block ×6, first 2 shown]
	v_mad_u32_u24 v4, v0, 56, v23
	ds_store_b32 v23, v19 offset:14336
	s_waitcnt lgkmcnt(0)
	s_barrier
	buffer_gl0_inv
	ds_load_2addr_b32 v[18:19], v4 offset1:1
	ds_load_2addr_b32 v[16:17], v4 offset0:2 offset1:3
	ds_load_2addr_b32 v[14:15], v4 offset0:4 offset1:5
	;; [unrolled: 1-line block ×6, first 2 shown]
	ds_load_b32 v52, v4 offset:56
	s_waitcnt lgkmcnt(0)
	s_barrier
	buffer_gl0_inv
                                        ; implicit-def: $vgpr23
	s_and_saveexec_b32 s29, vcc_lo
	s_cbranch_execz .LBB974_47
; %bb.34:
	v_lshlrev_b32_e32 v23, 1, v0
	s_delay_alu instid0(VALU_DEP_1) | instskip(NEXT) | instid1(VALU_DEP_1)
	v_add_co_u32 v23, s30, s22, v23
	v_add_co_ci_u32_e64 v24, null, s28, 0, s30
	flat_load_u16 v23, v[23:24]
	s_or_b32 exec_lo, exec_lo, s29
                                        ; implicit-def: $vgpr31
	s_and_saveexec_b32 s29, s2
	s_cbranch_execnz .LBB974_48
.LBB974_35:
	s_or_b32 exec_lo, exec_lo, s29
                                        ; implicit-def: $vgpr32
	s_and_saveexec_b32 s2, s3
	s_cbranch_execz .LBB974_49
.LBB974_36:
	v_lshlrev_b32_e32 v24, 1, v0
	s_delay_alu instid0(VALU_DEP_1) | instskip(NEXT) | instid1(VALU_DEP_1)
	v_add_co_u32 v24, s3, s22, v24
	v_add_co_ci_u32_e64 v25, null, s28, 0, s3
	flat_load_u16 v32, v[24:25] offset:1024
	s_or_b32 exec_lo, exec_lo, s2
                                        ; implicit-def: $vgpr33
	s_and_saveexec_b32 s2, s4
	s_cbranch_execnz .LBB974_50
.LBB974_37:
	s_or_b32 exec_lo, exec_lo, s2
                                        ; implicit-def: $vgpr34
	s_and_saveexec_b32 s2, s5
	s_cbranch_execz .LBB974_51
.LBB974_38:
	v_lshlrev_b32_e32 v24, 1, v0
	s_delay_alu instid0(VALU_DEP_1) | instskip(NEXT) | instid1(VALU_DEP_1)
	v_add_co_u32 v24, s3, s22, v24
	v_add_co_ci_u32_e64 v25, null, s28, 0, s3
	flat_load_u16 v34, v[24:25] offset:2048
	s_or_b32 exec_lo, exec_lo, s2
                                        ; implicit-def: $vgpr35
	s_and_saveexec_b32 s2, s6
	s_cbranch_execnz .LBB974_52
.LBB974_39:
	s_or_b32 exec_lo, exec_lo, s2
                                        ; implicit-def: $vgpr36
	s_and_saveexec_b32 s2, s7
	s_cbranch_execz .LBB974_53
.LBB974_40:
	v_lshlrev_b32_e32 v24, 1, v0
	s_delay_alu instid0(VALU_DEP_1) | instskip(NEXT) | instid1(VALU_DEP_1)
	v_add_co_u32 v24, s3, s22, v24
	v_add_co_ci_u32_e64 v25, null, s28, 0, s3
	flat_load_u16 v36, v[24:25] offset:3072
	s_or_b32 exec_lo, exec_lo, s2
                                        ; implicit-def: $vgpr37
	s_and_saveexec_b32 s2, s8
	s_cbranch_execnz .LBB974_54
.LBB974_41:
	s_or_b32 exec_lo, exec_lo, s2
                                        ; implicit-def: $vgpr38
	s_and_saveexec_b32 s2, s9
	s_cbranch_execz .LBB974_55
.LBB974_42:
	v_lshlrev_b32_e32 v1, 1, v1
	s_delay_alu instid0(VALU_DEP_1) | instskip(NEXT) | instid1(VALU_DEP_1)
	v_add_co_u32 v24, s3, s22, v1
	v_add_co_ci_u32_e64 v25, null, s28, 0, s3
	flat_load_u16 v38, v[24:25]
	s_or_b32 exec_lo, exec_lo, s2
                                        ; implicit-def: $vgpr39
	s_and_saveexec_b32 s2, s10
	s_cbranch_execnz .LBB974_56
.LBB974_43:
	s_or_b32 exec_lo, exec_lo, s2
                                        ; implicit-def: $vgpr40
	s_and_saveexec_b32 s2, s11
	s_cbranch_execz .LBB974_57
.LBB974_44:
	v_lshlrev_b32_e32 v1, 1, v3
	s_delay_alu instid0(VALU_DEP_1) | instskip(NEXT) | instid1(VALU_DEP_1)
	v_add_co_u32 v1, s3, s22, v1
	v_add_co_ci_u32_e64 v2, null, s28, 0, s3
	flat_load_u16 v40, v[1:2]
	s_or_b32 exec_lo, exec_lo, s2
                                        ; implicit-def: $vgpr41
	s_and_saveexec_b32 s2, s12
	s_cbranch_execnz .LBB974_58
.LBB974_45:
	s_or_b32 exec_lo, exec_lo, s2
                                        ; implicit-def: $vgpr42
	s_and_saveexec_b32 s2, s13
	s_cbranch_execz .LBB974_59
.LBB974_46:
	v_lshlrev_b32_e32 v1, 1, v20
	s_delay_alu instid0(VALU_DEP_1) | instskip(NEXT) | instid1(VALU_DEP_1)
	v_add_co_u32 v1, s3, s22, v1
	v_add_co_ci_u32_e64 v2, null, s28, 0, s3
	flat_load_u16 v42, v[1:2]
	s_or_b32 exec_lo, exec_lo, s2
                                        ; implicit-def: $vgpr43
	s_and_saveexec_b32 s2, s14
	s_cbranch_execz .LBB974_61
	s_branch .LBB974_60
.LBB974_47:
	s_or_b32 exec_lo, exec_lo, s29
                                        ; implicit-def: $vgpr31
	s_and_saveexec_b32 s29, s2
	s_cbranch_execz .LBB974_35
.LBB974_48:
	v_lshlrev_b32_e32 v24, 1, v0
	s_delay_alu instid0(VALU_DEP_1) | instskip(NEXT) | instid1(VALU_DEP_1)
	v_add_co_u32 v24, s2, s22, v24
	v_add_co_ci_u32_e64 v25, null, s28, 0, s2
	flat_load_u16 v31, v[24:25] offset:512
	s_or_b32 exec_lo, exec_lo, s29
                                        ; implicit-def: $vgpr32
	s_and_saveexec_b32 s2, s3
	s_cbranch_execnz .LBB974_36
.LBB974_49:
	s_or_b32 exec_lo, exec_lo, s2
                                        ; implicit-def: $vgpr33
	s_and_saveexec_b32 s2, s4
	s_cbranch_execz .LBB974_37
.LBB974_50:
	v_lshlrev_b32_e32 v24, 1, v0
	s_delay_alu instid0(VALU_DEP_1) | instskip(NEXT) | instid1(VALU_DEP_1)
	v_add_co_u32 v24, s3, s22, v24
	v_add_co_ci_u32_e64 v25, null, s28, 0, s3
	flat_load_u16 v33, v[24:25] offset:1536
	s_or_b32 exec_lo, exec_lo, s2
                                        ; implicit-def: $vgpr34
	s_and_saveexec_b32 s2, s5
	s_cbranch_execnz .LBB974_38
.LBB974_51:
	s_or_b32 exec_lo, exec_lo, s2
                                        ; implicit-def: $vgpr35
	s_and_saveexec_b32 s2, s6
	s_cbranch_execz .LBB974_39
.LBB974_52:
	v_lshlrev_b32_e32 v24, 1, v0
	s_delay_alu instid0(VALU_DEP_1) | instskip(NEXT) | instid1(VALU_DEP_1)
	v_add_co_u32 v24, s3, s22, v24
	v_add_co_ci_u32_e64 v25, null, s28, 0, s3
	flat_load_u16 v35, v[24:25] offset:2560
	s_or_b32 exec_lo, exec_lo, s2
                                        ; implicit-def: $vgpr36
	s_and_saveexec_b32 s2, s7
	s_cbranch_execnz .LBB974_40
.LBB974_53:
	s_or_b32 exec_lo, exec_lo, s2
                                        ; implicit-def: $vgpr37
	s_and_saveexec_b32 s2, s8
	s_cbranch_execz .LBB974_41
.LBB974_54:
	v_lshlrev_b32_e32 v24, 1, v0
	s_delay_alu instid0(VALU_DEP_1) | instskip(NEXT) | instid1(VALU_DEP_1)
	v_add_co_u32 v24, s3, s22, v24
	v_add_co_ci_u32_e64 v25, null, s28, 0, s3
	flat_load_u16 v37, v[24:25] offset:3584
	s_or_b32 exec_lo, exec_lo, s2
                                        ; implicit-def: $vgpr38
	s_and_saveexec_b32 s2, s9
	s_cbranch_execnz .LBB974_42
.LBB974_55:
	s_or_b32 exec_lo, exec_lo, s2
                                        ; implicit-def: $vgpr39
	s_and_saveexec_b32 s2, s10
	s_cbranch_execz .LBB974_43
.LBB974_56:
	v_lshlrev_b32_e32 v1, 1, v2
	s_delay_alu instid0(VALU_DEP_1) | instskip(NEXT) | instid1(VALU_DEP_1)
	v_add_co_u32 v1, s3, s22, v1
	v_add_co_ci_u32_e64 v2, null, s28, 0, s3
	flat_load_u16 v39, v[1:2]
	s_or_b32 exec_lo, exec_lo, s2
                                        ; implicit-def: $vgpr40
	s_and_saveexec_b32 s2, s11
	s_cbranch_execnz .LBB974_44
.LBB974_57:
	s_or_b32 exec_lo, exec_lo, s2
                                        ; implicit-def: $vgpr41
	s_and_saveexec_b32 s2, s12
	s_cbranch_execz .LBB974_45
.LBB974_58:
	v_lshlrev_b32_e32 v1, 1, v5
	s_delay_alu instid0(VALU_DEP_1) | instskip(NEXT) | instid1(VALU_DEP_1)
	v_add_co_u32 v1, s3, s22, v1
	v_add_co_ci_u32_e64 v2, null, s28, 0, s3
	flat_load_u16 v41, v[1:2]
	s_or_b32 exec_lo, exec_lo, s2
                                        ; implicit-def: $vgpr42
	s_and_saveexec_b32 s2, s13
	s_cbranch_execnz .LBB974_46
.LBB974_59:
	s_or_b32 exec_lo, exec_lo, s2
                                        ; implicit-def: $vgpr43
	s_and_saveexec_b32 s2, s14
	s_cbranch_execz .LBB974_61
.LBB974_60:
	v_lshlrev_b32_e32 v1, 1, v21
	s_delay_alu instid0(VALU_DEP_1) | instskip(NEXT) | instid1(VALU_DEP_1)
	v_add_co_u32 v1, s3, s22, v1
	v_add_co_ci_u32_e64 v2, null, s28, 0, s3
	flat_load_u16 v43, v[1:2]
.LBB974_61:
	s_or_b32 exec_lo, exec_lo, s2
	v_mul_u32_u24_e32 v1, 15, v0
                                        ; implicit-def: $vgpr44
	s_and_saveexec_b32 s2, s16
	s_cbranch_execz .LBB974_63
; %bb.62:
	v_lshlrev_b32_e32 v2, 1, v22
	s_delay_alu instid0(VALU_DEP_1) | instskip(NEXT) | instid1(VALU_DEP_1)
	v_add_co_u32 v2, s3, s22, v2
	v_add_co_ci_u32_e64 v3, null, s28, 0, s3
	flat_load_u16 v44, v[2:3]
.LBB974_63:
	s_or_b32 exec_lo, exec_lo, s2
	s_delay_alu instid0(VALU_DEP_1)
	v_add_nc_u32_e32 v29, 1, v1
	v_add_nc_u32_e32 v24, 2, v1
	;; [unrolled: 1-line block ×10, first 2 shown]
	v_mad_i32_i24 v45, 0xffffffc6, v0, v4
	v_add_nc_u32_e32 v30, 11, v1
	v_add_nc_u32_e32 v25, 12, v1
	;; [unrolled: 1-line block ×4, first 2 shown]
	s_waitcnt vmcnt(0) lgkmcnt(0)
	ds_store_b16 v45, v23
	ds_store_b16 v45, v31 offset:512
	ds_store_b16 v45, v32 offset:1024
	;; [unrolled: 1-line block ×14, first 2 shown]
	s_waitcnt lgkmcnt(0)
	s_barrier
.LBB974_64:
	v_lshlrev_b32_e32 v1, 1, v1
	v_lshlrev_b32_e32 v23, 1, v29
	;; [unrolled: 1-line block ×5, first 2 shown]
	buffer_gl0_inv
	v_lshlrev_b32_e32 v27, 1, v27
	v_lshlrev_b32_e32 v21, 1, v21
	;; [unrolled: 1-line block ×3, first 2 shown]
	ds_load_u16 v80, v1
	ds_load_u16 v79, v23
	;; [unrolled: 1-line block ×8, first 2 shown]
	v_lshlrev_b32_e32 v1, 1, v3
	v_lshlrev_b32_e32 v3, 1, v5
	;; [unrolled: 1-line block ×7, first 2 shown]
	ds_load_u16 v74, v1
	ds_load_u16 v72, v3
	ds_load_u16 v70, v2
	ds_load_u16 v69, v5
	ds_load_u16 v68, v21
	ds_load_u16 v67, v20
	ds_load_u16 v81, v4
	s_load_b128 s[28:31], s[0:1], 0x28
	s_cmp_eq_u64 s[18:19], 0
	s_waitcnt lgkmcnt(0)
	s_cselect_b32 s40, -1, 0
	s_cmp_lg_u64 s[18:19], 0
	s_barrier
	s_cselect_b32 s14, -1, 0
	s_and_b32 vcc_lo, exec_lo, s21
	buffer_gl0_inv
	s_cbranch_vccz .LBB974_70
; %bb.65:
	s_and_b32 vcc_lo, exec_lo, s14
	s_cbranch_vccz .LBB974_135
; %bb.66:
	v_add_co_u32 v1, s0, -4, s20
	s_delay_alu instid0(VALU_DEP_1)
	v_add_co_ci_u32_e64 v2, null, -1, s17, s0
	v_cmp_ne_u32_e32 vcc_lo, v7, v52
	v_cmp_ne_u32_e64 s0, v6, v7
	v_cmp_ne_u32_e64 s1, v9, v6
	flat_load_b32 v1, v[1:2]
	v_lshlrev_b32_e32 v2, 2, v0
	v_cmp_ne_u32_e64 s2, v8, v9
	v_cmp_ne_u32_e64 s3, v11, v8
	;; [unrolled: 1-line block ×11, first 2 shown]
	s_mov_b32 s41, -1
	s_mov_b32 s16, 0
	s_mov_b32 s21, exec_lo
	ds_store_b32 v2, v52
	s_waitcnt vmcnt(0) lgkmcnt(0)
	s_barrier
	buffer_gl0_inv
	v_cmpx_ne_u32_e32 0, v0
	s_cbranch_execz .LBB974_68
; %bb.67:
	v_add_nc_u32_e32 v1, -4, v2
	ds_load_b32 v1, v1
.LBB974_68:
	s_or_b32 exec_lo, exec_lo, s21
	v_cndmask_b32_e64 v60, 0, 1, vcc_lo
	v_cndmask_b32_e64 v53, 0, 1, s0
	v_cndmask_b32_e64 v54, 0, 1, s1
	;; [unrolled: 1-line block ×13, first 2 shown]
	s_waitcnt lgkmcnt(0)
	v_cmp_ne_u32_e64 s0, v1, v18
	s_and_b32 vcc_lo, exec_lo, s16
	s_cbranch_vccnz .LBB974_136
.LBB974_69:
                                        ; implicit-def: $sgpr1
	s_branch .LBB974_71
.LBB974_70:
	s_mov_b32 s41, 0
                                        ; implicit-def: $sgpr0
                                        ; implicit-def: $vgpr60
                                        ; implicit-def: $vgpr53
                                        ; implicit-def: $vgpr54
                                        ; implicit-def: $vgpr55
                                        ; implicit-def: $vgpr56
                                        ; implicit-def: $vgpr57
                                        ; implicit-def: $vgpr58
                                        ; implicit-def: $vgpr59
                                        ; implicit-def: $vgpr61
                                        ; implicit-def: $vgpr62
                                        ; implicit-def: $vgpr63
                                        ; implicit-def: $vgpr64
                                        ; implicit-def: $vgpr65
                                        ; implicit-def: $vgpr66
                                        ; implicit-def: $sgpr1
	s_cbranch_execnz .LBB974_139
.LBB974_71:
	v_mov_b32_e32 v83, s1
	s_and_saveexec_b32 s1, s41
.LBB974_72:
	v_cndmask_b32_e64 v83, 0, 1, s0
.LBB974_73:
	s_or_b32 exec_lo, exec_lo, s1
	s_delay_alu instid0(VALU_DEP_1)
	v_add3_u32 v1, v66, v83, v65
	v_cmp_eq_u32_e64 s12, 0, v66
	v_cmp_eq_u32_e64 s11, 0, v65
	;; [unrolled: 1-line block ×4, first 2 shown]
	v_add3_u32 v87, v1, v64, v63
	v_cmp_eq_u32_e64 s8, 0, v62
	v_cmp_eq_u32_e64 s7, 0, v61
	;; [unrolled: 1-line block ×9, first 2 shown]
	v_cmp_eq_u32_e32 vcc_lo, 0, v60
	v_mbcnt_lo_u32_b32 v84, -1, 0
	v_lshrrev_b32_e32 v85, 5, v0
	v_or_b32_e32 v86, 31, v0
	s_cmp_eq_u64 s[26:27], 0
	s_cselect_b32 s16, -1, 0
	s_cmp_lg_u32 s15, 0
	s_cbranch_scc0 .LBB974_104
; %bb.74:
	v_cndmask_b32_e64 v1, 0, v80, s12
	v_add3_u32 v2, v87, v62, v61
	v_and_b32_e32 v5, 15, v84
	s_delay_alu instid0(VALU_DEP_3) | instskip(NEXT) | instid1(VALU_DEP_3)
	v_add_nc_u16 v1, v1, v79
	v_add3_u32 v2, v2, v59, v58
	s_delay_alu instid0(VALU_DEP_2) | instskip(NEXT) | instid1(VALU_DEP_2)
	v_cndmask_b32_e64 v1, 0, v1, s11
	v_add3_u32 v2, v2, v57, v56
	s_delay_alu instid0(VALU_DEP_2) | instskip(NEXT) | instid1(VALU_DEP_2)
	v_add_nc_u16 v1, v1, v78
	v_add3_u32 v2, v2, v55, v54
	s_delay_alu instid0(VALU_DEP_2) | instskip(NEXT) | instid1(VALU_DEP_2)
	v_cndmask_b32_e64 v1, 0, v1, s10
	v_add3_u32 v2, v2, v53, v60
	s_delay_alu instid0(VALU_DEP_2) | instskip(NEXT) | instid1(VALU_DEP_2)
	v_add_nc_u16 v1, v1, v77
	v_mov_b32_dpp v20, v2 row_shr:1 row_mask:0xf bank_mask:0xf
	s_delay_alu instid0(VALU_DEP_2) | instskip(NEXT) | instid1(VALU_DEP_1)
	v_cndmask_b32_e64 v1, 0, v1, s9
	v_add_nc_u16 v1, v1, v76
	s_delay_alu instid0(VALU_DEP_1) | instskip(NEXT) | instid1(VALU_DEP_1)
	v_cndmask_b32_e64 v1, 0, v1, s8
	v_add_nc_u16 v1, v1, v75
	s_delay_alu instid0(VALU_DEP_1) | instskip(NEXT) | instid1(VALU_DEP_1)
	;; [unrolled: 3-line block ×9, first 2 shown]
	v_cndmask_b32_e64 v1, 0, v1, s0
	v_add_nc_u16 v1, v1, v67
	s_delay_alu instid0(VALU_DEP_1) | instskip(SKIP_1) | instid1(VALU_DEP_2)
	v_cndmask_b32_e32 v1, 0, v1, vcc_lo
	v_cmp_eq_u32_e32 vcc_lo, 0, v2
	v_add_nc_u16 v1, v1, v81
	s_delay_alu instid0(VALU_DEP_1) | instskip(NEXT) | instid1(VALU_DEP_1)
	v_and_b32_e32 v3, 0xffff, v1
	v_mov_b32_dpp v4, v3 row_shr:1 row_mask:0xf bank_mask:0xf
	s_delay_alu instid0(VALU_DEP_1) | instskip(SKIP_1) | instid1(VALU_DEP_2)
	v_cndmask_b32_e32 v4, 0, v4, vcc_lo
	v_cmp_eq_u32_e32 vcc_lo, 0, v5
	v_add_nc_u16 v4, v4, v1
	v_cndmask_b32_e64 v20, v20, 0, vcc_lo
	s_delay_alu instid0(VALU_DEP_2) | instskip(SKIP_1) | instid1(VALU_DEP_2)
	v_and_b32_e32 v21, 0xffff, v4
	v_cndmask_b32_e32 v1, v4, v1, vcc_lo
	v_dual_cndmask_b32 v3, v21, v3 :: v_dual_add_nc_u32 v2, v20, v2
	s_delay_alu instid0(VALU_DEP_1) | instskip(NEXT) | instid1(VALU_DEP_2)
	v_cmp_eq_u32_e32 vcc_lo, 0, v2
	v_mov_b32_dpp v20, v3 row_shr:2 row_mask:0xf bank_mask:0xf
	s_delay_alu instid0(VALU_DEP_1) | instskip(SKIP_2) | instid1(VALU_DEP_3)
	v_cndmask_b32_e32 v4, 0, v20, vcc_lo
	v_mov_b32_dpp v20, v2 row_shr:2 row_mask:0xf bank_mask:0xf
	v_cmp_lt_u32_e32 vcc_lo, 1, v5
	v_add_nc_u16 v4, v4, v1
	s_delay_alu instid0(VALU_DEP_1) | instskip(SKIP_1) | instid1(VALU_DEP_2)
	v_and_b32_e32 v21, 0xffff, v4
	v_cndmask_b32_e32 v1, v1, v4, vcc_lo
	v_dual_cndmask_b32 v4, 0, v20 :: v_dual_cndmask_b32 v3, v3, v21
	s_delay_alu instid0(VALU_DEP_1) | instskip(NEXT) | instid1(VALU_DEP_2)
	v_add_nc_u32_e32 v2, v2, v4
	v_mov_b32_dpp v4, v3 row_shr:4 row_mask:0xf bank_mask:0xf
	s_delay_alu instid0(VALU_DEP_2) | instskip(SKIP_1) | instid1(VALU_DEP_3)
	v_cmp_eq_u32_e32 vcc_lo, 0, v2
	v_mov_b32_dpp v20, v2 row_shr:4 row_mask:0xf bank_mask:0xf
	v_cndmask_b32_e32 v4, 0, v4, vcc_lo
	v_cmp_lt_u32_e32 vcc_lo, 3, v5
	s_delay_alu instid0(VALU_DEP_2) | instskip(NEXT) | instid1(VALU_DEP_1)
	v_add_nc_u16 v4, v4, v1
	v_and_b32_e32 v21, 0xffff, v4
	v_cndmask_b32_e32 v1, v1, v4, vcc_lo
	s_delay_alu instid0(VALU_DEP_2) | instskip(NEXT) | instid1(VALU_DEP_1)
	v_dual_cndmask_b32 v4, 0, v20 :: v_dual_cndmask_b32 v3, v3, v21
	v_add_nc_u32_e32 v2, v4, v2
	s_delay_alu instid0(VALU_DEP_2) | instskip(NEXT) | instid1(VALU_DEP_2)
	v_mov_b32_dpp v4, v3 row_shr:8 row_mask:0xf bank_mask:0xf
	v_cmp_eq_u32_e32 vcc_lo, 0, v2
	v_mov_b32_dpp v20, v2 row_shr:8 row_mask:0xf bank_mask:0xf
	s_delay_alu instid0(VALU_DEP_3) | instskip(SKIP_1) | instid1(VALU_DEP_2)
	v_cndmask_b32_e32 v4, 0, v4, vcc_lo
	v_cmp_lt_u32_e32 vcc_lo, 7, v5
	v_add_nc_u16 v4, v4, v1
	s_delay_alu instid0(VALU_DEP_4) | instskip(SKIP_1) | instid1(VALU_DEP_3)
	v_cndmask_b32_e32 v5, 0, v20, vcc_lo
	v_bfe_i32 v20, v84, 4, 1
	v_cndmask_b32_e32 v1, v1, v4, vcc_lo
	v_and_b32_e32 v4, 0xffff, v4
	s_delay_alu instid0(VALU_DEP_4) | instskip(SKIP_1) | instid1(VALU_DEP_3)
	v_add_nc_u32_e32 v2, v5, v2
	v_and_b32_e32 v5, 16, v84
	v_cndmask_b32_e32 v3, v3, v4, vcc_lo
	ds_swizzle_b32 v4, v2 offset:swizzle(BROADCAST,32,15)
	v_cmp_ne_u32_e32 vcc_lo, 0, v5
	v_cmp_eq_u32_e64 s13, 0, v2
	ds_swizzle_b32 v3, v3 offset:swizzle(BROADCAST,32,15)
	s_and_b32 vcc_lo, vcc_lo, s13
	s_mov_b32 s13, exec_lo
	s_waitcnt lgkmcnt(0)
	v_dual_cndmask_b32 v3, 0, v3 :: v_dual_and_b32 v4, v20, v4
	s_delay_alu instid0(VALU_DEP_1) | instskip(NEXT) | instid1(VALU_DEP_2)
	v_add_nc_u32_e32 v2, v4, v2
	v_add_nc_u16 v1, v3, v1
	v_lshlrev_b32_e32 v3, 3, v85
	v_cmpx_eq_u32_e64 v86, v0
	s_cbranch_execz .LBB974_76
; %bb.75:
	ds_store_b32 v3, v2 offset:2064
	ds_store_b16 v3, v1 offset:2068
.LBB974_76:
	s_or_b32 exec_lo, exec_lo, s13
	s_delay_alu instid0(SALU_CYCLE_1)
	s_mov_b32 s14, exec_lo
	s_waitcnt lgkmcnt(0)
	s_barrier
	buffer_gl0_inv
	v_cmpx_gt_u32_e32 8, v0
	s_cbranch_execz .LBB974_78
; %bb.77:
	v_lshlrev_b32_e32 v20, 3, v0
	ds_load_b64 v[4:5], v20 offset:2064
	s_waitcnt lgkmcnt(0)
	v_mov_b32_dpp v21, v5 row_shr:1 row_mask:0xf bank_mask:0xf
	v_cmp_eq_u32_e32 vcc_lo, 0, v4
	v_and_b32_e32 v22, 0xffff0000, v5
	v_mov_b32_dpp v25, v4 row_shr:1 row_mask:0xf bank_mask:0xf
	s_delay_alu instid0(VALU_DEP_4) | instskip(NEXT) | instid1(VALU_DEP_1)
	v_cndmask_b32_e32 v21, 0, v21, vcc_lo
	v_add_nc_u16 v21, v21, v5
	s_delay_alu instid0(VALU_DEP_1) | instskip(NEXT) | instid1(VALU_DEP_1)
	v_and_b32_e32 v23, 0xffff, v21
	v_or_b32_e32 v23, v22, v23
	v_and_b32_e32 v24, 7, v84
	s_delay_alu instid0(VALU_DEP_1) | instskip(NEXT) | instid1(VALU_DEP_3)
	v_cmp_eq_u32_e32 vcc_lo, 0, v24
	v_cndmask_b32_e32 v23, v23, v5, vcc_lo
	v_cndmask_b32_e64 v25, v25, 0, vcc_lo
	v_cndmask_b32_e32 v5, v21, v5, vcc_lo
	v_cmp_lt_u32_e64 s13, 3, v24
	s_delay_alu instid0(VALU_DEP_3) | instskip(SKIP_1) | instid1(VALU_DEP_2)
	v_add_nc_u32_e32 v4, v25, v4
	v_mov_b32_dpp v25, v23 row_shr:2 row_mask:0xf bank_mask:0xf
	v_cmp_eq_u32_e32 vcc_lo, 0, v4
	s_delay_alu instid0(VALU_DEP_2) | instskip(SKIP_2) | instid1(VALU_DEP_3)
	v_cndmask_b32_e32 v21, 0, v25, vcc_lo
	v_mov_b32_dpp v25, v4 row_shr:2 row_mask:0xf bank_mask:0xf
	v_cmp_lt_u32_e32 vcc_lo, 1, v24
	v_add_nc_u16 v21, v21, v5
	s_delay_alu instid0(VALU_DEP_1) | instskip(SKIP_2) | instid1(VALU_DEP_3)
	v_and_b32_e32 v26, 0xffff, v21
	v_cndmask_b32_e32 v5, v5, v21, vcc_lo
	v_cndmask_b32_e32 v21, 0, v25, vcc_lo
	v_or_b32_e32 v22, v22, v26
	s_delay_alu instid0(VALU_DEP_1) | instskip(NEXT) | instid1(VALU_DEP_1)
	v_dual_cndmask_b32 v21, v23, v22 :: v_dual_add_nc_u32 v4, v21, v4
	v_cmp_eq_u32_e32 vcc_lo, 0, v4
	s_delay_alu instid0(VALU_DEP_2) | instskip(SKIP_1) | instid1(VALU_DEP_1)
	v_mov_b32_dpp v21, v21 row_shr:4 row_mask:0xf bank_mask:0xf
	s_and_b32 vcc_lo, s13, vcc_lo
	v_cndmask_b32_e32 v21, 0, v21, vcc_lo
	v_mov_b32_dpp v22, v4 row_shr:4 row_mask:0xf bank_mask:0xf
	s_delay_alu instid0(VALU_DEP_2) | instskip(NEXT) | instid1(VALU_DEP_2)
	v_add_nc_u16 v5, v5, v21
	v_cndmask_b32_e64 v22, 0, v22, s13
	s_delay_alu instid0(VALU_DEP_1)
	v_add_nc_u32_e32 v4, v22, v4
	ds_store_b32 v20, v4 offset:2064
	ds_store_b16 v20, v5 offset:2068
.LBB974_78:
	s_or_b32 exec_lo, exec_lo, s14
	v_cmp_gt_u32_e32 vcc_lo, 32, v0
	v_dual_mov_b32 v25, 0 :: v_dual_mov_b32 v24, 0
	s_mov_b32 s14, exec_lo
	s_waitcnt lgkmcnt(0)
	s_barrier
	buffer_gl0_inv
	v_cmpx_lt_u32_e32 31, v0
	s_cbranch_execz .LBB974_80
; %bb.79:
	ds_load_u16 v24, v3 offset:2060
	ds_load_b32 v25, v3 offset:2056
	v_cmp_eq_u32_e64 s13, 0, v2
	s_waitcnt lgkmcnt(1)
	s_delay_alu instid0(VALU_DEP_1) | instskip(SKIP_2) | instid1(VALU_DEP_2)
	v_cndmask_b32_e64 v3, 0, v24, s13
	s_waitcnt lgkmcnt(0)
	v_add_nc_u32_e32 v2, v25, v2
	v_add_nc_u16 v1, v3, v1
.LBB974_80:
	s_or_b32 exec_lo, exec_lo, s14
	v_add_nc_u32_e32 v3, -1, v84
	s_delay_alu instid0(VALU_DEP_2) | instskip(NEXT) | instid1(VALU_DEP_2)
	v_and_b32_e32 v1, 0xffff, v1
	v_cmp_gt_i32_e64 s13, 0, v3
	s_delay_alu instid0(VALU_DEP_1) | instskip(SKIP_1) | instid1(VALU_DEP_2)
	v_cndmask_b32_e64 v3, v3, v84, s13
	v_cmp_eq_u32_e64 s13, 0, v84
	v_lshlrev_b32_e32 v3, 2, v3
	ds_bpermute_b32 v26, v3, v2
	ds_bpermute_b32 v27, v3, v1
	s_and_saveexec_b32 s17, vcc_lo
	s_cbranch_execz .LBB974_103
; %bb.81:
	v_mov_b32_e32 v4, 0
	ds_load_b64 v[1:2], v4 offset:2120
	s_waitcnt lgkmcnt(0)
	v_readfirstlane_b32 s18, v2
	s_and_saveexec_b32 s14, s13
	s_cbranch_execz .LBB974_83
; %bb.82:
	s_add_i32 s20, s15, 32
	s_mov_b32 s21, 0
	v_mov_b32_e32 v3, 1
	s_lshl_b64 s[26:27], s[20:21], 4
	s_mov_b32 s36, s21
	s_add_u32 s26, s24, s26
	s_addc_u32 s27, s25, s27
	s_and_b32 s37, s18, 0xff000000
	s_and_b32 s43, s18, 0xff0000
	s_mov_b32 s42, s21
	v_dual_mov_b32 v20, s26 :: v_dual_mov_b32 v21, s27
	s_or_b64 s[36:37], s[42:43], s[36:37]
	s_and_b32 s43, s18, 0xff00
	s_delay_alu instid0(SALU_CYCLE_1) | instskip(SKIP_1) | instid1(SALU_CYCLE_1)
	s_or_b64 s[36:37], s[36:37], s[42:43]
	s_and_b32 s43, s18, 0xff
	s_or_b64 s[20:21], s[36:37], s[42:43]
	s_delay_alu instid0(SALU_CYCLE_1)
	v_mov_b32_e32 v2, s21
	;;#ASMSTART
	global_store_dwordx4 v[20:21], v[1:4] off	
s_waitcnt vmcnt(0)
	;;#ASMEND
.LBB974_83:
	s_or_b32 exec_lo, exec_lo, s14
	v_xad_u32 v20, v84, -1, s15
	s_mov_b32 s19, 0
	s_mov_b32 s14, exec_lo
	s_delay_alu instid0(VALU_DEP_1) | instskip(NEXT) | instid1(VALU_DEP_1)
	v_add_nc_u32_e32 v3, 32, v20
	v_lshlrev_b64 v[2:3], 4, v[3:4]
	s_delay_alu instid0(VALU_DEP_1) | instskip(NEXT) | instid1(VALU_DEP_2)
	v_add_co_u32 v21, vcc_lo, s24, v2
	v_add_co_ci_u32_e32 v22, vcc_lo, s25, v3, vcc_lo
	;;#ASMSTART
	global_load_dwordx4 v[2:5], v[21:22] off glc	
s_waitcnt vmcnt(0)
	;;#ASMEND
	v_and_b32_e32 v5, 0xffffff, v2
	v_and_b32_e32 v2, 0xff000000, v2
	;; [unrolled: 1-line block ×4, first 2 shown]
	s_delay_alu instid0(VALU_DEP_3) | instskip(SKIP_1) | instid1(VALU_DEP_3)
	v_or_b32_e32 v2, v5, v2
	v_and_b32_e32 v5, 0xff, v4
	v_or3_b32 v3, 0, v23, v3
	s_delay_alu instid0(VALU_DEP_3) | instskip(NEXT) | instid1(VALU_DEP_3)
	v_or3_b32 v2, v2, 0, 0
	v_cmpx_eq_u16_e32 0, v5
	s_cbranch_execz .LBB974_89
; %bb.84:
	s_mov_b32 s20, 1
	.p2align	6
.LBB974_85:                             ; =>This Loop Header: Depth=1
                                        ;     Child Loop BB974_86 Depth 2
	s_delay_alu instid0(SALU_CYCLE_1)
	s_max_u32 s21, s20, 1
.LBB974_86:                             ;   Parent Loop BB974_85 Depth=1
                                        ; =>  This Inner Loop Header: Depth=2
	s_delay_alu instid0(SALU_CYCLE_1)
	s_add_i32 s21, s21, -1
	s_sleep 1
	s_cmp_eq_u32 s21, 0
	s_cbranch_scc0 .LBB974_86
; %bb.87:                               ;   in Loop: Header=BB974_85 Depth=1
	;;#ASMSTART
	global_load_dwordx4 v[2:5], v[21:22] off glc	
s_waitcnt vmcnt(0)
	;;#ASMEND
	v_and_b32_e32 v5, 0xff, v4
	s_cmp_lt_u32 s20, 32
	s_cselect_b32 s21, -1, 0
	s_delay_alu instid0(SALU_CYCLE_1) | instskip(NEXT) | instid1(VALU_DEP_1)
	s_cmp_lg_u32 s21, 0
	v_cmp_ne_u16_e32 vcc_lo, 0, v5
	s_addc_u32 s20, s20, 0
	s_or_b32 s19, vcc_lo, s19
	s_delay_alu instid0(SALU_CYCLE_1)
	s_and_not1_b32 exec_lo, exec_lo, s19
	s_cbranch_execnz .LBB974_85
; %bb.88:
	s_or_b32 exec_lo, exec_lo, s19
	v_and_b32_e32 v3, 0xffff, v3
.LBB974_89:
	s_or_b32 exec_lo, exec_lo, s14
	v_cmp_ne_u32_e32 vcc_lo, 31, v84
	v_and_b32_e32 v21, 0xff, v4
	v_lshlrev_b32_e64 v29, v84, -1
	v_cmp_eq_u32_e64 s14, 0, v2
	v_add_nc_u32_e32 v37, 8, v84
	v_add_co_ci_u32_e32 v5, vcc_lo, 0, v84, vcc_lo
	v_cmp_eq_u16_e32 vcc_lo, 2, v21
	v_add_nc_u32_e32 v39, 16, v84
	v_and_or_b32 v21, vcc_lo, v29, 0x80000000
	v_cmp_gt_u32_e32 vcc_lo, 30, v84
	s_delay_alu instid0(VALU_DEP_2) | instskip(SKIP_1) | instid1(VALU_DEP_2)
	v_ctz_i32_b32_e32 v21, v21
	v_cndmask_b32_e64 v22, 0, 1, vcc_lo
	v_cmp_lt_u32_e32 vcc_lo, v84, v21
	v_lshlrev_b32_e32 v28, 2, v5
	ds_bpermute_b32 v5, v28, v3
	s_waitcnt lgkmcnt(0)
	v_cndmask_b32_e64 v5, 0, v5, s14
	s_delay_alu instid0(VALU_DEP_1) | instskip(SKIP_1) | instid1(VALU_DEP_2)
	v_add_nc_u16 v5, v5, v3
	v_lshlrev_b32_e32 v22, 1, v22
	v_and_b32_e32 v31, 0xffff, v5
	v_cndmask_b32_e32 v5, v3, v5, vcc_lo
	s_delay_alu instid0(VALU_DEP_3) | instskip(NEXT) | instid1(VALU_DEP_3)
	v_add_lshl_u32 v30, v22, v84, 2
	v_cndmask_b32_e32 v3, v3, v31, vcc_lo
	ds_bpermute_b32 v23, v28, v2
	v_add_nc_u32_e32 v31, 2, v84
	ds_bpermute_b32 v22, v30, v3
	s_waitcnt lgkmcnt(1)
	v_cndmask_b32_e32 v23, 0, v23, vcc_lo
	s_delay_alu instid0(VALU_DEP_1) | instskip(NEXT) | instid1(VALU_DEP_1)
	v_add_nc_u32_e32 v2, v23, v2
	v_cmp_eq_u32_e32 vcc_lo, 0, v2
	s_waitcnt lgkmcnt(0)
	v_cndmask_b32_e32 v22, 0, v22, vcc_lo
	v_cmp_gt_u32_e32 vcc_lo, 28, v84
	s_delay_alu instid0(VALU_DEP_2) | instskip(SKIP_2) | instid1(VALU_DEP_3)
	v_add_nc_u16 v22, v22, v5
	v_cndmask_b32_e64 v23, 0, 1, vcc_lo
	v_cmp_gt_u32_e32 vcc_lo, v31, v21
	v_and_b32_e32 v34, 0xffff, v22
	s_delay_alu instid0(VALU_DEP_3)
	v_lshlrev_b32_e32 v23, 2, v23
	v_cndmask_b32_e32 v5, v22, v5, vcc_lo
	ds_bpermute_b32 v33, v30, v2
	v_cndmask_b32_e32 v3, v34, v3, vcc_lo
	v_add_lshl_u32 v32, v23, v84, 2
	ds_bpermute_b32 v22, v32, v3
	s_waitcnt lgkmcnt(1)
	v_cndmask_b32_e64 v23, v33, 0, vcc_lo
	v_add_nc_u32_e32 v33, 4, v84
	s_delay_alu instid0(VALU_DEP_2) | instskip(NEXT) | instid1(VALU_DEP_1)
	v_add_nc_u32_e32 v2, v2, v23
	v_cmp_eq_u32_e32 vcc_lo, 0, v2
	ds_bpermute_b32 v34, v32, v2
	s_waitcnt lgkmcnt(1)
	v_cndmask_b32_e32 v22, 0, v22, vcc_lo
	v_cmp_gt_u32_e32 vcc_lo, 24, v84
	s_delay_alu instid0(VALU_DEP_2) | instskip(SKIP_2) | instid1(VALU_DEP_3)
	v_add_nc_u16 v22, v5, v22
	v_cndmask_b32_e64 v23, 0, 1, vcc_lo
	v_cmp_gt_u32_e32 vcc_lo, v33, v21
	v_and_b32_e32 v36, 0xffff, v22
	s_delay_alu instid0(VALU_DEP_3) | instskip(SKIP_1) | instid1(VALU_DEP_3)
	v_lshlrev_b32_e32 v23, 3, v23
	v_cndmask_b32_e32 v5, v22, v5, vcc_lo
	v_cndmask_b32_e32 v3, v36, v3, vcc_lo
	s_delay_alu instid0(VALU_DEP_3) | instskip(SKIP_4) | instid1(VALU_DEP_1)
	v_add_lshl_u32 v35, v23, v84, 2
	s_waitcnt lgkmcnt(0)
	v_cndmask_b32_e64 v23, v34, 0, vcc_lo
	ds_bpermute_b32 v22, v35, v3
	v_add_nc_u32_e32 v2, v2, v23
	v_cmp_eq_u32_e32 vcc_lo, 0, v2
	ds_bpermute_b32 v23, v35, v2
	s_waitcnt lgkmcnt(1)
	v_cndmask_b32_e32 v22, 0, v22, vcc_lo
	v_cmp_gt_u32_e32 vcc_lo, 16, v84
	v_cndmask_b32_e64 v34, 0, 1, vcc_lo
	v_cmp_gt_u32_e32 vcc_lo, v37, v21
	s_delay_alu instid0(VALU_DEP_2) | instskip(SKIP_1) | instid1(VALU_DEP_2)
	v_lshlrev_b32_e32 v34, 4, v34
	v_add_nc_u16 v22, v5, v22
	v_add_lshl_u32 v38, v34, v84, 2
	s_delay_alu instid0(VALU_DEP_2) | instskip(SKIP_2) | instid1(VALU_DEP_1)
	v_dual_cndmask_b32 v5, v22, v5 :: v_dual_and_b32 v36, 0xffff, v22
	s_waitcnt lgkmcnt(0)
	v_cndmask_b32_e64 v22, v23, 0, vcc_lo
	v_dual_cndmask_b32 v3, v36, v3 :: v_dual_add_nc_u32 v2, v2, v22
	ds_bpermute_b32 v3, v38, v3
	ds_bpermute_b32 v22, v38, v2
	v_cmp_eq_u32_e32 vcc_lo, 0, v2
	s_waitcnt lgkmcnt(1)
	v_cndmask_b32_e32 v3, 0, v3, vcc_lo
	v_cmp_gt_u32_e32 vcc_lo, v39, v21
	s_delay_alu instid0(VALU_DEP_2) | instskip(SKIP_2) | instid1(VALU_DEP_1)
	v_cndmask_b32_e64 v3, v3, 0, vcc_lo
	s_waitcnt lgkmcnt(0)
	v_cndmask_b32_e64 v21, v22, 0, vcc_lo
	v_add_nc_u32_e32 v2, v21, v2
	s_delay_alu instid0(VALU_DEP_3)
	v_add_nc_u16 v3, v5, v3
	v_mov_b32_e32 v21, 0
	s_branch .LBB974_91
.LBB974_90:                             ;   in Loop: Header=BB974_91 Depth=1
	s_or_b32 exec_lo, exec_lo, s14
	ds_bpermute_b32 v5, v28, v3
	v_cmp_eq_u32_e64 s14, 0, v2
	ds_bpermute_b32 v23, v28, v2
	v_subrev_nc_u32_e32 v20, 32, v20
	s_waitcnt lgkmcnt(1)
	v_cndmask_b32_e64 v5, 0, v5, s14
	s_delay_alu instid0(VALU_DEP_1) | instskip(SKIP_1) | instid1(VALU_DEP_1)
	v_add_nc_u16 v5, v5, v3
	v_and_b32_e32 v22, 0xff, v4
	v_cmp_eq_u16_e32 vcc_lo, 2, v22
	v_and_or_b32 v22, vcc_lo, v29, 0x80000000
	s_delay_alu instid0(VALU_DEP_1) | instskip(NEXT) | instid1(VALU_DEP_1)
	v_ctz_i32_b32_e32 v22, v22
	v_cmp_lt_u32_e32 vcc_lo, v84, v22
	s_waitcnt lgkmcnt(0)
	v_dual_cndmask_b32 v23, 0, v23 :: v_dual_and_b32 v40, 0xffff, v5
	v_cndmask_b32_e32 v5, v3, v5, vcc_lo
	s_delay_alu instid0(VALU_DEP_2) | instskip(SKIP_2) | instid1(VALU_DEP_1)
	v_cndmask_b32_e32 v3, v3, v40, vcc_lo
	ds_bpermute_b32 v40, v30, v3
	v_add_nc_u32_e32 v2, v23, v2
	v_cmp_eq_u32_e32 vcc_lo, 0, v2
	s_waitcnt lgkmcnt(0)
	v_cndmask_b32_e32 v23, 0, v40, vcc_lo
	ds_bpermute_b32 v40, v30, v2
	v_cmp_gt_u32_e32 vcc_lo, v31, v22
	v_add_nc_u16 v23, v23, v5
	s_delay_alu instid0(VALU_DEP_1) | instskip(SKIP_2) | instid1(VALU_DEP_1)
	v_and_b32_e32 v41, 0xffff, v23
	s_waitcnt lgkmcnt(0)
	v_cndmask_b32_e64 v40, v40, 0, vcc_lo
	v_dual_cndmask_b32 v5, v23, v5 :: v_dual_add_nc_u32 v2, v2, v40
	s_delay_alu instid0(VALU_DEP_3)
	v_cndmask_b32_e32 v3, v41, v3, vcc_lo
	ds_bpermute_b32 v40, v32, v2
	ds_bpermute_b32 v23, v32, v3
	v_cmp_eq_u32_e32 vcc_lo, 0, v2
	s_waitcnt lgkmcnt(0)
	v_cndmask_b32_e32 v23, 0, v23, vcc_lo
	v_cmp_gt_u32_e32 vcc_lo, v33, v22
	s_delay_alu instid0(VALU_DEP_2) | instskip(SKIP_1) | instid1(VALU_DEP_2)
	v_add_nc_u16 v23, v5, v23
	v_cndmask_b32_e64 v40, v40, 0, vcc_lo
	v_and_b32_e32 v41, 0xffff, v23
	s_delay_alu instid0(VALU_DEP_2) | instskip(NEXT) | instid1(VALU_DEP_2)
	v_dual_cndmask_b32 v5, v23, v5 :: v_dual_add_nc_u32 v2, v2, v40
	v_cndmask_b32_e32 v3, v41, v3, vcc_lo
	s_delay_alu instid0(VALU_DEP_2)
	v_cmp_eq_u32_e32 vcc_lo, 0, v2
	ds_bpermute_b32 v40, v35, v2
	ds_bpermute_b32 v23, v35, v3
	s_waitcnt lgkmcnt(0)
	v_cndmask_b32_e32 v23, 0, v23, vcc_lo
	v_cmp_gt_u32_e32 vcc_lo, v37, v22
	s_delay_alu instid0(VALU_DEP_2) | instskip(NEXT) | instid1(VALU_DEP_1)
	v_add_nc_u16 v23, v5, v23
	v_and_b32_e32 v41, 0xffff, v23
	v_cndmask_b32_e32 v5, v23, v5, vcc_lo
	v_cndmask_b32_e64 v23, v40, 0, vcc_lo
	s_delay_alu instid0(VALU_DEP_3) | instskip(NEXT) | instid1(VALU_DEP_2)
	v_cndmask_b32_e32 v3, v41, v3, vcc_lo
	v_add_nc_u32_e32 v2, v2, v23
	ds_bpermute_b32 v3, v38, v3
	ds_bpermute_b32 v23, v38, v2
	v_cmp_eq_u32_e32 vcc_lo, 0, v2
	s_waitcnt lgkmcnt(1)
	v_cndmask_b32_e32 v3, 0, v3, vcc_lo
	v_cmp_gt_u32_e32 vcc_lo, v39, v22
	s_delay_alu instid0(VALU_DEP_2) | instskip(NEXT) | instid1(VALU_DEP_1)
	v_cndmask_b32_e64 v3, v3, 0, vcc_lo
	v_add_nc_u16 v3, v5, v3
	s_waitcnt lgkmcnt(0)
	v_cndmask_b32_e64 v5, v23, 0, vcc_lo
	v_cmp_eq_u32_e32 vcc_lo, 0, v36
	s_delay_alu instid0(VALU_DEP_2) | instskip(SKIP_1) | instid1(VALU_DEP_1)
	v_add3_u32 v2, v2, v36, v5
	v_cndmask_b32_e32 v3, 0, v3, vcc_lo
	v_add_nc_u16 v3, v3, v34
.LBB974_91:                             ; =>This Loop Header: Depth=1
                                        ;     Child Loop BB974_94 Depth 2
                                        ;       Child Loop BB974_95 Depth 3
	v_and_b32_e32 v4, 0xff, v4
	s_delay_alu instid0(VALU_DEP_2) | instskip(SKIP_1) | instid1(VALU_DEP_3)
	v_mov_b32_e32 v34, v3
	v_mov_b32_e32 v36, v2
	v_cmp_ne_u16_e32 vcc_lo, 2, v4
	v_cndmask_b32_e64 v4, 0, 1, vcc_lo
	;;#ASMSTART
	;;#ASMEND
	s_delay_alu instid0(VALU_DEP_1)
	v_cmp_ne_u32_e32 vcc_lo, 0, v4
	s_cmp_lg_u32 vcc_lo, exec_lo
	s_cbranch_scc1 .LBB974_98
; %bb.92:                               ;   in Loop: Header=BB974_91 Depth=1
	v_lshlrev_b64 v[2:3], 4, v[20:21]
	s_mov_b32 s14, exec_lo
	s_delay_alu instid0(VALU_DEP_1) | instskip(NEXT) | instid1(VALU_DEP_2)
	v_add_co_u32 v22, vcc_lo, s24, v2
	v_add_co_ci_u32_e32 v23, vcc_lo, s25, v3, vcc_lo
	;;#ASMSTART
	global_load_dwordx4 v[2:5], v[22:23] off glc	
s_waitcnt vmcnt(0)
	;;#ASMEND
	v_and_b32_e32 v5, 0xffffff, v2
	v_and_b32_e32 v2, 0xff000000, v2
	v_and_b32_e32 v40, 0xff, v3
	v_and_b32_e32 v3, 0xff00, v3
	s_delay_alu instid0(VALU_DEP_3) | instskip(SKIP_1) | instid1(VALU_DEP_3)
	v_or_b32_e32 v2, v5, v2
	v_and_b32_e32 v5, 0xff, v4
	v_or3_b32 v3, 0, v40, v3
	s_delay_alu instid0(VALU_DEP_3) | instskip(NEXT) | instid1(VALU_DEP_3)
	v_or3_b32 v2, v2, 0, 0
	v_cmpx_eq_u16_e32 0, v5
	s_cbranch_execz .LBB974_90
; %bb.93:                               ;   in Loop: Header=BB974_91 Depth=1
	s_mov_b32 s20, 1
	s_mov_b32 s19, 0
	.p2align	6
.LBB974_94:                             ;   Parent Loop BB974_91 Depth=1
                                        ; =>  This Loop Header: Depth=2
                                        ;       Child Loop BB974_95 Depth 3
	s_max_u32 s21, s20, 1
.LBB974_95:                             ;   Parent Loop BB974_91 Depth=1
                                        ;     Parent Loop BB974_94 Depth=2
                                        ; =>    This Inner Loop Header: Depth=3
	s_delay_alu instid0(SALU_CYCLE_1)
	s_add_i32 s21, s21, -1
	s_sleep 1
	s_cmp_eq_u32 s21, 0
	s_cbranch_scc0 .LBB974_95
; %bb.96:                               ;   in Loop: Header=BB974_94 Depth=2
	;;#ASMSTART
	global_load_dwordx4 v[2:5], v[22:23] off glc	
s_waitcnt vmcnt(0)
	;;#ASMEND
	v_and_b32_e32 v5, 0xff, v4
	s_cmp_lt_u32 s20, 32
	s_cselect_b32 s21, -1, 0
	s_delay_alu instid0(SALU_CYCLE_1) | instskip(NEXT) | instid1(VALU_DEP_1)
	s_cmp_lg_u32 s21, 0
	v_cmp_ne_u16_e32 vcc_lo, 0, v5
	s_addc_u32 s20, s20, 0
	s_or_b32 s19, vcc_lo, s19
	s_delay_alu instid0(SALU_CYCLE_1)
	s_and_not1_b32 exec_lo, exec_lo, s19
	s_cbranch_execnz .LBB974_94
; %bb.97:                               ;   in Loop: Header=BB974_91 Depth=1
	s_or_b32 exec_lo, exec_lo, s19
	v_and_b32_e32 v3, 0xffff, v3
	s_branch .LBB974_90
.LBB974_98:                             ;   in Loop: Header=BB974_91 Depth=1
                                        ; implicit-def: $vgpr3
                                        ; implicit-def: $vgpr2
                                        ; implicit-def: $vgpr4
	s_cbranch_execz .LBB974_91
; %bb.99:
	s_and_saveexec_b32 s14, s13
	s_cbranch_execz .LBB974_101
; %bb.100:
	v_cmp_eq_u32_e32 vcc_lo, 0, v1
	s_mov_b32 s21, 0
	s_add_i32 s20, s15, 32
	v_add_nc_u32_e64 v22, 0x800, 0
	s_lshl_b64 s[20:21], s[20:21], 4
	v_dual_cndmask_b32 v2, 0, v34 :: v_dual_mov_b32 v5, 0
	s_add_u32 s20, s24, s20
	s_addc_u32 s21, s25, s21
	v_mov_b32_e32 v4, 2
	s_delay_alu instid0(VALU_DEP_2) | instskip(SKIP_1) | instid1(VALU_DEP_2)
	v_add_nc_u16 v3, v2, s18
	v_dual_mov_b32 v23, s18 :: v_dual_add_nc_u32 v2, v36, v1
	v_and_b32_e32 v20, 0xff00, v3
	v_and_b32_e32 v3, 0xff, v3
	s_delay_alu instid0(VALU_DEP_1)
	v_or_b32_e32 v3, v20, v3
	v_dual_mov_b32 v20, s20 :: v_dual_mov_b32 v21, s21
	;;#ASMSTART
	global_store_dwordx4 v[20:21], v[2:5] off	
s_waitcnt vmcnt(0)
	;;#ASMEND
	ds_store_2addr_b32 v22, v1, v36 offset1:2
	ds_store_b16 v5, v23 offset:2052
	ds_store_b16 v5, v34 offset:2060
.LBB974_101:
	s_or_b32 exec_lo, exec_lo, s14
	v_cmp_eq_u32_e32 vcc_lo, 0, v0
	s_and_b32 exec_lo, exec_lo, vcc_lo
	s_cbranch_execz .LBB974_103
; %bb.102:
	v_mov_b32_e32 v1, 0
	ds_store_b32 v1, v36 offset:2120
	ds_store_b16 v1, v34 offset:2124
.LBB974_103:
	s_or_b32 exec_lo, exec_lo, s17
	s_waitcnt lgkmcnt(1)
	v_cndmask_b32_e64 v4, v26, v25, s13
	s_waitcnt lgkmcnt(0)
	s_barrier
	buffer_gl0_inv
	v_cndmask_b32_e64 v5, v27, v24, s13
	v_cmp_eq_u32_e32 vcc_lo, 0, v4
	v_mov_b32_e32 v3, 0
	v_cmp_eq_u32_e64 s13, 0, v83
	ds_load_b64 v[1:2], v3 offset:2120
	s_waitcnt lgkmcnt(0)
	s_barrier
	buffer_gl0_inv
	v_cndmask_b32_e32 v20, 0, v2, vcc_lo
	v_cmp_eq_u32_e32 vcc_lo, 0, v0
	s_delay_alu instid0(VALU_DEP_2) | instskip(NEXT) | instid1(VALU_DEP_1)
	v_add_nc_u16 v5, v20, v5
	v_cndmask_b32_e32 v20, v5, v2, vcc_lo
	s_delay_alu instid0(VALU_DEP_1) | instskip(NEXT) | instid1(VALU_DEP_1)
	v_cndmask_b32_e64 v2, 0, v20, s13
	v_add_nc_u16 v21, v2, v80
	s_delay_alu instid0(VALU_DEP_1) | instskip(SKIP_1) | instid1(VALU_DEP_2)
	v_cndmask_b32_e64 v2, 0, v21, s12
	v_and_b32_e32 v43, 0xffff, v21
	v_add_nc_u16 v22, v2, v79
	s_delay_alu instid0(VALU_DEP_1) | instskip(SKIP_1) | instid1(VALU_DEP_2)
	v_cndmask_b32_e64 v2, 0, v22, s11
	v_and_b32_e32 v45, 0xffff, v22
	;; [unrolled: 4-line block ×3, first 2 shown]
	v_add_nc_u16 v25, v2, v77
	s_delay_alu instid0(VALU_DEP_1) | instskip(NEXT) | instid1(VALU_DEP_1)
	v_cndmask_b32_e64 v2, 0, v25, s9
	v_add_nc_u16 v27, v2, v76
	s_delay_alu instid0(VALU_DEP_1) | instskip(NEXT) | instid1(VALU_DEP_1)
	v_cndmask_b32_e64 v2, 0, v27, s8
	v_add_nc_u16 v31, v2, v75
	v_cndmask_b32_e64 v2, v4, 0, vcc_lo
	s_delay_alu instid0(VALU_DEP_2) | instskip(NEXT) | instid1(VALU_DEP_2)
	v_cndmask_b32_e64 v4, 0, v31, s7
	v_add_nc_u32_e32 v48, v1, v2
	s_delay_alu instid0(VALU_DEP_2) | instskip(NEXT) | instid1(VALU_DEP_2)
	v_add_nc_u16 v1, v4, v73
	v_add_nc_u32_e32 v42, v48, v83
	s_delay_alu instid0(VALU_DEP_2) | instskip(NEXT) | instid1(VALU_DEP_2)
	v_cndmask_b32_e64 v2, 0, v1, s6
	v_add_nc_u32_e32 v44, v42, v66
	v_and_b32_e32 v47, 0xffff, v1
	s_delay_alu instid0(VALU_DEP_3) | instskip(NEXT) | instid1(VALU_DEP_3)
	v_add_nc_u16 v33, v2, v71
	v_add_nc_u32_e32 v40, v44, v65
	s_delay_alu instid0(VALU_DEP_2) | instskip(NEXT) | instid1(VALU_DEP_2)
	v_cndmask_b32_e64 v2, 0, v33, s5
	v_add_nc_u32_e32 v28, v40, v64
	v_and_b32_e32 v51, 0xffff, v33
	s_delay_alu instid0(VALU_DEP_3) | instskip(NEXT) | instid1(VALU_DEP_3)
	v_add_nc_u16 v35, v2, v74
	v_add_nc_u32_e32 v24, v28, v63
	s_delay_alu instid0(VALU_DEP_2) | instskip(NEXT) | instid1(VALU_DEP_2)
	v_cndmask_b32_e64 v2, 0, v35, s4
	v_add_nc_u32_e32 v26, v24, v62
	v_and_b32_e32 v39, 0xffff, v35
	s_delay_alu instid0(VALU_DEP_3) | instskip(SKIP_4) | instid1(VALU_DEP_3)
	v_add_nc_u16 v37, v2, v72
	ds_load_b128 v[2:5], v3 offset:2048
	v_add_nc_u32_e32 v46, v26, v61
	v_cndmask_b32_e64 v29, 0, v37, s3
	v_and_b32_e32 v37, 0xffff, v37
	v_add_nc_u32_e32 v50, v46, v59
	s_delay_alu instid0(VALU_DEP_3) | instskip(NEXT) | instid1(VALU_DEP_2)
	v_add_nc_u16 v82, v29, v70
	v_add_nc_u32_e32 v38, v50, v58
	s_delay_alu instid0(VALU_DEP_2) | instskip(NEXT) | instid1(VALU_DEP_2)
	v_cndmask_b32_e64 v29, 0, v82, s2
	v_add_nc_u32_e32 v36, v38, v57
	s_delay_alu instid0(VALU_DEP_2) | instskip(SKIP_2) | instid1(VALU_DEP_3)
	v_add_nc_u16 v88, v29, v69
	s_waitcnt lgkmcnt(0)
	v_cmp_eq_u32_e32 vcc_lo, 0, v2
	v_add_nc_u32_e32 v30, v36, v56
	v_and_b32_e32 v29, 0xffff, v25
	v_and_b32_e32 v25, 0xffff, v27
	;; [unrolled: 1-line block ×3, first 2 shown]
	v_cndmask_b32_e32 v5, 0, v5, vcc_lo
	v_and_b32_e32 v49, 0xffff, v20
	v_cndmask_b32_e64 v20, 0, v88, s1
	v_add_nc_u32_e32 v34, v30, v55
	v_and_b32_e32 v31, 0xffff, v82
	v_and_b32_e32 v35, 0xffff, v88
	v_add_nc_u32_e32 v82, v5, v3
	v_add_nc_u16 v20, v20, v68
	v_add_nc_u32_e32 v32, v34, v54
	s_delay_alu instid0(VALU_DEP_2) | instskip(NEXT) | instid1(VALU_DEP_2)
	v_cndmask_b32_e64 v21, 0, v20, s0
	v_add_nc_u32_e32 v22, v32, v53
	v_and_b32_e32 v33, 0xffff, v20
	s_delay_alu instid0(VALU_DEP_3) | instskip(NEXT) | instid1(VALU_DEP_1)
	v_add_nc_u16 v1, v21, v67
	v_and_b32_e32 v23, 0xffff, v1
	s_branch .LBB974_116
.LBB974_104:
                                        ; implicit-def: $vgpr2
                                        ; implicit-def: $vgpr82
                                        ; implicit-def: $vgpr48_vgpr49
                                        ; implicit-def: $vgpr42_vgpr43
                                        ; implicit-def: $vgpr44_vgpr45
                                        ; implicit-def: $vgpr40_vgpr41
                                        ; implicit-def: $vgpr28_vgpr29
                                        ; implicit-def: $vgpr24_vgpr25
                                        ; implicit-def: $vgpr26_vgpr27
                                        ; implicit-def: $vgpr46_vgpr47
                                        ; implicit-def: $vgpr50_vgpr51
                                        ; implicit-def: $vgpr38_vgpr39
                                        ; implicit-def: $vgpr36_vgpr37
                                        ; implicit-def: $vgpr30_vgpr31
                                        ; implicit-def: $vgpr34_vgpr35
                                        ; implicit-def: $vgpr32_vgpr33
                                        ; implicit-def: $vgpr22_vgpr23
	s_cbranch_execz .LBB974_116
; %bb.105:
	s_and_b32 s0, s16, exec_lo
	v_mov_b32_e32 v1, v80
	s_cselect_b32 s1, 0, s35
	s_cselect_b32 s0, 0, s34
	s_delay_alu instid0(SALU_CYCLE_1)
	s_cmp_eq_u64 s[0:1], 0
	s_cbranch_scc1 .LBB974_107
; %bb.106:
	v_mov_b32_e32 v1, 0
	global_load_u16 v1, v1, s[0:1]
.LBB974_107:
	v_cmp_eq_u32_e64 s11, 0, v66
	v_cmp_eq_u32_e64 s10, 0, v65
	;; [unrolled: 1-line block ×5, first 2 shown]
	v_cndmask_b32_e64 v2, 0, v80, s11
	v_cmp_eq_u32_e64 s7, 0, v61
	v_cmp_eq_u32_e64 s5, 0, v59
	;; [unrolled: 1-line block ×4, first 2 shown]
	v_add_nc_u16 v2, v2, v79
	v_cmp_eq_u32_e64 s2, 0, v56
	v_cmp_eq_u32_e64 s1, 0, v55
	v_add3_u32 v3, v87, v62, v61
	v_cmp_eq_u32_e64 s0, 0, v54
	v_cndmask_b32_e64 v2, 0, v2, s10
	v_cmp_eq_u32_e32 vcc_lo, 0, v53
	v_cmp_eq_u32_e64 s12, 0, v60
	v_add3_u32 v3, v3, v59, v58
	v_and_b32_e32 v20, 15, v84
	v_add_nc_u16 v2, v2, v78
	s_delay_alu instid0(VALU_DEP_3) | instskip(NEXT) | instid1(VALU_DEP_2)
	v_add3_u32 v3, v3, v57, v56
	v_cndmask_b32_e64 v2, 0, v2, s9
	s_delay_alu instid0(VALU_DEP_2) | instskip(NEXT) | instid1(VALU_DEP_2)
	v_add3_u32 v3, v3, v55, v54
	v_add_nc_u16 v2, v2, v77
	s_delay_alu instid0(VALU_DEP_2) | instskip(NEXT) | instid1(VALU_DEP_2)
	v_add3_u32 v3, v3, v53, v60
	v_cndmask_b32_e64 v2, 0, v2, s8
	s_delay_alu instid0(VALU_DEP_2) | instskip(NEXT) | instid1(VALU_DEP_2)
	v_mov_b32_dpp v21, v3 row_shr:1 row_mask:0xf bank_mask:0xf
	v_add_nc_u16 v2, v2, v76
	s_delay_alu instid0(VALU_DEP_1) | instskip(NEXT) | instid1(VALU_DEP_1)
	v_cndmask_b32_e64 v2, 0, v2, s6
	v_add_nc_u16 v2, v2, v75
	s_delay_alu instid0(VALU_DEP_1) | instskip(NEXT) | instid1(VALU_DEP_1)
	v_cndmask_b32_e64 v2, 0, v2, s7
	;; [unrolled: 3-line block ×8, first 2 shown]
	v_add_nc_u16 v2, v2, v68
	s_delay_alu instid0(VALU_DEP_1) | instskip(NEXT) | instid1(VALU_DEP_1)
	v_cndmask_b32_e32 v2, 0, v2, vcc_lo
	v_add_nc_u16 v2, v2, v67
	s_delay_alu instid0(VALU_DEP_1) | instskip(SKIP_1) | instid1(VALU_DEP_2)
	v_cndmask_b32_e64 v2, 0, v2, s12
	v_cmp_eq_u32_e64 s12, 0, v3
	v_add_nc_u16 v2, v2, v81
	s_delay_alu instid0(VALU_DEP_1) | instskip(NEXT) | instid1(VALU_DEP_1)
	v_and_b32_e32 v4, 0xffff, v2
	v_mov_b32_dpp v5, v4 row_shr:1 row_mask:0xf bank_mask:0xf
	s_delay_alu instid0(VALU_DEP_1) | instskip(SKIP_1) | instid1(VALU_DEP_2)
	v_cndmask_b32_e64 v5, 0, v5, s12
	v_cmp_eq_u32_e64 s12, 0, v20
	v_add_nc_u16 v5, v5, v2
	s_delay_alu instid0(VALU_DEP_2) | instskip(NEXT) | instid1(VALU_DEP_2)
	v_cndmask_b32_e64 v21, v21, 0, s12
	v_and_b32_e32 v22, 0xffff, v5
	s_delay_alu instid0(VALU_DEP_2) | instskip(SKIP_1) | instid1(VALU_DEP_3)
	v_add_nc_u32_e32 v3, v21, v3
	v_cndmask_b32_e64 v2, v5, v2, s12
	v_cndmask_b32_e64 v4, v22, v4, s12
	s_delay_alu instid0(VALU_DEP_3) | instskip(NEXT) | instid1(VALU_DEP_2)
	v_cmp_eq_u32_e64 s12, 0, v3
	v_mov_b32_dpp v21, v4 row_shr:2 row_mask:0xf bank_mask:0xf
	s_delay_alu instid0(VALU_DEP_1) | instskip(SKIP_2) | instid1(VALU_DEP_3)
	v_cndmask_b32_e64 v5, 0, v21, s12
	v_mov_b32_dpp v21, v3 row_shr:2 row_mask:0xf bank_mask:0xf
	v_cmp_lt_u32_e64 s12, 1, v20
	v_add_nc_u16 v5, v5, v2
	s_delay_alu instid0(VALU_DEP_1) | instskip(NEXT) | instid1(VALU_DEP_3)
	v_and_b32_e32 v22, 0xffff, v5
	v_cndmask_b32_e64 v2, v2, v5, s12
	v_cndmask_b32_e64 v5, 0, v21, s12
	s_delay_alu instid0(VALU_DEP_3) | instskip(NEXT) | instid1(VALU_DEP_2)
	v_cndmask_b32_e64 v4, v4, v22, s12
	v_add_nc_u32_e32 v3, v3, v5
	s_delay_alu instid0(VALU_DEP_2) | instskip(NEXT) | instid1(VALU_DEP_2)
	v_mov_b32_dpp v5, v4 row_shr:4 row_mask:0xf bank_mask:0xf
	v_cmp_eq_u32_e64 s12, 0, v3
	v_mov_b32_dpp v21, v3 row_shr:4 row_mask:0xf bank_mask:0xf
	s_delay_alu instid0(VALU_DEP_2) | instskip(SKIP_1) | instid1(VALU_DEP_2)
	v_cndmask_b32_e64 v5, 0, v5, s12
	v_cmp_lt_u32_e64 s12, 3, v20
	v_add_nc_u16 v5, v5, v2
	s_delay_alu instid0(VALU_DEP_1) | instskip(NEXT) | instid1(VALU_DEP_3)
	v_and_b32_e32 v22, 0xffff, v5
	v_cndmask_b32_e64 v2, v2, v5, s12
	v_cndmask_b32_e64 v5, 0, v21, s12
	s_delay_alu instid0(VALU_DEP_3) | instskip(NEXT) | instid1(VALU_DEP_2)
	v_cndmask_b32_e64 v4, v4, v22, s12
	v_add_nc_u32_e32 v3, v5, v3
	s_delay_alu instid0(VALU_DEP_2) | instskip(NEXT) | instid1(VALU_DEP_2)
	v_mov_b32_dpp v5, v4 row_shr:8 row_mask:0xf bank_mask:0xf
	v_cmp_eq_u32_e64 s12, 0, v3
	v_mov_b32_dpp v21, v3 row_shr:8 row_mask:0xf bank_mask:0xf
	s_delay_alu instid0(VALU_DEP_2) | instskip(SKIP_1) | instid1(VALU_DEP_2)
	v_cndmask_b32_e64 v5, 0, v5, s12
	v_cmp_lt_u32_e64 s12, 7, v20
	v_add_nc_u16 v5, v5, v2
	s_delay_alu instid0(VALU_DEP_1) | instskip(SKIP_3) | instid1(VALU_DEP_3)
	v_cndmask_b32_e64 v20, v2, v5, s12
	v_cndmask_b32_e64 v2, 0, v21, s12
	v_and_b32_e32 v5, 0xffff, v5
	v_bfe_i32 v21, v84, 4, 1
	v_add_nc_u32_e32 v2, v2, v3
	s_delay_alu instid0(VALU_DEP_3)
	v_cndmask_b32_e64 v3, v4, v5, s12
	v_and_b32_e32 v5, 16, v84
	ds_swizzle_b32 v4, v2 offset:swizzle(BROADCAST,32,15)
	ds_swizzle_b32 v3, v3 offset:swizzle(BROADCAST,32,15)
	v_cmp_ne_u32_e64 s12, 0, v5
	v_cmp_eq_u32_e64 s13, 0, v2
	s_delay_alu instid0(VALU_DEP_1)
	s_and_b32 s12, s12, s13
	s_mov_b32 s13, exec_lo
	s_waitcnt lgkmcnt(1)
	v_and_b32_e32 v4, v21, v4
	s_waitcnt lgkmcnt(0)
	v_cndmask_b32_e64 v3, 0, v3, s12
	s_delay_alu instid0(VALU_DEP_2) | instskip(NEXT) | instid1(VALU_DEP_2)
	v_add_nc_u32_e32 v2, v4, v2
	v_add_nc_u16 v4, v3, v20
	v_cmpx_eq_u32_e64 v86, v0
	s_cbranch_execz .LBB974_109
; %bb.108:
	v_lshlrev_b32_e32 v3, 3, v85
	ds_store_b32 v3, v2 offset:2064
	ds_store_b16 v3, v4 offset:2068
.LBB974_109:
	s_or_b32 exec_lo, exec_lo, s13
	s_delay_alu instid0(SALU_CYCLE_1)
	s_mov_b32 s14, exec_lo
	s_waitcnt vmcnt(0) lgkmcnt(0)
	s_barrier
	buffer_gl0_inv
	v_cmpx_gt_u32_e32 8, v0
	s_cbranch_execz .LBB974_111
; %bb.110:
	v_lshlrev_b32_e32 v3, 3, v0
	v_and_b32_e32 v24, 7, v84
	ds_load_b64 v[20:21], v3 offset:2064
	v_cmp_lt_u32_e64 s13, 3, v24
	s_waitcnt lgkmcnt(0)
	v_mov_b32_dpp v5, v21 row_shr:1 row_mask:0xf bank_mask:0xf
	v_cmp_eq_u32_e64 s12, 0, v20
	v_and_b32_e32 v22, 0xffff0000, v21
	v_mov_b32_dpp v25, v20 row_shr:1 row_mask:0xf bank_mask:0xf
	s_delay_alu instid0(VALU_DEP_3) | instskip(SKIP_1) | instid1(VALU_DEP_2)
	v_cndmask_b32_e64 v5, 0, v5, s12
	v_cmp_eq_u32_e64 s12, 0, v24
	v_add_nc_u16 v5, v5, v21
	s_delay_alu instid0(VALU_DEP_2) | instskip(NEXT) | instid1(VALU_DEP_2)
	v_cndmask_b32_e64 v25, v25, 0, s12
	v_and_b32_e32 v23, 0xffff, v5
	s_delay_alu instid0(VALU_DEP_2) | instskip(SKIP_1) | instid1(VALU_DEP_3)
	v_add_nc_u32_e32 v20, v25, v20
	v_cndmask_b32_e64 v5, v5, v21, s12
	v_or_b32_e32 v23, v22, v23
	s_delay_alu instid0(VALU_DEP_1) | instskip(NEXT) | instid1(VALU_DEP_4)
	v_cndmask_b32_e64 v23, v23, v21, s12
	v_cmp_eq_u32_e64 s12, 0, v20
	s_delay_alu instid0(VALU_DEP_2) | instskip(NEXT) | instid1(VALU_DEP_1)
	v_mov_b32_dpp v25, v23 row_shr:2 row_mask:0xf bank_mask:0xf
	v_cndmask_b32_e64 v21, 0, v25, s12
	v_mov_b32_dpp v25, v20 row_shr:2 row_mask:0xf bank_mask:0xf
	v_cmp_lt_u32_e64 s12, 1, v24
	s_delay_alu instid0(VALU_DEP_3) | instskip(NEXT) | instid1(VALU_DEP_1)
	v_add_nc_u16 v21, v21, v5
	v_and_b32_e32 v26, 0xffff, v21
	s_delay_alu instid0(VALU_DEP_3) | instskip(SKIP_1) | instid1(VALU_DEP_3)
	v_cndmask_b32_e64 v5, v5, v21, s12
	v_cndmask_b32_e64 v21, 0, v25, s12
	v_or_b32_e32 v22, v22, v26
	s_delay_alu instid0(VALU_DEP_2) | instskip(NEXT) | instid1(VALU_DEP_2)
	v_add_nc_u32_e32 v20, v21, v20
	v_cndmask_b32_e64 v21, v23, v22, s12
	s_delay_alu instid0(VALU_DEP_2) | instskip(SKIP_1) | instid1(VALU_DEP_3)
	v_cmp_eq_u32_e64 s12, 0, v20
	v_mov_b32_dpp v22, v20 row_shr:4 row_mask:0xf bank_mask:0xf
	v_mov_b32_dpp v21, v21 row_shr:4 row_mask:0xf bank_mask:0xf
	s_delay_alu instid0(VALU_DEP_3) | instskip(NEXT) | instid1(VALU_DEP_2)
	s_and_b32 s12, s13, s12
	v_cndmask_b32_e64 v22, 0, v22, s13
	s_delay_alu instid0(VALU_DEP_2) | instskip(NEXT) | instid1(VALU_DEP_2)
	v_cndmask_b32_e64 v21, 0, v21, s12
	v_add_nc_u32_e32 v20, v22, v20
	s_delay_alu instid0(VALU_DEP_2)
	v_add_nc_u16 v5, v5, v21
	ds_store_b32 v3, v20 offset:2064
	ds_store_b16 v3, v5 offset:2068
.LBB974_111:
	s_or_b32 exec_lo, exec_lo, s14
	v_dual_mov_b32 v3, 0 :: v_dual_mov_b32 v20, v1
	v_mov_b32_e32 v5, 0
	s_mov_b32 s13, exec_lo
	s_waitcnt lgkmcnt(0)
	s_barrier
	buffer_gl0_inv
	v_cmpx_lt_u32_e32 31, v0
	s_cbranch_execz .LBB974_113
; %bb.112:
	v_lshlrev_b32_e32 v20, 3, v85
	ds_load_b32 v5, v20 offset:2056
	ds_load_u16 v20, v20 offset:2060
	s_waitcnt lgkmcnt(1)
	v_cmp_eq_u32_e64 s12, 0, v5
	s_delay_alu instid0(VALU_DEP_1) | instskip(SKIP_1) | instid1(VALU_DEP_1)
	v_cndmask_b32_e64 v21, 0, v1, s12
	s_waitcnt lgkmcnt(0)
	v_add_nc_u16 v20, v21, v20
.LBB974_113:
	s_or_b32 exec_lo, exec_lo, s13
	v_add_nc_u32_e32 v21, -1, v84
	v_cmp_eq_u32_e64 s12, 0, v2
	v_add_nc_u32_e32 v2, v5, v2
	v_cmp_eq_u32_e64 s13, 0, v83
	s_delay_alu instid0(VALU_DEP_3) | instskip(SKIP_1) | instid1(VALU_DEP_2)
	v_cndmask_b32_e64 v22, 0, v20, s12
	v_cmp_gt_i32_e64 s12, 0, v21
	v_add_nc_u16 v4, v22, v4
	s_delay_alu instid0(VALU_DEP_2) | instskip(SKIP_1) | instid1(VALU_DEP_3)
	v_cndmask_b32_e64 v21, v21, v84, s12
	v_cmp_eq_u32_e64 s12, 0, v84
	v_and_b32_e32 v4, 0xffff, v4
	s_delay_alu instid0(VALU_DEP_3)
	v_lshlrev_b32_e32 v21, 2, v21
	ds_bpermute_b32 v2, v21, v2
	ds_bpermute_b32 v4, v21, v4
	s_waitcnt lgkmcnt(1)
	v_cndmask_b32_e64 v2, v2, v5, s12
	s_waitcnt lgkmcnt(0)
	v_cndmask_b32_e64 v4, v4, v20, s12
	v_cmp_eq_u32_e64 s12, 0, v0
	s_delay_alu instid0(VALU_DEP_1) | instskip(SKIP_1) | instid1(VALU_DEP_2)
	v_cndmask_b32_e64 v4, v4, v1, s12
	v_cndmask_b32_e64 v48, v2, 0, s12
	;; [unrolled: 1-line block ×3, first 2 shown]
	s_delay_alu instid0(VALU_DEP_2) | instskip(SKIP_1) | instid1(VALU_DEP_3)
	v_add_nc_u32_e32 v42, v48, v83
	v_and_b32_e32 v49, 0xffff, v4
	v_add_nc_u16 v5, v5, v80
	s_delay_alu instid0(VALU_DEP_3) | instskip(NEXT) | instid1(VALU_DEP_2)
	v_add_nc_u32_e32 v44, v42, v66
	v_cndmask_b32_e64 v20, 0, v5, s11
	s_delay_alu instid0(VALU_DEP_2) | instskip(SKIP_1) | instid1(VALU_DEP_3)
	v_add_nc_u32_e32 v40, v44, v65
	v_and_b32_e32 v43, 0xffff, v5
	v_add_nc_u16 v20, v20, v79
	s_delay_alu instid0(VALU_DEP_3) | instskip(NEXT) | instid1(VALU_DEP_2)
	v_add_nc_u32_e32 v28, v40, v64
	v_cndmask_b32_e64 v21, 0, v20, s10
	v_and_b32_e32 v45, 0xffff, v20
	s_delay_alu instid0(VALU_DEP_2) | instskip(NEXT) | instid1(VALU_DEP_1)
	v_add_nc_u16 v21, v21, v78
	v_cndmask_b32_e64 v22, 0, v21, s9
	v_and_b32_e32 v41, 0xffff, v21
	s_delay_alu instid0(VALU_DEP_2) | instskip(NEXT) | instid1(VALU_DEP_1)
	v_add_nc_u16 v22, v22, v77
	;; [unrolled: 4-line block ×3, first 2 shown]
	v_cndmask_b32_e64 v24, 0, v23, s6
	s_delay_alu instid0(VALU_DEP_1) | instskip(NEXT) | instid1(VALU_DEP_1)
	v_add_nc_u16 v27, v24, v75
	v_cndmask_b32_e64 v24, 0, v27, s7
	v_and_b32_e32 v27, 0xffff, v27
	s_delay_alu instid0(VALU_DEP_2) | instskip(SKIP_1) | instid1(VALU_DEP_2)
	v_add_nc_u16 v31, v24, v73
	v_add_nc_u32_e32 v24, v28, v63
	v_cndmask_b32_e64 v2, 0, v31, s5
	s_delay_alu instid0(VALU_DEP_2) | instskip(SKIP_1) | instid1(VALU_DEP_3)
	v_add_nc_u32_e32 v26, v24, v62
	v_and_b32_e32 v47, 0xffff, v31
	v_add_nc_u16 v33, v2, v71
	s_delay_alu instid0(VALU_DEP_3) | instskip(NEXT) | instid1(VALU_DEP_2)
	v_add_nc_u32_e32 v46, v26, v61
	v_cndmask_b32_e64 v2, 0, v33, s4
	s_delay_alu instid0(VALU_DEP_2) | instskip(SKIP_1) | instid1(VALU_DEP_3)
	v_add_nc_u32_e32 v50, v46, v59
	v_and_b32_e32 v51, 0xffff, v33
	v_add_nc_u16 v35, v2, v74
	s_delay_alu instid0(VALU_DEP_3) | instskip(NEXT) | instid1(VALU_DEP_2)
	v_add_nc_u32_e32 v38, v50, v58
	v_cndmask_b32_e64 v2, 0, v35, s3
	s_delay_alu instid0(VALU_DEP_2) | instskip(SKIP_1) | instid1(VALU_DEP_3)
	v_add_nc_u32_e32 v36, v38, v57
	v_and_b32_e32 v39, 0xffff, v35
	v_add_nc_u16 v37, v2, v72
	ds_load_b32 v2, v3 offset:2120
	ds_load_u16 v3, v3 offset:2124
	v_add_nc_u32_e32 v30, v36, v56
	v_cndmask_b32_e64 v25, 0, v37, s2
	v_and_b32_e32 v37, 0xffff, v37
	s_delay_alu instid0(VALU_DEP_3) | instskip(NEXT) | instid1(VALU_DEP_3)
	v_add_nc_u32_e32 v34, v30, v55
	v_add_nc_u16 v70, v25, v70
	s_delay_alu instid0(VALU_DEP_2) | instskip(NEXT) | instid1(VALU_DEP_2)
	v_add_nc_u32_e32 v32, v34, v54
	v_cndmask_b32_e64 v25, 0, v70, s1
	v_and_b32_e32 v31, 0xffff, v70
	s_delay_alu instid0(VALU_DEP_3) | instskip(NEXT) | instid1(VALU_DEP_3)
	v_add_nc_u32_e32 v22, v32, v53
	v_add_nc_u16 v69, v25, v69
	s_waitcnt lgkmcnt(1)
	v_cmp_eq_u32_e64 s1, 0, v2
	v_and_b32_e32 v25, 0xffff, v23
	s_delay_alu instid0(VALU_DEP_3) | instskip(NEXT) | instid1(VALU_DEP_3)
	v_cndmask_b32_e64 v4, 0, v69, s0
	v_cndmask_b32_e64 v1, 0, v1, s1
	v_and_b32_e32 v35, 0xffff, v69
	s_delay_alu instid0(VALU_DEP_3) | instskip(SKIP_1) | instid1(VALU_DEP_3)
	v_add_nc_u16 v4, v4, v68
	s_waitcnt lgkmcnt(0)
	v_add_nc_u16 v82, v1, v3
	s_delay_alu instid0(VALU_DEP_2) | instskip(SKIP_1) | instid1(VALU_DEP_2)
	v_cndmask_b32_e32 v5, 0, v4, vcc_lo
	v_and_b32_e32 v33, 0xffff, v4
	v_add_nc_u16 v5, v5, v67
	s_delay_alu instid0(VALU_DEP_1)
	v_and_b32_e32 v23, 0xffff, v5
	s_and_saveexec_b32 s0, s12
	s_cbranch_execz .LBB974_115
; %bb.114:
	s_add_u32 s2, s24, 0x200
	v_dual_mov_b32 v4, 2 :: v_dual_and_b32 v1, 0xff00, v82
	s_addc_u32 s3, s25, 0
	v_and_b32_e32 v3, 0xff, v82
	v_dual_mov_b32 v21, s3 :: v_dual_mov_b32 v20, s2
	v_mov_b32_e32 v5, 0
	s_delay_alu instid0(VALU_DEP_3)
	v_or_b32_e32 v3, v1, v3
	;;#ASMSTART
	global_store_dwordx4 v[20:21], v[2:5] off	
s_waitcnt vmcnt(0)
	;;#ASMEND
.LBB974_115:
	s_or_b32 exec_lo, exec_lo, s0
	v_mov_b32_e32 v4, 0
.LBB974_116:
	v_mov_b32_e32 v20, 0
	s_and_b32 s0, s16, exec_lo
	v_mov_b32_e32 v21, 0
	s_cselect_b32 s1, 0, s39
	s_cselect_b32 s0, 0, s38
	s_delay_alu instid0(SALU_CYCLE_1)
	s_cmp_eq_u64 s[0:1], 0
	s_barrier
	buffer_gl0_inv
	s_cbranch_scc1 .LBB974_118
; %bb.117:
	v_mov_b32_e32 v1, 0
	global_load_b64 v[20:21], v1, s[0:1]
.LBB974_118:
	v_cmp_gt_u32_e32 vcc_lo, 0x100, v2
	s_cbranch_vccnz .LBB974_167
; %bb.119:
	v_cmp_eq_u32_e32 vcc_lo, 0, v66
	v_cmp_eq_u32_e64 s0, 0, v54
	v_cmp_eq_u32_e64 s1, 0, v53
	v_cmp_ne_u32_e64 s11, 0, v83
	v_cmp_ne_u32_e64 s2, 0, v55
	v_cndmask_b32_e64 v1, 1, 2, vcc_lo
	v_cmp_eq_u32_e32 vcc_lo, 0, v83
	v_cndmask_b32_e64 v67, 1, 2, s1
	v_cmp_ne_u32_e64 s1, 0, v54
	v_cmp_ne_u32_e64 s3, 0, v56
	;; [unrolled: 1-line block ×3, first 2 shown]
	v_cndmask_b32_e64 v3, 1, 2, vcc_lo
	v_cmp_eq_u32_e32 vcc_lo, 0, v65
	v_cmp_ne_u32_e64 s5, 0, v58
	v_cmp_ne_u32_e64 s6, 0, v59
	;; [unrolled: 1-line block ×3, first 2 shown]
	v_and_b32_e32 v1, v1, v3
	v_cndmask_b32_e64 v5, 1, 2, vcc_lo
	v_cmp_eq_u32_e32 vcc_lo, 0, v64
	v_cmp_ne_u32_e64 s8, 0, v62
	v_cmp_ne_u32_e64 s9, 0, v63
	;; [unrolled: 1-line block ×3, first 2 shown]
	v_and_b32_e32 v1, v1, v5
	v_cndmask_b32_e64 v3, 1, 2, vcc_lo
	v_cmp_eq_u32_e32 vcc_lo, 0, v63
	v_cmp_ne_u32_e64 s12, 0, v65
	v_cmp_ne_u32_e64 s13, 0, v66
	s_mov_b32 s16, 0
	v_and_b32_e32 v1, v1, v3
	v_cndmask_b32_e64 v5, 1, 2, vcc_lo
	v_cmp_eq_u32_e32 vcc_lo, 0, v62
	s_mov_b32 s15, exec_lo
	s_delay_alu instid0(VALU_DEP_2) | instskip(SKIP_2) | instid1(VALU_DEP_2)
	v_and_b32_e32 v1, v1, v5
	v_cndmask_b32_e64 v3, 1, 2, vcc_lo
	v_cmp_eq_u32_e32 vcc_lo, 0, v61
	v_and_b32_e32 v1, v1, v3
	v_cndmask_b32_e64 v5, 1, 2, vcc_lo
	v_cmp_eq_u32_e32 vcc_lo, 0, v59
	s_delay_alu instid0(VALU_DEP_2) | instskip(SKIP_2) | instid1(VALU_DEP_2)
	v_and_b32_e32 v1, v1, v5
	v_cndmask_b32_e64 v3, 1, 2, vcc_lo
	v_cmp_eq_u32_e32 vcc_lo, 0, v58
	v_and_b32_e32 v1, v1, v3
	v_cndmask_b32_e64 v5, 1, 2, vcc_lo
	v_cmp_eq_u32_e32 vcc_lo, 0, v57
	;; [unrolled: 7-line block ×3, first 2 shown]
	s_delay_alu instid0(VALU_DEP_2) | instskip(SKIP_4) | instid1(VALU_DEP_4)
	v_and_b32_e32 v1, v1, v5
	v_cndmask_b32_e64 v3, 1, 2, vcc_lo
	v_cndmask_b32_e64 v5, 1, 2, s0
	v_cmp_eq_u32_e64 s0, 0, v60
	v_cmp_ne_u32_e32 vcc_lo, 0, v60
	v_and_b32_e32 v1, v1, v3
	s_delay_alu instid0(VALU_DEP_3) | instskip(SKIP_1) | instid1(VALU_DEP_3)
	v_cndmask_b32_e64 v3, 1, 2, s0
	v_cmp_ne_u32_e64 s0, 0, v53
	v_and_b32_e32 v1, v1, v5
	s_delay_alu instid0(VALU_DEP_1) | instskip(NEXT) | instid1(VALU_DEP_1)
	v_and_b32_e32 v1, v1, v67
	v_and_b32_e32 v1, v1, v3
	s_delay_alu instid0(VALU_DEP_1)
	v_cmpx_gt_i16_e32 2, v1
	s_cbranch_execz .LBB974_166
; %bb.120:
	v_cmp_ne_u16_e64 s14, 1, v1
	s_delay_alu instid0(VALU_DEP_1) | instskip(NEXT) | instid1(SALU_CYCLE_1)
	s_and_saveexec_b32 s17, s14
	s_xor_b32 s14, exec_lo, s17
	s_cbranch_execz .LBB974_144
; %bb.121:
	s_and_saveexec_b32 s16, s11
	s_cbranch_execz .LBB974_149
; %bb.122:
	v_sub_nc_u32_e32 v1, v48, v4
	s_delay_alu instid0(VALU_DEP_1)
	v_lshlrev_b32_e32 v1, 2, v1
	ds_store_b32 v1, v18
	s_or_b32 exec_lo, exec_lo, s16
	s_and_saveexec_b32 s11, s13
	s_cbranch_execnz .LBB974_150
.LBB974_123:
	s_or_b32 exec_lo, exec_lo, s11
	s_and_saveexec_b32 s11, s12
	s_cbranch_execz .LBB974_151
.LBB974_124:
	v_sub_nc_u32_e32 v1, v44, v4
	s_delay_alu instid0(VALU_DEP_1)
	v_lshlrev_b32_e32 v1, 2, v1
	ds_store_b32 v1, v16
	s_or_b32 exec_lo, exec_lo, s11
	s_and_saveexec_b32 s11, s10
	s_cbranch_execnz .LBB974_152
.LBB974_125:
	s_or_b32 exec_lo, exec_lo, s11
	s_and_saveexec_b32 s10, s9
	s_cbranch_execz .LBB974_153
.LBB974_126:
	v_sub_nc_u32_e32 v1, v28, v4
	s_delay_alu instid0(VALU_DEP_1)
	v_lshlrev_b32_e32 v1, 2, v1
	ds_store_b32 v1, v14
	s_or_b32 exec_lo, exec_lo, s10
	s_and_saveexec_b32 s9, s8
	s_cbranch_execnz .LBB974_154
.LBB974_127:
	s_or_b32 exec_lo, exec_lo, s9
	s_and_saveexec_b32 s8, s7
	s_cbranch_execz .LBB974_155
.LBB974_128:
	v_sub_nc_u32_e32 v1, v26, v4
	s_delay_alu instid0(VALU_DEP_1)
	v_lshlrev_b32_e32 v1, 2, v1
	ds_store_b32 v1, v12
	s_or_b32 exec_lo, exec_lo, s8
	s_and_saveexec_b32 s7, s6
	s_cbranch_execnz .LBB974_156
.LBB974_129:
	s_or_b32 exec_lo, exec_lo, s7
	s_and_saveexec_b32 s6, s5
	s_cbranch_execz .LBB974_157
.LBB974_130:
	v_sub_nc_u32_e32 v1, v50, v4
	s_delay_alu instid0(VALU_DEP_1)
	v_lshlrev_b32_e32 v1, 2, v1
	ds_store_b32 v1, v10
	s_or_b32 exec_lo, exec_lo, s6
	s_and_saveexec_b32 s5, s4
	s_cbranch_execnz .LBB974_158
.LBB974_131:
	s_or_b32 exec_lo, exec_lo, s5
	s_and_saveexec_b32 s4, s3
	s_cbranch_execz .LBB974_159
.LBB974_132:
	v_sub_nc_u32_e32 v1, v36, v4
	s_delay_alu instid0(VALU_DEP_1)
	v_lshlrev_b32_e32 v1, 2, v1
	ds_store_b32 v1, v8
	s_or_b32 exec_lo, exec_lo, s4
	s_and_saveexec_b32 s3, s2
	s_cbranch_execnz .LBB974_160
.LBB974_133:
	s_or_b32 exec_lo, exec_lo, s3
	s_and_saveexec_b32 s2, s1
	s_cbranch_execz .LBB974_161
.LBB974_134:
	v_sub_nc_u32_e32 v1, v34, v4
	s_delay_alu instid0(VALU_DEP_1)
	v_lshlrev_b32_e32 v1, 2, v1
	ds_store_b32 v1, v6
	s_or_b32 exec_lo, exec_lo, s2
	s_and_saveexec_b32 s1, s0
	s_cbranch_execnz .LBB974_162
	s_branch .LBB974_163
.LBB974_135:
	s_mov_b32 s41, 0
                                        ; implicit-def: $sgpr0
                                        ; implicit-def: $vgpr60
                                        ; implicit-def: $vgpr53
                                        ; implicit-def: $vgpr54
                                        ; implicit-def: $vgpr55
                                        ; implicit-def: $vgpr56
                                        ; implicit-def: $vgpr57
                                        ; implicit-def: $vgpr58
                                        ; implicit-def: $vgpr59
                                        ; implicit-def: $vgpr61
                                        ; implicit-def: $vgpr62
                                        ; implicit-def: $vgpr63
                                        ; implicit-def: $vgpr64
                                        ; implicit-def: $vgpr65
                                        ; implicit-def: $vgpr66
	s_cbranch_execz .LBB974_69
.LBB974_136:
	v_cmp_ne_u32_e32 vcc_lo, v7, v52
	v_lshlrev_b32_e32 v1, 2, v0
	s_mov_b32 s1, exec_lo
                                        ; implicit-def: $sgpr0
	v_cndmask_b32_e64 v60, 0, 1, vcc_lo
	v_cmp_ne_u32_e32 vcc_lo, v6, v7
	ds_store_b32 v1, v52
	s_waitcnt lgkmcnt(0)
	s_barrier
	buffer_gl0_inv
	v_cndmask_b32_e64 v53, 0, 1, vcc_lo
	v_cmp_ne_u32_e32 vcc_lo, v9, v6
	v_cndmask_b32_e64 v54, 0, 1, vcc_lo
	v_cmp_ne_u32_e32 vcc_lo, v8, v9
	;; [unrolled: 2-line block ×12, first 2 shown]
	v_cndmask_b32_e64 v66, 0, 1, vcc_lo
	v_cmpx_ne_u32_e32 0, v0
	s_xor_b32 s1, exec_lo, s1
	s_cbranch_execz .LBB974_138
; %bb.137:
	v_add_nc_u32_e32 v1, -4, v1
	s_or_b32 s41, s41, exec_lo
	ds_load_b32 v1, v1
	s_waitcnt lgkmcnt(0)
	v_cmp_ne_u32_e32 vcc_lo, v1, v18
	s_and_b32 s0, vcc_lo, exec_lo
.LBB974_138:
	s_or_b32 exec_lo, exec_lo, s1
	s_mov_b32 s1, 1
	s_branch .LBB974_71
.LBB974_139:
	s_mul_hi_u32 s0, s18, 0xfffff100
	s_mul_i32 s1, s19, 0xfffff100
	s_sub_i32 s0, s0, s18
	s_mul_i32 s2, s18, 0xfffff100
	s_add_i32 s0, s0, s1
	s_add_u32 s36, s2, s36
	s_addc_u32 s37, s0, s37
	s_and_b32 vcc_lo, exec_lo, s14
	s_cbranch_vccz .LBB974_146
; %bb.140:
	v_add_co_u32 v1, s0, -4, s20
	s_delay_alu instid0(VALU_DEP_1)
	v_add_co_ci_u32_e64 v2, null, -1, s17, s0
	v_cmp_ne_u32_e64 s6, v7, v52
	v_cmp_ne_u32_e64 s8, v6, v7
	v_lshlrev_b32_e32 v4, 2, v0
	flat_load_b32 v5, v[1:2]
	v_mad_u32_u24 v1, v0, 15, 14
	v_mov_b32_e32 v2, 0
	v_mul_u32_u24_e32 v3, 15, v0
	s_mov_b32 s41, -1
	s_mov_b32 s10, 0
	ds_store_b32 v4, v52
	v_cmp_gt_u64_e32 vcc_lo, s[36:37], v[1:2]
	v_mad_u32_u24 v1, v0, 15, 13
	s_waitcnt vmcnt(0) lgkmcnt(0)
	s_barrier
	buffer_gl0_inv
	v_cmp_gt_u64_e64 s0, s[36:37], v[1:2]
	v_mad_u32_u24 v1, v0, 15, 12
	s_and_b32 s11, vcc_lo, s6
	v_cmp_ne_u32_e64 s6, v8, v9
	s_delay_alu instid0(VALU_DEP_2) | instskip(SKIP_4) | instid1(VALU_DEP_3)
	v_cmp_gt_u64_e64 s1, s[36:37], v[1:2]
	v_mad_u32_u24 v1, v0, 15, 11
	s_and_b32 s12, s0, s8
	v_cmp_ne_u32_e64 s0, v9, v6
	v_cmp_ne_u32_e64 s8, v11, v8
	v_cmp_gt_u64_e64 s2, s[36:37], v[1:2]
	v_mad_u32_u24 v1, v0, 15, 10
	s_delay_alu instid0(VALU_DEP_4) | instskip(SKIP_1) | instid1(VALU_DEP_2)
	s_and_b32 s13, s1, s0
	v_cmp_ne_u32_e64 s0, v10, v11
	v_cmp_gt_u64_e64 s3, s[36:37], v[1:2]
	v_mad_u32_u24 v1, v0, 15, 9
	s_and_b32 s14, s2, s6
	v_cmp_ne_u32_e64 s2, v12, v13
	v_cmp_ne_u32_e64 s6, v18, v19
	s_delay_alu instid0(VALU_DEP_3) | instskip(SKIP_3) | instid1(VALU_DEP_2)
	v_cmp_gt_u64_e64 s4, s[36:37], v[1:2]
	v_mad_u32_u24 v1, v0, 15, 8
	s_and_b32 s8, s3, s8
	v_cmp_ne_u32_e64 s3, v15, v12
	v_cmp_gt_u64_e64 s5, s[36:37], v[1:2]
	v_mad_u32_u24 v1, v0, 15, 7
	s_and_b32 s16, s4, s0
	v_cmp_ne_u32_e64 s0, v13, v10
	s_delay_alu instid0(VALU_DEP_2) | instskip(SKIP_1) | instid1(VALU_DEP_3)
	v_cmp_gt_u64_e64 s7, s[36:37], v[1:2]
	v_mad_u32_u24 v1, v0, 15, 6
	s_and_b32 s17, s5, s0
	v_cmp_ne_u32_e64 s0, v14, v15
	s_delay_alu instid0(VALU_DEP_2) | instskip(SKIP_3) | instid1(VALU_DEP_2)
	v_cmp_gt_u64_e32 vcc_lo, s[36:37], v[1:2]
	v_mad_u32_u24 v1, v0, 15, 5
	s_and_b32 s18, s7, s2
	v_cmp_ne_u32_e64 s2, v16, v17
	v_cmp_gt_u64_e64 s9, s[36:37], v[1:2]
	v_mad_u32_u24 v1, v0, 15, 4
	s_and_b32 s7, vcc_lo, s3
	v_cmp_ne_u32_e64 s3, v19, v16
	s_delay_alu instid0(VALU_DEP_2) | instskip(SKIP_3) | instid1(VALU_DEP_2)
	v_cmp_gt_u64_e64 s1, s[36:37], v[1:2]
	v_mad_u32_u24 v1, v0, 15, 3
	s_and_b32 s9, s9, s0
	v_cmp_ne_u32_e64 s0, v17, v14
	v_cmp_gt_u64_e64 s4, s[36:37], v[1:2]
	v_mad_u32_u24 v1, v0, 15, 2
	s_delay_alu instid0(VALU_DEP_3) | instskip(NEXT) | instid1(VALU_DEP_1)
	s_and_b32 s0, s1, s0
	v_cmp_gt_u64_e32 vcc_lo, s[36:37], v[1:2]
	v_mad_u32_u24 v1, v0, 15, 1
	s_delay_alu instid0(VALU_DEP_4) | instskip(SKIP_1) | instid1(VALU_DEP_1)
	s_and_b32 s2, s4, s2
	s_mov_b32 s4, exec_lo
	v_cmp_gt_u64_e64 s5, s[36:37], v[1:2]
	s_and_b32 s1, vcc_lo, s3
	s_delay_alu instid0(VALU_DEP_1)
	s_and_b32 s3, s5, s6
	v_cmpx_ne_u32_e32 0, v0
	s_cbranch_execz .LBB974_142
; %bb.141:
	v_add_nc_u32_e32 v1, -4, v4
	ds_load_b32 v5, v1
.LBB974_142:
	s_or_b32 exec_lo, exec_lo, s4
	v_mov_b32_e32 v4, v2
	v_cndmask_b32_e64 v63, 0, 1, s0
	s_waitcnt lgkmcnt(0)
	v_cmp_ne_u32_e64 s0, v5, v18
	v_cndmask_b32_e64 v60, 0, 1, s11
	v_cndmask_b32_e64 v53, 0, 1, s12
	v_cmp_gt_u64_e32 vcc_lo, s[36:37], v[3:4]
	v_cndmask_b32_e64 v54, 0, 1, s13
	v_cndmask_b32_e64 v55, 0, 1, s14
	;; [unrolled: 1-line block ×11, first 2 shown]
	s_and_b32 s0, vcc_lo, s0
	s_and_b32 vcc_lo, exec_lo, s10
	s_cbranch_vccnz .LBB974_147
.LBB974_143:
                                        ; implicit-def: $sgpr1
	v_mov_b32_e32 v83, s1
	s_and_saveexec_b32 s1, s41
	s_cbranch_execnz .LBB974_72
	s_branch .LBB974_73
.LBB974_144:
	s_and_not1_saveexec_b32 s0, s14
	s_cbranch_execz .LBB974_164
.LBB974_145:
	v_sub_nc_u32_e32 v1, v48, v4
	v_sub_nc_u32_e32 v3, v42, v4
	;; [unrolled: 1-line block ×4, first 2 shown]
	s_or_b32 s16, s16, exec_lo
	v_lshlrev_b32_e32 v1, 2, v1
	v_lshlrev_b32_e32 v3, 2, v3
	;; [unrolled: 1-line block ×4, first 2 shown]
	ds_store_b32 v1, v18
	ds_store_b32 v3, v19
	;; [unrolled: 1-line block ×3, first 2 shown]
	v_sub_nc_u32_e32 v1, v28, v4
	v_sub_nc_u32_e32 v3, v24, v4
	;; [unrolled: 1-line block ×4, first 2 shown]
	ds_store_b32 v67, v17
	v_lshlrev_b32_e32 v1, 2, v1
	v_sub_nc_u32_e32 v17, v50, v4
	v_lshlrev_b32_e32 v3, 2, v3
	v_lshlrev_b32_e32 v5, 2, v5
	;; [unrolled: 1-line block ×3, first 2 shown]
	ds_store_b32 v1, v14
	v_lshlrev_b32_e32 v1, 2, v17
	ds_store_b32 v3, v15
	ds_store_b32 v5, v12
	;; [unrolled: 1-line block ×3, first 2 shown]
	v_sub_nc_u32_e32 v3, v38, v4
	v_sub_nc_u32_e32 v12, v32, v4
	;; [unrolled: 1-line block ×3, first 2 shown]
	ds_store_b32 v1, v10
	v_sub_nc_u32_e32 v1, v36, v4
	v_lshlrev_b32_e32 v3, 2, v3
	v_sub_nc_u32_e32 v10, v34, v4
	v_lshlrev_b32_e32 v5, 2, v5
	s_delay_alu instid0(VALU_DEP_4)
	v_lshlrev_b32_e32 v1, 2, v1
	ds_store_b32 v3, v11
	v_lshlrev_b32_e32 v3, 2, v12
	v_lshlrev_b32_e32 v10, 2, v10
	ds_store_b32 v1, v8
	ds_store_b32 v5, v9
	;; [unrolled: 1-line block ×4, first 2 shown]
	s_or_b32 exec_lo, exec_lo, s0
	s_delay_alu instid0(SALU_CYCLE_1)
	s_and_b32 exec_lo, exec_lo, s16
	s_cbranch_execnz .LBB974_165
	s_branch .LBB974_166
.LBB974_146:
                                        ; implicit-def: $sgpr0
                                        ; implicit-def: $vgpr60
                                        ; implicit-def: $vgpr53
                                        ; implicit-def: $vgpr54
                                        ; implicit-def: $vgpr55
                                        ; implicit-def: $vgpr56
                                        ; implicit-def: $vgpr57
                                        ; implicit-def: $vgpr58
                                        ; implicit-def: $vgpr59
                                        ; implicit-def: $vgpr61
                                        ; implicit-def: $vgpr62
                                        ; implicit-def: $vgpr63
                                        ; implicit-def: $vgpr64
                                        ; implicit-def: $vgpr65
                                        ; implicit-def: $vgpr66
	s_cbranch_execz .LBB974_143
.LBB974_147:
	v_mad_u32_u24 v1, v0, 15, 14
	v_dual_mov_b32 v2, 0 :: v_dual_lshlrev_b32 v3, 2, v0
	v_cmp_ne_u32_e64 s5, v6, v7
	v_cmp_ne_u32_e64 s4, v7, v52
	;; [unrolled: 1-line block ×3, first 2 shown]
	s_delay_alu instid0(VALU_DEP_4)
	v_cmp_gt_u64_e32 vcc_lo, s[36:37], v[1:2]
	v_mad_u32_u24 v1, v0, 15, 13
	v_cmp_ne_u32_e64 s8, v8, v9
	v_cmp_ne_u32_e64 s9, v11, v8
	;; [unrolled: 1-line block ×4, first 2 shown]
	v_cmp_gt_u64_e64 s0, s[36:37], v[1:2]
	v_mad_u32_u24 v1, v0, 15, 12
	s_and_b32 s4, vcc_lo, s4
	v_cmp_ne_u32_e64 s13, v12, v13
	v_cmp_ne_u32_e64 s14, v15, v12
	;; [unrolled: 1-line block ×3, first 2 shown]
	v_cmp_gt_u64_e64 s1, s[36:37], v[1:2]
	v_mad_u32_u24 v1, v0, 15, 11
	s_and_b32 s0, s0, s5
	v_cmp_ne_u32_e64 s17, v17, v14
	v_cndmask_b32_e64 v53, 0, 1, s0
	v_cmp_ne_u32_e64 s19, v16, v17
	v_cmp_gt_u64_e64 s2, s[36:37], v[1:2]
	v_mad_u32_u24 v1, v0, 15, 10
	s_and_b32 s0, s1, s6
	v_cmp_ne_u32_e64 s20, v19, v16
	v_cndmask_b32_e64 v54, 0, 1, s0
	v_cmp_ne_u32_e64 s21, v18, v19
	v_cmp_gt_u64_e64 s3, s[36:37], v[1:2]
	v_mad_u32_u24 v1, v0, 15, 9
	s_and_b32 s0, s2, s8
	v_cndmask_b32_e64 v60, 0, 1, s4
	v_cndmask_b32_e64 v55, 0, 1, s0
	ds_store_b32 v3, v52
	v_cmp_gt_u64_e64 s7, s[36:37], v[1:2]
	v_mad_u32_u24 v1, v0, 15, 8
	s_and_b32 s1, s3, s9
	s_waitcnt lgkmcnt(0)
	v_cndmask_b32_e64 v56, 0, 1, s1
	s_barrier
	v_cmp_gt_u64_e64 s12, s[36:37], v[1:2]
	v_mad_u32_u24 v1, v0, 15, 7
	s_and_b32 s1, s7, s10
	buffer_gl0_inv
	v_cndmask_b32_e64 v57, 0, 1, s1
	v_cmp_gt_u64_e64 s18, s[36:37], v[1:2]
	v_mad_u32_u24 v1, v0, 15, 6
	s_and_b32 s2, s12, s11
	s_delay_alu instid0(SALU_CYCLE_1) | instskip(NEXT) | instid1(VALU_DEP_2)
	v_cndmask_b32_e64 v58, 0, 1, s2
	v_cmp_gt_u64_e64 s22, s[36:37], v[1:2]
	v_mad_u32_u24 v1, v0, 15, 5
	s_and_b32 s2, s18, s13
	s_delay_alu instid0(SALU_CYCLE_1) | instskip(NEXT) | instid1(VALU_DEP_2)
	v_cndmask_b32_e64 v59, 0, 1, s2
	v_cmp_gt_u64_e32 vcc_lo, s[36:37], v[1:2]
	v_mad_u32_u24 v1, v0, 15, 4
	s_and_b32 s3, s22, s14
	s_delay_alu instid0(SALU_CYCLE_1) | instskip(NEXT) | instid1(VALU_DEP_2)
	v_cndmask_b32_e64 v61, 0, 1, s3
	v_cmp_gt_u64_e64 s0, s[36:37], v[1:2]
	v_mad_u32_u24 v1, v0, 15, 3
	s_and_b32 s3, vcc_lo, s16
	s_delay_alu instid0(SALU_CYCLE_1) | instskip(NEXT) | instid1(VALU_DEP_2)
	v_cndmask_b32_e64 v62, 0, 1, s3
	v_cmp_gt_u64_e64 s1, s[36:37], v[1:2]
	v_mad_u32_u24 v1, v0, 15, 2
	s_and_b32 s0, s0, s17
	s_delay_alu instid0(SALU_CYCLE_1) | instskip(NEXT) | instid1(VALU_DEP_2)
	v_cndmask_b32_e64 v63, 0, 1, s0
	v_cmp_gt_u64_e64 s2, s[36:37], v[1:2]
	v_mad_u32_u24 v1, v0, 15, 1
	s_and_b32 s0, s1, s19
	s_mov_b32 s1, 1
	v_cndmask_b32_e64 v64, 0, 1, s0
	s_delay_alu instid0(VALU_DEP_2) | instskip(SKIP_4) | instid1(SALU_CYCLE_1)
	v_cmp_gt_u64_e32 vcc_lo, s[36:37], v[1:2]
	s_and_b32 s0, s2, s20
	s_mov_b32 s2, exec_lo
	v_cndmask_b32_e64 v65, 0, 1, s0
	s_and_b32 s0, vcc_lo, s21
	v_cndmask_b32_e64 v66, 0, 1, s0
                                        ; implicit-def: $sgpr0
	v_cmpx_ne_u32_e32 0, v0
	s_cbranch_execz .LBB974_205
; %bb.148:
	v_add_nc_u32_e32 v1, -4, v3
	s_or_b32 s41, s41, exec_lo
	ds_load_b32 v3, v1
	v_mul_u32_u24_e32 v1, 15, v0
	s_delay_alu instid0(VALU_DEP_1) | instskip(SKIP_2) | instid1(VALU_DEP_1)
	v_cmp_gt_u64_e32 vcc_lo, s[36:37], v[1:2]
	s_waitcnt lgkmcnt(0)
	v_cmp_ne_u32_e64 s0, v3, v18
	s_and_b32 s0, vcc_lo, s0
	s_delay_alu instid0(SALU_CYCLE_1)
	s_and_b32 s0, s0, exec_lo
	s_or_b32 exec_lo, exec_lo, s2
	v_mov_b32_e32 v83, s1
	s_and_saveexec_b32 s1, s41
	s_cbranch_execz .LBB974_73
	s_branch .LBB974_72
.LBB974_149:
	s_or_b32 exec_lo, exec_lo, s16
	s_and_saveexec_b32 s11, s13
	s_cbranch_execz .LBB974_123
.LBB974_150:
	v_sub_nc_u32_e32 v1, v42, v4
	s_delay_alu instid0(VALU_DEP_1)
	v_lshlrev_b32_e32 v1, 2, v1
	ds_store_b32 v1, v19
	s_or_b32 exec_lo, exec_lo, s11
	s_and_saveexec_b32 s11, s12
	s_cbranch_execnz .LBB974_124
.LBB974_151:
	s_or_b32 exec_lo, exec_lo, s11
	s_and_saveexec_b32 s11, s10
	s_cbranch_execz .LBB974_125
.LBB974_152:
	v_sub_nc_u32_e32 v1, v40, v4
	s_delay_alu instid0(VALU_DEP_1)
	v_lshlrev_b32_e32 v1, 2, v1
	ds_store_b32 v1, v17
	s_or_b32 exec_lo, exec_lo, s11
	s_and_saveexec_b32 s10, s9
	s_cbranch_execnz .LBB974_126
.LBB974_153:
	s_or_b32 exec_lo, exec_lo, s10
	s_and_saveexec_b32 s9, s8
	s_cbranch_execz .LBB974_127
.LBB974_154:
	v_sub_nc_u32_e32 v1, v24, v4
	s_delay_alu instid0(VALU_DEP_1)
	v_lshlrev_b32_e32 v1, 2, v1
	ds_store_b32 v1, v15
	s_or_b32 exec_lo, exec_lo, s9
	s_and_saveexec_b32 s8, s7
	s_cbranch_execnz .LBB974_128
.LBB974_155:
	s_or_b32 exec_lo, exec_lo, s8
	s_and_saveexec_b32 s7, s6
	s_cbranch_execz .LBB974_129
.LBB974_156:
	v_sub_nc_u32_e32 v1, v46, v4
	s_delay_alu instid0(VALU_DEP_1)
	v_lshlrev_b32_e32 v1, 2, v1
	ds_store_b32 v1, v13
	s_or_b32 exec_lo, exec_lo, s7
	s_and_saveexec_b32 s6, s5
	s_cbranch_execnz .LBB974_130
.LBB974_157:
	s_or_b32 exec_lo, exec_lo, s6
	s_and_saveexec_b32 s5, s4
	s_cbranch_execz .LBB974_131
.LBB974_158:
	v_sub_nc_u32_e32 v1, v38, v4
	s_delay_alu instid0(VALU_DEP_1)
	v_lshlrev_b32_e32 v1, 2, v1
	ds_store_b32 v1, v11
	s_or_b32 exec_lo, exec_lo, s5
	s_and_saveexec_b32 s4, s3
	s_cbranch_execnz .LBB974_132
.LBB974_159:
	s_or_b32 exec_lo, exec_lo, s4
	s_and_saveexec_b32 s3, s2
	s_cbranch_execz .LBB974_133
.LBB974_160:
	v_sub_nc_u32_e32 v1, v30, v4
	s_delay_alu instid0(VALU_DEP_1)
	v_lshlrev_b32_e32 v1, 2, v1
	ds_store_b32 v1, v9
	s_or_b32 exec_lo, exec_lo, s3
	s_and_saveexec_b32 s2, s1
	s_cbranch_execnz .LBB974_134
.LBB974_161:
	s_or_b32 exec_lo, exec_lo, s2
	s_and_saveexec_b32 s1, s0
	s_cbranch_execz .LBB974_163
.LBB974_162:
	v_sub_nc_u32_e32 v1, v32, v4
	s_delay_alu instid0(VALU_DEP_1)
	v_lshlrev_b32_e32 v1, 2, v1
	ds_store_b32 v1, v7
.LBB974_163:
	s_or_b32 exec_lo, exec_lo, s1
	s_delay_alu instid0(SALU_CYCLE_1)
	s_and_b32 s16, vcc_lo, exec_lo
                                        ; implicit-def: $vgpr18
                                        ; implicit-def: $vgpr16
                                        ; implicit-def: $vgpr14
                                        ; implicit-def: $vgpr12
                                        ; implicit-def: $vgpr10
                                        ; implicit-def: $vgpr8
                                        ; implicit-def: $vgpr6
	s_and_not1_saveexec_b32 s0, s14
	s_cbranch_execnz .LBB974_145
.LBB974_164:
	s_or_b32 exec_lo, exec_lo, s0
	s_delay_alu instid0(SALU_CYCLE_1)
	s_and_b32 exec_lo, exec_lo, s16
	s_cbranch_execz .LBB974_166
.LBB974_165:
	v_sub_nc_u32_e32 v1, v22, v4
	s_delay_alu instid0(VALU_DEP_1)
	v_lshlrev_b32_e32 v1, 2, v1
	ds_store_b32 v1, v52
.LBB974_166:
	s_or_b32 exec_lo, exec_lo, s15
	s_waitcnt vmcnt(0) lgkmcnt(0)
	s_barrier
	buffer_gl0_inv
.LBB974_167:
	s_cmpk_lg_i32 s33, 0xf00
	v_cmp_eq_u32_e32 vcc_lo, 0, v0
	s_cselect_b32 s0, -1, 0
	v_mad_i32_i24 v7, v0, -15, s33
	s_and_b32 s0, s23, s0
	v_cndmask_b32_e64 v1, 0, 1, s40
	v_cndmask_b32_e64 v6, 0, 1, s0
	s_mul_hi_u32 s0, s33, 0x88888889
	s_and_b32 s1, vcc_lo, s40
	s_lshr_b32 s0, s0, 3
	v_cndmask_b32_e64 v8, v83, 0, s1
	v_cmp_eq_u32_e32 vcc_lo, s0, v0
	v_cmp_ne_u32_e64 s0, 0, v7
	v_sub_nc_u32_e32 v3, v2, v1
	s_mov_b32 s16, -1
	s_waitcnt vmcnt(0)
	s_and_b32 vcc_lo, s23, vcc_lo
	v_cndmask_b32_e64 v9, 1, v8, s0
	v_cmp_ne_u32_e64 s0, 1, v7
	v_mov_b32_e32 v5, 0
	s_barrier
	buffer_gl0_inv
	v_cndmask_b32_e32 v16, v8, v9, vcc_lo
	v_cndmask_b32_e64 v10, 1, v66, s0
	v_cmp_ne_u32_e64 s0, 2, v7
	s_delay_alu instid0(VALU_DEP_3) | instskip(NEXT) | instid1(VALU_DEP_3)
	v_cmp_ne_u32_e64 s14, 0, v16
	v_cndmask_b32_e32 v17, v66, v10, vcc_lo
	s_delay_alu instid0(VALU_DEP_3) | instskip(SKIP_1) | instid1(VALU_DEP_2)
	v_cndmask_b32_e64 v11, 1, v65, s0
	v_cmp_ne_u32_e64 s0, 14, v7
	v_dual_cndmask_b32 v18, v65, v11 :: v_dual_add_nc_u32 v3, v3, v6
	s_delay_alu instid0(VALU_DEP_2) | instskip(SKIP_1) | instid1(VALU_DEP_3)
	v_cndmask_b32_e64 v12, 1, v60, s0
	v_cmp_ne_u32_e64 s0, 3, v7
	v_cmp_ne_u32_e64 s12, 0, v18
	s_delay_alu instid0(VALU_DEP_2) | instskip(SKIP_1) | instid1(VALU_DEP_1)
	v_cndmask_b32_e64 v13, 1, v64, s0
	v_cmp_ne_u32_e64 s0, 4, v7
	v_cndmask_b32_e64 v14, 1, v63, s0
	v_cmp_ne_u32_e64 s0, 5, v7
	s_delay_alu instid0(VALU_DEP_2) | instskip(NEXT) | instid1(VALU_DEP_2)
	v_dual_cndmask_b32 v15, v60, v12 :: v_dual_cndmask_b32 v14, v63, v14
	v_cndmask_b32_e64 v8, 1, v62, s0
	v_cmp_ne_u32_e64 s0, 6, v7
	s_delay_alu instid0(VALU_DEP_3) | instskip(NEXT) | instid1(VALU_DEP_3)
	v_cmp_ne_u32_e64 s10, 0, v14
	v_cndmask_b32_e32 v62, v62, v8, vcc_lo
	s_delay_alu instid0(VALU_DEP_3) | instskip(SKIP_1) | instid1(VALU_DEP_2)
	v_cndmask_b32_e64 v9, 1, v61, s0
	v_cmp_eq_u32_e64 s0, 0, v16
	v_cndmask_b32_e32 v61, v61, v9, vcc_lo
	s_delay_alu instid0(VALU_DEP_2) | instskip(SKIP_1) | instid1(VALU_DEP_3)
	v_cndmask_b32_e64 v10, 1, 2, s0
	v_cmp_eq_u32_e64 s0, 0, v17
	v_cmp_ne_u32_e64 s8, 0, v61
	s_delay_alu instid0(VALU_DEP_2) | instskip(SKIP_1) | instid1(VALU_DEP_2)
	v_cndmask_b32_e64 v12, 1, 2, s0
	v_cmp_ne_u32_e64 s0, 7, v7
	v_and_b32_e32 v10, v12, v10
	s_delay_alu instid0(VALU_DEP_2) | instskip(SKIP_1) | instid1(VALU_DEP_2)
	v_cndmask_b32_e64 v11, 1, v59, s0
	v_cmp_eq_u32_e64 s0, 0, v18
	v_cndmask_b32_e32 v59, v59, v11, vcc_lo
	s_delay_alu instid0(VALU_DEP_2) | instskip(SKIP_2) | instid1(VALU_DEP_4)
	v_cndmask_b32_e64 v12, 1, 2, s0
	v_cmp_ne_u32_e64 s0, 8, v7
	v_cndmask_b32_e32 v13, v64, v13, vcc_lo
	v_cmp_ne_u32_e64 s7, 0, v59
	s_delay_alu instid0(VALU_DEP_4) | instskip(NEXT) | instid1(VALU_DEP_4)
	v_and_b32_e32 v10, v10, v12
	v_cndmask_b32_e64 v19, 1, v58, s0
	v_cmp_ne_u32_e64 s0, 9, v7
	v_cmp_ne_u32_e64 s11, 0, v13
	s_delay_alu instid0(VALU_DEP_3) | instskip(NEXT) | instid1(VALU_DEP_3)
	v_cndmask_b32_e32 v19, v58, v19, vcc_lo
	v_cndmask_b32_e64 v52, 1, v57, s0
	v_cmp_eq_u32_e64 s0, 0, v13
	s_delay_alu instid0(VALU_DEP_3) | instskip(NEXT) | instid1(VALU_DEP_3)
	v_cmp_ne_u32_e64 s6, 0, v19
	v_cndmask_b32_e32 v52, v57, v52, vcc_lo
	s_delay_alu instid0(VALU_DEP_3) | instskip(SKIP_1) | instid1(VALU_DEP_2)
	v_cndmask_b32_e64 v12, 1, 2, s0
	v_cmp_ne_u32_e64 s0, 10, v7
	v_and_b32_e32 v8, v10, v12
	s_delay_alu instid0(VALU_DEP_2) | instskip(SKIP_1) | instid1(VALU_DEP_2)
	v_cndmask_b32_e64 v60, 1, v56, s0
	v_cmp_eq_u32_e64 s0, 0, v14
	v_cndmask_b32_e32 v56, v56, v60, vcc_lo
	s_delay_alu instid0(VALU_DEP_2) | instskip(SKIP_2) | instid1(VALU_DEP_4)
	v_cndmask_b32_e64 v10, 1, 2, s0
	v_cmp_ne_u32_e64 s0, 11, v7
	v_cmp_ne_u32_e64 s13, 0, v17
	;; [unrolled: 1-line block ×3, first 2 shown]
	s_delay_alu instid0(VALU_DEP_3) | instskip(SKIP_1) | instid1(VALU_DEP_2)
	v_cndmask_b32_e64 v12, 1, v55, s0
	v_cmp_ne_u32_e64 s0, 13, v7
	v_dual_cndmask_b32 v55, v55, v12 :: v_dual_and_b32 v8, v8, v10
	s_delay_alu instid0(VALU_DEP_2) | instskip(NEXT) | instid1(VALU_DEP_2)
	v_cndmask_b32_e64 v63, 1, v53, s0
	v_cmp_ne_u32_e64 s3, 0, v55
	s_delay_alu instid0(VALU_DEP_2) | instskip(SKIP_2) | instid1(VALU_DEP_3)
	v_cndmask_b32_e32 v53, v53, v63, vcc_lo
	v_cmp_eq_u32_e64 s0, 0, v62
	v_cmp_ne_u32_e64 s9, 0, v62
	v_cmp_ne_u32_e64 s1, 0, v53
	s_delay_alu instid0(VALU_DEP_3) | instskip(SKIP_1) | instid1(VALU_DEP_2)
	v_cndmask_b32_e64 v10, 1, 2, s0
	v_cmp_ne_u32_e64 s0, 12, v7
	v_and_b32_e32 v8, v8, v10
	s_delay_alu instid0(VALU_DEP_2) | instskip(SKIP_1) | instid1(VALU_DEP_1)
	v_cndmask_b32_e64 v7, 1, v54, s0
	v_cmp_eq_u32_e64 s0, 0, v61
	v_cndmask_b32_e64 v9, 1, 2, s0
	v_cmp_eq_u32_e64 s0, 0, v59
	s_delay_alu instid0(VALU_DEP_4) | instskip(SKIP_1) | instid1(VALU_DEP_4)
	v_cndmask_b32_e32 v54, v54, v7, vcc_lo
	v_cmp_eq_u32_e32 vcc_lo, 0, v19
	v_and_b32_e32 v11, v8, v9
	v_lshlrev_b64 v[7:8], 1, v[20:21]
	v_cndmask_b32_e64 v12, 1, 2, s0
	v_lshlrev_b64 v[9:10], 1, v[4:5]
	v_cmp_ne_u32_e64 s2, 0, v54
	v_cmp_ne_u32_e64 s0, 0, v15
	s_delay_alu instid0(VALU_DEP_4) | instskip(SKIP_4) | instid1(VALU_DEP_4)
	v_and_b32_e32 v5, v11, v12
	v_cndmask_b32_e64 v11, 1, 2, vcc_lo
	v_add_co_u32 v7, vcc_lo, s28, v7
	v_add_co_ci_u32_e32 v8, vcc_lo, s29, v8, vcc_lo
	v_cmp_eq_u32_e32 vcc_lo, 0, v52
	v_and_b32_e32 v5, v5, v11
	v_cndmask_b32_e64 v11, 1, 2, vcc_lo
	v_add_co_u32 v9, vcc_lo, v7, v9
	v_add_co_ci_u32_e32 v10, vcc_lo, v8, v10, vcc_lo
	v_lshlrev_b32_e32 v7, 1, v1
	v_cmp_eq_u32_e32 vcc_lo, 0, v56
	v_and_b32_e32 v5, v5, v11
	v_cmp_ne_u32_e64 s5, 0, v52
	v_cndmask_b32_e64 v8, 1, 2, vcc_lo
	v_add_co_u32 v7, vcc_lo, v7, v9
	v_add_co_ci_u32_e32 v12, vcc_lo, 0, v10, vcc_lo
	v_cmp_eq_u32_e32 vcc_lo, 0, v55
	s_delay_alu instid0(VALU_DEP_4)
	v_and_b32_e32 v8, v5, v8
	v_add_nc_u32_e32 v5, v4, v1
	v_cndmask_b32_e64 v57, 1, 2, vcc_lo
	v_add_co_u32 v11, vcc_lo, v7, -2
	v_add_co_ci_u32_e32 v12, vcc_lo, -1, v12, vcc_lo
	v_cmp_eq_u32_e32 vcc_lo, 0, v54
	s_delay_alu instid0(VALU_DEP_4) | instskip(SKIP_2) | instid1(VALU_DEP_2)
	v_and_b32_e32 v7, v8, v57
	v_cndmask_b32_e64 v8, 1, 2, vcc_lo
	v_cmp_eq_u32_e32 vcc_lo, 0, v53
	v_and_b32_e32 v7, v7, v8
	v_cndmask_b32_e64 v8, 1, 2, vcc_lo
	v_cmp_eq_u32_e32 vcc_lo, 0, v15
	s_delay_alu instid0(VALU_DEP_2) | instskip(SKIP_2) | instid1(VALU_DEP_2)
	v_and_b32_e32 v7, v7, v8
	v_cndmask_b32_e64 v8, 1, 2, vcc_lo
	v_cmp_gt_u32_e32 vcc_lo, 0x100, v3
	v_and_b32_e32 v7, v7, v8
	s_delay_alu instid0(VALU_DEP_1)
	v_cmp_gt_i16_e64 s15, 2, v7
	s_cbranch_vccz .LBB974_184
; %bb.168:
	s_delay_alu instid0(VALU_DEP_1)
	s_and_saveexec_b32 s16, s15
	s_cbranch_execz .LBB974_223
; %bb.169:
	s_mov_b32 s17, 0
	s_mov_b32 s15, exec_lo
	v_cmpx_ne_u16_e32 1, v7
	s_xor_b32 s15, exec_lo, s15
	s_cbranch_execz .LBB974_201
; %bb.170:
	s_and_saveexec_b32 s17, s14
	s_cbranch_execz .LBB974_206
; %bb.171:
	v_sub_nc_u32_e32 v13, v48, v5
	v_mov_b32_e32 v14, 0
	s_delay_alu instid0(VALU_DEP_1) | instskip(NEXT) | instid1(VALU_DEP_1)
	v_lshlrev_b64 v[13:14], 1, v[13:14]
	v_add_co_u32 v13, vcc_lo, v11, v13
	s_delay_alu instid0(VALU_DEP_2)
	v_add_co_ci_u32_e32 v14, vcc_lo, v12, v14, vcc_lo
	global_store_b16 v[13:14], v49, off
	s_or_b32 exec_lo, exec_lo, s17
	s_and_saveexec_b32 s17, s13
	s_cbranch_execnz .LBB974_207
.LBB974_172:
	s_or_b32 exec_lo, exec_lo, s17
	s_and_saveexec_b32 s17, s12
	s_cbranch_execz .LBB974_208
.LBB974_173:
	v_sub_nc_u32_e32 v13, v44, v5
	v_mov_b32_e32 v14, 0
	s_delay_alu instid0(VALU_DEP_1) | instskip(NEXT) | instid1(VALU_DEP_1)
	v_lshlrev_b64 v[13:14], 1, v[13:14]
	v_add_co_u32 v13, vcc_lo, v11, v13
	s_delay_alu instid0(VALU_DEP_2)
	v_add_co_ci_u32_e32 v14, vcc_lo, v12, v14, vcc_lo
	global_store_b16 v[13:14], v45, off
	s_or_b32 exec_lo, exec_lo, s17
	s_and_saveexec_b32 s17, s11
	s_cbranch_execnz .LBB974_209
.LBB974_174:
	s_or_b32 exec_lo, exec_lo, s17
	s_and_saveexec_b32 s17, s10
	s_cbranch_execz .LBB974_210
.LBB974_175:
	v_sub_nc_u32_e32 v13, v28, v5
	v_mov_b32_e32 v14, 0
	s_delay_alu instid0(VALU_DEP_1) | instskip(NEXT) | instid1(VALU_DEP_1)
	v_lshlrev_b64 v[13:14], 1, v[13:14]
	v_add_co_u32 v13, vcc_lo, v11, v13
	s_delay_alu instid0(VALU_DEP_2)
	v_add_co_ci_u32_e32 v14, vcc_lo, v12, v14, vcc_lo
	global_store_b16 v[13:14], v29, off
	s_or_b32 exec_lo, exec_lo, s17
	s_and_saveexec_b32 s17, s9
	s_cbranch_execnz .LBB974_211
.LBB974_176:
	s_or_b32 exec_lo, exec_lo, s17
	s_and_saveexec_b32 s17, s8
	s_cbranch_execz .LBB974_212
.LBB974_177:
	v_sub_nc_u32_e32 v13, v26, v5
	v_mov_b32_e32 v14, 0
	s_delay_alu instid0(VALU_DEP_1) | instskip(NEXT) | instid1(VALU_DEP_1)
	v_lshlrev_b64 v[13:14], 1, v[13:14]
	v_add_co_u32 v13, vcc_lo, v11, v13
	s_delay_alu instid0(VALU_DEP_2)
	v_add_co_ci_u32_e32 v14, vcc_lo, v12, v14, vcc_lo
	global_store_b16 v[13:14], v27, off
	s_or_b32 exec_lo, exec_lo, s17
	s_and_saveexec_b32 s17, s7
	s_cbranch_execnz .LBB974_213
.LBB974_178:
	s_or_b32 exec_lo, exec_lo, s17
	s_and_saveexec_b32 s17, s6
	s_cbranch_execz .LBB974_214
.LBB974_179:
	v_sub_nc_u32_e32 v13, v50, v5
	v_mov_b32_e32 v14, 0
	s_delay_alu instid0(VALU_DEP_1) | instskip(NEXT) | instid1(VALU_DEP_1)
	v_lshlrev_b64 v[13:14], 1, v[13:14]
	v_add_co_u32 v13, vcc_lo, v11, v13
	s_delay_alu instid0(VALU_DEP_2)
	v_add_co_ci_u32_e32 v14, vcc_lo, v12, v14, vcc_lo
	global_store_b16 v[13:14], v51, off
	s_or_b32 exec_lo, exec_lo, s17
	s_and_saveexec_b32 s17, s5
	s_cbranch_execnz .LBB974_215
.LBB974_180:
	s_or_b32 exec_lo, exec_lo, s17
	s_and_saveexec_b32 s17, s4
	s_cbranch_execz .LBB974_216
.LBB974_181:
	v_sub_nc_u32_e32 v13, v36, v5
	v_mov_b32_e32 v14, 0
	s_delay_alu instid0(VALU_DEP_1) | instskip(NEXT) | instid1(VALU_DEP_1)
	v_lshlrev_b64 v[13:14], 1, v[13:14]
	v_add_co_u32 v13, vcc_lo, v11, v13
	s_delay_alu instid0(VALU_DEP_2)
	v_add_co_ci_u32_e32 v14, vcc_lo, v12, v14, vcc_lo
	global_store_b16 v[13:14], v37, off
	s_or_b32 exec_lo, exec_lo, s17
	s_and_saveexec_b32 s17, s3
	s_cbranch_execnz .LBB974_217
.LBB974_182:
	s_or_b32 exec_lo, exec_lo, s17
	s_and_saveexec_b32 s17, s2
	s_cbranch_execz .LBB974_218
.LBB974_183:
	v_sub_nc_u32_e32 v13, v34, v5
	v_mov_b32_e32 v14, 0
	s_delay_alu instid0(VALU_DEP_1) | instskip(NEXT) | instid1(VALU_DEP_1)
	v_lshlrev_b64 v[13:14], 1, v[13:14]
	v_add_co_u32 v13, vcc_lo, v11, v13
	s_delay_alu instid0(VALU_DEP_2)
	v_add_co_ci_u32_e32 v14, vcc_lo, v12, v14, vcc_lo
	global_store_b16 v[13:14], v35, off
	s_or_b32 exec_lo, exec_lo, s17
	s_and_saveexec_b32 s17, s1
	s_cbranch_execnz .LBB974_219
	s_branch .LBB974_220
.LBB974_184:
	s_and_b32 vcc_lo, exec_lo, s16
	s_cbranch_vccz .LBB974_224
; %bb.185:
	s_mov_b32 s15, exec_lo
	v_cmpx_gt_i16_e32 2, v7
	s_cbranch_execz .LBB974_242
; %bb.186:
	s_mov_b32 s17, 0
	s_mov_b32 s16, exec_lo
	v_cmpx_ne_u16_e32 1, v7
	s_xor_b32 s16, exec_lo, s16
	s_cbranch_execz .LBB974_203
; %bb.187:
	s_and_saveexec_b32 s17, s14
	s_cbranch_execz .LBB974_225
; %bb.188:
	v_sub_nc_u32_e32 v7, v48, v5
	s_delay_alu instid0(VALU_DEP_1)
	v_lshlrev_b32_e32 v7, 1, v7
	ds_store_b16 v7, v49
	s_or_b32 exec_lo, exec_lo, s17
	s_and_saveexec_b32 s14, s13
	s_cbranch_execnz .LBB974_226
.LBB974_189:
	s_or_b32 exec_lo, exec_lo, s14
	s_and_saveexec_b32 s13, s12
	s_cbranch_execz .LBB974_227
.LBB974_190:
	v_sub_nc_u32_e32 v7, v44, v5
	s_delay_alu instid0(VALU_DEP_1)
	v_lshlrev_b32_e32 v7, 1, v7
	ds_store_b16 v7, v45
	s_or_b32 exec_lo, exec_lo, s13
	s_and_saveexec_b32 s12, s11
	s_cbranch_execnz .LBB974_228
.LBB974_191:
	s_or_b32 exec_lo, exec_lo, s12
	s_and_saveexec_b32 s11, s10
	s_cbranch_execz .LBB974_229
.LBB974_192:
	v_sub_nc_u32_e32 v7, v28, v5
	s_delay_alu instid0(VALU_DEP_1)
	v_lshlrev_b32_e32 v7, 1, v7
	ds_store_b16 v7, v29
	s_or_b32 exec_lo, exec_lo, s11
	s_and_saveexec_b32 s10, s9
	s_cbranch_execnz .LBB974_230
.LBB974_193:
	s_or_b32 exec_lo, exec_lo, s10
	s_and_saveexec_b32 s9, s8
	s_cbranch_execz .LBB974_231
.LBB974_194:
	v_sub_nc_u32_e32 v7, v26, v5
	s_delay_alu instid0(VALU_DEP_1)
	v_lshlrev_b32_e32 v7, 1, v7
	ds_store_b16 v7, v27
	s_or_b32 exec_lo, exec_lo, s9
	s_and_saveexec_b32 s8, s7
	s_cbranch_execnz .LBB974_232
.LBB974_195:
	s_or_b32 exec_lo, exec_lo, s8
	s_and_saveexec_b32 s7, s6
	s_cbranch_execz .LBB974_233
.LBB974_196:
	v_sub_nc_u32_e32 v7, v50, v5
	s_delay_alu instid0(VALU_DEP_1)
	v_lshlrev_b32_e32 v7, 1, v7
	ds_store_b16 v7, v51
	s_or_b32 exec_lo, exec_lo, s7
	s_and_saveexec_b32 s6, s5
	s_cbranch_execnz .LBB974_234
.LBB974_197:
	s_or_b32 exec_lo, exec_lo, s6
	s_and_saveexec_b32 s5, s4
	s_cbranch_execz .LBB974_235
.LBB974_198:
	v_sub_nc_u32_e32 v7, v36, v5
	s_delay_alu instid0(VALU_DEP_1)
	v_lshlrev_b32_e32 v7, 1, v7
	ds_store_b16 v7, v37
	s_or_b32 exec_lo, exec_lo, s5
	s_and_saveexec_b32 s4, s3
	s_cbranch_execnz .LBB974_236
.LBB974_199:
	s_or_b32 exec_lo, exec_lo, s4
	s_and_saveexec_b32 s3, s2
	s_cbranch_execz .LBB974_237
.LBB974_200:
	v_sub_nc_u32_e32 v7, v34, v5
	s_delay_alu instid0(VALU_DEP_1)
	v_lshlrev_b32_e32 v7, 1, v7
	ds_store_b16 v7, v35
	s_or_b32 exec_lo, exec_lo, s3
	s_and_saveexec_b32 s2, s1
	s_cbranch_execnz .LBB974_238
	s_branch .LBB974_239
.LBB974_201:
	s_and_not1_saveexec_b32 s15, s15
	s_cbranch_execz .LBB974_221
.LBB974_202:
	v_sub_nc_u32_e32 v13, v48, v5
	v_mov_b32_e32 v14, 0
	s_or_b32 s17, s17, exec_lo
	s_delay_alu instid0(VALU_DEP_1) | instskip(SKIP_1) | instid1(VALU_DEP_1)
	v_lshlrev_b64 v[15:16], 1, v[13:14]
	v_sub_nc_u32_e32 v13, v42, v5
	v_lshlrev_b64 v[17:18], 1, v[13:14]
	v_sub_nc_u32_e32 v13, v44, v5
	s_delay_alu instid0(VALU_DEP_4) | instskip(SKIP_1) | instid1(VALU_DEP_3)
	v_add_co_u32 v15, vcc_lo, v11, v15
	v_add_co_ci_u32_e32 v16, vcc_lo, v12, v16, vcc_lo
	v_lshlrev_b64 v[52:53], 1, v[13:14]
	v_sub_nc_u32_e32 v13, v40, v5
	v_add_co_u32 v17, vcc_lo, v11, v17
	v_add_co_ci_u32_e32 v18, vcc_lo, v12, v18, vcc_lo
	global_store_b16 v[15:16], v49, off
	v_lshlrev_b64 v[15:16], 1, v[13:14]
	v_sub_nc_u32_e32 v13, v28, v5
	global_store_b16 v[17:18], v43, off
	v_add_co_u32 v17, vcc_lo, v11, v52
	v_add_co_ci_u32_e32 v18, vcc_lo, v12, v53, vcc_lo
	v_lshlrev_b64 v[52:53], 1, v[13:14]
	v_sub_nc_u32_e32 v13, v24, v5
	v_add_co_u32 v15, vcc_lo, v11, v15
	v_add_co_ci_u32_e32 v16, vcc_lo, v12, v16, vcc_lo
	s_delay_alu instid0(VALU_DEP_3) | instskip(SKIP_3) | instid1(VALU_DEP_3)
	v_lshlrev_b64 v[54:55], 1, v[13:14]
	v_sub_nc_u32_e32 v13, v26, v5
	v_add_co_u32 v52, vcc_lo, v11, v52
	v_add_co_ci_u32_e32 v53, vcc_lo, v12, v53, vcc_lo
	v_lshlrev_b64 v[56:57], 1, v[13:14]
	v_sub_nc_u32_e32 v13, v46, v5
	v_add_co_u32 v54, vcc_lo, v11, v54
	v_add_co_ci_u32_e32 v55, vcc_lo, v12, v55, vcc_lo
	s_clause 0x3
	global_store_b16 v[17:18], v45, off
	global_store_b16 v[15:16], v41, off
	;; [unrolled: 1-line block ×4, first 2 shown]
	v_lshlrev_b64 v[15:16], 1, v[13:14]
	v_sub_nc_u32_e32 v13, v50, v5
	v_add_co_u32 v17, vcc_lo, v11, v56
	v_add_co_ci_u32_e32 v18, vcc_lo, v12, v57, vcc_lo
	s_delay_alu instid0(VALU_DEP_3) | instskip(SKIP_3) | instid1(VALU_DEP_3)
	v_lshlrev_b64 v[52:53], 1, v[13:14]
	v_sub_nc_u32_e32 v13, v38, v5
	v_add_co_u32 v15, vcc_lo, v11, v15
	v_add_co_ci_u32_e32 v16, vcc_lo, v12, v16, vcc_lo
	v_lshlrev_b64 v[54:55], 1, v[13:14]
	v_sub_nc_u32_e32 v13, v36, v5
	v_add_co_u32 v52, vcc_lo, v11, v52
	v_add_co_ci_u32_e32 v53, vcc_lo, v12, v53, vcc_lo
	s_delay_alu instid0(VALU_DEP_3)
	v_lshlrev_b64 v[56:57], 1, v[13:14]
	v_sub_nc_u32_e32 v13, v30, v5
	v_add_co_u32 v54, vcc_lo, v11, v54
	v_add_co_ci_u32_e32 v55, vcc_lo, v12, v55, vcc_lo
	s_clause 0x3
	global_store_b16 v[17:18], v27, off
	global_store_b16 v[15:16], v47, off
	;; [unrolled: 1-line block ×4, first 2 shown]
	v_lshlrev_b64 v[15:16], 1, v[13:14]
	v_sub_nc_u32_e32 v13, v34, v5
	v_add_co_u32 v17, vcc_lo, v11, v56
	v_add_co_ci_u32_e32 v18, vcc_lo, v12, v57, vcc_lo
	s_delay_alu instid0(VALU_DEP_3) | instskip(SKIP_3) | instid1(VALU_DEP_3)
	v_lshlrev_b64 v[52:53], 1, v[13:14]
	v_sub_nc_u32_e32 v13, v32, v5
	v_add_co_u32 v15, vcc_lo, v11, v15
	v_add_co_ci_u32_e32 v16, vcc_lo, v12, v16, vcc_lo
	v_lshlrev_b64 v[13:14], 1, v[13:14]
	v_add_co_u32 v52, vcc_lo, v11, v52
	v_add_co_ci_u32_e32 v53, vcc_lo, v12, v53, vcc_lo
	s_clause 0x2
	global_store_b16 v[17:18], v37, off
	global_store_b16 v[15:16], v31, off
	;; [unrolled: 1-line block ×3, first 2 shown]
	v_add_co_u32 v13, vcc_lo, v11, v13
	v_add_co_ci_u32_e32 v14, vcc_lo, v12, v14, vcc_lo
	global_store_b16 v[13:14], v33, off
	s_or_b32 exec_lo, exec_lo, s15
	s_delay_alu instid0(SALU_CYCLE_1)
	s_and_b32 exec_lo, exec_lo, s17
	s_cbranch_execnz .LBB974_222
	s_branch .LBB974_223
.LBB974_203:
	s_and_not1_saveexec_b32 s0, s16
	s_cbranch_execz .LBB974_240
.LBB974_204:
	v_sub_nc_u32_e32 v7, v48, v5
	v_sub_nc_u32_e32 v8, v42, v5
	v_sub_nc_u32_e32 v13, v44, v5
	v_sub_nc_u32_e32 v14, v40, v5
	v_sub_nc_u32_e32 v15, v50, v5
	v_lshlrev_b32_e32 v7, 1, v7
	v_lshlrev_b32_e32 v8, 1, v8
	;; [unrolled: 1-line block ×4, first 2 shown]
	s_or_b32 s17, s17, exec_lo
	ds_store_b16 v7, v49
	ds_store_b16 v8, v43
	;; [unrolled: 1-line block ×3, first 2 shown]
	v_sub_nc_u32_e32 v7, v28, v5
	v_sub_nc_u32_e32 v8, v24, v5
	;; [unrolled: 1-line block ×3, first 2 shown]
	ds_store_b16 v14, v41
	v_sub_nc_u32_e32 v14, v46, v5
	v_lshlrev_b32_e32 v7, 1, v7
	v_lshlrev_b32_e32 v8, 1, v8
	;; [unrolled: 1-line block ×3, first 2 shown]
	s_delay_alu instid0(VALU_DEP_4)
	v_lshlrev_b32_e32 v14, 1, v14
	ds_store_b16 v7, v29
	v_lshlrev_b32_e32 v7, 1, v15
	ds_store_b16 v8, v25
	ds_store_b16 v13, v27
	;; [unrolled: 1-line block ×3, first 2 shown]
	v_sub_nc_u32_e32 v8, v38, v5
	v_sub_nc_u32_e32 v15, v32, v5
	;; [unrolled: 1-line block ×3, first 2 shown]
	ds_store_b16 v7, v51
	v_sub_nc_u32_e32 v7, v36, v5
	v_lshlrev_b32_e32 v8, 1, v8
	v_sub_nc_u32_e32 v14, v34, v5
	v_lshlrev_b32_e32 v13, 1, v13
	s_delay_alu instid0(VALU_DEP_4)
	v_lshlrev_b32_e32 v7, 1, v7
	ds_store_b16 v8, v39
	v_lshlrev_b32_e32 v8, 1, v15
	v_lshlrev_b32_e32 v14, 1, v14
	ds_store_b16 v7, v37
	ds_store_b16 v13, v31
	;; [unrolled: 1-line block ×4, first 2 shown]
	s_or_b32 exec_lo, exec_lo, s0
	s_delay_alu instid0(SALU_CYCLE_1)
	s_and_b32 exec_lo, exec_lo, s17
	s_cbranch_execnz .LBB974_241
	s_branch .LBB974_242
.LBB974_205:
	s_or_b32 exec_lo, exec_lo, s2
	v_mov_b32_e32 v83, s1
	s_and_saveexec_b32 s1, s41
	s_cbranch_execnz .LBB974_72
	s_branch .LBB974_73
.LBB974_206:
	s_or_b32 exec_lo, exec_lo, s17
	s_and_saveexec_b32 s17, s13
	s_cbranch_execz .LBB974_172
.LBB974_207:
	v_sub_nc_u32_e32 v13, v42, v5
	v_mov_b32_e32 v14, 0
	s_delay_alu instid0(VALU_DEP_1) | instskip(NEXT) | instid1(VALU_DEP_1)
	v_lshlrev_b64 v[13:14], 1, v[13:14]
	v_add_co_u32 v13, vcc_lo, v11, v13
	s_delay_alu instid0(VALU_DEP_2)
	v_add_co_ci_u32_e32 v14, vcc_lo, v12, v14, vcc_lo
	global_store_b16 v[13:14], v43, off
	s_or_b32 exec_lo, exec_lo, s17
	s_and_saveexec_b32 s17, s12
	s_cbranch_execnz .LBB974_173
.LBB974_208:
	s_or_b32 exec_lo, exec_lo, s17
	s_and_saveexec_b32 s17, s11
	s_cbranch_execz .LBB974_174
.LBB974_209:
	v_sub_nc_u32_e32 v13, v40, v5
	v_mov_b32_e32 v14, 0
	s_delay_alu instid0(VALU_DEP_1) | instskip(NEXT) | instid1(VALU_DEP_1)
	v_lshlrev_b64 v[13:14], 1, v[13:14]
	v_add_co_u32 v13, vcc_lo, v11, v13
	s_delay_alu instid0(VALU_DEP_2)
	v_add_co_ci_u32_e32 v14, vcc_lo, v12, v14, vcc_lo
	global_store_b16 v[13:14], v41, off
	s_or_b32 exec_lo, exec_lo, s17
	s_and_saveexec_b32 s17, s10
	s_cbranch_execnz .LBB974_175
.LBB974_210:
	s_or_b32 exec_lo, exec_lo, s17
	s_and_saveexec_b32 s17, s9
	s_cbranch_execz .LBB974_176
.LBB974_211:
	v_sub_nc_u32_e32 v13, v24, v5
	v_mov_b32_e32 v14, 0
	s_delay_alu instid0(VALU_DEP_1) | instskip(NEXT) | instid1(VALU_DEP_1)
	v_lshlrev_b64 v[13:14], 1, v[13:14]
	v_add_co_u32 v13, vcc_lo, v11, v13
	s_delay_alu instid0(VALU_DEP_2)
	v_add_co_ci_u32_e32 v14, vcc_lo, v12, v14, vcc_lo
	global_store_b16 v[13:14], v25, off
	s_or_b32 exec_lo, exec_lo, s17
	s_and_saveexec_b32 s17, s8
	s_cbranch_execnz .LBB974_177
.LBB974_212:
	s_or_b32 exec_lo, exec_lo, s17
	s_and_saveexec_b32 s17, s7
	s_cbranch_execz .LBB974_178
.LBB974_213:
	v_sub_nc_u32_e32 v13, v46, v5
	v_mov_b32_e32 v14, 0
	s_delay_alu instid0(VALU_DEP_1) | instskip(NEXT) | instid1(VALU_DEP_1)
	v_lshlrev_b64 v[13:14], 1, v[13:14]
	v_add_co_u32 v13, vcc_lo, v11, v13
	s_delay_alu instid0(VALU_DEP_2)
	v_add_co_ci_u32_e32 v14, vcc_lo, v12, v14, vcc_lo
	global_store_b16 v[13:14], v47, off
	s_or_b32 exec_lo, exec_lo, s17
	s_and_saveexec_b32 s17, s6
	s_cbranch_execnz .LBB974_179
.LBB974_214:
	s_or_b32 exec_lo, exec_lo, s17
	s_and_saveexec_b32 s17, s5
	s_cbranch_execz .LBB974_180
.LBB974_215:
	v_sub_nc_u32_e32 v13, v38, v5
	v_mov_b32_e32 v14, 0
	s_delay_alu instid0(VALU_DEP_1) | instskip(NEXT) | instid1(VALU_DEP_1)
	v_lshlrev_b64 v[13:14], 1, v[13:14]
	v_add_co_u32 v13, vcc_lo, v11, v13
	s_delay_alu instid0(VALU_DEP_2)
	v_add_co_ci_u32_e32 v14, vcc_lo, v12, v14, vcc_lo
	global_store_b16 v[13:14], v39, off
	s_or_b32 exec_lo, exec_lo, s17
	s_and_saveexec_b32 s17, s4
	s_cbranch_execnz .LBB974_181
.LBB974_216:
	s_or_b32 exec_lo, exec_lo, s17
	s_and_saveexec_b32 s17, s3
	s_cbranch_execz .LBB974_182
.LBB974_217:
	v_sub_nc_u32_e32 v13, v30, v5
	v_mov_b32_e32 v14, 0
	s_delay_alu instid0(VALU_DEP_1) | instskip(NEXT) | instid1(VALU_DEP_1)
	v_lshlrev_b64 v[13:14], 1, v[13:14]
	v_add_co_u32 v13, vcc_lo, v11, v13
	s_delay_alu instid0(VALU_DEP_2)
	v_add_co_ci_u32_e32 v14, vcc_lo, v12, v14, vcc_lo
	global_store_b16 v[13:14], v31, off
	s_or_b32 exec_lo, exec_lo, s17
	s_and_saveexec_b32 s17, s2
	s_cbranch_execnz .LBB974_183
.LBB974_218:
	s_or_b32 exec_lo, exec_lo, s17
	s_and_saveexec_b32 s17, s1
	s_cbranch_execz .LBB974_220
.LBB974_219:
	v_sub_nc_u32_e32 v13, v32, v5
	v_mov_b32_e32 v14, 0
	s_delay_alu instid0(VALU_DEP_1) | instskip(NEXT) | instid1(VALU_DEP_1)
	v_lshlrev_b64 v[13:14], 1, v[13:14]
	v_add_co_u32 v13, vcc_lo, v11, v13
	s_delay_alu instid0(VALU_DEP_2)
	v_add_co_ci_u32_e32 v14, vcc_lo, v12, v14, vcc_lo
	global_store_b16 v[13:14], v33, off
.LBB974_220:
	s_or_b32 exec_lo, exec_lo, s17
	s_delay_alu instid0(SALU_CYCLE_1)
	s_and_b32 s17, s0, exec_lo
	s_and_not1_saveexec_b32 s15, s15
	s_cbranch_execnz .LBB974_202
.LBB974_221:
	s_or_b32 exec_lo, exec_lo, s15
	s_delay_alu instid0(SALU_CYCLE_1)
	s_and_b32 exec_lo, exec_lo, s17
	s_cbranch_execz .LBB974_223
.LBB974_222:
	v_sub_nc_u32_e32 v13, v22, v5
	v_mov_b32_e32 v14, 0
	s_delay_alu instid0(VALU_DEP_1) | instskip(NEXT) | instid1(VALU_DEP_1)
	v_lshlrev_b64 v[13:14], 1, v[13:14]
	v_add_co_u32 v13, vcc_lo, v11, v13
	s_delay_alu instid0(VALU_DEP_2)
	v_add_co_ci_u32_e32 v14, vcc_lo, v12, v14, vcc_lo
	global_store_b16 v[13:14], v23, off
.LBB974_223:
	s_or_b32 exec_lo, exec_lo, s16
.LBB974_224:
	v_cmp_eq_u32_e32 vcc_lo, 0xff, v0
	s_and_b32 s0, vcc_lo, s23
	s_delay_alu instid0(SALU_CYCLE_1)
	s_and_saveexec_b32 s1, s0
	s_cbranch_execnz .LBB974_258
	s_branch .LBB974_260
.LBB974_225:
	s_or_b32 exec_lo, exec_lo, s17
	s_and_saveexec_b32 s14, s13
	s_cbranch_execz .LBB974_189
.LBB974_226:
	v_sub_nc_u32_e32 v7, v42, v5
	s_delay_alu instid0(VALU_DEP_1)
	v_lshlrev_b32_e32 v7, 1, v7
	ds_store_b16 v7, v43
	s_or_b32 exec_lo, exec_lo, s14
	s_and_saveexec_b32 s13, s12
	s_cbranch_execnz .LBB974_190
.LBB974_227:
	s_or_b32 exec_lo, exec_lo, s13
	s_and_saveexec_b32 s12, s11
	s_cbranch_execz .LBB974_191
.LBB974_228:
	v_sub_nc_u32_e32 v7, v40, v5
	s_delay_alu instid0(VALU_DEP_1)
	v_lshlrev_b32_e32 v7, 1, v7
	ds_store_b16 v7, v41
	s_or_b32 exec_lo, exec_lo, s12
	s_and_saveexec_b32 s11, s10
	s_cbranch_execnz .LBB974_192
.LBB974_229:
	s_or_b32 exec_lo, exec_lo, s11
	s_and_saveexec_b32 s10, s9
	s_cbranch_execz .LBB974_193
.LBB974_230:
	v_sub_nc_u32_e32 v7, v24, v5
	s_delay_alu instid0(VALU_DEP_1)
	v_lshlrev_b32_e32 v7, 1, v7
	ds_store_b16 v7, v25
	s_or_b32 exec_lo, exec_lo, s10
	s_and_saveexec_b32 s9, s8
	s_cbranch_execnz .LBB974_194
.LBB974_231:
	s_or_b32 exec_lo, exec_lo, s9
	s_and_saveexec_b32 s8, s7
	s_cbranch_execz .LBB974_195
.LBB974_232:
	v_sub_nc_u32_e32 v7, v46, v5
	s_delay_alu instid0(VALU_DEP_1)
	v_lshlrev_b32_e32 v7, 1, v7
	ds_store_b16 v7, v47
	s_or_b32 exec_lo, exec_lo, s8
	s_and_saveexec_b32 s7, s6
	s_cbranch_execnz .LBB974_196
.LBB974_233:
	s_or_b32 exec_lo, exec_lo, s7
	s_and_saveexec_b32 s6, s5
	s_cbranch_execz .LBB974_197
.LBB974_234:
	v_sub_nc_u32_e32 v7, v38, v5
	s_delay_alu instid0(VALU_DEP_1)
	v_lshlrev_b32_e32 v7, 1, v7
	ds_store_b16 v7, v39
	s_or_b32 exec_lo, exec_lo, s6
	s_and_saveexec_b32 s5, s4
	s_cbranch_execnz .LBB974_198
.LBB974_235:
	s_or_b32 exec_lo, exec_lo, s5
	s_and_saveexec_b32 s4, s3
	s_cbranch_execz .LBB974_199
.LBB974_236:
	v_sub_nc_u32_e32 v7, v30, v5
	s_delay_alu instid0(VALU_DEP_1)
	v_lshlrev_b32_e32 v7, 1, v7
	ds_store_b16 v7, v31
	s_or_b32 exec_lo, exec_lo, s4
	s_and_saveexec_b32 s3, s2
	s_cbranch_execnz .LBB974_200
.LBB974_237:
	s_or_b32 exec_lo, exec_lo, s3
	s_and_saveexec_b32 s2, s1
	s_cbranch_execz .LBB974_239
.LBB974_238:
	v_sub_nc_u32_e32 v7, v32, v5
	s_delay_alu instid0(VALU_DEP_1)
	v_lshlrev_b32_e32 v7, 1, v7
	ds_store_b16 v7, v33
.LBB974_239:
	s_or_b32 exec_lo, exec_lo, s2
	s_delay_alu instid0(SALU_CYCLE_1)
	s_and_b32 s17, s0, exec_lo
                                        ; implicit-def: $vgpr48_vgpr49
                                        ; implicit-def: $vgpr42_vgpr43
                                        ; implicit-def: $vgpr44_vgpr45
                                        ; implicit-def: $vgpr40_vgpr41
                                        ; implicit-def: $vgpr28_vgpr29
                                        ; implicit-def: $vgpr24_vgpr25
                                        ; implicit-def: $vgpr26_vgpr27
                                        ; implicit-def: $vgpr46_vgpr47
                                        ; implicit-def: $vgpr50_vgpr51
                                        ; implicit-def: $vgpr38_vgpr39
                                        ; implicit-def: $vgpr36_vgpr37
                                        ; implicit-def: $vgpr30_vgpr31
                                        ; implicit-def: $vgpr34_vgpr35
                                        ; implicit-def: $vgpr32_vgpr33
	s_and_not1_saveexec_b32 s0, s16
	s_cbranch_execnz .LBB974_204
.LBB974_240:
	s_or_b32 exec_lo, exec_lo, s0
	s_delay_alu instid0(SALU_CYCLE_1)
	s_and_b32 exec_lo, exec_lo, s17
	s_cbranch_execz .LBB974_242
.LBB974_241:
	v_sub_nc_u32_e32 v5, v22, v5
	s_delay_alu instid0(VALU_DEP_1)
	v_lshlrev_b32_e32 v5, 1, v5
	ds_store_b16 v5, v23
.LBB974_242:
	s_or_b32 exec_lo, exec_lo, s15
	s_delay_alu instid0(SALU_CYCLE_1)
	s_mov_b32 s1, exec_lo
	s_waitcnt lgkmcnt(0)
	s_waitcnt_vscnt null, 0x0
	s_barrier
	buffer_gl0_inv
	v_cmpx_lt_u32_e64 v0, v3
	s_cbranch_execz .LBB974_257
; %bb.243:
	v_add_nc_u32_e32 v7, v2, v6
	s_mov_b32 s0, -1
	s_mov_b32 s3, exec_lo
	s_delay_alu instid0(VALU_DEP_1) | instskip(NEXT) | instid1(VALU_DEP_1)
	v_xad_u32 v5, v0, -1, v7
	v_sub_nc_u32_e32 v6, v5, v1
	v_mov_b32_e32 v5, v0
	s_delay_alu instid0(VALU_DEP_2)
	v_cmp_gt_u32_e64 s2, 0x1b00, v6
	v_cmpx_lt_u32_e32 0x1aff, v6
	s_cbranch_execz .LBB974_254
; %bb.244:
	v_sub_nc_u32_e32 v5, v0, v7
	s_mov_b32 s4, exec_lo
	s_delay_alu instid0(VALU_DEP_1) | instskip(SKIP_1) | instid1(VALU_DEP_2)
	v_add_nc_u32_e32 v1, v5, v1
	v_mov_b32_e32 v5, v0
	v_or_b32_e32 v1, 0xff, v1
	s_delay_alu instid0(VALU_DEP_1)
	v_cmpx_ge_u32_e64 v1, v0
	s_cbranch_execz .LBB974_253
; %bb.245:
	v_lshrrev_b32_e32 v13, 8, v6
	v_or_b32_e32 v1, 0x100, v0
	v_lshlrev_b32_e32 v14, 1, v0
	s_delay_alu instid0(VALU_DEP_3) | instskip(NEXT) | instid1(VALU_DEP_1)
	v_dual_mov_b32 v18, 0 :: v_dual_add_nc_u32 v5, -1, v13
	v_lshrrev_b32_e32 v6, 1, v5
	v_cmp_lt_u32_e32 vcc_lo, 13, v5
	s_delay_alu instid0(VALU_DEP_2)
	v_dual_mov_b32 v6, v1 :: v_dual_add_nc_u32 v15, 1, v6
	v_mov_b32_e32 v5, v0
	s_and_saveexec_b32 s0, vcc_lo
	s_cbranch_execz .LBB974_249
; %bb.246:
	v_mov_b32_e32 v6, v1
	v_dual_mov_b32 v17, v14 :: v_dual_and_b32 v16, -8, v15
	v_dual_mov_b32 v8, 0 :: v_dual_mov_b32 v5, v0
	s_mov_b32 s5, 0
	s_mov_b32 s6, 0
.LBB974_247:                            ; =>This Inner Loop Header: Depth=1
	s_delay_alu instid0(VALU_DEP_1) | instskip(NEXT) | instid1(VALU_DEP_2)
	v_dual_mov_b32 v7, v5 :: v_dual_add_nc_u32 v22, 0x200, v6
	v_dual_mov_b32 v35, v8 :: v_dual_add_nc_u32 v16, -8, v16
	v_dual_mov_b32 v23, v8 :: v_dual_add_nc_u32 v24, 0x400, v6
	s_delay_alu instid0(VALU_DEP_3) | instskip(SKIP_1) | instid1(VALU_DEP_4)
	v_lshlrev_b64 v[36:37], 1, v[7:8]
	v_dual_mov_b32 v25, v8 :: v_dual_add_nc_u32 v26, 0x600, v6
	v_cmp_eq_u32_e32 vcc_lo, 0, v16
	s_delay_alu instid0(VALU_DEP_4)
	v_lshlrev_b64 v[22:23], 1, v[22:23]
	v_dual_mov_b32 v27, v8 :: v_dual_add_nc_u32 v28, 0x800, v6
	s_add_i32 s6, s6, 16
	v_lshlrev_b64 v[24:25], 1, v[24:25]
	s_or_b32 s5, vcc_lo, s5
	v_add_co_u32 v36, vcc_lo, v11, v36
	v_dual_mov_b32 v29, v8 :: v_dual_add_nc_u32 v30, 0xa00, v6
	v_add_co_ci_u32_e32 v37, vcc_lo, v12, v37, vcc_lo
	v_lshlrev_b64 v[26:27], 1, v[26:27]
	v_add_co_u32 v22, vcc_lo, v11, v22
	v_dual_mov_b32 v31, v8 :: v_dual_add_nc_u32 v32, 0xc00, v6
	v_add_co_ci_u32_e32 v23, vcc_lo, v12, v23, vcc_lo
	v_lshlrev_b64 v[28:29], 1, v[28:29]
	v_add_co_u32 v24, vcc_lo, v11, v24
	v_dual_mov_b32 v33, v8 :: v_dual_add_nc_u32 v34, 0xe00, v6
	v_add_co_ci_u32_e32 v25, vcc_lo, v12, v25, vcc_lo
	v_lshlrev_b64 v[30:31], 1, v[30:31]
	v_add_co_u32 v26, vcc_lo, v11, v26
	v_dual_mov_b32 v7, v6 :: v_dual_add_nc_u32 v6, 0x1000, v6
	v_add_co_ci_u32_e32 v27, vcc_lo, v12, v27, vcc_lo
	v_lshlrev_b64 v[32:33], 1, v[32:33]
	v_add_co_u32 v28, vcc_lo, v11, v28
	ds_load_u16 v1, v17
	ds_load_u16 v19, v17 offset:512
	ds_load_u16 v42, v17 offset:1024
	ds_load_u16 v43, v17 offset:1536
	ds_load_u16 v44, v17 offset:2048
	ds_load_u16 v45, v17 offset:2560
	ds_load_u16 v46, v17 offset:3072
	ds_load_u16 v47, v17 offset:3584
	v_add_co_ci_u32_e32 v29, vcc_lo, v12, v29, vcc_lo
	v_lshlrev_b64 v[34:35], 1, v[34:35]
	v_add_co_u32 v30, vcc_lo, v11, v30
	v_lshlrev_b64 v[38:39], 1, v[7:8]
	v_add_nc_u32_e32 v7, 0x200, v5
	v_add_co_ci_u32_e32 v31, vcc_lo, v12, v31, vcc_lo
	v_add_co_u32 v32, vcc_lo, v11, v32
	v_add_co_ci_u32_e32 v33, vcc_lo, v12, v33, vcc_lo
	v_add_co_u32 v34, vcc_lo, v11, v34
	v_lshlrev_b64 v[40:41], 1, v[7:8]
	v_add_nc_u32_e32 v7, 0x400, v5
	v_add_co_ci_u32_e32 v35, vcc_lo, v12, v35, vcc_lo
	v_add_co_u32 v38, vcc_lo, v11, v38
	ds_load_u16 v48, v17 offset:4096
	ds_load_u16 v49, v17 offset:4608
	;; [unrolled: 1-line block ×8, first 2 shown]
	v_add_co_ci_u32_e32 v39, vcc_lo, v12, v39, vcc_lo
	s_waitcnt lgkmcnt(15)
	global_store_b16 v[36:37], v1, off
	v_lshlrev_b64 v[36:37], 1, v[7:8]
	v_add_nc_u32_e32 v7, 0x600, v5
	v_add_co_u32 v40, vcc_lo, v11, v40
	v_add_co_ci_u32_e32 v41, vcc_lo, v12, v41, vcc_lo
	s_waitcnt lgkmcnt(14)
	global_store_b16 v[38:39], v19, off
	v_lshlrev_b64 v[38:39], 1, v[7:8]
	v_add_nc_u32_e32 v7, 0x800, v5
	s_waitcnt lgkmcnt(13)
	global_store_b16 v[40:41], v42, off
	s_waitcnt lgkmcnt(12)
	global_store_b16 v[22:23], v43, off
	v_add_co_u32 v22, vcc_lo, v11, v36
	v_add_co_ci_u32_e32 v23, vcc_lo, v12, v37, vcc_lo
	v_lshlrev_b64 v[36:37], 1, v[7:8]
	v_add_nc_u32_e32 v7, 0xa00, v5
	v_add_co_u32 v38, vcc_lo, v11, v38
	v_add_co_ci_u32_e32 v39, vcc_lo, v12, v39, vcc_lo
	s_waitcnt lgkmcnt(11)
	global_store_b16 v[22:23], v44, off
	s_waitcnt lgkmcnt(10)
	global_store_b16 v[24:25], v45, off
	v_lshlrev_b64 v[22:23], 1, v[7:8]
	v_add_nc_u32_e32 v7, 0xc00, v5
	v_add_co_u32 v24, vcc_lo, v11, v36
	s_waitcnt lgkmcnt(9)
	global_store_b16 v[38:39], v46, off
	s_waitcnt lgkmcnt(8)
	global_store_b16 v[26:27], v47, off
	v_add_co_ci_u32_e32 v25, vcc_lo, v12, v37, vcc_lo
	v_lshlrev_b64 v[26:27], 1, v[7:8]
	v_add_nc_u32_e32 v7, 0xe00, v5
	v_add_co_u32 v22, vcc_lo, v11, v22
	v_add_co_ci_u32_e32 v23, vcc_lo, v12, v23, vcc_lo
	s_waitcnt lgkmcnt(7)
	global_store_b16 v[24:25], v48, off
	s_waitcnt lgkmcnt(6)
	global_store_b16 v[28:29], v49, off
	v_lshlrev_b64 v[24:25], 1, v[7:8]
	v_dual_mov_b32 v18, s6 :: v_dual_add_nc_u32 v17, 0x2000, v17
	s_waitcnt lgkmcnt(5)
	global_store_b16 v[22:23], v50, off
	v_add_co_u32 v22, vcc_lo, v11, v26
	v_add_nc_u32_e32 v5, 0x1000, v5
	v_add_co_ci_u32_e32 v23, vcc_lo, v12, v27, vcc_lo
	v_add_co_u32 v24, vcc_lo, v11, v24
	v_add_co_ci_u32_e32 v25, vcc_lo, v12, v25, vcc_lo
	s_waitcnt lgkmcnt(4)
	global_store_b16 v[30:31], v51, off
	s_waitcnt lgkmcnt(3)
	global_store_b16 v[22:23], v52, off
	;; [unrolled: 2-line block ×5, first 2 shown]
	s_and_not1_b32 exec_lo, exec_lo, s5
	s_cbranch_execnz .LBB974_247
; %bb.248:
	s_or_b32 exec_lo, exec_lo, s5
.LBB974_249:
	s_delay_alu instid0(SALU_CYCLE_1) | instskip(SKIP_3) | instid1(VALU_DEP_1)
	s_or_b32 exec_lo, exec_lo, s0
	v_and_b32_e32 v1, 7, v15
	s_mov_b32 s6, 0
	s_mov_b32 s5, exec_lo
	v_cmpx_ne_u32_e32 0, v1
	s_cbranch_execz .LBB974_252
; %bb.250:
	v_lshl_or_b32 v14, v18, 9, v14
	v_mov_b32_e32 v8, 0
	s_set_inst_prefetch_distance 0x1
	.p2align	6
.LBB974_251:                            ; =>This Inner Loop Header: Depth=1
	v_mov_b32_e32 v7, v5
	ds_load_u16 v19, v14
	ds_load_u16 v22, v14 offset:512
	v_add_nc_u32_e32 v14, 0x400, v14
	v_add_nc_u32_e32 v1, -1, v1
	v_add_nc_u32_e32 v5, 0x200, v5
	v_lshlrev_b64 v[15:16], 1, v[7:8]
	v_dual_mov_b32 v7, v6 :: v_dual_add_nc_u32 v6, 0x200, v6
	s_delay_alu instid0(VALU_DEP_4) | instskip(NEXT) | instid1(VALU_DEP_2)
	v_cmp_eq_u32_e32 vcc_lo, 0, v1
	v_lshlrev_b64 v[17:18], 1, v[7:8]
	s_delay_alu instid0(VALU_DEP_4) | instskip(NEXT) | instid1(VALU_DEP_1)
	v_add_co_u32 v15, s0, v11, v15
	v_add_co_ci_u32_e64 v16, s0, v12, v16, s0
	s_or_b32 s6, vcc_lo, s6
	s_delay_alu instid0(VALU_DEP_3) | instskip(NEXT) | instid1(VALU_DEP_1)
	v_add_co_u32 v17, s0, v11, v17
	v_add_co_ci_u32_e64 v18, s0, v12, v18, s0
	s_waitcnt lgkmcnt(1)
	global_store_b16 v[15:16], v19, off
	s_waitcnt lgkmcnt(0)
	global_store_b16 v[17:18], v22, off
	s_and_not1_b32 exec_lo, exec_lo, s6
	s_cbranch_execnz .LBB974_251
.LBB974_252:
	s_set_inst_prefetch_distance 0x2
	s_or_b32 exec_lo, exec_lo, s5
	v_add_nc_u32_e32 v1, 1, v13
	s_delay_alu instid0(VALU_DEP_1) | instskip(NEXT) | instid1(VALU_DEP_1)
	v_and_b32_e32 v5, 0x1fffffe, v1
	v_cmp_ne_u32_e32 vcc_lo, v1, v5
	v_lshl_or_b32 v5, v5, 8, v0
	s_or_not1_b32 s0, vcc_lo, exec_lo
.LBB974_253:
	s_or_b32 exec_lo, exec_lo, s4
	s_delay_alu instid0(SALU_CYCLE_1) | instskip(SKIP_1) | instid1(SALU_CYCLE_1)
	s_and_not1_b32 s2, s2, exec_lo
	s_and_b32 s0, s0, exec_lo
	s_or_b32 s2, s2, s0
.LBB974_254:
	s_or_b32 exec_lo, exec_lo, s3
	s_delay_alu instid0(VALU_DEP_2) | instid1(SALU_CYCLE_1)
	s_and_b32 exec_lo, exec_lo, s2
	s_cbranch_execz .LBB974_257
; %bb.255:
	v_dual_mov_b32 v6, 0 :: v_dual_lshlrev_b32 v1, 1, v5
	s_mov_b32 s2, 0
	.p2align	6
.LBB974_256:                            ; =>This Inner Loop Header: Depth=1
	ds_load_u16 v13, v1
	v_lshlrev_b64 v[7:8], 1, v[5:6]
	v_add_nc_u32_e32 v5, 0x100, v5
	v_add_nc_u32_e32 v1, 0x200, v1
	s_delay_alu instid0(VALU_DEP_2) | instskip(NEXT) | instid1(VALU_DEP_4)
	v_cmp_ge_u32_e32 vcc_lo, v5, v3
	v_add_co_u32 v7, s0, v11, v7
	s_delay_alu instid0(VALU_DEP_1)
	v_add_co_ci_u32_e64 v8, s0, v12, v8, s0
	s_or_b32 s2, vcc_lo, s2
	s_waitcnt lgkmcnt(0)
	global_store_b16 v[7:8], v13, off
	s_and_not1_b32 exec_lo, exec_lo, s2
	s_cbranch_execnz .LBB974_256
.LBB974_257:
	s_or_b32 exec_lo, exec_lo, s1
	v_cmp_eq_u32_e32 vcc_lo, 0xff, v0
	s_and_b32 s0, vcc_lo, s23
	s_delay_alu instid0(SALU_CYCLE_1)
	s_and_saveexec_b32 s1, s0
	s_cbranch_execz .LBB974_260
.LBB974_258:
	v_add_co_u32 v0, s0, v2, v4
	s_delay_alu instid0(VALU_DEP_1) | instskip(SKIP_1) | instid1(VALU_DEP_3)
	v_add_co_ci_u32_e64 v1, null, 0, 0, s0
	v_mov_b32_e32 v3, 0
	v_add_co_u32 v0, vcc_lo, v0, v20
	s_delay_alu instid0(VALU_DEP_3)
	v_add_co_ci_u32_e32 v1, vcc_lo, v1, v21, vcc_lo
	s_cmpk_lg_i32 s33, 0xf00
	global_store_b64 v3, v[0:1], s[30:31]
	s_cbranch_scc1 .LBB974_260
; %bb.259:
	v_lshlrev_b64 v[0:1], 1, v[2:3]
	s_delay_alu instid0(VALU_DEP_1) | instskip(NEXT) | instid1(VALU_DEP_2)
	v_add_co_u32 v0, vcc_lo, v9, v0
	v_add_co_ci_u32_e32 v1, vcc_lo, v10, v1, vcc_lo
	global_store_b16 v[0:1], v82, off offset:-2
	s_nop 0
	s_sendmsg sendmsg(MSG_DEALLOC_VGPRS)
	s_endpgm
.LBB974_260:
	s_nop 0
	s_sendmsg sendmsg(MSG_DEALLOC_VGPRS)
	s_endpgm
	.section	.rodata,"a",@progbits
	.p2align	6, 0x0
	.amdhsa_kernel _ZN7rocprim17ROCPRIM_400000_NS6detail17trampoline_kernelINS0_14default_configENS1_29reduce_by_key_config_selectorIjtN6thrust23THRUST_200600_302600_NS4plusItEEEEZZNS1_33reduce_by_key_impl_wrapped_configILNS1_25lookback_scan_determinismE0ES3_S9_NS6_6detail15normal_iteratorINS6_10device_ptrIjEEEENSD_INSE_ItEEEENS6_16discard_iteratorINS6_11use_defaultEEESI_PmS8_NS6_8equal_toIjEEEE10hipError_tPvRmT2_T3_mT4_T5_T6_T7_T8_P12ihipStream_tbENKUlT_T0_E_clISt17integral_constantIbLb1EES15_IbLb0EEEEDaS11_S12_EUlS11_E_NS1_11comp_targetILNS1_3genE9ELNS1_11target_archE1100ELNS1_3gpuE3ELNS1_3repE0EEENS1_30default_config_static_selectorELNS0_4arch9wavefront6targetE0EEEvT1_
		.amdhsa_group_segment_fixed_size 15360
		.amdhsa_private_segment_fixed_size 0
		.amdhsa_kernarg_size 128
		.amdhsa_user_sgpr_count 15
		.amdhsa_user_sgpr_dispatch_ptr 0
		.amdhsa_user_sgpr_queue_ptr 0
		.amdhsa_user_sgpr_kernarg_segment_ptr 1
		.amdhsa_user_sgpr_dispatch_id 0
		.amdhsa_user_sgpr_private_segment_size 0
		.amdhsa_wavefront_size32 1
		.amdhsa_uses_dynamic_stack 0
		.amdhsa_enable_private_segment 0
		.amdhsa_system_sgpr_workgroup_id_x 1
		.amdhsa_system_sgpr_workgroup_id_y 0
		.amdhsa_system_sgpr_workgroup_id_z 0
		.amdhsa_system_sgpr_workgroup_info 0
		.amdhsa_system_vgpr_workitem_id 0
		.amdhsa_next_free_vgpr 89
		.amdhsa_next_free_sgpr 44
		.amdhsa_reserve_vcc 1
		.amdhsa_float_round_mode_32 0
		.amdhsa_float_round_mode_16_64 0
		.amdhsa_float_denorm_mode_32 3
		.amdhsa_float_denorm_mode_16_64 3
		.amdhsa_dx10_clamp 1
		.amdhsa_ieee_mode 1
		.amdhsa_fp16_overflow 0
		.amdhsa_workgroup_processor_mode 1
		.amdhsa_memory_ordered 1
		.amdhsa_forward_progress 0
		.amdhsa_shared_vgpr_count 0
		.amdhsa_exception_fp_ieee_invalid_op 0
		.amdhsa_exception_fp_denorm_src 0
		.amdhsa_exception_fp_ieee_div_zero 0
		.amdhsa_exception_fp_ieee_overflow 0
		.amdhsa_exception_fp_ieee_underflow 0
		.amdhsa_exception_fp_ieee_inexact 0
		.amdhsa_exception_int_div_zero 0
	.end_amdhsa_kernel
	.section	.text._ZN7rocprim17ROCPRIM_400000_NS6detail17trampoline_kernelINS0_14default_configENS1_29reduce_by_key_config_selectorIjtN6thrust23THRUST_200600_302600_NS4plusItEEEEZZNS1_33reduce_by_key_impl_wrapped_configILNS1_25lookback_scan_determinismE0ES3_S9_NS6_6detail15normal_iteratorINS6_10device_ptrIjEEEENSD_INSE_ItEEEENS6_16discard_iteratorINS6_11use_defaultEEESI_PmS8_NS6_8equal_toIjEEEE10hipError_tPvRmT2_T3_mT4_T5_T6_T7_T8_P12ihipStream_tbENKUlT_T0_E_clISt17integral_constantIbLb1EES15_IbLb0EEEEDaS11_S12_EUlS11_E_NS1_11comp_targetILNS1_3genE9ELNS1_11target_archE1100ELNS1_3gpuE3ELNS1_3repE0EEENS1_30default_config_static_selectorELNS0_4arch9wavefront6targetE0EEEvT1_,"axG",@progbits,_ZN7rocprim17ROCPRIM_400000_NS6detail17trampoline_kernelINS0_14default_configENS1_29reduce_by_key_config_selectorIjtN6thrust23THRUST_200600_302600_NS4plusItEEEEZZNS1_33reduce_by_key_impl_wrapped_configILNS1_25lookback_scan_determinismE0ES3_S9_NS6_6detail15normal_iteratorINS6_10device_ptrIjEEEENSD_INSE_ItEEEENS6_16discard_iteratorINS6_11use_defaultEEESI_PmS8_NS6_8equal_toIjEEEE10hipError_tPvRmT2_T3_mT4_T5_T6_T7_T8_P12ihipStream_tbENKUlT_T0_E_clISt17integral_constantIbLb1EES15_IbLb0EEEEDaS11_S12_EUlS11_E_NS1_11comp_targetILNS1_3genE9ELNS1_11target_archE1100ELNS1_3gpuE3ELNS1_3repE0EEENS1_30default_config_static_selectorELNS0_4arch9wavefront6targetE0EEEvT1_,comdat
.Lfunc_end974:
	.size	_ZN7rocprim17ROCPRIM_400000_NS6detail17trampoline_kernelINS0_14default_configENS1_29reduce_by_key_config_selectorIjtN6thrust23THRUST_200600_302600_NS4plusItEEEEZZNS1_33reduce_by_key_impl_wrapped_configILNS1_25lookback_scan_determinismE0ES3_S9_NS6_6detail15normal_iteratorINS6_10device_ptrIjEEEENSD_INSE_ItEEEENS6_16discard_iteratorINS6_11use_defaultEEESI_PmS8_NS6_8equal_toIjEEEE10hipError_tPvRmT2_T3_mT4_T5_T6_T7_T8_P12ihipStream_tbENKUlT_T0_E_clISt17integral_constantIbLb1EES15_IbLb0EEEEDaS11_S12_EUlS11_E_NS1_11comp_targetILNS1_3genE9ELNS1_11target_archE1100ELNS1_3gpuE3ELNS1_3repE0EEENS1_30default_config_static_selectorELNS0_4arch9wavefront6targetE0EEEvT1_, .Lfunc_end974-_ZN7rocprim17ROCPRIM_400000_NS6detail17trampoline_kernelINS0_14default_configENS1_29reduce_by_key_config_selectorIjtN6thrust23THRUST_200600_302600_NS4plusItEEEEZZNS1_33reduce_by_key_impl_wrapped_configILNS1_25lookback_scan_determinismE0ES3_S9_NS6_6detail15normal_iteratorINS6_10device_ptrIjEEEENSD_INSE_ItEEEENS6_16discard_iteratorINS6_11use_defaultEEESI_PmS8_NS6_8equal_toIjEEEE10hipError_tPvRmT2_T3_mT4_T5_T6_T7_T8_P12ihipStream_tbENKUlT_T0_E_clISt17integral_constantIbLb1EES15_IbLb0EEEEDaS11_S12_EUlS11_E_NS1_11comp_targetILNS1_3genE9ELNS1_11target_archE1100ELNS1_3gpuE3ELNS1_3repE0EEENS1_30default_config_static_selectorELNS0_4arch9wavefront6targetE0EEEvT1_
                                        ; -- End function
	.section	.AMDGPU.csdata,"",@progbits
; Kernel info:
; codeLenInByte = 18420
; NumSgprs: 46
; NumVgprs: 89
; ScratchSize: 0
; MemoryBound: 0
; FloatMode: 240
; IeeeMode: 1
; LDSByteSize: 15360 bytes/workgroup (compile time only)
; SGPRBlocks: 5
; VGPRBlocks: 11
; NumSGPRsForWavesPerEU: 46
; NumVGPRsForWavesPerEU: 89
; Occupancy: 16
; WaveLimiterHint : 1
; COMPUTE_PGM_RSRC2:SCRATCH_EN: 0
; COMPUTE_PGM_RSRC2:USER_SGPR: 15
; COMPUTE_PGM_RSRC2:TRAP_HANDLER: 0
; COMPUTE_PGM_RSRC2:TGID_X_EN: 1
; COMPUTE_PGM_RSRC2:TGID_Y_EN: 0
; COMPUTE_PGM_RSRC2:TGID_Z_EN: 0
; COMPUTE_PGM_RSRC2:TIDIG_COMP_CNT: 0
	.section	.text._ZN7rocprim17ROCPRIM_400000_NS6detail17trampoline_kernelINS0_14default_configENS1_29reduce_by_key_config_selectorIjtN6thrust23THRUST_200600_302600_NS4plusItEEEEZZNS1_33reduce_by_key_impl_wrapped_configILNS1_25lookback_scan_determinismE0ES3_S9_NS6_6detail15normal_iteratorINS6_10device_ptrIjEEEENSD_INSE_ItEEEENS6_16discard_iteratorINS6_11use_defaultEEESI_PmS8_NS6_8equal_toIjEEEE10hipError_tPvRmT2_T3_mT4_T5_T6_T7_T8_P12ihipStream_tbENKUlT_T0_E_clISt17integral_constantIbLb1EES15_IbLb0EEEEDaS11_S12_EUlS11_E_NS1_11comp_targetILNS1_3genE8ELNS1_11target_archE1030ELNS1_3gpuE2ELNS1_3repE0EEENS1_30default_config_static_selectorELNS0_4arch9wavefront6targetE0EEEvT1_,"axG",@progbits,_ZN7rocprim17ROCPRIM_400000_NS6detail17trampoline_kernelINS0_14default_configENS1_29reduce_by_key_config_selectorIjtN6thrust23THRUST_200600_302600_NS4plusItEEEEZZNS1_33reduce_by_key_impl_wrapped_configILNS1_25lookback_scan_determinismE0ES3_S9_NS6_6detail15normal_iteratorINS6_10device_ptrIjEEEENSD_INSE_ItEEEENS6_16discard_iteratorINS6_11use_defaultEEESI_PmS8_NS6_8equal_toIjEEEE10hipError_tPvRmT2_T3_mT4_T5_T6_T7_T8_P12ihipStream_tbENKUlT_T0_E_clISt17integral_constantIbLb1EES15_IbLb0EEEEDaS11_S12_EUlS11_E_NS1_11comp_targetILNS1_3genE8ELNS1_11target_archE1030ELNS1_3gpuE2ELNS1_3repE0EEENS1_30default_config_static_selectorELNS0_4arch9wavefront6targetE0EEEvT1_,comdat
	.protected	_ZN7rocprim17ROCPRIM_400000_NS6detail17trampoline_kernelINS0_14default_configENS1_29reduce_by_key_config_selectorIjtN6thrust23THRUST_200600_302600_NS4plusItEEEEZZNS1_33reduce_by_key_impl_wrapped_configILNS1_25lookback_scan_determinismE0ES3_S9_NS6_6detail15normal_iteratorINS6_10device_ptrIjEEEENSD_INSE_ItEEEENS6_16discard_iteratorINS6_11use_defaultEEESI_PmS8_NS6_8equal_toIjEEEE10hipError_tPvRmT2_T3_mT4_T5_T6_T7_T8_P12ihipStream_tbENKUlT_T0_E_clISt17integral_constantIbLb1EES15_IbLb0EEEEDaS11_S12_EUlS11_E_NS1_11comp_targetILNS1_3genE8ELNS1_11target_archE1030ELNS1_3gpuE2ELNS1_3repE0EEENS1_30default_config_static_selectorELNS0_4arch9wavefront6targetE0EEEvT1_ ; -- Begin function _ZN7rocprim17ROCPRIM_400000_NS6detail17trampoline_kernelINS0_14default_configENS1_29reduce_by_key_config_selectorIjtN6thrust23THRUST_200600_302600_NS4plusItEEEEZZNS1_33reduce_by_key_impl_wrapped_configILNS1_25lookback_scan_determinismE0ES3_S9_NS6_6detail15normal_iteratorINS6_10device_ptrIjEEEENSD_INSE_ItEEEENS6_16discard_iteratorINS6_11use_defaultEEESI_PmS8_NS6_8equal_toIjEEEE10hipError_tPvRmT2_T3_mT4_T5_T6_T7_T8_P12ihipStream_tbENKUlT_T0_E_clISt17integral_constantIbLb1EES15_IbLb0EEEEDaS11_S12_EUlS11_E_NS1_11comp_targetILNS1_3genE8ELNS1_11target_archE1030ELNS1_3gpuE2ELNS1_3repE0EEENS1_30default_config_static_selectorELNS0_4arch9wavefront6targetE0EEEvT1_
	.globl	_ZN7rocprim17ROCPRIM_400000_NS6detail17trampoline_kernelINS0_14default_configENS1_29reduce_by_key_config_selectorIjtN6thrust23THRUST_200600_302600_NS4plusItEEEEZZNS1_33reduce_by_key_impl_wrapped_configILNS1_25lookback_scan_determinismE0ES3_S9_NS6_6detail15normal_iteratorINS6_10device_ptrIjEEEENSD_INSE_ItEEEENS6_16discard_iteratorINS6_11use_defaultEEESI_PmS8_NS6_8equal_toIjEEEE10hipError_tPvRmT2_T3_mT4_T5_T6_T7_T8_P12ihipStream_tbENKUlT_T0_E_clISt17integral_constantIbLb1EES15_IbLb0EEEEDaS11_S12_EUlS11_E_NS1_11comp_targetILNS1_3genE8ELNS1_11target_archE1030ELNS1_3gpuE2ELNS1_3repE0EEENS1_30default_config_static_selectorELNS0_4arch9wavefront6targetE0EEEvT1_
	.p2align	8
	.type	_ZN7rocprim17ROCPRIM_400000_NS6detail17trampoline_kernelINS0_14default_configENS1_29reduce_by_key_config_selectorIjtN6thrust23THRUST_200600_302600_NS4plusItEEEEZZNS1_33reduce_by_key_impl_wrapped_configILNS1_25lookback_scan_determinismE0ES3_S9_NS6_6detail15normal_iteratorINS6_10device_ptrIjEEEENSD_INSE_ItEEEENS6_16discard_iteratorINS6_11use_defaultEEESI_PmS8_NS6_8equal_toIjEEEE10hipError_tPvRmT2_T3_mT4_T5_T6_T7_T8_P12ihipStream_tbENKUlT_T0_E_clISt17integral_constantIbLb1EES15_IbLb0EEEEDaS11_S12_EUlS11_E_NS1_11comp_targetILNS1_3genE8ELNS1_11target_archE1030ELNS1_3gpuE2ELNS1_3repE0EEENS1_30default_config_static_selectorELNS0_4arch9wavefront6targetE0EEEvT1_,@function
_ZN7rocprim17ROCPRIM_400000_NS6detail17trampoline_kernelINS0_14default_configENS1_29reduce_by_key_config_selectorIjtN6thrust23THRUST_200600_302600_NS4plusItEEEEZZNS1_33reduce_by_key_impl_wrapped_configILNS1_25lookback_scan_determinismE0ES3_S9_NS6_6detail15normal_iteratorINS6_10device_ptrIjEEEENSD_INSE_ItEEEENS6_16discard_iteratorINS6_11use_defaultEEESI_PmS8_NS6_8equal_toIjEEEE10hipError_tPvRmT2_T3_mT4_T5_T6_T7_T8_P12ihipStream_tbENKUlT_T0_E_clISt17integral_constantIbLb1EES15_IbLb0EEEEDaS11_S12_EUlS11_E_NS1_11comp_targetILNS1_3genE8ELNS1_11target_archE1030ELNS1_3gpuE2ELNS1_3repE0EEENS1_30default_config_static_selectorELNS0_4arch9wavefront6targetE0EEEvT1_: ; @_ZN7rocprim17ROCPRIM_400000_NS6detail17trampoline_kernelINS0_14default_configENS1_29reduce_by_key_config_selectorIjtN6thrust23THRUST_200600_302600_NS4plusItEEEEZZNS1_33reduce_by_key_impl_wrapped_configILNS1_25lookback_scan_determinismE0ES3_S9_NS6_6detail15normal_iteratorINS6_10device_ptrIjEEEENSD_INSE_ItEEEENS6_16discard_iteratorINS6_11use_defaultEEESI_PmS8_NS6_8equal_toIjEEEE10hipError_tPvRmT2_T3_mT4_T5_T6_T7_T8_P12ihipStream_tbENKUlT_T0_E_clISt17integral_constantIbLb1EES15_IbLb0EEEEDaS11_S12_EUlS11_E_NS1_11comp_targetILNS1_3genE8ELNS1_11target_archE1030ELNS1_3gpuE2ELNS1_3repE0EEENS1_30default_config_static_selectorELNS0_4arch9wavefront6targetE0EEEvT1_
; %bb.0:
	.section	.rodata,"a",@progbits
	.p2align	6, 0x0
	.amdhsa_kernel _ZN7rocprim17ROCPRIM_400000_NS6detail17trampoline_kernelINS0_14default_configENS1_29reduce_by_key_config_selectorIjtN6thrust23THRUST_200600_302600_NS4plusItEEEEZZNS1_33reduce_by_key_impl_wrapped_configILNS1_25lookback_scan_determinismE0ES3_S9_NS6_6detail15normal_iteratorINS6_10device_ptrIjEEEENSD_INSE_ItEEEENS6_16discard_iteratorINS6_11use_defaultEEESI_PmS8_NS6_8equal_toIjEEEE10hipError_tPvRmT2_T3_mT4_T5_T6_T7_T8_P12ihipStream_tbENKUlT_T0_E_clISt17integral_constantIbLb1EES15_IbLb0EEEEDaS11_S12_EUlS11_E_NS1_11comp_targetILNS1_3genE8ELNS1_11target_archE1030ELNS1_3gpuE2ELNS1_3repE0EEENS1_30default_config_static_selectorELNS0_4arch9wavefront6targetE0EEEvT1_
		.amdhsa_group_segment_fixed_size 0
		.amdhsa_private_segment_fixed_size 0
		.amdhsa_kernarg_size 128
		.amdhsa_user_sgpr_count 15
		.amdhsa_user_sgpr_dispatch_ptr 0
		.amdhsa_user_sgpr_queue_ptr 0
		.amdhsa_user_sgpr_kernarg_segment_ptr 1
		.amdhsa_user_sgpr_dispatch_id 0
		.amdhsa_user_sgpr_private_segment_size 0
		.amdhsa_wavefront_size32 1
		.amdhsa_uses_dynamic_stack 0
		.amdhsa_enable_private_segment 0
		.amdhsa_system_sgpr_workgroup_id_x 1
		.amdhsa_system_sgpr_workgroup_id_y 0
		.amdhsa_system_sgpr_workgroup_id_z 0
		.amdhsa_system_sgpr_workgroup_info 0
		.amdhsa_system_vgpr_workitem_id 0
		.amdhsa_next_free_vgpr 1
		.amdhsa_next_free_sgpr 1
		.amdhsa_reserve_vcc 0
		.amdhsa_float_round_mode_32 0
		.amdhsa_float_round_mode_16_64 0
		.amdhsa_float_denorm_mode_32 3
		.amdhsa_float_denorm_mode_16_64 3
		.amdhsa_dx10_clamp 1
		.amdhsa_ieee_mode 1
		.amdhsa_fp16_overflow 0
		.amdhsa_workgroup_processor_mode 1
		.amdhsa_memory_ordered 1
		.amdhsa_forward_progress 0
		.amdhsa_shared_vgpr_count 0
		.amdhsa_exception_fp_ieee_invalid_op 0
		.amdhsa_exception_fp_denorm_src 0
		.amdhsa_exception_fp_ieee_div_zero 0
		.amdhsa_exception_fp_ieee_overflow 0
		.amdhsa_exception_fp_ieee_underflow 0
		.amdhsa_exception_fp_ieee_inexact 0
		.amdhsa_exception_int_div_zero 0
	.end_amdhsa_kernel
	.section	.text._ZN7rocprim17ROCPRIM_400000_NS6detail17trampoline_kernelINS0_14default_configENS1_29reduce_by_key_config_selectorIjtN6thrust23THRUST_200600_302600_NS4plusItEEEEZZNS1_33reduce_by_key_impl_wrapped_configILNS1_25lookback_scan_determinismE0ES3_S9_NS6_6detail15normal_iteratorINS6_10device_ptrIjEEEENSD_INSE_ItEEEENS6_16discard_iteratorINS6_11use_defaultEEESI_PmS8_NS6_8equal_toIjEEEE10hipError_tPvRmT2_T3_mT4_T5_T6_T7_T8_P12ihipStream_tbENKUlT_T0_E_clISt17integral_constantIbLb1EES15_IbLb0EEEEDaS11_S12_EUlS11_E_NS1_11comp_targetILNS1_3genE8ELNS1_11target_archE1030ELNS1_3gpuE2ELNS1_3repE0EEENS1_30default_config_static_selectorELNS0_4arch9wavefront6targetE0EEEvT1_,"axG",@progbits,_ZN7rocprim17ROCPRIM_400000_NS6detail17trampoline_kernelINS0_14default_configENS1_29reduce_by_key_config_selectorIjtN6thrust23THRUST_200600_302600_NS4plusItEEEEZZNS1_33reduce_by_key_impl_wrapped_configILNS1_25lookback_scan_determinismE0ES3_S9_NS6_6detail15normal_iteratorINS6_10device_ptrIjEEEENSD_INSE_ItEEEENS6_16discard_iteratorINS6_11use_defaultEEESI_PmS8_NS6_8equal_toIjEEEE10hipError_tPvRmT2_T3_mT4_T5_T6_T7_T8_P12ihipStream_tbENKUlT_T0_E_clISt17integral_constantIbLb1EES15_IbLb0EEEEDaS11_S12_EUlS11_E_NS1_11comp_targetILNS1_3genE8ELNS1_11target_archE1030ELNS1_3gpuE2ELNS1_3repE0EEENS1_30default_config_static_selectorELNS0_4arch9wavefront6targetE0EEEvT1_,comdat
.Lfunc_end975:
	.size	_ZN7rocprim17ROCPRIM_400000_NS6detail17trampoline_kernelINS0_14default_configENS1_29reduce_by_key_config_selectorIjtN6thrust23THRUST_200600_302600_NS4plusItEEEEZZNS1_33reduce_by_key_impl_wrapped_configILNS1_25lookback_scan_determinismE0ES3_S9_NS6_6detail15normal_iteratorINS6_10device_ptrIjEEEENSD_INSE_ItEEEENS6_16discard_iteratorINS6_11use_defaultEEESI_PmS8_NS6_8equal_toIjEEEE10hipError_tPvRmT2_T3_mT4_T5_T6_T7_T8_P12ihipStream_tbENKUlT_T0_E_clISt17integral_constantIbLb1EES15_IbLb0EEEEDaS11_S12_EUlS11_E_NS1_11comp_targetILNS1_3genE8ELNS1_11target_archE1030ELNS1_3gpuE2ELNS1_3repE0EEENS1_30default_config_static_selectorELNS0_4arch9wavefront6targetE0EEEvT1_, .Lfunc_end975-_ZN7rocprim17ROCPRIM_400000_NS6detail17trampoline_kernelINS0_14default_configENS1_29reduce_by_key_config_selectorIjtN6thrust23THRUST_200600_302600_NS4plusItEEEEZZNS1_33reduce_by_key_impl_wrapped_configILNS1_25lookback_scan_determinismE0ES3_S9_NS6_6detail15normal_iteratorINS6_10device_ptrIjEEEENSD_INSE_ItEEEENS6_16discard_iteratorINS6_11use_defaultEEESI_PmS8_NS6_8equal_toIjEEEE10hipError_tPvRmT2_T3_mT4_T5_T6_T7_T8_P12ihipStream_tbENKUlT_T0_E_clISt17integral_constantIbLb1EES15_IbLb0EEEEDaS11_S12_EUlS11_E_NS1_11comp_targetILNS1_3genE8ELNS1_11target_archE1030ELNS1_3gpuE2ELNS1_3repE0EEENS1_30default_config_static_selectorELNS0_4arch9wavefront6targetE0EEEvT1_
                                        ; -- End function
	.section	.AMDGPU.csdata,"",@progbits
; Kernel info:
; codeLenInByte = 0
; NumSgprs: 0
; NumVgprs: 0
; ScratchSize: 0
; MemoryBound: 0
; FloatMode: 240
; IeeeMode: 1
; LDSByteSize: 0 bytes/workgroup (compile time only)
; SGPRBlocks: 0
; VGPRBlocks: 0
; NumSGPRsForWavesPerEU: 1
; NumVGPRsForWavesPerEU: 1
; Occupancy: 16
; WaveLimiterHint : 0
; COMPUTE_PGM_RSRC2:SCRATCH_EN: 0
; COMPUTE_PGM_RSRC2:USER_SGPR: 15
; COMPUTE_PGM_RSRC2:TRAP_HANDLER: 0
; COMPUTE_PGM_RSRC2:TGID_X_EN: 1
; COMPUTE_PGM_RSRC2:TGID_Y_EN: 0
; COMPUTE_PGM_RSRC2:TGID_Z_EN: 0
; COMPUTE_PGM_RSRC2:TIDIG_COMP_CNT: 0
	.section	.text._ZN7rocprim17ROCPRIM_400000_NS6detail17trampoline_kernelINS0_14default_configENS1_29reduce_by_key_config_selectorIjtN6thrust23THRUST_200600_302600_NS4plusItEEEEZZNS1_33reduce_by_key_impl_wrapped_configILNS1_25lookback_scan_determinismE0ES3_S9_NS6_6detail15normal_iteratorINS6_10device_ptrIjEEEENSD_INSE_ItEEEENS6_16discard_iteratorINS6_11use_defaultEEESI_PmS8_NS6_8equal_toIjEEEE10hipError_tPvRmT2_T3_mT4_T5_T6_T7_T8_P12ihipStream_tbENKUlT_T0_E_clISt17integral_constantIbLb0EES15_IbLb1EEEEDaS11_S12_EUlS11_E_NS1_11comp_targetILNS1_3genE0ELNS1_11target_archE4294967295ELNS1_3gpuE0ELNS1_3repE0EEENS1_30default_config_static_selectorELNS0_4arch9wavefront6targetE0EEEvT1_,"axG",@progbits,_ZN7rocprim17ROCPRIM_400000_NS6detail17trampoline_kernelINS0_14default_configENS1_29reduce_by_key_config_selectorIjtN6thrust23THRUST_200600_302600_NS4plusItEEEEZZNS1_33reduce_by_key_impl_wrapped_configILNS1_25lookback_scan_determinismE0ES3_S9_NS6_6detail15normal_iteratorINS6_10device_ptrIjEEEENSD_INSE_ItEEEENS6_16discard_iteratorINS6_11use_defaultEEESI_PmS8_NS6_8equal_toIjEEEE10hipError_tPvRmT2_T3_mT4_T5_T6_T7_T8_P12ihipStream_tbENKUlT_T0_E_clISt17integral_constantIbLb0EES15_IbLb1EEEEDaS11_S12_EUlS11_E_NS1_11comp_targetILNS1_3genE0ELNS1_11target_archE4294967295ELNS1_3gpuE0ELNS1_3repE0EEENS1_30default_config_static_selectorELNS0_4arch9wavefront6targetE0EEEvT1_,comdat
	.protected	_ZN7rocprim17ROCPRIM_400000_NS6detail17trampoline_kernelINS0_14default_configENS1_29reduce_by_key_config_selectorIjtN6thrust23THRUST_200600_302600_NS4plusItEEEEZZNS1_33reduce_by_key_impl_wrapped_configILNS1_25lookback_scan_determinismE0ES3_S9_NS6_6detail15normal_iteratorINS6_10device_ptrIjEEEENSD_INSE_ItEEEENS6_16discard_iteratorINS6_11use_defaultEEESI_PmS8_NS6_8equal_toIjEEEE10hipError_tPvRmT2_T3_mT4_T5_T6_T7_T8_P12ihipStream_tbENKUlT_T0_E_clISt17integral_constantIbLb0EES15_IbLb1EEEEDaS11_S12_EUlS11_E_NS1_11comp_targetILNS1_3genE0ELNS1_11target_archE4294967295ELNS1_3gpuE0ELNS1_3repE0EEENS1_30default_config_static_selectorELNS0_4arch9wavefront6targetE0EEEvT1_ ; -- Begin function _ZN7rocprim17ROCPRIM_400000_NS6detail17trampoline_kernelINS0_14default_configENS1_29reduce_by_key_config_selectorIjtN6thrust23THRUST_200600_302600_NS4plusItEEEEZZNS1_33reduce_by_key_impl_wrapped_configILNS1_25lookback_scan_determinismE0ES3_S9_NS6_6detail15normal_iteratorINS6_10device_ptrIjEEEENSD_INSE_ItEEEENS6_16discard_iteratorINS6_11use_defaultEEESI_PmS8_NS6_8equal_toIjEEEE10hipError_tPvRmT2_T3_mT4_T5_T6_T7_T8_P12ihipStream_tbENKUlT_T0_E_clISt17integral_constantIbLb0EES15_IbLb1EEEEDaS11_S12_EUlS11_E_NS1_11comp_targetILNS1_3genE0ELNS1_11target_archE4294967295ELNS1_3gpuE0ELNS1_3repE0EEENS1_30default_config_static_selectorELNS0_4arch9wavefront6targetE0EEEvT1_
	.globl	_ZN7rocprim17ROCPRIM_400000_NS6detail17trampoline_kernelINS0_14default_configENS1_29reduce_by_key_config_selectorIjtN6thrust23THRUST_200600_302600_NS4plusItEEEEZZNS1_33reduce_by_key_impl_wrapped_configILNS1_25lookback_scan_determinismE0ES3_S9_NS6_6detail15normal_iteratorINS6_10device_ptrIjEEEENSD_INSE_ItEEEENS6_16discard_iteratorINS6_11use_defaultEEESI_PmS8_NS6_8equal_toIjEEEE10hipError_tPvRmT2_T3_mT4_T5_T6_T7_T8_P12ihipStream_tbENKUlT_T0_E_clISt17integral_constantIbLb0EES15_IbLb1EEEEDaS11_S12_EUlS11_E_NS1_11comp_targetILNS1_3genE0ELNS1_11target_archE4294967295ELNS1_3gpuE0ELNS1_3repE0EEENS1_30default_config_static_selectorELNS0_4arch9wavefront6targetE0EEEvT1_
	.p2align	8
	.type	_ZN7rocprim17ROCPRIM_400000_NS6detail17trampoline_kernelINS0_14default_configENS1_29reduce_by_key_config_selectorIjtN6thrust23THRUST_200600_302600_NS4plusItEEEEZZNS1_33reduce_by_key_impl_wrapped_configILNS1_25lookback_scan_determinismE0ES3_S9_NS6_6detail15normal_iteratorINS6_10device_ptrIjEEEENSD_INSE_ItEEEENS6_16discard_iteratorINS6_11use_defaultEEESI_PmS8_NS6_8equal_toIjEEEE10hipError_tPvRmT2_T3_mT4_T5_T6_T7_T8_P12ihipStream_tbENKUlT_T0_E_clISt17integral_constantIbLb0EES15_IbLb1EEEEDaS11_S12_EUlS11_E_NS1_11comp_targetILNS1_3genE0ELNS1_11target_archE4294967295ELNS1_3gpuE0ELNS1_3repE0EEENS1_30default_config_static_selectorELNS0_4arch9wavefront6targetE0EEEvT1_,@function
_ZN7rocprim17ROCPRIM_400000_NS6detail17trampoline_kernelINS0_14default_configENS1_29reduce_by_key_config_selectorIjtN6thrust23THRUST_200600_302600_NS4plusItEEEEZZNS1_33reduce_by_key_impl_wrapped_configILNS1_25lookback_scan_determinismE0ES3_S9_NS6_6detail15normal_iteratorINS6_10device_ptrIjEEEENSD_INSE_ItEEEENS6_16discard_iteratorINS6_11use_defaultEEESI_PmS8_NS6_8equal_toIjEEEE10hipError_tPvRmT2_T3_mT4_T5_T6_T7_T8_P12ihipStream_tbENKUlT_T0_E_clISt17integral_constantIbLb0EES15_IbLb1EEEEDaS11_S12_EUlS11_E_NS1_11comp_targetILNS1_3genE0ELNS1_11target_archE4294967295ELNS1_3gpuE0ELNS1_3repE0EEENS1_30default_config_static_selectorELNS0_4arch9wavefront6targetE0EEEvT1_: ; @_ZN7rocprim17ROCPRIM_400000_NS6detail17trampoline_kernelINS0_14default_configENS1_29reduce_by_key_config_selectorIjtN6thrust23THRUST_200600_302600_NS4plusItEEEEZZNS1_33reduce_by_key_impl_wrapped_configILNS1_25lookback_scan_determinismE0ES3_S9_NS6_6detail15normal_iteratorINS6_10device_ptrIjEEEENSD_INSE_ItEEEENS6_16discard_iteratorINS6_11use_defaultEEESI_PmS8_NS6_8equal_toIjEEEE10hipError_tPvRmT2_T3_mT4_T5_T6_T7_T8_P12ihipStream_tbENKUlT_T0_E_clISt17integral_constantIbLb0EES15_IbLb1EEEEDaS11_S12_EUlS11_E_NS1_11comp_targetILNS1_3genE0ELNS1_11target_archE4294967295ELNS1_3gpuE0ELNS1_3repE0EEENS1_30default_config_static_selectorELNS0_4arch9wavefront6targetE0EEEvT1_
; %bb.0:
	.section	.rodata,"a",@progbits
	.p2align	6, 0x0
	.amdhsa_kernel _ZN7rocprim17ROCPRIM_400000_NS6detail17trampoline_kernelINS0_14default_configENS1_29reduce_by_key_config_selectorIjtN6thrust23THRUST_200600_302600_NS4plusItEEEEZZNS1_33reduce_by_key_impl_wrapped_configILNS1_25lookback_scan_determinismE0ES3_S9_NS6_6detail15normal_iteratorINS6_10device_ptrIjEEEENSD_INSE_ItEEEENS6_16discard_iteratorINS6_11use_defaultEEESI_PmS8_NS6_8equal_toIjEEEE10hipError_tPvRmT2_T3_mT4_T5_T6_T7_T8_P12ihipStream_tbENKUlT_T0_E_clISt17integral_constantIbLb0EES15_IbLb1EEEEDaS11_S12_EUlS11_E_NS1_11comp_targetILNS1_3genE0ELNS1_11target_archE4294967295ELNS1_3gpuE0ELNS1_3repE0EEENS1_30default_config_static_selectorELNS0_4arch9wavefront6targetE0EEEvT1_
		.amdhsa_group_segment_fixed_size 0
		.amdhsa_private_segment_fixed_size 0
		.amdhsa_kernarg_size 128
		.amdhsa_user_sgpr_count 15
		.amdhsa_user_sgpr_dispatch_ptr 0
		.amdhsa_user_sgpr_queue_ptr 0
		.amdhsa_user_sgpr_kernarg_segment_ptr 1
		.amdhsa_user_sgpr_dispatch_id 0
		.amdhsa_user_sgpr_private_segment_size 0
		.amdhsa_wavefront_size32 1
		.amdhsa_uses_dynamic_stack 0
		.amdhsa_enable_private_segment 0
		.amdhsa_system_sgpr_workgroup_id_x 1
		.amdhsa_system_sgpr_workgroup_id_y 0
		.amdhsa_system_sgpr_workgroup_id_z 0
		.amdhsa_system_sgpr_workgroup_info 0
		.amdhsa_system_vgpr_workitem_id 0
		.amdhsa_next_free_vgpr 1
		.amdhsa_next_free_sgpr 1
		.amdhsa_reserve_vcc 0
		.amdhsa_float_round_mode_32 0
		.amdhsa_float_round_mode_16_64 0
		.amdhsa_float_denorm_mode_32 3
		.amdhsa_float_denorm_mode_16_64 3
		.amdhsa_dx10_clamp 1
		.amdhsa_ieee_mode 1
		.amdhsa_fp16_overflow 0
		.amdhsa_workgroup_processor_mode 1
		.amdhsa_memory_ordered 1
		.amdhsa_forward_progress 0
		.amdhsa_shared_vgpr_count 0
		.amdhsa_exception_fp_ieee_invalid_op 0
		.amdhsa_exception_fp_denorm_src 0
		.amdhsa_exception_fp_ieee_div_zero 0
		.amdhsa_exception_fp_ieee_overflow 0
		.amdhsa_exception_fp_ieee_underflow 0
		.amdhsa_exception_fp_ieee_inexact 0
		.amdhsa_exception_int_div_zero 0
	.end_amdhsa_kernel
	.section	.text._ZN7rocprim17ROCPRIM_400000_NS6detail17trampoline_kernelINS0_14default_configENS1_29reduce_by_key_config_selectorIjtN6thrust23THRUST_200600_302600_NS4plusItEEEEZZNS1_33reduce_by_key_impl_wrapped_configILNS1_25lookback_scan_determinismE0ES3_S9_NS6_6detail15normal_iteratorINS6_10device_ptrIjEEEENSD_INSE_ItEEEENS6_16discard_iteratorINS6_11use_defaultEEESI_PmS8_NS6_8equal_toIjEEEE10hipError_tPvRmT2_T3_mT4_T5_T6_T7_T8_P12ihipStream_tbENKUlT_T0_E_clISt17integral_constantIbLb0EES15_IbLb1EEEEDaS11_S12_EUlS11_E_NS1_11comp_targetILNS1_3genE0ELNS1_11target_archE4294967295ELNS1_3gpuE0ELNS1_3repE0EEENS1_30default_config_static_selectorELNS0_4arch9wavefront6targetE0EEEvT1_,"axG",@progbits,_ZN7rocprim17ROCPRIM_400000_NS6detail17trampoline_kernelINS0_14default_configENS1_29reduce_by_key_config_selectorIjtN6thrust23THRUST_200600_302600_NS4plusItEEEEZZNS1_33reduce_by_key_impl_wrapped_configILNS1_25lookback_scan_determinismE0ES3_S9_NS6_6detail15normal_iteratorINS6_10device_ptrIjEEEENSD_INSE_ItEEEENS6_16discard_iteratorINS6_11use_defaultEEESI_PmS8_NS6_8equal_toIjEEEE10hipError_tPvRmT2_T3_mT4_T5_T6_T7_T8_P12ihipStream_tbENKUlT_T0_E_clISt17integral_constantIbLb0EES15_IbLb1EEEEDaS11_S12_EUlS11_E_NS1_11comp_targetILNS1_3genE0ELNS1_11target_archE4294967295ELNS1_3gpuE0ELNS1_3repE0EEENS1_30default_config_static_selectorELNS0_4arch9wavefront6targetE0EEEvT1_,comdat
.Lfunc_end976:
	.size	_ZN7rocprim17ROCPRIM_400000_NS6detail17trampoline_kernelINS0_14default_configENS1_29reduce_by_key_config_selectorIjtN6thrust23THRUST_200600_302600_NS4plusItEEEEZZNS1_33reduce_by_key_impl_wrapped_configILNS1_25lookback_scan_determinismE0ES3_S9_NS6_6detail15normal_iteratorINS6_10device_ptrIjEEEENSD_INSE_ItEEEENS6_16discard_iteratorINS6_11use_defaultEEESI_PmS8_NS6_8equal_toIjEEEE10hipError_tPvRmT2_T3_mT4_T5_T6_T7_T8_P12ihipStream_tbENKUlT_T0_E_clISt17integral_constantIbLb0EES15_IbLb1EEEEDaS11_S12_EUlS11_E_NS1_11comp_targetILNS1_3genE0ELNS1_11target_archE4294967295ELNS1_3gpuE0ELNS1_3repE0EEENS1_30default_config_static_selectorELNS0_4arch9wavefront6targetE0EEEvT1_, .Lfunc_end976-_ZN7rocprim17ROCPRIM_400000_NS6detail17trampoline_kernelINS0_14default_configENS1_29reduce_by_key_config_selectorIjtN6thrust23THRUST_200600_302600_NS4plusItEEEEZZNS1_33reduce_by_key_impl_wrapped_configILNS1_25lookback_scan_determinismE0ES3_S9_NS6_6detail15normal_iteratorINS6_10device_ptrIjEEEENSD_INSE_ItEEEENS6_16discard_iteratorINS6_11use_defaultEEESI_PmS8_NS6_8equal_toIjEEEE10hipError_tPvRmT2_T3_mT4_T5_T6_T7_T8_P12ihipStream_tbENKUlT_T0_E_clISt17integral_constantIbLb0EES15_IbLb1EEEEDaS11_S12_EUlS11_E_NS1_11comp_targetILNS1_3genE0ELNS1_11target_archE4294967295ELNS1_3gpuE0ELNS1_3repE0EEENS1_30default_config_static_selectorELNS0_4arch9wavefront6targetE0EEEvT1_
                                        ; -- End function
	.section	.AMDGPU.csdata,"",@progbits
; Kernel info:
; codeLenInByte = 0
; NumSgprs: 0
; NumVgprs: 0
; ScratchSize: 0
; MemoryBound: 0
; FloatMode: 240
; IeeeMode: 1
; LDSByteSize: 0 bytes/workgroup (compile time only)
; SGPRBlocks: 0
; VGPRBlocks: 0
; NumSGPRsForWavesPerEU: 1
; NumVGPRsForWavesPerEU: 1
; Occupancy: 16
; WaveLimiterHint : 0
; COMPUTE_PGM_RSRC2:SCRATCH_EN: 0
; COMPUTE_PGM_RSRC2:USER_SGPR: 15
; COMPUTE_PGM_RSRC2:TRAP_HANDLER: 0
; COMPUTE_PGM_RSRC2:TGID_X_EN: 1
; COMPUTE_PGM_RSRC2:TGID_Y_EN: 0
; COMPUTE_PGM_RSRC2:TGID_Z_EN: 0
; COMPUTE_PGM_RSRC2:TIDIG_COMP_CNT: 0
	.section	.text._ZN7rocprim17ROCPRIM_400000_NS6detail17trampoline_kernelINS0_14default_configENS1_29reduce_by_key_config_selectorIjtN6thrust23THRUST_200600_302600_NS4plusItEEEEZZNS1_33reduce_by_key_impl_wrapped_configILNS1_25lookback_scan_determinismE0ES3_S9_NS6_6detail15normal_iteratorINS6_10device_ptrIjEEEENSD_INSE_ItEEEENS6_16discard_iteratorINS6_11use_defaultEEESI_PmS8_NS6_8equal_toIjEEEE10hipError_tPvRmT2_T3_mT4_T5_T6_T7_T8_P12ihipStream_tbENKUlT_T0_E_clISt17integral_constantIbLb0EES15_IbLb1EEEEDaS11_S12_EUlS11_E_NS1_11comp_targetILNS1_3genE5ELNS1_11target_archE942ELNS1_3gpuE9ELNS1_3repE0EEENS1_30default_config_static_selectorELNS0_4arch9wavefront6targetE0EEEvT1_,"axG",@progbits,_ZN7rocprim17ROCPRIM_400000_NS6detail17trampoline_kernelINS0_14default_configENS1_29reduce_by_key_config_selectorIjtN6thrust23THRUST_200600_302600_NS4plusItEEEEZZNS1_33reduce_by_key_impl_wrapped_configILNS1_25lookback_scan_determinismE0ES3_S9_NS6_6detail15normal_iteratorINS6_10device_ptrIjEEEENSD_INSE_ItEEEENS6_16discard_iteratorINS6_11use_defaultEEESI_PmS8_NS6_8equal_toIjEEEE10hipError_tPvRmT2_T3_mT4_T5_T6_T7_T8_P12ihipStream_tbENKUlT_T0_E_clISt17integral_constantIbLb0EES15_IbLb1EEEEDaS11_S12_EUlS11_E_NS1_11comp_targetILNS1_3genE5ELNS1_11target_archE942ELNS1_3gpuE9ELNS1_3repE0EEENS1_30default_config_static_selectorELNS0_4arch9wavefront6targetE0EEEvT1_,comdat
	.protected	_ZN7rocprim17ROCPRIM_400000_NS6detail17trampoline_kernelINS0_14default_configENS1_29reduce_by_key_config_selectorIjtN6thrust23THRUST_200600_302600_NS4plusItEEEEZZNS1_33reduce_by_key_impl_wrapped_configILNS1_25lookback_scan_determinismE0ES3_S9_NS6_6detail15normal_iteratorINS6_10device_ptrIjEEEENSD_INSE_ItEEEENS6_16discard_iteratorINS6_11use_defaultEEESI_PmS8_NS6_8equal_toIjEEEE10hipError_tPvRmT2_T3_mT4_T5_T6_T7_T8_P12ihipStream_tbENKUlT_T0_E_clISt17integral_constantIbLb0EES15_IbLb1EEEEDaS11_S12_EUlS11_E_NS1_11comp_targetILNS1_3genE5ELNS1_11target_archE942ELNS1_3gpuE9ELNS1_3repE0EEENS1_30default_config_static_selectorELNS0_4arch9wavefront6targetE0EEEvT1_ ; -- Begin function _ZN7rocprim17ROCPRIM_400000_NS6detail17trampoline_kernelINS0_14default_configENS1_29reduce_by_key_config_selectorIjtN6thrust23THRUST_200600_302600_NS4plusItEEEEZZNS1_33reduce_by_key_impl_wrapped_configILNS1_25lookback_scan_determinismE0ES3_S9_NS6_6detail15normal_iteratorINS6_10device_ptrIjEEEENSD_INSE_ItEEEENS6_16discard_iteratorINS6_11use_defaultEEESI_PmS8_NS6_8equal_toIjEEEE10hipError_tPvRmT2_T3_mT4_T5_T6_T7_T8_P12ihipStream_tbENKUlT_T0_E_clISt17integral_constantIbLb0EES15_IbLb1EEEEDaS11_S12_EUlS11_E_NS1_11comp_targetILNS1_3genE5ELNS1_11target_archE942ELNS1_3gpuE9ELNS1_3repE0EEENS1_30default_config_static_selectorELNS0_4arch9wavefront6targetE0EEEvT1_
	.globl	_ZN7rocprim17ROCPRIM_400000_NS6detail17trampoline_kernelINS0_14default_configENS1_29reduce_by_key_config_selectorIjtN6thrust23THRUST_200600_302600_NS4plusItEEEEZZNS1_33reduce_by_key_impl_wrapped_configILNS1_25lookback_scan_determinismE0ES3_S9_NS6_6detail15normal_iteratorINS6_10device_ptrIjEEEENSD_INSE_ItEEEENS6_16discard_iteratorINS6_11use_defaultEEESI_PmS8_NS6_8equal_toIjEEEE10hipError_tPvRmT2_T3_mT4_T5_T6_T7_T8_P12ihipStream_tbENKUlT_T0_E_clISt17integral_constantIbLb0EES15_IbLb1EEEEDaS11_S12_EUlS11_E_NS1_11comp_targetILNS1_3genE5ELNS1_11target_archE942ELNS1_3gpuE9ELNS1_3repE0EEENS1_30default_config_static_selectorELNS0_4arch9wavefront6targetE0EEEvT1_
	.p2align	8
	.type	_ZN7rocprim17ROCPRIM_400000_NS6detail17trampoline_kernelINS0_14default_configENS1_29reduce_by_key_config_selectorIjtN6thrust23THRUST_200600_302600_NS4plusItEEEEZZNS1_33reduce_by_key_impl_wrapped_configILNS1_25lookback_scan_determinismE0ES3_S9_NS6_6detail15normal_iteratorINS6_10device_ptrIjEEEENSD_INSE_ItEEEENS6_16discard_iteratorINS6_11use_defaultEEESI_PmS8_NS6_8equal_toIjEEEE10hipError_tPvRmT2_T3_mT4_T5_T6_T7_T8_P12ihipStream_tbENKUlT_T0_E_clISt17integral_constantIbLb0EES15_IbLb1EEEEDaS11_S12_EUlS11_E_NS1_11comp_targetILNS1_3genE5ELNS1_11target_archE942ELNS1_3gpuE9ELNS1_3repE0EEENS1_30default_config_static_selectorELNS0_4arch9wavefront6targetE0EEEvT1_,@function
_ZN7rocprim17ROCPRIM_400000_NS6detail17trampoline_kernelINS0_14default_configENS1_29reduce_by_key_config_selectorIjtN6thrust23THRUST_200600_302600_NS4plusItEEEEZZNS1_33reduce_by_key_impl_wrapped_configILNS1_25lookback_scan_determinismE0ES3_S9_NS6_6detail15normal_iteratorINS6_10device_ptrIjEEEENSD_INSE_ItEEEENS6_16discard_iteratorINS6_11use_defaultEEESI_PmS8_NS6_8equal_toIjEEEE10hipError_tPvRmT2_T3_mT4_T5_T6_T7_T8_P12ihipStream_tbENKUlT_T0_E_clISt17integral_constantIbLb0EES15_IbLb1EEEEDaS11_S12_EUlS11_E_NS1_11comp_targetILNS1_3genE5ELNS1_11target_archE942ELNS1_3gpuE9ELNS1_3repE0EEENS1_30default_config_static_selectorELNS0_4arch9wavefront6targetE0EEEvT1_: ; @_ZN7rocprim17ROCPRIM_400000_NS6detail17trampoline_kernelINS0_14default_configENS1_29reduce_by_key_config_selectorIjtN6thrust23THRUST_200600_302600_NS4plusItEEEEZZNS1_33reduce_by_key_impl_wrapped_configILNS1_25lookback_scan_determinismE0ES3_S9_NS6_6detail15normal_iteratorINS6_10device_ptrIjEEEENSD_INSE_ItEEEENS6_16discard_iteratorINS6_11use_defaultEEESI_PmS8_NS6_8equal_toIjEEEE10hipError_tPvRmT2_T3_mT4_T5_T6_T7_T8_P12ihipStream_tbENKUlT_T0_E_clISt17integral_constantIbLb0EES15_IbLb1EEEEDaS11_S12_EUlS11_E_NS1_11comp_targetILNS1_3genE5ELNS1_11target_archE942ELNS1_3gpuE9ELNS1_3repE0EEENS1_30default_config_static_selectorELNS0_4arch9wavefront6targetE0EEEvT1_
; %bb.0:
	.section	.rodata,"a",@progbits
	.p2align	6, 0x0
	.amdhsa_kernel _ZN7rocprim17ROCPRIM_400000_NS6detail17trampoline_kernelINS0_14default_configENS1_29reduce_by_key_config_selectorIjtN6thrust23THRUST_200600_302600_NS4plusItEEEEZZNS1_33reduce_by_key_impl_wrapped_configILNS1_25lookback_scan_determinismE0ES3_S9_NS6_6detail15normal_iteratorINS6_10device_ptrIjEEEENSD_INSE_ItEEEENS6_16discard_iteratorINS6_11use_defaultEEESI_PmS8_NS6_8equal_toIjEEEE10hipError_tPvRmT2_T3_mT4_T5_T6_T7_T8_P12ihipStream_tbENKUlT_T0_E_clISt17integral_constantIbLb0EES15_IbLb1EEEEDaS11_S12_EUlS11_E_NS1_11comp_targetILNS1_3genE5ELNS1_11target_archE942ELNS1_3gpuE9ELNS1_3repE0EEENS1_30default_config_static_selectorELNS0_4arch9wavefront6targetE0EEEvT1_
		.amdhsa_group_segment_fixed_size 0
		.amdhsa_private_segment_fixed_size 0
		.amdhsa_kernarg_size 128
		.amdhsa_user_sgpr_count 15
		.amdhsa_user_sgpr_dispatch_ptr 0
		.amdhsa_user_sgpr_queue_ptr 0
		.amdhsa_user_sgpr_kernarg_segment_ptr 1
		.amdhsa_user_sgpr_dispatch_id 0
		.amdhsa_user_sgpr_private_segment_size 0
		.amdhsa_wavefront_size32 1
		.amdhsa_uses_dynamic_stack 0
		.amdhsa_enable_private_segment 0
		.amdhsa_system_sgpr_workgroup_id_x 1
		.amdhsa_system_sgpr_workgroup_id_y 0
		.amdhsa_system_sgpr_workgroup_id_z 0
		.amdhsa_system_sgpr_workgroup_info 0
		.amdhsa_system_vgpr_workitem_id 0
		.amdhsa_next_free_vgpr 1
		.amdhsa_next_free_sgpr 1
		.amdhsa_reserve_vcc 0
		.amdhsa_float_round_mode_32 0
		.amdhsa_float_round_mode_16_64 0
		.amdhsa_float_denorm_mode_32 3
		.amdhsa_float_denorm_mode_16_64 3
		.amdhsa_dx10_clamp 1
		.amdhsa_ieee_mode 1
		.amdhsa_fp16_overflow 0
		.amdhsa_workgroup_processor_mode 1
		.amdhsa_memory_ordered 1
		.amdhsa_forward_progress 0
		.amdhsa_shared_vgpr_count 0
		.amdhsa_exception_fp_ieee_invalid_op 0
		.amdhsa_exception_fp_denorm_src 0
		.amdhsa_exception_fp_ieee_div_zero 0
		.amdhsa_exception_fp_ieee_overflow 0
		.amdhsa_exception_fp_ieee_underflow 0
		.amdhsa_exception_fp_ieee_inexact 0
		.amdhsa_exception_int_div_zero 0
	.end_amdhsa_kernel
	.section	.text._ZN7rocprim17ROCPRIM_400000_NS6detail17trampoline_kernelINS0_14default_configENS1_29reduce_by_key_config_selectorIjtN6thrust23THRUST_200600_302600_NS4plusItEEEEZZNS1_33reduce_by_key_impl_wrapped_configILNS1_25lookback_scan_determinismE0ES3_S9_NS6_6detail15normal_iteratorINS6_10device_ptrIjEEEENSD_INSE_ItEEEENS6_16discard_iteratorINS6_11use_defaultEEESI_PmS8_NS6_8equal_toIjEEEE10hipError_tPvRmT2_T3_mT4_T5_T6_T7_T8_P12ihipStream_tbENKUlT_T0_E_clISt17integral_constantIbLb0EES15_IbLb1EEEEDaS11_S12_EUlS11_E_NS1_11comp_targetILNS1_3genE5ELNS1_11target_archE942ELNS1_3gpuE9ELNS1_3repE0EEENS1_30default_config_static_selectorELNS0_4arch9wavefront6targetE0EEEvT1_,"axG",@progbits,_ZN7rocprim17ROCPRIM_400000_NS6detail17trampoline_kernelINS0_14default_configENS1_29reduce_by_key_config_selectorIjtN6thrust23THRUST_200600_302600_NS4plusItEEEEZZNS1_33reduce_by_key_impl_wrapped_configILNS1_25lookback_scan_determinismE0ES3_S9_NS6_6detail15normal_iteratorINS6_10device_ptrIjEEEENSD_INSE_ItEEEENS6_16discard_iteratorINS6_11use_defaultEEESI_PmS8_NS6_8equal_toIjEEEE10hipError_tPvRmT2_T3_mT4_T5_T6_T7_T8_P12ihipStream_tbENKUlT_T0_E_clISt17integral_constantIbLb0EES15_IbLb1EEEEDaS11_S12_EUlS11_E_NS1_11comp_targetILNS1_3genE5ELNS1_11target_archE942ELNS1_3gpuE9ELNS1_3repE0EEENS1_30default_config_static_selectorELNS0_4arch9wavefront6targetE0EEEvT1_,comdat
.Lfunc_end977:
	.size	_ZN7rocprim17ROCPRIM_400000_NS6detail17trampoline_kernelINS0_14default_configENS1_29reduce_by_key_config_selectorIjtN6thrust23THRUST_200600_302600_NS4plusItEEEEZZNS1_33reduce_by_key_impl_wrapped_configILNS1_25lookback_scan_determinismE0ES3_S9_NS6_6detail15normal_iteratorINS6_10device_ptrIjEEEENSD_INSE_ItEEEENS6_16discard_iteratorINS6_11use_defaultEEESI_PmS8_NS6_8equal_toIjEEEE10hipError_tPvRmT2_T3_mT4_T5_T6_T7_T8_P12ihipStream_tbENKUlT_T0_E_clISt17integral_constantIbLb0EES15_IbLb1EEEEDaS11_S12_EUlS11_E_NS1_11comp_targetILNS1_3genE5ELNS1_11target_archE942ELNS1_3gpuE9ELNS1_3repE0EEENS1_30default_config_static_selectorELNS0_4arch9wavefront6targetE0EEEvT1_, .Lfunc_end977-_ZN7rocprim17ROCPRIM_400000_NS6detail17trampoline_kernelINS0_14default_configENS1_29reduce_by_key_config_selectorIjtN6thrust23THRUST_200600_302600_NS4plusItEEEEZZNS1_33reduce_by_key_impl_wrapped_configILNS1_25lookback_scan_determinismE0ES3_S9_NS6_6detail15normal_iteratorINS6_10device_ptrIjEEEENSD_INSE_ItEEEENS6_16discard_iteratorINS6_11use_defaultEEESI_PmS8_NS6_8equal_toIjEEEE10hipError_tPvRmT2_T3_mT4_T5_T6_T7_T8_P12ihipStream_tbENKUlT_T0_E_clISt17integral_constantIbLb0EES15_IbLb1EEEEDaS11_S12_EUlS11_E_NS1_11comp_targetILNS1_3genE5ELNS1_11target_archE942ELNS1_3gpuE9ELNS1_3repE0EEENS1_30default_config_static_selectorELNS0_4arch9wavefront6targetE0EEEvT1_
                                        ; -- End function
	.section	.AMDGPU.csdata,"",@progbits
; Kernel info:
; codeLenInByte = 0
; NumSgprs: 0
; NumVgprs: 0
; ScratchSize: 0
; MemoryBound: 0
; FloatMode: 240
; IeeeMode: 1
; LDSByteSize: 0 bytes/workgroup (compile time only)
; SGPRBlocks: 0
; VGPRBlocks: 0
; NumSGPRsForWavesPerEU: 1
; NumVGPRsForWavesPerEU: 1
; Occupancy: 16
; WaveLimiterHint : 0
; COMPUTE_PGM_RSRC2:SCRATCH_EN: 0
; COMPUTE_PGM_RSRC2:USER_SGPR: 15
; COMPUTE_PGM_RSRC2:TRAP_HANDLER: 0
; COMPUTE_PGM_RSRC2:TGID_X_EN: 1
; COMPUTE_PGM_RSRC2:TGID_Y_EN: 0
; COMPUTE_PGM_RSRC2:TGID_Z_EN: 0
; COMPUTE_PGM_RSRC2:TIDIG_COMP_CNT: 0
	.section	.text._ZN7rocprim17ROCPRIM_400000_NS6detail17trampoline_kernelINS0_14default_configENS1_29reduce_by_key_config_selectorIjtN6thrust23THRUST_200600_302600_NS4plusItEEEEZZNS1_33reduce_by_key_impl_wrapped_configILNS1_25lookback_scan_determinismE0ES3_S9_NS6_6detail15normal_iteratorINS6_10device_ptrIjEEEENSD_INSE_ItEEEENS6_16discard_iteratorINS6_11use_defaultEEESI_PmS8_NS6_8equal_toIjEEEE10hipError_tPvRmT2_T3_mT4_T5_T6_T7_T8_P12ihipStream_tbENKUlT_T0_E_clISt17integral_constantIbLb0EES15_IbLb1EEEEDaS11_S12_EUlS11_E_NS1_11comp_targetILNS1_3genE4ELNS1_11target_archE910ELNS1_3gpuE8ELNS1_3repE0EEENS1_30default_config_static_selectorELNS0_4arch9wavefront6targetE0EEEvT1_,"axG",@progbits,_ZN7rocprim17ROCPRIM_400000_NS6detail17trampoline_kernelINS0_14default_configENS1_29reduce_by_key_config_selectorIjtN6thrust23THRUST_200600_302600_NS4plusItEEEEZZNS1_33reduce_by_key_impl_wrapped_configILNS1_25lookback_scan_determinismE0ES3_S9_NS6_6detail15normal_iteratorINS6_10device_ptrIjEEEENSD_INSE_ItEEEENS6_16discard_iteratorINS6_11use_defaultEEESI_PmS8_NS6_8equal_toIjEEEE10hipError_tPvRmT2_T3_mT4_T5_T6_T7_T8_P12ihipStream_tbENKUlT_T0_E_clISt17integral_constantIbLb0EES15_IbLb1EEEEDaS11_S12_EUlS11_E_NS1_11comp_targetILNS1_3genE4ELNS1_11target_archE910ELNS1_3gpuE8ELNS1_3repE0EEENS1_30default_config_static_selectorELNS0_4arch9wavefront6targetE0EEEvT1_,comdat
	.protected	_ZN7rocprim17ROCPRIM_400000_NS6detail17trampoline_kernelINS0_14default_configENS1_29reduce_by_key_config_selectorIjtN6thrust23THRUST_200600_302600_NS4plusItEEEEZZNS1_33reduce_by_key_impl_wrapped_configILNS1_25lookback_scan_determinismE0ES3_S9_NS6_6detail15normal_iteratorINS6_10device_ptrIjEEEENSD_INSE_ItEEEENS6_16discard_iteratorINS6_11use_defaultEEESI_PmS8_NS6_8equal_toIjEEEE10hipError_tPvRmT2_T3_mT4_T5_T6_T7_T8_P12ihipStream_tbENKUlT_T0_E_clISt17integral_constantIbLb0EES15_IbLb1EEEEDaS11_S12_EUlS11_E_NS1_11comp_targetILNS1_3genE4ELNS1_11target_archE910ELNS1_3gpuE8ELNS1_3repE0EEENS1_30default_config_static_selectorELNS0_4arch9wavefront6targetE0EEEvT1_ ; -- Begin function _ZN7rocprim17ROCPRIM_400000_NS6detail17trampoline_kernelINS0_14default_configENS1_29reduce_by_key_config_selectorIjtN6thrust23THRUST_200600_302600_NS4plusItEEEEZZNS1_33reduce_by_key_impl_wrapped_configILNS1_25lookback_scan_determinismE0ES3_S9_NS6_6detail15normal_iteratorINS6_10device_ptrIjEEEENSD_INSE_ItEEEENS6_16discard_iteratorINS6_11use_defaultEEESI_PmS8_NS6_8equal_toIjEEEE10hipError_tPvRmT2_T3_mT4_T5_T6_T7_T8_P12ihipStream_tbENKUlT_T0_E_clISt17integral_constantIbLb0EES15_IbLb1EEEEDaS11_S12_EUlS11_E_NS1_11comp_targetILNS1_3genE4ELNS1_11target_archE910ELNS1_3gpuE8ELNS1_3repE0EEENS1_30default_config_static_selectorELNS0_4arch9wavefront6targetE0EEEvT1_
	.globl	_ZN7rocprim17ROCPRIM_400000_NS6detail17trampoline_kernelINS0_14default_configENS1_29reduce_by_key_config_selectorIjtN6thrust23THRUST_200600_302600_NS4plusItEEEEZZNS1_33reduce_by_key_impl_wrapped_configILNS1_25lookback_scan_determinismE0ES3_S9_NS6_6detail15normal_iteratorINS6_10device_ptrIjEEEENSD_INSE_ItEEEENS6_16discard_iteratorINS6_11use_defaultEEESI_PmS8_NS6_8equal_toIjEEEE10hipError_tPvRmT2_T3_mT4_T5_T6_T7_T8_P12ihipStream_tbENKUlT_T0_E_clISt17integral_constantIbLb0EES15_IbLb1EEEEDaS11_S12_EUlS11_E_NS1_11comp_targetILNS1_3genE4ELNS1_11target_archE910ELNS1_3gpuE8ELNS1_3repE0EEENS1_30default_config_static_selectorELNS0_4arch9wavefront6targetE0EEEvT1_
	.p2align	8
	.type	_ZN7rocprim17ROCPRIM_400000_NS6detail17trampoline_kernelINS0_14default_configENS1_29reduce_by_key_config_selectorIjtN6thrust23THRUST_200600_302600_NS4plusItEEEEZZNS1_33reduce_by_key_impl_wrapped_configILNS1_25lookback_scan_determinismE0ES3_S9_NS6_6detail15normal_iteratorINS6_10device_ptrIjEEEENSD_INSE_ItEEEENS6_16discard_iteratorINS6_11use_defaultEEESI_PmS8_NS6_8equal_toIjEEEE10hipError_tPvRmT2_T3_mT4_T5_T6_T7_T8_P12ihipStream_tbENKUlT_T0_E_clISt17integral_constantIbLb0EES15_IbLb1EEEEDaS11_S12_EUlS11_E_NS1_11comp_targetILNS1_3genE4ELNS1_11target_archE910ELNS1_3gpuE8ELNS1_3repE0EEENS1_30default_config_static_selectorELNS0_4arch9wavefront6targetE0EEEvT1_,@function
_ZN7rocprim17ROCPRIM_400000_NS6detail17trampoline_kernelINS0_14default_configENS1_29reduce_by_key_config_selectorIjtN6thrust23THRUST_200600_302600_NS4plusItEEEEZZNS1_33reduce_by_key_impl_wrapped_configILNS1_25lookback_scan_determinismE0ES3_S9_NS6_6detail15normal_iteratorINS6_10device_ptrIjEEEENSD_INSE_ItEEEENS6_16discard_iteratorINS6_11use_defaultEEESI_PmS8_NS6_8equal_toIjEEEE10hipError_tPvRmT2_T3_mT4_T5_T6_T7_T8_P12ihipStream_tbENKUlT_T0_E_clISt17integral_constantIbLb0EES15_IbLb1EEEEDaS11_S12_EUlS11_E_NS1_11comp_targetILNS1_3genE4ELNS1_11target_archE910ELNS1_3gpuE8ELNS1_3repE0EEENS1_30default_config_static_selectorELNS0_4arch9wavefront6targetE0EEEvT1_: ; @_ZN7rocprim17ROCPRIM_400000_NS6detail17trampoline_kernelINS0_14default_configENS1_29reduce_by_key_config_selectorIjtN6thrust23THRUST_200600_302600_NS4plusItEEEEZZNS1_33reduce_by_key_impl_wrapped_configILNS1_25lookback_scan_determinismE0ES3_S9_NS6_6detail15normal_iteratorINS6_10device_ptrIjEEEENSD_INSE_ItEEEENS6_16discard_iteratorINS6_11use_defaultEEESI_PmS8_NS6_8equal_toIjEEEE10hipError_tPvRmT2_T3_mT4_T5_T6_T7_T8_P12ihipStream_tbENKUlT_T0_E_clISt17integral_constantIbLb0EES15_IbLb1EEEEDaS11_S12_EUlS11_E_NS1_11comp_targetILNS1_3genE4ELNS1_11target_archE910ELNS1_3gpuE8ELNS1_3repE0EEENS1_30default_config_static_selectorELNS0_4arch9wavefront6targetE0EEEvT1_
; %bb.0:
	.section	.rodata,"a",@progbits
	.p2align	6, 0x0
	.amdhsa_kernel _ZN7rocprim17ROCPRIM_400000_NS6detail17trampoline_kernelINS0_14default_configENS1_29reduce_by_key_config_selectorIjtN6thrust23THRUST_200600_302600_NS4plusItEEEEZZNS1_33reduce_by_key_impl_wrapped_configILNS1_25lookback_scan_determinismE0ES3_S9_NS6_6detail15normal_iteratorINS6_10device_ptrIjEEEENSD_INSE_ItEEEENS6_16discard_iteratorINS6_11use_defaultEEESI_PmS8_NS6_8equal_toIjEEEE10hipError_tPvRmT2_T3_mT4_T5_T6_T7_T8_P12ihipStream_tbENKUlT_T0_E_clISt17integral_constantIbLb0EES15_IbLb1EEEEDaS11_S12_EUlS11_E_NS1_11comp_targetILNS1_3genE4ELNS1_11target_archE910ELNS1_3gpuE8ELNS1_3repE0EEENS1_30default_config_static_selectorELNS0_4arch9wavefront6targetE0EEEvT1_
		.amdhsa_group_segment_fixed_size 0
		.amdhsa_private_segment_fixed_size 0
		.amdhsa_kernarg_size 128
		.amdhsa_user_sgpr_count 15
		.amdhsa_user_sgpr_dispatch_ptr 0
		.amdhsa_user_sgpr_queue_ptr 0
		.amdhsa_user_sgpr_kernarg_segment_ptr 1
		.amdhsa_user_sgpr_dispatch_id 0
		.amdhsa_user_sgpr_private_segment_size 0
		.amdhsa_wavefront_size32 1
		.amdhsa_uses_dynamic_stack 0
		.amdhsa_enable_private_segment 0
		.amdhsa_system_sgpr_workgroup_id_x 1
		.amdhsa_system_sgpr_workgroup_id_y 0
		.amdhsa_system_sgpr_workgroup_id_z 0
		.amdhsa_system_sgpr_workgroup_info 0
		.amdhsa_system_vgpr_workitem_id 0
		.amdhsa_next_free_vgpr 1
		.amdhsa_next_free_sgpr 1
		.amdhsa_reserve_vcc 0
		.amdhsa_float_round_mode_32 0
		.amdhsa_float_round_mode_16_64 0
		.amdhsa_float_denorm_mode_32 3
		.amdhsa_float_denorm_mode_16_64 3
		.amdhsa_dx10_clamp 1
		.amdhsa_ieee_mode 1
		.amdhsa_fp16_overflow 0
		.amdhsa_workgroup_processor_mode 1
		.amdhsa_memory_ordered 1
		.amdhsa_forward_progress 0
		.amdhsa_shared_vgpr_count 0
		.amdhsa_exception_fp_ieee_invalid_op 0
		.amdhsa_exception_fp_denorm_src 0
		.amdhsa_exception_fp_ieee_div_zero 0
		.amdhsa_exception_fp_ieee_overflow 0
		.amdhsa_exception_fp_ieee_underflow 0
		.amdhsa_exception_fp_ieee_inexact 0
		.amdhsa_exception_int_div_zero 0
	.end_amdhsa_kernel
	.section	.text._ZN7rocprim17ROCPRIM_400000_NS6detail17trampoline_kernelINS0_14default_configENS1_29reduce_by_key_config_selectorIjtN6thrust23THRUST_200600_302600_NS4plusItEEEEZZNS1_33reduce_by_key_impl_wrapped_configILNS1_25lookback_scan_determinismE0ES3_S9_NS6_6detail15normal_iteratorINS6_10device_ptrIjEEEENSD_INSE_ItEEEENS6_16discard_iteratorINS6_11use_defaultEEESI_PmS8_NS6_8equal_toIjEEEE10hipError_tPvRmT2_T3_mT4_T5_T6_T7_T8_P12ihipStream_tbENKUlT_T0_E_clISt17integral_constantIbLb0EES15_IbLb1EEEEDaS11_S12_EUlS11_E_NS1_11comp_targetILNS1_3genE4ELNS1_11target_archE910ELNS1_3gpuE8ELNS1_3repE0EEENS1_30default_config_static_selectorELNS0_4arch9wavefront6targetE0EEEvT1_,"axG",@progbits,_ZN7rocprim17ROCPRIM_400000_NS6detail17trampoline_kernelINS0_14default_configENS1_29reduce_by_key_config_selectorIjtN6thrust23THRUST_200600_302600_NS4plusItEEEEZZNS1_33reduce_by_key_impl_wrapped_configILNS1_25lookback_scan_determinismE0ES3_S9_NS6_6detail15normal_iteratorINS6_10device_ptrIjEEEENSD_INSE_ItEEEENS6_16discard_iteratorINS6_11use_defaultEEESI_PmS8_NS6_8equal_toIjEEEE10hipError_tPvRmT2_T3_mT4_T5_T6_T7_T8_P12ihipStream_tbENKUlT_T0_E_clISt17integral_constantIbLb0EES15_IbLb1EEEEDaS11_S12_EUlS11_E_NS1_11comp_targetILNS1_3genE4ELNS1_11target_archE910ELNS1_3gpuE8ELNS1_3repE0EEENS1_30default_config_static_selectorELNS0_4arch9wavefront6targetE0EEEvT1_,comdat
.Lfunc_end978:
	.size	_ZN7rocprim17ROCPRIM_400000_NS6detail17trampoline_kernelINS0_14default_configENS1_29reduce_by_key_config_selectorIjtN6thrust23THRUST_200600_302600_NS4plusItEEEEZZNS1_33reduce_by_key_impl_wrapped_configILNS1_25lookback_scan_determinismE0ES3_S9_NS6_6detail15normal_iteratorINS6_10device_ptrIjEEEENSD_INSE_ItEEEENS6_16discard_iteratorINS6_11use_defaultEEESI_PmS8_NS6_8equal_toIjEEEE10hipError_tPvRmT2_T3_mT4_T5_T6_T7_T8_P12ihipStream_tbENKUlT_T0_E_clISt17integral_constantIbLb0EES15_IbLb1EEEEDaS11_S12_EUlS11_E_NS1_11comp_targetILNS1_3genE4ELNS1_11target_archE910ELNS1_3gpuE8ELNS1_3repE0EEENS1_30default_config_static_selectorELNS0_4arch9wavefront6targetE0EEEvT1_, .Lfunc_end978-_ZN7rocprim17ROCPRIM_400000_NS6detail17trampoline_kernelINS0_14default_configENS1_29reduce_by_key_config_selectorIjtN6thrust23THRUST_200600_302600_NS4plusItEEEEZZNS1_33reduce_by_key_impl_wrapped_configILNS1_25lookback_scan_determinismE0ES3_S9_NS6_6detail15normal_iteratorINS6_10device_ptrIjEEEENSD_INSE_ItEEEENS6_16discard_iteratorINS6_11use_defaultEEESI_PmS8_NS6_8equal_toIjEEEE10hipError_tPvRmT2_T3_mT4_T5_T6_T7_T8_P12ihipStream_tbENKUlT_T0_E_clISt17integral_constantIbLb0EES15_IbLb1EEEEDaS11_S12_EUlS11_E_NS1_11comp_targetILNS1_3genE4ELNS1_11target_archE910ELNS1_3gpuE8ELNS1_3repE0EEENS1_30default_config_static_selectorELNS0_4arch9wavefront6targetE0EEEvT1_
                                        ; -- End function
	.section	.AMDGPU.csdata,"",@progbits
; Kernel info:
; codeLenInByte = 0
; NumSgprs: 0
; NumVgprs: 0
; ScratchSize: 0
; MemoryBound: 0
; FloatMode: 240
; IeeeMode: 1
; LDSByteSize: 0 bytes/workgroup (compile time only)
; SGPRBlocks: 0
; VGPRBlocks: 0
; NumSGPRsForWavesPerEU: 1
; NumVGPRsForWavesPerEU: 1
; Occupancy: 16
; WaveLimiterHint : 0
; COMPUTE_PGM_RSRC2:SCRATCH_EN: 0
; COMPUTE_PGM_RSRC2:USER_SGPR: 15
; COMPUTE_PGM_RSRC2:TRAP_HANDLER: 0
; COMPUTE_PGM_RSRC2:TGID_X_EN: 1
; COMPUTE_PGM_RSRC2:TGID_Y_EN: 0
; COMPUTE_PGM_RSRC2:TGID_Z_EN: 0
; COMPUTE_PGM_RSRC2:TIDIG_COMP_CNT: 0
	.section	.text._ZN7rocprim17ROCPRIM_400000_NS6detail17trampoline_kernelINS0_14default_configENS1_29reduce_by_key_config_selectorIjtN6thrust23THRUST_200600_302600_NS4plusItEEEEZZNS1_33reduce_by_key_impl_wrapped_configILNS1_25lookback_scan_determinismE0ES3_S9_NS6_6detail15normal_iteratorINS6_10device_ptrIjEEEENSD_INSE_ItEEEENS6_16discard_iteratorINS6_11use_defaultEEESI_PmS8_NS6_8equal_toIjEEEE10hipError_tPvRmT2_T3_mT4_T5_T6_T7_T8_P12ihipStream_tbENKUlT_T0_E_clISt17integral_constantIbLb0EES15_IbLb1EEEEDaS11_S12_EUlS11_E_NS1_11comp_targetILNS1_3genE3ELNS1_11target_archE908ELNS1_3gpuE7ELNS1_3repE0EEENS1_30default_config_static_selectorELNS0_4arch9wavefront6targetE0EEEvT1_,"axG",@progbits,_ZN7rocprim17ROCPRIM_400000_NS6detail17trampoline_kernelINS0_14default_configENS1_29reduce_by_key_config_selectorIjtN6thrust23THRUST_200600_302600_NS4plusItEEEEZZNS1_33reduce_by_key_impl_wrapped_configILNS1_25lookback_scan_determinismE0ES3_S9_NS6_6detail15normal_iteratorINS6_10device_ptrIjEEEENSD_INSE_ItEEEENS6_16discard_iteratorINS6_11use_defaultEEESI_PmS8_NS6_8equal_toIjEEEE10hipError_tPvRmT2_T3_mT4_T5_T6_T7_T8_P12ihipStream_tbENKUlT_T0_E_clISt17integral_constantIbLb0EES15_IbLb1EEEEDaS11_S12_EUlS11_E_NS1_11comp_targetILNS1_3genE3ELNS1_11target_archE908ELNS1_3gpuE7ELNS1_3repE0EEENS1_30default_config_static_selectorELNS0_4arch9wavefront6targetE0EEEvT1_,comdat
	.protected	_ZN7rocprim17ROCPRIM_400000_NS6detail17trampoline_kernelINS0_14default_configENS1_29reduce_by_key_config_selectorIjtN6thrust23THRUST_200600_302600_NS4plusItEEEEZZNS1_33reduce_by_key_impl_wrapped_configILNS1_25lookback_scan_determinismE0ES3_S9_NS6_6detail15normal_iteratorINS6_10device_ptrIjEEEENSD_INSE_ItEEEENS6_16discard_iteratorINS6_11use_defaultEEESI_PmS8_NS6_8equal_toIjEEEE10hipError_tPvRmT2_T3_mT4_T5_T6_T7_T8_P12ihipStream_tbENKUlT_T0_E_clISt17integral_constantIbLb0EES15_IbLb1EEEEDaS11_S12_EUlS11_E_NS1_11comp_targetILNS1_3genE3ELNS1_11target_archE908ELNS1_3gpuE7ELNS1_3repE0EEENS1_30default_config_static_selectorELNS0_4arch9wavefront6targetE0EEEvT1_ ; -- Begin function _ZN7rocprim17ROCPRIM_400000_NS6detail17trampoline_kernelINS0_14default_configENS1_29reduce_by_key_config_selectorIjtN6thrust23THRUST_200600_302600_NS4plusItEEEEZZNS1_33reduce_by_key_impl_wrapped_configILNS1_25lookback_scan_determinismE0ES3_S9_NS6_6detail15normal_iteratorINS6_10device_ptrIjEEEENSD_INSE_ItEEEENS6_16discard_iteratorINS6_11use_defaultEEESI_PmS8_NS6_8equal_toIjEEEE10hipError_tPvRmT2_T3_mT4_T5_T6_T7_T8_P12ihipStream_tbENKUlT_T0_E_clISt17integral_constantIbLb0EES15_IbLb1EEEEDaS11_S12_EUlS11_E_NS1_11comp_targetILNS1_3genE3ELNS1_11target_archE908ELNS1_3gpuE7ELNS1_3repE0EEENS1_30default_config_static_selectorELNS0_4arch9wavefront6targetE0EEEvT1_
	.globl	_ZN7rocprim17ROCPRIM_400000_NS6detail17trampoline_kernelINS0_14default_configENS1_29reduce_by_key_config_selectorIjtN6thrust23THRUST_200600_302600_NS4plusItEEEEZZNS1_33reduce_by_key_impl_wrapped_configILNS1_25lookback_scan_determinismE0ES3_S9_NS6_6detail15normal_iteratorINS6_10device_ptrIjEEEENSD_INSE_ItEEEENS6_16discard_iteratorINS6_11use_defaultEEESI_PmS8_NS6_8equal_toIjEEEE10hipError_tPvRmT2_T3_mT4_T5_T6_T7_T8_P12ihipStream_tbENKUlT_T0_E_clISt17integral_constantIbLb0EES15_IbLb1EEEEDaS11_S12_EUlS11_E_NS1_11comp_targetILNS1_3genE3ELNS1_11target_archE908ELNS1_3gpuE7ELNS1_3repE0EEENS1_30default_config_static_selectorELNS0_4arch9wavefront6targetE0EEEvT1_
	.p2align	8
	.type	_ZN7rocprim17ROCPRIM_400000_NS6detail17trampoline_kernelINS0_14default_configENS1_29reduce_by_key_config_selectorIjtN6thrust23THRUST_200600_302600_NS4plusItEEEEZZNS1_33reduce_by_key_impl_wrapped_configILNS1_25lookback_scan_determinismE0ES3_S9_NS6_6detail15normal_iteratorINS6_10device_ptrIjEEEENSD_INSE_ItEEEENS6_16discard_iteratorINS6_11use_defaultEEESI_PmS8_NS6_8equal_toIjEEEE10hipError_tPvRmT2_T3_mT4_T5_T6_T7_T8_P12ihipStream_tbENKUlT_T0_E_clISt17integral_constantIbLb0EES15_IbLb1EEEEDaS11_S12_EUlS11_E_NS1_11comp_targetILNS1_3genE3ELNS1_11target_archE908ELNS1_3gpuE7ELNS1_3repE0EEENS1_30default_config_static_selectorELNS0_4arch9wavefront6targetE0EEEvT1_,@function
_ZN7rocprim17ROCPRIM_400000_NS6detail17trampoline_kernelINS0_14default_configENS1_29reduce_by_key_config_selectorIjtN6thrust23THRUST_200600_302600_NS4plusItEEEEZZNS1_33reduce_by_key_impl_wrapped_configILNS1_25lookback_scan_determinismE0ES3_S9_NS6_6detail15normal_iteratorINS6_10device_ptrIjEEEENSD_INSE_ItEEEENS6_16discard_iteratorINS6_11use_defaultEEESI_PmS8_NS6_8equal_toIjEEEE10hipError_tPvRmT2_T3_mT4_T5_T6_T7_T8_P12ihipStream_tbENKUlT_T0_E_clISt17integral_constantIbLb0EES15_IbLb1EEEEDaS11_S12_EUlS11_E_NS1_11comp_targetILNS1_3genE3ELNS1_11target_archE908ELNS1_3gpuE7ELNS1_3repE0EEENS1_30default_config_static_selectorELNS0_4arch9wavefront6targetE0EEEvT1_: ; @_ZN7rocprim17ROCPRIM_400000_NS6detail17trampoline_kernelINS0_14default_configENS1_29reduce_by_key_config_selectorIjtN6thrust23THRUST_200600_302600_NS4plusItEEEEZZNS1_33reduce_by_key_impl_wrapped_configILNS1_25lookback_scan_determinismE0ES3_S9_NS6_6detail15normal_iteratorINS6_10device_ptrIjEEEENSD_INSE_ItEEEENS6_16discard_iteratorINS6_11use_defaultEEESI_PmS8_NS6_8equal_toIjEEEE10hipError_tPvRmT2_T3_mT4_T5_T6_T7_T8_P12ihipStream_tbENKUlT_T0_E_clISt17integral_constantIbLb0EES15_IbLb1EEEEDaS11_S12_EUlS11_E_NS1_11comp_targetILNS1_3genE3ELNS1_11target_archE908ELNS1_3gpuE7ELNS1_3repE0EEENS1_30default_config_static_selectorELNS0_4arch9wavefront6targetE0EEEvT1_
; %bb.0:
	.section	.rodata,"a",@progbits
	.p2align	6, 0x0
	.amdhsa_kernel _ZN7rocprim17ROCPRIM_400000_NS6detail17trampoline_kernelINS0_14default_configENS1_29reduce_by_key_config_selectorIjtN6thrust23THRUST_200600_302600_NS4plusItEEEEZZNS1_33reduce_by_key_impl_wrapped_configILNS1_25lookback_scan_determinismE0ES3_S9_NS6_6detail15normal_iteratorINS6_10device_ptrIjEEEENSD_INSE_ItEEEENS6_16discard_iteratorINS6_11use_defaultEEESI_PmS8_NS6_8equal_toIjEEEE10hipError_tPvRmT2_T3_mT4_T5_T6_T7_T8_P12ihipStream_tbENKUlT_T0_E_clISt17integral_constantIbLb0EES15_IbLb1EEEEDaS11_S12_EUlS11_E_NS1_11comp_targetILNS1_3genE3ELNS1_11target_archE908ELNS1_3gpuE7ELNS1_3repE0EEENS1_30default_config_static_selectorELNS0_4arch9wavefront6targetE0EEEvT1_
		.amdhsa_group_segment_fixed_size 0
		.amdhsa_private_segment_fixed_size 0
		.amdhsa_kernarg_size 128
		.amdhsa_user_sgpr_count 15
		.amdhsa_user_sgpr_dispatch_ptr 0
		.amdhsa_user_sgpr_queue_ptr 0
		.amdhsa_user_sgpr_kernarg_segment_ptr 1
		.amdhsa_user_sgpr_dispatch_id 0
		.amdhsa_user_sgpr_private_segment_size 0
		.amdhsa_wavefront_size32 1
		.amdhsa_uses_dynamic_stack 0
		.amdhsa_enable_private_segment 0
		.amdhsa_system_sgpr_workgroup_id_x 1
		.amdhsa_system_sgpr_workgroup_id_y 0
		.amdhsa_system_sgpr_workgroup_id_z 0
		.amdhsa_system_sgpr_workgroup_info 0
		.amdhsa_system_vgpr_workitem_id 0
		.amdhsa_next_free_vgpr 1
		.amdhsa_next_free_sgpr 1
		.amdhsa_reserve_vcc 0
		.amdhsa_float_round_mode_32 0
		.amdhsa_float_round_mode_16_64 0
		.amdhsa_float_denorm_mode_32 3
		.amdhsa_float_denorm_mode_16_64 3
		.amdhsa_dx10_clamp 1
		.amdhsa_ieee_mode 1
		.amdhsa_fp16_overflow 0
		.amdhsa_workgroup_processor_mode 1
		.amdhsa_memory_ordered 1
		.amdhsa_forward_progress 0
		.amdhsa_shared_vgpr_count 0
		.amdhsa_exception_fp_ieee_invalid_op 0
		.amdhsa_exception_fp_denorm_src 0
		.amdhsa_exception_fp_ieee_div_zero 0
		.amdhsa_exception_fp_ieee_overflow 0
		.amdhsa_exception_fp_ieee_underflow 0
		.amdhsa_exception_fp_ieee_inexact 0
		.amdhsa_exception_int_div_zero 0
	.end_amdhsa_kernel
	.section	.text._ZN7rocprim17ROCPRIM_400000_NS6detail17trampoline_kernelINS0_14default_configENS1_29reduce_by_key_config_selectorIjtN6thrust23THRUST_200600_302600_NS4plusItEEEEZZNS1_33reduce_by_key_impl_wrapped_configILNS1_25lookback_scan_determinismE0ES3_S9_NS6_6detail15normal_iteratorINS6_10device_ptrIjEEEENSD_INSE_ItEEEENS6_16discard_iteratorINS6_11use_defaultEEESI_PmS8_NS6_8equal_toIjEEEE10hipError_tPvRmT2_T3_mT4_T5_T6_T7_T8_P12ihipStream_tbENKUlT_T0_E_clISt17integral_constantIbLb0EES15_IbLb1EEEEDaS11_S12_EUlS11_E_NS1_11comp_targetILNS1_3genE3ELNS1_11target_archE908ELNS1_3gpuE7ELNS1_3repE0EEENS1_30default_config_static_selectorELNS0_4arch9wavefront6targetE0EEEvT1_,"axG",@progbits,_ZN7rocprim17ROCPRIM_400000_NS6detail17trampoline_kernelINS0_14default_configENS1_29reduce_by_key_config_selectorIjtN6thrust23THRUST_200600_302600_NS4plusItEEEEZZNS1_33reduce_by_key_impl_wrapped_configILNS1_25lookback_scan_determinismE0ES3_S9_NS6_6detail15normal_iteratorINS6_10device_ptrIjEEEENSD_INSE_ItEEEENS6_16discard_iteratorINS6_11use_defaultEEESI_PmS8_NS6_8equal_toIjEEEE10hipError_tPvRmT2_T3_mT4_T5_T6_T7_T8_P12ihipStream_tbENKUlT_T0_E_clISt17integral_constantIbLb0EES15_IbLb1EEEEDaS11_S12_EUlS11_E_NS1_11comp_targetILNS1_3genE3ELNS1_11target_archE908ELNS1_3gpuE7ELNS1_3repE0EEENS1_30default_config_static_selectorELNS0_4arch9wavefront6targetE0EEEvT1_,comdat
.Lfunc_end979:
	.size	_ZN7rocprim17ROCPRIM_400000_NS6detail17trampoline_kernelINS0_14default_configENS1_29reduce_by_key_config_selectorIjtN6thrust23THRUST_200600_302600_NS4plusItEEEEZZNS1_33reduce_by_key_impl_wrapped_configILNS1_25lookback_scan_determinismE0ES3_S9_NS6_6detail15normal_iteratorINS6_10device_ptrIjEEEENSD_INSE_ItEEEENS6_16discard_iteratorINS6_11use_defaultEEESI_PmS8_NS6_8equal_toIjEEEE10hipError_tPvRmT2_T3_mT4_T5_T6_T7_T8_P12ihipStream_tbENKUlT_T0_E_clISt17integral_constantIbLb0EES15_IbLb1EEEEDaS11_S12_EUlS11_E_NS1_11comp_targetILNS1_3genE3ELNS1_11target_archE908ELNS1_3gpuE7ELNS1_3repE0EEENS1_30default_config_static_selectorELNS0_4arch9wavefront6targetE0EEEvT1_, .Lfunc_end979-_ZN7rocprim17ROCPRIM_400000_NS6detail17trampoline_kernelINS0_14default_configENS1_29reduce_by_key_config_selectorIjtN6thrust23THRUST_200600_302600_NS4plusItEEEEZZNS1_33reduce_by_key_impl_wrapped_configILNS1_25lookback_scan_determinismE0ES3_S9_NS6_6detail15normal_iteratorINS6_10device_ptrIjEEEENSD_INSE_ItEEEENS6_16discard_iteratorINS6_11use_defaultEEESI_PmS8_NS6_8equal_toIjEEEE10hipError_tPvRmT2_T3_mT4_T5_T6_T7_T8_P12ihipStream_tbENKUlT_T0_E_clISt17integral_constantIbLb0EES15_IbLb1EEEEDaS11_S12_EUlS11_E_NS1_11comp_targetILNS1_3genE3ELNS1_11target_archE908ELNS1_3gpuE7ELNS1_3repE0EEENS1_30default_config_static_selectorELNS0_4arch9wavefront6targetE0EEEvT1_
                                        ; -- End function
	.section	.AMDGPU.csdata,"",@progbits
; Kernel info:
; codeLenInByte = 0
; NumSgprs: 0
; NumVgprs: 0
; ScratchSize: 0
; MemoryBound: 0
; FloatMode: 240
; IeeeMode: 1
; LDSByteSize: 0 bytes/workgroup (compile time only)
; SGPRBlocks: 0
; VGPRBlocks: 0
; NumSGPRsForWavesPerEU: 1
; NumVGPRsForWavesPerEU: 1
; Occupancy: 16
; WaveLimiterHint : 0
; COMPUTE_PGM_RSRC2:SCRATCH_EN: 0
; COMPUTE_PGM_RSRC2:USER_SGPR: 15
; COMPUTE_PGM_RSRC2:TRAP_HANDLER: 0
; COMPUTE_PGM_RSRC2:TGID_X_EN: 1
; COMPUTE_PGM_RSRC2:TGID_Y_EN: 0
; COMPUTE_PGM_RSRC2:TGID_Z_EN: 0
; COMPUTE_PGM_RSRC2:TIDIG_COMP_CNT: 0
	.section	.text._ZN7rocprim17ROCPRIM_400000_NS6detail17trampoline_kernelINS0_14default_configENS1_29reduce_by_key_config_selectorIjtN6thrust23THRUST_200600_302600_NS4plusItEEEEZZNS1_33reduce_by_key_impl_wrapped_configILNS1_25lookback_scan_determinismE0ES3_S9_NS6_6detail15normal_iteratorINS6_10device_ptrIjEEEENSD_INSE_ItEEEENS6_16discard_iteratorINS6_11use_defaultEEESI_PmS8_NS6_8equal_toIjEEEE10hipError_tPvRmT2_T3_mT4_T5_T6_T7_T8_P12ihipStream_tbENKUlT_T0_E_clISt17integral_constantIbLb0EES15_IbLb1EEEEDaS11_S12_EUlS11_E_NS1_11comp_targetILNS1_3genE2ELNS1_11target_archE906ELNS1_3gpuE6ELNS1_3repE0EEENS1_30default_config_static_selectorELNS0_4arch9wavefront6targetE0EEEvT1_,"axG",@progbits,_ZN7rocprim17ROCPRIM_400000_NS6detail17trampoline_kernelINS0_14default_configENS1_29reduce_by_key_config_selectorIjtN6thrust23THRUST_200600_302600_NS4plusItEEEEZZNS1_33reduce_by_key_impl_wrapped_configILNS1_25lookback_scan_determinismE0ES3_S9_NS6_6detail15normal_iteratorINS6_10device_ptrIjEEEENSD_INSE_ItEEEENS6_16discard_iteratorINS6_11use_defaultEEESI_PmS8_NS6_8equal_toIjEEEE10hipError_tPvRmT2_T3_mT4_T5_T6_T7_T8_P12ihipStream_tbENKUlT_T0_E_clISt17integral_constantIbLb0EES15_IbLb1EEEEDaS11_S12_EUlS11_E_NS1_11comp_targetILNS1_3genE2ELNS1_11target_archE906ELNS1_3gpuE6ELNS1_3repE0EEENS1_30default_config_static_selectorELNS0_4arch9wavefront6targetE0EEEvT1_,comdat
	.protected	_ZN7rocprim17ROCPRIM_400000_NS6detail17trampoline_kernelINS0_14default_configENS1_29reduce_by_key_config_selectorIjtN6thrust23THRUST_200600_302600_NS4plusItEEEEZZNS1_33reduce_by_key_impl_wrapped_configILNS1_25lookback_scan_determinismE0ES3_S9_NS6_6detail15normal_iteratorINS6_10device_ptrIjEEEENSD_INSE_ItEEEENS6_16discard_iteratorINS6_11use_defaultEEESI_PmS8_NS6_8equal_toIjEEEE10hipError_tPvRmT2_T3_mT4_T5_T6_T7_T8_P12ihipStream_tbENKUlT_T0_E_clISt17integral_constantIbLb0EES15_IbLb1EEEEDaS11_S12_EUlS11_E_NS1_11comp_targetILNS1_3genE2ELNS1_11target_archE906ELNS1_3gpuE6ELNS1_3repE0EEENS1_30default_config_static_selectorELNS0_4arch9wavefront6targetE0EEEvT1_ ; -- Begin function _ZN7rocprim17ROCPRIM_400000_NS6detail17trampoline_kernelINS0_14default_configENS1_29reduce_by_key_config_selectorIjtN6thrust23THRUST_200600_302600_NS4plusItEEEEZZNS1_33reduce_by_key_impl_wrapped_configILNS1_25lookback_scan_determinismE0ES3_S9_NS6_6detail15normal_iteratorINS6_10device_ptrIjEEEENSD_INSE_ItEEEENS6_16discard_iteratorINS6_11use_defaultEEESI_PmS8_NS6_8equal_toIjEEEE10hipError_tPvRmT2_T3_mT4_T5_T6_T7_T8_P12ihipStream_tbENKUlT_T0_E_clISt17integral_constantIbLb0EES15_IbLb1EEEEDaS11_S12_EUlS11_E_NS1_11comp_targetILNS1_3genE2ELNS1_11target_archE906ELNS1_3gpuE6ELNS1_3repE0EEENS1_30default_config_static_selectorELNS0_4arch9wavefront6targetE0EEEvT1_
	.globl	_ZN7rocprim17ROCPRIM_400000_NS6detail17trampoline_kernelINS0_14default_configENS1_29reduce_by_key_config_selectorIjtN6thrust23THRUST_200600_302600_NS4plusItEEEEZZNS1_33reduce_by_key_impl_wrapped_configILNS1_25lookback_scan_determinismE0ES3_S9_NS6_6detail15normal_iteratorINS6_10device_ptrIjEEEENSD_INSE_ItEEEENS6_16discard_iteratorINS6_11use_defaultEEESI_PmS8_NS6_8equal_toIjEEEE10hipError_tPvRmT2_T3_mT4_T5_T6_T7_T8_P12ihipStream_tbENKUlT_T0_E_clISt17integral_constantIbLb0EES15_IbLb1EEEEDaS11_S12_EUlS11_E_NS1_11comp_targetILNS1_3genE2ELNS1_11target_archE906ELNS1_3gpuE6ELNS1_3repE0EEENS1_30default_config_static_selectorELNS0_4arch9wavefront6targetE0EEEvT1_
	.p2align	8
	.type	_ZN7rocprim17ROCPRIM_400000_NS6detail17trampoline_kernelINS0_14default_configENS1_29reduce_by_key_config_selectorIjtN6thrust23THRUST_200600_302600_NS4plusItEEEEZZNS1_33reduce_by_key_impl_wrapped_configILNS1_25lookback_scan_determinismE0ES3_S9_NS6_6detail15normal_iteratorINS6_10device_ptrIjEEEENSD_INSE_ItEEEENS6_16discard_iteratorINS6_11use_defaultEEESI_PmS8_NS6_8equal_toIjEEEE10hipError_tPvRmT2_T3_mT4_T5_T6_T7_T8_P12ihipStream_tbENKUlT_T0_E_clISt17integral_constantIbLb0EES15_IbLb1EEEEDaS11_S12_EUlS11_E_NS1_11comp_targetILNS1_3genE2ELNS1_11target_archE906ELNS1_3gpuE6ELNS1_3repE0EEENS1_30default_config_static_selectorELNS0_4arch9wavefront6targetE0EEEvT1_,@function
_ZN7rocprim17ROCPRIM_400000_NS6detail17trampoline_kernelINS0_14default_configENS1_29reduce_by_key_config_selectorIjtN6thrust23THRUST_200600_302600_NS4plusItEEEEZZNS1_33reduce_by_key_impl_wrapped_configILNS1_25lookback_scan_determinismE0ES3_S9_NS6_6detail15normal_iteratorINS6_10device_ptrIjEEEENSD_INSE_ItEEEENS6_16discard_iteratorINS6_11use_defaultEEESI_PmS8_NS6_8equal_toIjEEEE10hipError_tPvRmT2_T3_mT4_T5_T6_T7_T8_P12ihipStream_tbENKUlT_T0_E_clISt17integral_constantIbLb0EES15_IbLb1EEEEDaS11_S12_EUlS11_E_NS1_11comp_targetILNS1_3genE2ELNS1_11target_archE906ELNS1_3gpuE6ELNS1_3repE0EEENS1_30default_config_static_selectorELNS0_4arch9wavefront6targetE0EEEvT1_: ; @_ZN7rocprim17ROCPRIM_400000_NS6detail17trampoline_kernelINS0_14default_configENS1_29reduce_by_key_config_selectorIjtN6thrust23THRUST_200600_302600_NS4plusItEEEEZZNS1_33reduce_by_key_impl_wrapped_configILNS1_25lookback_scan_determinismE0ES3_S9_NS6_6detail15normal_iteratorINS6_10device_ptrIjEEEENSD_INSE_ItEEEENS6_16discard_iteratorINS6_11use_defaultEEESI_PmS8_NS6_8equal_toIjEEEE10hipError_tPvRmT2_T3_mT4_T5_T6_T7_T8_P12ihipStream_tbENKUlT_T0_E_clISt17integral_constantIbLb0EES15_IbLb1EEEEDaS11_S12_EUlS11_E_NS1_11comp_targetILNS1_3genE2ELNS1_11target_archE906ELNS1_3gpuE6ELNS1_3repE0EEENS1_30default_config_static_selectorELNS0_4arch9wavefront6targetE0EEEvT1_
; %bb.0:
	.section	.rodata,"a",@progbits
	.p2align	6, 0x0
	.amdhsa_kernel _ZN7rocprim17ROCPRIM_400000_NS6detail17trampoline_kernelINS0_14default_configENS1_29reduce_by_key_config_selectorIjtN6thrust23THRUST_200600_302600_NS4plusItEEEEZZNS1_33reduce_by_key_impl_wrapped_configILNS1_25lookback_scan_determinismE0ES3_S9_NS6_6detail15normal_iteratorINS6_10device_ptrIjEEEENSD_INSE_ItEEEENS6_16discard_iteratorINS6_11use_defaultEEESI_PmS8_NS6_8equal_toIjEEEE10hipError_tPvRmT2_T3_mT4_T5_T6_T7_T8_P12ihipStream_tbENKUlT_T0_E_clISt17integral_constantIbLb0EES15_IbLb1EEEEDaS11_S12_EUlS11_E_NS1_11comp_targetILNS1_3genE2ELNS1_11target_archE906ELNS1_3gpuE6ELNS1_3repE0EEENS1_30default_config_static_selectorELNS0_4arch9wavefront6targetE0EEEvT1_
		.amdhsa_group_segment_fixed_size 0
		.amdhsa_private_segment_fixed_size 0
		.amdhsa_kernarg_size 128
		.amdhsa_user_sgpr_count 15
		.amdhsa_user_sgpr_dispatch_ptr 0
		.amdhsa_user_sgpr_queue_ptr 0
		.amdhsa_user_sgpr_kernarg_segment_ptr 1
		.amdhsa_user_sgpr_dispatch_id 0
		.amdhsa_user_sgpr_private_segment_size 0
		.amdhsa_wavefront_size32 1
		.amdhsa_uses_dynamic_stack 0
		.amdhsa_enable_private_segment 0
		.amdhsa_system_sgpr_workgroup_id_x 1
		.amdhsa_system_sgpr_workgroup_id_y 0
		.amdhsa_system_sgpr_workgroup_id_z 0
		.amdhsa_system_sgpr_workgroup_info 0
		.amdhsa_system_vgpr_workitem_id 0
		.amdhsa_next_free_vgpr 1
		.amdhsa_next_free_sgpr 1
		.amdhsa_reserve_vcc 0
		.amdhsa_float_round_mode_32 0
		.amdhsa_float_round_mode_16_64 0
		.amdhsa_float_denorm_mode_32 3
		.amdhsa_float_denorm_mode_16_64 3
		.amdhsa_dx10_clamp 1
		.amdhsa_ieee_mode 1
		.amdhsa_fp16_overflow 0
		.amdhsa_workgroup_processor_mode 1
		.amdhsa_memory_ordered 1
		.amdhsa_forward_progress 0
		.amdhsa_shared_vgpr_count 0
		.amdhsa_exception_fp_ieee_invalid_op 0
		.amdhsa_exception_fp_denorm_src 0
		.amdhsa_exception_fp_ieee_div_zero 0
		.amdhsa_exception_fp_ieee_overflow 0
		.amdhsa_exception_fp_ieee_underflow 0
		.amdhsa_exception_fp_ieee_inexact 0
		.amdhsa_exception_int_div_zero 0
	.end_amdhsa_kernel
	.section	.text._ZN7rocprim17ROCPRIM_400000_NS6detail17trampoline_kernelINS0_14default_configENS1_29reduce_by_key_config_selectorIjtN6thrust23THRUST_200600_302600_NS4plusItEEEEZZNS1_33reduce_by_key_impl_wrapped_configILNS1_25lookback_scan_determinismE0ES3_S9_NS6_6detail15normal_iteratorINS6_10device_ptrIjEEEENSD_INSE_ItEEEENS6_16discard_iteratorINS6_11use_defaultEEESI_PmS8_NS6_8equal_toIjEEEE10hipError_tPvRmT2_T3_mT4_T5_T6_T7_T8_P12ihipStream_tbENKUlT_T0_E_clISt17integral_constantIbLb0EES15_IbLb1EEEEDaS11_S12_EUlS11_E_NS1_11comp_targetILNS1_3genE2ELNS1_11target_archE906ELNS1_3gpuE6ELNS1_3repE0EEENS1_30default_config_static_selectorELNS0_4arch9wavefront6targetE0EEEvT1_,"axG",@progbits,_ZN7rocprim17ROCPRIM_400000_NS6detail17trampoline_kernelINS0_14default_configENS1_29reduce_by_key_config_selectorIjtN6thrust23THRUST_200600_302600_NS4plusItEEEEZZNS1_33reduce_by_key_impl_wrapped_configILNS1_25lookback_scan_determinismE0ES3_S9_NS6_6detail15normal_iteratorINS6_10device_ptrIjEEEENSD_INSE_ItEEEENS6_16discard_iteratorINS6_11use_defaultEEESI_PmS8_NS6_8equal_toIjEEEE10hipError_tPvRmT2_T3_mT4_T5_T6_T7_T8_P12ihipStream_tbENKUlT_T0_E_clISt17integral_constantIbLb0EES15_IbLb1EEEEDaS11_S12_EUlS11_E_NS1_11comp_targetILNS1_3genE2ELNS1_11target_archE906ELNS1_3gpuE6ELNS1_3repE0EEENS1_30default_config_static_selectorELNS0_4arch9wavefront6targetE0EEEvT1_,comdat
.Lfunc_end980:
	.size	_ZN7rocprim17ROCPRIM_400000_NS6detail17trampoline_kernelINS0_14default_configENS1_29reduce_by_key_config_selectorIjtN6thrust23THRUST_200600_302600_NS4plusItEEEEZZNS1_33reduce_by_key_impl_wrapped_configILNS1_25lookback_scan_determinismE0ES3_S9_NS6_6detail15normal_iteratorINS6_10device_ptrIjEEEENSD_INSE_ItEEEENS6_16discard_iteratorINS6_11use_defaultEEESI_PmS8_NS6_8equal_toIjEEEE10hipError_tPvRmT2_T3_mT4_T5_T6_T7_T8_P12ihipStream_tbENKUlT_T0_E_clISt17integral_constantIbLb0EES15_IbLb1EEEEDaS11_S12_EUlS11_E_NS1_11comp_targetILNS1_3genE2ELNS1_11target_archE906ELNS1_3gpuE6ELNS1_3repE0EEENS1_30default_config_static_selectorELNS0_4arch9wavefront6targetE0EEEvT1_, .Lfunc_end980-_ZN7rocprim17ROCPRIM_400000_NS6detail17trampoline_kernelINS0_14default_configENS1_29reduce_by_key_config_selectorIjtN6thrust23THRUST_200600_302600_NS4plusItEEEEZZNS1_33reduce_by_key_impl_wrapped_configILNS1_25lookback_scan_determinismE0ES3_S9_NS6_6detail15normal_iteratorINS6_10device_ptrIjEEEENSD_INSE_ItEEEENS6_16discard_iteratorINS6_11use_defaultEEESI_PmS8_NS6_8equal_toIjEEEE10hipError_tPvRmT2_T3_mT4_T5_T6_T7_T8_P12ihipStream_tbENKUlT_T0_E_clISt17integral_constantIbLb0EES15_IbLb1EEEEDaS11_S12_EUlS11_E_NS1_11comp_targetILNS1_3genE2ELNS1_11target_archE906ELNS1_3gpuE6ELNS1_3repE0EEENS1_30default_config_static_selectorELNS0_4arch9wavefront6targetE0EEEvT1_
                                        ; -- End function
	.section	.AMDGPU.csdata,"",@progbits
; Kernel info:
; codeLenInByte = 0
; NumSgprs: 0
; NumVgprs: 0
; ScratchSize: 0
; MemoryBound: 0
; FloatMode: 240
; IeeeMode: 1
; LDSByteSize: 0 bytes/workgroup (compile time only)
; SGPRBlocks: 0
; VGPRBlocks: 0
; NumSGPRsForWavesPerEU: 1
; NumVGPRsForWavesPerEU: 1
; Occupancy: 16
; WaveLimiterHint : 0
; COMPUTE_PGM_RSRC2:SCRATCH_EN: 0
; COMPUTE_PGM_RSRC2:USER_SGPR: 15
; COMPUTE_PGM_RSRC2:TRAP_HANDLER: 0
; COMPUTE_PGM_RSRC2:TGID_X_EN: 1
; COMPUTE_PGM_RSRC2:TGID_Y_EN: 0
; COMPUTE_PGM_RSRC2:TGID_Z_EN: 0
; COMPUTE_PGM_RSRC2:TIDIG_COMP_CNT: 0
	.section	.text._ZN7rocprim17ROCPRIM_400000_NS6detail17trampoline_kernelINS0_14default_configENS1_29reduce_by_key_config_selectorIjtN6thrust23THRUST_200600_302600_NS4plusItEEEEZZNS1_33reduce_by_key_impl_wrapped_configILNS1_25lookback_scan_determinismE0ES3_S9_NS6_6detail15normal_iteratorINS6_10device_ptrIjEEEENSD_INSE_ItEEEENS6_16discard_iteratorINS6_11use_defaultEEESI_PmS8_NS6_8equal_toIjEEEE10hipError_tPvRmT2_T3_mT4_T5_T6_T7_T8_P12ihipStream_tbENKUlT_T0_E_clISt17integral_constantIbLb0EES15_IbLb1EEEEDaS11_S12_EUlS11_E_NS1_11comp_targetILNS1_3genE10ELNS1_11target_archE1201ELNS1_3gpuE5ELNS1_3repE0EEENS1_30default_config_static_selectorELNS0_4arch9wavefront6targetE0EEEvT1_,"axG",@progbits,_ZN7rocprim17ROCPRIM_400000_NS6detail17trampoline_kernelINS0_14default_configENS1_29reduce_by_key_config_selectorIjtN6thrust23THRUST_200600_302600_NS4plusItEEEEZZNS1_33reduce_by_key_impl_wrapped_configILNS1_25lookback_scan_determinismE0ES3_S9_NS6_6detail15normal_iteratorINS6_10device_ptrIjEEEENSD_INSE_ItEEEENS6_16discard_iteratorINS6_11use_defaultEEESI_PmS8_NS6_8equal_toIjEEEE10hipError_tPvRmT2_T3_mT4_T5_T6_T7_T8_P12ihipStream_tbENKUlT_T0_E_clISt17integral_constantIbLb0EES15_IbLb1EEEEDaS11_S12_EUlS11_E_NS1_11comp_targetILNS1_3genE10ELNS1_11target_archE1201ELNS1_3gpuE5ELNS1_3repE0EEENS1_30default_config_static_selectorELNS0_4arch9wavefront6targetE0EEEvT1_,comdat
	.protected	_ZN7rocprim17ROCPRIM_400000_NS6detail17trampoline_kernelINS0_14default_configENS1_29reduce_by_key_config_selectorIjtN6thrust23THRUST_200600_302600_NS4plusItEEEEZZNS1_33reduce_by_key_impl_wrapped_configILNS1_25lookback_scan_determinismE0ES3_S9_NS6_6detail15normal_iteratorINS6_10device_ptrIjEEEENSD_INSE_ItEEEENS6_16discard_iteratorINS6_11use_defaultEEESI_PmS8_NS6_8equal_toIjEEEE10hipError_tPvRmT2_T3_mT4_T5_T6_T7_T8_P12ihipStream_tbENKUlT_T0_E_clISt17integral_constantIbLb0EES15_IbLb1EEEEDaS11_S12_EUlS11_E_NS1_11comp_targetILNS1_3genE10ELNS1_11target_archE1201ELNS1_3gpuE5ELNS1_3repE0EEENS1_30default_config_static_selectorELNS0_4arch9wavefront6targetE0EEEvT1_ ; -- Begin function _ZN7rocprim17ROCPRIM_400000_NS6detail17trampoline_kernelINS0_14default_configENS1_29reduce_by_key_config_selectorIjtN6thrust23THRUST_200600_302600_NS4plusItEEEEZZNS1_33reduce_by_key_impl_wrapped_configILNS1_25lookback_scan_determinismE0ES3_S9_NS6_6detail15normal_iteratorINS6_10device_ptrIjEEEENSD_INSE_ItEEEENS6_16discard_iteratorINS6_11use_defaultEEESI_PmS8_NS6_8equal_toIjEEEE10hipError_tPvRmT2_T3_mT4_T5_T6_T7_T8_P12ihipStream_tbENKUlT_T0_E_clISt17integral_constantIbLb0EES15_IbLb1EEEEDaS11_S12_EUlS11_E_NS1_11comp_targetILNS1_3genE10ELNS1_11target_archE1201ELNS1_3gpuE5ELNS1_3repE0EEENS1_30default_config_static_selectorELNS0_4arch9wavefront6targetE0EEEvT1_
	.globl	_ZN7rocprim17ROCPRIM_400000_NS6detail17trampoline_kernelINS0_14default_configENS1_29reduce_by_key_config_selectorIjtN6thrust23THRUST_200600_302600_NS4plusItEEEEZZNS1_33reduce_by_key_impl_wrapped_configILNS1_25lookback_scan_determinismE0ES3_S9_NS6_6detail15normal_iteratorINS6_10device_ptrIjEEEENSD_INSE_ItEEEENS6_16discard_iteratorINS6_11use_defaultEEESI_PmS8_NS6_8equal_toIjEEEE10hipError_tPvRmT2_T3_mT4_T5_T6_T7_T8_P12ihipStream_tbENKUlT_T0_E_clISt17integral_constantIbLb0EES15_IbLb1EEEEDaS11_S12_EUlS11_E_NS1_11comp_targetILNS1_3genE10ELNS1_11target_archE1201ELNS1_3gpuE5ELNS1_3repE0EEENS1_30default_config_static_selectorELNS0_4arch9wavefront6targetE0EEEvT1_
	.p2align	8
	.type	_ZN7rocprim17ROCPRIM_400000_NS6detail17trampoline_kernelINS0_14default_configENS1_29reduce_by_key_config_selectorIjtN6thrust23THRUST_200600_302600_NS4plusItEEEEZZNS1_33reduce_by_key_impl_wrapped_configILNS1_25lookback_scan_determinismE0ES3_S9_NS6_6detail15normal_iteratorINS6_10device_ptrIjEEEENSD_INSE_ItEEEENS6_16discard_iteratorINS6_11use_defaultEEESI_PmS8_NS6_8equal_toIjEEEE10hipError_tPvRmT2_T3_mT4_T5_T6_T7_T8_P12ihipStream_tbENKUlT_T0_E_clISt17integral_constantIbLb0EES15_IbLb1EEEEDaS11_S12_EUlS11_E_NS1_11comp_targetILNS1_3genE10ELNS1_11target_archE1201ELNS1_3gpuE5ELNS1_3repE0EEENS1_30default_config_static_selectorELNS0_4arch9wavefront6targetE0EEEvT1_,@function
_ZN7rocprim17ROCPRIM_400000_NS6detail17trampoline_kernelINS0_14default_configENS1_29reduce_by_key_config_selectorIjtN6thrust23THRUST_200600_302600_NS4plusItEEEEZZNS1_33reduce_by_key_impl_wrapped_configILNS1_25lookback_scan_determinismE0ES3_S9_NS6_6detail15normal_iteratorINS6_10device_ptrIjEEEENSD_INSE_ItEEEENS6_16discard_iteratorINS6_11use_defaultEEESI_PmS8_NS6_8equal_toIjEEEE10hipError_tPvRmT2_T3_mT4_T5_T6_T7_T8_P12ihipStream_tbENKUlT_T0_E_clISt17integral_constantIbLb0EES15_IbLb1EEEEDaS11_S12_EUlS11_E_NS1_11comp_targetILNS1_3genE10ELNS1_11target_archE1201ELNS1_3gpuE5ELNS1_3repE0EEENS1_30default_config_static_selectorELNS0_4arch9wavefront6targetE0EEEvT1_: ; @_ZN7rocprim17ROCPRIM_400000_NS6detail17trampoline_kernelINS0_14default_configENS1_29reduce_by_key_config_selectorIjtN6thrust23THRUST_200600_302600_NS4plusItEEEEZZNS1_33reduce_by_key_impl_wrapped_configILNS1_25lookback_scan_determinismE0ES3_S9_NS6_6detail15normal_iteratorINS6_10device_ptrIjEEEENSD_INSE_ItEEEENS6_16discard_iteratorINS6_11use_defaultEEESI_PmS8_NS6_8equal_toIjEEEE10hipError_tPvRmT2_T3_mT4_T5_T6_T7_T8_P12ihipStream_tbENKUlT_T0_E_clISt17integral_constantIbLb0EES15_IbLb1EEEEDaS11_S12_EUlS11_E_NS1_11comp_targetILNS1_3genE10ELNS1_11target_archE1201ELNS1_3gpuE5ELNS1_3repE0EEENS1_30default_config_static_selectorELNS0_4arch9wavefront6targetE0EEEvT1_
; %bb.0:
	.section	.rodata,"a",@progbits
	.p2align	6, 0x0
	.amdhsa_kernel _ZN7rocprim17ROCPRIM_400000_NS6detail17trampoline_kernelINS0_14default_configENS1_29reduce_by_key_config_selectorIjtN6thrust23THRUST_200600_302600_NS4plusItEEEEZZNS1_33reduce_by_key_impl_wrapped_configILNS1_25lookback_scan_determinismE0ES3_S9_NS6_6detail15normal_iteratorINS6_10device_ptrIjEEEENSD_INSE_ItEEEENS6_16discard_iteratorINS6_11use_defaultEEESI_PmS8_NS6_8equal_toIjEEEE10hipError_tPvRmT2_T3_mT4_T5_T6_T7_T8_P12ihipStream_tbENKUlT_T0_E_clISt17integral_constantIbLb0EES15_IbLb1EEEEDaS11_S12_EUlS11_E_NS1_11comp_targetILNS1_3genE10ELNS1_11target_archE1201ELNS1_3gpuE5ELNS1_3repE0EEENS1_30default_config_static_selectorELNS0_4arch9wavefront6targetE0EEEvT1_
		.amdhsa_group_segment_fixed_size 0
		.amdhsa_private_segment_fixed_size 0
		.amdhsa_kernarg_size 128
		.amdhsa_user_sgpr_count 15
		.amdhsa_user_sgpr_dispatch_ptr 0
		.amdhsa_user_sgpr_queue_ptr 0
		.amdhsa_user_sgpr_kernarg_segment_ptr 1
		.amdhsa_user_sgpr_dispatch_id 0
		.amdhsa_user_sgpr_private_segment_size 0
		.amdhsa_wavefront_size32 1
		.amdhsa_uses_dynamic_stack 0
		.amdhsa_enable_private_segment 0
		.amdhsa_system_sgpr_workgroup_id_x 1
		.amdhsa_system_sgpr_workgroup_id_y 0
		.amdhsa_system_sgpr_workgroup_id_z 0
		.amdhsa_system_sgpr_workgroup_info 0
		.amdhsa_system_vgpr_workitem_id 0
		.amdhsa_next_free_vgpr 1
		.amdhsa_next_free_sgpr 1
		.amdhsa_reserve_vcc 0
		.amdhsa_float_round_mode_32 0
		.amdhsa_float_round_mode_16_64 0
		.amdhsa_float_denorm_mode_32 3
		.amdhsa_float_denorm_mode_16_64 3
		.amdhsa_dx10_clamp 1
		.amdhsa_ieee_mode 1
		.amdhsa_fp16_overflow 0
		.amdhsa_workgroup_processor_mode 1
		.amdhsa_memory_ordered 1
		.amdhsa_forward_progress 0
		.amdhsa_shared_vgpr_count 0
		.amdhsa_exception_fp_ieee_invalid_op 0
		.amdhsa_exception_fp_denorm_src 0
		.amdhsa_exception_fp_ieee_div_zero 0
		.amdhsa_exception_fp_ieee_overflow 0
		.amdhsa_exception_fp_ieee_underflow 0
		.amdhsa_exception_fp_ieee_inexact 0
		.amdhsa_exception_int_div_zero 0
	.end_amdhsa_kernel
	.section	.text._ZN7rocprim17ROCPRIM_400000_NS6detail17trampoline_kernelINS0_14default_configENS1_29reduce_by_key_config_selectorIjtN6thrust23THRUST_200600_302600_NS4plusItEEEEZZNS1_33reduce_by_key_impl_wrapped_configILNS1_25lookback_scan_determinismE0ES3_S9_NS6_6detail15normal_iteratorINS6_10device_ptrIjEEEENSD_INSE_ItEEEENS6_16discard_iteratorINS6_11use_defaultEEESI_PmS8_NS6_8equal_toIjEEEE10hipError_tPvRmT2_T3_mT4_T5_T6_T7_T8_P12ihipStream_tbENKUlT_T0_E_clISt17integral_constantIbLb0EES15_IbLb1EEEEDaS11_S12_EUlS11_E_NS1_11comp_targetILNS1_3genE10ELNS1_11target_archE1201ELNS1_3gpuE5ELNS1_3repE0EEENS1_30default_config_static_selectorELNS0_4arch9wavefront6targetE0EEEvT1_,"axG",@progbits,_ZN7rocprim17ROCPRIM_400000_NS6detail17trampoline_kernelINS0_14default_configENS1_29reduce_by_key_config_selectorIjtN6thrust23THRUST_200600_302600_NS4plusItEEEEZZNS1_33reduce_by_key_impl_wrapped_configILNS1_25lookback_scan_determinismE0ES3_S9_NS6_6detail15normal_iteratorINS6_10device_ptrIjEEEENSD_INSE_ItEEEENS6_16discard_iteratorINS6_11use_defaultEEESI_PmS8_NS6_8equal_toIjEEEE10hipError_tPvRmT2_T3_mT4_T5_T6_T7_T8_P12ihipStream_tbENKUlT_T0_E_clISt17integral_constantIbLb0EES15_IbLb1EEEEDaS11_S12_EUlS11_E_NS1_11comp_targetILNS1_3genE10ELNS1_11target_archE1201ELNS1_3gpuE5ELNS1_3repE0EEENS1_30default_config_static_selectorELNS0_4arch9wavefront6targetE0EEEvT1_,comdat
.Lfunc_end981:
	.size	_ZN7rocprim17ROCPRIM_400000_NS6detail17trampoline_kernelINS0_14default_configENS1_29reduce_by_key_config_selectorIjtN6thrust23THRUST_200600_302600_NS4plusItEEEEZZNS1_33reduce_by_key_impl_wrapped_configILNS1_25lookback_scan_determinismE0ES3_S9_NS6_6detail15normal_iteratorINS6_10device_ptrIjEEEENSD_INSE_ItEEEENS6_16discard_iteratorINS6_11use_defaultEEESI_PmS8_NS6_8equal_toIjEEEE10hipError_tPvRmT2_T3_mT4_T5_T6_T7_T8_P12ihipStream_tbENKUlT_T0_E_clISt17integral_constantIbLb0EES15_IbLb1EEEEDaS11_S12_EUlS11_E_NS1_11comp_targetILNS1_3genE10ELNS1_11target_archE1201ELNS1_3gpuE5ELNS1_3repE0EEENS1_30default_config_static_selectorELNS0_4arch9wavefront6targetE0EEEvT1_, .Lfunc_end981-_ZN7rocprim17ROCPRIM_400000_NS6detail17trampoline_kernelINS0_14default_configENS1_29reduce_by_key_config_selectorIjtN6thrust23THRUST_200600_302600_NS4plusItEEEEZZNS1_33reduce_by_key_impl_wrapped_configILNS1_25lookback_scan_determinismE0ES3_S9_NS6_6detail15normal_iteratorINS6_10device_ptrIjEEEENSD_INSE_ItEEEENS6_16discard_iteratorINS6_11use_defaultEEESI_PmS8_NS6_8equal_toIjEEEE10hipError_tPvRmT2_T3_mT4_T5_T6_T7_T8_P12ihipStream_tbENKUlT_T0_E_clISt17integral_constantIbLb0EES15_IbLb1EEEEDaS11_S12_EUlS11_E_NS1_11comp_targetILNS1_3genE10ELNS1_11target_archE1201ELNS1_3gpuE5ELNS1_3repE0EEENS1_30default_config_static_selectorELNS0_4arch9wavefront6targetE0EEEvT1_
                                        ; -- End function
	.section	.AMDGPU.csdata,"",@progbits
; Kernel info:
; codeLenInByte = 0
; NumSgprs: 0
; NumVgprs: 0
; ScratchSize: 0
; MemoryBound: 0
; FloatMode: 240
; IeeeMode: 1
; LDSByteSize: 0 bytes/workgroup (compile time only)
; SGPRBlocks: 0
; VGPRBlocks: 0
; NumSGPRsForWavesPerEU: 1
; NumVGPRsForWavesPerEU: 1
; Occupancy: 16
; WaveLimiterHint : 0
; COMPUTE_PGM_RSRC2:SCRATCH_EN: 0
; COMPUTE_PGM_RSRC2:USER_SGPR: 15
; COMPUTE_PGM_RSRC2:TRAP_HANDLER: 0
; COMPUTE_PGM_RSRC2:TGID_X_EN: 1
; COMPUTE_PGM_RSRC2:TGID_Y_EN: 0
; COMPUTE_PGM_RSRC2:TGID_Z_EN: 0
; COMPUTE_PGM_RSRC2:TIDIG_COMP_CNT: 0
	.section	.text._ZN7rocprim17ROCPRIM_400000_NS6detail17trampoline_kernelINS0_14default_configENS1_29reduce_by_key_config_selectorIjtN6thrust23THRUST_200600_302600_NS4plusItEEEEZZNS1_33reduce_by_key_impl_wrapped_configILNS1_25lookback_scan_determinismE0ES3_S9_NS6_6detail15normal_iteratorINS6_10device_ptrIjEEEENSD_INSE_ItEEEENS6_16discard_iteratorINS6_11use_defaultEEESI_PmS8_NS6_8equal_toIjEEEE10hipError_tPvRmT2_T3_mT4_T5_T6_T7_T8_P12ihipStream_tbENKUlT_T0_E_clISt17integral_constantIbLb0EES15_IbLb1EEEEDaS11_S12_EUlS11_E_NS1_11comp_targetILNS1_3genE10ELNS1_11target_archE1200ELNS1_3gpuE4ELNS1_3repE0EEENS1_30default_config_static_selectorELNS0_4arch9wavefront6targetE0EEEvT1_,"axG",@progbits,_ZN7rocprim17ROCPRIM_400000_NS6detail17trampoline_kernelINS0_14default_configENS1_29reduce_by_key_config_selectorIjtN6thrust23THRUST_200600_302600_NS4plusItEEEEZZNS1_33reduce_by_key_impl_wrapped_configILNS1_25lookback_scan_determinismE0ES3_S9_NS6_6detail15normal_iteratorINS6_10device_ptrIjEEEENSD_INSE_ItEEEENS6_16discard_iteratorINS6_11use_defaultEEESI_PmS8_NS6_8equal_toIjEEEE10hipError_tPvRmT2_T3_mT4_T5_T6_T7_T8_P12ihipStream_tbENKUlT_T0_E_clISt17integral_constantIbLb0EES15_IbLb1EEEEDaS11_S12_EUlS11_E_NS1_11comp_targetILNS1_3genE10ELNS1_11target_archE1200ELNS1_3gpuE4ELNS1_3repE0EEENS1_30default_config_static_selectorELNS0_4arch9wavefront6targetE0EEEvT1_,comdat
	.protected	_ZN7rocprim17ROCPRIM_400000_NS6detail17trampoline_kernelINS0_14default_configENS1_29reduce_by_key_config_selectorIjtN6thrust23THRUST_200600_302600_NS4plusItEEEEZZNS1_33reduce_by_key_impl_wrapped_configILNS1_25lookback_scan_determinismE0ES3_S9_NS6_6detail15normal_iteratorINS6_10device_ptrIjEEEENSD_INSE_ItEEEENS6_16discard_iteratorINS6_11use_defaultEEESI_PmS8_NS6_8equal_toIjEEEE10hipError_tPvRmT2_T3_mT4_T5_T6_T7_T8_P12ihipStream_tbENKUlT_T0_E_clISt17integral_constantIbLb0EES15_IbLb1EEEEDaS11_S12_EUlS11_E_NS1_11comp_targetILNS1_3genE10ELNS1_11target_archE1200ELNS1_3gpuE4ELNS1_3repE0EEENS1_30default_config_static_selectorELNS0_4arch9wavefront6targetE0EEEvT1_ ; -- Begin function _ZN7rocprim17ROCPRIM_400000_NS6detail17trampoline_kernelINS0_14default_configENS1_29reduce_by_key_config_selectorIjtN6thrust23THRUST_200600_302600_NS4plusItEEEEZZNS1_33reduce_by_key_impl_wrapped_configILNS1_25lookback_scan_determinismE0ES3_S9_NS6_6detail15normal_iteratorINS6_10device_ptrIjEEEENSD_INSE_ItEEEENS6_16discard_iteratorINS6_11use_defaultEEESI_PmS8_NS6_8equal_toIjEEEE10hipError_tPvRmT2_T3_mT4_T5_T6_T7_T8_P12ihipStream_tbENKUlT_T0_E_clISt17integral_constantIbLb0EES15_IbLb1EEEEDaS11_S12_EUlS11_E_NS1_11comp_targetILNS1_3genE10ELNS1_11target_archE1200ELNS1_3gpuE4ELNS1_3repE0EEENS1_30default_config_static_selectorELNS0_4arch9wavefront6targetE0EEEvT1_
	.globl	_ZN7rocprim17ROCPRIM_400000_NS6detail17trampoline_kernelINS0_14default_configENS1_29reduce_by_key_config_selectorIjtN6thrust23THRUST_200600_302600_NS4plusItEEEEZZNS1_33reduce_by_key_impl_wrapped_configILNS1_25lookback_scan_determinismE0ES3_S9_NS6_6detail15normal_iteratorINS6_10device_ptrIjEEEENSD_INSE_ItEEEENS6_16discard_iteratorINS6_11use_defaultEEESI_PmS8_NS6_8equal_toIjEEEE10hipError_tPvRmT2_T3_mT4_T5_T6_T7_T8_P12ihipStream_tbENKUlT_T0_E_clISt17integral_constantIbLb0EES15_IbLb1EEEEDaS11_S12_EUlS11_E_NS1_11comp_targetILNS1_3genE10ELNS1_11target_archE1200ELNS1_3gpuE4ELNS1_3repE0EEENS1_30default_config_static_selectorELNS0_4arch9wavefront6targetE0EEEvT1_
	.p2align	8
	.type	_ZN7rocprim17ROCPRIM_400000_NS6detail17trampoline_kernelINS0_14default_configENS1_29reduce_by_key_config_selectorIjtN6thrust23THRUST_200600_302600_NS4plusItEEEEZZNS1_33reduce_by_key_impl_wrapped_configILNS1_25lookback_scan_determinismE0ES3_S9_NS6_6detail15normal_iteratorINS6_10device_ptrIjEEEENSD_INSE_ItEEEENS6_16discard_iteratorINS6_11use_defaultEEESI_PmS8_NS6_8equal_toIjEEEE10hipError_tPvRmT2_T3_mT4_T5_T6_T7_T8_P12ihipStream_tbENKUlT_T0_E_clISt17integral_constantIbLb0EES15_IbLb1EEEEDaS11_S12_EUlS11_E_NS1_11comp_targetILNS1_3genE10ELNS1_11target_archE1200ELNS1_3gpuE4ELNS1_3repE0EEENS1_30default_config_static_selectorELNS0_4arch9wavefront6targetE0EEEvT1_,@function
_ZN7rocprim17ROCPRIM_400000_NS6detail17trampoline_kernelINS0_14default_configENS1_29reduce_by_key_config_selectorIjtN6thrust23THRUST_200600_302600_NS4plusItEEEEZZNS1_33reduce_by_key_impl_wrapped_configILNS1_25lookback_scan_determinismE0ES3_S9_NS6_6detail15normal_iteratorINS6_10device_ptrIjEEEENSD_INSE_ItEEEENS6_16discard_iteratorINS6_11use_defaultEEESI_PmS8_NS6_8equal_toIjEEEE10hipError_tPvRmT2_T3_mT4_T5_T6_T7_T8_P12ihipStream_tbENKUlT_T0_E_clISt17integral_constantIbLb0EES15_IbLb1EEEEDaS11_S12_EUlS11_E_NS1_11comp_targetILNS1_3genE10ELNS1_11target_archE1200ELNS1_3gpuE4ELNS1_3repE0EEENS1_30default_config_static_selectorELNS0_4arch9wavefront6targetE0EEEvT1_: ; @_ZN7rocprim17ROCPRIM_400000_NS6detail17trampoline_kernelINS0_14default_configENS1_29reduce_by_key_config_selectorIjtN6thrust23THRUST_200600_302600_NS4plusItEEEEZZNS1_33reduce_by_key_impl_wrapped_configILNS1_25lookback_scan_determinismE0ES3_S9_NS6_6detail15normal_iteratorINS6_10device_ptrIjEEEENSD_INSE_ItEEEENS6_16discard_iteratorINS6_11use_defaultEEESI_PmS8_NS6_8equal_toIjEEEE10hipError_tPvRmT2_T3_mT4_T5_T6_T7_T8_P12ihipStream_tbENKUlT_T0_E_clISt17integral_constantIbLb0EES15_IbLb1EEEEDaS11_S12_EUlS11_E_NS1_11comp_targetILNS1_3genE10ELNS1_11target_archE1200ELNS1_3gpuE4ELNS1_3repE0EEENS1_30default_config_static_selectorELNS0_4arch9wavefront6targetE0EEEvT1_
; %bb.0:
	.section	.rodata,"a",@progbits
	.p2align	6, 0x0
	.amdhsa_kernel _ZN7rocprim17ROCPRIM_400000_NS6detail17trampoline_kernelINS0_14default_configENS1_29reduce_by_key_config_selectorIjtN6thrust23THRUST_200600_302600_NS4plusItEEEEZZNS1_33reduce_by_key_impl_wrapped_configILNS1_25lookback_scan_determinismE0ES3_S9_NS6_6detail15normal_iteratorINS6_10device_ptrIjEEEENSD_INSE_ItEEEENS6_16discard_iteratorINS6_11use_defaultEEESI_PmS8_NS6_8equal_toIjEEEE10hipError_tPvRmT2_T3_mT4_T5_T6_T7_T8_P12ihipStream_tbENKUlT_T0_E_clISt17integral_constantIbLb0EES15_IbLb1EEEEDaS11_S12_EUlS11_E_NS1_11comp_targetILNS1_3genE10ELNS1_11target_archE1200ELNS1_3gpuE4ELNS1_3repE0EEENS1_30default_config_static_selectorELNS0_4arch9wavefront6targetE0EEEvT1_
		.amdhsa_group_segment_fixed_size 0
		.amdhsa_private_segment_fixed_size 0
		.amdhsa_kernarg_size 128
		.amdhsa_user_sgpr_count 15
		.amdhsa_user_sgpr_dispatch_ptr 0
		.amdhsa_user_sgpr_queue_ptr 0
		.amdhsa_user_sgpr_kernarg_segment_ptr 1
		.amdhsa_user_sgpr_dispatch_id 0
		.amdhsa_user_sgpr_private_segment_size 0
		.amdhsa_wavefront_size32 1
		.amdhsa_uses_dynamic_stack 0
		.amdhsa_enable_private_segment 0
		.amdhsa_system_sgpr_workgroup_id_x 1
		.amdhsa_system_sgpr_workgroup_id_y 0
		.amdhsa_system_sgpr_workgroup_id_z 0
		.amdhsa_system_sgpr_workgroup_info 0
		.amdhsa_system_vgpr_workitem_id 0
		.amdhsa_next_free_vgpr 1
		.amdhsa_next_free_sgpr 1
		.amdhsa_reserve_vcc 0
		.amdhsa_float_round_mode_32 0
		.amdhsa_float_round_mode_16_64 0
		.amdhsa_float_denorm_mode_32 3
		.amdhsa_float_denorm_mode_16_64 3
		.amdhsa_dx10_clamp 1
		.amdhsa_ieee_mode 1
		.amdhsa_fp16_overflow 0
		.amdhsa_workgroup_processor_mode 1
		.amdhsa_memory_ordered 1
		.amdhsa_forward_progress 0
		.amdhsa_shared_vgpr_count 0
		.amdhsa_exception_fp_ieee_invalid_op 0
		.amdhsa_exception_fp_denorm_src 0
		.amdhsa_exception_fp_ieee_div_zero 0
		.amdhsa_exception_fp_ieee_overflow 0
		.amdhsa_exception_fp_ieee_underflow 0
		.amdhsa_exception_fp_ieee_inexact 0
		.amdhsa_exception_int_div_zero 0
	.end_amdhsa_kernel
	.section	.text._ZN7rocprim17ROCPRIM_400000_NS6detail17trampoline_kernelINS0_14default_configENS1_29reduce_by_key_config_selectorIjtN6thrust23THRUST_200600_302600_NS4plusItEEEEZZNS1_33reduce_by_key_impl_wrapped_configILNS1_25lookback_scan_determinismE0ES3_S9_NS6_6detail15normal_iteratorINS6_10device_ptrIjEEEENSD_INSE_ItEEEENS6_16discard_iteratorINS6_11use_defaultEEESI_PmS8_NS6_8equal_toIjEEEE10hipError_tPvRmT2_T3_mT4_T5_T6_T7_T8_P12ihipStream_tbENKUlT_T0_E_clISt17integral_constantIbLb0EES15_IbLb1EEEEDaS11_S12_EUlS11_E_NS1_11comp_targetILNS1_3genE10ELNS1_11target_archE1200ELNS1_3gpuE4ELNS1_3repE0EEENS1_30default_config_static_selectorELNS0_4arch9wavefront6targetE0EEEvT1_,"axG",@progbits,_ZN7rocprim17ROCPRIM_400000_NS6detail17trampoline_kernelINS0_14default_configENS1_29reduce_by_key_config_selectorIjtN6thrust23THRUST_200600_302600_NS4plusItEEEEZZNS1_33reduce_by_key_impl_wrapped_configILNS1_25lookback_scan_determinismE0ES3_S9_NS6_6detail15normal_iteratorINS6_10device_ptrIjEEEENSD_INSE_ItEEEENS6_16discard_iteratorINS6_11use_defaultEEESI_PmS8_NS6_8equal_toIjEEEE10hipError_tPvRmT2_T3_mT4_T5_T6_T7_T8_P12ihipStream_tbENKUlT_T0_E_clISt17integral_constantIbLb0EES15_IbLb1EEEEDaS11_S12_EUlS11_E_NS1_11comp_targetILNS1_3genE10ELNS1_11target_archE1200ELNS1_3gpuE4ELNS1_3repE0EEENS1_30default_config_static_selectorELNS0_4arch9wavefront6targetE0EEEvT1_,comdat
.Lfunc_end982:
	.size	_ZN7rocprim17ROCPRIM_400000_NS6detail17trampoline_kernelINS0_14default_configENS1_29reduce_by_key_config_selectorIjtN6thrust23THRUST_200600_302600_NS4plusItEEEEZZNS1_33reduce_by_key_impl_wrapped_configILNS1_25lookback_scan_determinismE0ES3_S9_NS6_6detail15normal_iteratorINS6_10device_ptrIjEEEENSD_INSE_ItEEEENS6_16discard_iteratorINS6_11use_defaultEEESI_PmS8_NS6_8equal_toIjEEEE10hipError_tPvRmT2_T3_mT4_T5_T6_T7_T8_P12ihipStream_tbENKUlT_T0_E_clISt17integral_constantIbLb0EES15_IbLb1EEEEDaS11_S12_EUlS11_E_NS1_11comp_targetILNS1_3genE10ELNS1_11target_archE1200ELNS1_3gpuE4ELNS1_3repE0EEENS1_30default_config_static_selectorELNS0_4arch9wavefront6targetE0EEEvT1_, .Lfunc_end982-_ZN7rocprim17ROCPRIM_400000_NS6detail17trampoline_kernelINS0_14default_configENS1_29reduce_by_key_config_selectorIjtN6thrust23THRUST_200600_302600_NS4plusItEEEEZZNS1_33reduce_by_key_impl_wrapped_configILNS1_25lookback_scan_determinismE0ES3_S9_NS6_6detail15normal_iteratorINS6_10device_ptrIjEEEENSD_INSE_ItEEEENS6_16discard_iteratorINS6_11use_defaultEEESI_PmS8_NS6_8equal_toIjEEEE10hipError_tPvRmT2_T3_mT4_T5_T6_T7_T8_P12ihipStream_tbENKUlT_T0_E_clISt17integral_constantIbLb0EES15_IbLb1EEEEDaS11_S12_EUlS11_E_NS1_11comp_targetILNS1_3genE10ELNS1_11target_archE1200ELNS1_3gpuE4ELNS1_3repE0EEENS1_30default_config_static_selectorELNS0_4arch9wavefront6targetE0EEEvT1_
                                        ; -- End function
	.section	.AMDGPU.csdata,"",@progbits
; Kernel info:
; codeLenInByte = 0
; NumSgprs: 0
; NumVgprs: 0
; ScratchSize: 0
; MemoryBound: 0
; FloatMode: 240
; IeeeMode: 1
; LDSByteSize: 0 bytes/workgroup (compile time only)
; SGPRBlocks: 0
; VGPRBlocks: 0
; NumSGPRsForWavesPerEU: 1
; NumVGPRsForWavesPerEU: 1
; Occupancy: 16
; WaveLimiterHint : 0
; COMPUTE_PGM_RSRC2:SCRATCH_EN: 0
; COMPUTE_PGM_RSRC2:USER_SGPR: 15
; COMPUTE_PGM_RSRC2:TRAP_HANDLER: 0
; COMPUTE_PGM_RSRC2:TGID_X_EN: 1
; COMPUTE_PGM_RSRC2:TGID_Y_EN: 0
; COMPUTE_PGM_RSRC2:TGID_Z_EN: 0
; COMPUTE_PGM_RSRC2:TIDIG_COMP_CNT: 0
	.section	.text._ZN7rocprim17ROCPRIM_400000_NS6detail17trampoline_kernelINS0_14default_configENS1_29reduce_by_key_config_selectorIjtN6thrust23THRUST_200600_302600_NS4plusItEEEEZZNS1_33reduce_by_key_impl_wrapped_configILNS1_25lookback_scan_determinismE0ES3_S9_NS6_6detail15normal_iteratorINS6_10device_ptrIjEEEENSD_INSE_ItEEEENS6_16discard_iteratorINS6_11use_defaultEEESI_PmS8_NS6_8equal_toIjEEEE10hipError_tPvRmT2_T3_mT4_T5_T6_T7_T8_P12ihipStream_tbENKUlT_T0_E_clISt17integral_constantIbLb0EES15_IbLb1EEEEDaS11_S12_EUlS11_E_NS1_11comp_targetILNS1_3genE9ELNS1_11target_archE1100ELNS1_3gpuE3ELNS1_3repE0EEENS1_30default_config_static_selectorELNS0_4arch9wavefront6targetE0EEEvT1_,"axG",@progbits,_ZN7rocprim17ROCPRIM_400000_NS6detail17trampoline_kernelINS0_14default_configENS1_29reduce_by_key_config_selectorIjtN6thrust23THRUST_200600_302600_NS4plusItEEEEZZNS1_33reduce_by_key_impl_wrapped_configILNS1_25lookback_scan_determinismE0ES3_S9_NS6_6detail15normal_iteratorINS6_10device_ptrIjEEEENSD_INSE_ItEEEENS6_16discard_iteratorINS6_11use_defaultEEESI_PmS8_NS6_8equal_toIjEEEE10hipError_tPvRmT2_T3_mT4_T5_T6_T7_T8_P12ihipStream_tbENKUlT_T0_E_clISt17integral_constantIbLb0EES15_IbLb1EEEEDaS11_S12_EUlS11_E_NS1_11comp_targetILNS1_3genE9ELNS1_11target_archE1100ELNS1_3gpuE3ELNS1_3repE0EEENS1_30default_config_static_selectorELNS0_4arch9wavefront6targetE0EEEvT1_,comdat
	.protected	_ZN7rocprim17ROCPRIM_400000_NS6detail17trampoline_kernelINS0_14default_configENS1_29reduce_by_key_config_selectorIjtN6thrust23THRUST_200600_302600_NS4plusItEEEEZZNS1_33reduce_by_key_impl_wrapped_configILNS1_25lookback_scan_determinismE0ES3_S9_NS6_6detail15normal_iteratorINS6_10device_ptrIjEEEENSD_INSE_ItEEEENS6_16discard_iteratorINS6_11use_defaultEEESI_PmS8_NS6_8equal_toIjEEEE10hipError_tPvRmT2_T3_mT4_T5_T6_T7_T8_P12ihipStream_tbENKUlT_T0_E_clISt17integral_constantIbLb0EES15_IbLb1EEEEDaS11_S12_EUlS11_E_NS1_11comp_targetILNS1_3genE9ELNS1_11target_archE1100ELNS1_3gpuE3ELNS1_3repE0EEENS1_30default_config_static_selectorELNS0_4arch9wavefront6targetE0EEEvT1_ ; -- Begin function _ZN7rocprim17ROCPRIM_400000_NS6detail17trampoline_kernelINS0_14default_configENS1_29reduce_by_key_config_selectorIjtN6thrust23THRUST_200600_302600_NS4plusItEEEEZZNS1_33reduce_by_key_impl_wrapped_configILNS1_25lookback_scan_determinismE0ES3_S9_NS6_6detail15normal_iteratorINS6_10device_ptrIjEEEENSD_INSE_ItEEEENS6_16discard_iteratorINS6_11use_defaultEEESI_PmS8_NS6_8equal_toIjEEEE10hipError_tPvRmT2_T3_mT4_T5_T6_T7_T8_P12ihipStream_tbENKUlT_T0_E_clISt17integral_constantIbLb0EES15_IbLb1EEEEDaS11_S12_EUlS11_E_NS1_11comp_targetILNS1_3genE9ELNS1_11target_archE1100ELNS1_3gpuE3ELNS1_3repE0EEENS1_30default_config_static_selectorELNS0_4arch9wavefront6targetE0EEEvT1_
	.globl	_ZN7rocprim17ROCPRIM_400000_NS6detail17trampoline_kernelINS0_14default_configENS1_29reduce_by_key_config_selectorIjtN6thrust23THRUST_200600_302600_NS4plusItEEEEZZNS1_33reduce_by_key_impl_wrapped_configILNS1_25lookback_scan_determinismE0ES3_S9_NS6_6detail15normal_iteratorINS6_10device_ptrIjEEEENSD_INSE_ItEEEENS6_16discard_iteratorINS6_11use_defaultEEESI_PmS8_NS6_8equal_toIjEEEE10hipError_tPvRmT2_T3_mT4_T5_T6_T7_T8_P12ihipStream_tbENKUlT_T0_E_clISt17integral_constantIbLb0EES15_IbLb1EEEEDaS11_S12_EUlS11_E_NS1_11comp_targetILNS1_3genE9ELNS1_11target_archE1100ELNS1_3gpuE3ELNS1_3repE0EEENS1_30default_config_static_selectorELNS0_4arch9wavefront6targetE0EEEvT1_
	.p2align	8
	.type	_ZN7rocprim17ROCPRIM_400000_NS6detail17trampoline_kernelINS0_14default_configENS1_29reduce_by_key_config_selectorIjtN6thrust23THRUST_200600_302600_NS4plusItEEEEZZNS1_33reduce_by_key_impl_wrapped_configILNS1_25lookback_scan_determinismE0ES3_S9_NS6_6detail15normal_iteratorINS6_10device_ptrIjEEEENSD_INSE_ItEEEENS6_16discard_iteratorINS6_11use_defaultEEESI_PmS8_NS6_8equal_toIjEEEE10hipError_tPvRmT2_T3_mT4_T5_T6_T7_T8_P12ihipStream_tbENKUlT_T0_E_clISt17integral_constantIbLb0EES15_IbLb1EEEEDaS11_S12_EUlS11_E_NS1_11comp_targetILNS1_3genE9ELNS1_11target_archE1100ELNS1_3gpuE3ELNS1_3repE0EEENS1_30default_config_static_selectorELNS0_4arch9wavefront6targetE0EEEvT1_,@function
_ZN7rocprim17ROCPRIM_400000_NS6detail17trampoline_kernelINS0_14default_configENS1_29reduce_by_key_config_selectorIjtN6thrust23THRUST_200600_302600_NS4plusItEEEEZZNS1_33reduce_by_key_impl_wrapped_configILNS1_25lookback_scan_determinismE0ES3_S9_NS6_6detail15normal_iteratorINS6_10device_ptrIjEEEENSD_INSE_ItEEEENS6_16discard_iteratorINS6_11use_defaultEEESI_PmS8_NS6_8equal_toIjEEEE10hipError_tPvRmT2_T3_mT4_T5_T6_T7_T8_P12ihipStream_tbENKUlT_T0_E_clISt17integral_constantIbLb0EES15_IbLb1EEEEDaS11_S12_EUlS11_E_NS1_11comp_targetILNS1_3genE9ELNS1_11target_archE1100ELNS1_3gpuE3ELNS1_3repE0EEENS1_30default_config_static_selectorELNS0_4arch9wavefront6targetE0EEEvT1_: ; @_ZN7rocprim17ROCPRIM_400000_NS6detail17trampoline_kernelINS0_14default_configENS1_29reduce_by_key_config_selectorIjtN6thrust23THRUST_200600_302600_NS4plusItEEEEZZNS1_33reduce_by_key_impl_wrapped_configILNS1_25lookback_scan_determinismE0ES3_S9_NS6_6detail15normal_iteratorINS6_10device_ptrIjEEEENSD_INSE_ItEEEENS6_16discard_iteratorINS6_11use_defaultEEESI_PmS8_NS6_8equal_toIjEEEE10hipError_tPvRmT2_T3_mT4_T5_T6_T7_T8_P12ihipStream_tbENKUlT_T0_E_clISt17integral_constantIbLb0EES15_IbLb1EEEEDaS11_S12_EUlS11_E_NS1_11comp_targetILNS1_3genE9ELNS1_11target_archE1100ELNS1_3gpuE3ELNS1_3repE0EEENS1_30default_config_static_selectorELNS0_4arch9wavefront6targetE0EEEvT1_
; %bb.0:
	s_clause 0x4
	s_load_b128 s[4:7], s[0:1], 0x0
	s_load_b64 s[8:9], s[0:1], 0x10
	s_load_b64 s[18:19], s[0:1], 0x70
	s_load_b128 s[36:39], s[0:1], 0x60
	s_load_b256 s[20:27], s[0:1], 0x40
	v_cmp_ne_u32_e64 s3, 0, v0
	v_cmp_eq_u32_e64 s2, 0, v0
	s_delay_alu instid0(VALU_DEP_1)
	s_and_saveexec_b32 s10, s2
	s_cbranch_execz .LBB983_4
; %bb.1:
	s_mov_b32 s12, exec_lo
	s_mov_b32 s11, exec_lo
	v_mbcnt_lo_u32_b32 v1, s12, 0
                                        ; implicit-def: $vgpr2
	s_delay_alu instid0(VALU_DEP_1)
	v_cmpx_eq_u32_e32 0, v1
	s_cbranch_execz .LBB983_3
; %bb.2:
	s_load_b64 s[14:15], s[0:1], 0x78
	s_bcnt1_i32_b32 s12, s12
	s_delay_alu instid0(SALU_CYCLE_1)
	v_dual_mov_b32 v2, 0 :: v_dual_mov_b32 v3, s12
	s_waitcnt lgkmcnt(0)
	global_atomic_add_u32 v2, v2, v3, s[14:15] glc
.LBB983_3:
	s_or_b32 exec_lo, exec_lo, s11
	s_waitcnt vmcnt(0)
	v_readfirstlane_b32 s11, v2
	s_delay_alu instid0(VALU_DEP_1)
	v_dual_mov_b32 v2, 0 :: v_dual_add_nc_u32 v1, s11, v1
	ds_store_b32 v2, v1
.LBB983_4:
	s_or_b32 exec_lo, exec_lo, s10
	v_mov_b32_e32 v2, 0
	s_waitcnt lgkmcnt(0)
	s_barrier
	buffer_gl0_inv
	s_load_b128 s[28:31], s[0:1], 0x28
	ds_load_b32 v1, v2
	s_lshl_b64 s[0:1], s[6:7], 2
	s_mul_i32 s10, s24, s23
	s_add_u32 s14, s4, s0
	s_addc_u32 s1, s5, s1
	s_lshl_b64 s[4:5], s[6:7], 1
	s_mul_hi_u32 s11, s24, s22
	s_add_u32 s6, s8, s4
	s_mul_i32 s12, s25, s22
	s_addc_u32 s7, s9, s5
	s_add_i32 s4, s11, s10
	s_mul_i32 s13, s24, s22
	s_add_i32 s4, s4, s12
	v_mad_u32_u24 v3, v0, 15, 1
	v_mad_u32_u24 v20, v0, 15, 2
	;; [unrolled: 1-line block ×7, first 2 shown]
	s_waitcnt lgkmcnt(0)
	v_readfirstlane_b32 s33, v1
	v_mul_lo_u32 v1, 0xf00, v1
	v_mad_u32_u24 v32, v0, 15, 8
	v_mad_u32_u24 v34, v0, 15, 9
	v_mad_u32_u24 v36, v0, 15, 10
	s_add_u32 s24, s13, s33
	s_addc_u32 s25, s4, 0
	s_add_u32 s4, s26, -1
	s_addc_u32 s5, s27, -1
	v_lshlrev_b64 v[4:5], 2, v[1:2]
	v_lshlrev_b64 v[6:7], 1, v[1:2]
	s_cmp_eq_u64 s[24:25], s[4:5]
	v_mad_u32_u24 v38, v0, 15, 11
	v_mad_u32_u24 v40, v0, 15, 12
	;; [unrolled: 1-line block ×3, first 2 shown]
	v_add_co_u32 v4, vcc_lo, s14, v4
	v_add_co_ci_u32_e32 v2, vcc_lo, s1, v5, vcc_lo
	v_lshlrev_b32_e32 v5, 2, v0
	v_add_co_u32 v21, vcc_lo, s6, v6
	v_add_co_ci_u32_e32 v23, vcc_lo, s7, v7, vcc_lo
	v_mad_u32_u24 v1, v0, 15, 14
	s_cselect_b32 s17, -1, 0
	s_cmp_lg_u64 s[24:25], s[4:5]
	s_mov_b32 s0, 0
	s_cselect_b32 s34, -1, 0
	s_and_b32 vcc_lo, exec_lo, s17
	s_mul_i32 s26, s4, 0xfffff100
	s_barrier
	buffer_gl0_inv
	s_cbranch_vccnz .LBB983_6
; %bb.5:
	v_add_co_u32 v6, vcc_lo, v4, v5
	v_add_co_ci_u32_e32 v7, vcc_lo, 0, v2, vcc_lo
	v_mad_u32_u24 v29, v0, 56, v5
	s_delay_alu instid0(VALU_DEP_3) | instskip(NEXT) | instid1(VALU_DEP_3)
	v_add_co_u32 v8, vcc_lo, 0x1000, v6
	v_add_co_ci_u32_e32 v9, vcc_lo, 0, v7, vcc_lo
	s_clause 0x7
	flat_load_b32 v10, v[6:7]
	flat_load_b32 v11, v[6:7] offset:1024
	flat_load_b32 v12, v[6:7] offset:2048
	;; [unrolled: 1-line block ×3, first 2 shown]
	flat_load_b32 v14, v[8:9]
	flat_load_b32 v15, v[8:9] offset:1024
	flat_load_b32 v16, v[8:9] offset:2048
	;; [unrolled: 1-line block ×3, first 2 shown]
	v_add_co_u32 v8, vcc_lo, 0x2000, v6
	v_add_co_ci_u32_e32 v9, vcc_lo, 0, v7, vcc_lo
	v_add_co_u32 v6, vcc_lo, 0x3000, v6
	v_add_co_ci_u32_e32 v7, vcc_lo, 0, v7, vcc_lo
	s_clause 0x6
	flat_load_b32 v18, v[8:9]
	flat_load_b32 v19, v[8:9] offset:1024
	flat_load_b32 v25, v[8:9] offset:2048
	;; [unrolled: 1-line block ×3, first 2 shown]
	flat_load_b32 v9, v[6:7]
	flat_load_b32 v27, v[6:7] offset:1024
	flat_load_b32 v6, v[6:7] offset:2048
	v_lshlrev_b32_e32 v7, 1, v0
	s_waitcnt vmcnt(13) lgkmcnt(13)
	ds_store_2addr_stride64_b32 v5, v10, v11 offset1:4
	s_waitcnt vmcnt(11) lgkmcnt(12)
	ds_store_2addr_stride64_b32 v5, v12, v13 offset0:8 offset1:12
	s_waitcnt vmcnt(9) lgkmcnt(11)
	ds_store_2addr_stride64_b32 v5, v14, v15 offset0:16 offset1:20
	s_waitcnt vmcnt(7) lgkmcnt(10)
	ds_store_2addr_stride64_b32 v5, v16, v17 offset0:24 offset1:28
	s_waitcnt vmcnt(5) lgkmcnt(9)
	ds_store_2addr_stride64_b32 v5, v18, v19 offset0:32 offset1:36
	s_waitcnt vmcnt(3) lgkmcnt(8)
	ds_store_2addr_stride64_b32 v5, v25, v8 offset0:40 offset1:44
	s_waitcnt vmcnt(1) lgkmcnt(7)
	ds_store_2addr_stride64_b32 v5, v9, v27 offset0:48 offset1:52
	s_waitcnt vmcnt(0) lgkmcnt(7)
	ds_store_b32 v5, v6 offset:14336
	v_add_co_u32 v43, vcc_lo, v21, v7
	v_add_co_ci_u32_e32 v44, vcc_lo, 0, v23, vcc_lo
	s_waitcnt lgkmcnt(0)
	s_delay_alu instid0(VALU_DEP_2) | instskip(NEXT) | instid1(VALU_DEP_2)
	v_add_co_u32 v45, vcc_lo, 0x1000, v43
	v_add_co_ci_u32_e32 v46, vcc_lo, 0, v44, vcc_lo
	s_barrier
	buffer_gl0_inv
	ds_load_2addr_b32 v[18:19], v29 offset1:1
	ds_load_2addr_b32 v[16:17], v29 offset0:2 offset1:3
	ds_load_2addr_b32 v[14:15], v29 offset0:4 offset1:5
	;; [unrolled: 1-line block ×6, first 2 shown]
	ds_load_b32 v52, v29 offset:56
	s_waitcnt lgkmcnt(0)
	s_barrier
	buffer_gl0_inv
	s_clause 0xe
	flat_load_u16 v27, v[43:44]
	flat_load_u16 v31, v[43:44] offset:512
	flat_load_u16 v33, v[43:44] offset:1024
	;; [unrolled: 1-line block ×7, first 2 shown]
	flat_load_u16 v44, v[45:46]
	flat_load_u16 v47, v[45:46] offset:512
	flat_load_u16 v48, v[45:46] offset:1024
	;; [unrolled: 1-line block ×6, first 2 shown]
	v_mad_i32_i24 v29, 0xffffffc6, v0, v29
	v_mul_u32_u24_e32 v25, 15, v0
	s_waitcnt vmcnt(14) lgkmcnt(14)
	ds_store_b16 v29, v27
	s_waitcnt vmcnt(13) lgkmcnt(14)
	ds_store_b16 v29, v31 offset:512
	s_waitcnt vmcnt(12) lgkmcnt(14)
	ds_store_b16 v29, v33 offset:1024
	s_waitcnt vmcnt(11) lgkmcnt(14)
	ds_store_b16 v29, v35 offset:1536
	s_waitcnt vmcnt(10) lgkmcnt(14)
	ds_store_b16 v29, v37 offset:2048
	s_waitcnt vmcnt(9) lgkmcnt(14)
	ds_store_b16 v29, v39 offset:2560
	s_waitcnt vmcnt(8) lgkmcnt(14)
	ds_store_b16 v29, v41 offset:3072
	s_waitcnt vmcnt(7) lgkmcnt(14)
	ds_store_b16 v29, v43 offset:3584
	s_waitcnt vmcnt(6) lgkmcnt(14)
	ds_store_b16 v29, v44 offset:4096
	s_waitcnt vmcnt(5) lgkmcnt(14)
	ds_store_b16 v29, v47 offset:4608
	s_waitcnt vmcnt(4) lgkmcnt(14)
	ds_store_b16 v29, v48 offset:5120
	s_waitcnt vmcnt(3) lgkmcnt(14)
	ds_store_b16 v29, v49 offset:5632
	s_waitcnt vmcnt(2) lgkmcnt(14)
	ds_store_b16 v29, v50 offset:6144
	s_waitcnt vmcnt(1) lgkmcnt(14)
	ds_store_b16 v29, v51 offset:6656
	s_waitcnt vmcnt(0) lgkmcnt(14)
	ds_store_b16 v29, v45 offset:7168
	s_waitcnt lgkmcnt(0)
	s_barrier
	s_branch .LBB983_7
.LBB983_6:
	s_mov_b32 s0, -1
                                        ; implicit-def: $vgpr25
                                        ; implicit-def: $vgpr18
                                        ; implicit-def: $vgpr16
                                        ; implicit-def: $vgpr14
                                        ; implicit-def: $vgpr12
                                        ; implicit-def: $vgpr10
                                        ; implicit-def: $vgpr8
                                        ; implicit-def: $vgpr6
                                        ; implicit-def: $vgpr52
.LBB983_7:
	v_dual_mov_b32 v27, v1 :: v_dual_mov_b32 v54, v26
	v_dual_mov_b32 v29, v42 :: v_dual_mov_b32 v58, v3
	;; [unrolled: 1-line block ×3, first 2 shown]
	v_mov_b32_e32 v39, v38
	v_mov_b32_e32 v31, v36
	;; [unrolled: 1-line block ×8, first 2 shown]
	s_and_not1_b32 vcc_lo, exec_lo, s0
	s_add_i32 s26, s26, s36
	s_cbranch_vccnz .LBB983_69
; %bb.8:
	v_cmp_gt_u32_e32 vcc_lo, s26, v0
                                        ; implicit-def: $vgpr6
	s_and_saveexec_b32 s1, vcc_lo
	s_cbranch_execz .LBB983_10
; %bb.9:
	v_add_co_u32 v6, s0, v4, v5
	s_delay_alu instid0(VALU_DEP_1)
	v_add_co_ci_u32_e64 v7, s0, 0, v2, s0
	flat_load_b32 v6, v[6:7]
.LBB983_10:
	s_or_b32 exec_lo, exec_lo, s1
	v_or_b32_e32 v7, 0x100, v0
	s_delay_alu instid0(VALU_DEP_1) | instskip(NEXT) | instid1(VALU_DEP_1)
	v_cmp_gt_u32_e64 s0, s26, v7
                                        ; implicit-def: $vgpr7
	s_and_saveexec_b32 s4, s0
	s_cbranch_execz .LBB983_12
; %bb.11:
	v_add_co_u32 v7, s1, v4, v5
	s_delay_alu instid0(VALU_DEP_1)
	v_add_co_ci_u32_e64 v8, s1, 0, v2, s1
	flat_load_b32 v7, v[7:8] offset:1024
.LBB983_12:
	s_or_b32 exec_lo, exec_lo, s4
	v_or_b32_e32 v8, 0x200, v0
	s_delay_alu instid0(VALU_DEP_1) | instskip(NEXT) | instid1(VALU_DEP_1)
	v_cmp_gt_u32_e64 s1, s26, v8
                                        ; implicit-def: $vgpr8
	s_and_saveexec_b32 s5, s1
	s_cbranch_execz .LBB983_14
; %bb.13:
	v_add_co_u32 v8, s4, v4, v5
	s_delay_alu instid0(VALU_DEP_1)
	v_add_co_ci_u32_e64 v9, s4, 0, v2, s4
	flat_load_b32 v8, v[8:9] offset:2048
.LBB983_14:
	s_or_b32 exec_lo, exec_lo, s5
	v_or_b32_e32 v9, 0x300, v0
	s_delay_alu instid0(VALU_DEP_1) | instskip(NEXT) | instid1(VALU_DEP_1)
	v_cmp_gt_u32_e64 s4, s26, v9
                                        ; implicit-def: $vgpr9
	s_and_saveexec_b32 s6, s4
	s_cbranch_execz .LBB983_16
; %bb.15:
	v_add_co_u32 v9, s5, v4, v5
	s_delay_alu instid0(VALU_DEP_1)
	v_add_co_ci_u32_e64 v10, s5, 0, v2, s5
	flat_load_b32 v9, v[9:10] offset:3072
.LBB983_16:
	s_or_b32 exec_lo, exec_lo, s6
	v_or_b32_e32 v11, 0x400, v0
                                        ; implicit-def: $vgpr10
	s_delay_alu instid0(VALU_DEP_1) | instskip(NEXT) | instid1(VALU_DEP_1)
	v_cmp_gt_u32_e64 s5, s26, v11
	s_and_saveexec_b32 s7, s5
	s_cbranch_execz .LBB983_18
; %bb.17:
	v_lshlrev_b32_e32 v10, 2, v11
	s_delay_alu instid0(VALU_DEP_1) | instskip(NEXT) | instid1(VALU_DEP_1)
	v_add_co_u32 v10, s6, v4, v10
	v_add_co_ci_u32_e64 v11, s6, 0, v2, s6
	flat_load_b32 v10, v[10:11]
.LBB983_18:
	s_or_b32 exec_lo, exec_lo, s7
	v_or_b32_e32 v12, 0x500, v0
                                        ; implicit-def: $vgpr11
	s_delay_alu instid0(VALU_DEP_1) | instskip(NEXT) | instid1(VALU_DEP_1)
	v_cmp_gt_u32_e64 s6, s26, v12
	s_and_saveexec_b32 s8, s6
	s_cbranch_execz .LBB983_20
; %bb.19:
	v_lshlrev_b32_e32 v11, 2, v12
	s_delay_alu instid0(VALU_DEP_1) | instskip(NEXT) | instid1(VALU_DEP_1)
	v_add_co_u32 v11, s7, v4, v11
	v_add_co_ci_u32_e64 v12, s7, 0, v2, s7
	flat_load_b32 v11, v[11:12]
.LBB983_20:
	s_or_b32 exec_lo, exec_lo, s8
	v_or_b32_e32 v13, 0x600, v0
                                        ; implicit-def: $vgpr12
	s_delay_alu instid0(VALU_DEP_1) | instskip(NEXT) | instid1(VALU_DEP_1)
	v_cmp_gt_u32_e64 s7, s26, v13
	s_and_saveexec_b32 s9, s7
	s_cbranch_execz .LBB983_22
; %bb.21:
	v_lshlrev_b32_e32 v12, 2, v13
	s_delay_alu instid0(VALU_DEP_1) | instskip(NEXT) | instid1(VALU_DEP_1)
	v_add_co_u32 v12, s8, v4, v12
	v_add_co_ci_u32_e64 v13, s8, 0, v2, s8
	flat_load_b32 v12, v[12:13]
.LBB983_22:
	s_or_b32 exec_lo, exec_lo, s9
	v_or_b32_e32 v14, 0x700, v0
                                        ; implicit-def: $vgpr13
	s_delay_alu instid0(VALU_DEP_1) | instskip(NEXT) | instid1(VALU_DEP_1)
	v_cmp_gt_u32_e64 s8, s26, v14
	s_and_saveexec_b32 s10, s8
	s_cbranch_execz .LBB983_24
; %bb.23:
	v_lshlrev_b32_e32 v13, 2, v14
	s_delay_alu instid0(VALU_DEP_1) | instskip(NEXT) | instid1(VALU_DEP_1)
	v_add_co_u32 v13, s9, v4, v13
	v_add_co_ci_u32_e64 v14, s9, 0, v2, s9
	flat_load_b32 v13, v[13:14]
.LBB983_24:
	s_or_b32 exec_lo, exec_lo, s10
	v_or_b32_e32 v25, 0x800, v0
                                        ; implicit-def: $vgpr14
	s_delay_alu instid0(VALU_DEP_1) | instskip(NEXT) | instid1(VALU_DEP_1)
	v_cmp_gt_u32_e64 s9, s26, v25
	s_and_saveexec_b32 s11, s9
	s_cbranch_execz .LBB983_26
; %bb.25:
	v_lshlrev_b32_e32 v14, 2, v25
	s_delay_alu instid0(VALU_DEP_1) | instskip(NEXT) | instid1(VALU_DEP_1)
	v_add_co_u32 v14, s10, v4, v14
	v_add_co_ci_u32_e64 v15, s10, 0, v2, s10
	flat_load_b32 v14, v[14:15]
.LBB983_26:
	s_or_b32 exec_lo, exec_lo, s11
	v_or_b32_e32 v27, 0x900, v0
                                        ; implicit-def: $vgpr15
	s_delay_alu instid0(VALU_DEP_1) | instskip(NEXT) | instid1(VALU_DEP_1)
	v_cmp_gt_u32_e64 s10, s26, v27
	s_and_saveexec_b32 s12, s10
	s_cbranch_execz .LBB983_28
; %bb.27:
	v_lshlrev_b32_e32 v15, 2, v27
	s_delay_alu instid0(VALU_DEP_1) | instskip(NEXT) | instid1(VALU_DEP_1)
	v_add_co_u32 v15, s11, v4, v15
	v_add_co_ci_u32_e64 v16, s11, 0, v2, s11
	flat_load_b32 v15, v[15:16]
.LBB983_28:
	s_or_b32 exec_lo, exec_lo, s12
	v_or_b32_e32 v31, 0xa00, v0
                                        ; implicit-def: $vgpr16
	s_delay_alu instid0(VALU_DEP_1) | instskip(NEXT) | instid1(VALU_DEP_1)
	v_cmp_gt_u32_e64 s11, s26, v31
	s_and_saveexec_b32 s13, s11
	s_cbranch_execz .LBB983_30
; %bb.29:
	v_lshlrev_b32_e32 v16, 2, v31
	s_delay_alu instid0(VALU_DEP_1) | instskip(NEXT) | instid1(VALU_DEP_1)
	v_add_co_u32 v16, s12, v4, v16
	v_add_co_ci_u32_e64 v17, s12, 0, v2, s12
	flat_load_b32 v16, v[16:17]
.LBB983_30:
	s_or_b32 exec_lo, exec_lo, s13
	v_or_b32_e32 v33, 0xb00, v0
                                        ; implicit-def: $vgpr17
	s_delay_alu instid0(VALU_DEP_1) | instskip(NEXT) | instid1(VALU_DEP_1)
	v_cmp_gt_u32_e64 s12, s26, v33
	s_and_saveexec_b32 s14, s12
	s_cbranch_execz .LBB983_32
; %bb.31:
	v_lshlrev_b32_e32 v17, 2, v33
	s_delay_alu instid0(VALU_DEP_1) | instskip(NEXT) | instid1(VALU_DEP_1)
	v_add_co_u32 v17, s13, v4, v17
	v_add_co_ci_u32_e64 v18, s13, 0, v2, s13
	flat_load_b32 v17, v[17:18]
.LBB983_32:
	s_or_b32 exec_lo, exec_lo, s14
	v_or_b32_e32 v35, 0xc00, v0
                                        ; implicit-def: $vgpr18
	s_delay_alu instid0(VALU_DEP_1) | instskip(NEXT) | instid1(VALU_DEP_1)
	v_cmp_gt_u32_e64 s13, s26, v35
	s_and_saveexec_b32 s15, s13
	s_cbranch_execz .LBB983_34
; %bb.33:
	v_lshlrev_b32_e32 v18, 2, v35
	s_delay_alu instid0(VALU_DEP_1) | instskip(NEXT) | instid1(VALU_DEP_1)
	v_add_co_u32 v18, s14, v4, v18
	v_add_co_ci_u32_e64 v19, s14, 0, v2, s14
	flat_load_b32 v18, v[18:19]
.LBB983_34:
	s_or_b32 exec_lo, exec_lo, s15
	v_or_b32_e32 v37, 0xd00, v0
                                        ; implicit-def: $vgpr19
	s_delay_alu instid0(VALU_DEP_1) | instskip(NEXT) | instid1(VALU_DEP_1)
	v_cmp_gt_u32_e64 s14, s26, v37
	s_and_saveexec_b32 s16, s14
	s_cbranch_execz .LBB983_36
; %bb.35:
	v_lshlrev_b32_e32 v19, 2, v37
	s_delay_alu instid0(VALU_DEP_1) | instskip(NEXT) | instid1(VALU_DEP_1)
	v_add_co_u32 v43, s15, v4, v19
	v_add_co_ci_u32_e64 v44, s15, 0, v2, s15
	flat_load_b32 v19, v[43:44]
.LBB983_36:
	s_or_b32 exec_lo, exec_lo, s16
	v_or_b32_e32 v39, 0xe00, v0
                                        ; implicit-def: $vgpr41
	s_delay_alu instid0(VALU_DEP_1) | instskip(NEXT) | instid1(VALU_DEP_1)
	v_cmp_gt_u32_e64 s15, s26, v39
	s_and_saveexec_b32 s27, s15
	s_cbranch_execz .LBB983_38
; %bb.37:
	v_lshlrev_b32_e32 v29, 2, v39
	s_delay_alu instid0(VALU_DEP_1) | instskip(NEXT) | instid1(VALU_DEP_1)
	v_add_co_u32 v43, s16, v4, v29
	v_add_co_ci_u32_e64 v44, s16, 0, v2, s16
	flat_load_b32 v41, v[43:44]
.LBB983_38:
	s_or_b32 exec_lo, exec_lo, s27
	v_mad_u32_u24 v29, v0, 56, v5
	s_waitcnt vmcnt(0) lgkmcnt(0)
	ds_store_2addr_stride64_b32 v5, v6, v7 offset1:4
	ds_store_2addr_stride64_b32 v5, v8, v9 offset0:8 offset1:12
	ds_store_2addr_stride64_b32 v5, v10, v11 offset0:16 offset1:20
	;; [unrolled: 1-line block ×6, first 2 shown]
	ds_store_b32 v5, v41 offset:14336
	s_waitcnt lgkmcnt(0)
	s_barrier
	buffer_gl0_inv
	ds_load_2addr_b32 v[18:19], v29 offset1:1
	ds_load_2addr_b32 v[16:17], v29 offset0:2 offset1:3
	ds_load_2addr_b32 v[14:15], v29 offset0:4 offset1:5
	;; [unrolled: 1-line block ×6, first 2 shown]
	ds_load_b32 v52, v29 offset:56
	s_waitcnt lgkmcnt(0)
	s_barrier
	buffer_gl0_inv
                                        ; implicit-def: $vgpr41
	s_and_saveexec_b32 s16, vcc_lo
	s_cbranch_execz .LBB983_52
; %bb.39:
	v_lshlrev_b32_e32 v41, 1, v0
	s_delay_alu instid0(VALU_DEP_1)
	v_add_co_u32 v43, vcc_lo, v21, v41
	v_add_co_ci_u32_e32 v44, vcc_lo, 0, v23, vcc_lo
	flat_load_u16 v41, v[43:44]
	s_or_b32 exec_lo, exec_lo, s16
                                        ; implicit-def: $vgpr43
	s_and_saveexec_b32 s16, s0
	s_cbranch_execnz .LBB983_53
.LBB983_40:
	s_or_b32 exec_lo, exec_lo, s16
                                        ; implicit-def: $vgpr44
	s_and_saveexec_b32 s0, s1
	s_cbranch_execz .LBB983_54
.LBB983_41:
	v_lshlrev_b32_e32 v44, 1, v0
	s_delay_alu instid0(VALU_DEP_1)
	v_add_co_u32 v44, vcc_lo, v21, v44
	v_add_co_ci_u32_e32 v45, vcc_lo, 0, v23, vcc_lo
	flat_load_u16 v44, v[44:45] offset:1024
	s_or_b32 exec_lo, exec_lo, s0
                                        ; implicit-def: $vgpr45
	s_and_saveexec_b32 s0, s4
	s_cbranch_execnz .LBB983_55
.LBB983_42:
	s_or_b32 exec_lo, exec_lo, s0
                                        ; implicit-def: $vgpr46
	s_and_saveexec_b32 s0, s5
	s_cbranch_execz .LBB983_56
.LBB983_43:
	v_lshlrev_b32_e32 v46, 1, v0
	s_delay_alu instid0(VALU_DEP_1)
	v_add_co_u32 v46, vcc_lo, v21, v46
	v_add_co_ci_u32_e32 v47, vcc_lo, 0, v23, vcc_lo
	flat_load_u16 v46, v[46:47] offset:2048
	s_or_b32 exec_lo, exec_lo, s0
                                        ; implicit-def: $vgpr47
	s_and_saveexec_b32 s0, s6
	s_cbranch_execnz .LBB983_57
.LBB983_44:
	s_or_b32 exec_lo, exec_lo, s0
                                        ; implicit-def: $vgpr48
	s_and_saveexec_b32 s0, s7
	s_cbranch_execz .LBB983_58
.LBB983_45:
	v_lshlrev_b32_e32 v48, 1, v0
	s_delay_alu instid0(VALU_DEP_1)
	v_add_co_u32 v48, vcc_lo, v21, v48
	v_add_co_ci_u32_e32 v49, vcc_lo, 0, v23, vcc_lo
	flat_load_u16 v48, v[48:49] offset:3072
	s_or_b32 exec_lo, exec_lo, s0
                                        ; implicit-def: $vgpr49
	s_and_saveexec_b32 s0, s8
	s_cbranch_execnz .LBB983_59
.LBB983_46:
	s_or_b32 exec_lo, exec_lo, s0
                                        ; implicit-def: $vgpr50
	s_and_saveexec_b32 s0, s9
	s_cbranch_execz .LBB983_60
.LBB983_47:
	v_lshlrev_b32_e32 v25, 1, v25
	s_delay_alu instid0(VALU_DEP_1)
	v_add_co_u32 v50, vcc_lo, v21, v25
	v_add_co_ci_u32_e32 v51, vcc_lo, 0, v23, vcc_lo
	flat_load_u16 v50, v[50:51]
	s_or_b32 exec_lo, exec_lo, s0
                                        ; implicit-def: $vgpr59
	s_and_saveexec_b32 s0, s10
	s_cbranch_execnz .LBB983_61
.LBB983_48:
	s_or_b32 exec_lo, exec_lo, s0
                                        ; implicit-def: $vgpr60
	s_and_saveexec_b32 s0, s11
	s_cbranch_execz .LBB983_62
.LBB983_49:
	v_lshlrev_b32_e32 v25, 1, v31
	s_delay_alu instid0(VALU_DEP_1)
	v_add_co_u32 v53, vcc_lo, v21, v25
	v_add_co_ci_u32_e32 v54, vcc_lo, 0, v23, vcc_lo
	flat_load_u16 v60, v[53:54]
	s_or_b32 exec_lo, exec_lo, s0
                                        ; implicit-def: $vgpr61
	s_and_saveexec_b32 s0, s12
	s_cbranch_execnz .LBB983_63
.LBB983_50:
	s_or_b32 exec_lo, exec_lo, s0
                                        ; implicit-def: $vgpr62
	s_and_saveexec_b32 s0, s13
	s_cbranch_execz .LBB983_64
.LBB983_51:
	v_lshlrev_b32_e32 v25, 1, v35
	s_delay_alu instid0(VALU_DEP_1)
	v_add_co_u32 v53, vcc_lo, v21, v25
	v_add_co_ci_u32_e32 v54, vcc_lo, 0, v23, vcc_lo
	flat_load_u16 v62, v[53:54]
	s_or_b32 exec_lo, exec_lo, s0
                                        ; implicit-def: $vgpr63
	s_and_saveexec_b32 s0, s14
	s_cbranch_execz .LBB983_66
	s_branch .LBB983_65
.LBB983_52:
	s_or_b32 exec_lo, exec_lo, s16
                                        ; implicit-def: $vgpr43
	s_and_saveexec_b32 s16, s0
	s_cbranch_execz .LBB983_40
.LBB983_53:
	v_lshlrev_b32_e32 v43, 1, v0
	s_delay_alu instid0(VALU_DEP_1)
	v_add_co_u32 v43, vcc_lo, v21, v43
	v_add_co_ci_u32_e32 v44, vcc_lo, 0, v23, vcc_lo
	flat_load_u16 v43, v[43:44] offset:512
	s_or_b32 exec_lo, exec_lo, s16
                                        ; implicit-def: $vgpr44
	s_and_saveexec_b32 s0, s1
	s_cbranch_execnz .LBB983_41
.LBB983_54:
	s_or_b32 exec_lo, exec_lo, s0
                                        ; implicit-def: $vgpr45
	s_and_saveexec_b32 s0, s4
	s_cbranch_execz .LBB983_42
.LBB983_55:
	v_lshlrev_b32_e32 v45, 1, v0
	s_delay_alu instid0(VALU_DEP_1)
	v_add_co_u32 v45, vcc_lo, v21, v45
	v_add_co_ci_u32_e32 v46, vcc_lo, 0, v23, vcc_lo
	flat_load_u16 v45, v[45:46] offset:1536
	s_or_b32 exec_lo, exec_lo, s0
                                        ; implicit-def: $vgpr46
	s_and_saveexec_b32 s0, s5
	s_cbranch_execnz .LBB983_43
.LBB983_56:
	s_or_b32 exec_lo, exec_lo, s0
                                        ; implicit-def: $vgpr47
	s_and_saveexec_b32 s0, s6
	s_cbranch_execz .LBB983_44
.LBB983_57:
	v_lshlrev_b32_e32 v47, 1, v0
	s_delay_alu instid0(VALU_DEP_1)
	v_add_co_u32 v47, vcc_lo, v21, v47
	v_add_co_ci_u32_e32 v48, vcc_lo, 0, v23, vcc_lo
	flat_load_u16 v47, v[47:48] offset:2560
	s_or_b32 exec_lo, exec_lo, s0
                                        ; implicit-def: $vgpr48
	s_and_saveexec_b32 s0, s7
	s_cbranch_execnz .LBB983_45
.LBB983_58:
	s_or_b32 exec_lo, exec_lo, s0
                                        ; implicit-def: $vgpr49
	s_and_saveexec_b32 s0, s8
	s_cbranch_execz .LBB983_46
.LBB983_59:
	v_lshlrev_b32_e32 v49, 1, v0
	s_delay_alu instid0(VALU_DEP_1)
	v_add_co_u32 v49, vcc_lo, v21, v49
	v_add_co_ci_u32_e32 v50, vcc_lo, 0, v23, vcc_lo
	flat_load_u16 v49, v[49:50] offset:3584
	s_or_b32 exec_lo, exec_lo, s0
                                        ; implicit-def: $vgpr50
	s_and_saveexec_b32 s0, s9
	s_cbranch_execnz .LBB983_47
.LBB983_60:
	s_or_b32 exec_lo, exec_lo, s0
                                        ; implicit-def: $vgpr59
	s_and_saveexec_b32 s0, s10
	s_cbranch_execz .LBB983_48
.LBB983_61:
	v_lshlrev_b32_e32 v25, 1, v27
	s_delay_alu instid0(VALU_DEP_1)
	v_add_co_u32 v53, vcc_lo, v21, v25
	v_add_co_ci_u32_e32 v54, vcc_lo, 0, v23, vcc_lo
	flat_load_u16 v59, v[53:54]
	s_or_b32 exec_lo, exec_lo, s0
                                        ; implicit-def: $vgpr60
	s_and_saveexec_b32 s0, s11
	s_cbranch_execnz .LBB983_49
.LBB983_62:
	s_or_b32 exec_lo, exec_lo, s0
                                        ; implicit-def: $vgpr61
	s_and_saveexec_b32 s0, s12
	s_cbranch_execz .LBB983_50
.LBB983_63:
	v_lshlrev_b32_e32 v25, 1, v33
	s_delay_alu instid0(VALU_DEP_1)
	v_add_co_u32 v53, vcc_lo, v21, v25
	v_add_co_ci_u32_e32 v54, vcc_lo, 0, v23, vcc_lo
	flat_load_u16 v61, v[53:54]
	s_or_b32 exec_lo, exec_lo, s0
                                        ; implicit-def: $vgpr62
	s_and_saveexec_b32 s0, s13
	s_cbranch_execnz .LBB983_51
.LBB983_64:
	s_or_b32 exec_lo, exec_lo, s0
                                        ; implicit-def: $vgpr63
	s_and_saveexec_b32 s0, s14
	s_cbranch_execz .LBB983_66
.LBB983_65:
	v_lshlrev_b32_e32 v25, 1, v37
	s_delay_alu instid0(VALU_DEP_1)
	v_add_co_u32 v53, vcc_lo, v21, v25
	v_add_co_ci_u32_e32 v54, vcc_lo, 0, v23, vcc_lo
	flat_load_u16 v63, v[53:54]
.LBB983_66:
	s_or_b32 exec_lo, exec_lo, s0
	v_mul_u32_u24_e32 v25, 15, v0
                                        ; implicit-def: $vgpr64
	s_and_saveexec_b32 s0, s15
	s_cbranch_execz .LBB983_68
; %bb.67:
	v_lshlrev_b32_e32 v27, 1, v39
	s_delay_alu instid0(VALU_DEP_1)
	v_add_co_u32 v53, vcc_lo, v21, v27
	v_add_co_ci_u32_e32 v54, vcc_lo, 0, v23, vcc_lo
	flat_load_u16 v64, v[53:54]
.LBB983_68:
	s_or_b32 exec_lo, exec_lo, s0
	s_delay_alu instid0(VALU_DEP_1)
	v_add_nc_u32_e32 v58, 1, v25
	v_add_nc_u32_e32 v57, 2, v25
	;; [unrolled: 1-line block ×10, first 2 shown]
	v_mad_i32_i24 v21, 0xffffffc6, v0, v29
	v_add_nc_u32_e32 v39, 11, v25
	v_add_nc_u32_e32 v37, 12, v25
	;; [unrolled: 1-line block ×4, first 2 shown]
	s_waitcnt vmcnt(0) lgkmcnt(0)
	ds_store_b16 v21, v41
	ds_store_b16 v21, v43 offset:512
	ds_store_b16 v21, v44 offset:1024
	;; [unrolled: 1-line block ×14, first 2 shown]
	s_waitcnt lgkmcnt(0)
	s_barrier
.LBB983_69:
	v_lshlrev_b32_e32 v21, 1, v25
	v_lshlrev_b32_e32 v23, 1, v58
	v_lshlrev_b32_e32 v25, 1, v57
	v_lshlrev_b32_e32 v41, 1, v56
	v_lshlrev_b32_e32 v43, 1, v55
	buffer_gl0_inv
	v_lshlrev_b32_e32 v44, 1, v54
	v_lshlrev_b32_e32 v45, 1, v53
	;; [unrolled: 1-line block ×3, first 2 shown]
	ds_load_u16 v80, v21
	ds_load_u16 v79, v23
	;; [unrolled: 1-line block ×8, first 2 shown]
	v_lshlrev_b32_e32 v21, 1, v35
	v_lshlrev_b32_e32 v23, 1, v33
	;; [unrolled: 1-line block ×7, first 2 shown]
	ds_load_u16 v74, v21
	ds_load_u16 v72, v23
	ds_load_u16 v70, v25
	ds_load_u16 v69, v31
	ds_load_u16 v68, v33
	ds_load_u16 v67, v29
	ds_load_u16 v81, v27
	s_cmp_eq_u64 s[24:25], 0
	s_waitcnt lgkmcnt(0)
	s_cselect_b32 s27, -1, 0
	s_cmp_lg_u64 s[24:25], 0
	s_barrier
	s_cselect_b32 s15, -1, 0
	s_and_b32 vcc_lo, exec_lo, s34
	buffer_gl0_inv
	s_cbranch_vccz .LBB983_75
; %bb.70:
	s_and_b32 vcc_lo, exec_lo, s15
	s_cbranch_vccz .LBB983_135
; %bb.71:
	v_add_co_u32 v43, vcc_lo, -4, v4
	v_add_co_ci_u32_e32 v44, vcc_lo, -1, v2, vcc_lo
	v_cmp_ne_u32_e32 vcc_lo, v7, v52
	v_cmp_ne_u32_e64 s0, v6, v7
	v_cmp_ne_u32_e64 s1, v9, v6
	flat_load_b32 v21, v[43:44]
	v_cmp_ne_u32_e64 s4, v8, v9
	v_cmp_ne_u32_e64 s5, v11, v8
	;; [unrolled: 1-line block ×11, first 2 shown]
	s_mov_b32 s34, -1
	ds_store_b32 v5, v52
	s_waitcnt vmcnt(0) lgkmcnt(0)
	s_barrier
	buffer_gl0_inv
	s_and_saveexec_b32 s16, s3
	s_cbranch_execz .LBB983_73
; %bb.72:
	v_add_nc_u32_e32 v21, -4, v5
	ds_load_b32 v21, v21
.LBB983_73:
	s_or_b32 exec_lo, exec_lo, s16
	v_cndmask_b32_e64 v59, 0, 1, vcc_lo
	v_cndmask_b32_e64 v53, 0, 1, s0
	v_cndmask_b32_e64 v54, 0, 1, s1
	;; [unrolled: 1-line block ×13, first 2 shown]
	s_waitcnt lgkmcnt(0)
	v_cmp_ne_u32_e64 s0, v21, v18
.LBB983_74:
                                        ; implicit-def: $sgpr1
	s_branch .LBB983_76
.LBB983_75:
	s_mov_b32 s34, 0
                                        ; implicit-def: $sgpr0
                                        ; implicit-def: $vgpr59
                                        ; implicit-def: $vgpr53
                                        ; implicit-def: $vgpr54
                                        ; implicit-def: $vgpr55
                                        ; implicit-def: $vgpr56
                                        ; implicit-def: $vgpr57
                                        ; implicit-def: $vgpr58
                                        ; implicit-def: $vgpr60
                                        ; implicit-def: $vgpr61
                                        ; implicit-def: $vgpr62
                                        ; implicit-def: $vgpr63
                                        ; implicit-def: $vgpr64
                                        ; implicit-def: $vgpr65
                                        ; implicit-def: $vgpr66
                                        ; implicit-def: $sgpr1
	s_cbranch_execnz .LBB983_139
.LBB983_76:
	v_mov_b32_e32 v83, s1
	s_and_saveexec_b32 s1, s34
.LBB983_77:
	s_delay_alu instid0(VALU_DEP_2)
	v_cndmask_b32_e64 v83, 0, 1, s0
.LBB983_78:
	s_or_b32 exec_lo, exec_lo, s1
	s_delay_alu instid0(VALU_DEP_1)
	v_add3_u32 v1, v66, v83, v65
	v_cmp_eq_u32_e64 s13, 0, v66
	v_cmp_eq_u32_e64 s12, 0, v65
	;; [unrolled: 1-line block ×4, first 2 shown]
	v_add3_u32 v87, v1, v64, v63
	v_cmp_eq_u32_e64 s9, 0, v62
	v_cmp_eq_u32_e64 s8, 0, v61
	;; [unrolled: 1-line block ×9, first 2 shown]
	v_cmp_eq_u32_e32 vcc_lo, 0, v59
	v_mbcnt_lo_u32_b32 v84, -1, 0
	v_lshrrev_b32_e32 v85, 5, v0
	v_or_b32_e32 v86, 31, v0
	s_cmp_eq_u64 s[22:23], 0
	s_cselect_b32 s16, -1, 0
	s_cmp_lg_u32 s33, 0
	s_cbranch_scc0 .LBB983_104
; %bb.79:
	v_cndmask_b32_e64 v1, 0, v80, s13
	v_add3_u32 v2, v87, v62, v61
	v_and_b32_e32 v5, 15, v84
	s_delay_alu instid0(VALU_DEP_3) | instskip(NEXT) | instid1(VALU_DEP_3)
	v_add_nc_u16 v1, v1, v79
	v_add3_u32 v2, v2, v60, v58
	s_delay_alu instid0(VALU_DEP_2) | instskip(NEXT) | instid1(VALU_DEP_2)
	v_cndmask_b32_e64 v1, 0, v1, s12
	v_add3_u32 v2, v2, v57, v56
	s_delay_alu instid0(VALU_DEP_2) | instskip(NEXT) | instid1(VALU_DEP_2)
	v_add_nc_u16 v1, v1, v78
	v_add3_u32 v2, v2, v55, v54
	s_delay_alu instid0(VALU_DEP_2) | instskip(NEXT) | instid1(VALU_DEP_2)
	v_cndmask_b32_e64 v1, 0, v1, s11
	v_add3_u32 v2, v2, v53, v59
	s_delay_alu instid0(VALU_DEP_2) | instskip(NEXT) | instid1(VALU_DEP_2)
	v_add_nc_u16 v1, v1, v77
	v_mov_b32_dpp v20, v2 row_shr:1 row_mask:0xf bank_mask:0xf
	s_delay_alu instid0(VALU_DEP_2) | instskip(NEXT) | instid1(VALU_DEP_1)
	v_cndmask_b32_e64 v1, 0, v1, s10
	v_add_nc_u16 v1, v1, v76
	s_delay_alu instid0(VALU_DEP_1) | instskip(NEXT) | instid1(VALU_DEP_1)
	v_cndmask_b32_e64 v1, 0, v1, s9
	v_add_nc_u16 v1, v1, v75
	s_delay_alu instid0(VALU_DEP_1) | instskip(NEXT) | instid1(VALU_DEP_1)
	;; [unrolled: 3-line block ×9, first 2 shown]
	v_cndmask_b32_e64 v1, 0, v1, s0
	v_add_nc_u16 v1, v1, v67
	s_delay_alu instid0(VALU_DEP_1) | instskip(SKIP_1) | instid1(VALU_DEP_2)
	v_cndmask_b32_e32 v1, 0, v1, vcc_lo
	v_cmp_eq_u32_e32 vcc_lo, 0, v2
	v_add_nc_u16 v1, v1, v81
	s_delay_alu instid0(VALU_DEP_1) | instskip(NEXT) | instid1(VALU_DEP_1)
	v_and_b32_e32 v3, 0xffff, v1
	v_mov_b32_dpp v4, v3 row_shr:1 row_mask:0xf bank_mask:0xf
	s_delay_alu instid0(VALU_DEP_1) | instskip(SKIP_1) | instid1(VALU_DEP_2)
	v_cndmask_b32_e32 v4, 0, v4, vcc_lo
	v_cmp_eq_u32_e32 vcc_lo, 0, v5
	v_add_nc_u16 v4, v4, v1
	v_cndmask_b32_e64 v20, v20, 0, vcc_lo
	s_delay_alu instid0(VALU_DEP_2) | instskip(SKIP_1) | instid1(VALU_DEP_2)
	v_and_b32_e32 v21, 0xffff, v4
	v_cndmask_b32_e32 v1, v4, v1, vcc_lo
	v_dual_cndmask_b32 v3, v21, v3 :: v_dual_add_nc_u32 v2, v20, v2
	s_delay_alu instid0(VALU_DEP_1) | instskip(NEXT) | instid1(VALU_DEP_2)
	v_cmp_eq_u32_e32 vcc_lo, 0, v2
	v_mov_b32_dpp v20, v3 row_shr:2 row_mask:0xf bank_mask:0xf
	s_delay_alu instid0(VALU_DEP_1) | instskip(SKIP_2) | instid1(VALU_DEP_3)
	v_cndmask_b32_e32 v4, 0, v20, vcc_lo
	v_mov_b32_dpp v20, v2 row_shr:2 row_mask:0xf bank_mask:0xf
	v_cmp_lt_u32_e32 vcc_lo, 1, v5
	v_add_nc_u16 v4, v4, v1
	s_delay_alu instid0(VALU_DEP_1) | instskip(SKIP_1) | instid1(VALU_DEP_2)
	v_and_b32_e32 v21, 0xffff, v4
	v_cndmask_b32_e32 v1, v1, v4, vcc_lo
	v_dual_cndmask_b32 v4, 0, v20 :: v_dual_cndmask_b32 v3, v3, v21
	s_delay_alu instid0(VALU_DEP_1) | instskip(NEXT) | instid1(VALU_DEP_2)
	v_add_nc_u32_e32 v2, v2, v4
	v_mov_b32_dpp v4, v3 row_shr:4 row_mask:0xf bank_mask:0xf
	s_delay_alu instid0(VALU_DEP_2) | instskip(SKIP_1) | instid1(VALU_DEP_3)
	v_cmp_eq_u32_e32 vcc_lo, 0, v2
	v_mov_b32_dpp v20, v2 row_shr:4 row_mask:0xf bank_mask:0xf
	v_cndmask_b32_e32 v4, 0, v4, vcc_lo
	v_cmp_lt_u32_e32 vcc_lo, 3, v5
	s_delay_alu instid0(VALU_DEP_2) | instskip(NEXT) | instid1(VALU_DEP_1)
	v_add_nc_u16 v4, v4, v1
	v_and_b32_e32 v21, 0xffff, v4
	v_cndmask_b32_e32 v1, v1, v4, vcc_lo
	s_delay_alu instid0(VALU_DEP_2) | instskip(NEXT) | instid1(VALU_DEP_1)
	v_dual_cndmask_b32 v4, 0, v20 :: v_dual_cndmask_b32 v3, v3, v21
	v_add_nc_u32_e32 v2, v4, v2
	s_delay_alu instid0(VALU_DEP_2) | instskip(NEXT) | instid1(VALU_DEP_2)
	v_mov_b32_dpp v4, v3 row_shr:8 row_mask:0xf bank_mask:0xf
	v_cmp_eq_u32_e32 vcc_lo, 0, v2
	v_mov_b32_dpp v20, v2 row_shr:8 row_mask:0xf bank_mask:0xf
	s_delay_alu instid0(VALU_DEP_3) | instskip(SKIP_1) | instid1(VALU_DEP_2)
	v_cndmask_b32_e32 v4, 0, v4, vcc_lo
	v_cmp_lt_u32_e32 vcc_lo, 7, v5
	v_add_nc_u16 v4, v4, v1
	s_delay_alu instid0(VALU_DEP_4) | instskip(SKIP_1) | instid1(VALU_DEP_3)
	v_cndmask_b32_e32 v5, 0, v20, vcc_lo
	v_bfe_i32 v20, v84, 4, 1
	v_cndmask_b32_e32 v1, v1, v4, vcc_lo
	v_and_b32_e32 v4, 0xffff, v4
	s_delay_alu instid0(VALU_DEP_4) | instskip(SKIP_1) | instid1(VALU_DEP_3)
	v_add_nc_u32_e32 v2, v5, v2
	v_and_b32_e32 v5, 16, v84
	v_cndmask_b32_e32 v3, v3, v4, vcc_lo
	ds_swizzle_b32 v4, v2 offset:swizzle(BROADCAST,32,15)
	v_cmp_ne_u32_e32 vcc_lo, 0, v5
	v_cmp_eq_u32_e64 s14, 0, v2
	ds_swizzle_b32 v3, v3 offset:swizzle(BROADCAST,32,15)
	s_and_b32 vcc_lo, vcc_lo, s14
	s_mov_b32 s14, exec_lo
	s_waitcnt lgkmcnt(0)
	v_dual_cndmask_b32 v3, 0, v3 :: v_dual_and_b32 v4, v20, v4
	s_delay_alu instid0(VALU_DEP_1) | instskip(NEXT) | instid1(VALU_DEP_2)
	v_add_nc_u32_e32 v2, v4, v2
	v_add_nc_u16 v1, v3, v1
	v_lshlrev_b32_e32 v3, 3, v85
	v_cmpx_eq_u32_e64 v86, v0
	s_cbranch_execz .LBB983_81
; %bb.80:
	ds_store_b32 v3, v2 offset:2064
	ds_store_b16 v3, v1 offset:2068
.LBB983_81:
	s_or_b32 exec_lo, exec_lo, s14
	s_delay_alu instid0(SALU_CYCLE_1)
	s_mov_b32 s15, exec_lo
	s_waitcnt lgkmcnt(0)
	s_barrier
	buffer_gl0_inv
	v_cmpx_gt_u32_e32 8, v0
	s_cbranch_execz .LBB983_83
; %bb.82:
	v_lshlrev_b32_e32 v20, 3, v0
	ds_load_b64 v[4:5], v20 offset:2064
	s_waitcnt lgkmcnt(0)
	v_mov_b32_dpp v21, v5 row_shr:1 row_mask:0xf bank_mask:0xf
	v_cmp_eq_u32_e32 vcc_lo, 0, v4
	v_and_b32_e32 v22, 0xffff0000, v5
	v_mov_b32_dpp v25, v4 row_shr:1 row_mask:0xf bank_mask:0xf
	s_delay_alu instid0(VALU_DEP_4) | instskip(NEXT) | instid1(VALU_DEP_1)
	v_cndmask_b32_e32 v21, 0, v21, vcc_lo
	v_add_nc_u16 v21, v21, v5
	s_delay_alu instid0(VALU_DEP_1) | instskip(NEXT) | instid1(VALU_DEP_1)
	v_and_b32_e32 v23, 0xffff, v21
	v_or_b32_e32 v23, v22, v23
	v_and_b32_e32 v24, 7, v84
	s_delay_alu instid0(VALU_DEP_1) | instskip(NEXT) | instid1(VALU_DEP_3)
	v_cmp_eq_u32_e32 vcc_lo, 0, v24
	v_cndmask_b32_e32 v23, v23, v5, vcc_lo
	v_cndmask_b32_e64 v25, v25, 0, vcc_lo
	v_cndmask_b32_e32 v5, v21, v5, vcc_lo
	v_cmp_lt_u32_e64 s14, 3, v24
	s_delay_alu instid0(VALU_DEP_3) | instskip(SKIP_1) | instid1(VALU_DEP_2)
	v_add_nc_u32_e32 v4, v25, v4
	v_mov_b32_dpp v25, v23 row_shr:2 row_mask:0xf bank_mask:0xf
	v_cmp_eq_u32_e32 vcc_lo, 0, v4
	s_delay_alu instid0(VALU_DEP_2) | instskip(SKIP_2) | instid1(VALU_DEP_3)
	v_cndmask_b32_e32 v21, 0, v25, vcc_lo
	v_mov_b32_dpp v25, v4 row_shr:2 row_mask:0xf bank_mask:0xf
	v_cmp_lt_u32_e32 vcc_lo, 1, v24
	v_add_nc_u16 v21, v21, v5
	s_delay_alu instid0(VALU_DEP_1) | instskip(SKIP_2) | instid1(VALU_DEP_3)
	v_and_b32_e32 v26, 0xffff, v21
	v_cndmask_b32_e32 v5, v5, v21, vcc_lo
	v_cndmask_b32_e32 v21, 0, v25, vcc_lo
	v_or_b32_e32 v22, v22, v26
	s_delay_alu instid0(VALU_DEP_1) | instskip(NEXT) | instid1(VALU_DEP_1)
	v_dual_cndmask_b32 v21, v23, v22 :: v_dual_add_nc_u32 v4, v21, v4
	v_cmp_eq_u32_e32 vcc_lo, 0, v4
	s_delay_alu instid0(VALU_DEP_2) | instskip(SKIP_1) | instid1(VALU_DEP_1)
	v_mov_b32_dpp v21, v21 row_shr:4 row_mask:0xf bank_mask:0xf
	s_and_b32 vcc_lo, s14, vcc_lo
	v_cndmask_b32_e32 v21, 0, v21, vcc_lo
	v_mov_b32_dpp v22, v4 row_shr:4 row_mask:0xf bank_mask:0xf
	s_delay_alu instid0(VALU_DEP_2) | instskip(NEXT) | instid1(VALU_DEP_2)
	v_add_nc_u16 v5, v5, v21
	v_cndmask_b32_e64 v22, 0, v22, s14
	s_delay_alu instid0(VALU_DEP_1)
	v_add_nc_u32_e32 v4, v22, v4
	ds_store_b32 v20, v4 offset:2064
	ds_store_b16 v20, v5 offset:2068
.LBB983_83:
	s_or_b32 exec_lo, exec_lo, s15
	v_cmp_gt_u32_e32 vcc_lo, 32, v0
	v_dual_mov_b32 v25, 0 :: v_dual_mov_b32 v24, 0
	s_mov_b32 s15, exec_lo
	s_waitcnt lgkmcnt(0)
	s_barrier
	buffer_gl0_inv
	v_cmpx_lt_u32_e32 31, v0
	s_cbranch_execz .LBB983_85
; %bb.84:
	ds_load_u16 v24, v3 offset:2060
	ds_load_b32 v25, v3 offset:2056
	v_cmp_eq_u32_e64 s14, 0, v2
	s_waitcnt lgkmcnt(1)
	s_delay_alu instid0(VALU_DEP_1) | instskip(SKIP_2) | instid1(VALU_DEP_2)
	v_cndmask_b32_e64 v3, 0, v24, s14
	s_waitcnt lgkmcnt(0)
	v_add_nc_u32_e32 v2, v25, v2
	v_add_nc_u16 v1, v3, v1
.LBB983_85:
	s_or_b32 exec_lo, exec_lo, s15
	v_add_nc_u32_e32 v3, -1, v84
	s_delay_alu instid0(VALU_DEP_2) | instskip(NEXT) | instid1(VALU_DEP_2)
	v_and_b32_e32 v1, 0xffff, v1
	v_cmp_gt_i32_e64 s14, 0, v3
	s_delay_alu instid0(VALU_DEP_1) | instskip(SKIP_1) | instid1(VALU_DEP_2)
	v_cndmask_b32_e64 v3, v3, v84, s14
	v_cmp_eq_u32_e64 s14, 0, v84
	v_lshlrev_b32_e32 v3, 2, v3
	ds_bpermute_b32 v26, v3, v2
	ds_bpermute_b32 v27, v3, v1
	s_and_saveexec_b32 s22, vcc_lo
	s_cbranch_execz .LBB983_103
; %bb.86:
	v_mov_b32_e32 v4, 0
	ds_load_b64 v[1:2], v4 offset:2120
	s_waitcnt lgkmcnt(0)
	v_readfirstlane_b32 s23, v2
	s_and_saveexec_b32 s15, s14
	s_cbranch_execz .LBB983_88
; %bb.87:
	s_add_i32 s24, s33, 32
	s_mov_b32 s25, 0
	v_mov_b32_e32 v3, 1
	s_lshl_b64 s[34:35], s[24:25], 4
	s_mov_b32 s36, s25
	s_add_u32 s34, s20, s34
	s_addc_u32 s35, s21, s35
	s_and_b32 s37, s23, 0xff000000
	s_and_b32 s41, s23, 0xff0000
	s_mov_b32 s40, s25
	v_dual_mov_b32 v20, s34 :: v_dual_mov_b32 v21, s35
	s_or_b64 s[36:37], s[40:41], s[36:37]
	s_and_b32 s41, s23, 0xff00
	s_delay_alu instid0(SALU_CYCLE_1) | instskip(SKIP_1) | instid1(SALU_CYCLE_1)
	s_or_b64 s[36:37], s[36:37], s[40:41]
	s_and_b32 s41, s23, 0xff
	s_or_b64 s[24:25], s[36:37], s[40:41]
	s_delay_alu instid0(SALU_CYCLE_1)
	v_mov_b32_e32 v2, s25
	;;#ASMSTART
	global_store_dwordx4 v[20:21], v[1:4] off	
s_waitcnt vmcnt(0)
	;;#ASMEND
.LBB983_88:
	s_or_b32 exec_lo, exec_lo, s15
	v_xad_u32 v20, v84, -1, s33
	s_mov_b32 s24, 0
	s_mov_b32 s15, exec_lo
	s_delay_alu instid0(VALU_DEP_1) | instskip(NEXT) | instid1(VALU_DEP_1)
	v_add_nc_u32_e32 v3, 32, v20
	v_lshlrev_b64 v[2:3], 4, v[3:4]
	s_delay_alu instid0(VALU_DEP_1) | instskip(NEXT) | instid1(VALU_DEP_2)
	v_add_co_u32 v21, vcc_lo, s20, v2
	v_add_co_ci_u32_e32 v22, vcc_lo, s21, v3, vcc_lo
	;;#ASMSTART
	global_load_dwordx4 v[2:5], v[21:22] off glc	
s_waitcnt vmcnt(0)
	;;#ASMEND
	v_and_b32_e32 v5, 0xffffff, v2
	v_and_b32_e32 v2, 0xff000000, v2
	;; [unrolled: 1-line block ×4, first 2 shown]
	s_delay_alu instid0(VALU_DEP_3) | instskip(SKIP_1) | instid1(VALU_DEP_3)
	v_or_b32_e32 v2, v5, v2
	v_and_b32_e32 v5, 0xff, v4
	v_or3_b32 v3, 0, v23, v3
	s_delay_alu instid0(VALU_DEP_3) | instskip(NEXT) | instid1(VALU_DEP_3)
	v_or3_b32 v2, v2, 0, 0
	v_cmpx_eq_u16_e32 0, v5
	s_cbranch_execz .LBB983_91
.LBB983_89:                             ; =>This Inner Loop Header: Depth=1
	;;#ASMSTART
	global_load_dwordx4 v[2:5], v[21:22] off glc	
s_waitcnt vmcnt(0)
	;;#ASMEND
	v_and_b32_e32 v5, 0xff, v4
	s_delay_alu instid0(VALU_DEP_1) | instskip(SKIP_1) | instid1(SALU_CYCLE_1)
	v_cmp_ne_u16_e32 vcc_lo, 0, v5
	s_or_b32 s24, vcc_lo, s24
	s_and_not1_b32 exec_lo, exec_lo, s24
	s_cbranch_execnz .LBB983_89
; %bb.90:
	s_or_b32 exec_lo, exec_lo, s24
	v_and_b32_e32 v3, 0xffff, v3
.LBB983_91:
	s_or_b32 exec_lo, exec_lo, s15
	v_cmp_ne_u32_e32 vcc_lo, 31, v84
	v_and_b32_e32 v21, 0xff, v4
	v_lshlrev_b32_e64 v29, v84, -1
	v_cmp_eq_u32_e64 s15, 0, v2
	v_add_nc_u32_e32 v37, 8, v84
	v_add_co_ci_u32_e32 v5, vcc_lo, 0, v84, vcc_lo
	v_cmp_eq_u16_e32 vcc_lo, 2, v21
	v_add_nc_u32_e32 v39, 16, v84
	v_and_or_b32 v21, vcc_lo, v29, 0x80000000
	v_cmp_gt_u32_e32 vcc_lo, 30, v84
	s_delay_alu instid0(VALU_DEP_2) | instskip(SKIP_1) | instid1(VALU_DEP_2)
	v_ctz_i32_b32_e32 v21, v21
	v_cndmask_b32_e64 v22, 0, 1, vcc_lo
	v_cmp_lt_u32_e32 vcc_lo, v84, v21
	v_lshlrev_b32_e32 v28, 2, v5
	ds_bpermute_b32 v5, v28, v3
	s_waitcnt lgkmcnt(0)
	v_cndmask_b32_e64 v5, 0, v5, s15
	s_delay_alu instid0(VALU_DEP_1) | instskip(SKIP_1) | instid1(VALU_DEP_2)
	v_add_nc_u16 v5, v5, v3
	v_lshlrev_b32_e32 v22, 1, v22
	v_and_b32_e32 v31, 0xffff, v5
	v_cndmask_b32_e32 v5, v3, v5, vcc_lo
	s_delay_alu instid0(VALU_DEP_3) | instskip(NEXT) | instid1(VALU_DEP_3)
	v_add_lshl_u32 v30, v22, v84, 2
	v_cndmask_b32_e32 v3, v3, v31, vcc_lo
	ds_bpermute_b32 v23, v28, v2
	v_add_nc_u32_e32 v31, 2, v84
	ds_bpermute_b32 v22, v30, v3
	s_waitcnt lgkmcnt(1)
	v_cndmask_b32_e32 v23, 0, v23, vcc_lo
	s_delay_alu instid0(VALU_DEP_1) | instskip(NEXT) | instid1(VALU_DEP_1)
	v_add_nc_u32_e32 v2, v23, v2
	v_cmp_eq_u32_e32 vcc_lo, 0, v2
	s_waitcnt lgkmcnt(0)
	v_cndmask_b32_e32 v22, 0, v22, vcc_lo
	v_cmp_gt_u32_e32 vcc_lo, 28, v84
	s_delay_alu instid0(VALU_DEP_2) | instskip(SKIP_2) | instid1(VALU_DEP_3)
	v_add_nc_u16 v22, v22, v5
	v_cndmask_b32_e64 v23, 0, 1, vcc_lo
	v_cmp_gt_u32_e32 vcc_lo, v31, v21
	v_and_b32_e32 v34, 0xffff, v22
	s_delay_alu instid0(VALU_DEP_3)
	v_lshlrev_b32_e32 v23, 2, v23
	v_cndmask_b32_e32 v5, v22, v5, vcc_lo
	ds_bpermute_b32 v33, v30, v2
	v_cndmask_b32_e32 v3, v34, v3, vcc_lo
	v_add_lshl_u32 v32, v23, v84, 2
	ds_bpermute_b32 v22, v32, v3
	s_waitcnt lgkmcnt(1)
	v_cndmask_b32_e64 v23, v33, 0, vcc_lo
	v_add_nc_u32_e32 v33, 4, v84
	s_delay_alu instid0(VALU_DEP_2) | instskip(NEXT) | instid1(VALU_DEP_1)
	v_add_nc_u32_e32 v2, v2, v23
	v_cmp_eq_u32_e32 vcc_lo, 0, v2
	ds_bpermute_b32 v35, v32, v2
	s_waitcnt lgkmcnt(1)
	v_cndmask_b32_e32 v22, 0, v22, vcc_lo
	v_cmp_gt_u32_e32 vcc_lo, 24, v84
	s_delay_alu instid0(VALU_DEP_2) | instskip(SKIP_2) | instid1(VALU_DEP_3)
	v_add_nc_u16 v22, v5, v22
	v_cndmask_b32_e64 v23, 0, 1, vcc_lo
	v_cmp_gt_u32_e32 vcc_lo, v33, v21
	v_and_b32_e32 v36, 0xffff, v22
	s_delay_alu instid0(VALU_DEP_3) | instskip(SKIP_1) | instid1(VALU_DEP_2)
	v_lshlrev_b32_e32 v23, 3, v23
	v_cndmask_b32_e32 v5, v22, v5, vcc_lo
	v_add_lshl_u32 v34, v23, v84, 2
	s_waitcnt lgkmcnt(0)
	v_cndmask_b32_e64 v23, v35, 0, vcc_lo
	s_delay_alu instid0(VALU_DEP_1)
	v_add_nc_u32_e32 v2, v2, v23
	v_cndmask_b32_e32 v3, v36, v3, vcc_lo
	ds_bpermute_b32 v23, v34, v2
	ds_bpermute_b32 v22, v34, v3
	v_cmp_eq_u32_e32 vcc_lo, 0, v2
	s_waitcnt lgkmcnt(0)
	v_cndmask_b32_e32 v22, 0, v22, vcc_lo
	v_cmp_gt_u32_e32 vcc_lo, 16, v84
	s_delay_alu instid0(VALU_DEP_2) | instskip(SKIP_2) | instid1(VALU_DEP_3)
	v_add_nc_u16 v22, v5, v22
	v_cndmask_b32_e64 v35, 0, 1, vcc_lo
	v_cmp_gt_u32_e32 vcc_lo, v37, v21
	v_and_b32_e32 v36, 0xffff, v22
	s_delay_alu instid0(VALU_DEP_3) | instskip(SKIP_2) | instid1(VALU_DEP_3)
	v_lshlrev_b32_e32 v35, 4, v35
	v_cndmask_b32_e32 v5, v22, v5, vcc_lo
	v_cndmask_b32_e64 v22, v23, 0, vcc_lo
	v_add_lshl_u32 v38, v35, v84, 2
	s_delay_alu instid0(VALU_DEP_2)
	v_dual_cndmask_b32 v3, v36, v3 :: v_dual_add_nc_u32 v2, v2, v22
	ds_bpermute_b32 v22, v38, v2
	ds_bpermute_b32 v3, v38, v3
	v_cmp_eq_u32_e32 vcc_lo, 0, v2
	s_waitcnt lgkmcnt(0)
	v_cndmask_b32_e32 v3, 0, v3, vcc_lo
	v_cmp_gt_u32_e32 vcc_lo, v39, v21
	s_delay_alu instid0(VALU_DEP_2) | instskip(SKIP_1) | instid1(VALU_DEP_1)
	v_cndmask_b32_e64 v3, v3, 0, vcc_lo
	v_cndmask_b32_e64 v21, v22, 0, vcc_lo
	v_add_nc_u32_e32 v2, v21, v2
	s_delay_alu instid0(VALU_DEP_3)
	v_add_nc_u16 v3, v5, v3
	v_mov_b32_e32 v21, 0
	s_branch .LBB983_93
.LBB983_92:                             ;   in Loop: Header=BB983_93 Depth=1
	s_or_b32 exec_lo, exec_lo, s15
	ds_bpermute_b32 v5, v28, v3
	v_cmp_eq_u32_e64 s15, 0, v2
	ds_bpermute_b32 v23, v28, v2
	v_subrev_nc_u32_e32 v20, 32, v20
	s_waitcnt lgkmcnt(1)
	v_cndmask_b32_e64 v5, 0, v5, s15
	s_delay_alu instid0(VALU_DEP_1) | instskip(SKIP_1) | instid1(VALU_DEP_1)
	v_add_nc_u16 v5, v5, v3
	v_and_b32_e32 v22, 0xff, v4
	v_cmp_eq_u16_e32 vcc_lo, 2, v22
	v_and_or_b32 v22, vcc_lo, v29, 0x80000000
	s_delay_alu instid0(VALU_DEP_1) | instskip(NEXT) | instid1(VALU_DEP_1)
	v_ctz_i32_b32_e32 v22, v22
	v_cmp_lt_u32_e32 vcc_lo, v84, v22
	s_waitcnt lgkmcnt(0)
	v_dual_cndmask_b32 v23, 0, v23 :: v_dual_and_b32 v40, 0xffff, v5
	v_cndmask_b32_e32 v5, v3, v5, vcc_lo
	s_delay_alu instid0(VALU_DEP_2) | instskip(SKIP_2) | instid1(VALU_DEP_1)
	v_cndmask_b32_e32 v3, v3, v40, vcc_lo
	ds_bpermute_b32 v40, v30, v3
	v_add_nc_u32_e32 v2, v23, v2
	v_cmp_eq_u32_e32 vcc_lo, 0, v2
	s_waitcnt lgkmcnt(0)
	v_cndmask_b32_e32 v23, 0, v40, vcc_lo
	ds_bpermute_b32 v40, v30, v2
	v_cmp_gt_u32_e32 vcc_lo, v31, v22
	v_add_nc_u16 v23, v23, v5
	s_delay_alu instid0(VALU_DEP_1) | instskip(SKIP_2) | instid1(VALU_DEP_1)
	v_and_b32_e32 v41, 0xffff, v23
	s_waitcnt lgkmcnt(0)
	v_cndmask_b32_e64 v40, v40, 0, vcc_lo
	v_dual_cndmask_b32 v5, v23, v5 :: v_dual_add_nc_u32 v2, v2, v40
	s_delay_alu instid0(VALU_DEP_3)
	v_cndmask_b32_e32 v3, v41, v3, vcc_lo
	ds_bpermute_b32 v40, v32, v2
	ds_bpermute_b32 v23, v32, v3
	v_cmp_eq_u32_e32 vcc_lo, 0, v2
	s_waitcnt lgkmcnt(0)
	v_cndmask_b32_e32 v23, 0, v23, vcc_lo
	v_cmp_gt_u32_e32 vcc_lo, v33, v22
	s_delay_alu instid0(VALU_DEP_2) | instskip(SKIP_1) | instid1(VALU_DEP_2)
	v_add_nc_u16 v23, v5, v23
	v_cndmask_b32_e64 v40, v40, 0, vcc_lo
	v_and_b32_e32 v41, 0xffff, v23
	s_delay_alu instid0(VALU_DEP_2) | instskip(NEXT) | instid1(VALU_DEP_2)
	v_dual_cndmask_b32 v5, v23, v5 :: v_dual_add_nc_u32 v2, v2, v40
	v_cndmask_b32_e32 v3, v41, v3, vcc_lo
	s_delay_alu instid0(VALU_DEP_2)
	v_cmp_eq_u32_e32 vcc_lo, 0, v2
	ds_bpermute_b32 v40, v34, v2
	ds_bpermute_b32 v23, v34, v3
	s_waitcnt lgkmcnt(0)
	v_cndmask_b32_e32 v23, 0, v23, vcc_lo
	v_cmp_gt_u32_e32 vcc_lo, v37, v22
	s_delay_alu instid0(VALU_DEP_2) | instskip(NEXT) | instid1(VALU_DEP_1)
	v_add_nc_u16 v23, v5, v23
	v_and_b32_e32 v41, 0xffff, v23
	v_cndmask_b32_e32 v5, v23, v5, vcc_lo
	v_cndmask_b32_e64 v23, v40, 0, vcc_lo
	s_delay_alu instid0(VALU_DEP_3) | instskip(NEXT) | instid1(VALU_DEP_2)
	v_cndmask_b32_e32 v3, v41, v3, vcc_lo
	v_add_nc_u32_e32 v2, v2, v23
	ds_bpermute_b32 v3, v38, v3
	ds_bpermute_b32 v23, v38, v2
	v_cmp_eq_u32_e32 vcc_lo, 0, v2
	s_waitcnt lgkmcnt(1)
	v_cndmask_b32_e32 v3, 0, v3, vcc_lo
	v_cmp_gt_u32_e32 vcc_lo, v39, v22
	s_delay_alu instid0(VALU_DEP_2) | instskip(NEXT) | instid1(VALU_DEP_1)
	v_cndmask_b32_e64 v3, v3, 0, vcc_lo
	v_add_nc_u16 v3, v5, v3
	s_waitcnt lgkmcnt(0)
	v_cndmask_b32_e64 v5, v23, 0, vcc_lo
	v_cmp_eq_u32_e32 vcc_lo, 0, v36
	s_delay_alu instid0(VALU_DEP_2) | instskip(SKIP_1) | instid1(VALU_DEP_1)
	v_add3_u32 v2, v2, v36, v5
	v_cndmask_b32_e32 v3, 0, v3, vcc_lo
	v_add_nc_u16 v3, v3, v35
.LBB983_93:                             ; =>This Loop Header: Depth=1
                                        ;     Child Loop BB983_96 Depth 2
	s_delay_alu instid0(VALU_DEP_1) | instskip(NEXT) | instid1(VALU_DEP_4)
	v_dual_mov_b32 v35, v3 :: v_dual_and_b32 v4, 0xff, v4
	v_mov_b32_e32 v36, v2
	s_delay_alu instid0(VALU_DEP_2) | instskip(SKIP_2) | instid1(VALU_DEP_1)
	v_cmp_ne_u16_e32 vcc_lo, 2, v4
	v_cndmask_b32_e64 v4, 0, 1, vcc_lo
	;;#ASMSTART
	;;#ASMEND
	v_cmp_ne_u32_e32 vcc_lo, 0, v4
	s_cmp_lg_u32 vcc_lo, exec_lo
	s_cbranch_scc1 .LBB983_98
; %bb.94:                               ;   in Loop: Header=BB983_93 Depth=1
	v_lshlrev_b64 v[2:3], 4, v[20:21]
	s_mov_b32 s15, exec_lo
	s_delay_alu instid0(VALU_DEP_1) | instskip(NEXT) | instid1(VALU_DEP_2)
	v_add_co_u32 v22, vcc_lo, s20, v2
	v_add_co_ci_u32_e32 v23, vcc_lo, s21, v3, vcc_lo
	;;#ASMSTART
	global_load_dwordx4 v[2:5], v[22:23] off glc	
s_waitcnt vmcnt(0)
	;;#ASMEND
	v_and_b32_e32 v5, 0xffffff, v2
	v_and_b32_e32 v2, 0xff000000, v2
	;; [unrolled: 1-line block ×4, first 2 shown]
	s_delay_alu instid0(VALU_DEP_3) | instskip(SKIP_1) | instid1(VALU_DEP_3)
	v_or_b32_e32 v2, v5, v2
	v_and_b32_e32 v5, 0xff, v4
	v_or3_b32 v3, 0, v40, v3
	s_delay_alu instid0(VALU_DEP_3) | instskip(NEXT) | instid1(VALU_DEP_3)
	v_or3_b32 v2, v2, 0, 0
	v_cmpx_eq_u16_e32 0, v5
	s_cbranch_execz .LBB983_92
; %bb.95:                               ;   in Loop: Header=BB983_93 Depth=1
	s_mov_b32 s24, 0
.LBB983_96:                             ;   Parent Loop BB983_93 Depth=1
                                        ; =>  This Inner Loop Header: Depth=2
	;;#ASMSTART
	global_load_dwordx4 v[2:5], v[22:23] off glc	
s_waitcnt vmcnt(0)
	;;#ASMEND
	v_and_b32_e32 v5, 0xff, v4
	s_delay_alu instid0(VALU_DEP_1) | instskip(SKIP_1) | instid1(SALU_CYCLE_1)
	v_cmp_ne_u16_e32 vcc_lo, 0, v5
	s_or_b32 s24, vcc_lo, s24
	s_and_not1_b32 exec_lo, exec_lo, s24
	s_cbranch_execnz .LBB983_96
; %bb.97:                               ;   in Loop: Header=BB983_93 Depth=1
	s_or_b32 exec_lo, exec_lo, s24
	v_and_b32_e32 v3, 0xffff, v3
	s_branch .LBB983_92
.LBB983_98:                             ;   in Loop: Header=BB983_93 Depth=1
                                        ; implicit-def: $vgpr3
                                        ; implicit-def: $vgpr2
                                        ; implicit-def: $vgpr4
	s_cbranch_execz .LBB983_93
; %bb.99:
	s_and_saveexec_b32 s15, s14
	s_cbranch_execz .LBB983_101
; %bb.100:
	v_cmp_eq_u32_e32 vcc_lo, 0, v1
	s_mov_b32 s25, 0
	s_add_i32 s24, s33, 32
	v_add_nc_u32_e64 v22, 0x800, 0
	s_lshl_b64 s[24:25], s[24:25], 4
	v_dual_cndmask_b32 v2, 0, v35 :: v_dual_mov_b32 v5, 0
	s_add_u32 s24, s20, s24
	s_addc_u32 s25, s21, s25
	v_mov_b32_e32 v4, 2
	s_delay_alu instid0(VALU_DEP_2) | instskip(SKIP_1) | instid1(VALU_DEP_2)
	v_add_nc_u16 v3, v2, s23
	v_dual_mov_b32 v23, s23 :: v_dual_add_nc_u32 v2, v36, v1
	v_and_b32_e32 v20, 0xff00, v3
	v_and_b32_e32 v3, 0xff, v3
	s_delay_alu instid0(VALU_DEP_1)
	v_or_b32_e32 v3, v20, v3
	v_dual_mov_b32 v20, s24 :: v_dual_mov_b32 v21, s25
	;;#ASMSTART
	global_store_dwordx4 v[20:21], v[2:5] off	
s_waitcnt vmcnt(0)
	;;#ASMEND
	ds_store_2addr_b32 v22, v1, v36 offset1:2
	ds_store_b16 v5, v23 offset:2052
	ds_store_b16 v5, v35 offset:2060
.LBB983_101:
	s_or_b32 exec_lo, exec_lo, s15
	s_delay_alu instid0(SALU_CYCLE_1)
	s_and_b32 exec_lo, exec_lo, s2
	s_cbranch_execz .LBB983_103
; %bb.102:
	v_mov_b32_e32 v1, 0
	ds_store_b32 v1, v36 offset:2120
	ds_store_b16 v1, v35 offset:2124
.LBB983_103:
	s_or_b32 exec_lo, exec_lo, s22
	s_waitcnt lgkmcnt(1)
	v_cndmask_b32_e64 v4, v26, v25, s14
	s_waitcnt lgkmcnt(0)
	s_barrier
	buffer_gl0_inv
	v_cndmask_b32_e64 v5, v27, v24, s14
	v_cmp_eq_u32_e32 vcc_lo, 0, v4
	v_mov_b32_e32 v3, 0
	v_cndmask_b32_e64 v4, v4, 0, s2
	ds_load_b64 v[1:2], v3 offset:2120
	s_waitcnt lgkmcnt(0)
	s_barrier
	buffer_gl0_inv
	v_cndmask_b32_e32 v20, 0, v2, vcc_lo
	v_cmp_eq_u32_e32 vcc_lo, 0, v83
	v_add_nc_u32_e32 v48, v1, v4
	s_delay_alu instid0(VALU_DEP_3) | instskip(NEXT) | instid1(VALU_DEP_2)
	v_add_nc_u16 v5, v20, v5
	v_add_nc_u32_e32 v44, v48, v83
	s_delay_alu instid0(VALU_DEP_2) | instskip(NEXT) | instid1(VALU_DEP_2)
	v_cndmask_b32_e64 v20, v5, v2, s2
	v_add_nc_u32_e32 v42, v44, v66
	s_delay_alu instid0(VALU_DEP_2) | instskip(SKIP_1) | instid1(VALU_DEP_3)
	v_cndmask_b32_e32 v2, 0, v20, vcc_lo
	v_and_b32_e32 v49, 0xffff, v20
	v_add_nc_u32_e32 v40, v42, v65
	s_delay_alu instid0(VALU_DEP_3) | instskip(NEXT) | instid1(VALU_DEP_2)
	v_add_nc_u16 v21, v2, v80
	v_add_nc_u32_e32 v28, v40, v64
	s_delay_alu instid0(VALU_DEP_2) | instskip(SKIP_1) | instid1(VALU_DEP_3)
	v_cndmask_b32_e64 v2, 0, v21, s13
	v_and_b32_e32 v45, 0xffff, v21
	v_add_nc_u32_e32 v26, v28, v63
	s_delay_alu instid0(VALU_DEP_3) | instskip(NEXT) | instid1(VALU_DEP_2)
	v_add_nc_u16 v22, v2, v79
	v_add_nc_u32_e32 v24, v26, v62
	s_delay_alu instid0(VALU_DEP_2) | instskip(SKIP_1) | instid1(VALU_DEP_3)
	v_cndmask_b32_e64 v2, 0, v22, s12
	;; [unrolled: 7-line block ×3, first 2 shown]
	v_and_b32_e32 v41, 0xffff, v23
	v_add_nc_u32_e32 v38, v50, v58
	s_delay_alu instid0(VALU_DEP_3) | instskip(NEXT) | instid1(VALU_DEP_2)
	v_add_nc_u16 v25, v2, v77
	v_add_nc_u32_e32 v36, v38, v57
	s_delay_alu instid0(VALU_DEP_2) | instskip(NEXT) | instid1(VALU_DEP_2)
	v_cndmask_b32_e64 v2, 0, v25, s10
	v_add_nc_u32_e32 v32, v36, v56
	s_delay_alu instid0(VALU_DEP_2) | instskip(NEXT) | instid1(VALU_DEP_2)
	v_add_nc_u16 v27, v2, v76
	v_add_nc_u32_e32 v34, v32, v55
	s_delay_alu instid0(VALU_DEP_2) | instskip(SKIP_1) | instid1(VALU_DEP_3)
	v_cndmask_b32_e64 v2, 0, v27, s9
	v_and_b32_e32 v27, 0xffff, v27
	v_add_nc_u32_e32 v30, v34, v54
	s_delay_alu instid0(VALU_DEP_3) | instskip(NEXT) | instid1(VALU_DEP_2)
	v_add_nc_u16 v31, v2, v75
	v_add_nc_u32_e32 v22, v30, v53
	s_delay_alu instid0(VALU_DEP_2) | instskip(NEXT) | instid1(VALU_DEP_1)
	v_cndmask_b32_e64 v1, 0, v31, s8
	v_add_nc_u16 v1, v1, v73
	s_delay_alu instid0(VALU_DEP_1) | instskip(SKIP_1) | instid1(VALU_DEP_2)
	v_cndmask_b32_e64 v2, 0, v1, s7
	v_and_b32_e32 v47, 0xffff, v1
	v_add_nc_u16 v33, v2, v71
	s_delay_alu instid0(VALU_DEP_1) | instskip(SKIP_1) | instid1(VALU_DEP_2)
	v_cndmask_b32_e64 v2, 0, v33, s6
	v_and_b32_e32 v51, 0xffff, v33
	v_add_nc_u16 v35, v2, v74
	s_delay_alu instid0(VALU_DEP_1) | instskip(SKIP_1) | instid1(VALU_DEP_2)
	v_cndmask_b32_e64 v2, 0, v35, s5
	v_and_b32_e32 v39, 0xffff, v35
	v_add_nc_u16 v37, v2, v72
	ds_load_b128 v[2:5], v3 offset:2048
	v_cndmask_b32_e64 v29, 0, v37, s4
	v_and_b32_e32 v37, 0xffff, v37
	s_delay_alu instid0(VALU_DEP_2) | instskip(NEXT) | instid1(VALU_DEP_1)
	v_add_nc_u16 v82, v29, v70
	v_cndmask_b32_e64 v29, 0, v82, s3
	v_and_b32_e32 v33, 0xffff, v82
	s_delay_alu instid0(VALU_DEP_2) | instskip(SKIP_2) | instid1(VALU_DEP_2)
	v_add_nc_u16 v88, v29, v69
	s_waitcnt lgkmcnt(0)
	v_cmp_eq_u32_e32 vcc_lo, 0, v2
	v_cndmask_b32_e64 v29, 0, v88, s1
	v_cndmask_b32_e32 v5, 0, v5, vcc_lo
	v_and_b32_e32 v35, 0xffff, v88
	s_delay_alu instid0(VALU_DEP_3) | instskip(SKIP_3) | instid1(VALU_DEP_4)
	v_add_nc_u16 v20, v29, v68
	v_and_b32_e32 v29, 0xffff, v25
	v_and_b32_e32 v25, 0xffff, v31
	v_add_nc_u32_e32 v82, v5, v3
	v_cndmask_b32_e64 v21, 0, v20, s0
	v_and_b32_e32 v31, 0xffff, v20
	s_delay_alu instid0(VALU_DEP_2) | instskip(NEXT) | instid1(VALU_DEP_1)
	v_add_nc_u16 v1, v21, v67
	v_and_b32_e32 v23, 0xffff, v1
	s_branch .LBB983_116
.LBB983_104:
                                        ; implicit-def: $vgpr2
                                        ; implicit-def: $vgpr82
                                        ; implicit-def: $vgpr48_vgpr49
                                        ; implicit-def: $vgpr44_vgpr45
                                        ; implicit-def: $vgpr42_vgpr43
                                        ; implicit-def: $vgpr40_vgpr41
                                        ; implicit-def: $vgpr28_vgpr29
                                        ; implicit-def: $vgpr26_vgpr27
                                        ; implicit-def: $vgpr24_vgpr25
                                        ; implicit-def: $vgpr46_vgpr47
                                        ; implicit-def: $vgpr50_vgpr51
                                        ; implicit-def: $vgpr38_vgpr39
                                        ; implicit-def: $vgpr36_vgpr37
                                        ; implicit-def: $vgpr32_vgpr33
                                        ; implicit-def: $vgpr34_vgpr35
                                        ; implicit-def: $vgpr30_vgpr31
                                        ; implicit-def: $vgpr22_vgpr23
	s_cbranch_execz .LBB983_116
; %bb.105:
	s_and_b32 s0, s16, exec_lo
	v_mov_b32_e32 v1, v80
	s_cselect_b32 s1, 0, s19
	s_cselect_b32 s0, 0, s18
	s_delay_alu instid0(SALU_CYCLE_1)
	s_cmp_eq_u64 s[0:1], 0
	s_cbranch_scc1 .LBB983_107
; %bb.106:
	v_mov_b32_e32 v1, 0
	global_load_u16 v1, v1, s[0:1]
.LBB983_107:
	v_cmp_eq_u32_e64 s12, 0, v66
	v_cmp_eq_u32_e64 s11, 0, v65
	;; [unrolled: 1-line block ×5, first 2 shown]
	v_cndmask_b32_e64 v2, 0, v80, s12
	v_cmp_eq_u32_e64 s8, 0, v61
	v_cmp_eq_u32_e64 s6, 0, v60
	;; [unrolled: 1-line block ×4, first 2 shown]
	v_add_nc_u16 v2, v2, v79
	v_cmp_eq_u32_e64 s3, 0, v56
	v_cmp_eq_u32_e64 s1, 0, v55
	v_add3_u32 v3, v87, v62, v61
	v_cmp_eq_u32_e64 s0, 0, v54
	v_cndmask_b32_e64 v2, 0, v2, s11
	v_cmp_eq_u32_e32 vcc_lo, 0, v53
	v_cmp_eq_u32_e64 s13, 0, v59
	v_add3_u32 v3, v3, v60, v58
	v_and_b32_e32 v20, 15, v84
	v_add_nc_u16 v2, v2, v78
	s_delay_alu instid0(VALU_DEP_3) | instskip(NEXT) | instid1(VALU_DEP_2)
	v_add3_u32 v3, v3, v57, v56
	v_cndmask_b32_e64 v2, 0, v2, s10
	s_delay_alu instid0(VALU_DEP_2) | instskip(NEXT) | instid1(VALU_DEP_2)
	v_add3_u32 v3, v3, v55, v54
	v_add_nc_u16 v2, v2, v77
	s_delay_alu instid0(VALU_DEP_2) | instskip(NEXT) | instid1(VALU_DEP_2)
	v_add3_u32 v3, v3, v53, v59
	v_cndmask_b32_e64 v2, 0, v2, s9
	s_delay_alu instid0(VALU_DEP_2) | instskip(NEXT) | instid1(VALU_DEP_2)
	v_mov_b32_dpp v21, v3 row_shr:1 row_mask:0xf bank_mask:0xf
	v_add_nc_u16 v2, v2, v76
	s_delay_alu instid0(VALU_DEP_1) | instskip(NEXT) | instid1(VALU_DEP_1)
	v_cndmask_b32_e64 v2, 0, v2, s7
	v_add_nc_u16 v2, v2, v75
	s_delay_alu instid0(VALU_DEP_1) | instskip(NEXT) | instid1(VALU_DEP_1)
	v_cndmask_b32_e64 v2, 0, v2, s8
	;; [unrolled: 3-line block ×8, first 2 shown]
	v_add_nc_u16 v2, v2, v68
	s_delay_alu instid0(VALU_DEP_1) | instskip(NEXT) | instid1(VALU_DEP_1)
	v_cndmask_b32_e32 v2, 0, v2, vcc_lo
	v_add_nc_u16 v2, v2, v67
	s_delay_alu instid0(VALU_DEP_1) | instskip(SKIP_1) | instid1(VALU_DEP_2)
	v_cndmask_b32_e64 v2, 0, v2, s13
	v_cmp_eq_u32_e64 s13, 0, v3
	v_add_nc_u16 v2, v2, v81
	s_delay_alu instid0(VALU_DEP_1) | instskip(NEXT) | instid1(VALU_DEP_1)
	v_and_b32_e32 v4, 0xffff, v2
	v_mov_b32_dpp v5, v4 row_shr:1 row_mask:0xf bank_mask:0xf
	s_delay_alu instid0(VALU_DEP_1) | instskip(SKIP_1) | instid1(VALU_DEP_2)
	v_cndmask_b32_e64 v5, 0, v5, s13
	v_cmp_eq_u32_e64 s13, 0, v20
	v_add_nc_u16 v5, v5, v2
	s_delay_alu instid0(VALU_DEP_2) | instskip(NEXT) | instid1(VALU_DEP_2)
	v_cndmask_b32_e64 v21, v21, 0, s13
	v_and_b32_e32 v22, 0xffff, v5
	s_delay_alu instid0(VALU_DEP_2) | instskip(SKIP_1) | instid1(VALU_DEP_3)
	v_add_nc_u32_e32 v3, v21, v3
	v_cndmask_b32_e64 v2, v5, v2, s13
	v_cndmask_b32_e64 v4, v22, v4, s13
	s_delay_alu instid0(VALU_DEP_3) | instskip(NEXT) | instid1(VALU_DEP_2)
	v_cmp_eq_u32_e64 s13, 0, v3
	v_mov_b32_dpp v21, v4 row_shr:2 row_mask:0xf bank_mask:0xf
	s_delay_alu instid0(VALU_DEP_1) | instskip(SKIP_2) | instid1(VALU_DEP_3)
	v_cndmask_b32_e64 v5, 0, v21, s13
	v_mov_b32_dpp v21, v3 row_shr:2 row_mask:0xf bank_mask:0xf
	v_cmp_lt_u32_e64 s13, 1, v20
	v_add_nc_u16 v5, v5, v2
	s_delay_alu instid0(VALU_DEP_1) | instskip(NEXT) | instid1(VALU_DEP_3)
	v_and_b32_e32 v22, 0xffff, v5
	v_cndmask_b32_e64 v2, v2, v5, s13
	v_cndmask_b32_e64 v5, 0, v21, s13
	s_delay_alu instid0(VALU_DEP_3) | instskip(NEXT) | instid1(VALU_DEP_2)
	v_cndmask_b32_e64 v4, v4, v22, s13
	v_add_nc_u32_e32 v3, v3, v5
	s_delay_alu instid0(VALU_DEP_2) | instskip(NEXT) | instid1(VALU_DEP_2)
	v_mov_b32_dpp v5, v4 row_shr:4 row_mask:0xf bank_mask:0xf
	v_cmp_eq_u32_e64 s13, 0, v3
	v_mov_b32_dpp v21, v3 row_shr:4 row_mask:0xf bank_mask:0xf
	s_delay_alu instid0(VALU_DEP_2) | instskip(SKIP_1) | instid1(VALU_DEP_2)
	v_cndmask_b32_e64 v5, 0, v5, s13
	v_cmp_lt_u32_e64 s13, 3, v20
	v_add_nc_u16 v5, v5, v2
	s_delay_alu instid0(VALU_DEP_1) | instskip(NEXT) | instid1(VALU_DEP_3)
	v_and_b32_e32 v22, 0xffff, v5
	v_cndmask_b32_e64 v2, v2, v5, s13
	v_cndmask_b32_e64 v5, 0, v21, s13
	s_delay_alu instid0(VALU_DEP_3) | instskip(NEXT) | instid1(VALU_DEP_2)
	v_cndmask_b32_e64 v4, v4, v22, s13
	v_add_nc_u32_e32 v3, v5, v3
	s_delay_alu instid0(VALU_DEP_2) | instskip(NEXT) | instid1(VALU_DEP_2)
	v_mov_b32_dpp v5, v4 row_shr:8 row_mask:0xf bank_mask:0xf
	v_cmp_eq_u32_e64 s13, 0, v3
	v_mov_b32_dpp v21, v3 row_shr:8 row_mask:0xf bank_mask:0xf
	s_delay_alu instid0(VALU_DEP_2) | instskip(SKIP_1) | instid1(VALU_DEP_2)
	v_cndmask_b32_e64 v5, 0, v5, s13
	v_cmp_lt_u32_e64 s13, 7, v20
	v_add_nc_u16 v5, v5, v2
	s_delay_alu instid0(VALU_DEP_1) | instskip(SKIP_3) | instid1(VALU_DEP_3)
	v_cndmask_b32_e64 v20, v2, v5, s13
	v_cndmask_b32_e64 v2, 0, v21, s13
	v_and_b32_e32 v5, 0xffff, v5
	v_bfe_i32 v21, v84, 4, 1
	v_add_nc_u32_e32 v2, v2, v3
	s_delay_alu instid0(VALU_DEP_3)
	v_cndmask_b32_e64 v3, v4, v5, s13
	v_and_b32_e32 v5, 16, v84
	ds_swizzle_b32 v4, v2 offset:swizzle(BROADCAST,32,15)
	ds_swizzle_b32 v3, v3 offset:swizzle(BROADCAST,32,15)
	v_cmp_ne_u32_e64 s13, 0, v5
	v_cmp_eq_u32_e64 s14, 0, v2
	v_lshlrev_b32_e32 v5, 3, v85
	s_delay_alu instid0(VALU_DEP_2)
	s_and_b32 s13, s13, s14
	s_mov_b32 s14, exec_lo
	s_waitcnt lgkmcnt(1)
	v_and_b32_e32 v4, v21, v4
	s_waitcnt lgkmcnt(0)
	v_cndmask_b32_e64 v3, 0, v3, s13
	s_delay_alu instid0(VALU_DEP_2) | instskip(NEXT) | instid1(VALU_DEP_2)
	v_add_nc_u32_e32 v2, v4, v2
	v_add_nc_u16 v4, v3, v20
	v_cmpx_eq_u32_e64 v86, v0
	s_cbranch_execz .LBB983_109
; %bb.108:
	ds_store_b32 v5, v2 offset:2064
	ds_store_b16 v5, v4 offset:2068
.LBB983_109:
	s_or_b32 exec_lo, exec_lo, s14
	s_delay_alu instid0(SALU_CYCLE_1)
	s_mov_b32 s15, exec_lo
	s_waitcnt vmcnt(0) lgkmcnt(0)
	s_barrier
	buffer_gl0_inv
	v_cmpx_gt_u32_e32 8, v0
	s_cbranch_execz .LBB983_111
; %bb.110:
	v_lshlrev_b32_e32 v3, 3, v0
	v_and_b32_e32 v25, 7, v84
	ds_load_b64 v[20:21], v3 offset:2064
	v_cmp_lt_u32_e64 s14, 3, v25
	s_waitcnt lgkmcnt(0)
	v_mov_b32_dpp v22, v21 row_shr:1 row_mask:0xf bank_mask:0xf
	v_cmp_eq_u32_e64 s13, 0, v20
	v_and_b32_e32 v23, 0xffff0000, v21
	v_mov_b32_dpp v26, v20 row_shr:1 row_mask:0xf bank_mask:0xf
	s_delay_alu instid0(VALU_DEP_3) | instskip(SKIP_1) | instid1(VALU_DEP_2)
	v_cndmask_b32_e64 v22, 0, v22, s13
	v_cmp_eq_u32_e64 s13, 0, v25
	v_add_nc_u16 v22, v22, v21
	s_delay_alu instid0(VALU_DEP_2) | instskip(NEXT) | instid1(VALU_DEP_2)
	v_cndmask_b32_e64 v26, v26, 0, s13
	v_and_b32_e32 v24, 0xffff, v22
	s_delay_alu instid0(VALU_DEP_2) | instskip(NEXT) | instid1(VALU_DEP_2)
	v_add_nc_u32_e32 v20, v26, v20
	v_or_b32_e32 v24, v23, v24
	s_delay_alu instid0(VALU_DEP_1) | instskip(SKIP_1) | instid1(VALU_DEP_4)
	v_cndmask_b32_e64 v24, v24, v21, s13
	v_cndmask_b32_e64 v21, v22, v21, s13
	v_cmp_eq_u32_e64 s13, 0, v20
	s_delay_alu instid0(VALU_DEP_3) | instskip(NEXT) | instid1(VALU_DEP_1)
	v_mov_b32_dpp v26, v24 row_shr:2 row_mask:0xf bank_mask:0xf
	v_cndmask_b32_e64 v22, 0, v26, s13
	v_mov_b32_dpp v26, v20 row_shr:2 row_mask:0xf bank_mask:0xf
	v_cmp_lt_u32_e64 s13, 1, v25
	s_delay_alu instid0(VALU_DEP_3) | instskip(NEXT) | instid1(VALU_DEP_1)
	v_add_nc_u16 v22, v22, v21
	v_and_b32_e32 v27, 0xffff, v22
	s_delay_alu instid0(VALU_DEP_3) | instskip(SKIP_1) | instid1(VALU_DEP_3)
	v_cndmask_b32_e64 v21, v21, v22, s13
	v_cndmask_b32_e64 v22, 0, v26, s13
	v_or_b32_e32 v23, v23, v27
	s_delay_alu instid0(VALU_DEP_2) | instskip(NEXT) | instid1(VALU_DEP_2)
	v_add_nc_u32_e32 v20, v22, v20
	v_cndmask_b32_e64 v22, v24, v23, s13
	s_delay_alu instid0(VALU_DEP_2) | instskip(SKIP_1) | instid1(VALU_DEP_3)
	v_cmp_eq_u32_e64 s13, 0, v20
	v_mov_b32_dpp v23, v20 row_shr:4 row_mask:0xf bank_mask:0xf
	v_mov_b32_dpp v22, v22 row_shr:4 row_mask:0xf bank_mask:0xf
	s_delay_alu instid0(VALU_DEP_3) | instskip(NEXT) | instid1(VALU_DEP_2)
	s_and_b32 s13, s14, s13
	v_cndmask_b32_e64 v23, 0, v23, s14
	s_delay_alu instid0(VALU_DEP_2) | instskip(NEXT) | instid1(VALU_DEP_2)
	v_cndmask_b32_e64 v22, 0, v22, s13
	v_add_nc_u32_e32 v20, v23, v20
	s_delay_alu instid0(VALU_DEP_2)
	v_add_nc_u16 v21, v21, v22
	ds_store_b32 v3, v20 offset:2064
	ds_store_b16 v3, v21 offset:2068
.LBB983_111:
	s_or_b32 exec_lo, exec_lo, s15
	v_dual_mov_b32 v3, 0 :: v_dual_mov_b32 v20, 0
	v_mov_b32_e32 v21, v1
	s_mov_b32 s14, exec_lo
	s_waitcnt lgkmcnt(0)
	s_barrier
	buffer_gl0_inv
	v_cmpx_lt_u32_e32 31, v0
	s_cbranch_execz .LBB983_113
; %bb.112:
	ds_load_b32 v20, v5 offset:2056
	ds_load_u16 v5, v5 offset:2060
	s_waitcnt lgkmcnt(1)
	v_cmp_eq_u32_e64 s13, 0, v20
	s_delay_alu instid0(VALU_DEP_1) | instskip(SKIP_1) | instid1(VALU_DEP_1)
	v_cndmask_b32_e64 v21, 0, v1, s13
	s_waitcnt lgkmcnt(0)
	v_add_nc_u16 v21, v21, v5
.LBB983_113:
	s_or_b32 exec_lo, exec_lo, s14
	v_add_nc_u32_e32 v5, -1, v84
	v_cmp_eq_u32_e64 s13, 0, v2
	v_add_nc_u32_e32 v2, v20, v2
	s_delay_alu instid0(VALU_DEP_2) | instskip(NEXT) | instid1(VALU_DEP_4)
	v_cndmask_b32_e64 v22, 0, v21, s13
	v_cmp_gt_i32_e64 s13, 0, v5
	s_delay_alu instid0(VALU_DEP_2) | instskip(NEXT) | instid1(VALU_DEP_2)
	v_add_nc_u16 v4, v22, v4
	v_cndmask_b32_e64 v5, v5, v84, s13
	v_cmp_eq_u32_e64 s13, 0, v84
	s_delay_alu instid0(VALU_DEP_3) | instskip(NEXT) | instid1(VALU_DEP_3)
	v_and_b32_e32 v4, 0xffff, v4
	v_lshlrev_b32_e32 v5, 2, v5
	ds_bpermute_b32 v4, v5, v4
	ds_bpermute_b32 v2, v5, v2
	s_waitcnt lgkmcnt(1)
	v_cndmask_b32_e64 v4, v4, v21, s13
	s_waitcnt lgkmcnt(0)
	v_cndmask_b32_e64 v2, v2, v20, s13
	v_cmp_eq_u32_e64 s13, 0, v83
	s_delay_alu instid0(VALU_DEP_3) | instskip(NEXT) | instid1(VALU_DEP_3)
	v_cndmask_b32_e64 v4, v4, v1, s2
	v_cndmask_b32_e64 v48, v2, 0, s2
	s_delay_alu instid0(VALU_DEP_2) | instskip(NEXT) | instid1(VALU_DEP_2)
	v_cndmask_b32_e64 v5, 0, v4, s13
	v_add_nc_u32_e32 v44, v48, v83
	v_and_b32_e32 v49, 0xffff, v4
	s_delay_alu instid0(VALU_DEP_3) | instskip(NEXT) | instid1(VALU_DEP_3)
	v_add_nc_u16 v5, v5, v80
	v_add_nc_u32_e32 v42, v44, v66
	s_delay_alu instid0(VALU_DEP_2) | instskip(NEXT) | instid1(VALU_DEP_2)
	v_cndmask_b32_e64 v20, 0, v5, s12
	v_add_nc_u32_e32 v40, v42, v65
	v_and_b32_e32 v45, 0xffff, v5
	s_delay_alu instid0(VALU_DEP_3) | instskip(NEXT) | instid1(VALU_DEP_3)
	v_add_nc_u16 v20, v20, v79
	v_add_nc_u32_e32 v28, v40, v64
	s_delay_alu instid0(VALU_DEP_2) | instskip(NEXT) | instid1(VALU_DEP_2)
	v_cndmask_b32_e64 v21, 0, v20, s11
	v_add_nc_u32_e32 v26, v28, v63
	v_and_b32_e32 v43, 0xffff, v20
	s_delay_alu instid0(VALU_DEP_3) | instskip(NEXT) | instid1(VALU_DEP_1)
	v_add_nc_u16 v21, v21, v78
	v_cndmask_b32_e64 v22, 0, v21, s10
	v_and_b32_e32 v41, 0xffff, v21
	s_delay_alu instid0(VALU_DEP_2) | instskip(NEXT) | instid1(VALU_DEP_1)
	v_add_nc_u16 v22, v22, v77
	v_cndmask_b32_e64 v23, 0, v22, s9
	v_and_b32_e32 v29, 0xffff, v22
	s_delay_alu instid0(VALU_DEP_2) | instskip(NEXT) | instid1(VALU_DEP_1)
	v_add_nc_u16 v23, v23, v76
	v_cndmask_b32_e64 v24, 0, v23, s7
	s_delay_alu instid0(VALU_DEP_1) | instskip(NEXT) | instid1(VALU_DEP_1)
	v_add_nc_u16 v25, v24, v75
	v_cndmask_b32_e64 v24, 0, v25, s8
	v_and_b32_e32 v25, 0xffff, v25
	s_delay_alu instid0(VALU_DEP_2) | instskip(SKIP_1) | instid1(VALU_DEP_2)
	v_add_nc_u16 v31, v24, v73
	v_add_nc_u32_e32 v24, v26, v62
	v_cndmask_b32_e64 v2, 0, v31, s6
	s_delay_alu instid0(VALU_DEP_2) | instskip(SKIP_1) | instid1(VALU_DEP_3)
	v_add_nc_u32_e32 v46, v24, v61
	v_and_b32_e32 v47, 0xffff, v31
	v_add_nc_u16 v33, v2, v71
	s_delay_alu instid0(VALU_DEP_3) | instskip(NEXT) | instid1(VALU_DEP_2)
	v_add_nc_u32_e32 v50, v46, v60
	v_cndmask_b32_e64 v2, 0, v33, s5
	s_delay_alu instid0(VALU_DEP_2) | instskip(SKIP_1) | instid1(VALU_DEP_3)
	v_add_nc_u32_e32 v38, v50, v58
	v_and_b32_e32 v51, 0xffff, v33
	v_add_nc_u16 v35, v2, v74
	s_delay_alu instid0(VALU_DEP_3) | instskip(NEXT) | instid1(VALU_DEP_2)
	v_add_nc_u32_e32 v36, v38, v57
	v_cndmask_b32_e64 v2, 0, v35, s4
	s_delay_alu instid0(VALU_DEP_2) | instskip(SKIP_1) | instid1(VALU_DEP_3)
	v_add_nc_u32_e32 v32, v36, v56
	v_and_b32_e32 v39, 0xffff, v35
	v_add_nc_u16 v37, v2, v72
	ds_load_b32 v2, v3 offset:2120
	ds_load_u16 v3, v3 offset:2124
	v_add_nc_u32_e32 v34, v32, v55
	v_cndmask_b32_e64 v27, 0, v37, s3
	v_and_b32_e32 v37, 0xffff, v37
	s_delay_alu instid0(VALU_DEP_3) | instskip(NEXT) | instid1(VALU_DEP_3)
	v_add_nc_u32_e32 v30, v34, v54
	v_add_nc_u16 v70, v27, v70
	s_delay_alu instid0(VALU_DEP_2) | instskip(NEXT) | instid1(VALU_DEP_2)
	v_add_nc_u32_e32 v22, v30, v53
	v_cndmask_b32_e64 v27, 0, v70, s1
	v_and_b32_e32 v33, 0xffff, v70
	s_delay_alu instid0(VALU_DEP_2) | instskip(SKIP_3) | instid1(VALU_DEP_3)
	v_add_nc_u16 v69, v27, v69
	s_waitcnt lgkmcnt(1)
	v_cmp_eq_u32_e64 s1, 0, v2
	v_and_b32_e32 v27, 0xffff, v23
	v_cndmask_b32_e64 v4, 0, v69, s0
	s_delay_alu instid0(VALU_DEP_3) | instskip(SKIP_1) | instid1(VALU_DEP_3)
	v_cndmask_b32_e64 v1, 0, v1, s1
	v_and_b32_e32 v35, 0xffff, v69
	v_add_nc_u16 v4, v4, v68
	s_waitcnt lgkmcnt(0)
	s_delay_alu instid0(VALU_DEP_3) | instskip(NEXT) | instid1(VALU_DEP_2)
	v_add_nc_u16 v82, v1, v3
	v_cndmask_b32_e32 v5, 0, v4, vcc_lo
	v_and_b32_e32 v31, 0xffff, v4
	s_delay_alu instid0(VALU_DEP_2) | instskip(NEXT) | instid1(VALU_DEP_1)
	v_add_nc_u16 v5, v5, v67
	v_and_b32_e32 v23, 0xffff, v5
	s_and_saveexec_b32 s0, s2
	s_cbranch_execz .LBB983_115
; %bb.114:
	s_add_u32 s4, s20, 0x200
	v_dual_mov_b32 v4, 2 :: v_dual_and_b32 v1, 0xff00, v82
	s_addc_u32 s5, s21, 0
	v_and_b32_e32 v3, 0xff, v82
	v_dual_mov_b32 v21, s5 :: v_dual_mov_b32 v20, s4
	v_mov_b32_e32 v5, 0
	s_delay_alu instid0(VALU_DEP_3)
	v_or_b32_e32 v3, v1, v3
	;;#ASMSTART
	global_store_dwordx4 v[20:21], v[2:5] off	
s_waitcnt vmcnt(0)
	;;#ASMEND
.LBB983_115:
	s_or_b32 exec_lo, exec_lo, s0
	v_mov_b32_e32 v4, 0
.LBB983_116:
	v_mov_b32_e32 v20, 0
	s_and_b32 s0, s16, exec_lo
	v_mov_b32_e32 v21, 0
	s_cselect_b32 s1, 0, s39
	s_cselect_b32 s0, 0, s38
	s_delay_alu instid0(SALU_CYCLE_1)
	s_cmp_eq_u64 s[0:1], 0
	s_barrier
	buffer_gl0_inv
	s_cbranch_scc1 .LBB983_118
; %bb.117:
	v_mov_b32_e32 v1, 0
	global_load_b64 v[20:21], v1, s[0:1]
.LBB983_118:
	v_cmp_gt_u32_e32 vcc_lo, 0x100, v2
	s_cbranch_vccnz .LBB983_167
; %bb.119:
	v_cmp_eq_u32_e32 vcc_lo, 0, v66
	v_cmp_eq_u32_e64 s0, 0, v54
	v_cmp_eq_u32_e64 s1, 0, v53
	v_cmp_ne_u32_e64 s12, 0, v83
	v_cmp_ne_u32_e64 s3, 0, v55
	v_cndmask_b32_e64 v1, 1, 2, vcc_lo
	v_cmp_eq_u32_e32 vcc_lo, 0, v83
	v_cndmask_b32_e64 v67, 1, 2, s1
	v_cmp_ne_u32_e64 s1, 0, v54
	v_cmp_ne_u32_e64 s4, 0, v56
	;; [unrolled: 1-line block ×3, first 2 shown]
	v_cndmask_b32_e64 v3, 1, 2, vcc_lo
	v_cmp_eq_u32_e32 vcc_lo, 0, v65
	v_cmp_ne_u32_e64 s6, 0, v58
	v_cmp_ne_u32_e64 s7, 0, v60
	v_cmp_ne_u32_e64 s8, 0, v61
	v_and_b32_e32 v1, v1, v3
	v_cndmask_b32_e64 v5, 1, 2, vcc_lo
	v_cmp_eq_u32_e32 vcc_lo, 0, v64
	v_cmp_ne_u32_e64 s9, 0, v62
	v_cmp_ne_u32_e64 s10, 0, v63
	v_cmp_ne_u32_e64 s11, 0, v64
	v_and_b32_e32 v1, v1, v5
	v_cndmask_b32_e64 v3, 1, 2, vcc_lo
	v_cmp_eq_u32_e32 vcc_lo, 0, v63
	v_cmp_ne_u32_e64 s13, 0, v65
	v_cmp_ne_u32_e64 s14, 0, v66
	s_mov_b32 s18, 0
	v_and_b32_e32 v1, v1, v3
	v_cndmask_b32_e64 v5, 1, 2, vcc_lo
	v_cmp_eq_u32_e32 vcc_lo, 0, v62
	s_mov_b32 s16, exec_lo
	s_delay_alu instid0(VALU_DEP_2) | instskip(SKIP_2) | instid1(VALU_DEP_2)
	v_and_b32_e32 v1, v1, v5
	v_cndmask_b32_e64 v3, 1, 2, vcc_lo
	v_cmp_eq_u32_e32 vcc_lo, 0, v61
	v_and_b32_e32 v1, v1, v3
	v_cndmask_b32_e64 v5, 1, 2, vcc_lo
	v_cmp_eq_u32_e32 vcc_lo, 0, v60
	s_delay_alu instid0(VALU_DEP_2) | instskip(SKIP_2) | instid1(VALU_DEP_2)
	v_and_b32_e32 v1, v1, v5
	v_cndmask_b32_e64 v3, 1, 2, vcc_lo
	v_cmp_eq_u32_e32 vcc_lo, 0, v58
	v_and_b32_e32 v1, v1, v3
	v_cndmask_b32_e64 v5, 1, 2, vcc_lo
	v_cmp_eq_u32_e32 vcc_lo, 0, v57
	;; [unrolled: 7-line block ×3, first 2 shown]
	s_delay_alu instid0(VALU_DEP_2) | instskip(SKIP_4) | instid1(VALU_DEP_4)
	v_and_b32_e32 v1, v1, v5
	v_cndmask_b32_e64 v3, 1, 2, vcc_lo
	v_cndmask_b32_e64 v5, 1, 2, s0
	v_cmp_eq_u32_e64 s0, 0, v59
	v_cmp_ne_u32_e32 vcc_lo, 0, v59
	v_and_b32_e32 v1, v1, v3
	s_delay_alu instid0(VALU_DEP_3) | instskip(SKIP_1) | instid1(VALU_DEP_3)
	v_cndmask_b32_e64 v3, 1, 2, s0
	v_cmp_ne_u32_e64 s0, 0, v53
	v_and_b32_e32 v1, v1, v5
	s_delay_alu instid0(VALU_DEP_1) | instskip(NEXT) | instid1(VALU_DEP_1)
	v_and_b32_e32 v1, v1, v67
	v_and_b32_e32 v1, v1, v3
	s_delay_alu instid0(VALU_DEP_1)
	v_cmpx_gt_i16_e32 2, v1
	s_cbranch_execz .LBB983_166
; %bb.120:
	v_cmp_ne_u16_e64 s15, 1, v1
	s_delay_alu instid0(VALU_DEP_1) | instskip(NEXT) | instid1(SALU_CYCLE_1)
	s_and_saveexec_b32 s19, s15
	s_xor_b32 s15, exec_lo, s19
	s_cbranch_execz .LBB983_144
; %bb.121:
	s_and_saveexec_b32 s18, s12
	s_cbranch_execz .LBB983_149
; %bb.122:
	v_sub_nc_u32_e32 v1, v48, v4
	s_delay_alu instid0(VALU_DEP_1)
	v_lshlrev_b32_e32 v1, 2, v1
	ds_store_b32 v1, v18
	s_or_b32 exec_lo, exec_lo, s18
	s_and_saveexec_b32 s12, s14
	s_cbranch_execnz .LBB983_150
.LBB983_123:
	s_or_b32 exec_lo, exec_lo, s12
	s_and_saveexec_b32 s12, s13
	s_cbranch_execz .LBB983_151
.LBB983_124:
	v_sub_nc_u32_e32 v1, v42, v4
	s_delay_alu instid0(VALU_DEP_1)
	v_lshlrev_b32_e32 v1, 2, v1
	ds_store_b32 v1, v16
	s_or_b32 exec_lo, exec_lo, s12
	s_and_saveexec_b32 s12, s11
	s_cbranch_execnz .LBB983_152
.LBB983_125:
	s_or_b32 exec_lo, exec_lo, s12
	s_and_saveexec_b32 s11, s10
	s_cbranch_execz .LBB983_153
.LBB983_126:
	v_sub_nc_u32_e32 v1, v28, v4
	s_delay_alu instid0(VALU_DEP_1)
	v_lshlrev_b32_e32 v1, 2, v1
	ds_store_b32 v1, v14
	s_or_b32 exec_lo, exec_lo, s11
	s_and_saveexec_b32 s10, s9
	s_cbranch_execnz .LBB983_154
.LBB983_127:
	s_or_b32 exec_lo, exec_lo, s10
	s_and_saveexec_b32 s9, s8
	s_cbranch_execz .LBB983_155
.LBB983_128:
	v_sub_nc_u32_e32 v1, v24, v4
	s_delay_alu instid0(VALU_DEP_1)
	v_lshlrev_b32_e32 v1, 2, v1
	ds_store_b32 v1, v12
	s_or_b32 exec_lo, exec_lo, s9
	s_and_saveexec_b32 s8, s7
	s_cbranch_execnz .LBB983_156
.LBB983_129:
	s_or_b32 exec_lo, exec_lo, s8
	s_and_saveexec_b32 s7, s6
	s_cbranch_execz .LBB983_157
.LBB983_130:
	v_sub_nc_u32_e32 v1, v50, v4
	s_delay_alu instid0(VALU_DEP_1)
	v_lshlrev_b32_e32 v1, 2, v1
	ds_store_b32 v1, v10
	s_or_b32 exec_lo, exec_lo, s7
	s_and_saveexec_b32 s6, s5
	s_cbranch_execnz .LBB983_158
.LBB983_131:
	s_or_b32 exec_lo, exec_lo, s6
	s_and_saveexec_b32 s5, s4
	s_cbranch_execz .LBB983_159
.LBB983_132:
	v_sub_nc_u32_e32 v1, v36, v4
	s_delay_alu instid0(VALU_DEP_1)
	v_lshlrev_b32_e32 v1, 2, v1
	ds_store_b32 v1, v8
	s_or_b32 exec_lo, exec_lo, s5
	s_and_saveexec_b32 s4, s3
	s_cbranch_execnz .LBB983_160
.LBB983_133:
	s_or_b32 exec_lo, exec_lo, s4
	s_and_saveexec_b32 s3, s1
	s_cbranch_execz .LBB983_161
.LBB983_134:
	v_sub_nc_u32_e32 v1, v34, v4
	s_delay_alu instid0(VALU_DEP_1)
	v_lshlrev_b32_e32 v1, 2, v1
	ds_store_b32 v1, v6
	s_or_b32 exec_lo, exec_lo, s3
	s_and_saveexec_b32 s1, s0
	s_cbranch_execnz .LBB983_162
	s_branch .LBB983_163
.LBB983_135:
	s_mov_b32 s34, 0
                                        ; implicit-def: $sgpr0
                                        ; implicit-def: $vgpr59
                                        ; implicit-def: $vgpr53
                                        ; implicit-def: $vgpr54
                                        ; implicit-def: $vgpr55
                                        ; implicit-def: $vgpr56
                                        ; implicit-def: $vgpr57
                                        ; implicit-def: $vgpr58
                                        ; implicit-def: $vgpr60
                                        ; implicit-def: $vgpr61
                                        ; implicit-def: $vgpr62
                                        ; implicit-def: $vgpr63
                                        ; implicit-def: $vgpr64
                                        ; implicit-def: $vgpr65
                                        ; implicit-def: $vgpr66
	s_cbranch_execz .LBB983_74
; %bb.136:
	v_cmp_ne_u32_e32 vcc_lo, v7, v52
	ds_store_b32 v5, v52
	s_waitcnt lgkmcnt(0)
	s_barrier
	buffer_gl0_inv
	v_cndmask_b32_e64 v59, 0, 1, vcc_lo
	v_cmp_ne_u32_e32 vcc_lo, v6, v7
                                        ; implicit-def: $sgpr0
	v_cndmask_b32_e64 v53, 0, 1, vcc_lo
	v_cmp_ne_u32_e32 vcc_lo, v9, v6
	v_cndmask_b32_e64 v54, 0, 1, vcc_lo
	v_cmp_ne_u32_e32 vcc_lo, v8, v9
	;; [unrolled: 2-line block ×12, first 2 shown]
	v_cndmask_b32_e64 v66, 0, 1, vcc_lo
	s_and_saveexec_b32 s1, s3
	s_delay_alu instid0(SALU_CYCLE_1)
	s_xor_b32 s1, exec_lo, s1
	s_cbranch_execz .LBB983_138
; %bb.137:
	v_add_nc_u32_e32 v21, -4, v5
	s_or_b32 s34, s34, exec_lo
	ds_load_b32 v21, v21
	s_waitcnt lgkmcnt(0)
	v_cmp_ne_u32_e32 vcc_lo, v21, v18
	s_and_b32 s0, vcc_lo, exec_lo
.LBB983_138:
	s_or_b32 exec_lo, exec_lo, s1
	s_mov_b32 s1, 1
	s_branch .LBB983_76
.LBB983_139:
	s_mul_hi_u32 s0, s24, 0xfffff100
	s_mul_i32 s1, s25, 0xfffff100
	s_sub_i32 s0, s0, s24
	s_mul_i32 s4, s24, 0xfffff100
	s_add_i32 s0, s0, s1
	s_add_u32 s24, s4, s36
	s_addc_u32 s25, s0, s37
	s_and_b32 vcc_lo, exec_lo, s15
	v_cmp_ne_u32_e64 s14, v7, v52
	v_cmp_ne_u32_e64 s15, v6, v7
	;; [unrolled: 1-line block ×14, first 2 shown]
	s_cbranch_vccz .LBB983_146
; %bb.140:
	v_add_co_u32 v43, vcc_lo, -4, v4
	v_add_co_ci_u32_e32 v44, vcc_lo, -1, v2, vcc_lo
	v_mov_b32_e32 v2, 0
	s_mov_b32 s34, -1
	s_mov_b32 s35, 0
	flat_load_b32 v45, v[43:44]
	ds_store_b32 v5, v52
	v_cmp_gt_u64_e32 vcc_lo, s[24:25], v[1:2]
	v_mov_b32_e32 v43, v2
	v_mov_b32_e32 v41, v2
	;; [unrolled: 1-line block ×5, first 2 shown]
	v_cmp_gt_u64_e64 s16, s[24:25], v[42:43]
	s_and_b32 s36, vcc_lo, s14
	v_cmp_gt_u64_e32 vcc_lo, s[24:25], v[40:41]
	v_mov_b32_e32 v33, v2
	v_mov_b32_e32 v31, v2
	v_cmp_gt_u64_e64 s14, s[24:25], v[38:39]
	s_and_b32 s37, s16, s15
	v_mov_b32_e32 v29, v2
	s_and_b32 s40, vcc_lo, s13
	v_cmp_gt_u64_e32 vcc_lo, s[24:25], v[36:37]
	v_cmp_gt_u64_e64 s13, s[24:25], v[34:35]
	v_cmp_gt_u64_e64 s15, s[24:25], v[32:33]
	;; [unrolled: 1-line block ×3, first 2 shown]
	v_mov_b32_e32 v27, v2
	v_mov_b32_e32 v25, v2
	;; [unrolled: 1-line block ×5, first 2 shown]
	s_and_b32 s14, s14, s12
	s_and_b32 s41, vcc_lo, s8
	s_and_b32 s13, s13, s9
	s_and_b32 s15, s15, s10
	;; [unrolled: 1-line block ×3, first 2 shown]
	v_cmp_gt_u64_e32 vcc_lo, s[24:25], v[28:29]
	v_cmp_gt_u64_e64 s8, s[24:25], v[26:27]
	v_cmp_gt_u64_e64 s9, s[24:25], v[24:25]
	;; [unrolled: 1-line block ×5, first 2 shown]
	v_mul_u32_u24_e32 v43, 15, v0
	s_and_b32 s0, vcc_lo, s0
	s_and_b32 s8, s8, s1
	s_and_b32 s9, s9, s4
	s_and_b32 s5, s10, s5
	s_and_b32 s1, s11, s6
	s_and_b32 s4, s12, s7
	s_waitcnt vmcnt(0) lgkmcnt(0)
	s_barrier
	buffer_gl0_inv
	s_and_saveexec_b32 s6, s3
	s_cbranch_execz .LBB983_142
; %bb.141:
	v_add_nc_u32_e32 v4, -4, v5
	ds_load_b32 v45, v4
.LBB983_142:
	s_or_b32 exec_lo, exec_lo, s6
	v_mov_b32_e32 v44, v2
	v_cndmask_b32_e64 v61, 0, 1, s0
	s_waitcnt lgkmcnt(0)
	v_cmp_ne_u32_e64 s0, v45, v18
	v_cndmask_b32_e64 v59, 0, 1, s36
	v_cndmask_b32_e64 v53, 0, 1, s37
	v_cmp_gt_u64_e32 vcc_lo, s[24:25], v[43:44]
	v_cndmask_b32_e64 v54, 0, 1, s40
	v_cndmask_b32_e64 v55, 0, 1, s14
	v_cndmask_b32_e64 v56, 0, 1, s41
	v_cndmask_b32_e64 v57, 0, 1, s13
	v_cndmask_b32_e64 v58, 0, 1, s15
	v_cndmask_b32_e64 v60, 0, 1, s16
	v_cndmask_b32_e64 v62, 0, 1, s8
	v_cndmask_b32_e64 v63, 0, 1, s9
	v_cndmask_b32_e64 v64, 0, 1, s5
	v_cndmask_b32_e64 v65, 0, 1, s1
	v_cndmask_b32_e64 v66, 0, 1, s4
	s_and_b32 s0, vcc_lo, s0
	s_and_b32 vcc_lo, exec_lo, s35
	s_cbranch_vccnz .LBB983_147
.LBB983_143:
                                        ; implicit-def: $sgpr1
	v_mov_b32_e32 v83, s1
	s_and_saveexec_b32 s1, s34
	s_cbranch_execnz .LBB983_77
	s_branch .LBB983_78
.LBB983_144:
	s_and_not1_saveexec_b32 s0, s15
	s_cbranch_execz .LBB983_164
.LBB983_145:
	v_sub_nc_u32_e32 v1, v48, v4
	v_sub_nc_u32_e32 v3, v44, v4
	;; [unrolled: 1-line block ×4, first 2 shown]
	s_or_b32 s18, s18, exec_lo
	v_lshlrev_b32_e32 v1, 2, v1
	v_lshlrev_b32_e32 v3, 2, v3
	;; [unrolled: 1-line block ×4, first 2 shown]
	ds_store_b32 v1, v18
	ds_store_b32 v3, v19
	;; [unrolled: 1-line block ×3, first 2 shown]
	v_sub_nc_u32_e32 v1, v28, v4
	v_sub_nc_u32_e32 v3, v26, v4
	;; [unrolled: 1-line block ×4, first 2 shown]
	ds_store_b32 v67, v17
	v_lshlrev_b32_e32 v1, 2, v1
	v_sub_nc_u32_e32 v17, v50, v4
	v_lshlrev_b32_e32 v3, 2, v3
	v_lshlrev_b32_e32 v5, 2, v5
	;; [unrolled: 1-line block ×3, first 2 shown]
	ds_store_b32 v1, v14
	v_lshlrev_b32_e32 v1, 2, v17
	ds_store_b32 v3, v15
	ds_store_b32 v5, v12
	;; [unrolled: 1-line block ×3, first 2 shown]
	v_sub_nc_u32_e32 v3, v38, v4
	v_sub_nc_u32_e32 v12, v30, v4
	;; [unrolled: 1-line block ×3, first 2 shown]
	ds_store_b32 v1, v10
	v_sub_nc_u32_e32 v1, v36, v4
	v_lshlrev_b32_e32 v3, 2, v3
	v_sub_nc_u32_e32 v10, v34, v4
	v_lshlrev_b32_e32 v5, 2, v5
	s_delay_alu instid0(VALU_DEP_4)
	v_lshlrev_b32_e32 v1, 2, v1
	ds_store_b32 v3, v11
	v_lshlrev_b32_e32 v3, 2, v12
	v_lshlrev_b32_e32 v10, 2, v10
	ds_store_b32 v1, v8
	ds_store_b32 v5, v9
	;; [unrolled: 1-line block ×4, first 2 shown]
	s_or_b32 exec_lo, exec_lo, s0
	s_delay_alu instid0(SALU_CYCLE_1)
	s_and_b32 exec_lo, exec_lo, s18
	s_cbranch_execnz .LBB983_165
	s_branch .LBB983_166
.LBB983_146:
                                        ; implicit-def: $sgpr0
                                        ; implicit-def: $vgpr59
                                        ; implicit-def: $vgpr53
                                        ; implicit-def: $vgpr54
                                        ; implicit-def: $vgpr55
                                        ; implicit-def: $vgpr56
                                        ; implicit-def: $vgpr57
                                        ; implicit-def: $vgpr58
                                        ; implicit-def: $vgpr60
                                        ; implicit-def: $vgpr61
                                        ; implicit-def: $vgpr62
                                        ; implicit-def: $vgpr63
                                        ; implicit-def: $vgpr64
                                        ; implicit-def: $vgpr65
                                        ; implicit-def: $vgpr66
	s_cbranch_execz .LBB983_143
.LBB983_147:
	v_mov_b32_e32 v2, 0
	v_cmp_ne_u32_e64 s0, v6, v7
	v_cmp_ne_u32_e64 s4, v9, v6
	v_cmp_ne_u32_e32 vcc_lo, v7, v52
	ds_store_b32 v5, v52
	v_mov_b32_e32 v43, v2
	v_mov_b32_e32 v41, v2
	v_cmp_gt_u64_e64 s1, s[24:25], v[1:2]
	v_mov_b32_e32 v37, v2
	v_mov_b32_e32 v39, v2
	v_cmp_gt_u64_e64 s5, s[24:25], v[42:43]
	v_cmp_gt_u64_e64 s6, s[24:25], v[40:41]
	v_mov_b32_e32 v33, v2
	s_and_b32 s1, s1, vcc_lo
	v_cmp_gt_u64_e64 s7, s[24:25], v[38:39]
	v_cndmask_b32_e64 v59, 0, 1, s1
	s_and_b32 s0, s5, s0
	v_cmp_ne_u32_e64 s1, v11, v8
	v_cndmask_b32_e64 v53, 0, 1, s0
	s_and_b32 s0, s6, s4
	v_cmp_ne_u32_e32 vcc_lo, v8, v9
	v_cndmask_b32_e64 v54, 0, 1, s0
	v_cmp_gt_u64_e64 s0, s[24:25], v[36:37]
	v_mov_b32_e32 v35, v2
	v_mov_b32_e32 v29, v2
	s_and_b32 s4, s7, vcc_lo
	v_mov_b32_e32 v31, v2
	v_cndmask_b32_e64 v55, 0, 1, s4
	s_and_b32 s0, s0, s1
	v_cmp_ne_u32_e64 s1, v13, v10
	v_cndmask_b32_e64 v56, 0, 1, s0
	v_cmp_gt_u64_e64 s0, s[24:25], v[32:33]
	v_cmp_gt_u64_e32 vcc_lo, s[24:25], v[34:35]
	v_cmp_ne_u32_e64 s4, v10, v11
	v_mov_b32_e32 v25, v2
	v_mov_b32_e32 v27, v2
	;; [unrolled: 1-line block ×3, first 2 shown]
	s_and_b32 s0, s0, s1
	s_and_b32 s4, vcc_lo, s4
	v_cndmask_b32_e64 v58, 0, 1, s0
	v_cmp_gt_u64_e64 s0, s[24:25], v[28:29]
	v_cmp_ne_u32_e64 s1, v15, v12
	v_cmp_gt_u64_e32 vcc_lo, s[24:25], v[30:31]
	v_cndmask_b32_e64 v57, 0, 1, s4
	v_cmp_ne_u32_e64 s4, v12, v13
	v_mov_b32_e32 v21, v2
	s_and_b32 s0, s0, s1
	v_cmp_ne_u32_e64 s1, v17, v14
	v_cndmask_b32_e64 v61, 0, 1, s0
	s_and_b32 s4, vcc_lo, s4
	v_cmp_gt_u64_e64 s0, s[24:25], v[24:25]
	v_cmp_gt_u64_e32 vcc_lo, s[24:25], v[26:27]
	v_cndmask_b32_e64 v60, 0, 1, s4
	v_cmp_ne_u32_e64 s4, v14, v15
	v_mov_b32_e32 v4, v2
	v_cmp_ne_u32_e64 s6, v18, v19
	s_and_b32 s0, s0, s1
	v_cmp_gt_u64_e64 s1, s[24:25], v[20:21]
	s_and_b32 s4, vcc_lo, s4
	v_cmp_gt_u64_e32 vcc_lo, s[24:25], v[22:23]
	v_cndmask_b32_e64 v63, 0, 1, s0
	v_cmp_ne_u32_e64 s0, v16, v17
	v_cndmask_b32_e64 v62, 0, 1, s4
	v_cmp_ne_u32_e64 s4, v19, v16
	v_cmp_gt_u64_e64 s5, s[24:25], v[3:4]
	s_waitcnt lgkmcnt(0)
	s_and_b32 s0, vcc_lo, s0
	s_barrier
	v_cndmask_b32_e64 v64, 0, 1, s0
	s_and_b32 s0, s1, s4
	s_mov_b32 s1, 1
	v_cndmask_b32_e64 v65, 0, 1, s0
	s_and_b32 s0, s5, s6
	buffer_gl0_inv
	v_cndmask_b32_e64 v66, 0, 1, s0
                                        ; implicit-def: $sgpr0
	s_and_saveexec_b32 s4, s3
	s_cbranch_execz .LBB983_205
; %bb.148:
	v_add_nc_u32_e32 v1, -4, v5
	s_or_b32 s34, s34, exec_lo
	ds_load_b32 v3, v1
	v_mul_u32_u24_e32 v1, 15, v0
	s_delay_alu instid0(VALU_DEP_1) | instskip(SKIP_2) | instid1(VALU_DEP_1)
	v_cmp_gt_u64_e32 vcc_lo, s[24:25], v[1:2]
	s_waitcnt lgkmcnt(0)
	v_cmp_ne_u32_e64 s0, v3, v18
	s_and_b32 s0, vcc_lo, s0
	s_delay_alu instid0(SALU_CYCLE_1)
	s_and_b32 s0, s0, exec_lo
	s_or_b32 exec_lo, exec_lo, s4
	v_mov_b32_e32 v83, s1
	s_and_saveexec_b32 s1, s34
	s_cbranch_execz .LBB983_78
	s_branch .LBB983_77
.LBB983_149:
	s_or_b32 exec_lo, exec_lo, s18
	s_and_saveexec_b32 s12, s14
	s_cbranch_execz .LBB983_123
.LBB983_150:
	v_sub_nc_u32_e32 v1, v44, v4
	s_delay_alu instid0(VALU_DEP_1)
	v_lshlrev_b32_e32 v1, 2, v1
	ds_store_b32 v1, v19
	s_or_b32 exec_lo, exec_lo, s12
	s_and_saveexec_b32 s12, s13
	s_cbranch_execnz .LBB983_124
.LBB983_151:
	s_or_b32 exec_lo, exec_lo, s12
	s_and_saveexec_b32 s12, s11
	s_cbranch_execz .LBB983_125
.LBB983_152:
	v_sub_nc_u32_e32 v1, v40, v4
	s_delay_alu instid0(VALU_DEP_1)
	v_lshlrev_b32_e32 v1, 2, v1
	ds_store_b32 v1, v17
	s_or_b32 exec_lo, exec_lo, s12
	s_and_saveexec_b32 s11, s10
	s_cbranch_execnz .LBB983_126
.LBB983_153:
	s_or_b32 exec_lo, exec_lo, s11
	s_and_saveexec_b32 s10, s9
	s_cbranch_execz .LBB983_127
.LBB983_154:
	v_sub_nc_u32_e32 v1, v26, v4
	s_delay_alu instid0(VALU_DEP_1)
	v_lshlrev_b32_e32 v1, 2, v1
	ds_store_b32 v1, v15
	s_or_b32 exec_lo, exec_lo, s10
	s_and_saveexec_b32 s9, s8
	s_cbranch_execnz .LBB983_128
.LBB983_155:
	s_or_b32 exec_lo, exec_lo, s9
	s_and_saveexec_b32 s8, s7
	s_cbranch_execz .LBB983_129
.LBB983_156:
	v_sub_nc_u32_e32 v1, v46, v4
	s_delay_alu instid0(VALU_DEP_1)
	v_lshlrev_b32_e32 v1, 2, v1
	ds_store_b32 v1, v13
	s_or_b32 exec_lo, exec_lo, s8
	s_and_saveexec_b32 s7, s6
	s_cbranch_execnz .LBB983_130
.LBB983_157:
	s_or_b32 exec_lo, exec_lo, s7
	s_and_saveexec_b32 s6, s5
	s_cbranch_execz .LBB983_131
.LBB983_158:
	v_sub_nc_u32_e32 v1, v38, v4
	s_delay_alu instid0(VALU_DEP_1)
	v_lshlrev_b32_e32 v1, 2, v1
	ds_store_b32 v1, v11
	s_or_b32 exec_lo, exec_lo, s6
	s_and_saveexec_b32 s5, s4
	s_cbranch_execnz .LBB983_132
.LBB983_159:
	s_or_b32 exec_lo, exec_lo, s5
	s_and_saveexec_b32 s4, s3
	s_cbranch_execz .LBB983_133
.LBB983_160:
	v_sub_nc_u32_e32 v1, v32, v4
	s_delay_alu instid0(VALU_DEP_1)
	v_lshlrev_b32_e32 v1, 2, v1
	ds_store_b32 v1, v9
	s_or_b32 exec_lo, exec_lo, s4
	s_and_saveexec_b32 s3, s1
	s_cbranch_execnz .LBB983_134
.LBB983_161:
	s_or_b32 exec_lo, exec_lo, s3
	s_and_saveexec_b32 s1, s0
	s_cbranch_execz .LBB983_163
.LBB983_162:
	v_sub_nc_u32_e32 v1, v30, v4
	s_delay_alu instid0(VALU_DEP_1)
	v_lshlrev_b32_e32 v1, 2, v1
	ds_store_b32 v1, v7
.LBB983_163:
	s_or_b32 exec_lo, exec_lo, s1
	s_delay_alu instid0(SALU_CYCLE_1)
	s_and_b32 s18, vcc_lo, exec_lo
                                        ; implicit-def: $vgpr18
                                        ; implicit-def: $vgpr16
                                        ; implicit-def: $vgpr14
                                        ; implicit-def: $vgpr12
                                        ; implicit-def: $vgpr10
                                        ; implicit-def: $vgpr8
                                        ; implicit-def: $vgpr6
	s_and_not1_saveexec_b32 s0, s15
	s_cbranch_execnz .LBB983_145
.LBB983_164:
	s_or_b32 exec_lo, exec_lo, s0
	s_delay_alu instid0(SALU_CYCLE_1)
	s_and_b32 exec_lo, exec_lo, s18
	s_cbranch_execz .LBB983_166
.LBB983_165:
	v_sub_nc_u32_e32 v1, v22, v4
	s_delay_alu instid0(VALU_DEP_1)
	v_lshlrev_b32_e32 v1, 2, v1
	ds_store_b32 v1, v52
.LBB983_166:
	s_or_b32 exec_lo, exec_lo, s16
	s_waitcnt vmcnt(0) lgkmcnt(0)
	s_barrier
	buffer_gl0_inv
.LBB983_167:
	s_cmpk_lg_i32 s26, 0xf00
	v_mad_i32_i24 v7, v0, -15, s26
	s_cselect_b32 s0, -1, 0
	s_and_b32 s1, s2, s27
	s_and_b32 s0, s0, s17
	v_cndmask_b32_e64 v8, v83, 0, s1
	v_cndmask_b32_e64 v6, 0, 1, s0
	s_mul_hi_u32 s0, s26, 0x88888889
	v_cndmask_b32_e64 v1, 0, 1, s27
	s_lshr_b32 s0, s0, 3
	s_mov_b32 s16, -1
	v_cmp_eq_u32_e32 vcc_lo, s0, v0
	v_cmp_ne_u32_e64 s0, 0, v7
	v_sub_nc_u32_e32 v3, v2, v1
	s_waitcnt vmcnt(0)
	s_barrier
	s_and_b32 vcc_lo, vcc_lo, s17
	v_cndmask_b32_e64 v9, 1, v8, s0
	v_cmp_ne_u32_e64 s0, 1, v7
	v_mov_b32_e32 v5, 0
	buffer_gl0_inv
	v_cndmask_b32_e32 v16, v8, v9, vcc_lo
	v_cndmask_b32_e64 v10, 1, v66, s0
	v_cmp_ne_u32_e64 s0, 2, v7
	s_delay_alu instid0(VALU_DEP_3) | instskip(NEXT) | instid1(VALU_DEP_3)
	v_cmp_ne_u32_e64 s14, 0, v16
	v_cndmask_b32_e32 v17, v66, v10, vcc_lo
	s_delay_alu instid0(VALU_DEP_3) | instskip(SKIP_1) | instid1(VALU_DEP_2)
	v_cndmask_b32_e64 v11, 1, v65, s0
	v_cmp_ne_u32_e64 s0, 14, v7
	v_dual_cndmask_b32 v18, v65, v11 :: v_dual_add_nc_u32 v3, v3, v6
	s_delay_alu instid0(VALU_DEP_2) | instskip(SKIP_1) | instid1(VALU_DEP_3)
	v_cndmask_b32_e64 v12, 1, v59, s0
	v_cmp_ne_u32_e64 s0, 3, v7
	v_cmp_ne_u32_e64 s12, 0, v18
	s_delay_alu instid0(VALU_DEP_2) | instskip(SKIP_1) | instid1(VALU_DEP_1)
	v_cndmask_b32_e64 v13, 1, v64, s0
	v_cmp_ne_u32_e64 s0, 4, v7
	v_cndmask_b32_e64 v14, 1, v63, s0
	v_cmp_ne_u32_e64 s0, 5, v7
	s_delay_alu instid0(VALU_DEP_1) | instskip(SKIP_1) | instid1(VALU_DEP_2)
	v_cndmask_b32_e64 v8, 1, v62, s0
	v_cmp_ne_u32_e64 s0, 6, v7
	v_cndmask_b32_e32 v62, v62, v8, vcc_lo
	s_delay_alu instid0(VALU_DEP_2) | instskip(SKIP_1) | instid1(VALU_DEP_2)
	v_cndmask_b32_e64 v9, 1, v61, s0
	v_cmp_eq_u32_e64 s0, 0, v16
	v_dual_cndmask_b32 v14, v63, v14 :: v_dual_cndmask_b32 v61, v61, v9
	s_delay_alu instid0(VALU_DEP_2) | instskip(SKIP_2) | instid1(VALU_DEP_4)
	v_cndmask_b32_e64 v10, 1, 2, s0
	v_cmp_eq_u32_e64 s0, 0, v17
	v_cndmask_b32_e32 v15, v59, v12, vcc_lo
	v_cmp_ne_u32_e64 s10, 0, v14
	v_cmp_ne_u32_e64 s8, 0, v61
	s_delay_alu instid0(VALU_DEP_4) | instskip(SKIP_1) | instid1(VALU_DEP_2)
	v_cndmask_b32_e64 v12, 1, 2, s0
	v_cmp_ne_u32_e64 s0, 7, v7
	v_and_b32_e32 v10, v12, v10
	s_delay_alu instid0(VALU_DEP_2) | instskip(SKIP_1) | instid1(VALU_DEP_2)
	v_cndmask_b32_e64 v11, 1, v60, s0
	v_cmp_eq_u32_e64 s0, 0, v18
	v_cndmask_b32_e32 v60, v60, v11, vcc_lo
	s_delay_alu instid0(VALU_DEP_2)
	v_cndmask_b32_e64 v12, 1, 2, s0
	v_cmp_ne_u32_e64 s0, 8, v7
	v_cndmask_b32_e32 v13, v64, v13, vcc_lo
	v_cmp_ne_u32_e64 s13, 0, v17
	v_cmp_ne_u32_e64 s7, 0, v60
	v_and_b32_e32 v10, v10, v12
	v_cndmask_b32_e64 v19, 1, v58, s0
	v_cmp_ne_u32_e64 s0, 9, v7
	v_cmp_ne_u32_e64 s11, 0, v13
	s_delay_alu instid0(VALU_DEP_3) | instskip(NEXT) | instid1(VALU_DEP_3)
	v_cndmask_b32_e32 v19, v58, v19, vcc_lo
	v_cndmask_b32_e64 v52, 1, v57, s0
	v_cmp_eq_u32_e64 s0, 0, v13
	s_delay_alu instid0(VALU_DEP_3) | instskip(NEXT) | instid1(VALU_DEP_3)
	v_cmp_ne_u32_e64 s6, 0, v19
	v_cndmask_b32_e32 v52, v57, v52, vcc_lo
	s_delay_alu instid0(VALU_DEP_3) | instskip(SKIP_1) | instid1(VALU_DEP_2)
	v_cndmask_b32_e64 v12, 1, 2, s0
	v_cmp_ne_u32_e64 s0, 10, v7
	v_and_b32_e32 v8, v10, v12
	s_delay_alu instid0(VALU_DEP_2) | instskip(SKIP_1) | instid1(VALU_DEP_1)
	v_cndmask_b32_e64 v59, 1, v56, s0
	v_cmp_eq_u32_e64 s0, 0, v14
	v_cndmask_b32_e64 v10, 1, 2, s0
	v_cmp_ne_u32_e64 s0, 11, v7
	s_delay_alu instid0(VALU_DEP_1) | instskip(SKIP_1) | instid1(VALU_DEP_2)
	v_cndmask_b32_e64 v12, 1, v55, s0
	v_cmp_ne_u32_e64 s0, 13, v7
	v_dual_cndmask_b32 v55, v55, v12 :: v_dual_and_b32 v8, v8, v10
	s_delay_alu instid0(VALU_DEP_2) | instskip(NEXT) | instid1(VALU_DEP_2)
	v_cndmask_b32_e64 v63, 1, v53, s0
	v_cmp_ne_u32_e64 s3, 0, v55
	s_delay_alu instid0(VALU_DEP_2) | instskip(SKIP_2) | instid1(VALU_DEP_3)
	v_cndmask_b32_e32 v53, v53, v63, vcc_lo
	v_cmp_eq_u32_e64 s0, 0, v62
	v_cmp_ne_u32_e64 s9, 0, v62
	v_cmp_ne_u32_e64 s1, 0, v53
	s_delay_alu instid0(VALU_DEP_3) | instskip(SKIP_1) | instid1(VALU_DEP_2)
	v_cndmask_b32_e64 v10, 1, 2, s0
	v_cmp_ne_u32_e64 s0, 12, v7
	v_and_b32_e32 v8, v8, v10
	s_delay_alu instid0(VALU_DEP_2) | instskip(SKIP_1) | instid1(VALU_DEP_1)
	v_cndmask_b32_e64 v7, 1, v54, s0
	v_cmp_eq_u32_e64 s0, 0, v61
	v_cndmask_b32_e64 v9, 1, 2, s0
	v_cmp_eq_u32_e64 s0, 0, v60
	s_delay_alu instid0(VALU_DEP_2) | instskip(SKIP_1) | instid1(VALU_DEP_3)
	v_dual_cndmask_b32 v54, v54, v7 :: v_dual_and_b32 v11, v8, v9
	v_lshlrev_b64 v[7:8], 1, v[20:21]
	v_cndmask_b32_e64 v12, 1, 2, s0
	v_cndmask_b32_e32 v56, v56, v59, vcc_lo
	v_cmp_eq_u32_e32 vcc_lo, 0, v19
	v_lshlrev_b64 v[9:10], 1, v[4:5]
	v_cmp_ne_u32_e64 s2, 0, v54
	v_and_b32_e32 v5, v11, v12
	v_cmp_ne_u32_e64 s4, 0, v56
	v_cndmask_b32_e64 v11, 1, 2, vcc_lo
	v_add_co_u32 v7, vcc_lo, s28, v7
	v_add_co_ci_u32_e32 v8, vcc_lo, s29, v8, vcc_lo
	v_cmp_eq_u32_e32 vcc_lo, 0, v52
	s_delay_alu instid0(VALU_DEP_4)
	v_and_b32_e32 v5, v5, v11
	v_cmp_ne_u32_e64 s0, 0, v15
	v_cndmask_b32_e64 v11, 1, 2, vcc_lo
	v_add_co_u32 v9, vcc_lo, v7, v9
	v_add_co_ci_u32_e32 v10, vcc_lo, v8, v10, vcc_lo
	v_lshlrev_b32_e32 v7, 1, v1
	v_cmp_eq_u32_e32 vcc_lo, 0, v56
	v_and_b32_e32 v5, v5, v11
	v_cmp_ne_u32_e64 s5, 0, v52
	v_cndmask_b32_e64 v8, 1, 2, vcc_lo
	v_add_co_u32 v7, vcc_lo, v7, v9
	v_add_co_ci_u32_e32 v12, vcc_lo, 0, v10, vcc_lo
	v_cmp_eq_u32_e32 vcc_lo, 0, v55
	s_delay_alu instid0(VALU_DEP_4)
	v_and_b32_e32 v8, v5, v8
	v_add_nc_u32_e32 v5, v4, v1
	v_cndmask_b32_e64 v57, 1, 2, vcc_lo
	v_add_co_u32 v11, vcc_lo, v7, -2
	v_add_co_ci_u32_e32 v12, vcc_lo, -1, v12, vcc_lo
	v_cmp_eq_u32_e32 vcc_lo, 0, v54
	s_delay_alu instid0(VALU_DEP_4) | instskip(SKIP_2) | instid1(VALU_DEP_2)
	v_and_b32_e32 v7, v8, v57
	v_cndmask_b32_e64 v8, 1, 2, vcc_lo
	v_cmp_eq_u32_e32 vcc_lo, 0, v53
	v_and_b32_e32 v7, v7, v8
	v_cndmask_b32_e64 v8, 1, 2, vcc_lo
	v_cmp_eq_u32_e32 vcc_lo, 0, v15
	s_delay_alu instid0(VALU_DEP_2) | instskip(SKIP_2) | instid1(VALU_DEP_2)
	v_and_b32_e32 v7, v7, v8
	v_cndmask_b32_e64 v8, 1, 2, vcc_lo
	v_cmp_gt_u32_e32 vcc_lo, 0x100, v3
	v_and_b32_e32 v7, v7, v8
	s_delay_alu instid0(VALU_DEP_1)
	v_cmp_gt_i16_e64 s15, 2, v7
	s_cbranch_vccz .LBB983_184
; %bb.168:
	s_delay_alu instid0(VALU_DEP_1)
	s_and_saveexec_b32 s16, s15
	s_cbranch_execz .LBB983_223
; %bb.169:
	s_mov_b32 s18, 0
	s_mov_b32 s15, exec_lo
	v_cmpx_ne_u16_e32 1, v7
	s_xor_b32 s15, exec_lo, s15
	s_cbranch_execz .LBB983_201
; %bb.170:
	s_and_saveexec_b32 s18, s14
	s_cbranch_execz .LBB983_206
; %bb.171:
	v_sub_nc_u32_e32 v13, v48, v5
	v_mov_b32_e32 v14, 0
	s_delay_alu instid0(VALU_DEP_1) | instskip(NEXT) | instid1(VALU_DEP_1)
	v_lshlrev_b64 v[13:14], 1, v[13:14]
	v_add_co_u32 v13, vcc_lo, v11, v13
	s_delay_alu instid0(VALU_DEP_2)
	v_add_co_ci_u32_e32 v14, vcc_lo, v12, v14, vcc_lo
	global_store_b16 v[13:14], v49, off
	s_or_b32 exec_lo, exec_lo, s18
	s_and_saveexec_b32 s18, s13
	s_cbranch_execnz .LBB983_207
.LBB983_172:
	s_or_b32 exec_lo, exec_lo, s18
	s_and_saveexec_b32 s18, s12
	s_cbranch_execz .LBB983_208
.LBB983_173:
	v_sub_nc_u32_e32 v13, v42, v5
	v_mov_b32_e32 v14, 0
	s_delay_alu instid0(VALU_DEP_1) | instskip(NEXT) | instid1(VALU_DEP_1)
	v_lshlrev_b64 v[13:14], 1, v[13:14]
	v_add_co_u32 v13, vcc_lo, v11, v13
	s_delay_alu instid0(VALU_DEP_2)
	v_add_co_ci_u32_e32 v14, vcc_lo, v12, v14, vcc_lo
	global_store_b16 v[13:14], v43, off
	s_or_b32 exec_lo, exec_lo, s18
	s_and_saveexec_b32 s18, s11
	s_cbranch_execnz .LBB983_209
.LBB983_174:
	s_or_b32 exec_lo, exec_lo, s18
	s_and_saveexec_b32 s18, s10
	s_cbranch_execz .LBB983_210
.LBB983_175:
	v_sub_nc_u32_e32 v13, v28, v5
	v_mov_b32_e32 v14, 0
	s_delay_alu instid0(VALU_DEP_1) | instskip(NEXT) | instid1(VALU_DEP_1)
	v_lshlrev_b64 v[13:14], 1, v[13:14]
	v_add_co_u32 v13, vcc_lo, v11, v13
	s_delay_alu instid0(VALU_DEP_2)
	v_add_co_ci_u32_e32 v14, vcc_lo, v12, v14, vcc_lo
	global_store_b16 v[13:14], v29, off
	s_or_b32 exec_lo, exec_lo, s18
	s_and_saveexec_b32 s18, s9
	s_cbranch_execnz .LBB983_211
.LBB983_176:
	s_or_b32 exec_lo, exec_lo, s18
	s_and_saveexec_b32 s18, s8
	s_cbranch_execz .LBB983_212
.LBB983_177:
	v_sub_nc_u32_e32 v13, v24, v5
	v_mov_b32_e32 v14, 0
	s_delay_alu instid0(VALU_DEP_1) | instskip(NEXT) | instid1(VALU_DEP_1)
	v_lshlrev_b64 v[13:14], 1, v[13:14]
	v_add_co_u32 v13, vcc_lo, v11, v13
	s_delay_alu instid0(VALU_DEP_2)
	v_add_co_ci_u32_e32 v14, vcc_lo, v12, v14, vcc_lo
	global_store_b16 v[13:14], v25, off
	s_or_b32 exec_lo, exec_lo, s18
	s_and_saveexec_b32 s18, s7
	s_cbranch_execnz .LBB983_213
.LBB983_178:
	s_or_b32 exec_lo, exec_lo, s18
	s_and_saveexec_b32 s18, s6
	s_cbranch_execz .LBB983_214
.LBB983_179:
	v_sub_nc_u32_e32 v13, v50, v5
	v_mov_b32_e32 v14, 0
	s_delay_alu instid0(VALU_DEP_1) | instskip(NEXT) | instid1(VALU_DEP_1)
	v_lshlrev_b64 v[13:14], 1, v[13:14]
	v_add_co_u32 v13, vcc_lo, v11, v13
	s_delay_alu instid0(VALU_DEP_2)
	v_add_co_ci_u32_e32 v14, vcc_lo, v12, v14, vcc_lo
	global_store_b16 v[13:14], v51, off
	s_or_b32 exec_lo, exec_lo, s18
	s_and_saveexec_b32 s18, s5
	s_cbranch_execnz .LBB983_215
.LBB983_180:
	s_or_b32 exec_lo, exec_lo, s18
	s_and_saveexec_b32 s18, s4
	s_cbranch_execz .LBB983_216
.LBB983_181:
	v_sub_nc_u32_e32 v13, v36, v5
	v_mov_b32_e32 v14, 0
	s_delay_alu instid0(VALU_DEP_1) | instskip(NEXT) | instid1(VALU_DEP_1)
	v_lshlrev_b64 v[13:14], 1, v[13:14]
	v_add_co_u32 v13, vcc_lo, v11, v13
	s_delay_alu instid0(VALU_DEP_2)
	v_add_co_ci_u32_e32 v14, vcc_lo, v12, v14, vcc_lo
	global_store_b16 v[13:14], v37, off
	s_or_b32 exec_lo, exec_lo, s18
	s_and_saveexec_b32 s18, s3
	s_cbranch_execnz .LBB983_217
.LBB983_182:
	s_or_b32 exec_lo, exec_lo, s18
	s_and_saveexec_b32 s18, s2
	s_cbranch_execz .LBB983_218
.LBB983_183:
	v_sub_nc_u32_e32 v13, v34, v5
	v_mov_b32_e32 v14, 0
	s_delay_alu instid0(VALU_DEP_1) | instskip(NEXT) | instid1(VALU_DEP_1)
	v_lshlrev_b64 v[13:14], 1, v[13:14]
	v_add_co_u32 v13, vcc_lo, v11, v13
	s_delay_alu instid0(VALU_DEP_2)
	v_add_co_ci_u32_e32 v14, vcc_lo, v12, v14, vcc_lo
	global_store_b16 v[13:14], v35, off
	s_or_b32 exec_lo, exec_lo, s18
	s_and_saveexec_b32 s18, s1
	s_cbranch_execnz .LBB983_219
	s_branch .LBB983_220
.LBB983_184:
	s_and_b32 vcc_lo, exec_lo, s16
	s_cbranch_vccz .LBB983_224
; %bb.185:
	s_mov_b32 s15, exec_lo
	v_cmpx_gt_i16_e32 2, v7
	s_cbranch_execz .LBB983_242
; %bb.186:
	s_mov_b32 s18, 0
	s_mov_b32 s16, exec_lo
	v_cmpx_ne_u16_e32 1, v7
	s_xor_b32 s16, exec_lo, s16
	s_cbranch_execz .LBB983_203
; %bb.187:
	s_and_saveexec_b32 s18, s14
	s_cbranch_execz .LBB983_225
; %bb.188:
	v_sub_nc_u32_e32 v7, v48, v5
	s_delay_alu instid0(VALU_DEP_1)
	v_lshlrev_b32_e32 v7, 1, v7
	ds_store_b16 v7, v49
	s_or_b32 exec_lo, exec_lo, s18
	s_and_saveexec_b32 s14, s13
	s_cbranch_execnz .LBB983_226
.LBB983_189:
	s_or_b32 exec_lo, exec_lo, s14
	s_and_saveexec_b32 s13, s12
	s_cbranch_execz .LBB983_227
.LBB983_190:
	v_sub_nc_u32_e32 v7, v42, v5
	s_delay_alu instid0(VALU_DEP_1)
	v_lshlrev_b32_e32 v7, 1, v7
	ds_store_b16 v7, v43
	s_or_b32 exec_lo, exec_lo, s13
	s_and_saveexec_b32 s12, s11
	s_cbranch_execnz .LBB983_228
.LBB983_191:
	s_or_b32 exec_lo, exec_lo, s12
	s_and_saveexec_b32 s11, s10
	s_cbranch_execz .LBB983_229
.LBB983_192:
	v_sub_nc_u32_e32 v7, v28, v5
	s_delay_alu instid0(VALU_DEP_1)
	v_lshlrev_b32_e32 v7, 1, v7
	ds_store_b16 v7, v29
	s_or_b32 exec_lo, exec_lo, s11
	s_and_saveexec_b32 s10, s9
	s_cbranch_execnz .LBB983_230
.LBB983_193:
	s_or_b32 exec_lo, exec_lo, s10
	s_and_saveexec_b32 s9, s8
	s_cbranch_execz .LBB983_231
.LBB983_194:
	v_sub_nc_u32_e32 v7, v24, v5
	s_delay_alu instid0(VALU_DEP_1)
	v_lshlrev_b32_e32 v7, 1, v7
	ds_store_b16 v7, v25
	s_or_b32 exec_lo, exec_lo, s9
	s_and_saveexec_b32 s8, s7
	s_cbranch_execnz .LBB983_232
.LBB983_195:
	s_or_b32 exec_lo, exec_lo, s8
	s_and_saveexec_b32 s7, s6
	s_cbranch_execz .LBB983_233
.LBB983_196:
	v_sub_nc_u32_e32 v7, v50, v5
	s_delay_alu instid0(VALU_DEP_1)
	v_lshlrev_b32_e32 v7, 1, v7
	ds_store_b16 v7, v51
	s_or_b32 exec_lo, exec_lo, s7
	s_and_saveexec_b32 s6, s5
	s_cbranch_execnz .LBB983_234
.LBB983_197:
	s_or_b32 exec_lo, exec_lo, s6
	s_and_saveexec_b32 s5, s4
	s_cbranch_execz .LBB983_235
.LBB983_198:
	v_sub_nc_u32_e32 v7, v36, v5
	s_delay_alu instid0(VALU_DEP_1)
	v_lshlrev_b32_e32 v7, 1, v7
	ds_store_b16 v7, v37
	s_or_b32 exec_lo, exec_lo, s5
	s_and_saveexec_b32 s4, s3
	s_cbranch_execnz .LBB983_236
.LBB983_199:
	s_or_b32 exec_lo, exec_lo, s4
	s_and_saveexec_b32 s3, s2
	s_cbranch_execz .LBB983_237
.LBB983_200:
	v_sub_nc_u32_e32 v7, v34, v5
	s_delay_alu instid0(VALU_DEP_1)
	v_lshlrev_b32_e32 v7, 1, v7
	ds_store_b16 v7, v35
	s_or_b32 exec_lo, exec_lo, s3
	s_and_saveexec_b32 s2, s1
	s_cbranch_execnz .LBB983_238
	s_branch .LBB983_239
.LBB983_201:
	s_and_not1_saveexec_b32 s15, s15
	s_cbranch_execz .LBB983_221
.LBB983_202:
	v_sub_nc_u32_e32 v13, v48, v5
	v_mov_b32_e32 v14, 0
	s_or_b32 s18, s18, exec_lo
	s_delay_alu instid0(VALU_DEP_1) | instskip(SKIP_1) | instid1(VALU_DEP_1)
	v_lshlrev_b64 v[15:16], 1, v[13:14]
	v_sub_nc_u32_e32 v13, v44, v5
	v_lshlrev_b64 v[17:18], 1, v[13:14]
	v_sub_nc_u32_e32 v13, v42, v5
	s_delay_alu instid0(VALU_DEP_4) | instskip(SKIP_1) | instid1(VALU_DEP_3)
	v_add_co_u32 v15, vcc_lo, v11, v15
	v_add_co_ci_u32_e32 v16, vcc_lo, v12, v16, vcc_lo
	v_lshlrev_b64 v[52:53], 1, v[13:14]
	v_sub_nc_u32_e32 v13, v40, v5
	v_add_co_u32 v17, vcc_lo, v11, v17
	v_add_co_ci_u32_e32 v18, vcc_lo, v12, v18, vcc_lo
	global_store_b16 v[15:16], v49, off
	v_lshlrev_b64 v[15:16], 1, v[13:14]
	v_sub_nc_u32_e32 v13, v28, v5
	global_store_b16 v[17:18], v45, off
	v_add_co_u32 v17, vcc_lo, v11, v52
	v_add_co_ci_u32_e32 v18, vcc_lo, v12, v53, vcc_lo
	v_lshlrev_b64 v[52:53], 1, v[13:14]
	v_sub_nc_u32_e32 v13, v26, v5
	v_add_co_u32 v15, vcc_lo, v11, v15
	v_add_co_ci_u32_e32 v16, vcc_lo, v12, v16, vcc_lo
	s_delay_alu instid0(VALU_DEP_3) | instskip(SKIP_3) | instid1(VALU_DEP_3)
	v_lshlrev_b64 v[54:55], 1, v[13:14]
	v_sub_nc_u32_e32 v13, v24, v5
	v_add_co_u32 v52, vcc_lo, v11, v52
	v_add_co_ci_u32_e32 v53, vcc_lo, v12, v53, vcc_lo
	v_lshlrev_b64 v[56:57], 1, v[13:14]
	v_sub_nc_u32_e32 v13, v46, v5
	v_add_co_u32 v54, vcc_lo, v11, v54
	v_add_co_ci_u32_e32 v55, vcc_lo, v12, v55, vcc_lo
	s_clause 0x3
	global_store_b16 v[17:18], v43, off
	global_store_b16 v[15:16], v41, off
	;; [unrolled: 1-line block ×4, first 2 shown]
	v_lshlrev_b64 v[15:16], 1, v[13:14]
	v_sub_nc_u32_e32 v13, v50, v5
	v_add_co_u32 v17, vcc_lo, v11, v56
	v_add_co_ci_u32_e32 v18, vcc_lo, v12, v57, vcc_lo
	s_delay_alu instid0(VALU_DEP_3) | instskip(SKIP_3) | instid1(VALU_DEP_3)
	v_lshlrev_b64 v[52:53], 1, v[13:14]
	v_sub_nc_u32_e32 v13, v38, v5
	v_add_co_u32 v15, vcc_lo, v11, v15
	v_add_co_ci_u32_e32 v16, vcc_lo, v12, v16, vcc_lo
	v_lshlrev_b64 v[54:55], 1, v[13:14]
	v_sub_nc_u32_e32 v13, v36, v5
	v_add_co_u32 v52, vcc_lo, v11, v52
	v_add_co_ci_u32_e32 v53, vcc_lo, v12, v53, vcc_lo
	s_delay_alu instid0(VALU_DEP_3)
	v_lshlrev_b64 v[56:57], 1, v[13:14]
	v_sub_nc_u32_e32 v13, v32, v5
	v_add_co_u32 v54, vcc_lo, v11, v54
	v_add_co_ci_u32_e32 v55, vcc_lo, v12, v55, vcc_lo
	s_clause 0x3
	global_store_b16 v[17:18], v25, off
	global_store_b16 v[15:16], v47, off
	;; [unrolled: 1-line block ×4, first 2 shown]
	v_lshlrev_b64 v[15:16], 1, v[13:14]
	v_sub_nc_u32_e32 v13, v34, v5
	v_add_co_u32 v17, vcc_lo, v11, v56
	v_add_co_ci_u32_e32 v18, vcc_lo, v12, v57, vcc_lo
	s_delay_alu instid0(VALU_DEP_3) | instskip(SKIP_3) | instid1(VALU_DEP_3)
	v_lshlrev_b64 v[52:53], 1, v[13:14]
	v_sub_nc_u32_e32 v13, v30, v5
	v_add_co_u32 v15, vcc_lo, v11, v15
	v_add_co_ci_u32_e32 v16, vcc_lo, v12, v16, vcc_lo
	v_lshlrev_b64 v[13:14], 1, v[13:14]
	v_add_co_u32 v52, vcc_lo, v11, v52
	v_add_co_ci_u32_e32 v53, vcc_lo, v12, v53, vcc_lo
	s_clause 0x2
	global_store_b16 v[17:18], v37, off
	global_store_b16 v[15:16], v33, off
	;; [unrolled: 1-line block ×3, first 2 shown]
	v_add_co_u32 v13, vcc_lo, v11, v13
	v_add_co_ci_u32_e32 v14, vcc_lo, v12, v14, vcc_lo
	global_store_b16 v[13:14], v31, off
	s_or_b32 exec_lo, exec_lo, s15
	s_delay_alu instid0(SALU_CYCLE_1)
	s_and_b32 exec_lo, exec_lo, s18
	s_cbranch_execnz .LBB983_222
	s_branch .LBB983_223
.LBB983_203:
	s_and_not1_saveexec_b32 s0, s16
	s_cbranch_execz .LBB983_240
.LBB983_204:
	v_sub_nc_u32_e32 v7, v48, v5
	v_sub_nc_u32_e32 v8, v44, v5
	;; [unrolled: 1-line block ×5, first 2 shown]
	v_lshlrev_b32_e32 v7, 1, v7
	v_lshlrev_b32_e32 v8, 1, v8
	;; [unrolled: 1-line block ×4, first 2 shown]
	s_or_b32 s18, s18, exec_lo
	ds_store_b16 v7, v49
	ds_store_b16 v8, v45
	;; [unrolled: 1-line block ×3, first 2 shown]
	v_sub_nc_u32_e32 v7, v28, v5
	v_sub_nc_u32_e32 v8, v26, v5
	v_sub_nc_u32_e32 v13, v24, v5
	ds_store_b16 v14, v41
	v_sub_nc_u32_e32 v14, v46, v5
	v_lshlrev_b32_e32 v7, 1, v7
	v_lshlrev_b32_e32 v8, 1, v8
	;; [unrolled: 1-line block ×3, first 2 shown]
	s_delay_alu instid0(VALU_DEP_4)
	v_lshlrev_b32_e32 v14, 1, v14
	ds_store_b16 v7, v29
	v_lshlrev_b32_e32 v7, 1, v15
	ds_store_b16 v8, v27
	ds_store_b16 v13, v25
	;; [unrolled: 1-line block ×3, first 2 shown]
	v_sub_nc_u32_e32 v8, v38, v5
	v_sub_nc_u32_e32 v15, v30, v5
	;; [unrolled: 1-line block ×3, first 2 shown]
	ds_store_b16 v7, v51
	v_sub_nc_u32_e32 v7, v36, v5
	v_lshlrev_b32_e32 v8, 1, v8
	v_sub_nc_u32_e32 v14, v34, v5
	v_lshlrev_b32_e32 v13, 1, v13
	s_delay_alu instid0(VALU_DEP_4)
	v_lshlrev_b32_e32 v7, 1, v7
	ds_store_b16 v8, v39
	v_lshlrev_b32_e32 v8, 1, v15
	v_lshlrev_b32_e32 v14, 1, v14
	ds_store_b16 v7, v37
	ds_store_b16 v13, v33
	;; [unrolled: 1-line block ×4, first 2 shown]
	s_or_b32 exec_lo, exec_lo, s0
	s_delay_alu instid0(SALU_CYCLE_1)
	s_and_b32 exec_lo, exec_lo, s18
	s_cbranch_execnz .LBB983_241
	s_branch .LBB983_242
.LBB983_205:
	s_or_b32 exec_lo, exec_lo, s4
	v_mov_b32_e32 v83, s1
	s_and_saveexec_b32 s1, s34
	s_cbranch_execnz .LBB983_77
	s_branch .LBB983_78
.LBB983_206:
	s_or_b32 exec_lo, exec_lo, s18
	s_and_saveexec_b32 s18, s13
	s_cbranch_execz .LBB983_172
.LBB983_207:
	v_sub_nc_u32_e32 v13, v44, v5
	v_mov_b32_e32 v14, 0
	s_delay_alu instid0(VALU_DEP_1) | instskip(NEXT) | instid1(VALU_DEP_1)
	v_lshlrev_b64 v[13:14], 1, v[13:14]
	v_add_co_u32 v13, vcc_lo, v11, v13
	s_delay_alu instid0(VALU_DEP_2)
	v_add_co_ci_u32_e32 v14, vcc_lo, v12, v14, vcc_lo
	global_store_b16 v[13:14], v45, off
	s_or_b32 exec_lo, exec_lo, s18
	s_and_saveexec_b32 s18, s12
	s_cbranch_execnz .LBB983_173
.LBB983_208:
	s_or_b32 exec_lo, exec_lo, s18
	s_and_saveexec_b32 s18, s11
	s_cbranch_execz .LBB983_174
.LBB983_209:
	v_sub_nc_u32_e32 v13, v40, v5
	v_mov_b32_e32 v14, 0
	s_delay_alu instid0(VALU_DEP_1) | instskip(NEXT) | instid1(VALU_DEP_1)
	v_lshlrev_b64 v[13:14], 1, v[13:14]
	v_add_co_u32 v13, vcc_lo, v11, v13
	s_delay_alu instid0(VALU_DEP_2)
	v_add_co_ci_u32_e32 v14, vcc_lo, v12, v14, vcc_lo
	global_store_b16 v[13:14], v41, off
	s_or_b32 exec_lo, exec_lo, s18
	s_and_saveexec_b32 s18, s10
	s_cbranch_execnz .LBB983_175
.LBB983_210:
	s_or_b32 exec_lo, exec_lo, s18
	s_and_saveexec_b32 s18, s9
	s_cbranch_execz .LBB983_176
.LBB983_211:
	v_sub_nc_u32_e32 v13, v26, v5
	v_mov_b32_e32 v14, 0
	s_delay_alu instid0(VALU_DEP_1) | instskip(NEXT) | instid1(VALU_DEP_1)
	v_lshlrev_b64 v[13:14], 1, v[13:14]
	v_add_co_u32 v13, vcc_lo, v11, v13
	s_delay_alu instid0(VALU_DEP_2)
	v_add_co_ci_u32_e32 v14, vcc_lo, v12, v14, vcc_lo
	global_store_b16 v[13:14], v27, off
	s_or_b32 exec_lo, exec_lo, s18
	s_and_saveexec_b32 s18, s8
	s_cbranch_execnz .LBB983_177
.LBB983_212:
	s_or_b32 exec_lo, exec_lo, s18
	s_and_saveexec_b32 s18, s7
	s_cbranch_execz .LBB983_178
.LBB983_213:
	v_sub_nc_u32_e32 v13, v46, v5
	v_mov_b32_e32 v14, 0
	s_delay_alu instid0(VALU_DEP_1) | instskip(NEXT) | instid1(VALU_DEP_1)
	v_lshlrev_b64 v[13:14], 1, v[13:14]
	v_add_co_u32 v13, vcc_lo, v11, v13
	s_delay_alu instid0(VALU_DEP_2)
	v_add_co_ci_u32_e32 v14, vcc_lo, v12, v14, vcc_lo
	global_store_b16 v[13:14], v47, off
	s_or_b32 exec_lo, exec_lo, s18
	s_and_saveexec_b32 s18, s6
	s_cbranch_execnz .LBB983_179
.LBB983_214:
	s_or_b32 exec_lo, exec_lo, s18
	s_and_saveexec_b32 s18, s5
	s_cbranch_execz .LBB983_180
.LBB983_215:
	v_sub_nc_u32_e32 v13, v38, v5
	v_mov_b32_e32 v14, 0
	s_delay_alu instid0(VALU_DEP_1) | instskip(NEXT) | instid1(VALU_DEP_1)
	v_lshlrev_b64 v[13:14], 1, v[13:14]
	v_add_co_u32 v13, vcc_lo, v11, v13
	s_delay_alu instid0(VALU_DEP_2)
	v_add_co_ci_u32_e32 v14, vcc_lo, v12, v14, vcc_lo
	global_store_b16 v[13:14], v39, off
	s_or_b32 exec_lo, exec_lo, s18
	s_and_saveexec_b32 s18, s4
	s_cbranch_execnz .LBB983_181
.LBB983_216:
	s_or_b32 exec_lo, exec_lo, s18
	s_and_saveexec_b32 s18, s3
	s_cbranch_execz .LBB983_182
.LBB983_217:
	v_sub_nc_u32_e32 v13, v32, v5
	v_mov_b32_e32 v14, 0
	s_delay_alu instid0(VALU_DEP_1) | instskip(NEXT) | instid1(VALU_DEP_1)
	v_lshlrev_b64 v[13:14], 1, v[13:14]
	v_add_co_u32 v13, vcc_lo, v11, v13
	s_delay_alu instid0(VALU_DEP_2)
	v_add_co_ci_u32_e32 v14, vcc_lo, v12, v14, vcc_lo
	global_store_b16 v[13:14], v33, off
	s_or_b32 exec_lo, exec_lo, s18
	s_and_saveexec_b32 s18, s2
	s_cbranch_execnz .LBB983_183
.LBB983_218:
	s_or_b32 exec_lo, exec_lo, s18
	s_and_saveexec_b32 s18, s1
	s_cbranch_execz .LBB983_220
.LBB983_219:
	v_sub_nc_u32_e32 v13, v30, v5
	v_mov_b32_e32 v14, 0
	s_delay_alu instid0(VALU_DEP_1) | instskip(NEXT) | instid1(VALU_DEP_1)
	v_lshlrev_b64 v[13:14], 1, v[13:14]
	v_add_co_u32 v13, vcc_lo, v11, v13
	s_delay_alu instid0(VALU_DEP_2)
	v_add_co_ci_u32_e32 v14, vcc_lo, v12, v14, vcc_lo
	global_store_b16 v[13:14], v31, off
.LBB983_220:
	s_or_b32 exec_lo, exec_lo, s18
	s_delay_alu instid0(SALU_CYCLE_1)
	s_and_b32 s18, s0, exec_lo
	s_and_not1_saveexec_b32 s15, s15
	s_cbranch_execnz .LBB983_202
.LBB983_221:
	s_or_b32 exec_lo, exec_lo, s15
	s_delay_alu instid0(SALU_CYCLE_1)
	s_and_b32 exec_lo, exec_lo, s18
	s_cbranch_execz .LBB983_223
.LBB983_222:
	v_sub_nc_u32_e32 v13, v22, v5
	v_mov_b32_e32 v14, 0
	s_delay_alu instid0(VALU_DEP_1) | instskip(NEXT) | instid1(VALU_DEP_1)
	v_lshlrev_b64 v[13:14], 1, v[13:14]
	v_add_co_u32 v13, vcc_lo, v11, v13
	s_delay_alu instid0(VALU_DEP_2)
	v_add_co_ci_u32_e32 v14, vcc_lo, v12, v14, vcc_lo
	global_store_b16 v[13:14], v23, off
.LBB983_223:
	s_or_b32 exec_lo, exec_lo, s16
.LBB983_224:
	v_cmp_eq_u32_e32 vcc_lo, 0xff, v0
	s_and_b32 s0, vcc_lo, s17
	s_delay_alu instid0(SALU_CYCLE_1)
	s_and_saveexec_b32 s1, s0
	s_cbranch_execnz .LBB983_258
	s_branch .LBB983_260
.LBB983_225:
	s_or_b32 exec_lo, exec_lo, s18
	s_and_saveexec_b32 s14, s13
	s_cbranch_execz .LBB983_189
.LBB983_226:
	v_sub_nc_u32_e32 v7, v44, v5
	s_delay_alu instid0(VALU_DEP_1)
	v_lshlrev_b32_e32 v7, 1, v7
	ds_store_b16 v7, v45
	s_or_b32 exec_lo, exec_lo, s14
	s_and_saveexec_b32 s13, s12
	s_cbranch_execnz .LBB983_190
.LBB983_227:
	s_or_b32 exec_lo, exec_lo, s13
	s_and_saveexec_b32 s12, s11
	s_cbranch_execz .LBB983_191
.LBB983_228:
	v_sub_nc_u32_e32 v7, v40, v5
	s_delay_alu instid0(VALU_DEP_1)
	v_lshlrev_b32_e32 v7, 1, v7
	ds_store_b16 v7, v41
	s_or_b32 exec_lo, exec_lo, s12
	s_and_saveexec_b32 s11, s10
	s_cbranch_execnz .LBB983_192
.LBB983_229:
	s_or_b32 exec_lo, exec_lo, s11
	s_and_saveexec_b32 s10, s9
	s_cbranch_execz .LBB983_193
.LBB983_230:
	v_sub_nc_u32_e32 v7, v26, v5
	s_delay_alu instid0(VALU_DEP_1)
	v_lshlrev_b32_e32 v7, 1, v7
	ds_store_b16 v7, v27
	s_or_b32 exec_lo, exec_lo, s10
	s_and_saveexec_b32 s9, s8
	s_cbranch_execnz .LBB983_194
.LBB983_231:
	s_or_b32 exec_lo, exec_lo, s9
	s_and_saveexec_b32 s8, s7
	s_cbranch_execz .LBB983_195
.LBB983_232:
	v_sub_nc_u32_e32 v7, v46, v5
	s_delay_alu instid0(VALU_DEP_1)
	v_lshlrev_b32_e32 v7, 1, v7
	ds_store_b16 v7, v47
	s_or_b32 exec_lo, exec_lo, s8
	s_and_saveexec_b32 s7, s6
	s_cbranch_execnz .LBB983_196
.LBB983_233:
	s_or_b32 exec_lo, exec_lo, s7
	s_and_saveexec_b32 s6, s5
	s_cbranch_execz .LBB983_197
.LBB983_234:
	v_sub_nc_u32_e32 v7, v38, v5
	s_delay_alu instid0(VALU_DEP_1)
	v_lshlrev_b32_e32 v7, 1, v7
	ds_store_b16 v7, v39
	s_or_b32 exec_lo, exec_lo, s6
	s_and_saveexec_b32 s5, s4
	s_cbranch_execnz .LBB983_198
.LBB983_235:
	s_or_b32 exec_lo, exec_lo, s5
	s_and_saveexec_b32 s4, s3
	s_cbranch_execz .LBB983_199
.LBB983_236:
	v_sub_nc_u32_e32 v7, v32, v5
	s_delay_alu instid0(VALU_DEP_1)
	v_lshlrev_b32_e32 v7, 1, v7
	ds_store_b16 v7, v33
	s_or_b32 exec_lo, exec_lo, s4
	s_and_saveexec_b32 s3, s2
	s_cbranch_execnz .LBB983_200
.LBB983_237:
	s_or_b32 exec_lo, exec_lo, s3
	s_and_saveexec_b32 s2, s1
	s_cbranch_execz .LBB983_239
.LBB983_238:
	v_sub_nc_u32_e32 v7, v30, v5
	s_delay_alu instid0(VALU_DEP_1)
	v_lshlrev_b32_e32 v7, 1, v7
	ds_store_b16 v7, v31
.LBB983_239:
	s_or_b32 exec_lo, exec_lo, s2
	s_delay_alu instid0(SALU_CYCLE_1)
	s_and_b32 s18, s0, exec_lo
                                        ; implicit-def: $vgpr48_vgpr49
                                        ; implicit-def: $vgpr44_vgpr45
                                        ; implicit-def: $vgpr42_vgpr43
                                        ; implicit-def: $vgpr40_vgpr41
                                        ; implicit-def: $vgpr28_vgpr29
                                        ; implicit-def: $vgpr26_vgpr27
                                        ; implicit-def: $vgpr24_vgpr25
                                        ; implicit-def: $vgpr46_vgpr47
                                        ; implicit-def: $vgpr50_vgpr51
                                        ; implicit-def: $vgpr38_vgpr39
                                        ; implicit-def: $vgpr36_vgpr37
                                        ; implicit-def: $vgpr32_vgpr33
                                        ; implicit-def: $vgpr34_vgpr35
                                        ; implicit-def: $vgpr30_vgpr31
	s_and_not1_saveexec_b32 s0, s16
	s_cbranch_execnz .LBB983_204
.LBB983_240:
	s_or_b32 exec_lo, exec_lo, s0
	s_delay_alu instid0(SALU_CYCLE_1)
	s_and_b32 exec_lo, exec_lo, s18
	s_cbranch_execz .LBB983_242
.LBB983_241:
	v_sub_nc_u32_e32 v5, v22, v5
	s_delay_alu instid0(VALU_DEP_1)
	v_lshlrev_b32_e32 v5, 1, v5
	ds_store_b16 v5, v23
.LBB983_242:
	s_or_b32 exec_lo, exec_lo, s15
	s_delay_alu instid0(SALU_CYCLE_1)
	s_mov_b32 s1, exec_lo
	s_waitcnt lgkmcnt(0)
	s_waitcnt_vscnt null, 0x0
	s_barrier
	buffer_gl0_inv
	v_cmpx_lt_u32_e64 v0, v3
	s_cbranch_execz .LBB983_257
; %bb.243:
	v_add_nc_u32_e32 v7, v2, v6
	s_mov_b32 s0, -1
	s_mov_b32 s3, exec_lo
	s_delay_alu instid0(VALU_DEP_1) | instskip(NEXT) | instid1(VALU_DEP_1)
	v_xad_u32 v5, v0, -1, v7
	v_sub_nc_u32_e32 v6, v5, v1
	v_mov_b32_e32 v5, v0
	s_delay_alu instid0(VALU_DEP_2)
	v_cmp_gt_u32_e64 s2, 0x1b00, v6
	v_cmpx_lt_u32_e32 0x1aff, v6
	s_cbranch_execz .LBB983_254
; %bb.244:
	v_sub_nc_u32_e32 v5, v0, v7
	s_mov_b32 s4, exec_lo
	s_delay_alu instid0(VALU_DEP_1) | instskip(SKIP_1) | instid1(VALU_DEP_2)
	v_add_nc_u32_e32 v1, v5, v1
	v_mov_b32_e32 v5, v0
	v_or_b32_e32 v1, 0xff, v1
	s_delay_alu instid0(VALU_DEP_1)
	v_cmpx_ge_u32_e64 v1, v0
	s_cbranch_execz .LBB983_253
; %bb.245:
	v_lshrrev_b32_e32 v13, 8, v6
	v_or_b32_e32 v1, 0x100, v0
	v_lshlrev_b32_e32 v14, 1, v0
	s_delay_alu instid0(VALU_DEP_3) | instskip(NEXT) | instid1(VALU_DEP_1)
	v_dual_mov_b32 v18, 0 :: v_dual_add_nc_u32 v5, -1, v13
	v_lshrrev_b32_e32 v6, 1, v5
	v_cmp_lt_u32_e32 vcc_lo, 13, v5
	s_delay_alu instid0(VALU_DEP_2)
	v_dual_mov_b32 v6, v1 :: v_dual_add_nc_u32 v15, 1, v6
	v_mov_b32_e32 v5, v0
	s_and_saveexec_b32 s0, vcc_lo
	s_cbranch_execz .LBB983_249
; %bb.246:
	v_mov_b32_e32 v6, v1
	v_dual_mov_b32 v17, v14 :: v_dual_and_b32 v16, -8, v15
	v_dual_mov_b32 v8, 0 :: v_dual_mov_b32 v5, v0
	s_mov_b32 s5, 0
	s_mov_b32 s6, 0
.LBB983_247:                            ; =>This Inner Loop Header: Depth=1
	s_delay_alu instid0(VALU_DEP_1) | instskip(NEXT) | instid1(VALU_DEP_2)
	v_dual_mov_b32 v7, v5 :: v_dual_add_nc_u32 v22, 0x200, v6
	v_dual_mov_b32 v35, v8 :: v_dual_add_nc_u32 v16, -8, v16
	v_dual_mov_b32 v23, v8 :: v_dual_add_nc_u32 v24, 0x400, v6
	s_delay_alu instid0(VALU_DEP_3) | instskip(SKIP_1) | instid1(VALU_DEP_4)
	v_lshlrev_b64 v[36:37], 1, v[7:8]
	v_dual_mov_b32 v25, v8 :: v_dual_add_nc_u32 v26, 0x600, v6
	v_cmp_eq_u32_e32 vcc_lo, 0, v16
	s_delay_alu instid0(VALU_DEP_4)
	v_lshlrev_b64 v[22:23], 1, v[22:23]
	v_dual_mov_b32 v27, v8 :: v_dual_add_nc_u32 v28, 0x800, v6
	s_add_i32 s6, s6, 16
	v_lshlrev_b64 v[24:25], 1, v[24:25]
	s_or_b32 s5, vcc_lo, s5
	v_add_co_u32 v36, vcc_lo, v11, v36
	v_dual_mov_b32 v29, v8 :: v_dual_add_nc_u32 v30, 0xa00, v6
	v_add_co_ci_u32_e32 v37, vcc_lo, v12, v37, vcc_lo
	v_lshlrev_b64 v[26:27], 1, v[26:27]
	v_add_co_u32 v22, vcc_lo, v11, v22
	v_dual_mov_b32 v31, v8 :: v_dual_add_nc_u32 v32, 0xc00, v6
	v_add_co_ci_u32_e32 v23, vcc_lo, v12, v23, vcc_lo
	v_lshlrev_b64 v[28:29], 1, v[28:29]
	;; [unrolled: 4-line block ×4, first 2 shown]
	v_add_co_u32 v28, vcc_lo, v11, v28
	ds_load_u16 v1, v17
	ds_load_u16 v19, v17 offset:512
	ds_load_u16 v42, v17 offset:1024
	ds_load_u16 v43, v17 offset:1536
	ds_load_u16 v44, v17 offset:2048
	ds_load_u16 v45, v17 offset:2560
	ds_load_u16 v46, v17 offset:3072
	ds_load_u16 v47, v17 offset:3584
	v_add_co_ci_u32_e32 v29, vcc_lo, v12, v29, vcc_lo
	v_lshlrev_b64 v[34:35], 1, v[34:35]
	v_add_co_u32 v30, vcc_lo, v11, v30
	v_lshlrev_b64 v[38:39], 1, v[7:8]
	v_add_nc_u32_e32 v7, 0x200, v5
	v_add_co_ci_u32_e32 v31, vcc_lo, v12, v31, vcc_lo
	v_add_co_u32 v32, vcc_lo, v11, v32
	v_add_co_ci_u32_e32 v33, vcc_lo, v12, v33, vcc_lo
	v_add_co_u32 v34, vcc_lo, v11, v34
	v_lshlrev_b64 v[40:41], 1, v[7:8]
	v_add_nc_u32_e32 v7, 0x400, v5
	v_add_co_ci_u32_e32 v35, vcc_lo, v12, v35, vcc_lo
	v_add_co_u32 v38, vcc_lo, v11, v38
	ds_load_u16 v48, v17 offset:4096
	ds_load_u16 v49, v17 offset:4608
	;; [unrolled: 1-line block ×8, first 2 shown]
	v_add_co_ci_u32_e32 v39, vcc_lo, v12, v39, vcc_lo
	s_waitcnt lgkmcnt(15)
	global_store_b16 v[36:37], v1, off
	v_lshlrev_b64 v[36:37], 1, v[7:8]
	v_add_nc_u32_e32 v7, 0x600, v5
	v_add_co_u32 v40, vcc_lo, v11, v40
	v_add_co_ci_u32_e32 v41, vcc_lo, v12, v41, vcc_lo
	s_waitcnt lgkmcnt(14)
	global_store_b16 v[38:39], v19, off
	v_lshlrev_b64 v[38:39], 1, v[7:8]
	v_add_nc_u32_e32 v7, 0x800, v5
	s_waitcnt lgkmcnt(13)
	global_store_b16 v[40:41], v42, off
	s_waitcnt lgkmcnt(12)
	global_store_b16 v[22:23], v43, off
	v_add_co_u32 v22, vcc_lo, v11, v36
	v_add_co_ci_u32_e32 v23, vcc_lo, v12, v37, vcc_lo
	v_lshlrev_b64 v[36:37], 1, v[7:8]
	v_add_nc_u32_e32 v7, 0xa00, v5
	v_add_co_u32 v38, vcc_lo, v11, v38
	v_add_co_ci_u32_e32 v39, vcc_lo, v12, v39, vcc_lo
	s_waitcnt lgkmcnt(11)
	global_store_b16 v[22:23], v44, off
	s_waitcnt lgkmcnt(10)
	global_store_b16 v[24:25], v45, off
	v_lshlrev_b64 v[22:23], 1, v[7:8]
	v_add_nc_u32_e32 v7, 0xc00, v5
	v_add_co_u32 v24, vcc_lo, v11, v36
	s_waitcnt lgkmcnt(9)
	global_store_b16 v[38:39], v46, off
	s_waitcnt lgkmcnt(8)
	global_store_b16 v[26:27], v47, off
	v_add_co_ci_u32_e32 v25, vcc_lo, v12, v37, vcc_lo
	v_lshlrev_b64 v[26:27], 1, v[7:8]
	v_add_nc_u32_e32 v7, 0xe00, v5
	v_add_co_u32 v22, vcc_lo, v11, v22
	v_add_co_ci_u32_e32 v23, vcc_lo, v12, v23, vcc_lo
	s_waitcnt lgkmcnt(7)
	global_store_b16 v[24:25], v48, off
	s_waitcnt lgkmcnt(6)
	global_store_b16 v[28:29], v49, off
	v_lshlrev_b64 v[24:25], 1, v[7:8]
	v_dual_mov_b32 v18, s6 :: v_dual_add_nc_u32 v17, 0x2000, v17
	s_waitcnt lgkmcnt(5)
	global_store_b16 v[22:23], v50, off
	v_add_co_u32 v22, vcc_lo, v11, v26
	v_add_nc_u32_e32 v5, 0x1000, v5
	v_add_co_ci_u32_e32 v23, vcc_lo, v12, v27, vcc_lo
	v_add_co_u32 v24, vcc_lo, v11, v24
	v_add_co_ci_u32_e32 v25, vcc_lo, v12, v25, vcc_lo
	s_waitcnt lgkmcnt(4)
	global_store_b16 v[30:31], v51, off
	s_waitcnt lgkmcnt(3)
	global_store_b16 v[22:23], v52, off
	;; [unrolled: 2-line block ×5, first 2 shown]
	s_and_not1_b32 exec_lo, exec_lo, s5
	s_cbranch_execnz .LBB983_247
; %bb.248:
	s_or_b32 exec_lo, exec_lo, s5
.LBB983_249:
	s_delay_alu instid0(SALU_CYCLE_1) | instskip(SKIP_3) | instid1(VALU_DEP_1)
	s_or_b32 exec_lo, exec_lo, s0
	v_and_b32_e32 v1, 7, v15
	s_mov_b32 s6, 0
	s_mov_b32 s5, exec_lo
	v_cmpx_ne_u32_e32 0, v1
	s_cbranch_execz .LBB983_252
; %bb.250:
	v_lshl_or_b32 v14, v18, 9, v14
	v_mov_b32_e32 v8, 0
	s_set_inst_prefetch_distance 0x1
	.p2align	6
.LBB983_251:                            ; =>This Inner Loop Header: Depth=1
	v_mov_b32_e32 v7, v5
	ds_load_u16 v19, v14
	ds_load_u16 v22, v14 offset:512
	v_add_nc_u32_e32 v14, 0x400, v14
	v_add_nc_u32_e32 v1, -1, v1
	v_add_nc_u32_e32 v5, 0x200, v5
	v_lshlrev_b64 v[15:16], 1, v[7:8]
	v_dual_mov_b32 v7, v6 :: v_dual_add_nc_u32 v6, 0x200, v6
	s_delay_alu instid0(VALU_DEP_4) | instskip(NEXT) | instid1(VALU_DEP_2)
	v_cmp_eq_u32_e32 vcc_lo, 0, v1
	v_lshlrev_b64 v[17:18], 1, v[7:8]
	s_delay_alu instid0(VALU_DEP_4) | instskip(NEXT) | instid1(VALU_DEP_1)
	v_add_co_u32 v15, s0, v11, v15
	v_add_co_ci_u32_e64 v16, s0, v12, v16, s0
	s_or_b32 s6, vcc_lo, s6
	s_delay_alu instid0(VALU_DEP_3) | instskip(NEXT) | instid1(VALU_DEP_1)
	v_add_co_u32 v17, s0, v11, v17
	v_add_co_ci_u32_e64 v18, s0, v12, v18, s0
	s_waitcnt lgkmcnt(1)
	global_store_b16 v[15:16], v19, off
	s_waitcnt lgkmcnt(0)
	global_store_b16 v[17:18], v22, off
	s_and_not1_b32 exec_lo, exec_lo, s6
	s_cbranch_execnz .LBB983_251
.LBB983_252:
	s_set_inst_prefetch_distance 0x2
	s_or_b32 exec_lo, exec_lo, s5
	v_add_nc_u32_e32 v1, 1, v13
	s_delay_alu instid0(VALU_DEP_1) | instskip(NEXT) | instid1(VALU_DEP_1)
	v_and_b32_e32 v5, 0x1fffffe, v1
	v_cmp_ne_u32_e32 vcc_lo, v1, v5
	v_lshl_or_b32 v5, v5, 8, v0
	s_or_not1_b32 s0, vcc_lo, exec_lo
.LBB983_253:
	s_or_b32 exec_lo, exec_lo, s4
	s_delay_alu instid0(SALU_CYCLE_1) | instskip(SKIP_1) | instid1(SALU_CYCLE_1)
	s_and_not1_b32 s2, s2, exec_lo
	s_and_b32 s0, s0, exec_lo
	s_or_b32 s2, s2, s0
.LBB983_254:
	s_or_b32 exec_lo, exec_lo, s3
	s_delay_alu instid0(VALU_DEP_2) | instid1(SALU_CYCLE_1)
	s_and_b32 exec_lo, exec_lo, s2
	s_cbranch_execz .LBB983_257
; %bb.255:
	v_dual_mov_b32 v6, 0 :: v_dual_lshlrev_b32 v1, 1, v5
	s_mov_b32 s2, 0
	.p2align	6
.LBB983_256:                            ; =>This Inner Loop Header: Depth=1
	ds_load_u16 v13, v1
	v_lshlrev_b64 v[7:8], 1, v[5:6]
	v_add_nc_u32_e32 v5, 0x100, v5
	v_add_nc_u32_e32 v1, 0x200, v1
	s_delay_alu instid0(VALU_DEP_2) | instskip(NEXT) | instid1(VALU_DEP_4)
	v_cmp_ge_u32_e32 vcc_lo, v5, v3
	v_add_co_u32 v7, s0, v11, v7
	s_delay_alu instid0(VALU_DEP_1)
	v_add_co_ci_u32_e64 v8, s0, v12, v8, s0
	s_or_b32 s2, vcc_lo, s2
	s_waitcnt lgkmcnt(0)
	global_store_b16 v[7:8], v13, off
	s_and_not1_b32 exec_lo, exec_lo, s2
	s_cbranch_execnz .LBB983_256
.LBB983_257:
	s_or_b32 exec_lo, exec_lo, s1
	v_cmp_eq_u32_e32 vcc_lo, 0xff, v0
	s_and_b32 s0, vcc_lo, s17
	s_delay_alu instid0(SALU_CYCLE_1)
	s_and_saveexec_b32 s1, s0
	s_cbranch_execz .LBB983_260
.LBB983_258:
	v_add_co_u32 v0, s0, v2, v4
	s_delay_alu instid0(VALU_DEP_1) | instskip(SKIP_1) | instid1(VALU_DEP_3)
	v_add_co_ci_u32_e64 v1, null, 0, 0, s0
	v_mov_b32_e32 v3, 0
	v_add_co_u32 v0, vcc_lo, v0, v20
	s_delay_alu instid0(VALU_DEP_3)
	v_add_co_ci_u32_e32 v1, vcc_lo, v1, v21, vcc_lo
	s_cmpk_lg_i32 s26, 0xf00
	global_store_b64 v3, v[0:1], s[30:31]
	s_cbranch_scc1 .LBB983_260
; %bb.259:
	v_lshlrev_b64 v[0:1], 1, v[2:3]
	s_delay_alu instid0(VALU_DEP_1) | instskip(NEXT) | instid1(VALU_DEP_2)
	v_add_co_u32 v0, vcc_lo, v9, v0
	v_add_co_ci_u32_e32 v1, vcc_lo, v10, v1, vcc_lo
	global_store_b16 v[0:1], v82, off offset:-2
	s_nop 0
	s_sendmsg sendmsg(MSG_DEALLOC_VGPRS)
	s_endpgm
.LBB983_260:
	s_nop 0
	s_sendmsg sendmsg(MSG_DEALLOC_VGPRS)
	s_endpgm
	.section	.rodata,"a",@progbits
	.p2align	6, 0x0
	.amdhsa_kernel _ZN7rocprim17ROCPRIM_400000_NS6detail17trampoline_kernelINS0_14default_configENS1_29reduce_by_key_config_selectorIjtN6thrust23THRUST_200600_302600_NS4plusItEEEEZZNS1_33reduce_by_key_impl_wrapped_configILNS1_25lookback_scan_determinismE0ES3_S9_NS6_6detail15normal_iteratorINS6_10device_ptrIjEEEENSD_INSE_ItEEEENS6_16discard_iteratorINS6_11use_defaultEEESI_PmS8_NS6_8equal_toIjEEEE10hipError_tPvRmT2_T3_mT4_T5_T6_T7_T8_P12ihipStream_tbENKUlT_T0_E_clISt17integral_constantIbLb0EES15_IbLb1EEEEDaS11_S12_EUlS11_E_NS1_11comp_targetILNS1_3genE9ELNS1_11target_archE1100ELNS1_3gpuE3ELNS1_3repE0EEENS1_30default_config_static_selectorELNS0_4arch9wavefront6targetE0EEEvT1_
		.amdhsa_group_segment_fixed_size 15360
		.amdhsa_private_segment_fixed_size 0
		.amdhsa_kernarg_size 128
		.amdhsa_user_sgpr_count 15
		.amdhsa_user_sgpr_dispatch_ptr 0
		.amdhsa_user_sgpr_queue_ptr 0
		.amdhsa_user_sgpr_kernarg_segment_ptr 1
		.amdhsa_user_sgpr_dispatch_id 0
		.amdhsa_user_sgpr_private_segment_size 0
		.amdhsa_wavefront_size32 1
		.amdhsa_uses_dynamic_stack 0
		.amdhsa_enable_private_segment 0
		.amdhsa_system_sgpr_workgroup_id_x 1
		.amdhsa_system_sgpr_workgroup_id_y 0
		.amdhsa_system_sgpr_workgroup_id_z 0
		.amdhsa_system_sgpr_workgroup_info 0
		.amdhsa_system_vgpr_workitem_id 0
		.amdhsa_next_free_vgpr 89
		.amdhsa_next_free_sgpr 42
		.amdhsa_reserve_vcc 1
		.amdhsa_float_round_mode_32 0
		.amdhsa_float_round_mode_16_64 0
		.amdhsa_float_denorm_mode_32 3
		.amdhsa_float_denorm_mode_16_64 3
		.amdhsa_dx10_clamp 1
		.amdhsa_ieee_mode 1
		.amdhsa_fp16_overflow 0
		.amdhsa_workgroup_processor_mode 1
		.amdhsa_memory_ordered 1
		.amdhsa_forward_progress 0
		.amdhsa_shared_vgpr_count 0
		.amdhsa_exception_fp_ieee_invalid_op 0
		.amdhsa_exception_fp_denorm_src 0
		.amdhsa_exception_fp_ieee_div_zero 0
		.amdhsa_exception_fp_ieee_overflow 0
		.amdhsa_exception_fp_ieee_underflow 0
		.amdhsa_exception_fp_ieee_inexact 0
		.amdhsa_exception_int_div_zero 0
	.end_amdhsa_kernel
	.section	.text._ZN7rocprim17ROCPRIM_400000_NS6detail17trampoline_kernelINS0_14default_configENS1_29reduce_by_key_config_selectorIjtN6thrust23THRUST_200600_302600_NS4plusItEEEEZZNS1_33reduce_by_key_impl_wrapped_configILNS1_25lookback_scan_determinismE0ES3_S9_NS6_6detail15normal_iteratorINS6_10device_ptrIjEEEENSD_INSE_ItEEEENS6_16discard_iteratorINS6_11use_defaultEEESI_PmS8_NS6_8equal_toIjEEEE10hipError_tPvRmT2_T3_mT4_T5_T6_T7_T8_P12ihipStream_tbENKUlT_T0_E_clISt17integral_constantIbLb0EES15_IbLb1EEEEDaS11_S12_EUlS11_E_NS1_11comp_targetILNS1_3genE9ELNS1_11target_archE1100ELNS1_3gpuE3ELNS1_3repE0EEENS1_30default_config_static_selectorELNS0_4arch9wavefront6targetE0EEEvT1_,"axG",@progbits,_ZN7rocprim17ROCPRIM_400000_NS6detail17trampoline_kernelINS0_14default_configENS1_29reduce_by_key_config_selectorIjtN6thrust23THRUST_200600_302600_NS4plusItEEEEZZNS1_33reduce_by_key_impl_wrapped_configILNS1_25lookback_scan_determinismE0ES3_S9_NS6_6detail15normal_iteratorINS6_10device_ptrIjEEEENSD_INSE_ItEEEENS6_16discard_iteratorINS6_11use_defaultEEESI_PmS8_NS6_8equal_toIjEEEE10hipError_tPvRmT2_T3_mT4_T5_T6_T7_T8_P12ihipStream_tbENKUlT_T0_E_clISt17integral_constantIbLb0EES15_IbLb1EEEEDaS11_S12_EUlS11_E_NS1_11comp_targetILNS1_3genE9ELNS1_11target_archE1100ELNS1_3gpuE3ELNS1_3repE0EEENS1_30default_config_static_selectorELNS0_4arch9wavefront6targetE0EEEvT1_,comdat
.Lfunc_end983:
	.size	_ZN7rocprim17ROCPRIM_400000_NS6detail17trampoline_kernelINS0_14default_configENS1_29reduce_by_key_config_selectorIjtN6thrust23THRUST_200600_302600_NS4plusItEEEEZZNS1_33reduce_by_key_impl_wrapped_configILNS1_25lookback_scan_determinismE0ES3_S9_NS6_6detail15normal_iteratorINS6_10device_ptrIjEEEENSD_INSE_ItEEEENS6_16discard_iteratorINS6_11use_defaultEEESI_PmS8_NS6_8equal_toIjEEEE10hipError_tPvRmT2_T3_mT4_T5_T6_T7_T8_P12ihipStream_tbENKUlT_T0_E_clISt17integral_constantIbLb0EES15_IbLb1EEEEDaS11_S12_EUlS11_E_NS1_11comp_targetILNS1_3genE9ELNS1_11target_archE1100ELNS1_3gpuE3ELNS1_3repE0EEENS1_30default_config_static_selectorELNS0_4arch9wavefront6targetE0EEEvT1_, .Lfunc_end983-_ZN7rocprim17ROCPRIM_400000_NS6detail17trampoline_kernelINS0_14default_configENS1_29reduce_by_key_config_selectorIjtN6thrust23THRUST_200600_302600_NS4plusItEEEEZZNS1_33reduce_by_key_impl_wrapped_configILNS1_25lookback_scan_determinismE0ES3_S9_NS6_6detail15normal_iteratorINS6_10device_ptrIjEEEENSD_INSE_ItEEEENS6_16discard_iteratorINS6_11use_defaultEEESI_PmS8_NS6_8equal_toIjEEEE10hipError_tPvRmT2_T3_mT4_T5_T6_T7_T8_P12ihipStream_tbENKUlT_T0_E_clISt17integral_constantIbLb0EES15_IbLb1EEEEDaS11_S12_EUlS11_E_NS1_11comp_targetILNS1_3genE9ELNS1_11target_archE1100ELNS1_3gpuE3ELNS1_3repE0EEENS1_30default_config_static_selectorELNS0_4arch9wavefront6targetE0EEEvT1_
                                        ; -- End function
	.section	.AMDGPU.csdata,"",@progbits
; Kernel info:
; codeLenInByte = 18180
; NumSgprs: 44
; NumVgprs: 89
; ScratchSize: 0
; MemoryBound: 0
; FloatMode: 240
; IeeeMode: 1
; LDSByteSize: 15360 bytes/workgroup (compile time only)
; SGPRBlocks: 5
; VGPRBlocks: 11
; NumSGPRsForWavesPerEU: 44
; NumVGPRsForWavesPerEU: 89
; Occupancy: 16
; WaveLimiterHint : 1
; COMPUTE_PGM_RSRC2:SCRATCH_EN: 0
; COMPUTE_PGM_RSRC2:USER_SGPR: 15
; COMPUTE_PGM_RSRC2:TRAP_HANDLER: 0
; COMPUTE_PGM_RSRC2:TGID_X_EN: 1
; COMPUTE_PGM_RSRC2:TGID_Y_EN: 0
; COMPUTE_PGM_RSRC2:TGID_Z_EN: 0
; COMPUTE_PGM_RSRC2:TIDIG_COMP_CNT: 0
	.section	.text._ZN7rocprim17ROCPRIM_400000_NS6detail17trampoline_kernelINS0_14default_configENS1_29reduce_by_key_config_selectorIjtN6thrust23THRUST_200600_302600_NS4plusItEEEEZZNS1_33reduce_by_key_impl_wrapped_configILNS1_25lookback_scan_determinismE0ES3_S9_NS6_6detail15normal_iteratorINS6_10device_ptrIjEEEENSD_INSE_ItEEEENS6_16discard_iteratorINS6_11use_defaultEEESI_PmS8_NS6_8equal_toIjEEEE10hipError_tPvRmT2_T3_mT4_T5_T6_T7_T8_P12ihipStream_tbENKUlT_T0_E_clISt17integral_constantIbLb0EES15_IbLb1EEEEDaS11_S12_EUlS11_E_NS1_11comp_targetILNS1_3genE8ELNS1_11target_archE1030ELNS1_3gpuE2ELNS1_3repE0EEENS1_30default_config_static_selectorELNS0_4arch9wavefront6targetE0EEEvT1_,"axG",@progbits,_ZN7rocprim17ROCPRIM_400000_NS6detail17trampoline_kernelINS0_14default_configENS1_29reduce_by_key_config_selectorIjtN6thrust23THRUST_200600_302600_NS4plusItEEEEZZNS1_33reduce_by_key_impl_wrapped_configILNS1_25lookback_scan_determinismE0ES3_S9_NS6_6detail15normal_iteratorINS6_10device_ptrIjEEEENSD_INSE_ItEEEENS6_16discard_iteratorINS6_11use_defaultEEESI_PmS8_NS6_8equal_toIjEEEE10hipError_tPvRmT2_T3_mT4_T5_T6_T7_T8_P12ihipStream_tbENKUlT_T0_E_clISt17integral_constantIbLb0EES15_IbLb1EEEEDaS11_S12_EUlS11_E_NS1_11comp_targetILNS1_3genE8ELNS1_11target_archE1030ELNS1_3gpuE2ELNS1_3repE0EEENS1_30default_config_static_selectorELNS0_4arch9wavefront6targetE0EEEvT1_,comdat
	.protected	_ZN7rocprim17ROCPRIM_400000_NS6detail17trampoline_kernelINS0_14default_configENS1_29reduce_by_key_config_selectorIjtN6thrust23THRUST_200600_302600_NS4plusItEEEEZZNS1_33reduce_by_key_impl_wrapped_configILNS1_25lookback_scan_determinismE0ES3_S9_NS6_6detail15normal_iteratorINS6_10device_ptrIjEEEENSD_INSE_ItEEEENS6_16discard_iteratorINS6_11use_defaultEEESI_PmS8_NS6_8equal_toIjEEEE10hipError_tPvRmT2_T3_mT4_T5_T6_T7_T8_P12ihipStream_tbENKUlT_T0_E_clISt17integral_constantIbLb0EES15_IbLb1EEEEDaS11_S12_EUlS11_E_NS1_11comp_targetILNS1_3genE8ELNS1_11target_archE1030ELNS1_3gpuE2ELNS1_3repE0EEENS1_30default_config_static_selectorELNS0_4arch9wavefront6targetE0EEEvT1_ ; -- Begin function _ZN7rocprim17ROCPRIM_400000_NS6detail17trampoline_kernelINS0_14default_configENS1_29reduce_by_key_config_selectorIjtN6thrust23THRUST_200600_302600_NS4plusItEEEEZZNS1_33reduce_by_key_impl_wrapped_configILNS1_25lookback_scan_determinismE0ES3_S9_NS6_6detail15normal_iteratorINS6_10device_ptrIjEEEENSD_INSE_ItEEEENS6_16discard_iteratorINS6_11use_defaultEEESI_PmS8_NS6_8equal_toIjEEEE10hipError_tPvRmT2_T3_mT4_T5_T6_T7_T8_P12ihipStream_tbENKUlT_T0_E_clISt17integral_constantIbLb0EES15_IbLb1EEEEDaS11_S12_EUlS11_E_NS1_11comp_targetILNS1_3genE8ELNS1_11target_archE1030ELNS1_3gpuE2ELNS1_3repE0EEENS1_30default_config_static_selectorELNS0_4arch9wavefront6targetE0EEEvT1_
	.globl	_ZN7rocprim17ROCPRIM_400000_NS6detail17trampoline_kernelINS0_14default_configENS1_29reduce_by_key_config_selectorIjtN6thrust23THRUST_200600_302600_NS4plusItEEEEZZNS1_33reduce_by_key_impl_wrapped_configILNS1_25lookback_scan_determinismE0ES3_S9_NS6_6detail15normal_iteratorINS6_10device_ptrIjEEEENSD_INSE_ItEEEENS6_16discard_iteratorINS6_11use_defaultEEESI_PmS8_NS6_8equal_toIjEEEE10hipError_tPvRmT2_T3_mT4_T5_T6_T7_T8_P12ihipStream_tbENKUlT_T0_E_clISt17integral_constantIbLb0EES15_IbLb1EEEEDaS11_S12_EUlS11_E_NS1_11comp_targetILNS1_3genE8ELNS1_11target_archE1030ELNS1_3gpuE2ELNS1_3repE0EEENS1_30default_config_static_selectorELNS0_4arch9wavefront6targetE0EEEvT1_
	.p2align	8
	.type	_ZN7rocprim17ROCPRIM_400000_NS6detail17trampoline_kernelINS0_14default_configENS1_29reduce_by_key_config_selectorIjtN6thrust23THRUST_200600_302600_NS4plusItEEEEZZNS1_33reduce_by_key_impl_wrapped_configILNS1_25lookback_scan_determinismE0ES3_S9_NS6_6detail15normal_iteratorINS6_10device_ptrIjEEEENSD_INSE_ItEEEENS6_16discard_iteratorINS6_11use_defaultEEESI_PmS8_NS6_8equal_toIjEEEE10hipError_tPvRmT2_T3_mT4_T5_T6_T7_T8_P12ihipStream_tbENKUlT_T0_E_clISt17integral_constantIbLb0EES15_IbLb1EEEEDaS11_S12_EUlS11_E_NS1_11comp_targetILNS1_3genE8ELNS1_11target_archE1030ELNS1_3gpuE2ELNS1_3repE0EEENS1_30default_config_static_selectorELNS0_4arch9wavefront6targetE0EEEvT1_,@function
_ZN7rocprim17ROCPRIM_400000_NS6detail17trampoline_kernelINS0_14default_configENS1_29reduce_by_key_config_selectorIjtN6thrust23THRUST_200600_302600_NS4plusItEEEEZZNS1_33reduce_by_key_impl_wrapped_configILNS1_25lookback_scan_determinismE0ES3_S9_NS6_6detail15normal_iteratorINS6_10device_ptrIjEEEENSD_INSE_ItEEEENS6_16discard_iteratorINS6_11use_defaultEEESI_PmS8_NS6_8equal_toIjEEEE10hipError_tPvRmT2_T3_mT4_T5_T6_T7_T8_P12ihipStream_tbENKUlT_T0_E_clISt17integral_constantIbLb0EES15_IbLb1EEEEDaS11_S12_EUlS11_E_NS1_11comp_targetILNS1_3genE8ELNS1_11target_archE1030ELNS1_3gpuE2ELNS1_3repE0EEENS1_30default_config_static_selectorELNS0_4arch9wavefront6targetE0EEEvT1_: ; @_ZN7rocprim17ROCPRIM_400000_NS6detail17trampoline_kernelINS0_14default_configENS1_29reduce_by_key_config_selectorIjtN6thrust23THRUST_200600_302600_NS4plusItEEEEZZNS1_33reduce_by_key_impl_wrapped_configILNS1_25lookback_scan_determinismE0ES3_S9_NS6_6detail15normal_iteratorINS6_10device_ptrIjEEEENSD_INSE_ItEEEENS6_16discard_iteratorINS6_11use_defaultEEESI_PmS8_NS6_8equal_toIjEEEE10hipError_tPvRmT2_T3_mT4_T5_T6_T7_T8_P12ihipStream_tbENKUlT_T0_E_clISt17integral_constantIbLb0EES15_IbLb1EEEEDaS11_S12_EUlS11_E_NS1_11comp_targetILNS1_3genE8ELNS1_11target_archE1030ELNS1_3gpuE2ELNS1_3repE0EEENS1_30default_config_static_selectorELNS0_4arch9wavefront6targetE0EEEvT1_
; %bb.0:
	.section	.rodata,"a",@progbits
	.p2align	6, 0x0
	.amdhsa_kernel _ZN7rocprim17ROCPRIM_400000_NS6detail17trampoline_kernelINS0_14default_configENS1_29reduce_by_key_config_selectorIjtN6thrust23THRUST_200600_302600_NS4plusItEEEEZZNS1_33reduce_by_key_impl_wrapped_configILNS1_25lookback_scan_determinismE0ES3_S9_NS6_6detail15normal_iteratorINS6_10device_ptrIjEEEENSD_INSE_ItEEEENS6_16discard_iteratorINS6_11use_defaultEEESI_PmS8_NS6_8equal_toIjEEEE10hipError_tPvRmT2_T3_mT4_T5_T6_T7_T8_P12ihipStream_tbENKUlT_T0_E_clISt17integral_constantIbLb0EES15_IbLb1EEEEDaS11_S12_EUlS11_E_NS1_11comp_targetILNS1_3genE8ELNS1_11target_archE1030ELNS1_3gpuE2ELNS1_3repE0EEENS1_30default_config_static_selectorELNS0_4arch9wavefront6targetE0EEEvT1_
		.amdhsa_group_segment_fixed_size 0
		.amdhsa_private_segment_fixed_size 0
		.amdhsa_kernarg_size 128
		.amdhsa_user_sgpr_count 15
		.amdhsa_user_sgpr_dispatch_ptr 0
		.amdhsa_user_sgpr_queue_ptr 0
		.amdhsa_user_sgpr_kernarg_segment_ptr 1
		.amdhsa_user_sgpr_dispatch_id 0
		.amdhsa_user_sgpr_private_segment_size 0
		.amdhsa_wavefront_size32 1
		.amdhsa_uses_dynamic_stack 0
		.amdhsa_enable_private_segment 0
		.amdhsa_system_sgpr_workgroup_id_x 1
		.amdhsa_system_sgpr_workgroup_id_y 0
		.amdhsa_system_sgpr_workgroup_id_z 0
		.amdhsa_system_sgpr_workgroup_info 0
		.amdhsa_system_vgpr_workitem_id 0
		.amdhsa_next_free_vgpr 1
		.amdhsa_next_free_sgpr 1
		.amdhsa_reserve_vcc 0
		.amdhsa_float_round_mode_32 0
		.amdhsa_float_round_mode_16_64 0
		.amdhsa_float_denorm_mode_32 3
		.amdhsa_float_denorm_mode_16_64 3
		.amdhsa_dx10_clamp 1
		.amdhsa_ieee_mode 1
		.amdhsa_fp16_overflow 0
		.amdhsa_workgroup_processor_mode 1
		.amdhsa_memory_ordered 1
		.amdhsa_forward_progress 0
		.amdhsa_shared_vgpr_count 0
		.amdhsa_exception_fp_ieee_invalid_op 0
		.amdhsa_exception_fp_denorm_src 0
		.amdhsa_exception_fp_ieee_div_zero 0
		.amdhsa_exception_fp_ieee_overflow 0
		.amdhsa_exception_fp_ieee_underflow 0
		.amdhsa_exception_fp_ieee_inexact 0
		.amdhsa_exception_int_div_zero 0
	.end_amdhsa_kernel
	.section	.text._ZN7rocprim17ROCPRIM_400000_NS6detail17trampoline_kernelINS0_14default_configENS1_29reduce_by_key_config_selectorIjtN6thrust23THRUST_200600_302600_NS4plusItEEEEZZNS1_33reduce_by_key_impl_wrapped_configILNS1_25lookback_scan_determinismE0ES3_S9_NS6_6detail15normal_iteratorINS6_10device_ptrIjEEEENSD_INSE_ItEEEENS6_16discard_iteratorINS6_11use_defaultEEESI_PmS8_NS6_8equal_toIjEEEE10hipError_tPvRmT2_T3_mT4_T5_T6_T7_T8_P12ihipStream_tbENKUlT_T0_E_clISt17integral_constantIbLb0EES15_IbLb1EEEEDaS11_S12_EUlS11_E_NS1_11comp_targetILNS1_3genE8ELNS1_11target_archE1030ELNS1_3gpuE2ELNS1_3repE0EEENS1_30default_config_static_selectorELNS0_4arch9wavefront6targetE0EEEvT1_,"axG",@progbits,_ZN7rocprim17ROCPRIM_400000_NS6detail17trampoline_kernelINS0_14default_configENS1_29reduce_by_key_config_selectorIjtN6thrust23THRUST_200600_302600_NS4plusItEEEEZZNS1_33reduce_by_key_impl_wrapped_configILNS1_25lookback_scan_determinismE0ES3_S9_NS6_6detail15normal_iteratorINS6_10device_ptrIjEEEENSD_INSE_ItEEEENS6_16discard_iteratorINS6_11use_defaultEEESI_PmS8_NS6_8equal_toIjEEEE10hipError_tPvRmT2_T3_mT4_T5_T6_T7_T8_P12ihipStream_tbENKUlT_T0_E_clISt17integral_constantIbLb0EES15_IbLb1EEEEDaS11_S12_EUlS11_E_NS1_11comp_targetILNS1_3genE8ELNS1_11target_archE1030ELNS1_3gpuE2ELNS1_3repE0EEENS1_30default_config_static_selectorELNS0_4arch9wavefront6targetE0EEEvT1_,comdat
.Lfunc_end984:
	.size	_ZN7rocprim17ROCPRIM_400000_NS6detail17trampoline_kernelINS0_14default_configENS1_29reduce_by_key_config_selectorIjtN6thrust23THRUST_200600_302600_NS4plusItEEEEZZNS1_33reduce_by_key_impl_wrapped_configILNS1_25lookback_scan_determinismE0ES3_S9_NS6_6detail15normal_iteratorINS6_10device_ptrIjEEEENSD_INSE_ItEEEENS6_16discard_iteratorINS6_11use_defaultEEESI_PmS8_NS6_8equal_toIjEEEE10hipError_tPvRmT2_T3_mT4_T5_T6_T7_T8_P12ihipStream_tbENKUlT_T0_E_clISt17integral_constantIbLb0EES15_IbLb1EEEEDaS11_S12_EUlS11_E_NS1_11comp_targetILNS1_3genE8ELNS1_11target_archE1030ELNS1_3gpuE2ELNS1_3repE0EEENS1_30default_config_static_selectorELNS0_4arch9wavefront6targetE0EEEvT1_, .Lfunc_end984-_ZN7rocprim17ROCPRIM_400000_NS6detail17trampoline_kernelINS0_14default_configENS1_29reduce_by_key_config_selectorIjtN6thrust23THRUST_200600_302600_NS4plusItEEEEZZNS1_33reduce_by_key_impl_wrapped_configILNS1_25lookback_scan_determinismE0ES3_S9_NS6_6detail15normal_iteratorINS6_10device_ptrIjEEEENSD_INSE_ItEEEENS6_16discard_iteratorINS6_11use_defaultEEESI_PmS8_NS6_8equal_toIjEEEE10hipError_tPvRmT2_T3_mT4_T5_T6_T7_T8_P12ihipStream_tbENKUlT_T0_E_clISt17integral_constantIbLb0EES15_IbLb1EEEEDaS11_S12_EUlS11_E_NS1_11comp_targetILNS1_3genE8ELNS1_11target_archE1030ELNS1_3gpuE2ELNS1_3repE0EEENS1_30default_config_static_selectorELNS0_4arch9wavefront6targetE0EEEvT1_
                                        ; -- End function
	.section	.AMDGPU.csdata,"",@progbits
; Kernel info:
; codeLenInByte = 0
; NumSgprs: 0
; NumVgprs: 0
; ScratchSize: 0
; MemoryBound: 0
; FloatMode: 240
; IeeeMode: 1
; LDSByteSize: 0 bytes/workgroup (compile time only)
; SGPRBlocks: 0
; VGPRBlocks: 0
; NumSGPRsForWavesPerEU: 1
; NumVGPRsForWavesPerEU: 1
; Occupancy: 16
; WaveLimiterHint : 0
; COMPUTE_PGM_RSRC2:SCRATCH_EN: 0
; COMPUTE_PGM_RSRC2:USER_SGPR: 15
; COMPUTE_PGM_RSRC2:TRAP_HANDLER: 0
; COMPUTE_PGM_RSRC2:TGID_X_EN: 1
; COMPUTE_PGM_RSRC2:TGID_Y_EN: 0
; COMPUTE_PGM_RSRC2:TGID_Z_EN: 0
; COMPUTE_PGM_RSRC2:TIDIG_COMP_CNT: 0
	.section	.text._ZN7rocprim17ROCPRIM_400000_NS6detail17trampoline_kernelINS0_14default_configENS1_29reduce_by_key_config_selectorIjxN6thrust23THRUST_200600_302600_NS4plusIxEEEEZZNS1_33reduce_by_key_impl_wrapped_configILNS1_25lookback_scan_determinismE0ES3_S9_NS6_6detail15normal_iteratorINS6_10device_ptrIjEEEENSD_INSE_IxEEEENS6_16discard_iteratorINS6_11use_defaultEEESI_PmS8_NS6_8equal_toIjEEEE10hipError_tPvRmT2_T3_mT4_T5_T6_T7_T8_P12ihipStream_tbENKUlT_T0_E_clISt17integral_constantIbLb0EES16_EEDaS11_S12_EUlS11_E_NS1_11comp_targetILNS1_3genE0ELNS1_11target_archE4294967295ELNS1_3gpuE0ELNS1_3repE0EEENS1_30default_config_static_selectorELNS0_4arch9wavefront6targetE0EEEvT1_,"axG",@progbits,_ZN7rocprim17ROCPRIM_400000_NS6detail17trampoline_kernelINS0_14default_configENS1_29reduce_by_key_config_selectorIjxN6thrust23THRUST_200600_302600_NS4plusIxEEEEZZNS1_33reduce_by_key_impl_wrapped_configILNS1_25lookback_scan_determinismE0ES3_S9_NS6_6detail15normal_iteratorINS6_10device_ptrIjEEEENSD_INSE_IxEEEENS6_16discard_iteratorINS6_11use_defaultEEESI_PmS8_NS6_8equal_toIjEEEE10hipError_tPvRmT2_T3_mT4_T5_T6_T7_T8_P12ihipStream_tbENKUlT_T0_E_clISt17integral_constantIbLb0EES16_EEDaS11_S12_EUlS11_E_NS1_11comp_targetILNS1_3genE0ELNS1_11target_archE4294967295ELNS1_3gpuE0ELNS1_3repE0EEENS1_30default_config_static_selectorELNS0_4arch9wavefront6targetE0EEEvT1_,comdat
	.protected	_ZN7rocprim17ROCPRIM_400000_NS6detail17trampoline_kernelINS0_14default_configENS1_29reduce_by_key_config_selectorIjxN6thrust23THRUST_200600_302600_NS4plusIxEEEEZZNS1_33reduce_by_key_impl_wrapped_configILNS1_25lookback_scan_determinismE0ES3_S9_NS6_6detail15normal_iteratorINS6_10device_ptrIjEEEENSD_INSE_IxEEEENS6_16discard_iteratorINS6_11use_defaultEEESI_PmS8_NS6_8equal_toIjEEEE10hipError_tPvRmT2_T3_mT4_T5_T6_T7_T8_P12ihipStream_tbENKUlT_T0_E_clISt17integral_constantIbLb0EES16_EEDaS11_S12_EUlS11_E_NS1_11comp_targetILNS1_3genE0ELNS1_11target_archE4294967295ELNS1_3gpuE0ELNS1_3repE0EEENS1_30default_config_static_selectorELNS0_4arch9wavefront6targetE0EEEvT1_ ; -- Begin function _ZN7rocprim17ROCPRIM_400000_NS6detail17trampoline_kernelINS0_14default_configENS1_29reduce_by_key_config_selectorIjxN6thrust23THRUST_200600_302600_NS4plusIxEEEEZZNS1_33reduce_by_key_impl_wrapped_configILNS1_25lookback_scan_determinismE0ES3_S9_NS6_6detail15normal_iteratorINS6_10device_ptrIjEEEENSD_INSE_IxEEEENS6_16discard_iteratorINS6_11use_defaultEEESI_PmS8_NS6_8equal_toIjEEEE10hipError_tPvRmT2_T3_mT4_T5_T6_T7_T8_P12ihipStream_tbENKUlT_T0_E_clISt17integral_constantIbLb0EES16_EEDaS11_S12_EUlS11_E_NS1_11comp_targetILNS1_3genE0ELNS1_11target_archE4294967295ELNS1_3gpuE0ELNS1_3repE0EEENS1_30default_config_static_selectorELNS0_4arch9wavefront6targetE0EEEvT1_
	.globl	_ZN7rocprim17ROCPRIM_400000_NS6detail17trampoline_kernelINS0_14default_configENS1_29reduce_by_key_config_selectorIjxN6thrust23THRUST_200600_302600_NS4plusIxEEEEZZNS1_33reduce_by_key_impl_wrapped_configILNS1_25lookback_scan_determinismE0ES3_S9_NS6_6detail15normal_iteratorINS6_10device_ptrIjEEEENSD_INSE_IxEEEENS6_16discard_iteratorINS6_11use_defaultEEESI_PmS8_NS6_8equal_toIjEEEE10hipError_tPvRmT2_T3_mT4_T5_T6_T7_T8_P12ihipStream_tbENKUlT_T0_E_clISt17integral_constantIbLb0EES16_EEDaS11_S12_EUlS11_E_NS1_11comp_targetILNS1_3genE0ELNS1_11target_archE4294967295ELNS1_3gpuE0ELNS1_3repE0EEENS1_30default_config_static_selectorELNS0_4arch9wavefront6targetE0EEEvT1_
	.p2align	8
	.type	_ZN7rocprim17ROCPRIM_400000_NS6detail17trampoline_kernelINS0_14default_configENS1_29reduce_by_key_config_selectorIjxN6thrust23THRUST_200600_302600_NS4plusIxEEEEZZNS1_33reduce_by_key_impl_wrapped_configILNS1_25lookback_scan_determinismE0ES3_S9_NS6_6detail15normal_iteratorINS6_10device_ptrIjEEEENSD_INSE_IxEEEENS6_16discard_iteratorINS6_11use_defaultEEESI_PmS8_NS6_8equal_toIjEEEE10hipError_tPvRmT2_T3_mT4_T5_T6_T7_T8_P12ihipStream_tbENKUlT_T0_E_clISt17integral_constantIbLb0EES16_EEDaS11_S12_EUlS11_E_NS1_11comp_targetILNS1_3genE0ELNS1_11target_archE4294967295ELNS1_3gpuE0ELNS1_3repE0EEENS1_30default_config_static_selectorELNS0_4arch9wavefront6targetE0EEEvT1_,@function
_ZN7rocprim17ROCPRIM_400000_NS6detail17trampoline_kernelINS0_14default_configENS1_29reduce_by_key_config_selectorIjxN6thrust23THRUST_200600_302600_NS4plusIxEEEEZZNS1_33reduce_by_key_impl_wrapped_configILNS1_25lookback_scan_determinismE0ES3_S9_NS6_6detail15normal_iteratorINS6_10device_ptrIjEEEENSD_INSE_IxEEEENS6_16discard_iteratorINS6_11use_defaultEEESI_PmS8_NS6_8equal_toIjEEEE10hipError_tPvRmT2_T3_mT4_T5_T6_T7_T8_P12ihipStream_tbENKUlT_T0_E_clISt17integral_constantIbLb0EES16_EEDaS11_S12_EUlS11_E_NS1_11comp_targetILNS1_3genE0ELNS1_11target_archE4294967295ELNS1_3gpuE0ELNS1_3repE0EEENS1_30default_config_static_selectorELNS0_4arch9wavefront6targetE0EEEvT1_: ; @_ZN7rocprim17ROCPRIM_400000_NS6detail17trampoline_kernelINS0_14default_configENS1_29reduce_by_key_config_selectorIjxN6thrust23THRUST_200600_302600_NS4plusIxEEEEZZNS1_33reduce_by_key_impl_wrapped_configILNS1_25lookback_scan_determinismE0ES3_S9_NS6_6detail15normal_iteratorINS6_10device_ptrIjEEEENSD_INSE_IxEEEENS6_16discard_iteratorINS6_11use_defaultEEESI_PmS8_NS6_8equal_toIjEEEE10hipError_tPvRmT2_T3_mT4_T5_T6_T7_T8_P12ihipStream_tbENKUlT_T0_E_clISt17integral_constantIbLb0EES16_EEDaS11_S12_EUlS11_E_NS1_11comp_targetILNS1_3genE0ELNS1_11target_archE4294967295ELNS1_3gpuE0ELNS1_3repE0EEENS1_30default_config_static_selectorELNS0_4arch9wavefront6targetE0EEEvT1_
; %bb.0:
	.section	.rodata,"a",@progbits
	.p2align	6, 0x0
	.amdhsa_kernel _ZN7rocprim17ROCPRIM_400000_NS6detail17trampoline_kernelINS0_14default_configENS1_29reduce_by_key_config_selectorIjxN6thrust23THRUST_200600_302600_NS4plusIxEEEEZZNS1_33reduce_by_key_impl_wrapped_configILNS1_25lookback_scan_determinismE0ES3_S9_NS6_6detail15normal_iteratorINS6_10device_ptrIjEEEENSD_INSE_IxEEEENS6_16discard_iteratorINS6_11use_defaultEEESI_PmS8_NS6_8equal_toIjEEEE10hipError_tPvRmT2_T3_mT4_T5_T6_T7_T8_P12ihipStream_tbENKUlT_T0_E_clISt17integral_constantIbLb0EES16_EEDaS11_S12_EUlS11_E_NS1_11comp_targetILNS1_3genE0ELNS1_11target_archE4294967295ELNS1_3gpuE0ELNS1_3repE0EEENS1_30default_config_static_selectorELNS0_4arch9wavefront6targetE0EEEvT1_
		.amdhsa_group_segment_fixed_size 0
		.amdhsa_private_segment_fixed_size 0
		.amdhsa_kernarg_size 144
		.amdhsa_user_sgpr_count 15
		.amdhsa_user_sgpr_dispatch_ptr 0
		.amdhsa_user_sgpr_queue_ptr 0
		.amdhsa_user_sgpr_kernarg_segment_ptr 1
		.amdhsa_user_sgpr_dispatch_id 0
		.amdhsa_user_sgpr_private_segment_size 0
		.amdhsa_wavefront_size32 1
		.amdhsa_uses_dynamic_stack 0
		.amdhsa_enable_private_segment 0
		.amdhsa_system_sgpr_workgroup_id_x 1
		.amdhsa_system_sgpr_workgroup_id_y 0
		.amdhsa_system_sgpr_workgroup_id_z 0
		.amdhsa_system_sgpr_workgroup_info 0
		.amdhsa_system_vgpr_workitem_id 0
		.amdhsa_next_free_vgpr 1
		.amdhsa_next_free_sgpr 1
		.amdhsa_reserve_vcc 0
		.amdhsa_float_round_mode_32 0
		.amdhsa_float_round_mode_16_64 0
		.amdhsa_float_denorm_mode_32 3
		.amdhsa_float_denorm_mode_16_64 3
		.amdhsa_dx10_clamp 1
		.amdhsa_ieee_mode 1
		.amdhsa_fp16_overflow 0
		.amdhsa_workgroup_processor_mode 1
		.amdhsa_memory_ordered 1
		.amdhsa_forward_progress 0
		.amdhsa_shared_vgpr_count 0
		.amdhsa_exception_fp_ieee_invalid_op 0
		.amdhsa_exception_fp_denorm_src 0
		.amdhsa_exception_fp_ieee_div_zero 0
		.amdhsa_exception_fp_ieee_overflow 0
		.amdhsa_exception_fp_ieee_underflow 0
		.amdhsa_exception_fp_ieee_inexact 0
		.amdhsa_exception_int_div_zero 0
	.end_amdhsa_kernel
	.section	.text._ZN7rocprim17ROCPRIM_400000_NS6detail17trampoline_kernelINS0_14default_configENS1_29reduce_by_key_config_selectorIjxN6thrust23THRUST_200600_302600_NS4plusIxEEEEZZNS1_33reduce_by_key_impl_wrapped_configILNS1_25lookback_scan_determinismE0ES3_S9_NS6_6detail15normal_iteratorINS6_10device_ptrIjEEEENSD_INSE_IxEEEENS6_16discard_iteratorINS6_11use_defaultEEESI_PmS8_NS6_8equal_toIjEEEE10hipError_tPvRmT2_T3_mT4_T5_T6_T7_T8_P12ihipStream_tbENKUlT_T0_E_clISt17integral_constantIbLb0EES16_EEDaS11_S12_EUlS11_E_NS1_11comp_targetILNS1_3genE0ELNS1_11target_archE4294967295ELNS1_3gpuE0ELNS1_3repE0EEENS1_30default_config_static_selectorELNS0_4arch9wavefront6targetE0EEEvT1_,"axG",@progbits,_ZN7rocprim17ROCPRIM_400000_NS6detail17trampoline_kernelINS0_14default_configENS1_29reduce_by_key_config_selectorIjxN6thrust23THRUST_200600_302600_NS4plusIxEEEEZZNS1_33reduce_by_key_impl_wrapped_configILNS1_25lookback_scan_determinismE0ES3_S9_NS6_6detail15normal_iteratorINS6_10device_ptrIjEEEENSD_INSE_IxEEEENS6_16discard_iteratorINS6_11use_defaultEEESI_PmS8_NS6_8equal_toIjEEEE10hipError_tPvRmT2_T3_mT4_T5_T6_T7_T8_P12ihipStream_tbENKUlT_T0_E_clISt17integral_constantIbLb0EES16_EEDaS11_S12_EUlS11_E_NS1_11comp_targetILNS1_3genE0ELNS1_11target_archE4294967295ELNS1_3gpuE0ELNS1_3repE0EEENS1_30default_config_static_selectorELNS0_4arch9wavefront6targetE0EEEvT1_,comdat
.Lfunc_end985:
	.size	_ZN7rocprim17ROCPRIM_400000_NS6detail17trampoline_kernelINS0_14default_configENS1_29reduce_by_key_config_selectorIjxN6thrust23THRUST_200600_302600_NS4plusIxEEEEZZNS1_33reduce_by_key_impl_wrapped_configILNS1_25lookback_scan_determinismE0ES3_S9_NS6_6detail15normal_iteratorINS6_10device_ptrIjEEEENSD_INSE_IxEEEENS6_16discard_iteratorINS6_11use_defaultEEESI_PmS8_NS6_8equal_toIjEEEE10hipError_tPvRmT2_T3_mT4_T5_T6_T7_T8_P12ihipStream_tbENKUlT_T0_E_clISt17integral_constantIbLb0EES16_EEDaS11_S12_EUlS11_E_NS1_11comp_targetILNS1_3genE0ELNS1_11target_archE4294967295ELNS1_3gpuE0ELNS1_3repE0EEENS1_30default_config_static_selectorELNS0_4arch9wavefront6targetE0EEEvT1_, .Lfunc_end985-_ZN7rocprim17ROCPRIM_400000_NS6detail17trampoline_kernelINS0_14default_configENS1_29reduce_by_key_config_selectorIjxN6thrust23THRUST_200600_302600_NS4plusIxEEEEZZNS1_33reduce_by_key_impl_wrapped_configILNS1_25lookback_scan_determinismE0ES3_S9_NS6_6detail15normal_iteratorINS6_10device_ptrIjEEEENSD_INSE_IxEEEENS6_16discard_iteratorINS6_11use_defaultEEESI_PmS8_NS6_8equal_toIjEEEE10hipError_tPvRmT2_T3_mT4_T5_T6_T7_T8_P12ihipStream_tbENKUlT_T0_E_clISt17integral_constantIbLb0EES16_EEDaS11_S12_EUlS11_E_NS1_11comp_targetILNS1_3genE0ELNS1_11target_archE4294967295ELNS1_3gpuE0ELNS1_3repE0EEENS1_30default_config_static_selectorELNS0_4arch9wavefront6targetE0EEEvT1_
                                        ; -- End function
	.section	.AMDGPU.csdata,"",@progbits
; Kernel info:
; codeLenInByte = 0
; NumSgprs: 0
; NumVgprs: 0
; ScratchSize: 0
; MemoryBound: 0
; FloatMode: 240
; IeeeMode: 1
; LDSByteSize: 0 bytes/workgroup (compile time only)
; SGPRBlocks: 0
; VGPRBlocks: 0
; NumSGPRsForWavesPerEU: 1
; NumVGPRsForWavesPerEU: 1
; Occupancy: 16
; WaveLimiterHint : 0
; COMPUTE_PGM_RSRC2:SCRATCH_EN: 0
; COMPUTE_PGM_RSRC2:USER_SGPR: 15
; COMPUTE_PGM_RSRC2:TRAP_HANDLER: 0
; COMPUTE_PGM_RSRC2:TGID_X_EN: 1
; COMPUTE_PGM_RSRC2:TGID_Y_EN: 0
; COMPUTE_PGM_RSRC2:TGID_Z_EN: 0
; COMPUTE_PGM_RSRC2:TIDIG_COMP_CNT: 0
	.section	.text._ZN7rocprim17ROCPRIM_400000_NS6detail17trampoline_kernelINS0_14default_configENS1_29reduce_by_key_config_selectorIjxN6thrust23THRUST_200600_302600_NS4plusIxEEEEZZNS1_33reduce_by_key_impl_wrapped_configILNS1_25lookback_scan_determinismE0ES3_S9_NS6_6detail15normal_iteratorINS6_10device_ptrIjEEEENSD_INSE_IxEEEENS6_16discard_iteratorINS6_11use_defaultEEESI_PmS8_NS6_8equal_toIjEEEE10hipError_tPvRmT2_T3_mT4_T5_T6_T7_T8_P12ihipStream_tbENKUlT_T0_E_clISt17integral_constantIbLb0EES16_EEDaS11_S12_EUlS11_E_NS1_11comp_targetILNS1_3genE5ELNS1_11target_archE942ELNS1_3gpuE9ELNS1_3repE0EEENS1_30default_config_static_selectorELNS0_4arch9wavefront6targetE0EEEvT1_,"axG",@progbits,_ZN7rocprim17ROCPRIM_400000_NS6detail17trampoline_kernelINS0_14default_configENS1_29reduce_by_key_config_selectorIjxN6thrust23THRUST_200600_302600_NS4plusIxEEEEZZNS1_33reduce_by_key_impl_wrapped_configILNS1_25lookback_scan_determinismE0ES3_S9_NS6_6detail15normal_iteratorINS6_10device_ptrIjEEEENSD_INSE_IxEEEENS6_16discard_iteratorINS6_11use_defaultEEESI_PmS8_NS6_8equal_toIjEEEE10hipError_tPvRmT2_T3_mT4_T5_T6_T7_T8_P12ihipStream_tbENKUlT_T0_E_clISt17integral_constantIbLb0EES16_EEDaS11_S12_EUlS11_E_NS1_11comp_targetILNS1_3genE5ELNS1_11target_archE942ELNS1_3gpuE9ELNS1_3repE0EEENS1_30default_config_static_selectorELNS0_4arch9wavefront6targetE0EEEvT1_,comdat
	.protected	_ZN7rocprim17ROCPRIM_400000_NS6detail17trampoline_kernelINS0_14default_configENS1_29reduce_by_key_config_selectorIjxN6thrust23THRUST_200600_302600_NS4plusIxEEEEZZNS1_33reduce_by_key_impl_wrapped_configILNS1_25lookback_scan_determinismE0ES3_S9_NS6_6detail15normal_iteratorINS6_10device_ptrIjEEEENSD_INSE_IxEEEENS6_16discard_iteratorINS6_11use_defaultEEESI_PmS8_NS6_8equal_toIjEEEE10hipError_tPvRmT2_T3_mT4_T5_T6_T7_T8_P12ihipStream_tbENKUlT_T0_E_clISt17integral_constantIbLb0EES16_EEDaS11_S12_EUlS11_E_NS1_11comp_targetILNS1_3genE5ELNS1_11target_archE942ELNS1_3gpuE9ELNS1_3repE0EEENS1_30default_config_static_selectorELNS0_4arch9wavefront6targetE0EEEvT1_ ; -- Begin function _ZN7rocprim17ROCPRIM_400000_NS6detail17trampoline_kernelINS0_14default_configENS1_29reduce_by_key_config_selectorIjxN6thrust23THRUST_200600_302600_NS4plusIxEEEEZZNS1_33reduce_by_key_impl_wrapped_configILNS1_25lookback_scan_determinismE0ES3_S9_NS6_6detail15normal_iteratorINS6_10device_ptrIjEEEENSD_INSE_IxEEEENS6_16discard_iteratorINS6_11use_defaultEEESI_PmS8_NS6_8equal_toIjEEEE10hipError_tPvRmT2_T3_mT4_T5_T6_T7_T8_P12ihipStream_tbENKUlT_T0_E_clISt17integral_constantIbLb0EES16_EEDaS11_S12_EUlS11_E_NS1_11comp_targetILNS1_3genE5ELNS1_11target_archE942ELNS1_3gpuE9ELNS1_3repE0EEENS1_30default_config_static_selectorELNS0_4arch9wavefront6targetE0EEEvT1_
	.globl	_ZN7rocprim17ROCPRIM_400000_NS6detail17trampoline_kernelINS0_14default_configENS1_29reduce_by_key_config_selectorIjxN6thrust23THRUST_200600_302600_NS4plusIxEEEEZZNS1_33reduce_by_key_impl_wrapped_configILNS1_25lookback_scan_determinismE0ES3_S9_NS6_6detail15normal_iteratorINS6_10device_ptrIjEEEENSD_INSE_IxEEEENS6_16discard_iteratorINS6_11use_defaultEEESI_PmS8_NS6_8equal_toIjEEEE10hipError_tPvRmT2_T3_mT4_T5_T6_T7_T8_P12ihipStream_tbENKUlT_T0_E_clISt17integral_constantIbLb0EES16_EEDaS11_S12_EUlS11_E_NS1_11comp_targetILNS1_3genE5ELNS1_11target_archE942ELNS1_3gpuE9ELNS1_3repE0EEENS1_30default_config_static_selectorELNS0_4arch9wavefront6targetE0EEEvT1_
	.p2align	8
	.type	_ZN7rocprim17ROCPRIM_400000_NS6detail17trampoline_kernelINS0_14default_configENS1_29reduce_by_key_config_selectorIjxN6thrust23THRUST_200600_302600_NS4plusIxEEEEZZNS1_33reduce_by_key_impl_wrapped_configILNS1_25lookback_scan_determinismE0ES3_S9_NS6_6detail15normal_iteratorINS6_10device_ptrIjEEEENSD_INSE_IxEEEENS6_16discard_iteratorINS6_11use_defaultEEESI_PmS8_NS6_8equal_toIjEEEE10hipError_tPvRmT2_T3_mT4_T5_T6_T7_T8_P12ihipStream_tbENKUlT_T0_E_clISt17integral_constantIbLb0EES16_EEDaS11_S12_EUlS11_E_NS1_11comp_targetILNS1_3genE5ELNS1_11target_archE942ELNS1_3gpuE9ELNS1_3repE0EEENS1_30default_config_static_selectorELNS0_4arch9wavefront6targetE0EEEvT1_,@function
_ZN7rocprim17ROCPRIM_400000_NS6detail17trampoline_kernelINS0_14default_configENS1_29reduce_by_key_config_selectorIjxN6thrust23THRUST_200600_302600_NS4plusIxEEEEZZNS1_33reduce_by_key_impl_wrapped_configILNS1_25lookback_scan_determinismE0ES3_S9_NS6_6detail15normal_iteratorINS6_10device_ptrIjEEEENSD_INSE_IxEEEENS6_16discard_iteratorINS6_11use_defaultEEESI_PmS8_NS6_8equal_toIjEEEE10hipError_tPvRmT2_T3_mT4_T5_T6_T7_T8_P12ihipStream_tbENKUlT_T0_E_clISt17integral_constantIbLb0EES16_EEDaS11_S12_EUlS11_E_NS1_11comp_targetILNS1_3genE5ELNS1_11target_archE942ELNS1_3gpuE9ELNS1_3repE0EEENS1_30default_config_static_selectorELNS0_4arch9wavefront6targetE0EEEvT1_: ; @_ZN7rocprim17ROCPRIM_400000_NS6detail17trampoline_kernelINS0_14default_configENS1_29reduce_by_key_config_selectorIjxN6thrust23THRUST_200600_302600_NS4plusIxEEEEZZNS1_33reduce_by_key_impl_wrapped_configILNS1_25lookback_scan_determinismE0ES3_S9_NS6_6detail15normal_iteratorINS6_10device_ptrIjEEEENSD_INSE_IxEEEENS6_16discard_iteratorINS6_11use_defaultEEESI_PmS8_NS6_8equal_toIjEEEE10hipError_tPvRmT2_T3_mT4_T5_T6_T7_T8_P12ihipStream_tbENKUlT_T0_E_clISt17integral_constantIbLb0EES16_EEDaS11_S12_EUlS11_E_NS1_11comp_targetILNS1_3genE5ELNS1_11target_archE942ELNS1_3gpuE9ELNS1_3repE0EEENS1_30default_config_static_selectorELNS0_4arch9wavefront6targetE0EEEvT1_
; %bb.0:
	.section	.rodata,"a",@progbits
	.p2align	6, 0x0
	.amdhsa_kernel _ZN7rocprim17ROCPRIM_400000_NS6detail17trampoline_kernelINS0_14default_configENS1_29reduce_by_key_config_selectorIjxN6thrust23THRUST_200600_302600_NS4plusIxEEEEZZNS1_33reduce_by_key_impl_wrapped_configILNS1_25lookback_scan_determinismE0ES3_S9_NS6_6detail15normal_iteratorINS6_10device_ptrIjEEEENSD_INSE_IxEEEENS6_16discard_iteratorINS6_11use_defaultEEESI_PmS8_NS6_8equal_toIjEEEE10hipError_tPvRmT2_T3_mT4_T5_T6_T7_T8_P12ihipStream_tbENKUlT_T0_E_clISt17integral_constantIbLb0EES16_EEDaS11_S12_EUlS11_E_NS1_11comp_targetILNS1_3genE5ELNS1_11target_archE942ELNS1_3gpuE9ELNS1_3repE0EEENS1_30default_config_static_selectorELNS0_4arch9wavefront6targetE0EEEvT1_
		.amdhsa_group_segment_fixed_size 0
		.amdhsa_private_segment_fixed_size 0
		.amdhsa_kernarg_size 144
		.amdhsa_user_sgpr_count 15
		.amdhsa_user_sgpr_dispatch_ptr 0
		.amdhsa_user_sgpr_queue_ptr 0
		.amdhsa_user_sgpr_kernarg_segment_ptr 1
		.amdhsa_user_sgpr_dispatch_id 0
		.amdhsa_user_sgpr_private_segment_size 0
		.amdhsa_wavefront_size32 1
		.amdhsa_uses_dynamic_stack 0
		.amdhsa_enable_private_segment 0
		.amdhsa_system_sgpr_workgroup_id_x 1
		.amdhsa_system_sgpr_workgroup_id_y 0
		.amdhsa_system_sgpr_workgroup_id_z 0
		.amdhsa_system_sgpr_workgroup_info 0
		.amdhsa_system_vgpr_workitem_id 0
		.amdhsa_next_free_vgpr 1
		.amdhsa_next_free_sgpr 1
		.amdhsa_reserve_vcc 0
		.amdhsa_float_round_mode_32 0
		.amdhsa_float_round_mode_16_64 0
		.amdhsa_float_denorm_mode_32 3
		.amdhsa_float_denorm_mode_16_64 3
		.amdhsa_dx10_clamp 1
		.amdhsa_ieee_mode 1
		.amdhsa_fp16_overflow 0
		.amdhsa_workgroup_processor_mode 1
		.amdhsa_memory_ordered 1
		.amdhsa_forward_progress 0
		.amdhsa_shared_vgpr_count 0
		.amdhsa_exception_fp_ieee_invalid_op 0
		.amdhsa_exception_fp_denorm_src 0
		.amdhsa_exception_fp_ieee_div_zero 0
		.amdhsa_exception_fp_ieee_overflow 0
		.amdhsa_exception_fp_ieee_underflow 0
		.amdhsa_exception_fp_ieee_inexact 0
		.amdhsa_exception_int_div_zero 0
	.end_amdhsa_kernel
	.section	.text._ZN7rocprim17ROCPRIM_400000_NS6detail17trampoline_kernelINS0_14default_configENS1_29reduce_by_key_config_selectorIjxN6thrust23THRUST_200600_302600_NS4plusIxEEEEZZNS1_33reduce_by_key_impl_wrapped_configILNS1_25lookback_scan_determinismE0ES3_S9_NS6_6detail15normal_iteratorINS6_10device_ptrIjEEEENSD_INSE_IxEEEENS6_16discard_iteratorINS6_11use_defaultEEESI_PmS8_NS6_8equal_toIjEEEE10hipError_tPvRmT2_T3_mT4_T5_T6_T7_T8_P12ihipStream_tbENKUlT_T0_E_clISt17integral_constantIbLb0EES16_EEDaS11_S12_EUlS11_E_NS1_11comp_targetILNS1_3genE5ELNS1_11target_archE942ELNS1_3gpuE9ELNS1_3repE0EEENS1_30default_config_static_selectorELNS0_4arch9wavefront6targetE0EEEvT1_,"axG",@progbits,_ZN7rocprim17ROCPRIM_400000_NS6detail17trampoline_kernelINS0_14default_configENS1_29reduce_by_key_config_selectorIjxN6thrust23THRUST_200600_302600_NS4plusIxEEEEZZNS1_33reduce_by_key_impl_wrapped_configILNS1_25lookback_scan_determinismE0ES3_S9_NS6_6detail15normal_iteratorINS6_10device_ptrIjEEEENSD_INSE_IxEEEENS6_16discard_iteratorINS6_11use_defaultEEESI_PmS8_NS6_8equal_toIjEEEE10hipError_tPvRmT2_T3_mT4_T5_T6_T7_T8_P12ihipStream_tbENKUlT_T0_E_clISt17integral_constantIbLb0EES16_EEDaS11_S12_EUlS11_E_NS1_11comp_targetILNS1_3genE5ELNS1_11target_archE942ELNS1_3gpuE9ELNS1_3repE0EEENS1_30default_config_static_selectorELNS0_4arch9wavefront6targetE0EEEvT1_,comdat
.Lfunc_end986:
	.size	_ZN7rocprim17ROCPRIM_400000_NS6detail17trampoline_kernelINS0_14default_configENS1_29reduce_by_key_config_selectorIjxN6thrust23THRUST_200600_302600_NS4plusIxEEEEZZNS1_33reduce_by_key_impl_wrapped_configILNS1_25lookback_scan_determinismE0ES3_S9_NS6_6detail15normal_iteratorINS6_10device_ptrIjEEEENSD_INSE_IxEEEENS6_16discard_iteratorINS6_11use_defaultEEESI_PmS8_NS6_8equal_toIjEEEE10hipError_tPvRmT2_T3_mT4_T5_T6_T7_T8_P12ihipStream_tbENKUlT_T0_E_clISt17integral_constantIbLb0EES16_EEDaS11_S12_EUlS11_E_NS1_11comp_targetILNS1_3genE5ELNS1_11target_archE942ELNS1_3gpuE9ELNS1_3repE0EEENS1_30default_config_static_selectorELNS0_4arch9wavefront6targetE0EEEvT1_, .Lfunc_end986-_ZN7rocprim17ROCPRIM_400000_NS6detail17trampoline_kernelINS0_14default_configENS1_29reduce_by_key_config_selectorIjxN6thrust23THRUST_200600_302600_NS4plusIxEEEEZZNS1_33reduce_by_key_impl_wrapped_configILNS1_25lookback_scan_determinismE0ES3_S9_NS6_6detail15normal_iteratorINS6_10device_ptrIjEEEENSD_INSE_IxEEEENS6_16discard_iteratorINS6_11use_defaultEEESI_PmS8_NS6_8equal_toIjEEEE10hipError_tPvRmT2_T3_mT4_T5_T6_T7_T8_P12ihipStream_tbENKUlT_T0_E_clISt17integral_constantIbLb0EES16_EEDaS11_S12_EUlS11_E_NS1_11comp_targetILNS1_3genE5ELNS1_11target_archE942ELNS1_3gpuE9ELNS1_3repE0EEENS1_30default_config_static_selectorELNS0_4arch9wavefront6targetE0EEEvT1_
                                        ; -- End function
	.section	.AMDGPU.csdata,"",@progbits
; Kernel info:
; codeLenInByte = 0
; NumSgprs: 0
; NumVgprs: 0
; ScratchSize: 0
; MemoryBound: 0
; FloatMode: 240
; IeeeMode: 1
; LDSByteSize: 0 bytes/workgroup (compile time only)
; SGPRBlocks: 0
; VGPRBlocks: 0
; NumSGPRsForWavesPerEU: 1
; NumVGPRsForWavesPerEU: 1
; Occupancy: 16
; WaveLimiterHint : 0
; COMPUTE_PGM_RSRC2:SCRATCH_EN: 0
; COMPUTE_PGM_RSRC2:USER_SGPR: 15
; COMPUTE_PGM_RSRC2:TRAP_HANDLER: 0
; COMPUTE_PGM_RSRC2:TGID_X_EN: 1
; COMPUTE_PGM_RSRC2:TGID_Y_EN: 0
; COMPUTE_PGM_RSRC2:TGID_Z_EN: 0
; COMPUTE_PGM_RSRC2:TIDIG_COMP_CNT: 0
	.section	.text._ZN7rocprim17ROCPRIM_400000_NS6detail17trampoline_kernelINS0_14default_configENS1_29reduce_by_key_config_selectorIjxN6thrust23THRUST_200600_302600_NS4plusIxEEEEZZNS1_33reduce_by_key_impl_wrapped_configILNS1_25lookback_scan_determinismE0ES3_S9_NS6_6detail15normal_iteratorINS6_10device_ptrIjEEEENSD_INSE_IxEEEENS6_16discard_iteratorINS6_11use_defaultEEESI_PmS8_NS6_8equal_toIjEEEE10hipError_tPvRmT2_T3_mT4_T5_T6_T7_T8_P12ihipStream_tbENKUlT_T0_E_clISt17integral_constantIbLb0EES16_EEDaS11_S12_EUlS11_E_NS1_11comp_targetILNS1_3genE4ELNS1_11target_archE910ELNS1_3gpuE8ELNS1_3repE0EEENS1_30default_config_static_selectorELNS0_4arch9wavefront6targetE0EEEvT1_,"axG",@progbits,_ZN7rocprim17ROCPRIM_400000_NS6detail17trampoline_kernelINS0_14default_configENS1_29reduce_by_key_config_selectorIjxN6thrust23THRUST_200600_302600_NS4plusIxEEEEZZNS1_33reduce_by_key_impl_wrapped_configILNS1_25lookback_scan_determinismE0ES3_S9_NS6_6detail15normal_iteratorINS6_10device_ptrIjEEEENSD_INSE_IxEEEENS6_16discard_iteratorINS6_11use_defaultEEESI_PmS8_NS6_8equal_toIjEEEE10hipError_tPvRmT2_T3_mT4_T5_T6_T7_T8_P12ihipStream_tbENKUlT_T0_E_clISt17integral_constantIbLb0EES16_EEDaS11_S12_EUlS11_E_NS1_11comp_targetILNS1_3genE4ELNS1_11target_archE910ELNS1_3gpuE8ELNS1_3repE0EEENS1_30default_config_static_selectorELNS0_4arch9wavefront6targetE0EEEvT1_,comdat
	.protected	_ZN7rocprim17ROCPRIM_400000_NS6detail17trampoline_kernelINS0_14default_configENS1_29reduce_by_key_config_selectorIjxN6thrust23THRUST_200600_302600_NS4plusIxEEEEZZNS1_33reduce_by_key_impl_wrapped_configILNS1_25lookback_scan_determinismE0ES3_S9_NS6_6detail15normal_iteratorINS6_10device_ptrIjEEEENSD_INSE_IxEEEENS6_16discard_iteratorINS6_11use_defaultEEESI_PmS8_NS6_8equal_toIjEEEE10hipError_tPvRmT2_T3_mT4_T5_T6_T7_T8_P12ihipStream_tbENKUlT_T0_E_clISt17integral_constantIbLb0EES16_EEDaS11_S12_EUlS11_E_NS1_11comp_targetILNS1_3genE4ELNS1_11target_archE910ELNS1_3gpuE8ELNS1_3repE0EEENS1_30default_config_static_selectorELNS0_4arch9wavefront6targetE0EEEvT1_ ; -- Begin function _ZN7rocprim17ROCPRIM_400000_NS6detail17trampoline_kernelINS0_14default_configENS1_29reduce_by_key_config_selectorIjxN6thrust23THRUST_200600_302600_NS4plusIxEEEEZZNS1_33reduce_by_key_impl_wrapped_configILNS1_25lookback_scan_determinismE0ES3_S9_NS6_6detail15normal_iteratorINS6_10device_ptrIjEEEENSD_INSE_IxEEEENS6_16discard_iteratorINS6_11use_defaultEEESI_PmS8_NS6_8equal_toIjEEEE10hipError_tPvRmT2_T3_mT4_T5_T6_T7_T8_P12ihipStream_tbENKUlT_T0_E_clISt17integral_constantIbLb0EES16_EEDaS11_S12_EUlS11_E_NS1_11comp_targetILNS1_3genE4ELNS1_11target_archE910ELNS1_3gpuE8ELNS1_3repE0EEENS1_30default_config_static_selectorELNS0_4arch9wavefront6targetE0EEEvT1_
	.globl	_ZN7rocprim17ROCPRIM_400000_NS6detail17trampoline_kernelINS0_14default_configENS1_29reduce_by_key_config_selectorIjxN6thrust23THRUST_200600_302600_NS4plusIxEEEEZZNS1_33reduce_by_key_impl_wrapped_configILNS1_25lookback_scan_determinismE0ES3_S9_NS6_6detail15normal_iteratorINS6_10device_ptrIjEEEENSD_INSE_IxEEEENS6_16discard_iteratorINS6_11use_defaultEEESI_PmS8_NS6_8equal_toIjEEEE10hipError_tPvRmT2_T3_mT4_T5_T6_T7_T8_P12ihipStream_tbENKUlT_T0_E_clISt17integral_constantIbLb0EES16_EEDaS11_S12_EUlS11_E_NS1_11comp_targetILNS1_3genE4ELNS1_11target_archE910ELNS1_3gpuE8ELNS1_3repE0EEENS1_30default_config_static_selectorELNS0_4arch9wavefront6targetE0EEEvT1_
	.p2align	8
	.type	_ZN7rocprim17ROCPRIM_400000_NS6detail17trampoline_kernelINS0_14default_configENS1_29reduce_by_key_config_selectorIjxN6thrust23THRUST_200600_302600_NS4plusIxEEEEZZNS1_33reduce_by_key_impl_wrapped_configILNS1_25lookback_scan_determinismE0ES3_S9_NS6_6detail15normal_iteratorINS6_10device_ptrIjEEEENSD_INSE_IxEEEENS6_16discard_iteratorINS6_11use_defaultEEESI_PmS8_NS6_8equal_toIjEEEE10hipError_tPvRmT2_T3_mT4_T5_T6_T7_T8_P12ihipStream_tbENKUlT_T0_E_clISt17integral_constantIbLb0EES16_EEDaS11_S12_EUlS11_E_NS1_11comp_targetILNS1_3genE4ELNS1_11target_archE910ELNS1_3gpuE8ELNS1_3repE0EEENS1_30default_config_static_selectorELNS0_4arch9wavefront6targetE0EEEvT1_,@function
_ZN7rocprim17ROCPRIM_400000_NS6detail17trampoline_kernelINS0_14default_configENS1_29reduce_by_key_config_selectorIjxN6thrust23THRUST_200600_302600_NS4plusIxEEEEZZNS1_33reduce_by_key_impl_wrapped_configILNS1_25lookback_scan_determinismE0ES3_S9_NS6_6detail15normal_iteratorINS6_10device_ptrIjEEEENSD_INSE_IxEEEENS6_16discard_iteratorINS6_11use_defaultEEESI_PmS8_NS6_8equal_toIjEEEE10hipError_tPvRmT2_T3_mT4_T5_T6_T7_T8_P12ihipStream_tbENKUlT_T0_E_clISt17integral_constantIbLb0EES16_EEDaS11_S12_EUlS11_E_NS1_11comp_targetILNS1_3genE4ELNS1_11target_archE910ELNS1_3gpuE8ELNS1_3repE0EEENS1_30default_config_static_selectorELNS0_4arch9wavefront6targetE0EEEvT1_: ; @_ZN7rocprim17ROCPRIM_400000_NS6detail17trampoline_kernelINS0_14default_configENS1_29reduce_by_key_config_selectorIjxN6thrust23THRUST_200600_302600_NS4plusIxEEEEZZNS1_33reduce_by_key_impl_wrapped_configILNS1_25lookback_scan_determinismE0ES3_S9_NS6_6detail15normal_iteratorINS6_10device_ptrIjEEEENSD_INSE_IxEEEENS6_16discard_iteratorINS6_11use_defaultEEESI_PmS8_NS6_8equal_toIjEEEE10hipError_tPvRmT2_T3_mT4_T5_T6_T7_T8_P12ihipStream_tbENKUlT_T0_E_clISt17integral_constantIbLb0EES16_EEDaS11_S12_EUlS11_E_NS1_11comp_targetILNS1_3genE4ELNS1_11target_archE910ELNS1_3gpuE8ELNS1_3repE0EEENS1_30default_config_static_selectorELNS0_4arch9wavefront6targetE0EEEvT1_
; %bb.0:
	.section	.rodata,"a",@progbits
	.p2align	6, 0x0
	.amdhsa_kernel _ZN7rocprim17ROCPRIM_400000_NS6detail17trampoline_kernelINS0_14default_configENS1_29reduce_by_key_config_selectorIjxN6thrust23THRUST_200600_302600_NS4plusIxEEEEZZNS1_33reduce_by_key_impl_wrapped_configILNS1_25lookback_scan_determinismE0ES3_S9_NS6_6detail15normal_iteratorINS6_10device_ptrIjEEEENSD_INSE_IxEEEENS6_16discard_iteratorINS6_11use_defaultEEESI_PmS8_NS6_8equal_toIjEEEE10hipError_tPvRmT2_T3_mT4_T5_T6_T7_T8_P12ihipStream_tbENKUlT_T0_E_clISt17integral_constantIbLb0EES16_EEDaS11_S12_EUlS11_E_NS1_11comp_targetILNS1_3genE4ELNS1_11target_archE910ELNS1_3gpuE8ELNS1_3repE0EEENS1_30default_config_static_selectorELNS0_4arch9wavefront6targetE0EEEvT1_
		.amdhsa_group_segment_fixed_size 0
		.amdhsa_private_segment_fixed_size 0
		.amdhsa_kernarg_size 144
		.amdhsa_user_sgpr_count 15
		.amdhsa_user_sgpr_dispatch_ptr 0
		.amdhsa_user_sgpr_queue_ptr 0
		.amdhsa_user_sgpr_kernarg_segment_ptr 1
		.amdhsa_user_sgpr_dispatch_id 0
		.amdhsa_user_sgpr_private_segment_size 0
		.amdhsa_wavefront_size32 1
		.amdhsa_uses_dynamic_stack 0
		.amdhsa_enable_private_segment 0
		.amdhsa_system_sgpr_workgroup_id_x 1
		.amdhsa_system_sgpr_workgroup_id_y 0
		.amdhsa_system_sgpr_workgroup_id_z 0
		.amdhsa_system_sgpr_workgroup_info 0
		.amdhsa_system_vgpr_workitem_id 0
		.amdhsa_next_free_vgpr 1
		.amdhsa_next_free_sgpr 1
		.amdhsa_reserve_vcc 0
		.amdhsa_float_round_mode_32 0
		.amdhsa_float_round_mode_16_64 0
		.amdhsa_float_denorm_mode_32 3
		.amdhsa_float_denorm_mode_16_64 3
		.amdhsa_dx10_clamp 1
		.amdhsa_ieee_mode 1
		.amdhsa_fp16_overflow 0
		.amdhsa_workgroup_processor_mode 1
		.amdhsa_memory_ordered 1
		.amdhsa_forward_progress 0
		.amdhsa_shared_vgpr_count 0
		.amdhsa_exception_fp_ieee_invalid_op 0
		.amdhsa_exception_fp_denorm_src 0
		.amdhsa_exception_fp_ieee_div_zero 0
		.amdhsa_exception_fp_ieee_overflow 0
		.amdhsa_exception_fp_ieee_underflow 0
		.amdhsa_exception_fp_ieee_inexact 0
		.amdhsa_exception_int_div_zero 0
	.end_amdhsa_kernel
	.section	.text._ZN7rocprim17ROCPRIM_400000_NS6detail17trampoline_kernelINS0_14default_configENS1_29reduce_by_key_config_selectorIjxN6thrust23THRUST_200600_302600_NS4plusIxEEEEZZNS1_33reduce_by_key_impl_wrapped_configILNS1_25lookback_scan_determinismE0ES3_S9_NS6_6detail15normal_iteratorINS6_10device_ptrIjEEEENSD_INSE_IxEEEENS6_16discard_iteratorINS6_11use_defaultEEESI_PmS8_NS6_8equal_toIjEEEE10hipError_tPvRmT2_T3_mT4_T5_T6_T7_T8_P12ihipStream_tbENKUlT_T0_E_clISt17integral_constantIbLb0EES16_EEDaS11_S12_EUlS11_E_NS1_11comp_targetILNS1_3genE4ELNS1_11target_archE910ELNS1_3gpuE8ELNS1_3repE0EEENS1_30default_config_static_selectorELNS0_4arch9wavefront6targetE0EEEvT1_,"axG",@progbits,_ZN7rocprim17ROCPRIM_400000_NS6detail17trampoline_kernelINS0_14default_configENS1_29reduce_by_key_config_selectorIjxN6thrust23THRUST_200600_302600_NS4plusIxEEEEZZNS1_33reduce_by_key_impl_wrapped_configILNS1_25lookback_scan_determinismE0ES3_S9_NS6_6detail15normal_iteratorINS6_10device_ptrIjEEEENSD_INSE_IxEEEENS6_16discard_iteratorINS6_11use_defaultEEESI_PmS8_NS6_8equal_toIjEEEE10hipError_tPvRmT2_T3_mT4_T5_T6_T7_T8_P12ihipStream_tbENKUlT_T0_E_clISt17integral_constantIbLb0EES16_EEDaS11_S12_EUlS11_E_NS1_11comp_targetILNS1_3genE4ELNS1_11target_archE910ELNS1_3gpuE8ELNS1_3repE0EEENS1_30default_config_static_selectorELNS0_4arch9wavefront6targetE0EEEvT1_,comdat
.Lfunc_end987:
	.size	_ZN7rocprim17ROCPRIM_400000_NS6detail17trampoline_kernelINS0_14default_configENS1_29reduce_by_key_config_selectorIjxN6thrust23THRUST_200600_302600_NS4plusIxEEEEZZNS1_33reduce_by_key_impl_wrapped_configILNS1_25lookback_scan_determinismE0ES3_S9_NS6_6detail15normal_iteratorINS6_10device_ptrIjEEEENSD_INSE_IxEEEENS6_16discard_iteratorINS6_11use_defaultEEESI_PmS8_NS6_8equal_toIjEEEE10hipError_tPvRmT2_T3_mT4_T5_T6_T7_T8_P12ihipStream_tbENKUlT_T0_E_clISt17integral_constantIbLb0EES16_EEDaS11_S12_EUlS11_E_NS1_11comp_targetILNS1_3genE4ELNS1_11target_archE910ELNS1_3gpuE8ELNS1_3repE0EEENS1_30default_config_static_selectorELNS0_4arch9wavefront6targetE0EEEvT1_, .Lfunc_end987-_ZN7rocprim17ROCPRIM_400000_NS6detail17trampoline_kernelINS0_14default_configENS1_29reduce_by_key_config_selectorIjxN6thrust23THRUST_200600_302600_NS4plusIxEEEEZZNS1_33reduce_by_key_impl_wrapped_configILNS1_25lookback_scan_determinismE0ES3_S9_NS6_6detail15normal_iteratorINS6_10device_ptrIjEEEENSD_INSE_IxEEEENS6_16discard_iteratorINS6_11use_defaultEEESI_PmS8_NS6_8equal_toIjEEEE10hipError_tPvRmT2_T3_mT4_T5_T6_T7_T8_P12ihipStream_tbENKUlT_T0_E_clISt17integral_constantIbLb0EES16_EEDaS11_S12_EUlS11_E_NS1_11comp_targetILNS1_3genE4ELNS1_11target_archE910ELNS1_3gpuE8ELNS1_3repE0EEENS1_30default_config_static_selectorELNS0_4arch9wavefront6targetE0EEEvT1_
                                        ; -- End function
	.section	.AMDGPU.csdata,"",@progbits
; Kernel info:
; codeLenInByte = 0
; NumSgprs: 0
; NumVgprs: 0
; ScratchSize: 0
; MemoryBound: 0
; FloatMode: 240
; IeeeMode: 1
; LDSByteSize: 0 bytes/workgroup (compile time only)
; SGPRBlocks: 0
; VGPRBlocks: 0
; NumSGPRsForWavesPerEU: 1
; NumVGPRsForWavesPerEU: 1
; Occupancy: 16
; WaveLimiterHint : 0
; COMPUTE_PGM_RSRC2:SCRATCH_EN: 0
; COMPUTE_PGM_RSRC2:USER_SGPR: 15
; COMPUTE_PGM_RSRC2:TRAP_HANDLER: 0
; COMPUTE_PGM_RSRC2:TGID_X_EN: 1
; COMPUTE_PGM_RSRC2:TGID_Y_EN: 0
; COMPUTE_PGM_RSRC2:TGID_Z_EN: 0
; COMPUTE_PGM_RSRC2:TIDIG_COMP_CNT: 0
	.section	.text._ZN7rocprim17ROCPRIM_400000_NS6detail17trampoline_kernelINS0_14default_configENS1_29reduce_by_key_config_selectorIjxN6thrust23THRUST_200600_302600_NS4plusIxEEEEZZNS1_33reduce_by_key_impl_wrapped_configILNS1_25lookback_scan_determinismE0ES3_S9_NS6_6detail15normal_iteratorINS6_10device_ptrIjEEEENSD_INSE_IxEEEENS6_16discard_iteratorINS6_11use_defaultEEESI_PmS8_NS6_8equal_toIjEEEE10hipError_tPvRmT2_T3_mT4_T5_T6_T7_T8_P12ihipStream_tbENKUlT_T0_E_clISt17integral_constantIbLb0EES16_EEDaS11_S12_EUlS11_E_NS1_11comp_targetILNS1_3genE3ELNS1_11target_archE908ELNS1_3gpuE7ELNS1_3repE0EEENS1_30default_config_static_selectorELNS0_4arch9wavefront6targetE0EEEvT1_,"axG",@progbits,_ZN7rocprim17ROCPRIM_400000_NS6detail17trampoline_kernelINS0_14default_configENS1_29reduce_by_key_config_selectorIjxN6thrust23THRUST_200600_302600_NS4plusIxEEEEZZNS1_33reduce_by_key_impl_wrapped_configILNS1_25lookback_scan_determinismE0ES3_S9_NS6_6detail15normal_iteratorINS6_10device_ptrIjEEEENSD_INSE_IxEEEENS6_16discard_iteratorINS6_11use_defaultEEESI_PmS8_NS6_8equal_toIjEEEE10hipError_tPvRmT2_T3_mT4_T5_T6_T7_T8_P12ihipStream_tbENKUlT_T0_E_clISt17integral_constantIbLb0EES16_EEDaS11_S12_EUlS11_E_NS1_11comp_targetILNS1_3genE3ELNS1_11target_archE908ELNS1_3gpuE7ELNS1_3repE0EEENS1_30default_config_static_selectorELNS0_4arch9wavefront6targetE0EEEvT1_,comdat
	.protected	_ZN7rocprim17ROCPRIM_400000_NS6detail17trampoline_kernelINS0_14default_configENS1_29reduce_by_key_config_selectorIjxN6thrust23THRUST_200600_302600_NS4plusIxEEEEZZNS1_33reduce_by_key_impl_wrapped_configILNS1_25lookback_scan_determinismE0ES3_S9_NS6_6detail15normal_iteratorINS6_10device_ptrIjEEEENSD_INSE_IxEEEENS6_16discard_iteratorINS6_11use_defaultEEESI_PmS8_NS6_8equal_toIjEEEE10hipError_tPvRmT2_T3_mT4_T5_T6_T7_T8_P12ihipStream_tbENKUlT_T0_E_clISt17integral_constantIbLb0EES16_EEDaS11_S12_EUlS11_E_NS1_11comp_targetILNS1_3genE3ELNS1_11target_archE908ELNS1_3gpuE7ELNS1_3repE0EEENS1_30default_config_static_selectorELNS0_4arch9wavefront6targetE0EEEvT1_ ; -- Begin function _ZN7rocprim17ROCPRIM_400000_NS6detail17trampoline_kernelINS0_14default_configENS1_29reduce_by_key_config_selectorIjxN6thrust23THRUST_200600_302600_NS4plusIxEEEEZZNS1_33reduce_by_key_impl_wrapped_configILNS1_25lookback_scan_determinismE0ES3_S9_NS6_6detail15normal_iteratorINS6_10device_ptrIjEEEENSD_INSE_IxEEEENS6_16discard_iteratorINS6_11use_defaultEEESI_PmS8_NS6_8equal_toIjEEEE10hipError_tPvRmT2_T3_mT4_T5_T6_T7_T8_P12ihipStream_tbENKUlT_T0_E_clISt17integral_constantIbLb0EES16_EEDaS11_S12_EUlS11_E_NS1_11comp_targetILNS1_3genE3ELNS1_11target_archE908ELNS1_3gpuE7ELNS1_3repE0EEENS1_30default_config_static_selectorELNS0_4arch9wavefront6targetE0EEEvT1_
	.globl	_ZN7rocprim17ROCPRIM_400000_NS6detail17trampoline_kernelINS0_14default_configENS1_29reduce_by_key_config_selectorIjxN6thrust23THRUST_200600_302600_NS4plusIxEEEEZZNS1_33reduce_by_key_impl_wrapped_configILNS1_25lookback_scan_determinismE0ES3_S9_NS6_6detail15normal_iteratorINS6_10device_ptrIjEEEENSD_INSE_IxEEEENS6_16discard_iteratorINS6_11use_defaultEEESI_PmS8_NS6_8equal_toIjEEEE10hipError_tPvRmT2_T3_mT4_T5_T6_T7_T8_P12ihipStream_tbENKUlT_T0_E_clISt17integral_constantIbLb0EES16_EEDaS11_S12_EUlS11_E_NS1_11comp_targetILNS1_3genE3ELNS1_11target_archE908ELNS1_3gpuE7ELNS1_3repE0EEENS1_30default_config_static_selectorELNS0_4arch9wavefront6targetE0EEEvT1_
	.p2align	8
	.type	_ZN7rocprim17ROCPRIM_400000_NS6detail17trampoline_kernelINS0_14default_configENS1_29reduce_by_key_config_selectorIjxN6thrust23THRUST_200600_302600_NS4plusIxEEEEZZNS1_33reduce_by_key_impl_wrapped_configILNS1_25lookback_scan_determinismE0ES3_S9_NS6_6detail15normal_iteratorINS6_10device_ptrIjEEEENSD_INSE_IxEEEENS6_16discard_iteratorINS6_11use_defaultEEESI_PmS8_NS6_8equal_toIjEEEE10hipError_tPvRmT2_T3_mT4_T5_T6_T7_T8_P12ihipStream_tbENKUlT_T0_E_clISt17integral_constantIbLb0EES16_EEDaS11_S12_EUlS11_E_NS1_11comp_targetILNS1_3genE3ELNS1_11target_archE908ELNS1_3gpuE7ELNS1_3repE0EEENS1_30default_config_static_selectorELNS0_4arch9wavefront6targetE0EEEvT1_,@function
_ZN7rocprim17ROCPRIM_400000_NS6detail17trampoline_kernelINS0_14default_configENS1_29reduce_by_key_config_selectorIjxN6thrust23THRUST_200600_302600_NS4plusIxEEEEZZNS1_33reduce_by_key_impl_wrapped_configILNS1_25lookback_scan_determinismE0ES3_S9_NS6_6detail15normal_iteratorINS6_10device_ptrIjEEEENSD_INSE_IxEEEENS6_16discard_iteratorINS6_11use_defaultEEESI_PmS8_NS6_8equal_toIjEEEE10hipError_tPvRmT2_T3_mT4_T5_T6_T7_T8_P12ihipStream_tbENKUlT_T0_E_clISt17integral_constantIbLb0EES16_EEDaS11_S12_EUlS11_E_NS1_11comp_targetILNS1_3genE3ELNS1_11target_archE908ELNS1_3gpuE7ELNS1_3repE0EEENS1_30default_config_static_selectorELNS0_4arch9wavefront6targetE0EEEvT1_: ; @_ZN7rocprim17ROCPRIM_400000_NS6detail17trampoline_kernelINS0_14default_configENS1_29reduce_by_key_config_selectorIjxN6thrust23THRUST_200600_302600_NS4plusIxEEEEZZNS1_33reduce_by_key_impl_wrapped_configILNS1_25lookback_scan_determinismE0ES3_S9_NS6_6detail15normal_iteratorINS6_10device_ptrIjEEEENSD_INSE_IxEEEENS6_16discard_iteratorINS6_11use_defaultEEESI_PmS8_NS6_8equal_toIjEEEE10hipError_tPvRmT2_T3_mT4_T5_T6_T7_T8_P12ihipStream_tbENKUlT_T0_E_clISt17integral_constantIbLb0EES16_EEDaS11_S12_EUlS11_E_NS1_11comp_targetILNS1_3genE3ELNS1_11target_archE908ELNS1_3gpuE7ELNS1_3repE0EEENS1_30default_config_static_selectorELNS0_4arch9wavefront6targetE0EEEvT1_
; %bb.0:
	.section	.rodata,"a",@progbits
	.p2align	6, 0x0
	.amdhsa_kernel _ZN7rocprim17ROCPRIM_400000_NS6detail17trampoline_kernelINS0_14default_configENS1_29reduce_by_key_config_selectorIjxN6thrust23THRUST_200600_302600_NS4plusIxEEEEZZNS1_33reduce_by_key_impl_wrapped_configILNS1_25lookback_scan_determinismE0ES3_S9_NS6_6detail15normal_iteratorINS6_10device_ptrIjEEEENSD_INSE_IxEEEENS6_16discard_iteratorINS6_11use_defaultEEESI_PmS8_NS6_8equal_toIjEEEE10hipError_tPvRmT2_T3_mT4_T5_T6_T7_T8_P12ihipStream_tbENKUlT_T0_E_clISt17integral_constantIbLb0EES16_EEDaS11_S12_EUlS11_E_NS1_11comp_targetILNS1_3genE3ELNS1_11target_archE908ELNS1_3gpuE7ELNS1_3repE0EEENS1_30default_config_static_selectorELNS0_4arch9wavefront6targetE0EEEvT1_
		.amdhsa_group_segment_fixed_size 0
		.amdhsa_private_segment_fixed_size 0
		.amdhsa_kernarg_size 144
		.amdhsa_user_sgpr_count 15
		.amdhsa_user_sgpr_dispatch_ptr 0
		.amdhsa_user_sgpr_queue_ptr 0
		.amdhsa_user_sgpr_kernarg_segment_ptr 1
		.amdhsa_user_sgpr_dispatch_id 0
		.amdhsa_user_sgpr_private_segment_size 0
		.amdhsa_wavefront_size32 1
		.amdhsa_uses_dynamic_stack 0
		.amdhsa_enable_private_segment 0
		.amdhsa_system_sgpr_workgroup_id_x 1
		.amdhsa_system_sgpr_workgroup_id_y 0
		.amdhsa_system_sgpr_workgroup_id_z 0
		.amdhsa_system_sgpr_workgroup_info 0
		.amdhsa_system_vgpr_workitem_id 0
		.amdhsa_next_free_vgpr 1
		.amdhsa_next_free_sgpr 1
		.amdhsa_reserve_vcc 0
		.amdhsa_float_round_mode_32 0
		.amdhsa_float_round_mode_16_64 0
		.amdhsa_float_denorm_mode_32 3
		.amdhsa_float_denorm_mode_16_64 3
		.amdhsa_dx10_clamp 1
		.amdhsa_ieee_mode 1
		.amdhsa_fp16_overflow 0
		.amdhsa_workgroup_processor_mode 1
		.amdhsa_memory_ordered 1
		.amdhsa_forward_progress 0
		.amdhsa_shared_vgpr_count 0
		.amdhsa_exception_fp_ieee_invalid_op 0
		.amdhsa_exception_fp_denorm_src 0
		.amdhsa_exception_fp_ieee_div_zero 0
		.amdhsa_exception_fp_ieee_overflow 0
		.amdhsa_exception_fp_ieee_underflow 0
		.amdhsa_exception_fp_ieee_inexact 0
		.amdhsa_exception_int_div_zero 0
	.end_amdhsa_kernel
	.section	.text._ZN7rocprim17ROCPRIM_400000_NS6detail17trampoline_kernelINS0_14default_configENS1_29reduce_by_key_config_selectorIjxN6thrust23THRUST_200600_302600_NS4plusIxEEEEZZNS1_33reduce_by_key_impl_wrapped_configILNS1_25lookback_scan_determinismE0ES3_S9_NS6_6detail15normal_iteratorINS6_10device_ptrIjEEEENSD_INSE_IxEEEENS6_16discard_iteratorINS6_11use_defaultEEESI_PmS8_NS6_8equal_toIjEEEE10hipError_tPvRmT2_T3_mT4_T5_T6_T7_T8_P12ihipStream_tbENKUlT_T0_E_clISt17integral_constantIbLb0EES16_EEDaS11_S12_EUlS11_E_NS1_11comp_targetILNS1_3genE3ELNS1_11target_archE908ELNS1_3gpuE7ELNS1_3repE0EEENS1_30default_config_static_selectorELNS0_4arch9wavefront6targetE0EEEvT1_,"axG",@progbits,_ZN7rocprim17ROCPRIM_400000_NS6detail17trampoline_kernelINS0_14default_configENS1_29reduce_by_key_config_selectorIjxN6thrust23THRUST_200600_302600_NS4plusIxEEEEZZNS1_33reduce_by_key_impl_wrapped_configILNS1_25lookback_scan_determinismE0ES3_S9_NS6_6detail15normal_iteratorINS6_10device_ptrIjEEEENSD_INSE_IxEEEENS6_16discard_iteratorINS6_11use_defaultEEESI_PmS8_NS6_8equal_toIjEEEE10hipError_tPvRmT2_T3_mT4_T5_T6_T7_T8_P12ihipStream_tbENKUlT_T0_E_clISt17integral_constantIbLb0EES16_EEDaS11_S12_EUlS11_E_NS1_11comp_targetILNS1_3genE3ELNS1_11target_archE908ELNS1_3gpuE7ELNS1_3repE0EEENS1_30default_config_static_selectorELNS0_4arch9wavefront6targetE0EEEvT1_,comdat
.Lfunc_end988:
	.size	_ZN7rocprim17ROCPRIM_400000_NS6detail17trampoline_kernelINS0_14default_configENS1_29reduce_by_key_config_selectorIjxN6thrust23THRUST_200600_302600_NS4plusIxEEEEZZNS1_33reduce_by_key_impl_wrapped_configILNS1_25lookback_scan_determinismE0ES3_S9_NS6_6detail15normal_iteratorINS6_10device_ptrIjEEEENSD_INSE_IxEEEENS6_16discard_iteratorINS6_11use_defaultEEESI_PmS8_NS6_8equal_toIjEEEE10hipError_tPvRmT2_T3_mT4_T5_T6_T7_T8_P12ihipStream_tbENKUlT_T0_E_clISt17integral_constantIbLb0EES16_EEDaS11_S12_EUlS11_E_NS1_11comp_targetILNS1_3genE3ELNS1_11target_archE908ELNS1_3gpuE7ELNS1_3repE0EEENS1_30default_config_static_selectorELNS0_4arch9wavefront6targetE0EEEvT1_, .Lfunc_end988-_ZN7rocprim17ROCPRIM_400000_NS6detail17trampoline_kernelINS0_14default_configENS1_29reduce_by_key_config_selectorIjxN6thrust23THRUST_200600_302600_NS4plusIxEEEEZZNS1_33reduce_by_key_impl_wrapped_configILNS1_25lookback_scan_determinismE0ES3_S9_NS6_6detail15normal_iteratorINS6_10device_ptrIjEEEENSD_INSE_IxEEEENS6_16discard_iteratorINS6_11use_defaultEEESI_PmS8_NS6_8equal_toIjEEEE10hipError_tPvRmT2_T3_mT4_T5_T6_T7_T8_P12ihipStream_tbENKUlT_T0_E_clISt17integral_constantIbLb0EES16_EEDaS11_S12_EUlS11_E_NS1_11comp_targetILNS1_3genE3ELNS1_11target_archE908ELNS1_3gpuE7ELNS1_3repE0EEENS1_30default_config_static_selectorELNS0_4arch9wavefront6targetE0EEEvT1_
                                        ; -- End function
	.section	.AMDGPU.csdata,"",@progbits
; Kernel info:
; codeLenInByte = 0
; NumSgprs: 0
; NumVgprs: 0
; ScratchSize: 0
; MemoryBound: 0
; FloatMode: 240
; IeeeMode: 1
; LDSByteSize: 0 bytes/workgroup (compile time only)
; SGPRBlocks: 0
; VGPRBlocks: 0
; NumSGPRsForWavesPerEU: 1
; NumVGPRsForWavesPerEU: 1
; Occupancy: 16
; WaveLimiterHint : 0
; COMPUTE_PGM_RSRC2:SCRATCH_EN: 0
; COMPUTE_PGM_RSRC2:USER_SGPR: 15
; COMPUTE_PGM_RSRC2:TRAP_HANDLER: 0
; COMPUTE_PGM_RSRC2:TGID_X_EN: 1
; COMPUTE_PGM_RSRC2:TGID_Y_EN: 0
; COMPUTE_PGM_RSRC2:TGID_Z_EN: 0
; COMPUTE_PGM_RSRC2:TIDIG_COMP_CNT: 0
	.section	.text._ZN7rocprim17ROCPRIM_400000_NS6detail17trampoline_kernelINS0_14default_configENS1_29reduce_by_key_config_selectorIjxN6thrust23THRUST_200600_302600_NS4plusIxEEEEZZNS1_33reduce_by_key_impl_wrapped_configILNS1_25lookback_scan_determinismE0ES3_S9_NS6_6detail15normal_iteratorINS6_10device_ptrIjEEEENSD_INSE_IxEEEENS6_16discard_iteratorINS6_11use_defaultEEESI_PmS8_NS6_8equal_toIjEEEE10hipError_tPvRmT2_T3_mT4_T5_T6_T7_T8_P12ihipStream_tbENKUlT_T0_E_clISt17integral_constantIbLb0EES16_EEDaS11_S12_EUlS11_E_NS1_11comp_targetILNS1_3genE2ELNS1_11target_archE906ELNS1_3gpuE6ELNS1_3repE0EEENS1_30default_config_static_selectorELNS0_4arch9wavefront6targetE0EEEvT1_,"axG",@progbits,_ZN7rocprim17ROCPRIM_400000_NS6detail17trampoline_kernelINS0_14default_configENS1_29reduce_by_key_config_selectorIjxN6thrust23THRUST_200600_302600_NS4plusIxEEEEZZNS1_33reduce_by_key_impl_wrapped_configILNS1_25lookback_scan_determinismE0ES3_S9_NS6_6detail15normal_iteratorINS6_10device_ptrIjEEEENSD_INSE_IxEEEENS6_16discard_iteratorINS6_11use_defaultEEESI_PmS8_NS6_8equal_toIjEEEE10hipError_tPvRmT2_T3_mT4_T5_T6_T7_T8_P12ihipStream_tbENKUlT_T0_E_clISt17integral_constantIbLb0EES16_EEDaS11_S12_EUlS11_E_NS1_11comp_targetILNS1_3genE2ELNS1_11target_archE906ELNS1_3gpuE6ELNS1_3repE0EEENS1_30default_config_static_selectorELNS0_4arch9wavefront6targetE0EEEvT1_,comdat
	.protected	_ZN7rocprim17ROCPRIM_400000_NS6detail17trampoline_kernelINS0_14default_configENS1_29reduce_by_key_config_selectorIjxN6thrust23THRUST_200600_302600_NS4plusIxEEEEZZNS1_33reduce_by_key_impl_wrapped_configILNS1_25lookback_scan_determinismE0ES3_S9_NS6_6detail15normal_iteratorINS6_10device_ptrIjEEEENSD_INSE_IxEEEENS6_16discard_iteratorINS6_11use_defaultEEESI_PmS8_NS6_8equal_toIjEEEE10hipError_tPvRmT2_T3_mT4_T5_T6_T7_T8_P12ihipStream_tbENKUlT_T0_E_clISt17integral_constantIbLb0EES16_EEDaS11_S12_EUlS11_E_NS1_11comp_targetILNS1_3genE2ELNS1_11target_archE906ELNS1_3gpuE6ELNS1_3repE0EEENS1_30default_config_static_selectorELNS0_4arch9wavefront6targetE0EEEvT1_ ; -- Begin function _ZN7rocprim17ROCPRIM_400000_NS6detail17trampoline_kernelINS0_14default_configENS1_29reduce_by_key_config_selectorIjxN6thrust23THRUST_200600_302600_NS4plusIxEEEEZZNS1_33reduce_by_key_impl_wrapped_configILNS1_25lookback_scan_determinismE0ES3_S9_NS6_6detail15normal_iteratorINS6_10device_ptrIjEEEENSD_INSE_IxEEEENS6_16discard_iteratorINS6_11use_defaultEEESI_PmS8_NS6_8equal_toIjEEEE10hipError_tPvRmT2_T3_mT4_T5_T6_T7_T8_P12ihipStream_tbENKUlT_T0_E_clISt17integral_constantIbLb0EES16_EEDaS11_S12_EUlS11_E_NS1_11comp_targetILNS1_3genE2ELNS1_11target_archE906ELNS1_3gpuE6ELNS1_3repE0EEENS1_30default_config_static_selectorELNS0_4arch9wavefront6targetE0EEEvT1_
	.globl	_ZN7rocprim17ROCPRIM_400000_NS6detail17trampoline_kernelINS0_14default_configENS1_29reduce_by_key_config_selectorIjxN6thrust23THRUST_200600_302600_NS4plusIxEEEEZZNS1_33reduce_by_key_impl_wrapped_configILNS1_25lookback_scan_determinismE0ES3_S9_NS6_6detail15normal_iteratorINS6_10device_ptrIjEEEENSD_INSE_IxEEEENS6_16discard_iteratorINS6_11use_defaultEEESI_PmS8_NS6_8equal_toIjEEEE10hipError_tPvRmT2_T3_mT4_T5_T6_T7_T8_P12ihipStream_tbENKUlT_T0_E_clISt17integral_constantIbLb0EES16_EEDaS11_S12_EUlS11_E_NS1_11comp_targetILNS1_3genE2ELNS1_11target_archE906ELNS1_3gpuE6ELNS1_3repE0EEENS1_30default_config_static_selectorELNS0_4arch9wavefront6targetE0EEEvT1_
	.p2align	8
	.type	_ZN7rocprim17ROCPRIM_400000_NS6detail17trampoline_kernelINS0_14default_configENS1_29reduce_by_key_config_selectorIjxN6thrust23THRUST_200600_302600_NS4plusIxEEEEZZNS1_33reduce_by_key_impl_wrapped_configILNS1_25lookback_scan_determinismE0ES3_S9_NS6_6detail15normal_iteratorINS6_10device_ptrIjEEEENSD_INSE_IxEEEENS6_16discard_iteratorINS6_11use_defaultEEESI_PmS8_NS6_8equal_toIjEEEE10hipError_tPvRmT2_T3_mT4_T5_T6_T7_T8_P12ihipStream_tbENKUlT_T0_E_clISt17integral_constantIbLb0EES16_EEDaS11_S12_EUlS11_E_NS1_11comp_targetILNS1_3genE2ELNS1_11target_archE906ELNS1_3gpuE6ELNS1_3repE0EEENS1_30default_config_static_selectorELNS0_4arch9wavefront6targetE0EEEvT1_,@function
_ZN7rocprim17ROCPRIM_400000_NS6detail17trampoline_kernelINS0_14default_configENS1_29reduce_by_key_config_selectorIjxN6thrust23THRUST_200600_302600_NS4plusIxEEEEZZNS1_33reduce_by_key_impl_wrapped_configILNS1_25lookback_scan_determinismE0ES3_S9_NS6_6detail15normal_iteratorINS6_10device_ptrIjEEEENSD_INSE_IxEEEENS6_16discard_iteratorINS6_11use_defaultEEESI_PmS8_NS6_8equal_toIjEEEE10hipError_tPvRmT2_T3_mT4_T5_T6_T7_T8_P12ihipStream_tbENKUlT_T0_E_clISt17integral_constantIbLb0EES16_EEDaS11_S12_EUlS11_E_NS1_11comp_targetILNS1_3genE2ELNS1_11target_archE906ELNS1_3gpuE6ELNS1_3repE0EEENS1_30default_config_static_selectorELNS0_4arch9wavefront6targetE0EEEvT1_: ; @_ZN7rocprim17ROCPRIM_400000_NS6detail17trampoline_kernelINS0_14default_configENS1_29reduce_by_key_config_selectorIjxN6thrust23THRUST_200600_302600_NS4plusIxEEEEZZNS1_33reduce_by_key_impl_wrapped_configILNS1_25lookback_scan_determinismE0ES3_S9_NS6_6detail15normal_iteratorINS6_10device_ptrIjEEEENSD_INSE_IxEEEENS6_16discard_iteratorINS6_11use_defaultEEESI_PmS8_NS6_8equal_toIjEEEE10hipError_tPvRmT2_T3_mT4_T5_T6_T7_T8_P12ihipStream_tbENKUlT_T0_E_clISt17integral_constantIbLb0EES16_EEDaS11_S12_EUlS11_E_NS1_11comp_targetILNS1_3genE2ELNS1_11target_archE906ELNS1_3gpuE6ELNS1_3repE0EEENS1_30default_config_static_selectorELNS0_4arch9wavefront6targetE0EEEvT1_
; %bb.0:
	.section	.rodata,"a",@progbits
	.p2align	6, 0x0
	.amdhsa_kernel _ZN7rocprim17ROCPRIM_400000_NS6detail17trampoline_kernelINS0_14default_configENS1_29reduce_by_key_config_selectorIjxN6thrust23THRUST_200600_302600_NS4plusIxEEEEZZNS1_33reduce_by_key_impl_wrapped_configILNS1_25lookback_scan_determinismE0ES3_S9_NS6_6detail15normal_iteratorINS6_10device_ptrIjEEEENSD_INSE_IxEEEENS6_16discard_iteratorINS6_11use_defaultEEESI_PmS8_NS6_8equal_toIjEEEE10hipError_tPvRmT2_T3_mT4_T5_T6_T7_T8_P12ihipStream_tbENKUlT_T0_E_clISt17integral_constantIbLb0EES16_EEDaS11_S12_EUlS11_E_NS1_11comp_targetILNS1_3genE2ELNS1_11target_archE906ELNS1_3gpuE6ELNS1_3repE0EEENS1_30default_config_static_selectorELNS0_4arch9wavefront6targetE0EEEvT1_
		.amdhsa_group_segment_fixed_size 0
		.amdhsa_private_segment_fixed_size 0
		.amdhsa_kernarg_size 144
		.amdhsa_user_sgpr_count 15
		.amdhsa_user_sgpr_dispatch_ptr 0
		.amdhsa_user_sgpr_queue_ptr 0
		.amdhsa_user_sgpr_kernarg_segment_ptr 1
		.amdhsa_user_sgpr_dispatch_id 0
		.amdhsa_user_sgpr_private_segment_size 0
		.amdhsa_wavefront_size32 1
		.amdhsa_uses_dynamic_stack 0
		.amdhsa_enable_private_segment 0
		.amdhsa_system_sgpr_workgroup_id_x 1
		.amdhsa_system_sgpr_workgroup_id_y 0
		.amdhsa_system_sgpr_workgroup_id_z 0
		.amdhsa_system_sgpr_workgroup_info 0
		.amdhsa_system_vgpr_workitem_id 0
		.amdhsa_next_free_vgpr 1
		.amdhsa_next_free_sgpr 1
		.amdhsa_reserve_vcc 0
		.amdhsa_float_round_mode_32 0
		.amdhsa_float_round_mode_16_64 0
		.amdhsa_float_denorm_mode_32 3
		.amdhsa_float_denorm_mode_16_64 3
		.amdhsa_dx10_clamp 1
		.amdhsa_ieee_mode 1
		.amdhsa_fp16_overflow 0
		.amdhsa_workgroup_processor_mode 1
		.amdhsa_memory_ordered 1
		.amdhsa_forward_progress 0
		.amdhsa_shared_vgpr_count 0
		.amdhsa_exception_fp_ieee_invalid_op 0
		.amdhsa_exception_fp_denorm_src 0
		.amdhsa_exception_fp_ieee_div_zero 0
		.amdhsa_exception_fp_ieee_overflow 0
		.amdhsa_exception_fp_ieee_underflow 0
		.amdhsa_exception_fp_ieee_inexact 0
		.amdhsa_exception_int_div_zero 0
	.end_amdhsa_kernel
	.section	.text._ZN7rocprim17ROCPRIM_400000_NS6detail17trampoline_kernelINS0_14default_configENS1_29reduce_by_key_config_selectorIjxN6thrust23THRUST_200600_302600_NS4plusIxEEEEZZNS1_33reduce_by_key_impl_wrapped_configILNS1_25lookback_scan_determinismE0ES3_S9_NS6_6detail15normal_iteratorINS6_10device_ptrIjEEEENSD_INSE_IxEEEENS6_16discard_iteratorINS6_11use_defaultEEESI_PmS8_NS6_8equal_toIjEEEE10hipError_tPvRmT2_T3_mT4_T5_T6_T7_T8_P12ihipStream_tbENKUlT_T0_E_clISt17integral_constantIbLb0EES16_EEDaS11_S12_EUlS11_E_NS1_11comp_targetILNS1_3genE2ELNS1_11target_archE906ELNS1_3gpuE6ELNS1_3repE0EEENS1_30default_config_static_selectorELNS0_4arch9wavefront6targetE0EEEvT1_,"axG",@progbits,_ZN7rocprim17ROCPRIM_400000_NS6detail17trampoline_kernelINS0_14default_configENS1_29reduce_by_key_config_selectorIjxN6thrust23THRUST_200600_302600_NS4plusIxEEEEZZNS1_33reduce_by_key_impl_wrapped_configILNS1_25lookback_scan_determinismE0ES3_S9_NS6_6detail15normal_iteratorINS6_10device_ptrIjEEEENSD_INSE_IxEEEENS6_16discard_iteratorINS6_11use_defaultEEESI_PmS8_NS6_8equal_toIjEEEE10hipError_tPvRmT2_T3_mT4_T5_T6_T7_T8_P12ihipStream_tbENKUlT_T0_E_clISt17integral_constantIbLb0EES16_EEDaS11_S12_EUlS11_E_NS1_11comp_targetILNS1_3genE2ELNS1_11target_archE906ELNS1_3gpuE6ELNS1_3repE0EEENS1_30default_config_static_selectorELNS0_4arch9wavefront6targetE0EEEvT1_,comdat
.Lfunc_end989:
	.size	_ZN7rocprim17ROCPRIM_400000_NS6detail17trampoline_kernelINS0_14default_configENS1_29reduce_by_key_config_selectorIjxN6thrust23THRUST_200600_302600_NS4plusIxEEEEZZNS1_33reduce_by_key_impl_wrapped_configILNS1_25lookback_scan_determinismE0ES3_S9_NS6_6detail15normal_iteratorINS6_10device_ptrIjEEEENSD_INSE_IxEEEENS6_16discard_iteratorINS6_11use_defaultEEESI_PmS8_NS6_8equal_toIjEEEE10hipError_tPvRmT2_T3_mT4_T5_T6_T7_T8_P12ihipStream_tbENKUlT_T0_E_clISt17integral_constantIbLb0EES16_EEDaS11_S12_EUlS11_E_NS1_11comp_targetILNS1_3genE2ELNS1_11target_archE906ELNS1_3gpuE6ELNS1_3repE0EEENS1_30default_config_static_selectorELNS0_4arch9wavefront6targetE0EEEvT1_, .Lfunc_end989-_ZN7rocprim17ROCPRIM_400000_NS6detail17trampoline_kernelINS0_14default_configENS1_29reduce_by_key_config_selectorIjxN6thrust23THRUST_200600_302600_NS4plusIxEEEEZZNS1_33reduce_by_key_impl_wrapped_configILNS1_25lookback_scan_determinismE0ES3_S9_NS6_6detail15normal_iteratorINS6_10device_ptrIjEEEENSD_INSE_IxEEEENS6_16discard_iteratorINS6_11use_defaultEEESI_PmS8_NS6_8equal_toIjEEEE10hipError_tPvRmT2_T3_mT4_T5_T6_T7_T8_P12ihipStream_tbENKUlT_T0_E_clISt17integral_constantIbLb0EES16_EEDaS11_S12_EUlS11_E_NS1_11comp_targetILNS1_3genE2ELNS1_11target_archE906ELNS1_3gpuE6ELNS1_3repE0EEENS1_30default_config_static_selectorELNS0_4arch9wavefront6targetE0EEEvT1_
                                        ; -- End function
	.section	.AMDGPU.csdata,"",@progbits
; Kernel info:
; codeLenInByte = 0
; NumSgprs: 0
; NumVgprs: 0
; ScratchSize: 0
; MemoryBound: 0
; FloatMode: 240
; IeeeMode: 1
; LDSByteSize: 0 bytes/workgroup (compile time only)
; SGPRBlocks: 0
; VGPRBlocks: 0
; NumSGPRsForWavesPerEU: 1
; NumVGPRsForWavesPerEU: 1
; Occupancy: 16
; WaveLimiterHint : 0
; COMPUTE_PGM_RSRC2:SCRATCH_EN: 0
; COMPUTE_PGM_RSRC2:USER_SGPR: 15
; COMPUTE_PGM_RSRC2:TRAP_HANDLER: 0
; COMPUTE_PGM_RSRC2:TGID_X_EN: 1
; COMPUTE_PGM_RSRC2:TGID_Y_EN: 0
; COMPUTE_PGM_RSRC2:TGID_Z_EN: 0
; COMPUTE_PGM_RSRC2:TIDIG_COMP_CNT: 0
	.section	.text._ZN7rocprim17ROCPRIM_400000_NS6detail17trampoline_kernelINS0_14default_configENS1_29reduce_by_key_config_selectorIjxN6thrust23THRUST_200600_302600_NS4plusIxEEEEZZNS1_33reduce_by_key_impl_wrapped_configILNS1_25lookback_scan_determinismE0ES3_S9_NS6_6detail15normal_iteratorINS6_10device_ptrIjEEEENSD_INSE_IxEEEENS6_16discard_iteratorINS6_11use_defaultEEESI_PmS8_NS6_8equal_toIjEEEE10hipError_tPvRmT2_T3_mT4_T5_T6_T7_T8_P12ihipStream_tbENKUlT_T0_E_clISt17integral_constantIbLb0EES16_EEDaS11_S12_EUlS11_E_NS1_11comp_targetILNS1_3genE10ELNS1_11target_archE1201ELNS1_3gpuE5ELNS1_3repE0EEENS1_30default_config_static_selectorELNS0_4arch9wavefront6targetE0EEEvT1_,"axG",@progbits,_ZN7rocprim17ROCPRIM_400000_NS6detail17trampoline_kernelINS0_14default_configENS1_29reduce_by_key_config_selectorIjxN6thrust23THRUST_200600_302600_NS4plusIxEEEEZZNS1_33reduce_by_key_impl_wrapped_configILNS1_25lookback_scan_determinismE0ES3_S9_NS6_6detail15normal_iteratorINS6_10device_ptrIjEEEENSD_INSE_IxEEEENS6_16discard_iteratorINS6_11use_defaultEEESI_PmS8_NS6_8equal_toIjEEEE10hipError_tPvRmT2_T3_mT4_T5_T6_T7_T8_P12ihipStream_tbENKUlT_T0_E_clISt17integral_constantIbLb0EES16_EEDaS11_S12_EUlS11_E_NS1_11comp_targetILNS1_3genE10ELNS1_11target_archE1201ELNS1_3gpuE5ELNS1_3repE0EEENS1_30default_config_static_selectorELNS0_4arch9wavefront6targetE0EEEvT1_,comdat
	.protected	_ZN7rocprim17ROCPRIM_400000_NS6detail17trampoline_kernelINS0_14default_configENS1_29reduce_by_key_config_selectorIjxN6thrust23THRUST_200600_302600_NS4plusIxEEEEZZNS1_33reduce_by_key_impl_wrapped_configILNS1_25lookback_scan_determinismE0ES3_S9_NS6_6detail15normal_iteratorINS6_10device_ptrIjEEEENSD_INSE_IxEEEENS6_16discard_iteratorINS6_11use_defaultEEESI_PmS8_NS6_8equal_toIjEEEE10hipError_tPvRmT2_T3_mT4_T5_T6_T7_T8_P12ihipStream_tbENKUlT_T0_E_clISt17integral_constantIbLb0EES16_EEDaS11_S12_EUlS11_E_NS1_11comp_targetILNS1_3genE10ELNS1_11target_archE1201ELNS1_3gpuE5ELNS1_3repE0EEENS1_30default_config_static_selectorELNS0_4arch9wavefront6targetE0EEEvT1_ ; -- Begin function _ZN7rocprim17ROCPRIM_400000_NS6detail17trampoline_kernelINS0_14default_configENS1_29reduce_by_key_config_selectorIjxN6thrust23THRUST_200600_302600_NS4plusIxEEEEZZNS1_33reduce_by_key_impl_wrapped_configILNS1_25lookback_scan_determinismE0ES3_S9_NS6_6detail15normal_iteratorINS6_10device_ptrIjEEEENSD_INSE_IxEEEENS6_16discard_iteratorINS6_11use_defaultEEESI_PmS8_NS6_8equal_toIjEEEE10hipError_tPvRmT2_T3_mT4_T5_T6_T7_T8_P12ihipStream_tbENKUlT_T0_E_clISt17integral_constantIbLb0EES16_EEDaS11_S12_EUlS11_E_NS1_11comp_targetILNS1_3genE10ELNS1_11target_archE1201ELNS1_3gpuE5ELNS1_3repE0EEENS1_30default_config_static_selectorELNS0_4arch9wavefront6targetE0EEEvT1_
	.globl	_ZN7rocprim17ROCPRIM_400000_NS6detail17trampoline_kernelINS0_14default_configENS1_29reduce_by_key_config_selectorIjxN6thrust23THRUST_200600_302600_NS4plusIxEEEEZZNS1_33reduce_by_key_impl_wrapped_configILNS1_25lookback_scan_determinismE0ES3_S9_NS6_6detail15normal_iteratorINS6_10device_ptrIjEEEENSD_INSE_IxEEEENS6_16discard_iteratorINS6_11use_defaultEEESI_PmS8_NS6_8equal_toIjEEEE10hipError_tPvRmT2_T3_mT4_T5_T6_T7_T8_P12ihipStream_tbENKUlT_T0_E_clISt17integral_constantIbLb0EES16_EEDaS11_S12_EUlS11_E_NS1_11comp_targetILNS1_3genE10ELNS1_11target_archE1201ELNS1_3gpuE5ELNS1_3repE0EEENS1_30default_config_static_selectorELNS0_4arch9wavefront6targetE0EEEvT1_
	.p2align	8
	.type	_ZN7rocprim17ROCPRIM_400000_NS6detail17trampoline_kernelINS0_14default_configENS1_29reduce_by_key_config_selectorIjxN6thrust23THRUST_200600_302600_NS4plusIxEEEEZZNS1_33reduce_by_key_impl_wrapped_configILNS1_25lookback_scan_determinismE0ES3_S9_NS6_6detail15normal_iteratorINS6_10device_ptrIjEEEENSD_INSE_IxEEEENS6_16discard_iteratorINS6_11use_defaultEEESI_PmS8_NS6_8equal_toIjEEEE10hipError_tPvRmT2_T3_mT4_T5_T6_T7_T8_P12ihipStream_tbENKUlT_T0_E_clISt17integral_constantIbLb0EES16_EEDaS11_S12_EUlS11_E_NS1_11comp_targetILNS1_3genE10ELNS1_11target_archE1201ELNS1_3gpuE5ELNS1_3repE0EEENS1_30default_config_static_selectorELNS0_4arch9wavefront6targetE0EEEvT1_,@function
_ZN7rocprim17ROCPRIM_400000_NS6detail17trampoline_kernelINS0_14default_configENS1_29reduce_by_key_config_selectorIjxN6thrust23THRUST_200600_302600_NS4plusIxEEEEZZNS1_33reduce_by_key_impl_wrapped_configILNS1_25lookback_scan_determinismE0ES3_S9_NS6_6detail15normal_iteratorINS6_10device_ptrIjEEEENSD_INSE_IxEEEENS6_16discard_iteratorINS6_11use_defaultEEESI_PmS8_NS6_8equal_toIjEEEE10hipError_tPvRmT2_T3_mT4_T5_T6_T7_T8_P12ihipStream_tbENKUlT_T0_E_clISt17integral_constantIbLb0EES16_EEDaS11_S12_EUlS11_E_NS1_11comp_targetILNS1_3genE10ELNS1_11target_archE1201ELNS1_3gpuE5ELNS1_3repE0EEENS1_30default_config_static_selectorELNS0_4arch9wavefront6targetE0EEEvT1_: ; @_ZN7rocprim17ROCPRIM_400000_NS6detail17trampoline_kernelINS0_14default_configENS1_29reduce_by_key_config_selectorIjxN6thrust23THRUST_200600_302600_NS4plusIxEEEEZZNS1_33reduce_by_key_impl_wrapped_configILNS1_25lookback_scan_determinismE0ES3_S9_NS6_6detail15normal_iteratorINS6_10device_ptrIjEEEENSD_INSE_IxEEEENS6_16discard_iteratorINS6_11use_defaultEEESI_PmS8_NS6_8equal_toIjEEEE10hipError_tPvRmT2_T3_mT4_T5_T6_T7_T8_P12ihipStream_tbENKUlT_T0_E_clISt17integral_constantIbLb0EES16_EEDaS11_S12_EUlS11_E_NS1_11comp_targetILNS1_3genE10ELNS1_11target_archE1201ELNS1_3gpuE5ELNS1_3repE0EEENS1_30default_config_static_selectorELNS0_4arch9wavefront6targetE0EEEvT1_
; %bb.0:
	.section	.rodata,"a",@progbits
	.p2align	6, 0x0
	.amdhsa_kernel _ZN7rocprim17ROCPRIM_400000_NS6detail17trampoline_kernelINS0_14default_configENS1_29reduce_by_key_config_selectorIjxN6thrust23THRUST_200600_302600_NS4plusIxEEEEZZNS1_33reduce_by_key_impl_wrapped_configILNS1_25lookback_scan_determinismE0ES3_S9_NS6_6detail15normal_iteratorINS6_10device_ptrIjEEEENSD_INSE_IxEEEENS6_16discard_iteratorINS6_11use_defaultEEESI_PmS8_NS6_8equal_toIjEEEE10hipError_tPvRmT2_T3_mT4_T5_T6_T7_T8_P12ihipStream_tbENKUlT_T0_E_clISt17integral_constantIbLb0EES16_EEDaS11_S12_EUlS11_E_NS1_11comp_targetILNS1_3genE10ELNS1_11target_archE1201ELNS1_3gpuE5ELNS1_3repE0EEENS1_30default_config_static_selectorELNS0_4arch9wavefront6targetE0EEEvT1_
		.amdhsa_group_segment_fixed_size 0
		.amdhsa_private_segment_fixed_size 0
		.amdhsa_kernarg_size 144
		.amdhsa_user_sgpr_count 15
		.amdhsa_user_sgpr_dispatch_ptr 0
		.amdhsa_user_sgpr_queue_ptr 0
		.amdhsa_user_sgpr_kernarg_segment_ptr 1
		.amdhsa_user_sgpr_dispatch_id 0
		.amdhsa_user_sgpr_private_segment_size 0
		.amdhsa_wavefront_size32 1
		.amdhsa_uses_dynamic_stack 0
		.amdhsa_enable_private_segment 0
		.amdhsa_system_sgpr_workgroup_id_x 1
		.amdhsa_system_sgpr_workgroup_id_y 0
		.amdhsa_system_sgpr_workgroup_id_z 0
		.amdhsa_system_sgpr_workgroup_info 0
		.amdhsa_system_vgpr_workitem_id 0
		.amdhsa_next_free_vgpr 1
		.amdhsa_next_free_sgpr 1
		.amdhsa_reserve_vcc 0
		.amdhsa_float_round_mode_32 0
		.amdhsa_float_round_mode_16_64 0
		.amdhsa_float_denorm_mode_32 3
		.amdhsa_float_denorm_mode_16_64 3
		.amdhsa_dx10_clamp 1
		.amdhsa_ieee_mode 1
		.amdhsa_fp16_overflow 0
		.amdhsa_workgroup_processor_mode 1
		.amdhsa_memory_ordered 1
		.amdhsa_forward_progress 0
		.amdhsa_shared_vgpr_count 0
		.amdhsa_exception_fp_ieee_invalid_op 0
		.amdhsa_exception_fp_denorm_src 0
		.amdhsa_exception_fp_ieee_div_zero 0
		.amdhsa_exception_fp_ieee_overflow 0
		.amdhsa_exception_fp_ieee_underflow 0
		.amdhsa_exception_fp_ieee_inexact 0
		.amdhsa_exception_int_div_zero 0
	.end_amdhsa_kernel
	.section	.text._ZN7rocprim17ROCPRIM_400000_NS6detail17trampoline_kernelINS0_14default_configENS1_29reduce_by_key_config_selectorIjxN6thrust23THRUST_200600_302600_NS4plusIxEEEEZZNS1_33reduce_by_key_impl_wrapped_configILNS1_25lookback_scan_determinismE0ES3_S9_NS6_6detail15normal_iteratorINS6_10device_ptrIjEEEENSD_INSE_IxEEEENS6_16discard_iteratorINS6_11use_defaultEEESI_PmS8_NS6_8equal_toIjEEEE10hipError_tPvRmT2_T3_mT4_T5_T6_T7_T8_P12ihipStream_tbENKUlT_T0_E_clISt17integral_constantIbLb0EES16_EEDaS11_S12_EUlS11_E_NS1_11comp_targetILNS1_3genE10ELNS1_11target_archE1201ELNS1_3gpuE5ELNS1_3repE0EEENS1_30default_config_static_selectorELNS0_4arch9wavefront6targetE0EEEvT1_,"axG",@progbits,_ZN7rocprim17ROCPRIM_400000_NS6detail17trampoline_kernelINS0_14default_configENS1_29reduce_by_key_config_selectorIjxN6thrust23THRUST_200600_302600_NS4plusIxEEEEZZNS1_33reduce_by_key_impl_wrapped_configILNS1_25lookback_scan_determinismE0ES3_S9_NS6_6detail15normal_iteratorINS6_10device_ptrIjEEEENSD_INSE_IxEEEENS6_16discard_iteratorINS6_11use_defaultEEESI_PmS8_NS6_8equal_toIjEEEE10hipError_tPvRmT2_T3_mT4_T5_T6_T7_T8_P12ihipStream_tbENKUlT_T0_E_clISt17integral_constantIbLb0EES16_EEDaS11_S12_EUlS11_E_NS1_11comp_targetILNS1_3genE10ELNS1_11target_archE1201ELNS1_3gpuE5ELNS1_3repE0EEENS1_30default_config_static_selectorELNS0_4arch9wavefront6targetE0EEEvT1_,comdat
.Lfunc_end990:
	.size	_ZN7rocprim17ROCPRIM_400000_NS6detail17trampoline_kernelINS0_14default_configENS1_29reduce_by_key_config_selectorIjxN6thrust23THRUST_200600_302600_NS4plusIxEEEEZZNS1_33reduce_by_key_impl_wrapped_configILNS1_25lookback_scan_determinismE0ES3_S9_NS6_6detail15normal_iteratorINS6_10device_ptrIjEEEENSD_INSE_IxEEEENS6_16discard_iteratorINS6_11use_defaultEEESI_PmS8_NS6_8equal_toIjEEEE10hipError_tPvRmT2_T3_mT4_T5_T6_T7_T8_P12ihipStream_tbENKUlT_T0_E_clISt17integral_constantIbLb0EES16_EEDaS11_S12_EUlS11_E_NS1_11comp_targetILNS1_3genE10ELNS1_11target_archE1201ELNS1_3gpuE5ELNS1_3repE0EEENS1_30default_config_static_selectorELNS0_4arch9wavefront6targetE0EEEvT1_, .Lfunc_end990-_ZN7rocprim17ROCPRIM_400000_NS6detail17trampoline_kernelINS0_14default_configENS1_29reduce_by_key_config_selectorIjxN6thrust23THRUST_200600_302600_NS4plusIxEEEEZZNS1_33reduce_by_key_impl_wrapped_configILNS1_25lookback_scan_determinismE0ES3_S9_NS6_6detail15normal_iteratorINS6_10device_ptrIjEEEENSD_INSE_IxEEEENS6_16discard_iteratorINS6_11use_defaultEEESI_PmS8_NS6_8equal_toIjEEEE10hipError_tPvRmT2_T3_mT4_T5_T6_T7_T8_P12ihipStream_tbENKUlT_T0_E_clISt17integral_constantIbLb0EES16_EEDaS11_S12_EUlS11_E_NS1_11comp_targetILNS1_3genE10ELNS1_11target_archE1201ELNS1_3gpuE5ELNS1_3repE0EEENS1_30default_config_static_selectorELNS0_4arch9wavefront6targetE0EEEvT1_
                                        ; -- End function
	.section	.AMDGPU.csdata,"",@progbits
; Kernel info:
; codeLenInByte = 0
; NumSgprs: 0
; NumVgprs: 0
; ScratchSize: 0
; MemoryBound: 0
; FloatMode: 240
; IeeeMode: 1
; LDSByteSize: 0 bytes/workgroup (compile time only)
; SGPRBlocks: 0
; VGPRBlocks: 0
; NumSGPRsForWavesPerEU: 1
; NumVGPRsForWavesPerEU: 1
; Occupancy: 16
; WaveLimiterHint : 0
; COMPUTE_PGM_RSRC2:SCRATCH_EN: 0
; COMPUTE_PGM_RSRC2:USER_SGPR: 15
; COMPUTE_PGM_RSRC2:TRAP_HANDLER: 0
; COMPUTE_PGM_RSRC2:TGID_X_EN: 1
; COMPUTE_PGM_RSRC2:TGID_Y_EN: 0
; COMPUTE_PGM_RSRC2:TGID_Z_EN: 0
; COMPUTE_PGM_RSRC2:TIDIG_COMP_CNT: 0
	.section	.text._ZN7rocprim17ROCPRIM_400000_NS6detail17trampoline_kernelINS0_14default_configENS1_29reduce_by_key_config_selectorIjxN6thrust23THRUST_200600_302600_NS4plusIxEEEEZZNS1_33reduce_by_key_impl_wrapped_configILNS1_25lookback_scan_determinismE0ES3_S9_NS6_6detail15normal_iteratorINS6_10device_ptrIjEEEENSD_INSE_IxEEEENS6_16discard_iteratorINS6_11use_defaultEEESI_PmS8_NS6_8equal_toIjEEEE10hipError_tPvRmT2_T3_mT4_T5_T6_T7_T8_P12ihipStream_tbENKUlT_T0_E_clISt17integral_constantIbLb0EES16_EEDaS11_S12_EUlS11_E_NS1_11comp_targetILNS1_3genE10ELNS1_11target_archE1200ELNS1_3gpuE4ELNS1_3repE0EEENS1_30default_config_static_selectorELNS0_4arch9wavefront6targetE0EEEvT1_,"axG",@progbits,_ZN7rocprim17ROCPRIM_400000_NS6detail17trampoline_kernelINS0_14default_configENS1_29reduce_by_key_config_selectorIjxN6thrust23THRUST_200600_302600_NS4plusIxEEEEZZNS1_33reduce_by_key_impl_wrapped_configILNS1_25lookback_scan_determinismE0ES3_S9_NS6_6detail15normal_iteratorINS6_10device_ptrIjEEEENSD_INSE_IxEEEENS6_16discard_iteratorINS6_11use_defaultEEESI_PmS8_NS6_8equal_toIjEEEE10hipError_tPvRmT2_T3_mT4_T5_T6_T7_T8_P12ihipStream_tbENKUlT_T0_E_clISt17integral_constantIbLb0EES16_EEDaS11_S12_EUlS11_E_NS1_11comp_targetILNS1_3genE10ELNS1_11target_archE1200ELNS1_3gpuE4ELNS1_3repE0EEENS1_30default_config_static_selectorELNS0_4arch9wavefront6targetE0EEEvT1_,comdat
	.protected	_ZN7rocprim17ROCPRIM_400000_NS6detail17trampoline_kernelINS0_14default_configENS1_29reduce_by_key_config_selectorIjxN6thrust23THRUST_200600_302600_NS4plusIxEEEEZZNS1_33reduce_by_key_impl_wrapped_configILNS1_25lookback_scan_determinismE0ES3_S9_NS6_6detail15normal_iteratorINS6_10device_ptrIjEEEENSD_INSE_IxEEEENS6_16discard_iteratorINS6_11use_defaultEEESI_PmS8_NS6_8equal_toIjEEEE10hipError_tPvRmT2_T3_mT4_T5_T6_T7_T8_P12ihipStream_tbENKUlT_T0_E_clISt17integral_constantIbLb0EES16_EEDaS11_S12_EUlS11_E_NS1_11comp_targetILNS1_3genE10ELNS1_11target_archE1200ELNS1_3gpuE4ELNS1_3repE0EEENS1_30default_config_static_selectorELNS0_4arch9wavefront6targetE0EEEvT1_ ; -- Begin function _ZN7rocprim17ROCPRIM_400000_NS6detail17trampoline_kernelINS0_14default_configENS1_29reduce_by_key_config_selectorIjxN6thrust23THRUST_200600_302600_NS4plusIxEEEEZZNS1_33reduce_by_key_impl_wrapped_configILNS1_25lookback_scan_determinismE0ES3_S9_NS6_6detail15normal_iteratorINS6_10device_ptrIjEEEENSD_INSE_IxEEEENS6_16discard_iteratorINS6_11use_defaultEEESI_PmS8_NS6_8equal_toIjEEEE10hipError_tPvRmT2_T3_mT4_T5_T6_T7_T8_P12ihipStream_tbENKUlT_T0_E_clISt17integral_constantIbLb0EES16_EEDaS11_S12_EUlS11_E_NS1_11comp_targetILNS1_3genE10ELNS1_11target_archE1200ELNS1_3gpuE4ELNS1_3repE0EEENS1_30default_config_static_selectorELNS0_4arch9wavefront6targetE0EEEvT1_
	.globl	_ZN7rocprim17ROCPRIM_400000_NS6detail17trampoline_kernelINS0_14default_configENS1_29reduce_by_key_config_selectorIjxN6thrust23THRUST_200600_302600_NS4plusIxEEEEZZNS1_33reduce_by_key_impl_wrapped_configILNS1_25lookback_scan_determinismE0ES3_S9_NS6_6detail15normal_iteratorINS6_10device_ptrIjEEEENSD_INSE_IxEEEENS6_16discard_iteratorINS6_11use_defaultEEESI_PmS8_NS6_8equal_toIjEEEE10hipError_tPvRmT2_T3_mT4_T5_T6_T7_T8_P12ihipStream_tbENKUlT_T0_E_clISt17integral_constantIbLb0EES16_EEDaS11_S12_EUlS11_E_NS1_11comp_targetILNS1_3genE10ELNS1_11target_archE1200ELNS1_3gpuE4ELNS1_3repE0EEENS1_30default_config_static_selectorELNS0_4arch9wavefront6targetE0EEEvT1_
	.p2align	8
	.type	_ZN7rocprim17ROCPRIM_400000_NS6detail17trampoline_kernelINS0_14default_configENS1_29reduce_by_key_config_selectorIjxN6thrust23THRUST_200600_302600_NS4plusIxEEEEZZNS1_33reduce_by_key_impl_wrapped_configILNS1_25lookback_scan_determinismE0ES3_S9_NS6_6detail15normal_iteratorINS6_10device_ptrIjEEEENSD_INSE_IxEEEENS6_16discard_iteratorINS6_11use_defaultEEESI_PmS8_NS6_8equal_toIjEEEE10hipError_tPvRmT2_T3_mT4_T5_T6_T7_T8_P12ihipStream_tbENKUlT_T0_E_clISt17integral_constantIbLb0EES16_EEDaS11_S12_EUlS11_E_NS1_11comp_targetILNS1_3genE10ELNS1_11target_archE1200ELNS1_3gpuE4ELNS1_3repE0EEENS1_30default_config_static_selectorELNS0_4arch9wavefront6targetE0EEEvT1_,@function
_ZN7rocprim17ROCPRIM_400000_NS6detail17trampoline_kernelINS0_14default_configENS1_29reduce_by_key_config_selectorIjxN6thrust23THRUST_200600_302600_NS4plusIxEEEEZZNS1_33reduce_by_key_impl_wrapped_configILNS1_25lookback_scan_determinismE0ES3_S9_NS6_6detail15normal_iteratorINS6_10device_ptrIjEEEENSD_INSE_IxEEEENS6_16discard_iteratorINS6_11use_defaultEEESI_PmS8_NS6_8equal_toIjEEEE10hipError_tPvRmT2_T3_mT4_T5_T6_T7_T8_P12ihipStream_tbENKUlT_T0_E_clISt17integral_constantIbLb0EES16_EEDaS11_S12_EUlS11_E_NS1_11comp_targetILNS1_3genE10ELNS1_11target_archE1200ELNS1_3gpuE4ELNS1_3repE0EEENS1_30default_config_static_selectorELNS0_4arch9wavefront6targetE0EEEvT1_: ; @_ZN7rocprim17ROCPRIM_400000_NS6detail17trampoline_kernelINS0_14default_configENS1_29reduce_by_key_config_selectorIjxN6thrust23THRUST_200600_302600_NS4plusIxEEEEZZNS1_33reduce_by_key_impl_wrapped_configILNS1_25lookback_scan_determinismE0ES3_S9_NS6_6detail15normal_iteratorINS6_10device_ptrIjEEEENSD_INSE_IxEEEENS6_16discard_iteratorINS6_11use_defaultEEESI_PmS8_NS6_8equal_toIjEEEE10hipError_tPvRmT2_T3_mT4_T5_T6_T7_T8_P12ihipStream_tbENKUlT_T0_E_clISt17integral_constantIbLb0EES16_EEDaS11_S12_EUlS11_E_NS1_11comp_targetILNS1_3genE10ELNS1_11target_archE1200ELNS1_3gpuE4ELNS1_3repE0EEENS1_30default_config_static_selectorELNS0_4arch9wavefront6targetE0EEEvT1_
; %bb.0:
	.section	.rodata,"a",@progbits
	.p2align	6, 0x0
	.amdhsa_kernel _ZN7rocprim17ROCPRIM_400000_NS6detail17trampoline_kernelINS0_14default_configENS1_29reduce_by_key_config_selectorIjxN6thrust23THRUST_200600_302600_NS4plusIxEEEEZZNS1_33reduce_by_key_impl_wrapped_configILNS1_25lookback_scan_determinismE0ES3_S9_NS6_6detail15normal_iteratorINS6_10device_ptrIjEEEENSD_INSE_IxEEEENS6_16discard_iteratorINS6_11use_defaultEEESI_PmS8_NS6_8equal_toIjEEEE10hipError_tPvRmT2_T3_mT4_T5_T6_T7_T8_P12ihipStream_tbENKUlT_T0_E_clISt17integral_constantIbLb0EES16_EEDaS11_S12_EUlS11_E_NS1_11comp_targetILNS1_3genE10ELNS1_11target_archE1200ELNS1_3gpuE4ELNS1_3repE0EEENS1_30default_config_static_selectorELNS0_4arch9wavefront6targetE0EEEvT1_
		.amdhsa_group_segment_fixed_size 0
		.amdhsa_private_segment_fixed_size 0
		.amdhsa_kernarg_size 144
		.amdhsa_user_sgpr_count 15
		.amdhsa_user_sgpr_dispatch_ptr 0
		.amdhsa_user_sgpr_queue_ptr 0
		.amdhsa_user_sgpr_kernarg_segment_ptr 1
		.amdhsa_user_sgpr_dispatch_id 0
		.amdhsa_user_sgpr_private_segment_size 0
		.amdhsa_wavefront_size32 1
		.amdhsa_uses_dynamic_stack 0
		.amdhsa_enable_private_segment 0
		.amdhsa_system_sgpr_workgroup_id_x 1
		.amdhsa_system_sgpr_workgroup_id_y 0
		.amdhsa_system_sgpr_workgroup_id_z 0
		.amdhsa_system_sgpr_workgroup_info 0
		.amdhsa_system_vgpr_workitem_id 0
		.amdhsa_next_free_vgpr 1
		.amdhsa_next_free_sgpr 1
		.amdhsa_reserve_vcc 0
		.amdhsa_float_round_mode_32 0
		.amdhsa_float_round_mode_16_64 0
		.amdhsa_float_denorm_mode_32 3
		.amdhsa_float_denorm_mode_16_64 3
		.amdhsa_dx10_clamp 1
		.amdhsa_ieee_mode 1
		.amdhsa_fp16_overflow 0
		.amdhsa_workgroup_processor_mode 1
		.amdhsa_memory_ordered 1
		.amdhsa_forward_progress 0
		.amdhsa_shared_vgpr_count 0
		.amdhsa_exception_fp_ieee_invalid_op 0
		.amdhsa_exception_fp_denorm_src 0
		.amdhsa_exception_fp_ieee_div_zero 0
		.amdhsa_exception_fp_ieee_overflow 0
		.amdhsa_exception_fp_ieee_underflow 0
		.amdhsa_exception_fp_ieee_inexact 0
		.amdhsa_exception_int_div_zero 0
	.end_amdhsa_kernel
	.section	.text._ZN7rocprim17ROCPRIM_400000_NS6detail17trampoline_kernelINS0_14default_configENS1_29reduce_by_key_config_selectorIjxN6thrust23THRUST_200600_302600_NS4plusIxEEEEZZNS1_33reduce_by_key_impl_wrapped_configILNS1_25lookback_scan_determinismE0ES3_S9_NS6_6detail15normal_iteratorINS6_10device_ptrIjEEEENSD_INSE_IxEEEENS6_16discard_iteratorINS6_11use_defaultEEESI_PmS8_NS6_8equal_toIjEEEE10hipError_tPvRmT2_T3_mT4_T5_T6_T7_T8_P12ihipStream_tbENKUlT_T0_E_clISt17integral_constantIbLb0EES16_EEDaS11_S12_EUlS11_E_NS1_11comp_targetILNS1_3genE10ELNS1_11target_archE1200ELNS1_3gpuE4ELNS1_3repE0EEENS1_30default_config_static_selectorELNS0_4arch9wavefront6targetE0EEEvT1_,"axG",@progbits,_ZN7rocprim17ROCPRIM_400000_NS6detail17trampoline_kernelINS0_14default_configENS1_29reduce_by_key_config_selectorIjxN6thrust23THRUST_200600_302600_NS4plusIxEEEEZZNS1_33reduce_by_key_impl_wrapped_configILNS1_25lookback_scan_determinismE0ES3_S9_NS6_6detail15normal_iteratorINS6_10device_ptrIjEEEENSD_INSE_IxEEEENS6_16discard_iteratorINS6_11use_defaultEEESI_PmS8_NS6_8equal_toIjEEEE10hipError_tPvRmT2_T3_mT4_T5_T6_T7_T8_P12ihipStream_tbENKUlT_T0_E_clISt17integral_constantIbLb0EES16_EEDaS11_S12_EUlS11_E_NS1_11comp_targetILNS1_3genE10ELNS1_11target_archE1200ELNS1_3gpuE4ELNS1_3repE0EEENS1_30default_config_static_selectorELNS0_4arch9wavefront6targetE0EEEvT1_,comdat
.Lfunc_end991:
	.size	_ZN7rocprim17ROCPRIM_400000_NS6detail17trampoline_kernelINS0_14default_configENS1_29reduce_by_key_config_selectorIjxN6thrust23THRUST_200600_302600_NS4plusIxEEEEZZNS1_33reduce_by_key_impl_wrapped_configILNS1_25lookback_scan_determinismE0ES3_S9_NS6_6detail15normal_iteratorINS6_10device_ptrIjEEEENSD_INSE_IxEEEENS6_16discard_iteratorINS6_11use_defaultEEESI_PmS8_NS6_8equal_toIjEEEE10hipError_tPvRmT2_T3_mT4_T5_T6_T7_T8_P12ihipStream_tbENKUlT_T0_E_clISt17integral_constantIbLb0EES16_EEDaS11_S12_EUlS11_E_NS1_11comp_targetILNS1_3genE10ELNS1_11target_archE1200ELNS1_3gpuE4ELNS1_3repE0EEENS1_30default_config_static_selectorELNS0_4arch9wavefront6targetE0EEEvT1_, .Lfunc_end991-_ZN7rocprim17ROCPRIM_400000_NS6detail17trampoline_kernelINS0_14default_configENS1_29reduce_by_key_config_selectorIjxN6thrust23THRUST_200600_302600_NS4plusIxEEEEZZNS1_33reduce_by_key_impl_wrapped_configILNS1_25lookback_scan_determinismE0ES3_S9_NS6_6detail15normal_iteratorINS6_10device_ptrIjEEEENSD_INSE_IxEEEENS6_16discard_iteratorINS6_11use_defaultEEESI_PmS8_NS6_8equal_toIjEEEE10hipError_tPvRmT2_T3_mT4_T5_T6_T7_T8_P12ihipStream_tbENKUlT_T0_E_clISt17integral_constantIbLb0EES16_EEDaS11_S12_EUlS11_E_NS1_11comp_targetILNS1_3genE10ELNS1_11target_archE1200ELNS1_3gpuE4ELNS1_3repE0EEENS1_30default_config_static_selectorELNS0_4arch9wavefront6targetE0EEEvT1_
                                        ; -- End function
	.section	.AMDGPU.csdata,"",@progbits
; Kernel info:
; codeLenInByte = 0
; NumSgprs: 0
; NumVgprs: 0
; ScratchSize: 0
; MemoryBound: 0
; FloatMode: 240
; IeeeMode: 1
; LDSByteSize: 0 bytes/workgroup (compile time only)
; SGPRBlocks: 0
; VGPRBlocks: 0
; NumSGPRsForWavesPerEU: 1
; NumVGPRsForWavesPerEU: 1
; Occupancy: 16
; WaveLimiterHint : 0
; COMPUTE_PGM_RSRC2:SCRATCH_EN: 0
; COMPUTE_PGM_RSRC2:USER_SGPR: 15
; COMPUTE_PGM_RSRC2:TRAP_HANDLER: 0
; COMPUTE_PGM_RSRC2:TGID_X_EN: 1
; COMPUTE_PGM_RSRC2:TGID_Y_EN: 0
; COMPUTE_PGM_RSRC2:TGID_Z_EN: 0
; COMPUTE_PGM_RSRC2:TIDIG_COMP_CNT: 0
	.section	.text._ZN7rocprim17ROCPRIM_400000_NS6detail17trampoline_kernelINS0_14default_configENS1_29reduce_by_key_config_selectorIjxN6thrust23THRUST_200600_302600_NS4plusIxEEEEZZNS1_33reduce_by_key_impl_wrapped_configILNS1_25lookback_scan_determinismE0ES3_S9_NS6_6detail15normal_iteratorINS6_10device_ptrIjEEEENSD_INSE_IxEEEENS6_16discard_iteratorINS6_11use_defaultEEESI_PmS8_NS6_8equal_toIjEEEE10hipError_tPvRmT2_T3_mT4_T5_T6_T7_T8_P12ihipStream_tbENKUlT_T0_E_clISt17integral_constantIbLb0EES16_EEDaS11_S12_EUlS11_E_NS1_11comp_targetILNS1_3genE9ELNS1_11target_archE1100ELNS1_3gpuE3ELNS1_3repE0EEENS1_30default_config_static_selectorELNS0_4arch9wavefront6targetE0EEEvT1_,"axG",@progbits,_ZN7rocprim17ROCPRIM_400000_NS6detail17trampoline_kernelINS0_14default_configENS1_29reduce_by_key_config_selectorIjxN6thrust23THRUST_200600_302600_NS4plusIxEEEEZZNS1_33reduce_by_key_impl_wrapped_configILNS1_25lookback_scan_determinismE0ES3_S9_NS6_6detail15normal_iteratorINS6_10device_ptrIjEEEENSD_INSE_IxEEEENS6_16discard_iteratorINS6_11use_defaultEEESI_PmS8_NS6_8equal_toIjEEEE10hipError_tPvRmT2_T3_mT4_T5_T6_T7_T8_P12ihipStream_tbENKUlT_T0_E_clISt17integral_constantIbLb0EES16_EEDaS11_S12_EUlS11_E_NS1_11comp_targetILNS1_3genE9ELNS1_11target_archE1100ELNS1_3gpuE3ELNS1_3repE0EEENS1_30default_config_static_selectorELNS0_4arch9wavefront6targetE0EEEvT1_,comdat
	.protected	_ZN7rocprim17ROCPRIM_400000_NS6detail17trampoline_kernelINS0_14default_configENS1_29reduce_by_key_config_selectorIjxN6thrust23THRUST_200600_302600_NS4plusIxEEEEZZNS1_33reduce_by_key_impl_wrapped_configILNS1_25lookback_scan_determinismE0ES3_S9_NS6_6detail15normal_iteratorINS6_10device_ptrIjEEEENSD_INSE_IxEEEENS6_16discard_iteratorINS6_11use_defaultEEESI_PmS8_NS6_8equal_toIjEEEE10hipError_tPvRmT2_T3_mT4_T5_T6_T7_T8_P12ihipStream_tbENKUlT_T0_E_clISt17integral_constantIbLb0EES16_EEDaS11_S12_EUlS11_E_NS1_11comp_targetILNS1_3genE9ELNS1_11target_archE1100ELNS1_3gpuE3ELNS1_3repE0EEENS1_30default_config_static_selectorELNS0_4arch9wavefront6targetE0EEEvT1_ ; -- Begin function _ZN7rocprim17ROCPRIM_400000_NS6detail17trampoline_kernelINS0_14default_configENS1_29reduce_by_key_config_selectorIjxN6thrust23THRUST_200600_302600_NS4plusIxEEEEZZNS1_33reduce_by_key_impl_wrapped_configILNS1_25lookback_scan_determinismE0ES3_S9_NS6_6detail15normal_iteratorINS6_10device_ptrIjEEEENSD_INSE_IxEEEENS6_16discard_iteratorINS6_11use_defaultEEESI_PmS8_NS6_8equal_toIjEEEE10hipError_tPvRmT2_T3_mT4_T5_T6_T7_T8_P12ihipStream_tbENKUlT_T0_E_clISt17integral_constantIbLb0EES16_EEDaS11_S12_EUlS11_E_NS1_11comp_targetILNS1_3genE9ELNS1_11target_archE1100ELNS1_3gpuE3ELNS1_3repE0EEENS1_30default_config_static_selectorELNS0_4arch9wavefront6targetE0EEEvT1_
	.globl	_ZN7rocprim17ROCPRIM_400000_NS6detail17trampoline_kernelINS0_14default_configENS1_29reduce_by_key_config_selectorIjxN6thrust23THRUST_200600_302600_NS4plusIxEEEEZZNS1_33reduce_by_key_impl_wrapped_configILNS1_25lookback_scan_determinismE0ES3_S9_NS6_6detail15normal_iteratorINS6_10device_ptrIjEEEENSD_INSE_IxEEEENS6_16discard_iteratorINS6_11use_defaultEEESI_PmS8_NS6_8equal_toIjEEEE10hipError_tPvRmT2_T3_mT4_T5_T6_T7_T8_P12ihipStream_tbENKUlT_T0_E_clISt17integral_constantIbLb0EES16_EEDaS11_S12_EUlS11_E_NS1_11comp_targetILNS1_3genE9ELNS1_11target_archE1100ELNS1_3gpuE3ELNS1_3repE0EEENS1_30default_config_static_selectorELNS0_4arch9wavefront6targetE0EEEvT1_
	.p2align	8
	.type	_ZN7rocprim17ROCPRIM_400000_NS6detail17trampoline_kernelINS0_14default_configENS1_29reduce_by_key_config_selectorIjxN6thrust23THRUST_200600_302600_NS4plusIxEEEEZZNS1_33reduce_by_key_impl_wrapped_configILNS1_25lookback_scan_determinismE0ES3_S9_NS6_6detail15normal_iteratorINS6_10device_ptrIjEEEENSD_INSE_IxEEEENS6_16discard_iteratorINS6_11use_defaultEEESI_PmS8_NS6_8equal_toIjEEEE10hipError_tPvRmT2_T3_mT4_T5_T6_T7_T8_P12ihipStream_tbENKUlT_T0_E_clISt17integral_constantIbLb0EES16_EEDaS11_S12_EUlS11_E_NS1_11comp_targetILNS1_3genE9ELNS1_11target_archE1100ELNS1_3gpuE3ELNS1_3repE0EEENS1_30default_config_static_selectorELNS0_4arch9wavefront6targetE0EEEvT1_,@function
_ZN7rocprim17ROCPRIM_400000_NS6detail17trampoline_kernelINS0_14default_configENS1_29reduce_by_key_config_selectorIjxN6thrust23THRUST_200600_302600_NS4plusIxEEEEZZNS1_33reduce_by_key_impl_wrapped_configILNS1_25lookback_scan_determinismE0ES3_S9_NS6_6detail15normal_iteratorINS6_10device_ptrIjEEEENSD_INSE_IxEEEENS6_16discard_iteratorINS6_11use_defaultEEESI_PmS8_NS6_8equal_toIjEEEE10hipError_tPvRmT2_T3_mT4_T5_T6_T7_T8_P12ihipStream_tbENKUlT_T0_E_clISt17integral_constantIbLb0EES16_EEDaS11_S12_EUlS11_E_NS1_11comp_targetILNS1_3genE9ELNS1_11target_archE1100ELNS1_3gpuE3ELNS1_3repE0EEENS1_30default_config_static_selectorELNS0_4arch9wavefront6targetE0EEEvT1_: ; @_ZN7rocprim17ROCPRIM_400000_NS6detail17trampoline_kernelINS0_14default_configENS1_29reduce_by_key_config_selectorIjxN6thrust23THRUST_200600_302600_NS4plusIxEEEEZZNS1_33reduce_by_key_impl_wrapped_configILNS1_25lookback_scan_determinismE0ES3_S9_NS6_6detail15normal_iteratorINS6_10device_ptrIjEEEENSD_INSE_IxEEEENS6_16discard_iteratorINS6_11use_defaultEEESI_PmS8_NS6_8equal_toIjEEEE10hipError_tPvRmT2_T3_mT4_T5_T6_T7_T8_P12ihipStream_tbENKUlT_T0_E_clISt17integral_constantIbLb0EES16_EEDaS11_S12_EUlS11_E_NS1_11comp_targetILNS1_3genE9ELNS1_11target_archE1100ELNS1_3gpuE3ELNS1_3repE0EEENS1_30default_config_static_selectorELNS0_4arch9wavefront6targetE0EEEvT1_
; %bb.0:
	s_clause 0x2
	s_load_b128 s[4:7], s[0:1], 0x0
	s_load_b512 s[36:51], s[0:1], 0x40
	s_load_b64 s[8:9], s[0:1], 0x10
	s_mov_b32 s3, 0
	s_mul_i32 s2, s15, 0xf00
	v_lshlrev_b32_e32 v74, 2, v0
	v_mad_u32_u24 v47, v0, 15, 1
	v_mad_u32_u24 v49, v0, 15, 2
	;; [unrolled: 1-line block ×14, first 2 shown]
	s_waitcnt lgkmcnt(0)
	s_lshl_b64 s[10:11], s[6:7], 2
	s_mul_i32 s12, s44, s43
	s_add_u32 s10, s4, s10
	s_addc_u32 s11, s5, s11
	s_lshl_b64 s[4:5], s[6:7], 3
	s_mul_hi_u32 s13, s44, s42
	s_add_u32 s7, s8, s4
	s_mul_i32 s6, s45, s42
	s_addc_u32 s8, s9, s5
	s_add_i32 s9, s13, s12
	s_lshl_b64 s[4:5], s[2:3], 2
	s_add_i32 s9, s9, s6
	s_add_u32 s29, s10, s4
	s_addc_u32 s28, s11, s5
	s_lshl_b64 s[4:5], s[2:3], 3
	s_mul_i32 s2, s44, s42
	s_add_u32 s20, s7, s4
	s_addc_u32 s21, s8, s5
	s_add_u32 s24, s2, s15
	s_addc_u32 s25, s9, 0
	s_add_u32 s4, s46, -1
	s_addc_u32 s5, s47, -1
	s_mul_i32 s26, s4, 0xfffff100
	s_cmp_eq_u64 s[24:25], s[4:5]
	s_cselect_b32 s17, -1, 0
	s_cmp_lg_u64 s[24:25], s[4:5]
	s_cselect_b32 s30, -1, 0
	s_and_b32 vcc_lo, exec_lo, s17
	s_cbranch_vccnz .LBB992_2
; %bb.1:
	v_add_co_u32 v1, s2, s29, v74
	s_delay_alu instid0(VALU_DEP_1) | instskip(SKIP_1) | instid1(VALU_DEP_3)
	v_add_co_ci_u32_e64 v2, null, s28, 0, s2
	v_mad_u32_u24 v46, v0, 56, v74
	v_add_co_u32 v3, vcc_lo, 0x1000, v1
	s_delay_alu instid0(VALU_DEP_3)
	v_add_co_ci_u32_e32 v4, vcc_lo, 0, v2, vcc_lo
	s_clause 0x7
	flat_load_b32 v5, v[1:2]
	flat_load_b32 v6, v[1:2] offset:1024
	flat_load_b32 v7, v[1:2] offset:2048
	;; [unrolled: 1-line block ×3, first 2 shown]
	flat_load_b32 v9, v[3:4]
	flat_load_b32 v10, v[3:4] offset:1024
	flat_load_b32 v11, v[3:4] offset:2048
	;; [unrolled: 1-line block ×3, first 2 shown]
	v_add_co_u32 v3, vcc_lo, 0x2000, v1
	v_add_co_ci_u32_e32 v4, vcc_lo, 0, v2, vcc_lo
	v_add_co_u32 v1, vcc_lo, 0x3000, v1
	v_add_co_ci_u32_e32 v2, vcc_lo, 0, v2, vcc_lo
	s_clause 0x6
	flat_load_b32 v13, v[3:4]
	flat_load_b32 v14, v[3:4] offset:1024
	flat_load_b32 v31, v[3:4] offset:2048
	;; [unrolled: 1-line block ×3, first 2 shown]
	flat_load_b32 v4, v[1:2]
	flat_load_b32 v32, v[1:2] offset:1024
	flat_load_b32 v1, v[1:2] offset:2048
	v_lshlrev_b32_e32 v2, 3, v0
	v_mul_u32_u24_e32 v50, 15, v0
	s_waitcnt vmcnt(13) lgkmcnt(13)
	ds_store_2addr_stride64_b32 v74, v5, v6 offset1:4
	s_waitcnt vmcnt(11) lgkmcnt(12)
	ds_store_2addr_stride64_b32 v74, v7, v8 offset0:8 offset1:12
	s_waitcnt vmcnt(9) lgkmcnt(11)
	ds_store_2addr_stride64_b32 v74, v9, v10 offset0:16 offset1:20
	;; [unrolled: 2-line block ×6, first 2 shown]
	s_waitcnt vmcnt(0) lgkmcnt(7)
	ds_store_b32 v74, v1 offset:14336
	v_add_co_u32 v15, s2, s20, v2
	s_delay_alu instid0(VALU_DEP_1) | instskip(SKIP_1) | instid1(VALU_DEP_2)
	v_add_co_ci_u32_e64 v16, null, s21, 0, s2
	s_waitcnt lgkmcnt(0)
	v_add_co_u32 v17, vcc_lo, 0x1000, v15
	s_delay_alu instid0(VALU_DEP_2)
	v_add_co_ci_u32_e32 v18, vcc_lo, 0, v16, vcc_lo
	v_add_co_u32 v19, vcc_lo, 0x2000, v15
	v_add_co_ci_u32_e32 v20, vcc_lo, 0, v16, vcc_lo
	v_add_co_u32 v21, vcc_lo, 0x3000, v15
	;; [unrolled: 2-line block ×6, first 2 shown]
	v_add_co_ci_u32_e32 v30, vcc_lo, 0, v16, vcc_lo
	s_barrier
	buffer_gl0_inv
	ds_load_2addr_b32 v[13:14], v46 offset1:1
	ds_load_2addr_b32 v[11:12], v46 offset0:2 offset1:3
	ds_load_2addr_b32 v[9:10], v46 offset0:4 offset1:5
	;; [unrolled: 1-line block ×6, first 2 shown]
	ds_load_b32 v81, v46 offset:56
	s_waitcnt lgkmcnt(0)
	s_barrier
	buffer_gl0_inv
	s_clause 0xe
	flat_load_b64 v[31:32], v[15:16]
	flat_load_b64 v[15:16], v[15:16] offset:2048
	flat_load_b64 v[33:34], v[17:18]
	flat_load_b64 v[17:18], v[17:18] offset:2048
	;; [unrolled: 2-line block ×7, first 2 shown]
	flat_load_b64 v[29:30], v[29:30]
	v_mad_i32_i24 v46, 0xffffffcc, v0, v46
	s_waitcnt vmcnt(13) lgkmcnt(13)
	ds_store_2addr_stride64_b64 v46, v[31:32], v[15:16] offset1:4
	s_waitcnt vmcnt(11) lgkmcnt(12)
	ds_store_2addr_stride64_b64 v46, v[33:34], v[17:18] offset0:8 offset1:12
	s_waitcnt vmcnt(9) lgkmcnt(11)
	ds_store_2addr_stride64_b64 v46, v[35:36], v[19:20] offset0:16 offset1:20
	;; [unrolled: 2-line block ×6, first 2 shown]
	s_waitcnt vmcnt(0) lgkmcnt(7)
	ds_store_b64 v46, v[29:30] offset:28672
	s_waitcnt lgkmcnt(0)
	s_barrier
	s_branch .LBB992_3
.LBB992_2:
	s_mov_b32 s3, -1
                                        ; implicit-def: $vgpr50
                                        ; implicit-def: $vgpr13
                                        ; implicit-def: $vgpr11
                                        ; implicit-def: $vgpr9
                                        ; implicit-def: $vgpr7
                                        ; implicit-def: $vgpr5
                                        ; implicit-def: $vgpr3
                                        ; implicit-def: $vgpr1
                                        ; implicit-def: $vgpr81
.LBB992_3:
	s_load_b64 s[18:19], s[0:1], 0x80
	v_dual_mov_b32 v46, v45 :: v_dual_mov_b32 v73, v47
	v_mov_b32_e32 v52, v71
	v_mov_b32_e32 v58, v69
	;; [unrolled: 1-line block ×12, first 2 shown]
	s_and_not1_b32 vcc_lo, exec_lo, s3
	s_add_i32 s26, s26, s48
	s_cbranch_vccnz .LBB992_65
; %bb.4:
	v_cmp_gt_u32_e32 vcc_lo, s26, v0
                                        ; implicit-def: $vgpr1
	s_and_saveexec_b32 s2, vcc_lo
	s_cbranch_execz .LBB992_6
; %bb.5:
	v_add_co_u32 v1, s3, s29, v74
	s_delay_alu instid0(VALU_DEP_1)
	v_add_co_ci_u32_e64 v2, null, s28, 0, s3
	flat_load_b32 v1, v[1:2]
.LBB992_6:
	s_or_b32 exec_lo, exec_lo, s2
	v_or_b32_e32 v2, 0x100, v0
	s_delay_alu instid0(VALU_DEP_1) | instskip(NEXT) | instid1(VALU_DEP_1)
	v_cmp_gt_u32_e64 s2, s26, v2
                                        ; implicit-def: $vgpr2
	s_and_saveexec_b32 s3, s2
	s_cbranch_execz .LBB992_8
; %bb.7:
	v_add_co_u32 v2, s4, s29, v74
	s_delay_alu instid0(VALU_DEP_1)
	v_add_co_ci_u32_e64 v3, null, s28, 0, s4
	flat_load_b32 v2, v[2:3] offset:1024
.LBB992_8:
	s_or_b32 exec_lo, exec_lo, s3
	v_or_b32_e32 v21, 0x200, v0
                                        ; implicit-def: $vgpr3
	s_delay_alu instid0(VALU_DEP_1) | instskip(NEXT) | instid1(VALU_DEP_1)
	v_cmp_gt_u32_e64 s3, s26, v21
	s_and_saveexec_b32 s4, s3
	s_cbranch_execz .LBB992_10
; %bb.9:
	v_add_co_u32 v3, s5, s29, v74
	s_delay_alu instid0(VALU_DEP_1)
	v_add_co_ci_u32_e64 v4, null, s28, 0, s5
	flat_load_b32 v3, v[3:4] offset:2048
.LBB992_10:
	s_or_b32 exec_lo, exec_lo, s4
	v_or_b32_e32 v23, 0x300, v0
                                        ; implicit-def: $vgpr4
	s_delay_alu instid0(VALU_DEP_1) | instskip(NEXT) | instid1(VALU_DEP_1)
	v_cmp_gt_u32_e64 s4, s26, v23
	s_and_saveexec_b32 s5, s4
	s_cbranch_execz .LBB992_12
; %bb.11:
	v_add_co_u32 v4, s6, s29, v74
	s_delay_alu instid0(VALU_DEP_1)
	v_add_co_ci_u32_e64 v5, null, s28, 0, s6
	flat_load_b32 v4, v[4:5] offset:3072
.LBB992_12:
	s_or_b32 exec_lo, exec_lo, s5
	v_or_b32_e32 v25, 0x400, v0
                                        ; implicit-def: $vgpr5
	s_delay_alu instid0(VALU_DEP_1) | instskip(NEXT) | instid1(VALU_DEP_1)
	v_cmp_gt_u32_e64 s5, s26, v25
	s_and_saveexec_b32 s6, s5
	s_cbranch_execz .LBB992_14
; %bb.13:
	v_lshlrev_b32_e32 v5, 2, v25
	s_delay_alu instid0(VALU_DEP_1) | instskip(NEXT) | instid1(VALU_DEP_1)
	v_add_co_u32 v5, s7, s29, v5
	v_add_co_ci_u32_e64 v6, null, s28, 0, s7
	flat_load_b32 v5, v[5:6]
.LBB992_14:
	s_or_b32 exec_lo, exec_lo, s6
	v_or_b32_e32 v27, 0x500, v0
                                        ; implicit-def: $vgpr6
	s_delay_alu instid0(VALU_DEP_1) | instskip(NEXT) | instid1(VALU_DEP_1)
	v_cmp_gt_u32_e64 s6, s26, v27
	s_and_saveexec_b32 s7, s6
	s_cbranch_execz .LBB992_16
; %bb.15:
	v_lshlrev_b32_e32 v6, 2, v27
	s_delay_alu instid0(VALU_DEP_1) | instskip(NEXT) | instid1(VALU_DEP_1)
	v_add_co_u32 v6, s8, s29, v6
	v_add_co_ci_u32_e64 v7, null, s28, 0, s8
	flat_load_b32 v6, v[6:7]
.LBB992_16:
	s_or_b32 exec_lo, exec_lo, s7
	v_or_b32_e32 v29, 0x600, v0
                                        ; implicit-def: $vgpr7
	s_delay_alu instid0(VALU_DEP_1) | instskip(NEXT) | instid1(VALU_DEP_1)
	v_cmp_gt_u32_e64 s7, s26, v29
	s_and_saveexec_b32 s8, s7
	s_cbranch_execz .LBB992_18
; %bb.17:
	v_lshlrev_b32_e32 v7, 2, v29
	s_delay_alu instid0(VALU_DEP_1) | instskip(NEXT) | instid1(VALU_DEP_1)
	v_add_co_u32 v7, s9, s29, v7
	v_add_co_ci_u32_e64 v8, null, s28, 0, s9
	flat_load_b32 v7, v[7:8]
.LBB992_18:
	s_or_b32 exec_lo, exec_lo, s8
	v_or_b32_e32 v31, 0x700, v0
                                        ; implicit-def: $vgpr8
	s_delay_alu instid0(VALU_DEP_1) | instskip(NEXT) | instid1(VALU_DEP_1)
	v_cmp_gt_u32_e64 s8, s26, v31
	s_and_saveexec_b32 s9, s8
	s_cbranch_execz .LBB992_20
; %bb.19:
	v_lshlrev_b32_e32 v8, 2, v31
	s_delay_alu instid0(VALU_DEP_1) | instskip(NEXT) | instid1(VALU_DEP_1)
	v_add_co_u32 v8, s10, s29, v8
	v_add_co_ci_u32_e64 v9, null, s28, 0, s10
	flat_load_b32 v8, v[8:9]
.LBB992_20:
	s_or_b32 exec_lo, exec_lo, s9
	v_or_b32_e32 v33, 0x800, v0
                                        ; implicit-def: $vgpr9
	s_delay_alu instid0(VALU_DEP_1) | instskip(NEXT) | instid1(VALU_DEP_1)
	v_cmp_gt_u32_e64 s9, s26, v33
	s_and_saveexec_b32 s10, s9
	s_cbranch_execz .LBB992_22
; %bb.21:
	v_lshlrev_b32_e32 v9, 2, v33
	s_delay_alu instid0(VALU_DEP_1) | instskip(NEXT) | instid1(VALU_DEP_1)
	v_add_co_u32 v9, s11, s29, v9
	v_add_co_ci_u32_e64 v10, null, s28, 0, s11
	flat_load_b32 v9, v[9:10]
.LBB992_22:
	s_or_b32 exec_lo, exec_lo, s10
	v_or_b32_e32 v35, 0x900, v0
                                        ; implicit-def: $vgpr10
	s_delay_alu instid0(VALU_DEP_1) | instskip(NEXT) | instid1(VALU_DEP_1)
	v_cmp_gt_u32_e64 s10, s26, v35
	s_and_saveexec_b32 s11, s10
	s_cbranch_execz .LBB992_24
; %bb.23:
	v_lshlrev_b32_e32 v10, 2, v35
	s_delay_alu instid0(VALU_DEP_1) | instskip(NEXT) | instid1(VALU_DEP_1)
	v_add_co_u32 v10, s12, s29, v10
	v_add_co_ci_u32_e64 v11, null, s28, 0, s12
	flat_load_b32 v10, v[10:11]
.LBB992_24:
	s_or_b32 exec_lo, exec_lo, s11
	v_or_b32_e32 v37, 0xa00, v0
                                        ; implicit-def: $vgpr11
	s_delay_alu instid0(VALU_DEP_1) | instskip(NEXT) | instid1(VALU_DEP_1)
	v_cmp_gt_u32_e64 s11, s26, v37
	s_and_saveexec_b32 s12, s11
	s_cbranch_execz .LBB992_26
; %bb.25:
	v_lshlrev_b32_e32 v11, 2, v37
	s_delay_alu instid0(VALU_DEP_1) | instskip(NEXT) | instid1(VALU_DEP_1)
	v_add_co_u32 v11, s13, s29, v11
	v_add_co_ci_u32_e64 v12, null, s28, 0, s13
	flat_load_b32 v11, v[11:12]
.LBB992_26:
	s_or_b32 exec_lo, exec_lo, s12
	v_or_b32_e32 v39, 0xb00, v0
                                        ; implicit-def: $vgpr12
	s_delay_alu instid0(VALU_DEP_1) | instskip(NEXT) | instid1(VALU_DEP_1)
	v_cmp_gt_u32_e64 s12, s26, v39
	s_and_saveexec_b32 s13, s12
	s_cbranch_execz .LBB992_28
; %bb.27:
	v_lshlrev_b32_e32 v12, 2, v39
	s_delay_alu instid0(VALU_DEP_1) | instskip(NEXT) | instid1(VALU_DEP_1)
	v_add_co_u32 v12, s14, s29, v12
	v_add_co_ci_u32_e64 v13, null, s28, 0, s14
	flat_load_b32 v12, v[12:13]
.LBB992_28:
	s_or_b32 exec_lo, exec_lo, s13
	v_or_b32_e32 v41, 0xc00, v0
                                        ; implicit-def: $vgpr13
	s_delay_alu instid0(VALU_DEP_1) | instskip(NEXT) | instid1(VALU_DEP_1)
	v_cmp_gt_u32_e64 s13, s26, v41
	s_and_saveexec_b32 s14, s13
	s_cbranch_execz .LBB992_30
; %bb.29:
	v_lshlrev_b32_e32 v13, 2, v41
	s_delay_alu instid0(VALU_DEP_1) | instskip(NEXT) | instid1(VALU_DEP_1)
	v_add_co_u32 v13, s16, s29, v13
	v_add_co_ci_u32_e64 v14, null, s28, 0, s16
	flat_load_b32 v13, v[13:14]
.LBB992_30:
	s_or_b32 exec_lo, exec_lo, s14
	v_or_b32_e32 v43, 0xd00, v0
                                        ; implicit-def: $vgpr14
	s_delay_alu instid0(VALU_DEP_1) | instskip(NEXT) | instid1(VALU_DEP_1)
	v_cmp_gt_u32_e64 s14, s26, v43
	s_and_saveexec_b32 s16, s14
	s_cbranch_execz .LBB992_32
; %bb.31:
	v_lshlrev_b32_e32 v14, 2, v43
	s_delay_alu instid0(VALU_DEP_1) | instskip(NEXT) | instid1(VALU_DEP_1)
	v_add_co_u32 v14, s22, s29, v14
	v_add_co_ci_u32_e64 v15, null, s28, 0, s22
	flat_load_b32 v14, v[14:15]
.LBB992_32:
	s_or_b32 exec_lo, exec_lo, s16
	v_or_b32_e32 v48, 0xe00, v0
                                        ; implicit-def: $vgpr15
	s_delay_alu instid0(VALU_DEP_1) | instskip(NEXT) | instid1(VALU_DEP_1)
	v_cmp_gt_u32_e64 s16, s26, v48
	s_and_saveexec_b32 s22, s16
	s_cbranch_execz .LBB992_34
; %bb.33:
	v_lshlrev_b32_e32 v15, 2, v48
	s_delay_alu instid0(VALU_DEP_1) | instskip(NEXT) | instid1(VALU_DEP_1)
	v_add_co_u32 v15, s23, s29, v15
	v_add_co_ci_u32_e64 v16, null, s28, 0, s23
	flat_load_b32 v15, v[15:16]
.LBB992_34:
	s_or_b32 exec_lo, exec_lo, s22
	v_mad_u32_u24 v46, v0, 56, v74
	s_waitcnt vmcnt(0) lgkmcnt(0)
	ds_store_2addr_stride64_b32 v74, v1, v2 offset1:4
	ds_store_2addr_stride64_b32 v74, v3, v4 offset0:8 offset1:12
	ds_store_2addr_stride64_b32 v74, v5, v6 offset0:16 offset1:20
	;; [unrolled: 1-line block ×6, first 2 shown]
	ds_store_b32 v74, v15 offset:14336
	s_waitcnt lgkmcnt(0)
	s_barrier
	buffer_gl0_inv
	ds_load_2addr_b32 v[13:14], v46 offset1:1
	ds_load_2addr_b32 v[11:12], v46 offset0:2 offset1:3
	ds_load_2addr_b32 v[9:10], v46 offset0:4 offset1:5
	;; [unrolled: 1-line block ×6, first 2 shown]
	ds_load_b32 v81, v46 offset:56
	s_waitcnt lgkmcnt(0)
	s_barrier
	buffer_gl0_inv
                                        ; implicit-def: $vgpr15_vgpr16
	s_and_saveexec_b32 s22, vcc_lo
	s_cbranch_execz .LBB992_48
; %bb.35:
	v_lshlrev_b32_e32 v15, 3, v0
	s_delay_alu instid0(VALU_DEP_1) | instskip(NEXT) | instid1(VALU_DEP_1)
	v_add_co_u32 v15, s23, s20, v15
	v_add_co_ci_u32_e64 v16, null, s21, 0, s23
	flat_load_b64 v[15:16], v[15:16]
	s_or_b32 exec_lo, exec_lo, s22
                                        ; implicit-def: $vgpr17_vgpr18
	s_and_saveexec_b32 s22, s2
	s_cbranch_execnz .LBB992_49
.LBB992_36:
	s_or_b32 exec_lo, exec_lo, s22
                                        ; implicit-def: $vgpr19_vgpr20
	s_and_saveexec_b32 s2, s3
	s_cbranch_execz .LBB992_50
.LBB992_37:
	v_lshlrev_b32_e32 v19, 3, v21
	s_delay_alu instid0(VALU_DEP_1) | instskip(NEXT) | instid1(VALU_DEP_1)
	v_add_co_u32 v19, s3, s20, v19
	v_add_co_ci_u32_e64 v20, null, s21, 0, s3
	flat_load_b64 v[19:20], v[19:20]
	s_or_b32 exec_lo, exec_lo, s2
                                        ; implicit-def: $vgpr21_vgpr22
	s_and_saveexec_b32 s2, s4
	s_cbranch_execnz .LBB992_51
.LBB992_38:
	s_or_b32 exec_lo, exec_lo, s2
                                        ; implicit-def: $vgpr23_vgpr24
	s_and_saveexec_b32 s2, s5
	s_cbranch_execz .LBB992_52
.LBB992_39:
	v_lshlrev_b32_e32 v23, 3, v25
	s_delay_alu instid0(VALU_DEP_1) | instskip(NEXT) | instid1(VALU_DEP_1)
	v_add_co_u32 v23, s3, s20, v23
	v_add_co_ci_u32_e64 v24, null, s21, 0, s3
	flat_load_b64 v[23:24], v[23:24]
	s_or_b32 exec_lo, exec_lo, s2
                                        ; implicit-def: $vgpr25_vgpr26
	s_and_saveexec_b32 s2, s6
	s_cbranch_execnz .LBB992_53
.LBB992_40:
	s_or_b32 exec_lo, exec_lo, s2
                                        ; implicit-def: $vgpr27_vgpr28
	s_and_saveexec_b32 s2, s7
	s_cbranch_execz .LBB992_54
.LBB992_41:
	v_lshlrev_b32_e32 v27, 3, v29
	s_delay_alu instid0(VALU_DEP_1) | instskip(NEXT) | instid1(VALU_DEP_1)
	v_add_co_u32 v27, s3, s20, v27
	v_add_co_ci_u32_e64 v28, null, s21, 0, s3
	flat_load_b64 v[27:28], v[27:28]
	s_or_b32 exec_lo, exec_lo, s2
                                        ; implicit-def: $vgpr29_vgpr30
	s_and_saveexec_b32 s2, s8
	s_cbranch_execnz .LBB992_55
.LBB992_42:
	s_or_b32 exec_lo, exec_lo, s2
                                        ; implicit-def: $vgpr31_vgpr32
	s_and_saveexec_b32 s2, s9
	s_cbranch_execz .LBB992_56
.LBB992_43:
	v_lshlrev_b32_e32 v31, 3, v33
	s_delay_alu instid0(VALU_DEP_1) | instskip(NEXT) | instid1(VALU_DEP_1)
	v_add_co_u32 v31, s3, s20, v31
	v_add_co_ci_u32_e64 v32, null, s21, 0, s3
	flat_load_b64 v[31:32], v[31:32]
	s_or_b32 exec_lo, exec_lo, s2
                                        ; implicit-def: $vgpr33_vgpr34
	s_and_saveexec_b32 s2, s10
	s_cbranch_execnz .LBB992_57
.LBB992_44:
	s_or_b32 exec_lo, exec_lo, s2
                                        ; implicit-def: $vgpr35_vgpr36
	s_and_saveexec_b32 s2, s11
	s_cbranch_execz .LBB992_58
.LBB992_45:
	v_lshlrev_b32_e32 v35, 3, v37
	s_delay_alu instid0(VALU_DEP_1) | instskip(NEXT) | instid1(VALU_DEP_1)
	v_add_co_u32 v35, s3, s20, v35
	v_add_co_ci_u32_e64 v36, null, s21, 0, s3
	flat_load_b64 v[35:36], v[35:36]
	s_or_b32 exec_lo, exec_lo, s2
                                        ; implicit-def: $vgpr37_vgpr38
	s_and_saveexec_b32 s2, s12
	s_cbranch_execnz .LBB992_59
.LBB992_46:
	s_or_b32 exec_lo, exec_lo, s2
                                        ; implicit-def: $vgpr39_vgpr40
	s_and_saveexec_b32 s2, s13
	s_cbranch_execz .LBB992_60
.LBB992_47:
	v_lshlrev_b32_e32 v39, 3, v41
	s_delay_alu instid0(VALU_DEP_1) | instskip(NEXT) | instid1(VALU_DEP_1)
	v_add_co_u32 v39, s3, s20, v39
	v_add_co_ci_u32_e64 v40, null, s21, 0, s3
	flat_load_b64 v[39:40], v[39:40]
	s_or_b32 exec_lo, exec_lo, s2
                                        ; implicit-def: $vgpr41_vgpr42
	s_and_saveexec_b32 s2, s14
	s_cbranch_execz .LBB992_62
	s_branch .LBB992_61
.LBB992_48:
	s_or_b32 exec_lo, exec_lo, s22
                                        ; implicit-def: $vgpr17_vgpr18
	s_and_saveexec_b32 s22, s2
	s_cbranch_execz .LBB992_36
.LBB992_49:
	v_lshlrev_b32_e32 v17, 3, v0
	s_delay_alu instid0(VALU_DEP_1) | instskip(NEXT) | instid1(VALU_DEP_1)
	v_add_co_u32 v17, s2, s20, v17
	v_add_co_ci_u32_e64 v18, null, s21, 0, s2
	flat_load_b64 v[17:18], v[17:18] offset:2048
	s_or_b32 exec_lo, exec_lo, s22
                                        ; implicit-def: $vgpr19_vgpr20
	s_and_saveexec_b32 s2, s3
	s_cbranch_execnz .LBB992_37
.LBB992_50:
	s_or_b32 exec_lo, exec_lo, s2
                                        ; implicit-def: $vgpr21_vgpr22
	s_and_saveexec_b32 s2, s4
	s_cbranch_execz .LBB992_38
.LBB992_51:
	v_lshlrev_b32_e32 v21, 3, v23
	s_delay_alu instid0(VALU_DEP_1) | instskip(NEXT) | instid1(VALU_DEP_1)
	v_add_co_u32 v21, s3, s20, v21
	v_add_co_ci_u32_e64 v22, null, s21, 0, s3
	flat_load_b64 v[21:22], v[21:22]
	s_or_b32 exec_lo, exec_lo, s2
                                        ; implicit-def: $vgpr23_vgpr24
	s_and_saveexec_b32 s2, s5
	s_cbranch_execnz .LBB992_39
.LBB992_52:
	s_or_b32 exec_lo, exec_lo, s2
                                        ; implicit-def: $vgpr25_vgpr26
	s_and_saveexec_b32 s2, s6
	s_cbranch_execz .LBB992_40
.LBB992_53:
	v_lshlrev_b32_e32 v25, 3, v27
	s_delay_alu instid0(VALU_DEP_1) | instskip(NEXT) | instid1(VALU_DEP_1)
	v_add_co_u32 v25, s3, s20, v25
	v_add_co_ci_u32_e64 v26, null, s21, 0, s3
	flat_load_b64 v[25:26], v[25:26]
	s_or_b32 exec_lo, exec_lo, s2
                                        ; implicit-def: $vgpr27_vgpr28
	s_and_saveexec_b32 s2, s7
	s_cbranch_execnz .LBB992_41
.LBB992_54:
	s_or_b32 exec_lo, exec_lo, s2
                                        ; implicit-def: $vgpr29_vgpr30
	s_and_saveexec_b32 s2, s8
	s_cbranch_execz .LBB992_42
.LBB992_55:
	v_lshlrev_b32_e32 v29, 3, v31
	s_delay_alu instid0(VALU_DEP_1) | instskip(NEXT) | instid1(VALU_DEP_1)
	v_add_co_u32 v29, s3, s20, v29
	v_add_co_ci_u32_e64 v30, null, s21, 0, s3
	flat_load_b64 v[29:30], v[29:30]
	s_or_b32 exec_lo, exec_lo, s2
                                        ; implicit-def: $vgpr31_vgpr32
	s_and_saveexec_b32 s2, s9
	s_cbranch_execnz .LBB992_43
.LBB992_56:
	s_or_b32 exec_lo, exec_lo, s2
                                        ; implicit-def: $vgpr33_vgpr34
	s_and_saveexec_b32 s2, s10
	s_cbranch_execz .LBB992_44
.LBB992_57:
	v_lshlrev_b32_e32 v33, 3, v35
	s_delay_alu instid0(VALU_DEP_1) | instskip(NEXT) | instid1(VALU_DEP_1)
	v_add_co_u32 v33, s3, s20, v33
	v_add_co_ci_u32_e64 v34, null, s21, 0, s3
	flat_load_b64 v[33:34], v[33:34]
	s_or_b32 exec_lo, exec_lo, s2
                                        ; implicit-def: $vgpr35_vgpr36
	s_and_saveexec_b32 s2, s11
	s_cbranch_execnz .LBB992_45
.LBB992_58:
	s_or_b32 exec_lo, exec_lo, s2
                                        ; implicit-def: $vgpr37_vgpr38
	s_and_saveexec_b32 s2, s12
	s_cbranch_execz .LBB992_46
.LBB992_59:
	v_lshlrev_b32_e32 v37, 3, v39
	s_delay_alu instid0(VALU_DEP_1) | instskip(NEXT) | instid1(VALU_DEP_1)
	v_add_co_u32 v37, s3, s20, v37
	v_add_co_ci_u32_e64 v38, null, s21, 0, s3
	flat_load_b64 v[37:38], v[37:38]
	s_or_b32 exec_lo, exec_lo, s2
                                        ; implicit-def: $vgpr39_vgpr40
	s_and_saveexec_b32 s2, s13
	s_cbranch_execnz .LBB992_47
.LBB992_60:
	s_or_b32 exec_lo, exec_lo, s2
                                        ; implicit-def: $vgpr41_vgpr42
	s_and_saveexec_b32 s2, s14
	s_cbranch_execz .LBB992_62
.LBB992_61:
	v_lshlrev_b32_e32 v41, 3, v43
	s_delay_alu instid0(VALU_DEP_1) | instskip(NEXT) | instid1(VALU_DEP_1)
	v_add_co_u32 v41, s3, s20, v41
	v_add_co_ci_u32_e64 v42, null, s21, 0, s3
	flat_load_b64 v[41:42], v[41:42]
.LBB992_62:
	s_or_b32 exec_lo, exec_lo, s2
	v_mul_u32_u24_e32 v50, 15, v0
                                        ; implicit-def: $vgpr43_vgpr44
	s_and_saveexec_b32 s2, s16
	s_cbranch_execz .LBB992_64
; %bb.63:
	v_lshlrev_b32_e32 v43, 3, v48
	s_delay_alu instid0(VALU_DEP_1) | instskip(NEXT) | instid1(VALU_DEP_1)
	v_add_co_u32 v43, s3, s20, v43
	v_add_co_ci_u32_e64 v44, null, s21, 0, s3
	flat_load_b64 v[43:44], v[43:44]
.LBB992_64:
	s_or_b32 exec_lo, exec_lo, s2
	s_delay_alu instid0(VALU_DEP_1)
	v_add_nc_u32_e32 v73, 1, v50
	v_add_nc_u32_e32 v72, 2, v50
	;; [unrolled: 1-line block ×10, first 2 shown]
	v_mad_i32_i24 v75, 0xffffffcc, v0, v46
	v_add_nc_u32_e32 v60, 11, v50
	v_add_nc_u32_e32 v58, 12, v50
	;; [unrolled: 1-line block ×4, first 2 shown]
	s_waitcnt vmcnt(0) lgkmcnt(0)
	ds_store_2addr_stride64_b64 v75, v[15:16], v[17:18] offset1:4
	ds_store_2addr_stride64_b64 v75, v[19:20], v[21:22] offset0:8 offset1:12
	ds_store_2addr_stride64_b64 v75, v[23:24], v[25:26] offset0:16 offset1:20
	;; [unrolled: 1-line block ×6, first 2 shown]
	ds_store_b64 v75, v[43:44] offset:28672
	s_waitcnt lgkmcnt(0)
	s_barrier
.LBB992_65:
	v_lshlrev_b32_e32 v15, 3, v50
	v_lshlrev_b32_e32 v16, 3, v73
	;; [unrolled: 1-line block ×5, first 2 shown]
	s_waitcnt lgkmcnt(0)
	buffer_gl0_inv
	v_lshlrev_b32_e32 v20, 3, v66
	v_lshlrev_b32_e32 v21, 3, v64
	;; [unrolled: 1-line block ×3, first 2 shown]
	ds_load_b64 v[41:42], v15
	ds_load_b64 v[39:40], v16
	;; [unrolled: 1-line block ×8, first 2 shown]
	v_lshlrev_b32_e32 v15, 3, v56
	v_lshlrev_b32_e32 v16, 3, v54
	;; [unrolled: 1-line block ×7, first 2 shown]
	ds_load_b64 v[29:30], v15
	ds_load_b64 v[25:26], v16
	;; [unrolled: 1-line block ×7, first 2 shown]
	s_load_b128 s[20:23], s[0:1], 0x28
	s_cmp_eq_u64 s[24:25], 0
	s_waitcnt lgkmcnt(0)
	s_cselect_b32 s27, -1, 0
	s_cmp_lg_u64 s[24:25], 0
	s_barrier
	s_cselect_b32 s14, -1, 0
	s_and_b32 vcc_lo, exec_lo, s30
	buffer_gl0_inv
	s_cbranch_vccz .LBB992_71
; %bb.66:
	s_and_b32 vcc_lo, exec_lo, s14
	s_cbranch_vccz .LBB992_184
; %bb.67:
	v_add_co_u32 v72, s0, -4, s29
	s_delay_alu instid0(VALU_DEP_1)
	v_add_co_ci_u32_e64 v73, null, -1, s28, s0
	v_cmp_ne_u32_e32 vcc_lo, v2, v81
	v_cmp_ne_u32_e64 s0, v1, v2
	v_cmp_ne_u32_e64 s1, v4, v1
	flat_load_b32 v46, v[72:73]
	v_cmp_ne_u32_e64 s2, v3, v4
	v_cmp_ne_u32_e64 s3, v6, v3
	;; [unrolled: 1-line block ×11, first 2 shown]
	s_mov_b32 s30, -1
	s_mov_b32 s16, 0
	s_mov_b32 s31, exec_lo
	ds_store_b32 v74, v81
	s_waitcnt vmcnt(0) lgkmcnt(0)
	s_barrier
	buffer_gl0_inv
	v_cmpx_ne_u32_e32 0, v0
	s_cbranch_execz .LBB992_69
; %bb.68:
	v_add_nc_u32_e32 v46, -4, v74
	ds_load_b32 v46, v46
.LBB992_69:
	s_or_b32 exec_lo, exec_lo, s31
	v_cndmask_b32_e64 v88, 0, 1, vcc_lo
	v_cndmask_b32_e64 v82, 0, 1, s0
	v_cndmask_b32_e64 v83, 0, 1, s1
	;; [unrolled: 1-line block ×13, first 2 shown]
	s_waitcnt lgkmcnt(0)
	v_cmp_ne_u32_e64 s0, v46, v13
	s_and_b32 vcc_lo, exec_lo, s16
	s_cbranch_vccnz .LBB992_185
.LBB992_70:
                                        ; implicit-def: $sgpr1
	s_branch .LBB992_72
.LBB992_71:
	s_mov_b32 s30, 0
                                        ; implicit-def: $sgpr0
                                        ; implicit-def: $vgpr88
                                        ; implicit-def: $vgpr82
                                        ; implicit-def: $vgpr83
                                        ; implicit-def: $vgpr84
                                        ; implicit-def: $vgpr85
                                        ; implicit-def: $vgpr86
                                        ; implicit-def: $vgpr87
                                        ; implicit-def: $vgpr89
                                        ; implicit-def: $vgpr90
                                        ; implicit-def: $vgpr91
                                        ; implicit-def: $vgpr92
                                        ; implicit-def: $vgpr93
                                        ; implicit-def: $vgpr94
                                        ; implicit-def: $vgpr95
                                        ; implicit-def: $sgpr1
	s_cbranch_execnz .LBB992_188
.LBB992_72:
	v_mov_b32_e32 v96, s1
	s_and_saveexec_b32 s1, s30
.LBB992_73:
	v_cndmask_b32_e64 v96, 0, 1, s0
.LBB992_74:
	s_or_b32 exec_lo, exec_lo, s1
	s_delay_alu instid0(VALU_DEP_1)
	v_add3_u32 v45, v95, v96, v94
	v_cmp_eq_u32_e64 s12, 0, v95
	v_cmp_eq_u32_e64 s11, 0, v94
	;; [unrolled: 1-line block ×4, first 2 shown]
	v_add3_u32 v99, v45, v93, v92
	v_cmp_eq_u32_e64 s8, 0, v91
	v_cmp_eq_u32_e64 s7, 0, v90
	;; [unrolled: 1-line block ×9, first 2 shown]
	v_cmp_eq_u32_e32 vcc_lo, 0, v88
	v_mbcnt_lo_u32_b32 v97, -1, 0
	s_cmp_eq_u64 s[42:43], 0
	s_cselect_b32 s14, -1, 0
	s_cmp_lg_u32 s15, 0
	s_cbranch_scc0 .LBB992_137
; %bb.75:
	v_cndmask_b32_e64 v45, 0, v41, s12
	v_cndmask_b32_e64 v46, 0, v42, s12
	v_add3_u32 v47, v99, v91, v90
	s_delay_alu instid0(VALU_DEP_3) | instskip(NEXT) | instid1(VALU_DEP_1)
	v_add_co_u32 v45, s13, v45, v39
	v_add_co_ci_u32_e64 v46, s13, v46, v40, s13
	s_delay_alu instid0(VALU_DEP_3) | instskip(NEXT) | instid1(VALU_DEP_3)
	v_add3_u32 v47, v47, v89, v87
	v_cndmask_b32_e64 v45, 0, v45, s11
	s_delay_alu instid0(VALU_DEP_3) | instskip(NEXT) | instid1(VALU_DEP_3)
	v_cndmask_b32_e64 v46, 0, v46, s11
	v_add3_u32 v47, v47, v86, v85
	s_delay_alu instid0(VALU_DEP_3) | instskip(NEXT) | instid1(VALU_DEP_1)
	v_add_co_u32 v45, s13, v45, v37
	v_add_co_ci_u32_e64 v46, s13, v46, v38, s13
	s_delay_alu instid0(VALU_DEP_3) | instskip(NEXT) | instid1(VALU_DEP_3)
	v_add3_u32 v47, v47, v84, v83
	v_cndmask_b32_e64 v45, 0, v45, s10
	s_delay_alu instid0(VALU_DEP_3) | instskip(NEXT) | instid1(VALU_DEP_3)
	v_cndmask_b32_e64 v46, 0, v46, s10
	v_add3_u32 v49, v47, v82, v88
	s_delay_alu instid0(VALU_DEP_3) | instskip(NEXT) | instid1(VALU_DEP_1)
	v_add_co_u32 v45, s13, v45, v35
	v_add_co_ci_u32_e64 v46, s13, v46, v36, s13
	s_delay_alu instid0(VALU_DEP_2) | instskip(NEXT) | instid1(VALU_DEP_2)
	v_cndmask_b32_e64 v45, 0, v45, s9
	v_cndmask_b32_e64 v46, 0, v46, s9
	s_delay_alu instid0(VALU_DEP_2) | instskip(NEXT) | instid1(VALU_DEP_1)
	v_add_co_u32 v45, s13, v45, v33
	v_add_co_ci_u32_e64 v46, s13, v46, v34, s13
	s_delay_alu instid0(VALU_DEP_2) | instskip(NEXT) | instid1(VALU_DEP_2)
	v_cndmask_b32_e64 v45, 0, v45, s8
	v_cndmask_b32_e64 v46, 0, v46, s8
	s_delay_alu instid0(VALU_DEP_2) | instskip(NEXT) | instid1(VALU_DEP_1)
	;; [unrolled: 6-line block ×10, first 2 shown]
	v_add_co_u32 v45, s13, v45, v15
	v_add_co_ci_u32_e64 v46, s13, v46, v16, s13
	s_mov_b32 s13, exec_lo
	s_delay_alu instid0(VALU_DEP_1) | instskip(NEXT) | instid1(VALU_DEP_1)
	v_dual_cndmask_b32 v45, 0, v45 :: v_dual_cndmask_b32 v46, 0, v46
	v_add_co_u32 v47, vcc_lo, v45, v43
	s_delay_alu instid0(VALU_DEP_2) | instskip(SKIP_2) | instid1(VALU_DEP_4)
	v_add_co_ci_u32_e32 v48, vcc_lo, v46, v44, vcc_lo
	v_and_b32_e32 v45, 15, v97
	v_mov_b32_dpp v46, v49 row_shr:1 row_mask:0xf bank_mask:0xf
	v_mov_b32_dpp v50, v47 row_shr:1 row_mask:0xf bank_mask:0xf
	s_delay_alu instid0(VALU_DEP_4) | instskip(NEXT) | instid1(VALU_DEP_4)
	v_mov_b32_dpp v51, v48 row_shr:1 row_mask:0xf bank_mask:0xf
	v_cmpx_ne_u32_e32 0, v45
; %bb.76:
	v_cmp_eq_u32_e32 vcc_lo, 0, v49
	v_add_nc_u32_e32 v49, v46, v49
	s_delay_alu instid0(VALU_DEP_4) | instskip(NEXT) | instid1(VALU_DEP_1)
	v_dual_cndmask_b32 v51, 0, v51 :: v_dual_cndmask_b32 v50, 0, v50
	v_add_co_u32 v47, vcc_lo, v50, v47
	s_delay_alu instid0(VALU_DEP_2)
	v_add_co_ci_u32_e32 v48, vcc_lo, v51, v48, vcc_lo
; %bb.77:
	s_or_b32 exec_lo, exec_lo, s13
	v_mov_b32_dpp v46, v49 row_shr:2 row_mask:0xf bank_mask:0xf
	s_delay_alu instid0(VALU_DEP_3) | instskip(NEXT) | instid1(VALU_DEP_3)
	v_mov_b32_dpp v50, v47 row_shr:2 row_mask:0xf bank_mask:0xf
	v_mov_b32_dpp v51, v48 row_shr:2 row_mask:0xf bank_mask:0xf
	s_mov_b32 s13, exec_lo
	v_cmpx_lt_u32_e32 1, v45
; %bb.78:
	v_cmp_eq_u32_e32 vcc_lo, 0, v49
	v_add_nc_u32_e32 v49, v46, v49
	v_dual_cndmask_b32 v51, 0, v51 :: v_dual_cndmask_b32 v50, 0, v50
	s_delay_alu instid0(VALU_DEP_1) | instskip(NEXT) | instid1(VALU_DEP_2)
	v_add_co_u32 v47, vcc_lo, v50, v47
	v_add_co_ci_u32_e32 v48, vcc_lo, v51, v48, vcc_lo
; %bb.79:
	s_or_b32 exec_lo, exec_lo, s13
	v_mov_b32_dpp v46, v49 row_shr:4 row_mask:0xf bank_mask:0xf
	s_delay_alu instid0(VALU_DEP_3) | instskip(NEXT) | instid1(VALU_DEP_3)
	v_mov_b32_dpp v50, v47 row_shr:4 row_mask:0xf bank_mask:0xf
	v_mov_b32_dpp v51, v48 row_shr:4 row_mask:0xf bank_mask:0xf
	s_mov_b32 s13, exec_lo
	v_cmpx_lt_u32_e32 3, v45
; %bb.80:
	v_cmp_eq_u32_e32 vcc_lo, 0, v49
	v_add_nc_u32_e32 v49, v46, v49
	v_dual_cndmask_b32 v51, 0, v51 :: v_dual_cndmask_b32 v50, 0, v50
	s_delay_alu instid0(VALU_DEP_1) | instskip(NEXT) | instid1(VALU_DEP_2)
	v_add_co_u32 v47, vcc_lo, v50, v47
	;; [unrolled: 15-line block ×3, first 2 shown]
	v_add_co_ci_u32_e32 v48, vcc_lo, v45, v48, vcc_lo
; %bb.83:
	s_or_b32 exec_lo, exec_lo, s13
	ds_swizzle_b32 v45, v49 offset:swizzle(BROADCAST,32,15)
	ds_swizzle_b32 v46, v47 offset:swizzle(BROADCAST,32,15)
	;; [unrolled: 1-line block ×3, first 2 shown]
	v_and_b32_e32 v51, 16, v97
	s_mov_b32 s13, exec_lo
	s_delay_alu instid0(VALU_DEP_1)
	v_cmpx_ne_u32_e32 0, v51
	s_cbranch_execz .LBB992_85
; %bb.84:
	v_cmp_eq_u32_e32 vcc_lo, 0, v49
	s_waitcnt lgkmcnt(1)
	v_dual_cndmask_b32 v46, 0, v46 :: v_dual_add_nc_u32 v49, v45, v49
	s_waitcnt lgkmcnt(0)
	v_cndmask_b32_e32 v50, 0, v50, vcc_lo
	s_delay_alu instid0(VALU_DEP_2) | instskip(NEXT) | instid1(VALU_DEP_2)
	v_add_co_u32 v47, vcc_lo, v46, v47
	v_add_co_ci_u32_e32 v48, vcc_lo, v50, v48, vcc_lo
.LBB992_85:
	s_or_b32 exec_lo, exec_lo, s13
	s_waitcnt lgkmcnt(1)
	v_lshrrev_b32_e32 v46, 5, v0
	v_or_b32_e32 v45, 31, v0
	s_mov_b32 s13, exec_lo
	s_waitcnt lgkmcnt(0)
	s_delay_alu instid0(VALU_DEP_2) | instskip(NEXT) | instid1(VALU_DEP_2)
	v_lshlrev_b32_e32 v50, 4, v46
	v_cmpx_eq_u32_e64 v45, v0
	s_cbranch_execz .LBB992_87
; %bb.86:
	ds_store_b32 v50, v49 offset:2080
	ds_store_b64 v50, v[47:48] offset:2088
.LBB992_87:
	s_or_b32 exec_lo, exec_lo, s13
	s_delay_alu instid0(SALU_CYCLE_1)
	s_mov_b32 s13, exec_lo
	s_waitcnt lgkmcnt(0)
	s_barrier
	buffer_gl0_inv
	v_cmpx_gt_u32_e32 8, v0
	s_cbranch_execz .LBB992_95
; %bb.88:
	v_lshlrev_b32_e32 v51, 4, v0
	v_and_b32_e32 v53, 7, v97
	s_mov_b32 s16, exec_lo
	ds_load_b32 v52, v51 offset:2080
	ds_load_b64 v[45:46], v51 offset:2088
	s_waitcnt lgkmcnt(1)
	v_mov_b32_dpp v54, v52 row_shr:1 row_mask:0xf bank_mask:0xf
	s_waitcnt lgkmcnt(0)
	v_mov_b32_dpp v55, v45 row_shr:1 row_mask:0xf bank_mask:0xf
	v_mov_b32_dpp v56, v46 row_shr:1 row_mask:0xf bank_mask:0xf
	v_cmpx_ne_u32_e32 0, v53
; %bb.89:
	v_cmp_eq_u32_e32 vcc_lo, 0, v52
	v_add_nc_u32_e32 v52, v54, v52
	s_delay_alu instid0(VALU_DEP_4) | instskip(NEXT) | instid1(VALU_DEP_1)
	v_dual_cndmask_b32 v56, 0, v56 :: v_dual_cndmask_b32 v55, 0, v55
	v_add_co_u32 v45, vcc_lo, v55, v45
	s_delay_alu instid0(VALU_DEP_2)
	v_add_co_ci_u32_e32 v46, vcc_lo, v56, v46, vcc_lo
; %bb.90:
	s_or_b32 exec_lo, exec_lo, s16
	v_mov_b32_dpp v54, v52 row_shr:2 row_mask:0xf bank_mask:0xf
	s_delay_alu instid0(VALU_DEP_3) | instskip(NEXT) | instid1(VALU_DEP_3)
	v_mov_b32_dpp v55, v45 row_shr:2 row_mask:0xf bank_mask:0xf
	v_mov_b32_dpp v56, v46 row_shr:2 row_mask:0xf bank_mask:0xf
	s_mov_b32 s16, exec_lo
	v_cmpx_lt_u32_e32 1, v53
; %bb.91:
	v_cmp_eq_u32_e32 vcc_lo, 0, v52
	v_add_nc_u32_e32 v52, v54, v52
	v_dual_cndmask_b32 v56, 0, v56 :: v_dual_cndmask_b32 v55, 0, v55
	s_delay_alu instid0(VALU_DEP_1) | instskip(NEXT) | instid1(VALU_DEP_2)
	v_add_co_u32 v45, vcc_lo, v55, v45
	v_add_co_ci_u32_e32 v46, vcc_lo, v56, v46, vcc_lo
; %bb.92:
	s_or_b32 exec_lo, exec_lo, s16
	v_mov_b32_dpp v54, v52 row_shr:4 row_mask:0xf bank_mask:0xf
	s_delay_alu instid0(VALU_DEP_3) | instskip(NEXT) | instid1(VALU_DEP_3)
	v_mov_b32_dpp v55, v45 row_shr:4 row_mask:0xf bank_mask:0xf
	v_mov_b32_dpp v56, v46 row_shr:4 row_mask:0xf bank_mask:0xf
	s_mov_b32 s16, exec_lo
	v_cmpx_lt_u32_e32 3, v53
; %bb.93:
	v_cmp_eq_u32_e32 vcc_lo, 0, v52
	v_dual_cndmask_b32 v55, 0, v55 :: v_dual_add_nc_u32 v52, v54, v52
	v_cndmask_b32_e32 v53, 0, v56, vcc_lo
	s_delay_alu instid0(VALU_DEP_2) | instskip(NEXT) | instid1(VALU_DEP_2)
	v_add_co_u32 v45, vcc_lo, v55, v45
	v_add_co_ci_u32_e32 v46, vcc_lo, v53, v46, vcc_lo
; %bb.94:
	s_or_b32 exec_lo, exec_lo, s16
	ds_store_b32 v51, v52 offset:2080
	ds_store_b64 v51, v[45:46] offset:2088
.LBB992_95:
	s_or_b32 exec_lo, exec_lo, s13
	v_mov_b32_e32 v45, 0
	v_cmp_gt_u32_e32 vcc_lo, 32, v0
	v_dual_mov_b32 v46, 0 :: v_dual_mov_b32 v55, 0
	s_mov_b32 s16, exec_lo
	s_waitcnt lgkmcnt(0)
	s_barrier
	buffer_gl0_inv
	v_cmpx_lt_u32_e32 31, v0
	s_cbranch_execz .LBB992_97
; %bb.96:
	ds_load_b64 v[45:46], v50 offset:2072
	ds_load_b32 v55, v50 offset:2064
	v_cmp_eq_u32_e64 s13, 0, v49
	s_waitcnt lgkmcnt(1)
	s_delay_alu instid0(VALU_DEP_1) | instskip(SKIP_3) | instid1(VALU_DEP_3)
	v_cndmask_b32_e64 v51, 0, v45, s13
	v_cndmask_b32_e64 v50, 0, v46, s13
	s_waitcnt lgkmcnt(0)
	v_add_nc_u32_e32 v49, v55, v49
	v_add_co_u32 v47, s13, v51, v47
	s_delay_alu instid0(VALU_DEP_1)
	v_add_co_ci_u32_e64 v48, s13, v50, v48, s13
.LBB992_97:
	s_or_b32 exec_lo, exec_lo, s16
	v_add_nc_u32_e32 v50, -1, v97
	s_delay_alu instid0(VALU_DEP_1) | instskip(NEXT) | instid1(VALU_DEP_1)
	v_cmp_gt_i32_e64 s13, 0, v50
	v_cndmask_b32_e64 v50, v50, v97, s13
	v_cmp_eq_u32_e64 s13, 0, v97
	s_delay_alu instid0(VALU_DEP_2)
	v_lshlrev_b32_e32 v50, 2, v50
	ds_bpermute_b32 v58, v50, v49
	ds_bpermute_b32 v57, v50, v47
	;; [unrolled: 1-line block ×3, first 2 shown]
	s_and_saveexec_b32 s16, vcc_lo
	s_cbranch_execz .LBB992_136
; %bb.98:
	v_mov_b32_e32 v51, 0
	ds_load_b32 v59, v51 offset:2192
	ds_load_b64 v[47:48], v51 offset:2200
	s_and_saveexec_b32 s24, s13
	s_cbranch_execz .LBB992_100
; %bb.99:
	s_add_i32 s28, s15, 32
	s_mov_b32 s29, 0
	v_dual_mov_b32 v49, s28 :: v_dual_mov_b32 v50, 1
	s_lshl_b64 s[30:31], s[28:29], 4
	s_delay_alu instid0(SALU_CYCLE_1)
	s_add_u32 s28, s36, s30
	s_addc_u32 s29, s37, s31
	s_waitcnt lgkmcnt(1)
	global_store_b32 v51, v59, s[28:29]
	s_waitcnt lgkmcnt(0)
	global_store_b64 v51, v[47:48], s[28:29] offset:8
	s_waitcnt_vscnt null, 0x0
	buffer_gl1_inv
	buffer_gl0_inv
	global_store_b8 v49, v50, s[40:41]
.LBB992_100:
	s_or_b32 exec_lo, exec_lo, s24
	v_xad_u32 v49, v97, -1, s15
	s_mov_b32 s25, 0
	s_mov_b32 s24, exec_lo
	s_delay_alu instid0(VALU_DEP_1)
	v_add_nc_u32_e32 v50, 32, v49
	global_load_u8 v60, v50, s[40:41] glc
	s_waitcnt vmcnt(0)
	v_cmpx_eq_u16_e32 0, v60
	s_cbranch_execz .LBB992_104
; %bb.101:
	v_add_co_u32 v52, s28, s40, v50
	s_delay_alu instid0(VALU_DEP_1)
	v_add_co_ci_u32_e64 v53, null, s41, 0, s28
.LBB992_102:                            ; =>This Inner Loop Header: Depth=1
	global_load_u8 v60, v[52:53], off glc
	s_waitcnt vmcnt(0)
	v_cmp_ne_u16_e32 vcc_lo, 0, v60
	s_or_b32 s25, vcc_lo, s25
	s_delay_alu instid0(SALU_CYCLE_1)
	s_and_not1_b32 exec_lo, exec_lo, s25
	s_cbranch_execnz .LBB992_102
; %bb.103:
	s_or_b32 exec_lo, exec_lo, s25
.LBB992_104:
	s_delay_alu instid0(SALU_CYCLE_1)
	s_or_b32 exec_lo, exec_lo, s24
	v_dual_mov_b32 v52, s37 :: v_dual_mov_b32 v53, s36
	v_cmp_eq_u16_e32 vcc_lo, 1, v60
	v_lshlrev_b64 v[50:51], 4, v[50:51]
	s_waitcnt lgkmcnt(0)
	s_waitcnt_vscnt null, 0x0
	buffer_gl1_inv
	buffer_gl0_inv
	v_lshlrev_b32_e64 v62, v97, -1
	s_mov_b32 s24, exec_lo
	v_cndmask_b32_e32 v53, s38, v53, vcc_lo
	v_cndmask_b32_e32 v52, s39, v52, vcc_lo
	s_delay_alu instid0(VALU_DEP_2) | instskip(NEXT) | instid1(VALU_DEP_2)
	v_add_co_u32 v50, vcc_lo, v53, v50
	v_add_co_ci_u32_e32 v51, vcc_lo, v52, v51, vcc_lo
	v_cmp_ne_u32_e32 vcc_lo, 31, v97
	s_clause 0x1
	global_load_b32 v72, v[50:51], off
	global_load_b64 v[53:54], v[50:51], off offset:8
	v_add_co_ci_u32_e32 v50, vcc_lo, 0, v97, vcc_lo
	v_cmp_eq_u16_e32 vcc_lo, 2, v60
	s_delay_alu instid0(VALU_DEP_2) | instskip(SKIP_1) | instid1(VALU_DEP_1)
	v_lshlrev_b32_e32 v61, 2, v50
	v_and_or_b32 v50, vcc_lo, v62, 0x80000000
	v_ctz_i32_b32_e32 v50, v50
	s_waitcnt vmcnt(1)
	ds_bpermute_b32 v51, v61, v72
	s_waitcnt vmcnt(0)
	ds_bpermute_b32 v52, v61, v53
	ds_bpermute_b32 v63, v61, v54
	v_cmpx_lt_u32_e64 v97, v50
	s_cbranch_execz .LBB992_106
; %bb.105:
	v_cmp_eq_u32_e32 vcc_lo, 0, v72
	s_waitcnt lgkmcnt(0)
	v_dual_cndmask_b32 v63, 0, v63 :: v_dual_add_nc_u32 v72, v51, v72
	v_cndmask_b32_e32 v52, 0, v52, vcc_lo
	s_delay_alu instid0(VALU_DEP_1) | instskip(NEXT) | instid1(VALU_DEP_3)
	v_add_co_u32 v53, vcc_lo, v52, v53
	v_add_co_ci_u32_e32 v54, vcc_lo, v63, v54, vcc_lo
.LBB992_106:
	s_or_b32 exec_lo, exec_lo, s24
	v_cmp_gt_u32_e32 vcc_lo, 30, v97
	v_add_nc_u32_e32 v64, 2, v97
	s_mov_b32 s24, exec_lo
	s_waitcnt lgkmcnt(2)
	v_cndmask_b32_e64 v51, 0, 1, vcc_lo
	s_delay_alu instid0(VALU_DEP_1) | instskip(SKIP_1) | instid1(VALU_DEP_1)
	v_lshlrev_b32_e32 v51, 1, v51
	s_waitcnt lgkmcnt(0)
	v_add_lshl_u32 v63, v51, v97, 2
	ds_bpermute_b32 v51, v63, v72
	ds_bpermute_b32 v52, v63, v53
	ds_bpermute_b32 v65, v63, v54
	v_cmpx_le_u32_e64 v64, v50
	s_cbranch_execz .LBB992_108
; %bb.107:
	v_cmp_eq_u32_e32 vcc_lo, 0, v72
	s_waitcnt lgkmcnt(0)
	v_dual_cndmask_b32 v65, 0, v65 :: v_dual_add_nc_u32 v72, v51, v72
	v_cndmask_b32_e32 v52, 0, v52, vcc_lo
	s_delay_alu instid0(VALU_DEP_1) | instskip(NEXT) | instid1(VALU_DEP_3)
	v_add_co_u32 v53, vcc_lo, v52, v53
	v_add_co_ci_u32_e32 v54, vcc_lo, v65, v54, vcc_lo
.LBB992_108:
	s_or_b32 exec_lo, exec_lo, s24
	v_cmp_gt_u32_e32 vcc_lo, 28, v97
	v_add_nc_u32_e32 v66, 4, v97
	s_mov_b32 s24, exec_lo
	s_waitcnt lgkmcnt(2)
	v_cndmask_b32_e64 v51, 0, 1, vcc_lo
	s_delay_alu instid0(VALU_DEP_1) | instskip(SKIP_1) | instid1(VALU_DEP_1)
	v_lshlrev_b32_e32 v51, 2, v51
	s_waitcnt lgkmcnt(0)
	v_add_lshl_u32 v65, v51, v97, 2
	ds_bpermute_b32 v51, v65, v72
	ds_bpermute_b32 v52, v65, v53
	ds_bpermute_b32 v67, v65, v54
	v_cmpx_le_u32_e64 v66, v50
	;; [unrolled: 24-line block ×3, first 2 shown]
	s_cbranch_execz .LBB992_112
; %bb.111:
	v_cmp_eq_u32_e32 vcc_lo, 0, v72
	s_waitcnt lgkmcnt(0)
	v_dual_cndmask_b32 v69, 0, v69 :: v_dual_add_nc_u32 v72, v51, v72
	v_cndmask_b32_e32 v52, 0, v52, vcc_lo
	s_delay_alu instid0(VALU_DEP_1) | instskip(NEXT) | instid1(VALU_DEP_3)
	v_add_co_u32 v53, vcc_lo, v52, v53
	v_add_co_ci_u32_e32 v54, vcc_lo, v69, v54, vcc_lo
.LBB992_112:
	s_or_b32 exec_lo, exec_lo, s24
	v_cmp_gt_u32_e32 vcc_lo, 16, v97
	v_add_nc_u32_e32 v71, 16, v97
	s_mov_b32 s24, exec_lo
	s_waitcnt lgkmcnt(2)
	v_cndmask_b32_e64 v51, 0, 1, vcc_lo
	s_delay_alu instid0(VALU_DEP_1) | instskip(NEXT) | instid1(VALU_DEP_1)
	v_lshlrev_b32_e32 v51, 4, v51
	v_add_lshl_u32 v70, v51, v97, 2
	ds_bpermute_b32 v51, v70, v72
	s_waitcnt lgkmcnt(2)
	ds_bpermute_b32 v52, v70, v53
	s_waitcnt lgkmcnt(2)
	ds_bpermute_b32 v69, v70, v54
	v_cmpx_le_u32_e64 v71, v50
	s_cbranch_execz .LBB992_114
; %bb.113:
	v_cmp_eq_u32_e32 vcc_lo, 0, v72
	s_waitcnt lgkmcnt(2)
	v_add_nc_u32_e32 v72, v51, v72
	s_waitcnt lgkmcnt(1)
	v_cndmask_b32_e32 v52, 0, v52, vcc_lo
	s_waitcnt lgkmcnt(0)
	v_cndmask_b32_e32 v50, 0, v69, vcc_lo
	s_delay_alu instid0(VALU_DEP_2) | instskip(NEXT) | instid1(VALU_DEP_2)
	v_add_co_u32 v53, vcc_lo, v52, v53
	v_add_co_ci_u32_e32 v54, vcc_lo, v50, v54, vcc_lo
.LBB992_114:
	s_or_b32 exec_lo, exec_lo, s24
	v_mov_b32_e32 v50, 0
	s_branch .LBB992_116
.LBB992_115:                            ;   in Loop: Header=BB992_116 Depth=1
	s_or_b32 exec_lo, exec_lo, s24
	v_cmp_eq_u32_e32 vcc_lo, 0, v69
	v_subrev_nc_u32_e32 v49, 32, v49
	v_add_nc_u32_e32 v72, v72, v69
	v_dual_cndmask_b32 v54, 0, v54 :: v_dual_cndmask_b32 v53, 0, v53
	s_delay_alu instid0(VALU_DEP_1) | instskip(NEXT) | instid1(VALU_DEP_2)
	v_add_co_u32 v53, vcc_lo, v53, v51
	v_add_co_ci_u32_e32 v54, vcc_lo, v54, v52, vcc_lo
.LBB992_116:                            ; =>This Loop Header: Depth=1
                                        ;     Child Loop BB992_119 Depth 2
	s_waitcnt lgkmcnt(2)
	v_and_b32_e32 v51, 0xff, v60
	s_waitcnt lgkmcnt(0)
	v_mov_b32_e32 v69, v72
	s_delay_alu instid0(VALU_DEP_2) | instskip(SKIP_2) | instid1(VALU_DEP_1)
	v_cmp_ne_u16_e32 vcc_lo, 2, v51
	v_cndmask_b32_e64 v51, 0, 1, vcc_lo
	;;#ASMSTART
	;;#ASMEND
	v_cmp_ne_u32_e32 vcc_lo, 0, v51
	v_dual_mov_b32 v51, v53 :: v_dual_mov_b32 v52, v54
	s_cmp_lg_u32 vcc_lo, exec_lo
	s_cbranch_scc1 .LBB992_131
; %bb.117:                              ;   in Loop: Header=BB992_116 Depth=1
	global_load_u8 v60, v49, s[40:41] glc
	s_mov_b32 s24, exec_lo
	s_waitcnt vmcnt(0)
	v_cmpx_eq_u16_e32 0, v60
	s_cbranch_execz .LBB992_121
; %bb.118:                              ;   in Loop: Header=BB992_116 Depth=1
	v_add_co_u32 v53, s25, s40, v49
	s_delay_alu instid0(VALU_DEP_1)
	v_add_co_ci_u32_e64 v54, null, s41, 0, s25
	s_mov_b32 s25, 0
.LBB992_119:                            ;   Parent Loop BB992_116 Depth=1
                                        ; =>  This Inner Loop Header: Depth=2
	global_load_u8 v60, v[53:54], off glc
	s_waitcnt vmcnt(0)
	v_cmp_ne_u16_e32 vcc_lo, 0, v60
	s_or_b32 s25, vcc_lo, s25
	s_delay_alu instid0(SALU_CYCLE_1)
	s_and_not1_b32 exec_lo, exec_lo, s25
	s_cbranch_execnz .LBB992_119
; %bb.120:                              ;   in Loop: Header=BB992_116 Depth=1
	s_or_b32 exec_lo, exec_lo, s25
.LBB992_121:                            ;   in Loop: Header=BB992_116 Depth=1
	s_delay_alu instid0(SALU_CYCLE_1)
	s_or_b32 exec_lo, exec_lo, s24
	v_dual_mov_b32 v72, s37 :: v_dual_mov_b32 v73, s36
	v_cmp_eq_u16_e32 vcc_lo, 1, v60
	v_lshlrev_b64 v[53:54], 4, v[49:50]
	buffer_gl1_inv
	buffer_gl0_inv
	s_mov_b32 s24, exec_lo
	v_cndmask_b32_e32 v73, s38, v73, vcc_lo
	v_cndmask_b32_e32 v72, s39, v72, vcc_lo
	s_delay_alu instid0(VALU_DEP_2) | instskip(NEXT) | instid1(VALU_DEP_2)
	v_add_co_u32 v53, vcc_lo, v73, v53
	v_add_co_ci_u32_e32 v54, vcc_lo, v72, v54, vcc_lo
	v_cmp_eq_u16_e32 vcc_lo, 2, v60
	s_clause 0x1
	global_load_b32 v72, v[53:54], off
	global_load_b64 v[53:54], v[53:54], off offset:8
	v_and_or_b32 v73, vcc_lo, v62, 0x80000000
	s_delay_alu instid0(VALU_DEP_1)
	v_ctz_i32_b32_e32 v73, v73
	s_waitcnt vmcnt(1)
	ds_bpermute_b32 v74, v61, v72
	s_waitcnt vmcnt(0)
	ds_bpermute_b32 v75, v61, v53
	ds_bpermute_b32 v76, v61, v54
	v_cmpx_lt_u32_e64 v97, v73
	s_cbranch_execz .LBB992_123
; %bb.122:                              ;   in Loop: Header=BB992_116 Depth=1
	v_cmp_eq_u32_e32 vcc_lo, 0, v72
	s_waitcnt lgkmcnt(2)
	v_add_nc_u32_e32 v72, v74, v72
	s_waitcnt lgkmcnt(0)
	v_dual_cndmask_b32 v76, 0, v76 :: v_dual_cndmask_b32 v75, 0, v75
	s_delay_alu instid0(VALU_DEP_1) | instskip(NEXT) | instid1(VALU_DEP_2)
	v_add_co_u32 v53, vcc_lo, v75, v53
	v_add_co_ci_u32_e32 v54, vcc_lo, v76, v54, vcc_lo
.LBB992_123:                            ;   in Loop: Header=BB992_116 Depth=1
	s_or_b32 exec_lo, exec_lo, s24
	s_waitcnt lgkmcnt(2)
	ds_bpermute_b32 v74, v63, v72
	s_waitcnt lgkmcnt(2)
	ds_bpermute_b32 v75, v63, v53
	s_waitcnt lgkmcnt(2)
	ds_bpermute_b32 v76, v63, v54
	s_mov_b32 s24, exec_lo
	v_cmpx_le_u32_e64 v64, v73
	s_cbranch_execz .LBB992_125
; %bb.124:                              ;   in Loop: Header=BB992_116 Depth=1
	v_cmp_eq_u32_e32 vcc_lo, 0, v72
	s_waitcnt lgkmcnt(2)
	v_add_nc_u32_e32 v72, v74, v72
	s_waitcnt lgkmcnt(0)
	v_dual_cndmask_b32 v76, 0, v76 :: v_dual_cndmask_b32 v75, 0, v75
	s_delay_alu instid0(VALU_DEP_1) | instskip(NEXT) | instid1(VALU_DEP_2)
	v_add_co_u32 v53, vcc_lo, v75, v53
	v_add_co_ci_u32_e32 v54, vcc_lo, v76, v54, vcc_lo
.LBB992_125:                            ;   in Loop: Header=BB992_116 Depth=1
	s_or_b32 exec_lo, exec_lo, s24
	s_waitcnt lgkmcnt(2)
	ds_bpermute_b32 v74, v65, v72
	s_waitcnt lgkmcnt(2)
	ds_bpermute_b32 v75, v65, v53
	s_waitcnt lgkmcnt(2)
	ds_bpermute_b32 v76, v65, v54
	s_mov_b32 s24, exec_lo
	v_cmpx_le_u32_e64 v66, v73
	;; [unrolled: 20-line block ×4, first 2 shown]
	s_cbranch_execz .LBB992_115
; %bb.130:                              ;   in Loop: Header=BB992_116 Depth=1
	v_cmp_eq_u32_e32 vcc_lo, 0, v72
	s_waitcnt lgkmcnt(1)
	v_dual_cndmask_b32 v75, 0, v75 :: v_dual_add_nc_u32 v72, v74, v72
	s_waitcnt lgkmcnt(0)
	v_cndmask_b32_e32 v73, 0, v76, vcc_lo
	s_delay_alu instid0(VALU_DEP_2) | instskip(NEXT) | instid1(VALU_DEP_2)
	v_add_co_u32 v53, vcc_lo, v75, v53
	v_add_co_ci_u32_e32 v54, vcc_lo, v73, v54, vcc_lo
	s_branch .LBB992_115
.LBB992_131:                            ;   in Loop: Header=BB992_116 Depth=1
                                        ; implicit-def: $vgpr53_vgpr54
                                        ; implicit-def: $vgpr72
                                        ; implicit-def: $vgpr60
	s_cbranch_execz .LBB992_116
; %bb.132:
	s_and_saveexec_b32 s24, s13
	s_cbranch_execz .LBB992_134
; %bb.133:
	v_cmp_eq_u32_e32 vcc_lo, 0, v59
	s_mov_b32 s29, 0
	s_add_i32 s28, s15, 32
	v_dual_mov_b32 v54, 0 :: v_dual_add_nc_u32 v53, v69, v59
	v_dual_cndmask_b32 v50, 0, v52 :: v_dual_cndmask_b32 v49, 0, v51
	s_lshl_b64 s[30:31], s[28:29], 4
	v_dual_mov_b32 v60, s28 :: v_dual_mov_b32 v61, 2
	s_add_u32 s30, s38, s30
	s_delay_alu instid0(VALU_DEP_2)
	v_add_co_u32 v49, vcc_lo, v49, v47
	v_add_co_ci_u32_e32 v50, vcc_lo, v50, v48, vcc_lo
	s_addc_u32 s31, s39, s31
	s_clause 0x1
	global_store_b32 v54, v53, s[30:31]
	global_store_b64 v54, v[49:50], s[30:31] offset:8
	s_waitcnt lgkmcnt(0)
	s_waitcnt_vscnt null, 0x0
	buffer_gl1_inv
	buffer_gl0_inv
	global_store_b8 v60, v61, s[40:41]
	ds_store_b32 v54, v59 offset:2048
	ds_store_b64 v54, v[47:48] offset:2056
	ds_store_b32 v54, v69 offset:2064
	ds_store_b64 v54, v[51:52] offset:2072
.LBB992_134:
	s_or_b32 exec_lo, exec_lo, s24
	v_cmp_eq_u32_e32 vcc_lo, 0, v0
	s_and_b32 exec_lo, exec_lo, vcc_lo
	s_cbranch_execz .LBB992_136
; %bb.135:
	v_mov_b32_e32 v47, 0
	ds_store_b32 v47, v69 offset:2192
	ds_store_b64 v47, v[51:52] offset:2200
.LBB992_136:
	s_or_b32 exec_lo, exec_lo, s16
	s_waitcnt lgkmcnt(2)
	v_cndmask_b32_e64 v50, v58, v55, s13
	s_waitcnt lgkmcnt(0)
	s_waitcnt_vscnt null, 0x0
	s_barrier
	buffer_gl0_inv
	v_cndmask_b32_e64 v45, v57, v45, s13
	v_cmp_eq_u32_e32 vcc_lo, 0, v50
	v_mov_b32_e32 v49, 0
	v_cndmask_b32_e64 v46, v56, v46, s13
	ds_load_b64 v[47:48], v49 offset:2200
	s_waitcnt lgkmcnt(0)
	v_dual_cndmask_b32 v52, 0, v47 :: v_dual_cndmask_b32 v51, 0, v48
	s_delay_alu instid0(VALU_DEP_1) | instskip(NEXT) | instid1(VALU_DEP_2)
	v_add_co_u32 v45, vcc_lo, v52, v45
	v_add_co_ci_u32_e32 v46, vcc_lo, v51, v46, vcc_lo
	v_cmp_eq_u32_e32 vcc_lo, 0, v0
	v_cndmask_b32_e64 v50, v50, 0, vcc_lo
	s_delay_alu instid0(VALU_DEP_3)
	v_dual_cndmask_b32 v62, v46, v48 :: v_dual_cndmask_b32 v61, v45, v47
	v_cmp_eq_u32_e32 vcc_lo, 0, v96
	ds_load_b32 v48, v49 offset:2192
	s_waitcnt lgkmcnt(0)
	s_barrier
	buffer_gl0_inv
	v_dual_cndmask_b32 v46, 0, v61 :: v_dual_cndmask_b32 v45, 0, v62
	ds_load_b64 v[100:101], v49 offset:2056
	v_add_co_u32 v59, vcc_lo, v46, v41
	v_add_co_ci_u32_e32 v60, vcc_lo, v45, v42, vcc_lo
	s_delay_alu instid0(VALU_DEP_2) | instskip(NEXT) | instid1(VALU_DEP_2)
	v_cndmask_b32_e64 v45, 0, v59, s12
	v_cndmask_b32_e64 v46, 0, v60, s12
	s_delay_alu instid0(VALU_DEP_2) | instskip(NEXT) | instid1(VALU_DEP_2)
	v_add_co_u32 v65, vcc_lo, v45, v39
	v_add_co_ci_u32_e32 v66, vcc_lo, v46, v40, vcc_lo
	v_add_nc_u32_e32 v98, v48, v50
	s_delay_alu instid0(VALU_DEP_3) | instskip(NEXT) | instid1(VALU_DEP_3)
	v_cndmask_b32_e64 v45, 0, v65, s11
	v_cndmask_b32_e64 v46, 0, v66, s11
	s_delay_alu instid0(VALU_DEP_2) | instskip(NEXT) | instid1(VALU_DEP_2)
	v_add_co_u32 v69, vcc_lo, v45, v37
	v_add_co_ci_u32_e32 v70, vcc_lo, v46, v38, vcc_lo
	s_delay_alu instid0(VALU_DEP_2) | instskip(NEXT) | instid1(VALU_DEP_2)
	v_cndmask_b32_e64 v45, 0, v69, s10
	v_cndmask_b32_e64 v46, 0, v70, s10
	s_delay_alu instid0(VALU_DEP_2) | instskip(NEXT) | instid1(VALU_DEP_2)
	v_add_co_u32 v51, vcc_lo, v45, v35
	v_add_co_ci_u32_e32 v52, vcc_lo, v46, v36, vcc_lo
	s_delay_alu instid0(VALU_DEP_2) | instskip(NEXT) | instid1(VALU_DEP_2)
	;; [unrolled: 6-line block ×7, first 2 shown]
	v_cndmask_b32_e64 v45, 0, v53, s4
	v_cndmask_b32_e64 v46, 0, v54, s4
	s_delay_alu instid0(VALU_DEP_2) | instskip(NEXT) | instid1(VALU_DEP_2)
	v_add_co_u32 v57, vcc_lo, v45, v25
	v_add_co_ci_u32_e32 v58, vcc_lo, v46, v26, vcc_lo
	ds_load_b32 v45, v49 offset:2048
	v_cndmask_b32_e64 v46, 0, v57, s3
	v_cndmask_b32_e64 v47, 0, v58, s3
	s_delay_alu instid0(VALU_DEP_2) | instskip(NEXT) | instid1(VALU_DEP_2)
	v_add_co_u32 v73, vcc_lo, v46, v21
	v_add_co_ci_u32_e32 v74, vcc_lo, v47, v22, vcc_lo
	ds_load_b64 v[46:47], v49 offset:2072
	v_cndmask_b32_e64 v75, 0, v73, s2
	ds_load_b32 v49, v49 offset:2064
	v_cndmask_b32_e64 v76, 0, v74, s2
	v_add_co_u32 v77, vcc_lo, v75, v19
	s_delay_alu instid0(VALU_DEP_2) | instskip(SKIP_2) | instid1(VALU_DEP_3)
	v_add_co_ci_u32_e32 v78, vcc_lo, v76, v20, vcc_lo
	s_waitcnt lgkmcnt(2)
	v_cmp_eq_u32_e32 vcc_lo, 0, v45
	v_cndmask_b32_e64 v75, 0, v77, s1
	s_delay_alu instid0(VALU_DEP_3) | instskip(NEXT) | instid1(VALU_DEP_2)
	v_cndmask_b32_e64 v76, 0, v78, s1
	v_add_co_u32 v75, s1, v75, v17
	s_delay_alu instid0(VALU_DEP_1)
	v_add_co_ci_u32_e64 v76, s1, v76, v18, s1
	s_waitcnt lgkmcnt(1)
	v_cndmask_b32_e32 v46, 0, v46, vcc_lo
	v_cndmask_b32_e32 v102, 0, v47, vcc_lo
	v_cndmask_b32_e64 v79, 0, v75, s0
	v_cndmask_b32_e64 v80, 0, v76, s0
	s_delay_alu instid0(VALU_DEP_4) | instskip(NEXT) | instid1(VALU_DEP_4)
	v_add_co_u32 v47, vcc_lo, v46, v100
	v_add_co_ci_u32_e32 v48, vcc_lo, v102, v101, vcc_lo
	s_branch .LBB992_165
.LBB992_137:
                                        ; implicit-def: $vgpr45
                                        ; implicit-def: $vgpr47_vgpr48
                                        ; implicit-def: $vgpr49
                                        ; implicit-def: $vgpr61_vgpr62
                                        ; implicit-def: $vgpr59_vgpr60
                                        ; implicit-def: $vgpr65_vgpr66
                                        ; implicit-def: $vgpr69_vgpr70
                                        ; implicit-def: $vgpr51_vgpr52
                                        ; implicit-def: $vgpr55_vgpr56
                                        ; implicit-def: $vgpr63_vgpr64
                                        ; implicit-def: $vgpr67_vgpr68
                                        ; implicit-def: $vgpr71_vgpr72
                                        ; implicit-def: $vgpr53_vgpr54
                                        ; implicit-def: $vgpr57_vgpr58
                                        ; implicit-def: $vgpr73_vgpr74
                                        ; implicit-def: $vgpr77_vgpr78
                                        ; implicit-def: $vgpr75_vgpr76
                                        ; implicit-def: $vgpr79_vgpr80
                                        ; implicit-def: $vgpr98
	s_cbranch_execz .LBB992_165
; %bb.138:
	s_and_b32 s0, s14, exec_lo
	s_waitcnt lgkmcnt(0)
	v_dual_mov_b32 v50, v42 :: v_dual_mov_b32 v49, v41
	s_cselect_b32 s1, 0, s19
	s_cselect_b32 s0, 0, s18
	s_delay_alu instid0(SALU_CYCLE_1)
	s_cmp_eq_u64 s[0:1], 0
	s_cbranch_scc1 .LBB992_140
; %bb.139:
	v_mov_b32_e32 v45, 0
	global_load_b64 v[49:50], v45, s[0:1]
.LBB992_140:
	v_cmp_eq_u32_e64 s11, 0, v95
	v_cmp_eq_u32_e64 s10, 0, v94
	;; [unrolled: 1-line block ×5, first 2 shown]
	v_cndmask_b32_e64 v46, 0, v41, s11
	v_cndmask_b32_e64 v45, 0, v42, s11
	v_cmp_eq_u32_e64 s6, 0, v90
	v_cmp_eq_u32_e64 s5, 0, v89
	;; [unrolled: 1-line block ×3, first 2 shown]
	v_add_co_u32 v46, vcc_lo, v46, v39
	v_add_co_ci_u32_e32 v45, vcc_lo, v45, v40, vcc_lo
	v_cmp_eq_u32_e64 s3, 0, v86
	s_delay_alu instid0(VALU_DEP_3) | instskip(SKIP_1) | instid1(VALU_DEP_4)
	v_cndmask_b32_e64 v46, 0, v46, s10
	v_cmp_eq_u32_e64 s2, 0, v85
	v_cndmask_b32_e64 v45, 0, v45, s10
	v_cmp_eq_u32_e64 s1, 0, v83
	v_add3_u32 v47, v99, v91, v90
	v_add_co_u32 v46, vcc_lo, v46, v37
	s_delay_alu instid0(VALU_DEP_4) | instskip(NEXT) | instid1(VALU_DEP_3)
	v_add_co_ci_u32_e32 v45, vcc_lo, v45, v38, vcc_lo
	v_add3_u32 v47, v47, v89, v87
	s_delay_alu instid0(VALU_DEP_3) | instskip(SKIP_1) | instid1(VALU_DEP_3)
	v_cndmask_b32_e64 v46, 0, v46, s9
	s_mov_b32 s13, exec_lo
	v_cndmask_b32_e64 v45, 0, v45, s9
	s_delay_alu instid0(VALU_DEP_3) | instskip(NEXT) | instid1(VALU_DEP_3)
	v_add3_u32 v47, v47, v86, v85
	v_add_co_u32 v46, vcc_lo, v46, v35
	s_delay_alu instid0(VALU_DEP_3) | instskip(NEXT) | instid1(VALU_DEP_3)
	v_add_co_ci_u32_e32 v45, vcc_lo, v45, v36, vcc_lo
	v_add3_u32 v47, v47, v84, v83
	s_delay_alu instid0(VALU_DEP_3) | instskip(NEXT) | instid1(VALU_DEP_3)
	v_cndmask_b32_e64 v46, 0, v46, s8
	v_cndmask_b32_e64 v45, 0, v45, s8
	s_delay_alu instid0(VALU_DEP_3) | instskip(NEXT) | instid1(VALU_DEP_3)
	v_add3_u32 v47, v47, v82, v88
	v_add_co_u32 v46, vcc_lo, v46, v33
	s_delay_alu instid0(VALU_DEP_3) | instskip(NEXT) | instid1(VALU_DEP_2)
	v_add_co_ci_u32_e32 v45, vcc_lo, v45, v34, vcc_lo
	v_cndmask_b32_e64 v46, 0, v46, s7
	s_delay_alu instid0(VALU_DEP_2) | instskip(NEXT) | instid1(VALU_DEP_2)
	v_cndmask_b32_e64 v45, 0, v45, s7
	v_add_co_u32 v46, vcc_lo, v46, v31
	s_delay_alu instid0(VALU_DEP_2) | instskip(NEXT) | instid1(VALU_DEP_2)
	v_add_co_ci_u32_e32 v45, vcc_lo, v45, v32, vcc_lo
	v_cndmask_b32_e64 v46, 0, v46, s6
	s_delay_alu instid0(VALU_DEP_2) | instskip(NEXT) | instid1(VALU_DEP_2)
	v_cndmask_b32_e64 v45, 0, v45, s6
	v_add_co_u32 v46, vcc_lo, v46, v27
	s_delay_alu instid0(VALU_DEP_2) | instskip(NEXT) | instid1(VALU_DEP_2)
	v_add_co_ci_u32_e32 v45, vcc_lo, v45, v28, vcc_lo
	v_cndmask_b32_e64 v46, 0, v46, s5
	s_delay_alu instid0(VALU_DEP_2) | instskip(NEXT) | instid1(VALU_DEP_2)
	v_cndmask_b32_e64 v45, 0, v45, s5
	v_add_co_u32 v46, vcc_lo, v46, v23
	s_delay_alu instid0(VALU_DEP_2) | instskip(NEXT) | instid1(VALU_DEP_2)
	v_add_co_ci_u32_e32 v45, vcc_lo, v45, v24, vcc_lo
	v_cndmask_b32_e64 v46, 0, v46, s4
	s_delay_alu instid0(VALU_DEP_2) | instskip(NEXT) | instid1(VALU_DEP_2)
	v_cndmask_b32_e64 v45, 0, v45, s4
	v_add_co_u32 v46, vcc_lo, v46, v29
	s_delay_alu instid0(VALU_DEP_2) | instskip(NEXT) | instid1(VALU_DEP_2)
	v_add_co_ci_u32_e32 v45, vcc_lo, v45, v30, vcc_lo
	v_cndmask_b32_e64 v46, 0, v46, s3
	s_delay_alu instid0(VALU_DEP_2) | instskip(NEXT) | instid1(VALU_DEP_2)
	v_cndmask_b32_e64 v45, 0, v45, s3
	v_add_co_u32 v46, vcc_lo, v46, v25
	s_delay_alu instid0(VALU_DEP_2) | instskip(NEXT) | instid1(VALU_DEP_2)
	v_add_co_ci_u32_e32 v45, vcc_lo, v45, v26, vcc_lo
	v_cndmask_b32_e64 v46, 0, v46, s2
	s_delay_alu instid0(VALU_DEP_2) | instskip(NEXT) | instid1(VALU_DEP_2)
	v_cndmask_b32_e64 v45, 0, v45, s2
	v_add_co_u32 v46, vcc_lo, v46, v21
	s_delay_alu instid0(VALU_DEP_2) | instskip(SKIP_1) | instid1(VALU_DEP_2)
	v_add_co_ci_u32_e32 v45, vcc_lo, v45, v22, vcc_lo
	v_cmp_eq_u32_e32 vcc_lo, 0, v84
	v_dual_cndmask_b32 v45, 0, v45 :: v_dual_cndmask_b32 v46, 0, v46
	s_delay_alu instid0(VALU_DEP_1) | instskip(NEXT) | instid1(VALU_DEP_1)
	v_add_co_u32 v46, s0, v46, v19
	v_add_co_ci_u32_e64 v45, s0, v45, v20, s0
	s_delay_alu instid0(VALU_DEP_2) | instskip(NEXT) | instid1(VALU_DEP_2)
	v_cndmask_b32_e64 v46, 0, v46, s1
	v_cndmask_b32_e64 v45, 0, v45, s1
	s_delay_alu instid0(VALU_DEP_2) | instskip(NEXT) | instid1(VALU_DEP_1)
	v_add_co_u32 v46, s0, v46, v17
	v_add_co_ci_u32_e64 v45, s0, v45, v18, s0
	v_cmp_eq_u32_e64 s0, 0, v82
	s_delay_alu instid0(VALU_DEP_1) | instskip(NEXT) | instid1(VALU_DEP_3)
	v_cndmask_b32_e64 v46, 0, v46, s0
	v_cndmask_b32_e64 v45, 0, v45, s0
	s_delay_alu instid0(VALU_DEP_2) | instskip(NEXT) | instid1(VALU_DEP_1)
	v_add_co_u32 v46, s12, v46, v15
	v_add_co_ci_u32_e64 v45, s12, v45, v16, s12
	v_cmp_eq_u32_e64 s12, 0, v88
	s_delay_alu instid0(VALU_DEP_1) | instskip(NEXT) | instid1(VALU_DEP_3)
	v_cndmask_b32_e64 v46, 0, v46, s12
	v_cndmask_b32_e64 v45, 0, v45, s12
	s_delay_alu instid0(VALU_DEP_2) | instskip(NEXT) | instid1(VALU_DEP_1)
	v_add_co_u32 v43, s12, v46, v43
	v_add_co_ci_u32_e64 v44, s12, v45, v44, s12
	v_and_b32_e32 v45, 15, v97
	v_mov_b32_dpp v46, v47 row_shr:1 row_mask:0xf bank_mask:0xf
	s_delay_alu instid0(VALU_DEP_4) | instskip(NEXT) | instid1(VALU_DEP_4)
	v_mov_b32_dpp v48, v43 row_shr:1 row_mask:0xf bank_mask:0xf
	v_mov_b32_dpp v51, v44 row_shr:1 row_mask:0xf bank_mask:0xf
	s_delay_alu instid0(VALU_DEP_4)
	v_cmpx_ne_u32_e32 0, v45
; %bb.141:
	v_cmp_eq_u32_e64 s12, 0, v47
	v_add_nc_u32_e32 v47, v46, v47
	s_delay_alu instid0(VALU_DEP_2) | instskip(SKIP_1) | instid1(VALU_DEP_2)
	v_cndmask_b32_e64 v48, 0, v48, s12
	v_cndmask_b32_e64 v51, 0, v51, s12
	v_add_co_u32 v43, s12, v48, v43
	s_delay_alu instid0(VALU_DEP_1)
	v_add_co_ci_u32_e64 v44, s12, v51, v44, s12
; %bb.142:
	s_or_b32 exec_lo, exec_lo, s13
	v_mov_b32_dpp v46, v47 row_shr:2 row_mask:0xf bank_mask:0xf
	s_delay_alu instid0(VALU_DEP_3) | instskip(NEXT) | instid1(VALU_DEP_3)
	v_mov_b32_dpp v48, v43 row_shr:2 row_mask:0xf bank_mask:0xf
	v_mov_b32_dpp v51, v44 row_shr:2 row_mask:0xf bank_mask:0xf
	s_mov_b32 s13, exec_lo
	v_cmpx_lt_u32_e32 1, v45
; %bb.143:
	v_cmp_eq_u32_e64 s12, 0, v47
	v_add_nc_u32_e32 v47, v46, v47
	s_delay_alu instid0(VALU_DEP_2) | instskip(SKIP_1) | instid1(VALU_DEP_2)
	v_cndmask_b32_e64 v48, 0, v48, s12
	v_cndmask_b32_e64 v51, 0, v51, s12
	v_add_co_u32 v43, s12, v48, v43
	s_delay_alu instid0(VALU_DEP_1)
	v_add_co_ci_u32_e64 v44, s12, v51, v44, s12
; %bb.144:
	s_or_b32 exec_lo, exec_lo, s13
	v_mov_b32_dpp v46, v47 row_shr:4 row_mask:0xf bank_mask:0xf
	s_delay_alu instid0(VALU_DEP_3) | instskip(NEXT) | instid1(VALU_DEP_3)
	v_mov_b32_dpp v48, v43 row_shr:4 row_mask:0xf bank_mask:0xf
	v_mov_b32_dpp v51, v44 row_shr:4 row_mask:0xf bank_mask:0xf
	s_mov_b32 s13, exec_lo
	v_cmpx_lt_u32_e32 3, v45
	;; [unrolled: 17-line block ×3, first 2 shown]
; %bb.147:
	v_cmp_eq_u32_e64 s12, 0, v47
	v_add_nc_u32_e32 v47, v46, v47
	s_delay_alu instid0(VALU_DEP_2) | instskip(SKIP_1) | instid1(VALU_DEP_2)
	v_cndmask_b32_e64 v48, 0, v48, s12
	v_cndmask_b32_e64 v45, 0, v51, s12
	v_add_co_u32 v43, s12, v48, v43
	s_delay_alu instid0(VALU_DEP_1)
	v_add_co_ci_u32_e64 v44, s12, v45, v44, s12
; %bb.148:
	s_or_b32 exec_lo, exec_lo, s13
	ds_swizzle_b32 v45, v47 offset:swizzle(BROADCAST,32,15)
	ds_swizzle_b32 v46, v43 offset:swizzle(BROADCAST,32,15)
	;; [unrolled: 1-line block ×3, first 2 shown]
	v_and_b32_e32 v51, 16, v97
	s_mov_b32 s13, exec_lo
	s_delay_alu instid0(VALU_DEP_1)
	v_cmpx_ne_u32_e32 0, v51
	s_cbranch_execz .LBB992_150
; %bb.149:
	v_cmp_eq_u32_e64 s12, 0, v47
	s_waitcnt lgkmcnt(2)
	v_add_nc_u32_e32 v47, v45, v47
	s_waitcnt lgkmcnt(1)
	s_delay_alu instid0(VALU_DEP_2) | instskip(SKIP_2) | instid1(VALU_DEP_2)
	v_cndmask_b32_e64 v46, 0, v46, s12
	s_waitcnt lgkmcnt(0)
	v_cndmask_b32_e64 v48, 0, v48, s12
	v_add_co_u32 v43, s12, v46, v43
	s_delay_alu instid0(VALU_DEP_1)
	v_add_co_ci_u32_e64 v44, s12, v48, v44, s12
.LBB992_150:
	s_or_b32 exec_lo, exec_lo, s13
	s_waitcnt lgkmcnt(1)
	v_lshrrev_b32_e32 v46, 5, v0
	v_or_b32_e32 v45, 31, v0
	s_mov_b32 s13, exec_lo
	s_delay_alu instid0(VALU_DEP_2) | instskip(NEXT) | instid1(VALU_DEP_2)
	v_lshlrev_b32_e32 v51, 4, v46
	v_cmpx_eq_u32_e64 v45, v0
	s_cbranch_execz .LBB992_152
; %bb.151:
	ds_store_b32 v51, v47 offset:2080
	ds_store_b64 v51, v[43:44] offset:2088
.LBB992_152:
	s_or_b32 exec_lo, exec_lo, s13
	s_delay_alu instid0(SALU_CYCLE_1)
	s_mov_b32 s13, exec_lo
	s_waitcnt vmcnt(0) lgkmcnt(0)
	s_barrier
	buffer_gl0_inv
	v_cmpx_gt_u32_e32 8, v0
	s_cbranch_execz .LBB992_160
; %bb.153:
	v_lshlrev_b32_e32 v48, 4, v0
	v_and_b32_e32 v53, 7, v97
	s_mov_b32 s15, exec_lo
	ds_load_b32 v52, v48 offset:2080
	ds_load_b64 v[45:46], v48 offset:2088
	s_waitcnt lgkmcnt(1)
	v_mov_b32_dpp v54, v52 row_shr:1 row_mask:0xf bank_mask:0xf
	s_waitcnt lgkmcnt(0)
	v_mov_b32_dpp v55, v45 row_shr:1 row_mask:0xf bank_mask:0xf
	v_mov_b32_dpp v56, v46 row_shr:1 row_mask:0xf bank_mask:0xf
	v_cmpx_ne_u32_e32 0, v53
; %bb.154:
	v_cmp_eq_u32_e64 s12, 0, v52
	v_add_nc_u32_e32 v52, v54, v52
	s_delay_alu instid0(VALU_DEP_2) | instskip(SKIP_1) | instid1(VALU_DEP_2)
	v_cndmask_b32_e64 v55, 0, v55, s12
	v_cndmask_b32_e64 v56, 0, v56, s12
	v_add_co_u32 v45, s12, v55, v45
	s_delay_alu instid0(VALU_DEP_1)
	v_add_co_ci_u32_e64 v46, s12, v56, v46, s12
; %bb.155:
	s_or_b32 exec_lo, exec_lo, s15
	v_mov_b32_dpp v54, v52 row_shr:2 row_mask:0xf bank_mask:0xf
	s_delay_alu instid0(VALU_DEP_3) | instskip(NEXT) | instid1(VALU_DEP_3)
	v_mov_b32_dpp v55, v45 row_shr:2 row_mask:0xf bank_mask:0xf
	v_mov_b32_dpp v56, v46 row_shr:2 row_mask:0xf bank_mask:0xf
	s_mov_b32 s15, exec_lo
	v_cmpx_lt_u32_e32 1, v53
; %bb.156:
	v_cmp_eq_u32_e64 s12, 0, v52
	v_add_nc_u32_e32 v52, v54, v52
	s_delay_alu instid0(VALU_DEP_2) | instskip(SKIP_1) | instid1(VALU_DEP_2)
	v_cndmask_b32_e64 v55, 0, v55, s12
	v_cndmask_b32_e64 v56, 0, v56, s12
	v_add_co_u32 v45, s12, v55, v45
	s_delay_alu instid0(VALU_DEP_1)
	v_add_co_ci_u32_e64 v46, s12, v56, v46, s12
; %bb.157:
	s_or_b32 exec_lo, exec_lo, s15
	v_mov_b32_dpp v54, v52 row_shr:4 row_mask:0xf bank_mask:0xf
	s_delay_alu instid0(VALU_DEP_3) | instskip(NEXT) | instid1(VALU_DEP_3)
	v_mov_b32_dpp v55, v45 row_shr:4 row_mask:0xf bank_mask:0xf
	v_mov_b32_dpp v56, v46 row_shr:4 row_mask:0xf bank_mask:0xf
	s_mov_b32 s15, exec_lo
	v_cmpx_lt_u32_e32 3, v53
; %bb.158:
	v_cmp_eq_u32_e64 s12, 0, v52
	v_add_nc_u32_e32 v52, v54, v52
	s_delay_alu instid0(VALU_DEP_2) | instskip(SKIP_1) | instid1(VALU_DEP_2)
	v_cndmask_b32_e64 v55, 0, v55, s12
	v_cndmask_b32_e64 v53, 0, v56, s12
	v_add_co_u32 v45, s12, v55, v45
	s_delay_alu instid0(VALU_DEP_1)
	v_add_co_ci_u32_e64 v46, s12, v53, v46, s12
; %bb.159:
	s_or_b32 exec_lo, exec_lo, s15
	ds_store_b32 v48, v52 offset:2080
	ds_store_b64 v48, v[45:46] offset:2088
.LBB992_160:
	s_or_b32 exec_lo, exec_lo, s13
	v_dual_mov_b32 v48, 0 :: v_dual_mov_b32 v45, v49
	v_mov_b32_e32 v52, 0
	v_mov_b32_e32 v46, v50
	s_mov_b32 s13, exec_lo
	s_waitcnt lgkmcnt(0)
	s_barrier
	buffer_gl0_inv
	v_cmpx_lt_u32_e32 31, v0
	s_cbranch_execz .LBB992_162
; %bb.161:
	ds_load_b32 v52, v51 offset:2064
	ds_load_b64 v[45:46], v51 offset:2072
	s_waitcnt lgkmcnt(1)
	v_cmp_eq_u32_e64 s12, 0, v52
	s_delay_alu instid0(VALU_DEP_1) | instskip(SKIP_2) | instid1(VALU_DEP_2)
	v_cndmask_b32_e64 v53, 0, v49, s12
	v_cndmask_b32_e64 v51, 0, v50, s12
	s_waitcnt lgkmcnt(0)
	v_add_co_u32 v45, s12, v53, v45
	s_delay_alu instid0(VALU_DEP_1)
	v_add_co_ci_u32_e64 v46, s12, v51, v46, s12
.LBB992_162:
	s_or_b32 exec_lo, exec_lo, s13
	v_add_nc_u32_e32 v51, -1, v97
	v_cmp_eq_u32_e64 s12, 0, v47
	v_add_nc_u32_e32 v47, v52, v47
	s_delay_alu instid0(VALU_DEP_3) | instskip(NEXT) | instid1(VALU_DEP_3)
	v_cmp_gt_i32_e64 s13, 0, v51
	v_cndmask_b32_e64 v54, 0, v45, s12
	v_cndmask_b32_e64 v53, 0, v46, s12
	s_delay_alu instid0(VALU_DEP_3) | instskip(NEXT) | instid1(VALU_DEP_3)
	v_cndmask_b32_e64 v51, v51, v97, s13
	v_add_co_u32 v43, s12, v54, v43
	s_delay_alu instid0(VALU_DEP_1) | instskip(NEXT) | instid1(VALU_DEP_3)
	v_add_co_ci_u32_e64 v44, s12, v53, v44, s12
	v_lshlrev_b32_e32 v51, 2, v51
	v_cmp_eq_u32_e64 s12, 0, v97
	v_cmp_eq_u32_e64 s13, 0, v96
	ds_bpermute_b32 v47, v51, v47
	ds_bpermute_b32 v44, v51, v44
	;; [unrolled: 1-line block ×3, first 2 shown]
	s_waitcnt lgkmcnt(2)
	v_cndmask_b32_e64 v98, v47, v52, s12
	s_waitcnt lgkmcnt(1)
	v_cndmask_b32_e64 v62, v44, v46, s12
	;; [unrolled: 2-line block ×3, first 2 shown]
	v_cmp_eq_u32_e64 s12, 0, v0
	ds_load_b32 v45, v48 offset:2192
	v_cndmask_b32_e64 v43, v61, v49, s12
	v_cndmask_b32_e64 v44, v62, v50, s12
	s_delay_alu instid0(VALU_DEP_2) | instskip(NEXT) | instid1(VALU_DEP_2)
	v_cndmask_b32_e64 v43, 0, v43, s13
	v_cndmask_b32_e64 v44, 0, v44, s13
	s_delay_alu instid0(VALU_DEP_2) | instskip(NEXT) | instid1(VALU_DEP_1)
	v_add_co_u32 v59, s13, v43, v41
	v_add_co_ci_u32_e64 v60, s13, v44, v42, s13
	s_delay_alu instid0(VALU_DEP_2) | instskip(NEXT) | instid1(VALU_DEP_2)
	v_cndmask_b32_e64 v41, 0, v59, s11
	v_cndmask_b32_e64 v42, 0, v60, s11
	s_delay_alu instid0(VALU_DEP_2) | instskip(NEXT) | instid1(VALU_DEP_1)
	v_add_co_u32 v65, s11, v41, v39
	v_add_co_ci_u32_e64 v66, s11, v42, v40, s11
	;; [unrolled: 6-line block ×11, first 2 shown]
	ds_load_b64 v[21:22], v48 offset:2200
	v_dual_cndmask_b32 v23, 0, v73 :: v_dual_cndmask_b32 v24, 0, v74
	s_delay_alu instid0(VALU_DEP_1) | instskip(NEXT) | instid1(VALU_DEP_2)
	v_add_co_u32 v77, vcc_lo, v23, v19
	v_add_co_ci_u32_e32 v78, vcc_lo, v24, v20, vcc_lo
	s_waitcnt lgkmcnt(1)
	v_cmp_eq_u32_e32 vcc_lo, 0, v45
	s_delay_alu instid0(VALU_DEP_3) | instskip(NEXT) | instid1(VALU_DEP_3)
	v_cndmask_b32_e64 v19, 0, v77, s1
	v_cndmask_b32_e64 v20, 0, v78, s1
	s_delay_alu instid0(VALU_DEP_2) | instskip(NEXT) | instid1(VALU_DEP_1)
	v_add_co_u32 v75, s1, v19, v17
	v_add_co_ci_u32_e64 v76, s1, v20, v18, s1
	v_dual_cndmask_b32 v18, 0, v49 :: v_dual_cndmask_b32 v17, 0, v50
	s_delay_alu instid0(VALU_DEP_3) | instskip(NEXT) | instid1(VALU_DEP_3)
	v_cndmask_b32_e64 v79, 0, v75, s0
	v_cndmask_b32_e64 v80, 0, v76, s0
	s_waitcnt lgkmcnt(0)
	s_delay_alu instid0(VALU_DEP_3)
	v_add_co_u32 v47, vcc_lo, v18, v21
	v_add_co_ci_u32_e32 v48, vcc_lo, v17, v22, vcc_lo
	s_and_saveexec_b32 s0, s12
	s_cbranch_execz .LBB992_164
; %bb.163:
	v_dual_mov_b32 v98, 0 :: v_dual_mov_b32 v17, 2
	v_dual_mov_b32 v62, v50 :: v_dual_mov_b32 v61, v49
	s_clause 0x1
	global_store_b32 v98, v45, s[38:39] offset:512
	global_store_b64 v98, v[47:48], s[38:39] offset:520
	s_waitcnt_vscnt null, 0x0
	buffer_gl1_inv
	buffer_gl0_inv
	global_store_b8 v98, v17, s[40:41] offset:32
.LBB992_164:
	s_or_b32 exec_lo, exec_lo, s0
	v_mov_b32_e32 v49, 0
.LBB992_165:
	v_mov_b32_e32 v17, 0
	s_and_b32 s0, s14, exec_lo
	v_mov_b32_e32 v18, 0
	s_cselect_b32 s1, 0, s51
	s_cselect_b32 s0, 0, s50
	s_waitcnt lgkmcnt(0)
	s_waitcnt_vscnt null, 0x0
	s_cmp_eq_u64 s[0:1], 0
	s_barrier
	buffer_gl0_inv
	s_cbranch_scc1 .LBB992_167
; %bb.166:
	v_mov_b32_e32 v17, 0
	global_load_b64 v[17:18], v17, s[0:1]
.LBB992_167:
	v_add_nc_u32_e32 v32, v98, v96
	v_cmp_gt_u32_e32 vcc_lo, 0x100, v45
	s_delay_alu instid0(VALU_DEP_2) | instskip(SKIP_1) | instid1(VALU_DEP_1)
	v_add_nc_u32_e32 v31, v32, v95
	s_and_b32 vcc_lo, exec_lo, vcc_lo
	v_add_nc_u32_e32 v30, v31, v94
	s_delay_alu instid0(VALU_DEP_1) | instskip(NEXT) | instid1(VALU_DEP_1)
	v_add_nc_u32_e32 v29, v30, v93
	v_add_nc_u32_e32 v28, v29, v92
	s_delay_alu instid0(VALU_DEP_1) | instskip(NEXT) | instid1(VALU_DEP_1)
	v_add_nc_u32_e32 v27, v28, v91
	v_add_nc_u32_e32 v26, v27, v90
	s_delay_alu instid0(VALU_DEP_1) | instskip(NEXT) | instid1(VALU_DEP_1)
	v_add_nc_u32_e32 v25, v26, v89
	v_add_nc_u32_e32 v24, v25, v87
	s_delay_alu instid0(VALU_DEP_1) | instskip(NEXT) | instid1(VALU_DEP_1)
	v_add_nc_u32_e32 v23, v24, v86
	v_add_nc_u32_e32 v22, v23, v85
	s_delay_alu instid0(VALU_DEP_1) | instskip(NEXT) | instid1(VALU_DEP_1)
	v_add_nc_u32_e32 v21, v22, v84
	v_add_nc_u32_e32 v20, v21, v83
	s_delay_alu instid0(VALU_DEP_1)
	v_add_nc_u32_e32 v19, v20, v82
	s_cbranch_vccnz .LBB992_216
; %bb.168:
	v_cmp_eq_u32_e32 vcc_lo, 0, v95
	v_cmp_eq_u32_e64 s0, 0, v83
	v_cmp_eq_u32_e64 s1, 0, v82
	v_cmp_ne_u32_e64 s11, 0, v96
	v_cmp_ne_u32_e64 s2, 0, v84
	v_cndmask_b32_e64 v33, 1, 2, vcc_lo
	v_cmp_eq_u32_e32 vcc_lo, 0, v96
	v_cndmask_b32_e64 v36, 1, 2, s1
	v_cmp_ne_u32_e64 s1, 0, v83
	v_cmp_ne_u32_e64 s3, 0, v85
	v_cmp_ne_u32_e64 s4, 0, v86
	v_cndmask_b32_e64 v34, 1, 2, vcc_lo
	v_cmp_eq_u32_e32 vcc_lo, 0, v94
	v_cmp_ne_u32_e64 s5, 0, v87
	v_cmp_ne_u32_e64 s6, 0, v89
	v_cmp_ne_u32_e64 s7, 0, v90
	v_and_b32_e32 v33, v33, v34
	v_cndmask_b32_e64 v35, 1, 2, vcc_lo
	v_cmp_eq_u32_e32 vcc_lo, 0, v93
	v_cmp_ne_u32_e64 s8, 0, v91
	v_cmp_ne_u32_e64 s9, 0, v92
	;; [unrolled: 1-line block ×3, first 2 shown]
	v_and_b32_e32 v33, v33, v35
	v_cndmask_b32_e64 v34, 1, 2, vcc_lo
	v_cmp_eq_u32_e32 vcc_lo, 0, v92
	v_cmp_ne_u32_e64 s12, 0, v94
	v_cmp_ne_u32_e64 s13, 0, v95
	s_mov_b32 s16, 0
	v_and_b32_e32 v33, v33, v34
	v_cndmask_b32_e64 v35, 1, 2, vcc_lo
	v_cmp_eq_u32_e32 vcc_lo, 0, v91
	s_mov_b32 s15, exec_lo
	s_delay_alu instid0(VALU_DEP_2) | instskip(SKIP_2) | instid1(VALU_DEP_2)
	v_and_b32_e32 v33, v33, v35
	v_cndmask_b32_e64 v34, 1, 2, vcc_lo
	v_cmp_eq_u32_e32 vcc_lo, 0, v90
	v_and_b32_e32 v33, v33, v34
	v_cndmask_b32_e64 v35, 1, 2, vcc_lo
	v_cmp_eq_u32_e32 vcc_lo, 0, v89
	s_delay_alu instid0(VALU_DEP_2) | instskip(SKIP_2) | instid1(VALU_DEP_2)
	v_and_b32_e32 v33, v33, v35
	v_cndmask_b32_e64 v34, 1, 2, vcc_lo
	v_cmp_eq_u32_e32 vcc_lo, 0, v87
	v_and_b32_e32 v33, v33, v34
	v_cndmask_b32_e64 v35, 1, 2, vcc_lo
	v_cmp_eq_u32_e32 vcc_lo, 0, v86
	;; [unrolled: 7-line block ×3, first 2 shown]
	s_delay_alu instid0(VALU_DEP_2) | instskip(SKIP_4) | instid1(VALU_DEP_4)
	v_and_b32_e32 v33, v33, v35
	v_cndmask_b32_e64 v34, 1, 2, vcc_lo
	v_cndmask_b32_e64 v35, 1, 2, s0
	v_cmp_eq_u32_e64 s0, 0, v88
	v_cmp_ne_u32_e32 vcc_lo, 0, v88
	v_and_b32_e32 v33, v33, v34
	s_delay_alu instid0(VALU_DEP_3) | instskip(SKIP_1) | instid1(VALU_DEP_3)
	v_cndmask_b32_e64 v34, 1, 2, s0
	v_cmp_ne_u32_e64 s0, 0, v82
	v_and_b32_e32 v33, v33, v35
	s_delay_alu instid0(VALU_DEP_1) | instskip(NEXT) | instid1(VALU_DEP_1)
	v_and_b32_e32 v33, v33, v36
	v_and_b32_e32 v33, v33, v34
	s_delay_alu instid0(VALU_DEP_1)
	v_cmpx_gt_i16_e32 2, v33
	s_cbranch_execz .LBB992_215
; %bb.169:
	v_cmp_ne_u16_e64 s14, 1, v33
	s_delay_alu instid0(VALU_DEP_1) | instskip(NEXT) | instid1(SALU_CYCLE_1)
	s_and_saveexec_b32 s18, s14
	s_xor_b32 s14, exec_lo, s18
	s_cbranch_execz .LBB992_193
; %bb.170:
	s_and_saveexec_b32 s16, s11
	s_cbranch_execz .LBB992_198
; %bb.171:
	v_sub_nc_u32_e32 v33, v98, v49
	s_delay_alu instid0(VALU_DEP_1)
	v_lshlrev_b32_e32 v33, 2, v33
	ds_store_b32 v33, v13
	s_or_b32 exec_lo, exec_lo, s16
	s_and_saveexec_b32 s11, s13
	s_cbranch_execnz .LBB992_199
.LBB992_172:
	s_or_b32 exec_lo, exec_lo, s11
	s_and_saveexec_b32 s11, s12
	s_cbranch_execz .LBB992_200
.LBB992_173:
	v_sub_nc_u32_e32 v13, v31, v49
	s_delay_alu instid0(VALU_DEP_1)
	v_lshlrev_b32_e32 v13, 2, v13
	ds_store_b32 v13, v11
	s_or_b32 exec_lo, exec_lo, s11
	s_and_saveexec_b32 s11, s10
	s_cbranch_execnz .LBB992_201
.LBB992_174:
	s_or_b32 exec_lo, exec_lo, s11
	s_and_saveexec_b32 s10, s9
	s_cbranch_execz .LBB992_202
.LBB992_175:
	v_sub_nc_u32_e32 v11, v29, v49
	s_delay_alu instid0(VALU_DEP_1)
	v_lshlrev_b32_e32 v11, 2, v11
	ds_store_b32 v11, v9
	s_or_b32 exec_lo, exec_lo, s10
	s_and_saveexec_b32 s9, s8
	s_cbranch_execnz .LBB992_203
.LBB992_176:
	s_or_b32 exec_lo, exec_lo, s9
	s_and_saveexec_b32 s8, s7
	s_cbranch_execz .LBB992_204
.LBB992_177:
	v_sub_nc_u32_e32 v9, v27, v49
	s_delay_alu instid0(VALU_DEP_1)
	v_lshlrev_b32_e32 v9, 2, v9
	ds_store_b32 v9, v7
	s_or_b32 exec_lo, exec_lo, s8
	s_and_saveexec_b32 s7, s6
	s_cbranch_execnz .LBB992_205
.LBB992_178:
	s_or_b32 exec_lo, exec_lo, s7
	s_and_saveexec_b32 s6, s5
	s_cbranch_execz .LBB992_206
.LBB992_179:
	v_sub_nc_u32_e32 v7, v25, v49
	s_delay_alu instid0(VALU_DEP_1)
	v_lshlrev_b32_e32 v7, 2, v7
	ds_store_b32 v7, v5
	s_or_b32 exec_lo, exec_lo, s6
	s_and_saveexec_b32 s5, s4
	s_cbranch_execnz .LBB992_207
.LBB992_180:
	s_or_b32 exec_lo, exec_lo, s5
	s_and_saveexec_b32 s4, s3
	s_cbranch_execz .LBB992_208
.LBB992_181:
	v_sub_nc_u32_e32 v5, v23, v49
	s_delay_alu instid0(VALU_DEP_1)
	v_lshlrev_b32_e32 v5, 2, v5
	ds_store_b32 v5, v3
	s_or_b32 exec_lo, exec_lo, s4
	s_and_saveexec_b32 s3, s2
	s_cbranch_execnz .LBB992_209
.LBB992_182:
	s_or_b32 exec_lo, exec_lo, s3
	s_and_saveexec_b32 s2, s1
	s_cbranch_execz .LBB992_210
.LBB992_183:
	v_sub_nc_u32_e32 v3, v21, v49
	s_delay_alu instid0(VALU_DEP_1)
	v_lshlrev_b32_e32 v3, 2, v3
	ds_store_b32 v3, v1
	s_or_b32 exec_lo, exec_lo, s2
	s_and_saveexec_b32 s1, s0
	s_cbranch_execnz .LBB992_211
	s_branch .LBB992_212
.LBB992_184:
	s_mov_b32 s30, 0
                                        ; implicit-def: $sgpr0
                                        ; implicit-def: $vgpr88
                                        ; implicit-def: $vgpr82
                                        ; implicit-def: $vgpr83
                                        ; implicit-def: $vgpr84
                                        ; implicit-def: $vgpr85
                                        ; implicit-def: $vgpr86
                                        ; implicit-def: $vgpr87
                                        ; implicit-def: $vgpr89
                                        ; implicit-def: $vgpr90
                                        ; implicit-def: $vgpr91
                                        ; implicit-def: $vgpr92
                                        ; implicit-def: $vgpr93
                                        ; implicit-def: $vgpr94
                                        ; implicit-def: $vgpr95
	s_cbranch_execz .LBB992_70
.LBB992_185:
	v_cmp_ne_u32_e32 vcc_lo, v2, v81
	s_mov_b32 s1, exec_lo
	ds_store_b32 v74, v81
	s_waitcnt lgkmcnt(0)
	s_barrier
	v_cndmask_b32_e64 v88, 0, 1, vcc_lo
	v_cmp_ne_u32_e32 vcc_lo, v1, v2
	buffer_gl0_inv
                                        ; implicit-def: $sgpr0
	v_cndmask_b32_e64 v82, 0, 1, vcc_lo
	v_cmp_ne_u32_e32 vcc_lo, v4, v1
	v_cndmask_b32_e64 v83, 0, 1, vcc_lo
	v_cmp_ne_u32_e32 vcc_lo, v3, v4
	;; [unrolled: 2-line block ×12, first 2 shown]
	v_cndmask_b32_e64 v95, 0, 1, vcc_lo
	v_cmpx_ne_u32_e32 0, v0
	s_xor_b32 s1, exec_lo, s1
	s_cbranch_execz .LBB992_187
; %bb.186:
	v_add_nc_u32_e32 v46, -4, v74
	s_or_b32 s30, s30, exec_lo
	ds_load_b32 v46, v46
	s_waitcnt lgkmcnt(0)
	v_cmp_ne_u32_e32 vcc_lo, v46, v13
	s_and_b32 s0, vcc_lo, exec_lo
.LBB992_187:
	s_or_b32 exec_lo, exec_lo, s1
	s_mov_b32 s1, 1
	s_branch .LBB992_72
.LBB992_188:
	s_mul_hi_u32 s0, s24, 0xfffff100
	s_mul_i32 s1, s25, 0xfffff100
	s_sub_i32 s0, s0, s24
	s_mul_i32 s2, s24, 0xfffff100
	s_add_i32 s0, s0, s1
	s_add_u32 s24, s2, s48
	s_addc_u32 s25, s0, s49
	s_and_b32 vcc_lo, exec_lo, s14
	v_cmp_ne_u32_e64 s13, v2, v81
	v_cmp_ne_u32_e64 s14, v1, v2
	;; [unrolled: 1-line block ×15, first 2 shown]
	s_cbranch_vccz .LBB992_195
; %bb.189:
	v_add_co_u32 v72, s16, -4, s29
	s_delay_alu instid0(VALU_DEP_1)
	v_add_co_ci_u32_e64 v73, null, -1, s28, s16
	v_mov_b32_e32 v46, 0
	s_mov_b32 s30, -1
	s_mov_b32 s28, 0
	flat_load_b32 v75, v[72:73]
	ds_store_b32 v74, v81
	v_cmp_gt_u64_e32 vcc_lo, s[24:25], v[45:46]
	v_mov_b32_e32 v72, v46
	v_mov_b32_e32 v70, v46
	;; [unrolled: 1-line block ×5, first 2 shown]
	v_cmp_gt_u64_e64 s16, s[24:25], v[71:72]
	s_and_b32 s29, vcc_lo, s13
	v_cmp_gt_u64_e32 vcc_lo, s[24:25], v[69:70]
	v_mov_b32_e32 v62, v46
	v_mov_b32_e32 v60, v46
	v_cmp_gt_u64_e64 s13, s[24:25], v[67:68]
	s_and_b32 s31, s16, s14
	v_mov_b32_e32 v58, v46
	s_and_b32 s33, vcc_lo, s12
	v_cmp_gt_u64_e32 vcc_lo, s[24:25], v[65:66]
	v_cmp_gt_u64_e64 s12, s[24:25], v[63:64]
	v_cmp_gt_u64_e64 s14, s[24:25], v[61:62]
	;; [unrolled: 1-line block ×3, first 2 shown]
	v_mov_b32_e32 v56, v46
	v_mov_b32_e32 v54, v46
	;; [unrolled: 1-line block ×5, first 2 shown]
	s_and_b32 s13, s13, s11
	s_and_b32 s34, vcc_lo, s7
	s_and_b32 s12, s12, s8
	s_and_b32 s14, s14, s9
	;; [unrolled: 1-line block ×3, first 2 shown]
	v_cmp_gt_u64_e32 vcc_lo, s[24:25], v[57:58]
	v_cmp_gt_u64_e64 s7, s[24:25], v[55:56]
	v_cmp_gt_u64_e64 s8, s[24:25], v[53:54]
	;; [unrolled: 1-line block ×5, first 2 shown]
	v_mul_u32_u24_e32 v72, 15, v0
	s_and_b32 s35, vcc_lo, s1
	s_and_b32 s7, s7, s2
	s_and_b32 s3, s8, s3
	;; [unrolled: 1-line block ×5, first 2 shown]
	s_waitcnt vmcnt(0) lgkmcnt(0)
	s_barrier
	buffer_gl0_inv
	s_and_saveexec_b32 s5, s0
	s_cbranch_execz .LBB992_191
; %bb.190:
	v_add_nc_u32_e32 v48, -4, v74
	ds_load_b32 v75, v48
.LBB992_191:
	s_or_b32 exec_lo, exec_lo, s5
	v_mov_b32_e32 v73, v46
	s_waitcnt lgkmcnt(0)
	v_cmp_ne_u32_e64 s0, v75, v13
	v_cndmask_b32_e64 v88, 0, 1, s29
	v_cndmask_b32_e64 v82, 0, 1, s31
	;; [unrolled: 1-line block ×3, first 2 shown]
	v_cmp_gt_u64_e32 vcc_lo, s[24:25], v[72:73]
	v_cndmask_b32_e64 v84, 0, 1, s13
	v_cndmask_b32_e64 v85, 0, 1, s34
	;; [unrolled: 1-line block ×11, first 2 shown]
	s_and_b32 s0, vcc_lo, s0
	s_and_b32 vcc_lo, exec_lo, s28
	s_cbranch_vccnz .LBB992_196
.LBB992_192:
                                        ; implicit-def: $sgpr1
	v_mov_b32_e32 v96, s1
	s_and_saveexec_b32 s1, s30
	s_cbranch_execnz .LBB992_73
	s_branch .LBB992_74
.LBB992_193:
	s_and_not1_saveexec_b32 s0, s14
	s_cbranch_execz .LBB992_213
.LBB992_194:
	v_sub_nc_u32_e32 v33, v98, v49
	v_sub_nc_u32_e32 v36, v30, v49
	;; [unrolled: 1-line block ×4, first 2 shown]
	s_or_b32 s16, s16, exec_lo
	v_lshlrev_b32_e32 v33, 2, v33
	v_lshlrev_b32_e32 v36, 2, v36
	;; [unrolled: 1-line block ×4, first 2 shown]
	ds_store_b32 v33, v13
	ds_store_b32 v34, v14
	;; [unrolled: 1-line block ×3, first 2 shown]
	v_sub_nc_u32_e32 v11, v29, v49
	ds_store_b32 v36, v12
	v_sub_nc_u32_e32 v12, v28, v49
	v_sub_nc_u32_e32 v13, v27, v49
	;; [unrolled: 1-line block ×3, first 2 shown]
	v_lshlrev_b32_e32 v11, 2, v11
	v_sub_nc_u32_e32 v33, v25, v49
	v_lshlrev_b32_e32 v12, 2, v12
	v_lshlrev_b32_e32 v13, 2, v13
	;; [unrolled: 1-line block ×3, first 2 shown]
	ds_store_b32 v11, v9
	v_lshlrev_b32_e32 v9, 2, v33
	ds_store_b32 v12, v10
	ds_store_b32 v13, v7
	;; [unrolled: 1-line block ×3, first 2 shown]
	v_sub_nc_u32_e32 v7, v24, v49
	v_sub_nc_u32_e32 v10, v20, v49
	;; [unrolled: 1-line block ×3, first 2 shown]
	ds_store_b32 v9, v5
	v_sub_nc_u32_e32 v5, v23, v49
	v_lshlrev_b32_e32 v7, 2, v7
	v_sub_nc_u32_e32 v9, v21, v49
	v_lshlrev_b32_e32 v8, 2, v8
	s_delay_alu instid0(VALU_DEP_4)
	v_lshlrev_b32_e32 v5, 2, v5
	ds_store_b32 v7, v6
	v_lshlrev_b32_e32 v6, 2, v10
	v_lshlrev_b32_e32 v9, 2, v9
	ds_store_b32 v5, v3
	ds_store_b32 v8, v4
	;; [unrolled: 1-line block ×4, first 2 shown]
	s_or_b32 exec_lo, exec_lo, s0
	s_delay_alu instid0(SALU_CYCLE_1)
	s_and_b32 exec_lo, exec_lo, s16
	s_cbranch_execnz .LBB992_214
	s_branch .LBB992_215
.LBB992_195:
                                        ; implicit-def: $sgpr0
                                        ; implicit-def: $vgpr88
                                        ; implicit-def: $vgpr82
                                        ; implicit-def: $vgpr83
                                        ; implicit-def: $vgpr84
                                        ; implicit-def: $vgpr85
                                        ; implicit-def: $vgpr86
                                        ; implicit-def: $vgpr87
                                        ; implicit-def: $vgpr89
                                        ; implicit-def: $vgpr90
                                        ; implicit-def: $vgpr91
                                        ; implicit-def: $vgpr92
                                        ; implicit-def: $vgpr93
                                        ; implicit-def: $vgpr94
                                        ; implicit-def: $vgpr95
	s_cbranch_execz .LBB992_192
.LBB992_196:
	v_mov_b32_e32 v46, 0
	v_cmp_ne_u32_e64 s0, v1, v2
	v_cmp_ne_u32_e64 s2, v4, v1
	v_cmp_ne_u32_e32 vcc_lo, v2, v81
	ds_store_b32 v74, v81
	v_mov_b32_e32 v72, v46
	v_mov_b32_e32 v70, v46
	v_cmp_gt_u64_e64 s1, s[24:25], v[45:46]
	v_mov_b32_e32 v66, v46
	v_mov_b32_e32 v68, v46
	v_cmp_gt_u64_e64 s3, s[24:25], v[71:72]
	v_cmp_gt_u64_e64 s4, s[24:25], v[69:70]
	v_mov_b32_e32 v62, v46
	s_and_b32 s1, s1, vcc_lo
	v_cmp_gt_u64_e64 s5, s[24:25], v[67:68]
	v_cndmask_b32_e64 v88, 0, 1, s1
	s_and_b32 s0, s3, s0
	v_cmp_ne_u32_e64 s1, v6, v3
	v_cndmask_b32_e64 v82, 0, 1, s0
	s_and_b32 s0, s4, s2
	v_cmp_ne_u32_e32 vcc_lo, v3, v4
	v_cndmask_b32_e64 v83, 0, 1, s0
	v_cmp_gt_u64_e64 s0, s[24:25], v[65:66]
	v_mov_b32_e32 v64, v46
	v_mov_b32_e32 v58, v46
	s_and_b32 s2, s5, vcc_lo
	v_mov_b32_e32 v60, v46
	v_cndmask_b32_e64 v84, 0, 1, s2
	s_and_b32 s0, s0, s1
	v_cmp_ne_u32_e64 s1, v8, v5
	v_cndmask_b32_e64 v85, 0, 1, s0
	v_cmp_gt_u64_e64 s0, s[24:25], v[61:62]
	v_cmp_gt_u64_e32 vcc_lo, s[24:25], v[63:64]
	v_cmp_ne_u32_e64 s2, v5, v6
	v_mov_b32_e32 v54, v46
	v_mov_b32_e32 v56, v46
	;; [unrolled: 1-line block ×3, first 2 shown]
	s_and_b32 s0, s0, s1
	s_and_b32 s2, vcc_lo, s2
	v_cndmask_b32_e64 v87, 0, 1, s0
	v_cmp_gt_u64_e64 s0, s[24:25], v[57:58]
	v_cmp_ne_u32_e64 s1, v10, v7
	v_cmp_gt_u64_e32 vcc_lo, s[24:25], v[59:60]
	v_cndmask_b32_e64 v86, 0, 1, s2
	v_cmp_ne_u32_e64 s2, v7, v8
	v_mov_b32_e32 v50, v46
	s_and_b32 s0, s0, s1
	v_cmp_ne_u32_e64 s1, v12, v9
	v_cndmask_b32_e64 v90, 0, 1, s0
	s_and_b32 s2, vcc_lo, s2
	v_cmp_gt_u64_e64 s0, s[24:25], v[53:54]
	v_cmp_gt_u64_e32 vcc_lo, s[24:25], v[55:56]
	v_cndmask_b32_e64 v89, 0, 1, s2
	v_cmp_ne_u32_e64 s2, v9, v10
	v_mov_b32_e32 v48, v46
	v_cmp_ne_u32_e64 s4, v13, v14
	s_and_b32 s0, s0, s1
	v_cmp_gt_u64_e64 s1, s[24:25], v[49:50]
	s_and_b32 s2, vcc_lo, s2
	v_cmp_gt_u64_e32 vcc_lo, s[24:25], v[51:52]
	v_cndmask_b32_e64 v92, 0, 1, s0
	v_cmp_ne_u32_e64 s0, v11, v12
	v_cndmask_b32_e64 v91, 0, 1, s2
	v_cmp_ne_u32_e64 s2, v14, v11
	v_cmp_gt_u64_e64 s3, s[24:25], v[47:48]
	s_waitcnt lgkmcnt(0)
	s_and_b32 s0, vcc_lo, s0
	s_barrier
	v_cndmask_b32_e64 v93, 0, 1, s0
	s_and_b32 s0, s1, s2
	s_mov_b32 s1, 1
	v_cndmask_b32_e64 v94, 0, 1, s0
	s_and_b32 s0, s3, s4
	s_mov_b32 s2, exec_lo
	v_cndmask_b32_e64 v95, 0, 1, s0
	buffer_gl0_inv
                                        ; implicit-def: $sgpr0
	v_cmpx_ne_u32_e32 0, v0
	s_cbranch_execz .LBB992_254
; %bb.197:
	v_add_nc_u32_e32 v45, -4, v74
	s_or_b32 s30, s30, exec_lo
	ds_load_b32 v47, v45
	v_mul_u32_u24_e32 v45, 15, v0
	s_delay_alu instid0(VALU_DEP_1) | instskip(SKIP_2) | instid1(VALU_DEP_1)
	v_cmp_gt_u64_e32 vcc_lo, s[24:25], v[45:46]
	s_waitcnt lgkmcnt(0)
	v_cmp_ne_u32_e64 s0, v47, v13
	s_and_b32 s0, vcc_lo, s0
	s_delay_alu instid0(SALU_CYCLE_1)
	s_and_b32 s0, s0, exec_lo
	s_or_b32 exec_lo, exec_lo, s2
	v_mov_b32_e32 v96, s1
	s_and_saveexec_b32 s1, s30
	s_cbranch_execz .LBB992_74
	s_branch .LBB992_73
.LBB992_198:
	s_or_b32 exec_lo, exec_lo, s16
	s_and_saveexec_b32 s11, s13
	s_cbranch_execz .LBB992_172
.LBB992_199:
	v_sub_nc_u32_e32 v13, v32, v49
	s_delay_alu instid0(VALU_DEP_1)
	v_lshlrev_b32_e32 v13, 2, v13
	ds_store_b32 v13, v14
	s_or_b32 exec_lo, exec_lo, s11
	s_and_saveexec_b32 s11, s12
	s_cbranch_execnz .LBB992_173
.LBB992_200:
	s_or_b32 exec_lo, exec_lo, s11
	s_and_saveexec_b32 s11, s10
	s_cbranch_execz .LBB992_174
.LBB992_201:
	v_sub_nc_u32_e32 v11, v30, v49
	s_delay_alu instid0(VALU_DEP_1)
	v_lshlrev_b32_e32 v11, 2, v11
	ds_store_b32 v11, v12
	s_or_b32 exec_lo, exec_lo, s11
	s_and_saveexec_b32 s10, s9
	s_cbranch_execnz .LBB992_175
.LBB992_202:
	s_or_b32 exec_lo, exec_lo, s10
	s_and_saveexec_b32 s9, s8
	s_cbranch_execz .LBB992_176
.LBB992_203:
	v_sub_nc_u32_e32 v9, v28, v49
	s_delay_alu instid0(VALU_DEP_1)
	v_lshlrev_b32_e32 v9, 2, v9
	ds_store_b32 v9, v10
	s_or_b32 exec_lo, exec_lo, s9
	s_and_saveexec_b32 s8, s7
	s_cbranch_execnz .LBB992_177
.LBB992_204:
	s_or_b32 exec_lo, exec_lo, s8
	s_and_saveexec_b32 s7, s6
	s_cbranch_execz .LBB992_178
.LBB992_205:
	v_sub_nc_u32_e32 v7, v26, v49
	s_delay_alu instid0(VALU_DEP_1)
	v_lshlrev_b32_e32 v7, 2, v7
	ds_store_b32 v7, v8
	s_or_b32 exec_lo, exec_lo, s7
	s_and_saveexec_b32 s6, s5
	s_cbranch_execnz .LBB992_179
.LBB992_206:
	s_or_b32 exec_lo, exec_lo, s6
	s_and_saveexec_b32 s5, s4
	s_cbranch_execz .LBB992_180
.LBB992_207:
	v_sub_nc_u32_e32 v5, v24, v49
	s_delay_alu instid0(VALU_DEP_1)
	v_lshlrev_b32_e32 v5, 2, v5
	ds_store_b32 v5, v6
	s_or_b32 exec_lo, exec_lo, s5
	s_and_saveexec_b32 s4, s3
	s_cbranch_execnz .LBB992_181
.LBB992_208:
	s_or_b32 exec_lo, exec_lo, s4
	s_and_saveexec_b32 s3, s2
	s_cbranch_execz .LBB992_182
.LBB992_209:
	v_sub_nc_u32_e32 v3, v22, v49
	s_delay_alu instid0(VALU_DEP_1)
	v_lshlrev_b32_e32 v3, 2, v3
	ds_store_b32 v3, v4
	s_or_b32 exec_lo, exec_lo, s3
	s_and_saveexec_b32 s2, s1
	s_cbranch_execnz .LBB992_183
.LBB992_210:
	s_or_b32 exec_lo, exec_lo, s2
	s_and_saveexec_b32 s1, s0
	s_cbranch_execz .LBB992_212
.LBB992_211:
	v_sub_nc_u32_e32 v1, v20, v49
	s_delay_alu instid0(VALU_DEP_1)
	v_lshlrev_b32_e32 v1, 2, v1
	ds_store_b32 v1, v2
.LBB992_212:
	s_or_b32 exec_lo, exec_lo, s1
	s_delay_alu instid0(SALU_CYCLE_1)
	s_and_b32 s16, vcc_lo, exec_lo
                                        ; implicit-def: $vgpr13
                                        ; implicit-def: $vgpr11
                                        ; implicit-def: $vgpr9
                                        ; implicit-def: $vgpr7
                                        ; implicit-def: $vgpr5
                                        ; implicit-def: $vgpr3
                                        ; implicit-def: $vgpr1
	s_and_not1_saveexec_b32 s0, s14
	s_cbranch_execnz .LBB992_194
.LBB992_213:
	s_or_b32 exec_lo, exec_lo, s0
	s_delay_alu instid0(SALU_CYCLE_1)
	s_and_b32 exec_lo, exec_lo, s16
	s_cbranch_execz .LBB992_215
.LBB992_214:
	v_sub_nc_u32_e32 v1, v19, v49
	s_delay_alu instid0(VALU_DEP_1)
	v_lshlrev_b32_e32 v1, 2, v1
	ds_store_b32 v1, v81
.LBB992_215:
	s_or_b32 exec_lo, exec_lo, s15
	s_waitcnt vmcnt(0) lgkmcnt(0)
	s_barrier
	buffer_gl0_inv
.LBB992_216:
	v_add_co_u32 v1, vcc_lo, v79, v15
	s_cmpk_lg_i32 s26, 0xf00
	v_add_co_ci_u32_e32 v2, vcc_lo, v80, v16, vcc_lo
	s_cselect_b32 s0, -1, 0
	v_cmp_eq_u32_e32 vcc_lo, 0, v0
	s_and_b32 s0, s17, s0
	v_cndmask_b32_e64 v8, 0, 1, s27
	v_mad_i32_i24 v5, v0, -15, s26
	v_cndmask_b32_e64 v4, 0, 1, s0
	s_mul_hi_u32 s0, s26, 0x88888889
	s_and_b32 s1, vcc_lo, s27
	s_lshr_b32 s0, s0, 3
	v_sub_nc_u32_e32 v3, v45, v8
	v_cndmask_b32_e64 v6, v96, 0, s1
	v_cmp_eq_u32_e32 vcc_lo, s0, v0
	v_cmp_ne_u32_e64 s0, 0, v5
	s_delay_alu instid0(VALU_DEP_4) | instskip(SKIP_2) | instid1(VALU_DEP_2)
	v_dual_mov_b32 v50, 0 :: v_dual_add_nc_u32 v3, v3, v4
	s_mov_b32 s16, -1
	s_and_b32 vcc_lo, s17, vcc_lo
	v_cndmask_b32_e64 v4, 1, v6, s0
	v_cmp_ne_u32_e64 s0, 1, v5
	s_waitcnt vmcnt(0)
	s_barrier
	buffer_gl0_inv
	v_cndmask_b32_e32 v13, v6, v4, vcc_lo
	v_cndmask_b32_e64 v7, 1, v95, s0
	v_cmp_ne_u32_e64 s0, 2, v5
	s_delay_alu instid0(VALU_DEP_3) | instskip(NEXT) | instid1(VALU_DEP_2)
	v_cmp_ne_u32_e64 s14, 0, v13
	v_cndmask_b32_e64 v9, 1, v94, s0
	v_cmp_ne_u32_e64 s0, 14, v5
	s_delay_alu instid0(VALU_DEP_2) | instskip(NEXT) | instid1(VALU_DEP_2)
	v_dual_cndmask_b32 v14, v95, v7 :: v_dual_cndmask_b32 v9, v94, v9
	v_cndmask_b32_e64 v10, 1, v88, s0
	v_cmp_ne_u32_e64 s0, 3, v5
	s_delay_alu instid0(VALU_DEP_3) | instskip(NEXT) | instid1(VALU_DEP_4)
	v_cmp_ne_u32_e64 s13, 0, v14
	v_cmp_ne_u32_e64 s12, 0, v9
	s_delay_alu instid0(VALU_DEP_4) | instskip(NEXT) | instid1(VALU_DEP_4)
	v_cndmask_b32_e32 v10, v88, v10, vcc_lo
	v_cndmask_b32_e64 v11, 1, v93, s0
	v_cmp_ne_u32_e64 s0, 4, v5
	s_delay_alu instid0(VALU_DEP_1) | instskip(SKIP_1) | instid1(VALU_DEP_2)
	v_cndmask_b32_e64 v12, 1, v92, s0
	v_cmp_ne_u32_e64 s0, 5, v5
	v_dual_cndmask_b32 v11, v93, v11 :: v_dual_cndmask_b32 v12, v92, v12
	s_delay_alu instid0(VALU_DEP_2) | instskip(SKIP_1) | instid1(VALU_DEP_3)
	v_cndmask_b32_e64 v4, 1, v91, s0
	v_cmp_ne_u32_e64 s0, 6, v5
	v_cmp_ne_u32_e64 s11, 0, v11
	s_delay_alu instid0(VALU_DEP_4) | instskip(NEXT) | instid1(VALU_DEP_4)
	v_cmp_ne_u32_e64 s10, 0, v12
	v_cndmask_b32_e32 v36, v91, v4, vcc_lo
	s_delay_alu instid0(VALU_DEP_4) | instskip(SKIP_1) | instid1(VALU_DEP_2)
	v_cndmask_b32_e64 v6, 1, v90, s0
	v_cmp_eq_u32_e64 s0, 0, v13
	v_cndmask_b32_e32 v38, v90, v6, vcc_lo
	s_delay_alu instid0(VALU_DEP_2) | instskip(SKIP_1) | instid1(VALU_DEP_3)
	v_cndmask_b32_e64 v7, 1, 2, s0
	v_cmp_eq_u32_e64 s0, 0, v14
	v_cmp_ne_u32_e64 s8, 0, v38
	s_delay_alu instid0(VALU_DEP_2) | instskip(SKIP_1) | instid1(VALU_DEP_2)
	v_cndmask_b32_e64 v15, 1, 2, s0
	v_cmp_ne_u32_e64 s0, 7, v5
	v_and_b32_e32 v7, v15, v7
	s_delay_alu instid0(VALU_DEP_2) | instskip(SKIP_1) | instid1(VALU_DEP_2)
	v_cndmask_b32_e64 v16, 1, v89, s0
	v_cmp_eq_u32_e64 s0, 0, v9
	v_cndmask_b32_e32 v16, v89, v16, vcc_lo
	s_delay_alu instid0(VALU_DEP_2) | instskip(SKIP_1) | instid1(VALU_DEP_3)
	v_cndmask_b32_e64 v15, 1, 2, s0
	v_cmp_ne_u32_e64 s0, 8, v5
	v_cmp_ne_u32_e64 s7, 0, v16
	s_delay_alu instid0(VALU_DEP_3) | instskip(NEXT) | instid1(VALU_DEP_3)
	v_and_b32_e32 v7, v7, v15
	v_cndmask_b32_e64 v33, 1, v87, s0
	v_cmp_ne_u32_e64 s0, 9, v5
	s_delay_alu instid0(VALU_DEP_2) | instskip(NEXT) | instid1(VALU_DEP_2)
	v_cndmask_b32_e32 v33, v87, v33, vcc_lo
	v_cndmask_b32_e64 v34, 1, v86, s0
	v_cmp_eq_u32_e64 s0, 0, v11
	s_delay_alu instid0(VALU_DEP_3) | instskip(NEXT) | instid1(VALU_DEP_3)
	v_cmp_ne_u32_e64 s6, 0, v33
	v_cndmask_b32_e32 v34, v86, v34, vcc_lo
	s_delay_alu instid0(VALU_DEP_3) | instskip(SKIP_1) | instid1(VALU_DEP_3)
	v_cndmask_b32_e64 v15, 1, 2, s0
	v_cmp_ne_u32_e64 s0, 10, v5
	v_cmp_ne_u32_e64 s5, 0, v34
	s_delay_alu instid0(VALU_DEP_3) | instskip(NEXT) | instid1(VALU_DEP_3)
	v_and_b32_e32 v4, v7, v15
	v_cndmask_b32_e64 v35, 1, v85, s0
	v_cmp_eq_u32_e64 s0, 0, v12
	s_delay_alu instid0(VALU_DEP_1) | instskip(SKIP_1) | instid1(VALU_DEP_2)
	v_cndmask_b32_e64 v7, 1, 2, s0
	v_cmp_ne_u32_e64 s0, 11, v5
	v_and_b32_e32 v4, v4, v7
	s_delay_alu instid0(VALU_DEP_2) | instskip(SKIP_1) | instid1(VALU_DEP_2)
	v_cndmask_b32_e64 v15, 1, v84, s0
	v_cmp_ne_u32_e64 s0, 13, v5
	v_cndmask_b32_e32 v15, v84, v15, vcc_lo
	s_delay_alu instid0(VALU_DEP_2) | instskip(NEXT) | instid1(VALU_DEP_2)
	v_cndmask_b32_e64 v37, 1, v82, s0
	v_cmp_ne_u32_e64 s3, 0, v15
	s_delay_alu instid0(VALU_DEP_2) | instskip(SKIP_2) | instid1(VALU_DEP_3)
	v_cndmask_b32_e32 v37, v82, v37, vcc_lo
	v_cmp_eq_u32_e64 s0, 0, v36
	v_cmp_ne_u32_e64 s9, 0, v36
	v_cmp_ne_u32_e64 s1, 0, v37
	s_delay_alu instid0(VALU_DEP_3) | instskip(SKIP_1) | instid1(VALU_DEP_1)
	v_cndmask_b32_e64 v7, 1, 2, s0
	v_cmp_ne_u32_e64 s0, 12, v5
	v_cndmask_b32_e64 v5, 1, v83, s0
	v_cmp_eq_u32_e64 s0, 0, v38
	s_delay_alu instid0(VALU_DEP_2) | instskip(NEXT) | instid1(VALU_DEP_2)
	v_dual_cndmask_b32 v39, v83, v5 :: v_dual_and_b32 v4, v4, v7
	v_cndmask_b32_e64 v6, 1, 2, s0
	v_cmp_eq_u32_e64 s0, 0, v16
	v_cndmask_b32_e32 v35, v85, v35, vcc_lo
	v_cmp_eq_u32_e32 vcc_lo, 0, v33
	v_cmp_ne_u32_e64 s2, 0, v39
	v_and_b32_e32 v40, v4, v6
	v_lshlrev_b64 v[4:5], 3, v[17:18]
	v_cndmask_b32_e64 v41, 1, 2, s0
	v_lshlrev_b64 v[6:7], 3, v[49:50]
	v_cmp_ne_u32_e64 s4, 0, v35
	v_cmp_ne_u32_e64 s0, 0, v10
	s_delay_alu instid0(VALU_DEP_4) | instskip(SKIP_4) | instid1(VALU_DEP_4)
	v_and_b32_e32 v40, v40, v41
	v_cndmask_b32_e64 v41, 1, 2, vcc_lo
	v_add_co_u32 v4, vcc_lo, s20, v4
	v_add_co_ci_u32_e32 v5, vcc_lo, s21, v5, vcc_lo
	v_cmp_eq_u32_e32 vcc_lo, 0, v34
	v_and_b32_e32 v40, v40, v41
	v_cndmask_b32_e64 v41, 1, 2, vcc_lo
	v_add_co_u32 v4, vcc_lo, v4, v6
	v_add_co_ci_u32_e32 v5, vcc_lo, v5, v7, vcc_lo
	v_lshlrev_b32_e32 v6, 3, v8
	v_cmp_eq_u32_e32 vcc_lo, 0, v35
	v_and_b32_e32 v7, v40, v41
	v_add_nc_u32_e32 v8, v49, v8
	v_cndmask_b32_e64 v40, 1, 2, vcc_lo
	v_add_co_u32 v6, vcc_lo, v6, v4
	v_add_co_ci_u32_e32 v41, vcc_lo, 0, v5, vcc_lo
	v_cmp_eq_u32_e32 vcc_lo, 0, v15
	s_delay_alu instid0(VALU_DEP_4) | instskip(SKIP_4) | instid1(VALU_DEP_4)
	v_and_b32_e32 v40, v7, v40
	v_cndmask_b32_e64 v42, 1, 2, vcc_lo
	v_add_co_u32 v6, vcc_lo, v6, -8
	v_add_co_ci_u32_e32 v7, vcc_lo, -1, v41, vcc_lo
	v_cmp_eq_u32_e32 vcc_lo, 0, v39
	v_and_b32_e32 v40, v40, v42
	v_cndmask_b32_e64 v41, 1, 2, vcc_lo
	v_cmp_eq_u32_e32 vcc_lo, 0, v37
	s_delay_alu instid0(VALU_DEP_2) | instskip(SKIP_2) | instid1(VALU_DEP_2)
	v_and_b32_e32 v9, v40, v41
	v_cndmask_b32_e64 v11, 1, 2, vcc_lo
	v_cmp_eq_u32_e32 vcc_lo, 0, v10
	v_and_b32_e32 v9, v9, v11
	v_cndmask_b32_e64 v11, 1, 2, vcc_lo
	v_cmp_gt_u32_e32 vcc_lo, 0x100, v3
	s_delay_alu instid0(VALU_DEP_2) | instskip(NEXT) | instid1(VALU_DEP_1)
	v_and_b32_e32 v9, v9, v11
	v_cmp_gt_i16_e64 s15, 2, v9
	s_cbranch_vccz .LBB992_233
; %bb.217:
	s_delay_alu instid0(VALU_DEP_1)
	s_and_saveexec_b32 s16, s15
	s_cbranch_execz .LBB992_272
; %bb.218:
	s_mov_b32 s18, 0
	s_mov_b32 s15, exec_lo
	v_cmpx_ne_u16_e32 1, v9
	s_xor_b32 s15, exec_lo, s15
	s_cbranch_execz .LBB992_250
; %bb.219:
	s_and_saveexec_b32 s18, s14
	s_cbranch_execz .LBB992_255
; %bb.220:
	v_sub_nc_u32_e32 v10, v98, v8
	v_mov_b32_e32 v11, 0
	s_delay_alu instid0(VALU_DEP_1) | instskip(NEXT) | instid1(VALU_DEP_1)
	v_lshlrev_b64 v[10:11], 3, v[10:11]
	v_add_co_u32 v10, vcc_lo, v6, v10
	s_delay_alu instid0(VALU_DEP_2)
	v_add_co_ci_u32_e32 v11, vcc_lo, v7, v11, vcc_lo
	global_store_b64 v[10:11], v[61:62], off
	s_or_b32 exec_lo, exec_lo, s18
	s_and_saveexec_b32 s18, s13
	s_cbranch_execnz .LBB992_256
.LBB992_221:
	s_or_b32 exec_lo, exec_lo, s18
	s_and_saveexec_b32 s18, s12
	s_cbranch_execz .LBB992_257
.LBB992_222:
	v_sub_nc_u32_e32 v10, v31, v8
	v_mov_b32_e32 v11, 0
	s_delay_alu instid0(VALU_DEP_1) | instskip(NEXT) | instid1(VALU_DEP_1)
	v_lshlrev_b64 v[10:11], 3, v[10:11]
	v_add_co_u32 v10, vcc_lo, v6, v10
	s_delay_alu instid0(VALU_DEP_2)
	v_add_co_ci_u32_e32 v11, vcc_lo, v7, v11, vcc_lo
	global_store_b64 v[10:11], v[65:66], off
	s_or_b32 exec_lo, exec_lo, s18
	s_and_saveexec_b32 s18, s11
	s_cbranch_execnz .LBB992_258
.LBB992_223:
	s_or_b32 exec_lo, exec_lo, s18
	s_and_saveexec_b32 s18, s10
	s_cbranch_execz .LBB992_259
.LBB992_224:
	v_sub_nc_u32_e32 v10, v29, v8
	v_mov_b32_e32 v11, 0
	s_delay_alu instid0(VALU_DEP_1) | instskip(NEXT) | instid1(VALU_DEP_1)
	v_lshlrev_b64 v[10:11], 3, v[10:11]
	v_add_co_u32 v10, vcc_lo, v6, v10
	s_delay_alu instid0(VALU_DEP_2)
	v_add_co_ci_u32_e32 v11, vcc_lo, v7, v11, vcc_lo
	global_store_b64 v[10:11], v[51:52], off
	s_or_b32 exec_lo, exec_lo, s18
	s_and_saveexec_b32 s18, s9
	s_cbranch_execnz .LBB992_260
.LBB992_225:
	s_or_b32 exec_lo, exec_lo, s18
	s_and_saveexec_b32 s18, s8
	s_cbranch_execz .LBB992_261
.LBB992_226:
	v_sub_nc_u32_e32 v10, v27, v8
	v_mov_b32_e32 v11, 0
	s_delay_alu instid0(VALU_DEP_1) | instskip(NEXT) | instid1(VALU_DEP_1)
	v_lshlrev_b64 v[10:11], 3, v[10:11]
	v_add_co_u32 v10, vcc_lo, v6, v10
	s_delay_alu instid0(VALU_DEP_2)
	v_add_co_ci_u32_e32 v11, vcc_lo, v7, v11, vcc_lo
	global_store_b64 v[10:11], v[63:64], off
	s_or_b32 exec_lo, exec_lo, s18
	s_and_saveexec_b32 s18, s7
	s_cbranch_execnz .LBB992_262
.LBB992_227:
	s_or_b32 exec_lo, exec_lo, s18
	s_and_saveexec_b32 s18, s6
	s_cbranch_execz .LBB992_263
.LBB992_228:
	v_sub_nc_u32_e32 v10, v25, v8
	v_mov_b32_e32 v11, 0
	s_delay_alu instid0(VALU_DEP_1) | instskip(NEXT) | instid1(VALU_DEP_1)
	v_lshlrev_b64 v[10:11], 3, v[10:11]
	v_add_co_u32 v10, vcc_lo, v6, v10
	s_delay_alu instid0(VALU_DEP_2)
	v_add_co_ci_u32_e32 v11, vcc_lo, v7, v11, vcc_lo
	global_store_b64 v[10:11], v[71:72], off
	s_or_b32 exec_lo, exec_lo, s18
	s_and_saveexec_b32 s18, s5
	s_cbranch_execnz .LBB992_264
.LBB992_229:
	s_or_b32 exec_lo, exec_lo, s18
	s_and_saveexec_b32 s18, s4
	s_cbranch_execz .LBB992_265
.LBB992_230:
	v_sub_nc_u32_e32 v10, v23, v8
	v_mov_b32_e32 v11, 0
	s_delay_alu instid0(VALU_DEP_1) | instskip(NEXT) | instid1(VALU_DEP_1)
	v_lshlrev_b64 v[10:11], 3, v[10:11]
	v_add_co_u32 v10, vcc_lo, v6, v10
	s_delay_alu instid0(VALU_DEP_2)
	v_add_co_ci_u32_e32 v11, vcc_lo, v7, v11, vcc_lo
	global_store_b64 v[10:11], v[57:58], off
	s_or_b32 exec_lo, exec_lo, s18
	s_and_saveexec_b32 s18, s3
	s_cbranch_execnz .LBB992_266
.LBB992_231:
	s_or_b32 exec_lo, exec_lo, s18
	s_and_saveexec_b32 s18, s2
	s_cbranch_execz .LBB992_267
.LBB992_232:
	v_sub_nc_u32_e32 v10, v21, v8
	v_mov_b32_e32 v11, 0
	s_delay_alu instid0(VALU_DEP_1) | instskip(NEXT) | instid1(VALU_DEP_1)
	v_lshlrev_b64 v[10:11], 3, v[10:11]
	v_add_co_u32 v10, vcc_lo, v6, v10
	s_delay_alu instid0(VALU_DEP_2)
	v_add_co_ci_u32_e32 v11, vcc_lo, v7, v11, vcc_lo
	global_store_b64 v[10:11], v[77:78], off
	s_or_b32 exec_lo, exec_lo, s18
	s_and_saveexec_b32 s18, s1
	s_cbranch_execnz .LBB992_268
	s_branch .LBB992_269
.LBB992_233:
	s_and_b32 vcc_lo, exec_lo, s16
	s_cbranch_vccz .LBB992_273
; %bb.234:
	s_mov_b32 s15, exec_lo
	v_cmpx_gt_i16_e32 2, v9
	s_cbranch_execz .LBB992_291
; %bb.235:
	s_mov_b32 s18, 0
	s_mov_b32 s16, exec_lo
	v_cmpx_ne_u16_e32 1, v9
	s_xor_b32 s16, exec_lo, s16
	s_cbranch_execz .LBB992_252
; %bb.236:
	s_and_saveexec_b32 s18, s14
	s_cbranch_execz .LBB992_274
; %bb.237:
	v_sub_nc_u32_e32 v9, v98, v8
	s_delay_alu instid0(VALU_DEP_1)
	v_lshlrev_b32_e32 v9, 3, v9
	ds_store_b64 v9, v[61:62]
	s_or_b32 exec_lo, exec_lo, s18
	s_and_saveexec_b32 s14, s13
	s_cbranch_execnz .LBB992_275
.LBB992_238:
	s_or_b32 exec_lo, exec_lo, s14
	s_and_saveexec_b32 s13, s12
	s_cbranch_execz .LBB992_276
.LBB992_239:
	v_sub_nc_u32_e32 v9, v31, v8
	s_delay_alu instid0(VALU_DEP_1)
	v_lshlrev_b32_e32 v9, 3, v9
	ds_store_b64 v9, v[65:66]
	s_or_b32 exec_lo, exec_lo, s13
	s_and_saveexec_b32 s12, s11
	s_cbranch_execnz .LBB992_277
.LBB992_240:
	s_or_b32 exec_lo, exec_lo, s12
	s_and_saveexec_b32 s11, s10
	s_cbranch_execz .LBB992_278
.LBB992_241:
	v_sub_nc_u32_e32 v9, v29, v8
	s_delay_alu instid0(VALU_DEP_1)
	v_lshlrev_b32_e32 v9, 3, v9
	ds_store_b64 v9, v[51:52]
	s_or_b32 exec_lo, exec_lo, s11
	s_and_saveexec_b32 s10, s9
	s_cbranch_execnz .LBB992_279
.LBB992_242:
	s_or_b32 exec_lo, exec_lo, s10
	s_and_saveexec_b32 s9, s8
	s_cbranch_execz .LBB992_280
.LBB992_243:
	v_sub_nc_u32_e32 v9, v27, v8
	s_delay_alu instid0(VALU_DEP_1)
	v_lshlrev_b32_e32 v9, 3, v9
	ds_store_b64 v9, v[63:64]
	s_or_b32 exec_lo, exec_lo, s9
	s_and_saveexec_b32 s8, s7
	s_cbranch_execnz .LBB992_281
.LBB992_244:
	s_or_b32 exec_lo, exec_lo, s8
	s_and_saveexec_b32 s7, s6
	s_cbranch_execz .LBB992_282
.LBB992_245:
	v_sub_nc_u32_e32 v9, v25, v8
	s_delay_alu instid0(VALU_DEP_1)
	v_lshlrev_b32_e32 v9, 3, v9
	ds_store_b64 v9, v[71:72]
	s_or_b32 exec_lo, exec_lo, s7
	s_and_saveexec_b32 s6, s5
	s_cbranch_execnz .LBB992_283
.LBB992_246:
	s_or_b32 exec_lo, exec_lo, s6
	s_and_saveexec_b32 s5, s4
	s_cbranch_execz .LBB992_284
.LBB992_247:
	v_sub_nc_u32_e32 v9, v23, v8
	s_delay_alu instid0(VALU_DEP_1)
	v_lshlrev_b32_e32 v9, 3, v9
	ds_store_b64 v9, v[57:58]
	s_or_b32 exec_lo, exec_lo, s5
	s_and_saveexec_b32 s4, s3
	s_cbranch_execnz .LBB992_285
.LBB992_248:
	s_or_b32 exec_lo, exec_lo, s4
	s_and_saveexec_b32 s3, s2
	s_cbranch_execz .LBB992_286
.LBB992_249:
	v_sub_nc_u32_e32 v9, v21, v8
	s_delay_alu instid0(VALU_DEP_1)
	v_lshlrev_b32_e32 v9, 3, v9
	ds_store_b64 v9, v[77:78]
	s_or_b32 exec_lo, exec_lo, s3
	s_and_saveexec_b32 s2, s1
	s_cbranch_execnz .LBB992_287
	s_branch .LBB992_288
.LBB992_250:
	s_and_not1_saveexec_b32 s15, s15
	s_cbranch_execz .LBB992_270
.LBB992_251:
	v_sub_nc_u32_e32 v10, v98, v8
	v_mov_b32_e32 v11, 0
	s_or_b32 s18, s18, exec_lo
	s_delay_alu instid0(VALU_DEP_1) | instskip(SKIP_1) | instid1(VALU_DEP_1)
	v_lshlrev_b64 v[12:13], 3, v[10:11]
	v_sub_nc_u32_e32 v10, v32, v8
	v_lshlrev_b64 v[14:15], 3, v[10:11]
	v_sub_nc_u32_e32 v10, v31, v8
	s_delay_alu instid0(VALU_DEP_4) | instskip(SKIP_1) | instid1(VALU_DEP_3)
	v_add_co_u32 v12, vcc_lo, v6, v12
	v_add_co_ci_u32_e32 v13, vcc_lo, v7, v13, vcc_lo
	v_lshlrev_b64 v[33:34], 3, v[10:11]
	v_sub_nc_u32_e32 v10, v30, v8
	v_add_co_u32 v14, vcc_lo, v6, v14
	v_add_co_ci_u32_e32 v15, vcc_lo, v7, v15, vcc_lo
	global_store_b64 v[12:13], v[61:62], off
	v_lshlrev_b64 v[12:13], 3, v[10:11]
	v_sub_nc_u32_e32 v10, v29, v8
	global_store_b64 v[14:15], v[59:60], off
	v_add_co_u32 v14, vcc_lo, v6, v33
	v_add_co_ci_u32_e32 v15, vcc_lo, v7, v34, vcc_lo
	v_lshlrev_b64 v[33:34], 3, v[10:11]
	v_sub_nc_u32_e32 v10, v28, v8
	v_add_co_u32 v12, vcc_lo, v6, v12
	v_add_co_ci_u32_e32 v13, vcc_lo, v7, v13, vcc_lo
	s_delay_alu instid0(VALU_DEP_3) | instskip(SKIP_3) | instid1(VALU_DEP_3)
	v_lshlrev_b64 v[35:36], 3, v[10:11]
	v_sub_nc_u32_e32 v10, v27, v8
	v_add_co_u32 v33, vcc_lo, v6, v33
	v_add_co_ci_u32_e32 v34, vcc_lo, v7, v34, vcc_lo
	v_lshlrev_b64 v[37:38], 3, v[10:11]
	v_sub_nc_u32_e32 v10, v26, v8
	v_add_co_u32 v35, vcc_lo, v6, v35
	v_add_co_ci_u32_e32 v36, vcc_lo, v7, v36, vcc_lo
	s_clause 0x3
	global_store_b64 v[14:15], v[65:66], off
	global_store_b64 v[12:13], v[69:70], off
	;; [unrolled: 1-line block ×4, first 2 shown]
	v_lshlrev_b64 v[12:13], 3, v[10:11]
	v_sub_nc_u32_e32 v10, v25, v8
	v_add_co_u32 v14, vcc_lo, v6, v37
	v_add_co_ci_u32_e32 v15, vcc_lo, v7, v38, vcc_lo
	s_delay_alu instid0(VALU_DEP_3) | instskip(SKIP_3) | instid1(VALU_DEP_3)
	v_lshlrev_b64 v[33:34], 3, v[10:11]
	v_sub_nc_u32_e32 v10, v24, v8
	v_add_co_u32 v12, vcc_lo, v6, v12
	v_add_co_ci_u32_e32 v13, vcc_lo, v7, v13, vcc_lo
	v_lshlrev_b64 v[35:36], 3, v[10:11]
	v_sub_nc_u32_e32 v10, v23, v8
	v_add_co_u32 v33, vcc_lo, v6, v33
	v_add_co_ci_u32_e32 v34, vcc_lo, v7, v34, vcc_lo
	s_delay_alu instid0(VALU_DEP_3)
	v_lshlrev_b64 v[37:38], 3, v[10:11]
	v_sub_nc_u32_e32 v10, v22, v8
	v_add_co_u32 v35, vcc_lo, v6, v35
	v_add_co_ci_u32_e32 v36, vcc_lo, v7, v36, vcc_lo
	s_clause 0x3
	global_store_b64 v[14:15], v[63:64], off
	global_store_b64 v[12:13], v[67:68], off
	;; [unrolled: 1-line block ×4, first 2 shown]
	v_lshlrev_b64 v[12:13], 3, v[10:11]
	v_sub_nc_u32_e32 v10, v21, v8
	v_add_co_u32 v14, vcc_lo, v6, v37
	v_add_co_ci_u32_e32 v15, vcc_lo, v7, v38, vcc_lo
	s_delay_alu instid0(VALU_DEP_3) | instskip(SKIP_3) | instid1(VALU_DEP_3)
	v_lshlrev_b64 v[33:34], 3, v[10:11]
	v_sub_nc_u32_e32 v10, v20, v8
	v_add_co_u32 v12, vcc_lo, v6, v12
	v_add_co_ci_u32_e32 v13, vcc_lo, v7, v13, vcc_lo
	v_lshlrev_b64 v[10:11], 3, v[10:11]
	v_add_co_u32 v33, vcc_lo, v6, v33
	v_add_co_ci_u32_e32 v34, vcc_lo, v7, v34, vcc_lo
	s_clause 0x2
	global_store_b64 v[14:15], v[57:58], off
	global_store_b64 v[12:13], v[73:74], off
	;; [unrolled: 1-line block ×3, first 2 shown]
	v_add_co_u32 v10, vcc_lo, v6, v10
	v_add_co_ci_u32_e32 v11, vcc_lo, v7, v11, vcc_lo
	global_store_b64 v[10:11], v[75:76], off
	s_or_b32 exec_lo, exec_lo, s15
	s_delay_alu instid0(SALU_CYCLE_1)
	s_and_b32 exec_lo, exec_lo, s18
	s_cbranch_execnz .LBB992_271
	s_branch .LBB992_272
.LBB992_252:
	s_and_not1_saveexec_b32 s0, s16
	s_cbranch_execz .LBB992_289
.LBB992_253:
	v_sub_nc_u32_e32 v9, v98, v8
	v_sub_nc_u32_e32 v10, v32, v8
	;; [unrolled: 1-line block ×5, first 2 shown]
	v_lshlrev_b32_e32 v9, 3, v9
	v_lshlrev_b32_e32 v10, 3, v10
	;; [unrolled: 1-line block ×4, first 2 shown]
	s_or_b32 s18, s18, exec_lo
	ds_store_b64 v9, v[61:62]
	ds_store_b64 v10, v[59:60]
	;; [unrolled: 1-line block ×3, first 2 shown]
	v_sub_nc_u32_e32 v9, v29, v8
	v_sub_nc_u32_e32 v10, v28, v8
	;; [unrolled: 1-line block ×3, first 2 shown]
	ds_store_b64 v12, v[69:70]
	v_sub_nc_u32_e32 v12, v26, v8
	v_lshlrev_b32_e32 v9, 3, v9
	v_lshlrev_b32_e32 v10, 3, v10
	;; [unrolled: 1-line block ×3, first 2 shown]
	s_delay_alu instid0(VALU_DEP_4)
	v_lshlrev_b32_e32 v12, 3, v12
	ds_store_b64 v9, v[51:52]
	v_lshlrev_b32_e32 v9, 3, v13
	ds_store_b64 v10, v[55:56]
	ds_store_b64 v11, v[63:64]
	;; [unrolled: 1-line block ×3, first 2 shown]
	v_sub_nc_u32_e32 v10, v24, v8
	v_sub_nc_u32_e32 v13, v20, v8
	;; [unrolled: 1-line block ×3, first 2 shown]
	ds_store_b64 v9, v[71:72]
	v_sub_nc_u32_e32 v9, v23, v8
	v_lshlrev_b32_e32 v10, 3, v10
	v_sub_nc_u32_e32 v12, v21, v8
	v_lshlrev_b32_e32 v11, 3, v11
	s_delay_alu instid0(VALU_DEP_4)
	v_lshlrev_b32_e32 v9, 3, v9
	ds_store_b64 v10, v[53:54]
	v_lshlrev_b32_e32 v10, 3, v13
	v_lshlrev_b32_e32 v12, 3, v12
	ds_store_b64 v9, v[57:58]
	ds_store_b64 v11, v[73:74]
	;; [unrolled: 1-line block ×4, first 2 shown]
	s_or_b32 exec_lo, exec_lo, s0
	s_delay_alu instid0(SALU_CYCLE_1)
	s_and_b32 exec_lo, exec_lo, s18
	s_cbranch_execnz .LBB992_290
	s_branch .LBB992_291
.LBB992_254:
	s_or_b32 exec_lo, exec_lo, s2
	v_mov_b32_e32 v96, s1
	s_and_saveexec_b32 s1, s30
	s_cbranch_execnz .LBB992_73
	s_branch .LBB992_74
.LBB992_255:
	s_or_b32 exec_lo, exec_lo, s18
	s_and_saveexec_b32 s18, s13
	s_cbranch_execz .LBB992_221
.LBB992_256:
	v_sub_nc_u32_e32 v10, v32, v8
	v_mov_b32_e32 v11, 0
	s_delay_alu instid0(VALU_DEP_1) | instskip(NEXT) | instid1(VALU_DEP_1)
	v_lshlrev_b64 v[10:11], 3, v[10:11]
	v_add_co_u32 v10, vcc_lo, v6, v10
	s_delay_alu instid0(VALU_DEP_2)
	v_add_co_ci_u32_e32 v11, vcc_lo, v7, v11, vcc_lo
	global_store_b64 v[10:11], v[59:60], off
	s_or_b32 exec_lo, exec_lo, s18
	s_and_saveexec_b32 s18, s12
	s_cbranch_execnz .LBB992_222
.LBB992_257:
	s_or_b32 exec_lo, exec_lo, s18
	s_and_saveexec_b32 s18, s11
	s_cbranch_execz .LBB992_223
.LBB992_258:
	v_sub_nc_u32_e32 v10, v30, v8
	v_mov_b32_e32 v11, 0
	s_delay_alu instid0(VALU_DEP_1) | instskip(NEXT) | instid1(VALU_DEP_1)
	v_lshlrev_b64 v[10:11], 3, v[10:11]
	v_add_co_u32 v10, vcc_lo, v6, v10
	s_delay_alu instid0(VALU_DEP_2)
	v_add_co_ci_u32_e32 v11, vcc_lo, v7, v11, vcc_lo
	global_store_b64 v[10:11], v[69:70], off
	s_or_b32 exec_lo, exec_lo, s18
	s_and_saveexec_b32 s18, s10
	s_cbranch_execnz .LBB992_224
.LBB992_259:
	s_or_b32 exec_lo, exec_lo, s18
	s_and_saveexec_b32 s18, s9
	s_cbranch_execz .LBB992_225
.LBB992_260:
	v_sub_nc_u32_e32 v10, v28, v8
	v_mov_b32_e32 v11, 0
	s_delay_alu instid0(VALU_DEP_1) | instskip(NEXT) | instid1(VALU_DEP_1)
	v_lshlrev_b64 v[10:11], 3, v[10:11]
	v_add_co_u32 v10, vcc_lo, v6, v10
	s_delay_alu instid0(VALU_DEP_2)
	v_add_co_ci_u32_e32 v11, vcc_lo, v7, v11, vcc_lo
	global_store_b64 v[10:11], v[55:56], off
	s_or_b32 exec_lo, exec_lo, s18
	s_and_saveexec_b32 s18, s8
	s_cbranch_execnz .LBB992_226
.LBB992_261:
	s_or_b32 exec_lo, exec_lo, s18
	s_and_saveexec_b32 s18, s7
	s_cbranch_execz .LBB992_227
.LBB992_262:
	v_sub_nc_u32_e32 v10, v26, v8
	v_mov_b32_e32 v11, 0
	s_delay_alu instid0(VALU_DEP_1) | instskip(NEXT) | instid1(VALU_DEP_1)
	v_lshlrev_b64 v[10:11], 3, v[10:11]
	v_add_co_u32 v10, vcc_lo, v6, v10
	s_delay_alu instid0(VALU_DEP_2)
	v_add_co_ci_u32_e32 v11, vcc_lo, v7, v11, vcc_lo
	global_store_b64 v[10:11], v[67:68], off
	s_or_b32 exec_lo, exec_lo, s18
	s_and_saveexec_b32 s18, s6
	s_cbranch_execnz .LBB992_228
.LBB992_263:
	s_or_b32 exec_lo, exec_lo, s18
	s_and_saveexec_b32 s18, s5
	s_cbranch_execz .LBB992_229
.LBB992_264:
	v_sub_nc_u32_e32 v10, v24, v8
	v_mov_b32_e32 v11, 0
	s_delay_alu instid0(VALU_DEP_1) | instskip(NEXT) | instid1(VALU_DEP_1)
	v_lshlrev_b64 v[10:11], 3, v[10:11]
	v_add_co_u32 v10, vcc_lo, v6, v10
	s_delay_alu instid0(VALU_DEP_2)
	v_add_co_ci_u32_e32 v11, vcc_lo, v7, v11, vcc_lo
	global_store_b64 v[10:11], v[53:54], off
	s_or_b32 exec_lo, exec_lo, s18
	s_and_saveexec_b32 s18, s4
	s_cbranch_execnz .LBB992_230
.LBB992_265:
	s_or_b32 exec_lo, exec_lo, s18
	s_and_saveexec_b32 s18, s3
	s_cbranch_execz .LBB992_231
.LBB992_266:
	v_sub_nc_u32_e32 v10, v22, v8
	v_mov_b32_e32 v11, 0
	s_delay_alu instid0(VALU_DEP_1) | instskip(NEXT) | instid1(VALU_DEP_1)
	v_lshlrev_b64 v[10:11], 3, v[10:11]
	v_add_co_u32 v10, vcc_lo, v6, v10
	s_delay_alu instid0(VALU_DEP_2)
	v_add_co_ci_u32_e32 v11, vcc_lo, v7, v11, vcc_lo
	global_store_b64 v[10:11], v[73:74], off
	s_or_b32 exec_lo, exec_lo, s18
	s_and_saveexec_b32 s18, s2
	s_cbranch_execnz .LBB992_232
.LBB992_267:
	s_or_b32 exec_lo, exec_lo, s18
	s_and_saveexec_b32 s18, s1
	s_cbranch_execz .LBB992_269
.LBB992_268:
	v_sub_nc_u32_e32 v10, v20, v8
	v_mov_b32_e32 v11, 0
	s_delay_alu instid0(VALU_DEP_1) | instskip(NEXT) | instid1(VALU_DEP_1)
	v_lshlrev_b64 v[10:11], 3, v[10:11]
	v_add_co_u32 v10, vcc_lo, v6, v10
	s_delay_alu instid0(VALU_DEP_2)
	v_add_co_ci_u32_e32 v11, vcc_lo, v7, v11, vcc_lo
	global_store_b64 v[10:11], v[75:76], off
.LBB992_269:
	s_or_b32 exec_lo, exec_lo, s18
	s_delay_alu instid0(SALU_CYCLE_1)
	s_and_b32 s18, s0, exec_lo
	s_and_not1_saveexec_b32 s15, s15
	s_cbranch_execnz .LBB992_251
.LBB992_270:
	s_or_b32 exec_lo, exec_lo, s15
	s_delay_alu instid0(SALU_CYCLE_1)
	s_and_b32 exec_lo, exec_lo, s18
	s_cbranch_execz .LBB992_272
.LBB992_271:
	v_sub_nc_u32_e32 v10, v19, v8
	v_mov_b32_e32 v11, 0
	s_delay_alu instid0(VALU_DEP_1) | instskip(NEXT) | instid1(VALU_DEP_1)
	v_lshlrev_b64 v[10:11], 3, v[10:11]
	v_add_co_u32 v10, vcc_lo, v6, v10
	s_delay_alu instid0(VALU_DEP_2)
	v_add_co_ci_u32_e32 v11, vcc_lo, v7, v11, vcc_lo
	global_store_b64 v[10:11], v[1:2], off
.LBB992_272:
	s_or_b32 exec_lo, exec_lo, s16
.LBB992_273:
	v_cmp_eq_u32_e32 vcc_lo, 0xff, v0
	s_and_b32 s0, vcc_lo, s17
	s_delay_alu instid0(SALU_CYCLE_1)
	s_and_saveexec_b32 s1, s0
	s_cbranch_execnz .LBB992_295
	s_branch .LBB992_297
.LBB992_274:
	s_or_b32 exec_lo, exec_lo, s18
	s_and_saveexec_b32 s14, s13
	s_cbranch_execz .LBB992_238
.LBB992_275:
	v_sub_nc_u32_e32 v9, v32, v8
	s_delay_alu instid0(VALU_DEP_1)
	v_lshlrev_b32_e32 v9, 3, v9
	ds_store_b64 v9, v[59:60]
	s_or_b32 exec_lo, exec_lo, s14
	s_and_saveexec_b32 s13, s12
	s_cbranch_execnz .LBB992_239
.LBB992_276:
	s_or_b32 exec_lo, exec_lo, s13
	s_and_saveexec_b32 s12, s11
	s_cbranch_execz .LBB992_240
.LBB992_277:
	v_sub_nc_u32_e32 v9, v30, v8
	s_delay_alu instid0(VALU_DEP_1)
	v_lshlrev_b32_e32 v9, 3, v9
	ds_store_b64 v9, v[69:70]
	s_or_b32 exec_lo, exec_lo, s12
	s_and_saveexec_b32 s11, s10
	s_cbranch_execnz .LBB992_241
.LBB992_278:
	s_or_b32 exec_lo, exec_lo, s11
	s_and_saveexec_b32 s10, s9
	s_cbranch_execz .LBB992_242
.LBB992_279:
	v_sub_nc_u32_e32 v9, v28, v8
	s_delay_alu instid0(VALU_DEP_1)
	v_lshlrev_b32_e32 v9, 3, v9
	ds_store_b64 v9, v[55:56]
	s_or_b32 exec_lo, exec_lo, s10
	s_and_saveexec_b32 s9, s8
	s_cbranch_execnz .LBB992_243
.LBB992_280:
	s_or_b32 exec_lo, exec_lo, s9
	s_and_saveexec_b32 s8, s7
	s_cbranch_execz .LBB992_244
.LBB992_281:
	v_sub_nc_u32_e32 v9, v26, v8
	s_delay_alu instid0(VALU_DEP_1)
	v_lshlrev_b32_e32 v9, 3, v9
	ds_store_b64 v9, v[67:68]
	s_or_b32 exec_lo, exec_lo, s8
	s_and_saveexec_b32 s7, s6
	s_cbranch_execnz .LBB992_245
.LBB992_282:
	s_or_b32 exec_lo, exec_lo, s7
	s_and_saveexec_b32 s6, s5
	s_cbranch_execz .LBB992_246
.LBB992_283:
	v_sub_nc_u32_e32 v9, v24, v8
	s_delay_alu instid0(VALU_DEP_1)
	v_lshlrev_b32_e32 v9, 3, v9
	ds_store_b64 v9, v[53:54]
	s_or_b32 exec_lo, exec_lo, s6
	s_and_saveexec_b32 s5, s4
	s_cbranch_execnz .LBB992_247
.LBB992_284:
	s_or_b32 exec_lo, exec_lo, s5
	s_and_saveexec_b32 s4, s3
	s_cbranch_execz .LBB992_248
.LBB992_285:
	v_sub_nc_u32_e32 v9, v22, v8
	s_delay_alu instid0(VALU_DEP_1)
	v_lshlrev_b32_e32 v9, 3, v9
	ds_store_b64 v9, v[73:74]
	s_or_b32 exec_lo, exec_lo, s4
	s_and_saveexec_b32 s3, s2
	s_cbranch_execnz .LBB992_249
.LBB992_286:
	s_or_b32 exec_lo, exec_lo, s3
	s_and_saveexec_b32 s2, s1
	s_cbranch_execz .LBB992_288
.LBB992_287:
	v_sub_nc_u32_e32 v9, v20, v8
	s_delay_alu instid0(VALU_DEP_1)
	v_lshlrev_b32_e32 v9, 3, v9
	ds_store_b64 v9, v[75:76]
.LBB992_288:
	s_or_b32 exec_lo, exec_lo, s2
	s_delay_alu instid0(SALU_CYCLE_1)
	s_and_b32 s18, s0, exec_lo
                                        ; implicit-def: $vgpr61_vgpr62
                                        ; implicit-def: $vgpr59_vgpr60
                                        ; implicit-def: $vgpr65_vgpr66
                                        ; implicit-def: $vgpr69_vgpr70
                                        ; implicit-def: $vgpr51_vgpr52
                                        ; implicit-def: $vgpr55_vgpr56
                                        ; implicit-def: $vgpr63_vgpr64
                                        ; implicit-def: $vgpr67_vgpr68
                                        ; implicit-def: $vgpr71_vgpr72
                                        ; implicit-def: $vgpr53_vgpr54
                                        ; implicit-def: $vgpr57_vgpr58
                                        ; implicit-def: $vgpr73_vgpr74
                                        ; implicit-def: $vgpr77_vgpr78
                                        ; implicit-def: $vgpr75_vgpr76
                                        ; implicit-def: $vgpr98
                                        ; implicit-def: $vgpr32
                                        ; implicit-def: $vgpr31
                                        ; implicit-def: $vgpr30
                                        ; implicit-def: $vgpr29
                                        ; implicit-def: $vgpr28
                                        ; implicit-def: $vgpr27
                                        ; implicit-def: $vgpr26
                                        ; implicit-def: $vgpr25
                                        ; implicit-def: $vgpr24
                                        ; implicit-def: $vgpr23
                                        ; implicit-def: $vgpr22
                                        ; implicit-def: $vgpr21
                                        ; implicit-def: $vgpr20
	s_and_not1_saveexec_b32 s0, s16
	s_cbranch_execnz .LBB992_253
.LBB992_289:
	s_or_b32 exec_lo, exec_lo, s0
	s_delay_alu instid0(SALU_CYCLE_1)
	s_and_b32 exec_lo, exec_lo, s18
	s_cbranch_execz .LBB992_291
.LBB992_290:
	v_sub_nc_u32_e32 v8, v19, v8
	s_delay_alu instid0(VALU_DEP_1)
	v_lshlrev_b32_e32 v8, 3, v8
	ds_store_b64 v8, v[1:2]
.LBB992_291:
	s_or_b32 exec_lo, exec_lo, s15
	s_delay_alu instid0(SALU_CYCLE_1)
	s_mov_b32 s1, exec_lo
	s_waitcnt lgkmcnt(0)
	s_waitcnt_vscnt null, 0x0
	s_barrier
	buffer_gl0_inv
	v_cmpx_lt_u32_e64 v0, v3
	s_cbranch_execz .LBB992_294
; %bb.292:
	v_dual_mov_b32 v1, v0 :: v_dual_lshlrev_b32 v8, 3, v0
	v_mov_b32_e32 v2, 0
	s_mov_b32 s2, 0
	.p2align	6
.LBB992_293:                            ; =>This Inner Loop Header: Depth=1
	ds_load_b64 v[9:10], v8
	v_lshlrev_b64 v[11:12], 3, v[1:2]
	v_add_nc_u32_e32 v1, 0x100, v1
	v_add_nc_u32_e32 v8, 0x800, v8
	s_delay_alu instid0(VALU_DEP_2) | instskip(NEXT) | instid1(VALU_DEP_4)
	v_cmp_ge_u32_e32 vcc_lo, v1, v3
	v_add_co_u32 v11, s0, v6, v11
	s_delay_alu instid0(VALU_DEP_1)
	v_add_co_ci_u32_e64 v12, s0, v7, v12, s0
	s_or_b32 s2, vcc_lo, s2
	s_waitcnt lgkmcnt(0)
	global_store_b64 v[11:12], v[9:10], off
	s_and_not1_b32 exec_lo, exec_lo, s2
	s_cbranch_execnz .LBB992_293
.LBB992_294:
	s_or_b32 exec_lo, exec_lo, s1
	v_cmp_eq_u32_e32 vcc_lo, 0xff, v0
	s_and_b32 s0, vcc_lo, s17
	s_delay_alu instid0(SALU_CYCLE_1)
	s_and_saveexec_b32 s1, s0
	s_cbranch_execz .LBB992_297
.LBB992_295:
	v_add_co_u32 v0, s0, v45, v49
	s_delay_alu instid0(VALU_DEP_1) | instskip(SKIP_1) | instid1(VALU_DEP_3)
	v_add_co_ci_u32_e64 v1, null, 0, 0, s0
	v_mov_b32_e32 v46, 0
	v_add_co_u32 v0, vcc_lo, v0, v17
	s_delay_alu instid0(VALU_DEP_3)
	v_add_co_ci_u32_e32 v1, vcc_lo, v1, v18, vcc_lo
	s_cmpk_lg_i32 s26, 0xf00
	global_store_b64 v46, v[0:1], s[22:23]
	s_cbranch_scc1 .LBB992_297
; %bb.296:
	v_lshlrev_b64 v[0:1], 3, v[45:46]
	s_delay_alu instid0(VALU_DEP_1) | instskip(NEXT) | instid1(VALU_DEP_2)
	v_add_co_u32 v0, vcc_lo, v4, v0
	v_add_co_ci_u32_e32 v1, vcc_lo, v5, v1, vcc_lo
	global_store_b64 v[0:1], v[47:48], off offset:-8
	s_nop 0
	s_sendmsg sendmsg(MSG_DEALLOC_VGPRS)
	s_endpgm
.LBB992_297:
	s_nop 0
	s_sendmsg sendmsg(MSG_DEALLOC_VGPRS)
	s_endpgm
	.section	.rodata,"a",@progbits
	.p2align	6, 0x0
	.amdhsa_kernel _ZN7rocprim17ROCPRIM_400000_NS6detail17trampoline_kernelINS0_14default_configENS1_29reduce_by_key_config_selectorIjxN6thrust23THRUST_200600_302600_NS4plusIxEEEEZZNS1_33reduce_by_key_impl_wrapped_configILNS1_25lookback_scan_determinismE0ES3_S9_NS6_6detail15normal_iteratorINS6_10device_ptrIjEEEENSD_INSE_IxEEEENS6_16discard_iteratorINS6_11use_defaultEEESI_PmS8_NS6_8equal_toIjEEEE10hipError_tPvRmT2_T3_mT4_T5_T6_T7_T8_P12ihipStream_tbENKUlT_T0_E_clISt17integral_constantIbLb0EES16_EEDaS11_S12_EUlS11_E_NS1_11comp_targetILNS1_3genE9ELNS1_11target_archE1100ELNS1_3gpuE3ELNS1_3repE0EEENS1_30default_config_static_selectorELNS0_4arch9wavefront6targetE0EEEvT1_
		.amdhsa_group_segment_fixed_size 30720
		.amdhsa_private_segment_fixed_size 0
		.amdhsa_kernarg_size 144
		.amdhsa_user_sgpr_count 15
		.amdhsa_user_sgpr_dispatch_ptr 0
		.amdhsa_user_sgpr_queue_ptr 0
		.amdhsa_user_sgpr_kernarg_segment_ptr 1
		.amdhsa_user_sgpr_dispatch_id 0
		.amdhsa_user_sgpr_private_segment_size 0
		.amdhsa_wavefront_size32 1
		.amdhsa_uses_dynamic_stack 0
		.amdhsa_enable_private_segment 0
		.amdhsa_system_sgpr_workgroup_id_x 1
		.amdhsa_system_sgpr_workgroup_id_y 0
		.amdhsa_system_sgpr_workgroup_id_z 0
		.amdhsa_system_sgpr_workgroup_info 0
		.amdhsa_system_vgpr_workitem_id 0
		.amdhsa_next_free_vgpr 103
		.amdhsa_next_free_sgpr 52
		.amdhsa_reserve_vcc 1
		.amdhsa_float_round_mode_32 0
		.amdhsa_float_round_mode_16_64 0
		.amdhsa_float_denorm_mode_32 3
		.amdhsa_float_denorm_mode_16_64 3
		.amdhsa_dx10_clamp 1
		.amdhsa_ieee_mode 1
		.amdhsa_fp16_overflow 0
		.amdhsa_workgroup_processor_mode 1
		.amdhsa_memory_ordered 1
		.amdhsa_forward_progress 0
		.amdhsa_shared_vgpr_count 0
		.amdhsa_exception_fp_ieee_invalid_op 0
		.amdhsa_exception_fp_denorm_src 0
		.amdhsa_exception_fp_ieee_div_zero 0
		.amdhsa_exception_fp_ieee_overflow 0
		.amdhsa_exception_fp_ieee_underflow 0
		.amdhsa_exception_fp_ieee_inexact 0
		.amdhsa_exception_int_div_zero 0
	.end_amdhsa_kernel
	.section	.text._ZN7rocprim17ROCPRIM_400000_NS6detail17trampoline_kernelINS0_14default_configENS1_29reduce_by_key_config_selectorIjxN6thrust23THRUST_200600_302600_NS4plusIxEEEEZZNS1_33reduce_by_key_impl_wrapped_configILNS1_25lookback_scan_determinismE0ES3_S9_NS6_6detail15normal_iteratorINS6_10device_ptrIjEEEENSD_INSE_IxEEEENS6_16discard_iteratorINS6_11use_defaultEEESI_PmS8_NS6_8equal_toIjEEEE10hipError_tPvRmT2_T3_mT4_T5_T6_T7_T8_P12ihipStream_tbENKUlT_T0_E_clISt17integral_constantIbLb0EES16_EEDaS11_S12_EUlS11_E_NS1_11comp_targetILNS1_3genE9ELNS1_11target_archE1100ELNS1_3gpuE3ELNS1_3repE0EEENS1_30default_config_static_selectorELNS0_4arch9wavefront6targetE0EEEvT1_,"axG",@progbits,_ZN7rocprim17ROCPRIM_400000_NS6detail17trampoline_kernelINS0_14default_configENS1_29reduce_by_key_config_selectorIjxN6thrust23THRUST_200600_302600_NS4plusIxEEEEZZNS1_33reduce_by_key_impl_wrapped_configILNS1_25lookback_scan_determinismE0ES3_S9_NS6_6detail15normal_iteratorINS6_10device_ptrIjEEEENSD_INSE_IxEEEENS6_16discard_iteratorINS6_11use_defaultEEESI_PmS8_NS6_8equal_toIjEEEE10hipError_tPvRmT2_T3_mT4_T5_T6_T7_T8_P12ihipStream_tbENKUlT_T0_E_clISt17integral_constantIbLb0EES16_EEDaS11_S12_EUlS11_E_NS1_11comp_targetILNS1_3genE9ELNS1_11target_archE1100ELNS1_3gpuE3ELNS1_3repE0EEENS1_30default_config_static_selectorELNS0_4arch9wavefront6targetE0EEEvT1_,comdat
.Lfunc_end992:
	.size	_ZN7rocprim17ROCPRIM_400000_NS6detail17trampoline_kernelINS0_14default_configENS1_29reduce_by_key_config_selectorIjxN6thrust23THRUST_200600_302600_NS4plusIxEEEEZZNS1_33reduce_by_key_impl_wrapped_configILNS1_25lookback_scan_determinismE0ES3_S9_NS6_6detail15normal_iteratorINS6_10device_ptrIjEEEENSD_INSE_IxEEEENS6_16discard_iteratorINS6_11use_defaultEEESI_PmS8_NS6_8equal_toIjEEEE10hipError_tPvRmT2_T3_mT4_T5_T6_T7_T8_P12ihipStream_tbENKUlT_T0_E_clISt17integral_constantIbLb0EES16_EEDaS11_S12_EUlS11_E_NS1_11comp_targetILNS1_3genE9ELNS1_11target_archE1100ELNS1_3gpuE3ELNS1_3repE0EEENS1_30default_config_static_selectorELNS0_4arch9wavefront6targetE0EEEvT1_, .Lfunc_end992-_ZN7rocprim17ROCPRIM_400000_NS6detail17trampoline_kernelINS0_14default_configENS1_29reduce_by_key_config_selectorIjxN6thrust23THRUST_200600_302600_NS4plusIxEEEEZZNS1_33reduce_by_key_impl_wrapped_configILNS1_25lookback_scan_determinismE0ES3_S9_NS6_6detail15normal_iteratorINS6_10device_ptrIjEEEENSD_INSE_IxEEEENS6_16discard_iteratorINS6_11use_defaultEEESI_PmS8_NS6_8equal_toIjEEEE10hipError_tPvRmT2_T3_mT4_T5_T6_T7_T8_P12ihipStream_tbENKUlT_T0_E_clISt17integral_constantIbLb0EES16_EEDaS11_S12_EUlS11_E_NS1_11comp_targetILNS1_3genE9ELNS1_11target_archE1100ELNS1_3gpuE3ELNS1_3repE0EEENS1_30default_config_static_selectorELNS0_4arch9wavefront6targetE0EEEvT1_
                                        ; -- End function
	.section	.AMDGPU.csdata,"",@progbits
; Kernel info:
; codeLenInByte = 17504
; NumSgprs: 54
; NumVgprs: 103
; ScratchSize: 0
; MemoryBound: 0
; FloatMode: 240
; IeeeMode: 1
; LDSByteSize: 30720 bytes/workgroup (compile time only)
; SGPRBlocks: 6
; VGPRBlocks: 12
; NumSGPRsForWavesPerEU: 54
; NumVGPRsForWavesPerEU: 103
; Occupancy: 8
; WaveLimiterHint : 1
; COMPUTE_PGM_RSRC2:SCRATCH_EN: 0
; COMPUTE_PGM_RSRC2:USER_SGPR: 15
; COMPUTE_PGM_RSRC2:TRAP_HANDLER: 0
; COMPUTE_PGM_RSRC2:TGID_X_EN: 1
; COMPUTE_PGM_RSRC2:TGID_Y_EN: 0
; COMPUTE_PGM_RSRC2:TGID_Z_EN: 0
; COMPUTE_PGM_RSRC2:TIDIG_COMP_CNT: 0
	.section	.text._ZN7rocprim17ROCPRIM_400000_NS6detail17trampoline_kernelINS0_14default_configENS1_29reduce_by_key_config_selectorIjxN6thrust23THRUST_200600_302600_NS4plusIxEEEEZZNS1_33reduce_by_key_impl_wrapped_configILNS1_25lookback_scan_determinismE0ES3_S9_NS6_6detail15normal_iteratorINS6_10device_ptrIjEEEENSD_INSE_IxEEEENS6_16discard_iteratorINS6_11use_defaultEEESI_PmS8_NS6_8equal_toIjEEEE10hipError_tPvRmT2_T3_mT4_T5_T6_T7_T8_P12ihipStream_tbENKUlT_T0_E_clISt17integral_constantIbLb0EES16_EEDaS11_S12_EUlS11_E_NS1_11comp_targetILNS1_3genE8ELNS1_11target_archE1030ELNS1_3gpuE2ELNS1_3repE0EEENS1_30default_config_static_selectorELNS0_4arch9wavefront6targetE0EEEvT1_,"axG",@progbits,_ZN7rocprim17ROCPRIM_400000_NS6detail17trampoline_kernelINS0_14default_configENS1_29reduce_by_key_config_selectorIjxN6thrust23THRUST_200600_302600_NS4plusIxEEEEZZNS1_33reduce_by_key_impl_wrapped_configILNS1_25lookback_scan_determinismE0ES3_S9_NS6_6detail15normal_iteratorINS6_10device_ptrIjEEEENSD_INSE_IxEEEENS6_16discard_iteratorINS6_11use_defaultEEESI_PmS8_NS6_8equal_toIjEEEE10hipError_tPvRmT2_T3_mT4_T5_T6_T7_T8_P12ihipStream_tbENKUlT_T0_E_clISt17integral_constantIbLb0EES16_EEDaS11_S12_EUlS11_E_NS1_11comp_targetILNS1_3genE8ELNS1_11target_archE1030ELNS1_3gpuE2ELNS1_3repE0EEENS1_30default_config_static_selectorELNS0_4arch9wavefront6targetE0EEEvT1_,comdat
	.protected	_ZN7rocprim17ROCPRIM_400000_NS6detail17trampoline_kernelINS0_14default_configENS1_29reduce_by_key_config_selectorIjxN6thrust23THRUST_200600_302600_NS4plusIxEEEEZZNS1_33reduce_by_key_impl_wrapped_configILNS1_25lookback_scan_determinismE0ES3_S9_NS6_6detail15normal_iteratorINS6_10device_ptrIjEEEENSD_INSE_IxEEEENS6_16discard_iteratorINS6_11use_defaultEEESI_PmS8_NS6_8equal_toIjEEEE10hipError_tPvRmT2_T3_mT4_T5_T6_T7_T8_P12ihipStream_tbENKUlT_T0_E_clISt17integral_constantIbLb0EES16_EEDaS11_S12_EUlS11_E_NS1_11comp_targetILNS1_3genE8ELNS1_11target_archE1030ELNS1_3gpuE2ELNS1_3repE0EEENS1_30default_config_static_selectorELNS0_4arch9wavefront6targetE0EEEvT1_ ; -- Begin function _ZN7rocprim17ROCPRIM_400000_NS6detail17trampoline_kernelINS0_14default_configENS1_29reduce_by_key_config_selectorIjxN6thrust23THRUST_200600_302600_NS4plusIxEEEEZZNS1_33reduce_by_key_impl_wrapped_configILNS1_25lookback_scan_determinismE0ES3_S9_NS6_6detail15normal_iteratorINS6_10device_ptrIjEEEENSD_INSE_IxEEEENS6_16discard_iteratorINS6_11use_defaultEEESI_PmS8_NS6_8equal_toIjEEEE10hipError_tPvRmT2_T3_mT4_T5_T6_T7_T8_P12ihipStream_tbENKUlT_T0_E_clISt17integral_constantIbLb0EES16_EEDaS11_S12_EUlS11_E_NS1_11comp_targetILNS1_3genE8ELNS1_11target_archE1030ELNS1_3gpuE2ELNS1_3repE0EEENS1_30default_config_static_selectorELNS0_4arch9wavefront6targetE0EEEvT1_
	.globl	_ZN7rocprim17ROCPRIM_400000_NS6detail17trampoline_kernelINS0_14default_configENS1_29reduce_by_key_config_selectorIjxN6thrust23THRUST_200600_302600_NS4plusIxEEEEZZNS1_33reduce_by_key_impl_wrapped_configILNS1_25lookback_scan_determinismE0ES3_S9_NS6_6detail15normal_iteratorINS6_10device_ptrIjEEEENSD_INSE_IxEEEENS6_16discard_iteratorINS6_11use_defaultEEESI_PmS8_NS6_8equal_toIjEEEE10hipError_tPvRmT2_T3_mT4_T5_T6_T7_T8_P12ihipStream_tbENKUlT_T0_E_clISt17integral_constantIbLb0EES16_EEDaS11_S12_EUlS11_E_NS1_11comp_targetILNS1_3genE8ELNS1_11target_archE1030ELNS1_3gpuE2ELNS1_3repE0EEENS1_30default_config_static_selectorELNS0_4arch9wavefront6targetE0EEEvT1_
	.p2align	8
	.type	_ZN7rocprim17ROCPRIM_400000_NS6detail17trampoline_kernelINS0_14default_configENS1_29reduce_by_key_config_selectorIjxN6thrust23THRUST_200600_302600_NS4plusIxEEEEZZNS1_33reduce_by_key_impl_wrapped_configILNS1_25lookback_scan_determinismE0ES3_S9_NS6_6detail15normal_iteratorINS6_10device_ptrIjEEEENSD_INSE_IxEEEENS6_16discard_iteratorINS6_11use_defaultEEESI_PmS8_NS6_8equal_toIjEEEE10hipError_tPvRmT2_T3_mT4_T5_T6_T7_T8_P12ihipStream_tbENKUlT_T0_E_clISt17integral_constantIbLb0EES16_EEDaS11_S12_EUlS11_E_NS1_11comp_targetILNS1_3genE8ELNS1_11target_archE1030ELNS1_3gpuE2ELNS1_3repE0EEENS1_30default_config_static_selectorELNS0_4arch9wavefront6targetE0EEEvT1_,@function
_ZN7rocprim17ROCPRIM_400000_NS6detail17trampoline_kernelINS0_14default_configENS1_29reduce_by_key_config_selectorIjxN6thrust23THRUST_200600_302600_NS4plusIxEEEEZZNS1_33reduce_by_key_impl_wrapped_configILNS1_25lookback_scan_determinismE0ES3_S9_NS6_6detail15normal_iteratorINS6_10device_ptrIjEEEENSD_INSE_IxEEEENS6_16discard_iteratorINS6_11use_defaultEEESI_PmS8_NS6_8equal_toIjEEEE10hipError_tPvRmT2_T3_mT4_T5_T6_T7_T8_P12ihipStream_tbENKUlT_T0_E_clISt17integral_constantIbLb0EES16_EEDaS11_S12_EUlS11_E_NS1_11comp_targetILNS1_3genE8ELNS1_11target_archE1030ELNS1_3gpuE2ELNS1_3repE0EEENS1_30default_config_static_selectorELNS0_4arch9wavefront6targetE0EEEvT1_: ; @_ZN7rocprim17ROCPRIM_400000_NS6detail17trampoline_kernelINS0_14default_configENS1_29reduce_by_key_config_selectorIjxN6thrust23THRUST_200600_302600_NS4plusIxEEEEZZNS1_33reduce_by_key_impl_wrapped_configILNS1_25lookback_scan_determinismE0ES3_S9_NS6_6detail15normal_iteratorINS6_10device_ptrIjEEEENSD_INSE_IxEEEENS6_16discard_iteratorINS6_11use_defaultEEESI_PmS8_NS6_8equal_toIjEEEE10hipError_tPvRmT2_T3_mT4_T5_T6_T7_T8_P12ihipStream_tbENKUlT_T0_E_clISt17integral_constantIbLb0EES16_EEDaS11_S12_EUlS11_E_NS1_11comp_targetILNS1_3genE8ELNS1_11target_archE1030ELNS1_3gpuE2ELNS1_3repE0EEENS1_30default_config_static_selectorELNS0_4arch9wavefront6targetE0EEEvT1_
; %bb.0:
	.section	.rodata,"a",@progbits
	.p2align	6, 0x0
	.amdhsa_kernel _ZN7rocprim17ROCPRIM_400000_NS6detail17trampoline_kernelINS0_14default_configENS1_29reduce_by_key_config_selectorIjxN6thrust23THRUST_200600_302600_NS4plusIxEEEEZZNS1_33reduce_by_key_impl_wrapped_configILNS1_25lookback_scan_determinismE0ES3_S9_NS6_6detail15normal_iteratorINS6_10device_ptrIjEEEENSD_INSE_IxEEEENS6_16discard_iteratorINS6_11use_defaultEEESI_PmS8_NS6_8equal_toIjEEEE10hipError_tPvRmT2_T3_mT4_T5_T6_T7_T8_P12ihipStream_tbENKUlT_T0_E_clISt17integral_constantIbLb0EES16_EEDaS11_S12_EUlS11_E_NS1_11comp_targetILNS1_3genE8ELNS1_11target_archE1030ELNS1_3gpuE2ELNS1_3repE0EEENS1_30default_config_static_selectorELNS0_4arch9wavefront6targetE0EEEvT1_
		.amdhsa_group_segment_fixed_size 0
		.amdhsa_private_segment_fixed_size 0
		.amdhsa_kernarg_size 144
		.amdhsa_user_sgpr_count 15
		.amdhsa_user_sgpr_dispatch_ptr 0
		.amdhsa_user_sgpr_queue_ptr 0
		.amdhsa_user_sgpr_kernarg_segment_ptr 1
		.amdhsa_user_sgpr_dispatch_id 0
		.amdhsa_user_sgpr_private_segment_size 0
		.amdhsa_wavefront_size32 1
		.amdhsa_uses_dynamic_stack 0
		.amdhsa_enable_private_segment 0
		.amdhsa_system_sgpr_workgroup_id_x 1
		.amdhsa_system_sgpr_workgroup_id_y 0
		.amdhsa_system_sgpr_workgroup_id_z 0
		.amdhsa_system_sgpr_workgroup_info 0
		.amdhsa_system_vgpr_workitem_id 0
		.amdhsa_next_free_vgpr 1
		.amdhsa_next_free_sgpr 1
		.amdhsa_reserve_vcc 0
		.amdhsa_float_round_mode_32 0
		.amdhsa_float_round_mode_16_64 0
		.amdhsa_float_denorm_mode_32 3
		.amdhsa_float_denorm_mode_16_64 3
		.amdhsa_dx10_clamp 1
		.amdhsa_ieee_mode 1
		.amdhsa_fp16_overflow 0
		.amdhsa_workgroup_processor_mode 1
		.amdhsa_memory_ordered 1
		.amdhsa_forward_progress 0
		.amdhsa_shared_vgpr_count 0
		.amdhsa_exception_fp_ieee_invalid_op 0
		.amdhsa_exception_fp_denorm_src 0
		.amdhsa_exception_fp_ieee_div_zero 0
		.amdhsa_exception_fp_ieee_overflow 0
		.amdhsa_exception_fp_ieee_underflow 0
		.amdhsa_exception_fp_ieee_inexact 0
		.amdhsa_exception_int_div_zero 0
	.end_amdhsa_kernel
	.section	.text._ZN7rocprim17ROCPRIM_400000_NS6detail17trampoline_kernelINS0_14default_configENS1_29reduce_by_key_config_selectorIjxN6thrust23THRUST_200600_302600_NS4plusIxEEEEZZNS1_33reduce_by_key_impl_wrapped_configILNS1_25lookback_scan_determinismE0ES3_S9_NS6_6detail15normal_iteratorINS6_10device_ptrIjEEEENSD_INSE_IxEEEENS6_16discard_iteratorINS6_11use_defaultEEESI_PmS8_NS6_8equal_toIjEEEE10hipError_tPvRmT2_T3_mT4_T5_T6_T7_T8_P12ihipStream_tbENKUlT_T0_E_clISt17integral_constantIbLb0EES16_EEDaS11_S12_EUlS11_E_NS1_11comp_targetILNS1_3genE8ELNS1_11target_archE1030ELNS1_3gpuE2ELNS1_3repE0EEENS1_30default_config_static_selectorELNS0_4arch9wavefront6targetE0EEEvT1_,"axG",@progbits,_ZN7rocprim17ROCPRIM_400000_NS6detail17trampoline_kernelINS0_14default_configENS1_29reduce_by_key_config_selectorIjxN6thrust23THRUST_200600_302600_NS4plusIxEEEEZZNS1_33reduce_by_key_impl_wrapped_configILNS1_25lookback_scan_determinismE0ES3_S9_NS6_6detail15normal_iteratorINS6_10device_ptrIjEEEENSD_INSE_IxEEEENS6_16discard_iteratorINS6_11use_defaultEEESI_PmS8_NS6_8equal_toIjEEEE10hipError_tPvRmT2_T3_mT4_T5_T6_T7_T8_P12ihipStream_tbENKUlT_T0_E_clISt17integral_constantIbLb0EES16_EEDaS11_S12_EUlS11_E_NS1_11comp_targetILNS1_3genE8ELNS1_11target_archE1030ELNS1_3gpuE2ELNS1_3repE0EEENS1_30default_config_static_selectorELNS0_4arch9wavefront6targetE0EEEvT1_,comdat
.Lfunc_end993:
	.size	_ZN7rocprim17ROCPRIM_400000_NS6detail17trampoline_kernelINS0_14default_configENS1_29reduce_by_key_config_selectorIjxN6thrust23THRUST_200600_302600_NS4plusIxEEEEZZNS1_33reduce_by_key_impl_wrapped_configILNS1_25lookback_scan_determinismE0ES3_S9_NS6_6detail15normal_iteratorINS6_10device_ptrIjEEEENSD_INSE_IxEEEENS6_16discard_iteratorINS6_11use_defaultEEESI_PmS8_NS6_8equal_toIjEEEE10hipError_tPvRmT2_T3_mT4_T5_T6_T7_T8_P12ihipStream_tbENKUlT_T0_E_clISt17integral_constantIbLb0EES16_EEDaS11_S12_EUlS11_E_NS1_11comp_targetILNS1_3genE8ELNS1_11target_archE1030ELNS1_3gpuE2ELNS1_3repE0EEENS1_30default_config_static_selectorELNS0_4arch9wavefront6targetE0EEEvT1_, .Lfunc_end993-_ZN7rocprim17ROCPRIM_400000_NS6detail17trampoline_kernelINS0_14default_configENS1_29reduce_by_key_config_selectorIjxN6thrust23THRUST_200600_302600_NS4plusIxEEEEZZNS1_33reduce_by_key_impl_wrapped_configILNS1_25lookback_scan_determinismE0ES3_S9_NS6_6detail15normal_iteratorINS6_10device_ptrIjEEEENSD_INSE_IxEEEENS6_16discard_iteratorINS6_11use_defaultEEESI_PmS8_NS6_8equal_toIjEEEE10hipError_tPvRmT2_T3_mT4_T5_T6_T7_T8_P12ihipStream_tbENKUlT_T0_E_clISt17integral_constantIbLb0EES16_EEDaS11_S12_EUlS11_E_NS1_11comp_targetILNS1_3genE8ELNS1_11target_archE1030ELNS1_3gpuE2ELNS1_3repE0EEENS1_30default_config_static_selectorELNS0_4arch9wavefront6targetE0EEEvT1_
                                        ; -- End function
	.section	.AMDGPU.csdata,"",@progbits
; Kernel info:
; codeLenInByte = 0
; NumSgprs: 0
; NumVgprs: 0
; ScratchSize: 0
; MemoryBound: 0
; FloatMode: 240
; IeeeMode: 1
; LDSByteSize: 0 bytes/workgroup (compile time only)
; SGPRBlocks: 0
; VGPRBlocks: 0
; NumSGPRsForWavesPerEU: 1
; NumVGPRsForWavesPerEU: 1
; Occupancy: 16
; WaveLimiterHint : 0
; COMPUTE_PGM_RSRC2:SCRATCH_EN: 0
; COMPUTE_PGM_RSRC2:USER_SGPR: 15
; COMPUTE_PGM_RSRC2:TRAP_HANDLER: 0
; COMPUTE_PGM_RSRC2:TGID_X_EN: 1
; COMPUTE_PGM_RSRC2:TGID_Y_EN: 0
; COMPUTE_PGM_RSRC2:TGID_Z_EN: 0
; COMPUTE_PGM_RSRC2:TIDIG_COMP_CNT: 0
	.section	.text._ZN7rocprim17ROCPRIM_400000_NS6detail17trampoline_kernelINS0_14default_configENS1_29reduce_by_key_config_selectorIjxN6thrust23THRUST_200600_302600_NS4plusIxEEEEZZNS1_33reduce_by_key_impl_wrapped_configILNS1_25lookback_scan_determinismE0ES3_S9_NS6_6detail15normal_iteratorINS6_10device_ptrIjEEEENSD_INSE_IxEEEENS6_16discard_iteratorINS6_11use_defaultEEESI_PmS8_NS6_8equal_toIjEEEE10hipError_tPvRmT2_T3_mT4_T5_T6_T7_T8_P12ihipStream_tbENKUlT_T0_E_clISt17integral_constantIbLb1EES16_EEDaS11_S12_EUlS11_E_NS1_11comp_targetILNS1_3genE0ELNS1_11target_archE4294967295ELNS1_3gpuE0ELNS1_3repE0EEENS1_30default_config_static_selectorELNS0_4arch9wavefront6targetE0EEEvT1_,"axG",@progbits,_ZN7rocprim17ROCPRIM_400000_NS6detail17trampoline_kernelINS0_14default_configENS1_29reduce_by_key_config_selectorIjxN6thrust23THRUST_200600_302600_NS4plusIxEEEEZZNS1_33reduce_by_key_impl_wrapped_configILNS1_25lookback_scan_determinismE0ES3_S9_NS6_6detail15normal_iteratorINS6_10device_ptrIjEEEENSD_INSE_IxEEEENS6_16discard_iteratorINS6_11use_defaultEEESI_PmS8_NS6_8equal_toIjEEEE10hipError_tPvRmT2_T3_mT4_T5_T6_T7_T8_P12ihipStream_tbENKUlT_T0_E_clISt17integral_constantIbLb1EES16_EEDaS11_S12_EUlS11_E_NS1_11comp_targetILNS1_3genE0ELNS1_11target_archE4294967295ELNS1_3gpuE0ELNS1_3repE0EEENS1_30default_config_static_selectorELNS0_4arch9wavefront6targetE0EEEvT1_,comdat
	.protected	_ZN7rocprim17ROCPRIM_400000_NS6detail17trampoline_kernelINS0_14default_configENS1_29reduce_by_key_config_selectorIjxN6thrust23THRUST_200600_302600_NS4plusIxEEEEZZNS1_33reduce_by_key_impl_wrapped_configILNS1_25lookback_scan_determinismE0ES3_S9_NS6_6detail15normal_iteratorINS6_10device_ptrIjEEEENSD_INSE_IxEEEENS6_16discard_iteratorINS6_11use_defaultEEESI_PmS8_NS6_8equal_toIjEEEE10hipError_tPvRmT2_T3_mT4_T5_T6_T7_T8_P12ihipStream_tbENKUlT_T0_E_clISt17integral_constantIbLb1EES16_EEDaS11_S12_EUlS11_E_NS1_11comp_targetILNS1_3genE0ELNS1_11target_archE4294967295ELNS1_3gpuE0ELNS1_3repE0EEENS1_30default_config_static_selectorELNS0_4arch9wavefront6targetE0EEEvT1_ ; -- Begin function _ZN7rocprim17ROCPRIM_400000_NS6detail17trampoline_kernelINS0_14default_configENS1_29reduce_by_key_config_selectorIjxN6thrust23THRUST_200600_302600_NS4plusIxEEEEZZNS1_33reduce_by_key_impl_wrapped_configILNS1_25lookback_scan_determinismE0ES3_S9_NS6_6detail15normal_iteratorINS6_10device_ptrIjEEEENSD_INSE_IxEEEENS6_16discard_iteratorINS6_11use_defaultEEESI_PmS8_NS6_8equal_toIjEEEE10hipError_tPvRmT2_T3_mT4_T5_T6_T7_T8_P12ihipStream_tbENKUlT_T0_E_clISt17integral_constantIbLb1EES16_EEDaS11_S12_EUlS11_E_NS1_11comp_targetILNS1_3genE0ELNS1_11target_archE4294967295ELNS1_3gpuE0ELNS1_3repE0EEENS1_30default_config_static_selectorELNS0_4arch9wavefront6targetE0EEEvT1_
	.globl	_ZN7rocprim17ROCPRIM_400000_NS6detail17trampoline_kernelINS0_14default_configENS1_29reduce_by_key_config_selectorIjxN6thrust23THRUST_200600_302600_NS4plusIxEEEEZZNS1_33reduce_by_key_impl_wrapped_configILNS1_25lookback_scan_determinismE0ES3_S9_NS6_6detail15normal_iteratorINS6_10device_ptrIjEEEENSD_INSE_IxEEEENS6_16discard_iteratorINS6_11use_defaultEEESI_PmS8_NS6_8equal_toIjEEEE10hipError_tPvRmT2_T3_mT4_T5_T6_T7_T8_P12ihipStream_tbENKUlT_T0_E_clISt17integral_constantIbLb1EES16_EEDaS11_S12_EUlS11_E_NS1_11comp_targetILNS1_3genE0ELNS1_11target_archE4294967295ELNS1_3gpuE0ELNS1_3repE0EEENS1_30default_config_static_selectorELNS0_4arch9wavefront6targetE0EEEvT1_
	.p2align	8
	.type	_ZN7rocprim17ROCPRIM_400000_NS6detail17trampoline_kernelINS0_14default_configENS1_29reduce_by_key_config_selectorIjxN6thrust23THRUST_200600_302600_NS4plusIxEEEEZZNS1_33reduce_by_key_impl_wrapped_configILNS1_25lookback_scan_determinismE0ES3_S9_NS6_6detail15normal_iteratorINS6_10device_ptrIjEEEENSD_INSE_IxEEEENS6_16discard_iteratorINS6_11use_defaultEEESI_PmS8_NS6_8equal_toIjEEEE10hipError_tPvRmT2_T3_mT4_T5_T6_T7_T8_P12ihipStream_tbENKUlT_T0_E_clISt17integral_constantIbLb1EES16_EEDaS11_S12_EUlS11_E_NS1_11comp_targetILNS1_3genE0ELNS1_11target_archE4294967295ELNS1_3gpuE0ELNS1_3repE0EEENS1_30default_config_static_selectorELNS0_4arch9wavefront6targetE0EEEvT1_,@function
_ZN7rocprim17ROCPRIM_400000_NS6detail17trampoline_kernelINS0_14default_configENS1_29reduce_by_key_config_selectorIjxN6thrust23THRUST_200600_302600_NS4plusIxEEEEZZNS1_33reduce_by_key_impl_wrapped_configILNS1_25lookback_scan_determinismE0ES3_S9_NS6_6detail15normal_iteratorINS6_10device_ptrIjEEEENSD_INSE_IxEEEENS6_16discard_iteratorINS6_11use_defaultEEESI_PmS8_NS6_8equal_toIjEEEE10hipError_tPvRmT2_T3_mT4_T5_T6_T7_T8_P12ihipStream_tbENKUlT_T0_E_clISt17integral_constantIbLb1EES16_EEDaS11_S12_EUlS11_E_NS1_11comp_targetILNS1_3genE0ELNS1_11target_archE4294967295ELNS1_3gpuE0ELNS1_3repE0EEENS1_30default_config_static_selectorELNS0_4arch9wavefront6targetE0EEEvT1_: ; @_ZN7rocprim17ROCPRIM_400000_NS6detail17trampoline_kernelINS0_14default_configENS1_29reduce_by_key_config_selectorIjxN6thrust23THRUST_200600_302600_NS4plusIxEEEEZZNS1_33reduce_by_key_impl_wrapped_configILNS1_25lookback_scan_determinismE0ES3_S9_NS6_6detail15normal_iteratorINS6_10device_ptrIjEEEENSD_INSE_IxEEEENS6_16discard_iteratorINS6_11use_defaultEEESI_PmS8_NS6_8equal_toIjEEEE10hipError_tPvRmT2_T3_mT4_T5_T6_T7_T8_P12ihipStream_tbENKUlT_T0_E_clISt17integral_constantIbLb1EES16_EEDaS11_S12_EUlS11_E_NS1_11comp_targetILNS1_3genE0ELNS1_11target_archE4294967295ELNS1_3gpuE0ELNS1_3repE0EEENS1_30default_config_static_selectorELNS0_4arch9wavefront6targetE0EEEvT1_
; %bb.0:
	.section	.rodata,"a",@progbits
	.p2align	6, 0x0
	.amdhsa_kernel _ZN7rocprim17ROCPRIM_400000_NS6detail17trampoline_kernelINS0_14default_configENS1_29reduce_by_key_config_selectorIjxN6thrust23THRUST_200600_302600_NS4plusIxEEEEZZNS1_33reduce_by_key_impl_wrapped_configILNS1_25lookback_scan_determinismE0ES3_S9_NS6_6detail15normal_iteratorINS6_10device_ptrIjEEEENSD_INSE_IxEEEENS6_16discard_iteratorINS6_11use_defaultEEESI_PmS8_NS6_8equal_toIjEEEE10hipError_tPvRmT2_T3_mT4_T5_T6_T7_T8_P12ihipStream_tbENKUlT_T0_E_clISt17integral_constantIbLb1EES16_EEDaS11_S12_EUlS11_E_NS1_11comp_targetILNS1_3genE0ELNS1_11target_archE4294967295ELNS1_3gpuE0ELNS1_3repE0EEENS1_30default_config_static_selectorELNS0_4arch9wavefront6targetE0EEEvT1_
		.amdhsa_group_segment_fixed_size 0
		.amdhsa_private_segment_fixed_size 0
		.amdhsa_kernarg_size 144
		.amdhsa_user_sgpr_count 15
		.amdhsa_user_sgpr_dispatch_ptr 0
		.amdhsa_user_sgpr_queue_ptr 0
		.amdhsa_user_sgpr_kernarg_segment_ptr 1
		.amdhsa_user_sgpr_dispatch_id 0
		.amdhsa_user_sgpr_private_segment_size 0
		.amdhsa_wavefront_size32 1
		.amdhsa_uses_dynamic_stack 0
		.amdhsa_enable_private_segment 0
		.amdhsa_system_sgpr_workgroup_id_x 1
		.amdhsa_system_sgpr_workgroup_id_y 0
		.amdhsa_system_sgpr_workgroup_id_z 0
		.amdhsa_system_sgpr_workgroup_info 0
		.amdhsa_system_vgpr_workitem_id 0
		.amdhsa_next_free_vgpr 1
		.amdhsa_next_free_sgpr 1
		.amdhsa_reserve_vcc 0
		.amdhsa_float_round_mode_32 0
		.amdhsa_float_round_mode_16_64 0
		.amdhsa_float_denorm_mode_32 3
		.amdhsa_float_denorm_mode_16_64 3
		.amdhsa_dx10_clamp 1
		.amdhsa_ieee_mode 1
		.amdhsa_fp16_overflow 0
		.amdhsa_workgroup_processor_mode 1
		.amdhsa_memory_ordered 1
		.amdhsa_forward_progress 0
		.amdhsa_shared_vgpr_count 0
		.amdhsa_exception_fp_ieee_invalid_op 0
		.amdhsa_exception_fp_denorm_src 0
		.amdhsa_exception_fp_ieee_div_zero 0
		.amdhsa_exception_fp_ieee_overflow 0
		.amdhsa_exception_fp_ieee_underflow 0
		.amdhsa_exception_fp_ieee_inexact 0
		.amdhsa_exception_int_div_zero 0
	.end_amdhsa_kernel
	.section	.text._ZN7rocprim17ROCPRIM_400000_NS6detail17trampoline_kernelINS0_14default_configENS1_29reduce_by_key_config_selectorIjxN6thrust23THRUST_200600_302600_NS4plusIxEEEEZZNS1_33reduce_by_key_impl_wrapped_configILNS1_25lookback_scan_determinismE0ES3_S9_NS6_6detail15normal_iteratorINS6_10device_ptrIjEEEENSD_INSE_IxEEEENS6_16discard_iteratorINS6_11use_defaultEEESI_PmS8_NS6_8equal_toIjEEEE10hipError_tPvRmT2_T3_mT4_T5_T6_T7_T8_P12ihipStream_tbENKUlT_T0_E_clISt17integral_constantIbLb1EES16_EEDaS11_S12_EUlS11_E_NS1_11comp_targetILNS1_3genE0ELNS1_11target_archE4294967295ELNS1_3gpuE0ELNS1_3repE0EEENS1_30default_config_static_selectorELNS0_4arch9wavefront6targetE0EEEvT1_,"axG",@progbits,_ZN7rocprim17ROCPRIM_400000_NS6detail17trampoline_kernelINS0_14default_configENS1_29reduce_by_key_config_selectorIjxN6thrust23THRUST_200600_302600_NS4plusIxEEEEZZNS1_33reduce_by_key_impl_wrapped_configILNS1_25lookback_scan_determinismE0ES3_S9_NS6_6detail15normal_iteratorINS6_10device_ptrIjEEEENSD_INSE_IxEEEENS6_16discard_iteratorINS6_11use_defaultEEESI_PmS8_NS6_8equal_toIjEEEE10hipError_tPvRmT2_T3_mT4_T5_T6_T7_T8_P12ihipStream_tbENKUlT_T0_E_clISt17integral_constantIbLb1EES16_EEDaS11_S12_EUlS11_E_NS1_11comp_targetILNS1_3genE0ELNS1_11target_archE4294967295ELNS1_3gpuE0ELNS1_3repE0EEENS1_30default_config_static_selectorELNS0_4arch9wavefront6targetE0EEEvT1_,comdat
.Lfunc_end994:
	.size	_ZN7rocprim17ROCPRIM_400000_NS6detail17trampoline_kernelINS0_14default_configENS1_29reduce_by_key_config_selectorIjxN6thrust23THRUST_200600_302600_NS4plusIxEEEEZZNS1_33reduce_by_key_impl_wrapped_configILNS1_25lookback_scan_determinismE0ES3_S9_NS6_6detail15normal_iteratorINS6_10device_ptrIjEEEENSD_INSE_IxEEEENS6_16discard_iteratorINS6_11use_defaultEEESI_PmS8_NS6_8equal_toIjEEEE10hipError_tPvRmT2_T3_mT4_T5_T6_T7_T8_P12ihipStream_tbENKUlT_T0_E_clISt17integral_constantIbLb1EES16_EEDaS11_S12_EUlS11_E_NS1_11comp_targetILNS1_3genE0ELNS1_11target_archE4294967295ELNS1_3gpuE0ELNS1_3repE0EEENS1_30default_config_static_selectorELNS0_4arch9wavefront6targetE0EEEvT1_, .Lfunc_end994-_ZN7rocprim17ROCPRIM_400000_NS6detail17trampoline_kernelINS0_14default_configENS1_29reduce_by_key_config_selectorIjxN6thrust23THRUST_200600_302600_NS4plusIxEEEEZZNS1_33reduce_by_key_impl_wrapped_configILNS1_25lookback_scan_determinismE0ES3_S9_NS6_6detail15normal_iteratorINS6_10device_ptrIjEEEENSD_INSE_IxEEEENS6_16discard_iteratorINS6_11use_defaultEEESI_PmS8_NS6_8equal_toIjEEEE10hipError_tPvRmT2_T3_mT4_T5_T6_T7_T8_P12ihipStream_tbENKUlT_T0_E_clISt17integral_constantIbLb1EES16_EEDaS11_S12_EUlS11_E_NS1_11comp_targetILNS1_3genE0ELNS1_11target_archE4294967295ELNS1_3gpuE0ELNS1_3repE0EEENS1_30default_config_static_selectorELNS0_4arch9wavefront6targetE0EEEvT1_
                                        ; -- End function
	.section	.AMDGPU.csdata,"",@progbits
; Kernel info:
; codeLenInByte = 0
; NumSgprs: 0
; NumVgprs: 0
; ScratchSize: 0
; MemoryBound: 0
; FloatMode: 240
; IeeeMode: 1
; LDSByteSize: 0 bytes/workgroup (compile time only)
; SGPRBlocks: 0
; VGPRBlocks: 0
; NumSGPRsForWavesPerEU: 1
; NumVGPRsForWavesPerEU: 1
; Occupancy: 16
; WaveLimiterHint : 0
; COMPUTE_PGM_RSRC2:SCRATCH_EN: 0
; COMPUTE_PGM_RSRC2:USER_SGPR: 15
; COMPUTE_PGM_RSRC2:TRAP_HANDLER: 0
; COMPUTE_PGM_RSRC2:TGID_X_EN: 1
; COMPUTE_PGM_RSRC2:TGID_Y_EN: 0
; COMPUTE_PGM_RSRC2:TGID_Z_EN: 0
; COMPUTE_PGM_RSRC2:TIDIG_COMP_CNT: 0
	.section	.text._ZN7rocprim17ROCPRIM_400000_NS6detail17trampoline_kernelINS0_14default_configENS1_29reduce_by_key_config_selectorIjxN6thrust23THRUST_200600_302600_NS4plusIxEEEEZZNS1_33reduce_by_key_impl_wrapped_configILNS1_25lookback_scan_determinismE0ES3_S9_NS6_6detail15normal_iteratorINS6_10device_ptrIjEEEENSD_INSE_IxEEEENS6_16discard_iteratorINS6_11use_defaultEEESI_PmS8_NS6_8equal_toIjEEEE10hipError_tPvRmT2_T3_mT4_T5_T6_T7_T8_P12ihipStream_tbENKUlT_T0_E_clISt17integral_constantIbLb1EES16_EEDaS11_S12_EUlS11_E_NS1_11comp_targetILNS1_3genE5ELNS1_11target_archE942ELNS1_3gpuE9ELNS1_3repE0EEENS1_30default_config_static_selectorELNS0_4arch9wavefront6targetE0EEEvT1_,"axG",@progbits,_ZN7rocprim17ROCPRIM_400000_NS6detail17trampoline_kernelINS0_14default_configENS1_29reduce_by_key_config_selectorIjxN6thrust23THRUST_200600_302600_NS4plusIxEEEEZZNS1_33reduce_by_key_impl_wrapped_configILNS1_25lookback_scan_determinismE0ES3_S9_NS6_6detail15normal_iteratorINS6_10device_ptrIjEEEENSD_INSE_IxEEEENS6_16discard_iteratorINS6_11use_defaultEEESI_PmS8_NS6_8equal_toIjEEEE10hipError_tPvRmT2_T3_mT4_T5_T6_T7_T8_P12ihipStream_tbENKUlT_T0_E_clISt17integral_constantIbLb1EES16_EEDaS11_S12_EUlS11_E_NS1_11comp_targetILNS1_3genE5ELNS1_11target_archE942ELNS1_3gpuE9ELNS1_3repE0EEENS1_30default_config_static_selectorELNS0_4arch9wavefront6targetE0EEEvT1_,comdat
	.protected	_ZN7rocprim17ROCPRIM_400000_NS6detail17trampoline_kernelINS0_14default_configENS1_29reduce_by_key_config_selectorIjxN6thrust23THRUST_200600_302600_NS4plusIxEEEEZZNS1_33reduce_by_key_impl_wrapped_configILNS1_25lookback_scan_determinismE0ES3_S9_NS6_6detail15normal_iteratorINS6_10device_ptrIjEEEENSD_INSE_IxEEEENS6_16discard_iteratorINS6_11use_defaultEEESI_PmS8_NS6_8equal_toIjEEEE10hipError_tPvRmT2_T3_mT4_T5_T6_T7_T8_P12ihipStream_tbENKUlT_T0_E_clISt17integral_constantIbLb1EES16_EEDaS11_S12_EUlS11_E_NS1_11comp_targetILNS1_3genE5ELNS1_11target_archE942ELNS1_3gpuE9ELNS1_3repE0EEENS1_30default_config_static_selectorELNS0_4arch9wavefront6targetE0EEEvT1_ ; -- Begin function _ZN7rocprim17ROCPRIM_400000_NS6detail17trampoline_kernelINS0_14default_configENS1_29reduce_by_key_config_selectorIjxN6thrust23THRUST_200600_302600_NS4plusIxEEEEZZNS1_33reduce_by_key_impl_wrapped_configILNS1_25lookback_scan_determinismE0ES3_S9_NS6_6detail15normal_iteratorINS6_10device_ptrIjEEEENSD_INSE_IxEEEENS6_16discard_iteratorINS6_11use_defaultEEESI_PmS8_NS6_8equal_toIjEEEE10hipError_tPvRmT2_T3_mT4_T5_T6_T7_T8_P12ihipStream_tbENKUlT_T0_E_clISt17integral_constantIbLb1EES16_EEDaS11_S12_EUlS11_E_NS1_11comp_targetILNS1_3genE5ELNS1_11target_archE942ELNS1_3gpuE9ELNS1_3repE0EEENS1_30default_config_static_selectorELNS0_4arch9wavefront6targetE0EEEvT1_
	.globl	_ZN7rocprim17ROCPRIM_400000_NS6detail17trampoline_kernelINS0_14default_configENS1_29reduce_by_key_config_selectorIjxN6thrust23THRUST_200600_302600_NS4plusIxEEEEZZNS1_33reduce_by_key_impl_wrapped_configILNS1_25lookback_scan_determinismE0ES3_S9_NS6_6detail15normal_iteratorINS6_10device_ptrIjEEEENSD_INSE_IxEEEENS6_16discard_iteratorINS6_11use_defaultEEESI_PmS8_NS6_8equal_toIjEEEE10hipError_tPvRmT2_T3_mT4_T5_T6_T7_T8_P12ihipStream_tbENKUlT_T0_E_clISt17integral_constantIbLb1EES16_EEDaS11_S12_EUlS11_E_NS1_11comp_targetILNS1_3genE5ELNS1_11target_archE942ELNS1_3gpuE9ELNS1_3repE0EEENS1_30default_config_static_selectorELNS0_4arch9wavefront6targetE0EEEvT1_
	.p2align	8
	.type	_ZN7rocprim17ROCPRIM_400000_NS6detail17trampoline_kernelINS0_14default_configENS1_29reduce_by_key_config_selectorIjxN6thrust23THRUST_200600_302600_NS4plusIxEEEEZZNS1_33reduce_by_key_impl_wrapped_configILNS1_25lookback_scan_determinismE0ES3_S9_NS6_6detail15normal_iteratorINS6_10device_ptrIjEEEENSD_INSE_IxEEEENS6_16discard_iteratorINS6_11use_defaultEEESI_PmS8_NS6_8equal_toIjEEEE10hipError_tPvRmT2_T3_mT4_T5_T6_T7_T8_P12ihipStream_tbENKUlT_T0_E_clISt17integral_constantIbLb1EES16_EEDaS11_S12_EUlS11_E_NS1_11comp_targetILNS1_3genE5ELNS1_11target_archE942ELNS1_3gpuE9ELNS1_3repE0EEENS1_30default_config_static_selectorELNS0_4arch9wavefront6targetE0EEEvT1_,@function
_ZN7rocprim17ROCPRIM_400000_NS6detail17trampoline_kernelINS0_14default_configENS1_29reduce_by_key_config_selectorIjxN6thrust23THRUST_200600_302600_NS4plusIxEEEEZZNS1_33reduce_by_key_impl_wrapped_configILNS1_25lookback_scan_determinismE0ES3_S9_NS6_6detail15normal_iteratorINS6_10device_ptrIjEEEENSD_INSE_IxEEEENS6_16discard_iteratorINS6_11use_defaultEEESI_PmS8_NS6_8equal_toIjEEEE10hipError_tPvRmT2_T3_mT4_T5_T6_T7_T8_P12ihipStream_tbENKUlT_T0_E_clISt17integral_constantIbLb1EES16_EEDaS11_S12_EUlS11_E_NS1_11comp_targetILNS1_3genE5ELNS1_11target_archE942ELNS1_3gpuE9ELNS1_3repE0EEENS1_30default_config_static_selectorELNS0_4arch9wavefront6targetE0EEEvT1_: ; @_ZN7rocprim17ROCPRIM_400000_NS6detail17trampoline_kernelINS0_14default_configENS1_29reduce_by_key_config_selectorIjxN6thrust23THRUST_200600_302600_NS4plusIxEEEEZZNS1_33reduce_by_key_impl_wrapped_configILNS1_25lookback_scan_determinismE0ES3_S9_NS6_6detail15normal_iteratorINS6_10device_ptrIjEEEENSD_INSE_IxEEEENS6_16discard_iteratorINS6_11use_defaultEEESI_PmS8_NS6_8equal_toIjEEEE10hipError_tPvRmT2_T3_mT4_T5_T6_T7_T8_P12ihipStream_tbENKUlT_T0_E_clISt17integral_constantIbLb1EES16_EEDaS11_S12_EUlS11_E_NS1_11comp_targetILNS1_3genE5ELNS1_11target_archE942ELNS1_3gpuE9ELNS1_3repE0EEENS1_30default_config_static_selectorELNS0_4arch9wavefront6targetE0EEEvT1_
; %bb.0:
	.section	.rodata,"a",@progbits
	.p2align	6, 0x0
	.amdhsa_kernel _ZN7rocprim17ROCPRIM_400000_NS6detail17trampoline_kernelINS0_14default_configENS1_29reduce_by_key_config_selectorIjxN6thrust23THRUST_200600_302600_NS4plusIxEEEEZZNS1_33reduce_by_key_impl_wrapped_configILNS1_25lookback_scan_determinismE0ES3_S9_NS6_6detail15normal_iteratorINS6_10device_ptrIjEEEENSD_INSE_IxEEEENS6_16discard_iteratorINS6_11use_defaultEEESI_PmS8_NS6_8equal_toIjEEEE10hipError_tPvRmT2_T3_mT4_T5_T6_T7_T8_P12ihipStream_tbENKUlT_T0_E_clISt17integral_constantIbLb1EES16_EEDaS11_S12_EUlS11_E_NS1_11comp_targetILNS1_3genE5ELNS1_11target_archE942ELNS1_3gpuE9ELNS1_3repE0EEENS1_30default_config_static_selectorELNS0_4arch9wavefront6targetE0EEEvT1_
		.amdhsa_group_segment_fixed_size 0
		.amdhsa_private_segment_fixed_size 0
		.amdhsa_kernarg_size 144
		.amdhsa_user_sgpr_count 15
		.amdhsa_user_sgpr_dispatch_ptr 0
		.amdhsa_user_sgpr_queue_ptr 0
		.amdhsa_user_sgpr_kernarg_segment_ptr 1
		.amdhsa_user_sgpr_dispatch_id 0
		.amdhsa_user_sgpr_private_segment_size 0
		.amdhsa_wavefront_size32 1
		.amdhsa_uses_dynamic_stack 0
		.amdhsa_enable_private_segment 0
		.amdhsa_system_sgpr_workgroup_id_x 1
		.amdhsa_system_sgpr_workgroup_id_y 0
		.amdhsa_system_sgpr_workgroup_id_z 0
		.amdhsa_system_sgpr_workgroup_info 0
		.amdhsa_system_vgpr_workitem_id 0
		.amdhsa_next_free_vgpr 1
		.amdhsa_next_free_sgpr 1
		.amdhsa_reserve_vcc 0
		.amdhsa_float_round_mode_32 0
		.amdhsa_float_round_mode_16_64 0
		.amdhsa_float_denorm_mode_32 3
		.amdhsa_float_denorm_mode_16_64 3
		.amdhsa_dx10_clamp 1
		.amdhsa_ieee_mode 1
		.amdhsa_fp16_overflow 0
		.amdhsa_workgroup_processor_mode 1
		.amdhsa_memory_ordered 1
		.amdhsa_forward_progress 0
		.amdhsa_shared_vgpr_count 0
		.amdhsa_exception_fp_ieee_invalid_op 0
		.amdhsa_exception_fp_denorm_src 0
		.amdhsa_exception_fp_ieee_div_zero 0
		.amdhsa_exception_fp_ieee_overflow 0
		.amdhsa_exception_fp_ieee_underflow 0
		.amdhsa_exception_fp_ieee_inexact 0
		.amdhsa_exception_int_div_zero 0
	.end_amdhsa_kernel
	.section	.text._ZN7rocprim17ROCPRIM_400000_NS6detail17trampoline_kernelINS0_14default_configENS1_29reduce_by_key_config_selectorIjxN6thrust23THRUST_200600_302600_NS4plusIxEEEEZZNS1_33reduce_by_key_impl_wrapped_configILNS1_25lookback_scan_determinismE0ES3_S9_NS6_6detail15normal_iteratorINS6_10device_ptrIjEEEENSD_INSE_IxEEEENS6_16discard_iteratorINS6_11use_defaultEEESI_PmS8_NS6_8equal_toIjEEEE10hipError_tPvRmT2_T3_mT4_T5_T6_T7_T8_P12ihipStream_tbENKUlT_T0_E_clISt17integral_constantIbLb1EES16_EEDaS11_S12_EUlS11_E_NS1_11comp_targetILNS1_3genE5ELNS1_11target_archE942ELNS1_3gpuE9ELNS1_3repE0EEENS1_30default_config_static_selectorELNS0_4arch9wavefront6targetE0EEEvT1_,"axG",@progbits,_ZN7rocprim17ROCPRIM_400000_NS6detail17trampoline_kernelINS0_14default_configENS1_29reduce_by_key_config_selectorIjxN6thrust23THRUST_200600_302600_NS4plusIxEEEEZZNS1_33reduce_by_key_impl_wrapped_configILNS1_25lookback_scan_determinismE0ES3_S9_NS6_6detail15normal_iteratorINS6_10device_ptrIjEEEENSD_INSE_IxEEEENS6_16discard_iteratorINS6_11use_defaultEEESI_PmS8_NS6_8equal_toIjEEEE10hipError_tPvRmT2_T3_mT4_T5_T6_T7_T8_P12ihipStream_tbENKUlT_T0_E_clISt17integral_constantIbLb1EES16_EEDaS11_S12_EUlS11_E_NS1_11comp_targetILNS1_3genE5ELNS1_11target_archE942ELNS1_3gpuE9ELNS1_3repE0EEENS1_30default_config_static_selectorELNS0_4arch9wavefront6targetE0EEEvT1_,comdat
.Lfunc_end995:
	.size	_ZN7rocprim17ROCPRIM_400000_NS6detail17trampoline_kernelINS0_14default_configENS1_29reduce_by_key_config_selectorIjxN6thrust23THRUST_200600_302600_NS4plusIxEEEEZZNS1_33reduce_by_key_impl_wrapped_configILNS1_25lookback_scan_determinismE0ES3_S9_NS6_6detail15normal_iteratorINS6_10device_ptrIjEEEENSD_INSE_IxEEEENS6_16discard_iteratorINS6_11use_defaultEEESI_PmS8_NS6_8equal_toIjEEEE10hipError_tPvRmT2_T3_mT4_T5_T6_T7_T8_P12ihipStream_tbENKUlT_T0_E_clISt17integral_constantIbLb1EES16_EEDaS11_S12_EUlS11_E_NS1_11comp_targetILNS1_3genE5ELNS1_11target_archE942ELNS1_3gpuE9ELNS1_3repE0EEENS1_30default_config_static_selectorELNS0_4arch9wavefront6targetE0EEEvT1_, .Lfunc_end995-_ZN7rocprim17ROCPRIM_400000_NS6detail17trampoline_kernelINS0_14default_configENS1_29reduce_by_key_config_selectorIjxN6thrust23THRUST_200600_302600_NS4plusIxEEEEZZNS1_33reduce_by_key_impl_wrapped_configILNS1_25lookback_scan_determinismE0ES3_S9_NS6_6detail15normal_iteratorINS6_10device_ptrIjEEEENSD_INSE_IxEEEENS6_16discard_iteratorINS6_11use_defaultEEESI_PmS8_NS6_8equal_toIjEEEE10hipError_tPvRmT2_T3_mT4_T5_T6_T7_T8_P12ihipStream_tbENKUlT_T0_E_clISt17integral_constantIbLb1EES16_EEDaS11_S12_EUlS11_E_NS1_11comp_targetILNS1_3genE5ELNS1_11target_archE942ELNS1_3gpuE9ELNS1_3repE0EEENS1_30default_config_static_selectorELNS0_4arch9wavefront6targetE0EEEvT1_
                                        ; -- End function
	.section	.AMDGPU.csdata,"",@progbits
; Kernel info:
; codeLenInByte = 0
; NumSgprs: 0
; NumVgprs: 0
; ScratchSize: 0
; MemoryBound: 0
; FloatMode: 240
; IeeeMode: 1
; LDSByteSize: 0 bytes/workgroup (compile time only)
; SGPRBlocks: 0
; VGPRBlocks: 0
; NumSGPRsForWavesPerEU: 1
; NumVGPRsForWavesPerEU: 1
; Occupancy: 16
; WaveLimiterHint : 0
; COMPUTE_PGM_RSRC2:SCRATCH_EN: 0
; COMPUTE_PGM_RSRC2:USER_SGPR: 15
; COMPUTE_PGM_RSRC2:TRAP_HANDLER: 0
; COMPUTE_PGM_RSRC2:TGID_X_EN: 1
; COMPUTE_PGM_RSRC2:TGID_Y_EN: 0
; COMPUTE_PGM_RSRC2:TGID_Z_EN: 0
; COMPUTE_PGM_RSRC2:TIDIG_COMP_CNT: 0
	.section	.text._ZN7rocprim17ROCPRIM_400000_NS6detail17trampoline_kernelINS0_14default_configENS1_29reduce_by_key_config_selectorIjxN6thrust23THRUST_200600_302600_NS4plusIxEEEEZZNS1_33reduce_by_key_impl_wrapped_configILNS1_25lookback_scan_determinismE0ES3_S9_NS6_6detail15normal_iteratorINS6_10device_ptrIjEEEENSD_INSE_IxEEEENS6_16discard_iteratorINS6_11use_defaultEEESI_PmS8_NS6_8equal_toIjEEEE10hipError_tPvRmT2_T3_mT4_T5_T6_T7_T8_P12ihipStream_tbENKUlT_T0_E_clISt17integral_constantIbLb1EES16_EEDaS11_S12_EUlS11_E_NS1_11comp_targetILNS1_3genE4ELNS1_11target_archE910ELNS1_3gpuE8ELNS1_3repE0EEENS1_30default_config_static_selectorELNS0_4arch9wavefront6targetE0EEEvT1_,"axG",@progbits,_ZN7rocprim17ROCPRIM_400000_NS6detail17trampoline_kernelINS0_14default_configENS1_29reduce_by_key_config_selectorIjxN6thrust23THRUST_200600_302600_NS4plusIxEEEEZZNS1_33reduce_by_key_impl_wrapped_configILNS1_25lookback_scan_determinismE0ES3_S9_NS6_6detail15normal_iteratorINS6_10device_ptrIjEEEENSD_INSE_IxEEEENS6_16discard_iteratorINS6_11use_defaultEEESI_PmS8_NS6_8equal_toIjEEEE10hipError_tPvRmT2_T3_mT4_T5_T6_T7_T8_P12ihipStream_tbENKUlT_T0_E_clISt17integral_constantIbLb1EES16_EEDaS11_S12_EUlS11_E_NS1_11comp_targetILNS1_3genE4ELNS1_11target_archE910ELNS1_3gpuE8ELNS1_3repE0EEENS1_30default_config_static_selectorELNS0_4arch9wavefront6targetE0EEEvT1_,comdat
	.protected	_ZN7rocprim17ROCPRIM_400000_NS6detail17trampoline_kernelINS0_14default_configENS1_29reduce_by_key_config_selectorIjxN6thrust23THRUST_200600_302600_NS4plusIxEEEEZZNS1_33reduce_by_key_impl_wrapped_configILNS1_25lookback_scan_determinismE0ES3_S9_NS6_6detail15normal_iteratorINS6_10device_ptrIjEEEENSD_INSE_IxEEEENS6_16discard_iteratorINS6_11use_defaultEEESI_PmS8_NS6_8equal_toIjEEEE10hipError_tPvRmT2_T3_mT4_T5_T6_T7_T8_P12ihipStream_tbENKUlT_T0_E_clISt17integral_constantIbLb1EES16_EEDaS11_S12_EUlS11_E_NS1_11comp_targetILNS1_3genE4ELNS1_11target_archE910ELNS1_3gpuE8ELNS1_3repE0EEENS1_30default_config_static_selectorELNS0_4arch9wavefront6targetE0EEEvT1_ ; -- Begin function _ZN7rocprim17ROCPRIM_400000_NS6detail17trampoline_kernelINS0_14default_configENS1_29reduce_by_key_config_selectorIjxN6thrust23THRUST_200600_302600_NS4plusIxEEEEZZNS1_33reduce_by_key_impl_wrapped_configILNS1_25lookback_scan_determinismE0ES3_S9_NS6_6detail15normal_iteratorINS6_10device_ptrIjEEEENSD_INSE_IxEEEENS6_16discard_iteratorINS6_11use_defaultEEESI_PmS8_NS6_8equal_toIjEEEE10hipError_tPvRmT2_T3_mT4_T5_T6_T7_T8_P12ihipStream_tbENKUlT_T0_E_clISt17integral_constantIbLb1EES16_EEDaS11_S12_EUlS11_E_NS1_11comp_targetILNS1_3genE4ELNS1_11target_archE910ELNS1_3gpuE8ELNS1_3repE0EEENS1_30default_config_static_selectorELNS0_4arch9wavefront6targetE0EEEvT1_
	.globl	_ZN7rocprim17ROCPRIM_400000_NS6detail17trampoline_kernelINS0_14default_configENS1_29reduce_by_key_config_selectorIjxN6thrust23THRUST_200600_302600_NS4plusIxEEEEZZNS1_33reduce_by_key_impl_wrapped_configILNS1_25lookback_scan_determinismE0ES3_S9_NS6_6detail15normal_iteratorINS6_10device_ptrIjEEEENSD_INSE_IxEEEENS6_16discard_iteratorINS6_11use_defaultEEESI_PmS8_NS6_8equal_toIjEEEE10hipError_tPvRmT2_T3_mT4_T5_T6_T7_T8_P12ihipStream_tbENKUlT_T0_E_clISt17integral_constantIbLb1EES16_EEDaS11_S12_EUlS11_E_NS1_11comp_targetILNS1_3genE4ELNS1_11target_archE910ELNS1_3gpuE8ELNS1_3repE0EEENS1_30default_config_static_selectorELNS0_4arch9wavefront6targetE0EEEvT1_
	.p2align	8
	.type	_ZN7rocprim17ROCPRIM_400000_NS6detail17trampoline_kernelINS0_14default_configENS1_29reduce_by_key_config_selectorIjxN6thrust23THRUST_200600_302600_NS4plusIxEEEEZZNS1_33reduce_by_key_impl_wrapped_configILNS1_25lookback_scan_determinismE0ES3_S9_NS6_6detail15normal_iteratorINS6_10device_ptrIjEEEENSD_INSE_IxEEEENS6_16discard_iteratorINS6_11use_defaultEEESI_PmS8_NS6_8equal_toIjEEEE10hipError_tPvRmT2_T3_mT4_T5_T6_T7_T8_P12ihipStream_tbENKUlT_T0_E_clISt17integral_constantIbLb1EES16_EEDaS11_S12_EUlS11_E_NS1_11comp_targetILNS1_3genE4ELNS1_11target_archE910ELNS1_3gpuE8ELNS1_3repE0EEENS1_30default_config_static_selectorELNS0_4arch9wavefront6targetE0EEEvT1_,@function
_ZN7rocprim17ROCPRIM_400000_NS6detail17trampoline_kernelINS0_14default_configENS1_29reduce_by_key_config_selectorIjxN6thrust23THRUST_200600_302600_NS4plusIxEEEEZZNS1_33reduce_by_key_impl_wrapped_configILNS1_25lookback_scan_determinismE0ES3_S9_NS6_6detail15normal_iteratorINS6_10device_ptrIjEEEENSD_INSE_IxEEEENS6_16discard_iteratorINS6_11use_defaultEEESI_PmS8_NS6_8equal_toIjEEEE10hipError_tPvRmT2_T3_mT4_T5_T6_T7_T8_P12ihipStream_tbENKUlT_T0_E_clISt17integral_constantIbLb1EES16_EEDaS11_S12_EUlS11_E_NS1_11comp_targetILNS1_3genE4ELNS1_11target_archE910ELNS1_3gpuE8ELNS1_3repE0EEENS1_30default_config_static_selectorELNS0_4arch9wavefront6targetE0EEEvT1_: ; @_ZN7rocprim17ROCPRIM_400000_NS6detail17trampoline_kernelINS0_14default_configENS1_29reduce_by_key_config_selectorIjxN6thrust23THRUST_200600_302600_NS4plusIxEEEEZZNS1_33reduce_by_key_impl_wrapped_configILNS1_25lookback_scan_determinismE0ES3_S9_NS6_6detail15normal_iteratorINS6_10device_ptrIjEEEENSD_INSE_IxEEEENS6_16discard_iteratorINS6_11use_defaultEEESI_PmS8_NS6_8equal_toIjEEEE10hipError_tPvRmT2_T3_mT4_T5_T6_T7_T8_P12ihipStream_tbENKUlT_T0_E_clISt17integral_constantIbLb1EES16_EEDaS11_S12_EUlS11_E_NS1_11comp_targetILNS1_3genE4ELNS1_11target_archE910ELNS1_3gpuE8ELNS1_3repE0EEENS1_30default_config_static_selectorELNS0_4arch9wavefront6targetE0EEEvT1_
; %bb.0:
	.section	.rodata,"a",@progbits
	.p2align	6, 0x0
	.amdhsa_kernel _ZN7rocprim17ROCPRIM_400000_NS6detail17trampoline_kernelINS0_14default_configENS1_29reduce_by_key_config_selectorIjxN6thrust23THRUST_200600_302600_NS4plusIxEEEEZZNS1_33reduce_by_key_impl_wrapped_configILNS1_25lookback_scan_determinismE0ES3_S9_NS6_6detail15normal_iteratorINS6_10device_ptrIjEEEENSD_INSE_IxEEEENS6_16discard_iteratorINS6_11use_defaultEEESI_PmS8_NS6_8equal_toIjEEEE10hipError_tPvRmT2_T3_mT4_T5_T6_T7_T8_P12ihipStream_tbENKUlT_T0_E_clISt17integral_constantIbLb1EES16_EEDaS11_S12_EUlS11_E_NS1_11comp_targetILNS1_3genE4ELNS1_11target_archE910ELNS1_3gpuE8ELNS1_3repE0EEENS1_30default_config_static_selectorELNS0_4arch9wavefront6targetE0EEEvT1_
		.amdhsa_group_segment_fixed_size 0
		.amdhsa_private_segment_fixed_size 0
		.amdhsa_kernarg_size 144
		.amdhsa_user_sgpr_count 15
		.amdhsa_user_sgpr_dispatch_ptr 0
		.amdhsa_user_sgpr_queue_ptr 0
		.amdhsa_user_sgpr_kernarg_segment_ptr 1
		.amdhsa_user_sgpr_dispatch_id 0
		.amdhsa_user_sgpr_private_segment_size 0
		.amdhsa_wavefront_size32 1
		.amdhsa_uses_dynamic_stack 0
		.amdhsa_enable_private_segment 0
		.amdhsa_system_sgpr_workgroup_id_x 1
		.amdhsa_system_sgpr_workgroup_id_y 0
		.amdhsa_system_sgpr_workgroup_id_z 0
		.amdhsa_system_sgpr_workgroup_info 0
		.amdhsa_system_vgpr_workitem_id 0
		.amdhsa_next_free_vgpr 1
		.amdhsa_next_free_sgpr 1
		.amdhsa_reserve_vcc 0
		.amdhsa_float_round_mode_32 0
		.amdhsa_float_round_mode_16_64 0
		.amdhsa_float_denorm_mode_32 3
		.amdhsa_float_denorm_mode_16_64 3
		.amdhsa_dx10_clamp 1
		.amdhsa_ieee_mode 1
		.amdhsa_fp16_overflow 0
		.amdhsa_workgroup_processor_mode 1
		.amdhsa_memory_ordered 1
		.amdhsa_forward_progress 0
		.amdhsa_shared_vgpr_count 0
		.amdhsa_exception_fp_ieee_invalid_op 0
		.amdhsa_exception_fp_denorm_src 0
		.amdhsa_exception_fp_ieee_div_zero 0
		.amdhsa_exception_fp_ieee_overflow 0
		.amdhsa_exception_fp_ieee_underflow 0
		.amdhsa_exception_fp_ieee_inexact 0
		.amdhsa_exception_int_div_zero 0
	.end_amdhsa_kernel
	.section	.text._ZN7rocprim17ROCPRIM_400000_NS6detail17trampoline_kernelINS0_14default_configENS1_29reduce_by_key_config_selectorIjxN6thrust23THRUST_200600_302600_NS4plusIxEEEEZZNS1_33reduce_by_key_impl_wrapped_configILNS1_25lookback_scan_determinismE0ES3_S9_NS6_6detail15normal_iteratorINS6_10device_ptrIjEEEENSD_INSE_IxEEEENS6_16discard_iteratorINS6_11use_defaultEEESI_PmS8_NS6_8equal_toIjEEEE10hipError_tPvRmT2_T3_mT4_T5_T6_T7_T8_P12ihipStream_tbENKUlT_T0_E_clISt17integral_constantIbLb1EES16_EEDaS11_S12_EUlS11_E_NS1_11comp_targetILNS1_3genE4ELNS1_11target_archE910ELNS1_3gpuE8ELNS1_3repE0EEENS1_30default_config_static_selectorELNS0_4arch9wavefront6targetE0EEEvT1_,"axG",@progbits,_ZN7rocprim17ROCPRIM_400000_NS6detail17trampoline_kernelINS0_14default_configENS1_29reduce_by_key_config_selectorIjxN6thrust23THRUST_200600_302600_NS4plusIxEEEEZZNS1_33reduce_by_key_impl_wrapped_configILNS1_25lookback_scan_determinismE0ES3_S9_NS6_6detail15normal_iteratorINS6_10device_ptrIjEEEENSD_INSE_IxEEEENS6_16discard_iteratorINS6_11use_defaultEEESI_PmS8_NS6_8equal_toIjEEEE10hipError_tPvRmT2_T3_mT4_T5_T6_T7_T8_P12ihipStream_tbENKUlT_T0_E_clISt17integral_constantIbLb1EES16_EEDaS11_S12_EUlS11_E_NS1_11comp_targetILNS1_3genE4ELNS1_11target_archE910ELNS1_3gpuE8ELNS1_3repE0EEENS1_30default_config_static_selectorELNS0_4arch9wavefront6targetE0EEEvT1_,comdat
.Lfunc_end996:
	.size	_ZN7rocprim17ROCPRIM_400000_NS6detail17trampoline_kernelINS0_14default_configENS1_29reduce_by_key_config_selectorIjxN6thrust23THRUST_200600_302600_NS4plusIxEEEEZZNS1_33reduce_by_key_impl_wrapped_configILNS1_25lookback_scan_determinismE0ES3_S9_NS6_6detail15normal_iteratorINS6_10device_ptrIjEEEENSD_INSE_IxEEEENS6_16discard_iteratorINS6_11use_defaultEEESI_PmS8_NS6_8equal_toIjEEEE10hipError_tPvRmT2_T3_mT4_T5_T6_T7_T8_P12ihipStream_tbENKUlT_T0_E_clISt17integral_constantIbLb1EES16_EEDaS11_S12_EUlS11_E_NS1_11comp_targetILNS1_3genE4ELNS1_11target_archE910ELNS1_3gpuE8ELNS1_3repE0EEENS1_30default_config_static_selectorELNS0_4arch9wavefront6targetE0EEEvT1_, .Lfunc_end996-_ZN7rocprim17ROCPRIM_400000_NS6detail17trampoline_kernelINS0_14default_configENS1_29reduce_by_key_config_selectorIjxN6thrust23THRUST_200600_302600_NS4plusIxEEEEZZNS1_33reduce_by_key_impl_wrapped_configILNS1_25lookback_scan_determinismE0ES3_S9_NS6_6detail15normal_iteratorINS6_10device_ptrIjEEEENSD_INSE_IxEEEENS6_16discard_iteratorINS6_11use_defaultEEESI_PmS8_NS6_8equal_toIjEEEE10hipError_tPvRmT2_T3_mT4_T5_T6_T7_T8_P12ihipStream_tbENKUlT_T0_E_clISt17integral_constantIbLb1EES16_EEDaS11_S12_EUlS11_E_NS1_11comp_targetILNS1_3genE4ELNS1_11target_archE910ELNS1_3gpuE8ELNS1_3repE0EEENS1_30default_config_static_selectorELNS0_4arch9wavefront6targetE0EEEvT1_
                                        ; -- End function
	.section	.AMDGPU.csdata,"",@progbits
; Kernel info:
; codeLenInByte = 0
; NumSgprs: 0
; NumVgprs: 0
; ScratchSize: 0
; MemoryBound: 0
; FloatMode: 240
; IeeeMode: 1
; LDSByteSize: 0 bytes/workgroup (compile time only)
; SGPRBlocks: 0
; VGPRBlocks: 0
; NumSGPRsForWavesPerEU: 1
; NumVGPRsForWavesPerEU: 1
; Occupancy: 16
; WaveLimiterHint : 0
; COMPUTE_PGM_RSRC2:SCRATCH_EN: 0
; COMPUTE_PGM_RSRC2:USER_SGPR: 15
; COMPUTE_PGM_RSRC2:TRAP_HANDLER: 0
; COMPUTE_PGM_RSRC2:TGID_X_EN: 1
; COMPUTE_PGM_RSRC2:TGID_Y_EN: 0
; COMPUTE_PGM_RSRC2:TGID_Z_EN: 0
; COMPUTE_PGM_RSRC2:TIDIG_COMP_CNT: 0
	.section	.text._ZN7rocprim17ROCPRIM_400000_NS6detail17trampoline_kernelINS0_14default_configENS1_29reduce_by_key_config_selectorIjxN6thrust23THRUST_200600_302600_NS4plusIxEEEEZZNS1_33reduce_by_key_impl_wrapped_configILNS1_25lookback_scan_determinismE0ES3_S9_NS6_6detail15normal_iteratorINS6_10device_ptrIjEEEENSD_INSE_IxEEEENS6_16discard_iteratorINS6_11use_defaultEEESI_PmS8_NS6_8equal_toIjEEEE10hipError_tPvRmT2_T3_mT4_T5_T6_T7_T8_P12ihipStream_tbENKUlT_T0_E_clISt17integral_constantIbLb1EES16_EEDaS11_S12_EUlS11_E_NS1_11comp_targetILNS1_3genE3ELNS1_11target_archE908ELNS1_3gpuE7ELNS1_3repE0EEENS1_30default_config_static_selectorELNS0_4arch9wavefront6targetE0EEEvT1_,"axG",@progbits,_ZN7rocprim17ROCPRIM_400000_NS6detail17trampoline_kernelINS0_14default_configENS1_29reduce_by_key_config_selectorIjxN6thrust23THRUST_200600_302600_NS4plusIxEEEEZZNS1_33reduce_by_key_impl_wrapped_configILNS1_25lookback_scan_determinismE0ES3_S9_NS6_6detail15normal_iteratorINS6_10device_ptrIjEEEENSD_INSE_IxEEEENS6_16discard_iteratorINS6_11use_defaultEEESI_PmS8_NS6_8equal_toIjEEEE10hipError_tPvRmT2_T3_mT4_T5_T6_T7_T8_P12ihipStream_tbENKUlT_T0_E_clISt17integral_constantIbLb1EES16_EEDaS11_S12_EUlS11_E_NS1_11comp_targetILNS1_3genE3ELNS1_11target_archE908ELNS1_3gpuE7ELNS1_3repE0EEENS1_30default_config_static_selectorELNS0_4arch9wavefront6targetE0EEEvT1_,comdat
	.protected	_ZN7rocprim17ROCPRIM_400000_NS6detail17trampoline_kernelINS0_14default_configENS1_29reduce_by_key_config_selectorIjxN6thrust23THRUST_200600_302600_NS4plusIxEEEEZZNS1_33reduce_by_key_impl_wrapped_configILNS1_25lookback_scan_determinismE0ES3_S9_NS6_6detail15normal_iteratorINS6_10device_ptrIjEEEENSD_INSE_IxEEEENS6_16discard_iteratorINS6_11use_defaultEEESI_PmS8_NS6_8equal_toIjEEEE10hipError_tPvRmT2_T3_mT4_T5_T6_T7_T8_P12ihipStream_tbENKUlT_T0_E_clISt17integral_constantIbLb1EES16_EEDaS11_S12_EUlS11_E_NS1_11comp_targetILNS1_3genE3ELNS1_11target_archE908ELNS1_3gpuE7ELNS1_3repE0EEENS1_30default_config_static_selectorELNS0_4arch9wavefront6targetE0EEEvT1_ ; -- Begin function _ZN7rocprim17ROCPRIM_400000_NS6detail17trampoline_kernelINS0_14default_configENS1_29reduce_by_key_config_selectorIjxN6thrust23THRUST_200600_302600_NS4plusIxEEEEZZNS1_33reduce_by_key_impl_wrapped_configILNS1_25lookback_scan_determinismE0ES3_S9_NS6_6detail15normal_iteratorINS6_10device_ptrIjEEEENSD_INSE_IxEEEENS6_16discard_iteratorINS6_11use_defaultEEESI_PmS8_NS6_8equal_toIjEEEE10hipError_tPvRmT2_T3_mT4_T5_T6_T7_T8_P12ihipStream_tbENKUlT_T0_E_clISt17integral_constantIbLb1EES16_EEDaS11_S12_EUlS11_E_NS1_11comp_targetILNS1_3genE3ELNS1_11target_archE908ELNS1_3gpuE7ELNS1_3repE0EEENS1_30default_config_static_selectorELNS0_4arch9wavefront6targetE0EEEvT1_
	.globl	_ZN7rocprim17ROCPRIM_400000_NS6detail17trampoline_kernelINS0_14default_configENS1_29reduce_by_key_config_selectorIjxN6thrust23THRUST_200600_302600_NS4plusIxEEEEZZNS1_33reduce_by_key_impl_wrapped_configILNS1_25lookback_scan_determinismE0ES3_S9_NS6_6detail15normal_iteratorINS6_10device_ptrIjEEEENSD_INSE_IxEEEENS6_16discard_iteratorINS6_11use_defaultEEESI_PmS8_NS6_8equal_toIjEEEE10hipError_tPvRmT2_T3_mT4_T5_T6_T7_T8_P12ihipStream_tbENKUlT_T0_E_clISt17integral_constantIbLb1EES16_EEDaS11_S12_EUlS11_E_NS1_11comp_targetILNS1_3genE3ELNS1_11target_archE908ELNS1_3gpuE7ELNS1_3repE0EEENS1_30default_config_static_selectorELNS0_4arch9wavefront6targetE0EEEvT1_
	.p2align	8
	.type	_ZN7rocprim17ROCPRIM_400000_NS6detail17trampoline_kernelINS0_14default_configENS1_29reduce_by_key_config_selectorIjxN6thrust23THRUST_200600_302600_NS4plusIxEEEEZZNS1_33reduce_by_key_impl_wrapped_configILNS1_25lookback_scan_determinismE0ES3_S9_NS6_6detail15normal_iteratorINS6_10device_ptrIjEEEENSD_INSE_IxEEEENS6_16discard_iteratorINS6_11use_defaultEEESI_PmS8_NS6_8equal_toIjEEEE10hipError_tPvRmT2_T3_mT4_T5_T6_T7_T8_P12ihipStream_tbENKUlT_T0_E_clISt17integral_constantIbLb1EES16_EEDaS11_S12_EUlS11_E_NS1_11comp_targetILNS1_3genE3ELNS1_11target_archE908ELNS1_3gpuE7ELNS1_3repE0EEENS1_30default_config_static_selectorELNS0_4arch9wavefront6targetE0EEEvT1_,@function
_ZN7rocprim17ROCPRIM_400000_NS6detail17trampoline_kernelINS0_14default_configENS1_29reduce_by_key_config_selectorIjxN6thrust23THRUST_200600_302600_NS4plusIxEEEEZZNS1_33reduce_by_key_impl_wrapped_configILNS1_25lookback_scan_determinismE0ES3_S9_NS6_6detail15normal_iteratorINS6_10device_ptrIjEEEENSD_INSE_IxEEEENS6_16discard_iteratorINS6_11use_defaultEEESI_PmS8_NS6_8equal_toIjEEEE10hipError_tPvRmT2_T3_mT4_T5_T6_T7_T8_P12ihipStream_tbENKUlT_T0_E_clISt17integral_constantIbLb1EES16_EEDaS11_S12_EUlS11_E_NS1_11comp_targetILNS1_3genE3ELNS1_11target_archE908ELNS1_3gpuE7ELNS1_3repE0EEENS1_30default_config_static_selectorELNS0_4arch9wavefront6targetE0EEEvT1_: ; @_ZN7rocprim17ROCPRIM_400000_NS6detail17trampoline_kernelINS0_14default_configENS1_29reduce_by_key_config_selectorIjxN6thrust23THRUST_200600_302600_NS4plusIxEEEEZZNS1_33reduce_by_key_impl_wrapped_configILNS1_25lookback_scan_determinismE0ES3_S9_NS6_6detail15normal_iteratorINS6_10device_ptrIjEEEENSD_INSE_IxEEEENS6_16discard_iteratorINS6_11use_defaultEEESI_PmS8_NS6_8equal_toIjEEEE10hipError_tPvRmT2_T3_mT4_T5_T6_T7_T8_P12ihipStream_tbENKUlT_T0_E_clISt17integral_constantIbLb1EES16_EEDaS11_S12_EUlS11_E_NS1_11comp_targetILNS1_3genE3ELNS1_11target_archE908ELNS1_3gpuE7ELNS1_3repE0EEENS1_30default_config_static_selectorELNS0_4arch9wavefront6targetE0EEEvT1_
; %bb.0:
	.section	.rodata,"a",@progbits
	.p2align	6, 0x0
	.amdhsa_kernel _ZN7rocprim17ROCPRIM_400000_NS6detail17trampoline_kernelINS0_14default_configENS1_29reduce_by_key_config_selectorIjxN6thrust23THRUST_200600_302600_NS4plusIxEEEEZZNS1_33reduce_by_key_impl_wrapped_configILNS1_25lookback_scan_determinismE0ES3_S9_NS6_6detail15normal_iteratorINS6_10device_ptrIjEEEENSD_INSE_IxEEEENS6_16discard_iteratorINS6_11use_defaultEEESI_PmS8_NS6_8equal_toIjEEEE10hipError_tPvRmT2_T3_mT4_T5_T6_T7_T8_P12ihipStream_tbENKUlT_T0_E_clISt17integral_constantIbLb1EES16_EEDaS11_S12_EUlS11_E_NS1_11comp_targetILNS1_3genE3ELNS1_11target_archE908ELNS1_3gpuE7ELNS1_3repE0EEENS1_30default_config_static_selectorELNS0_4arch9wavefront6targetE0EEEvT1_
		.amdhsa_group_segment_fixed_size 0
		.amdhsa_private_segment_fixed_size 0
		.amdhsa_kernarg_size 144
		.amdhsa_user_sgpr_count 15
		.amdhsa_user_sgpr_dispatch_ptr 0
		.amdhsa_user_sgpr_queue_ptr 0
		.amdhsa_user_sgpr_kernarg_segment_ptr 1
		.amdhsa_user_sgpr_dispatch_id 0
		.amdhsa_user_sgpr_private_segment_size 0
		.amdhsa_wavefront_size32 1
		.amdhsa_uses_dynamic_stack 0
		.amdhsa_enable_private_segment 0
		.amdhsa_system_sgpr_workgroup_id_x 1
		.amdhsa_system_sgpr_workgroup_id_y 0
		.amdhsa_system_sgpr_workgroup_id_z 0
		.amdhsa_system_sgpr_workgroup_info 0
		.amdhsa_system_vgpr_workitem_id 0
		.amdhsa_next_free_vgpr 1
		.amdhsa_next_free_sgpr 1
		.amdhsa_reserve_vcc 0
		.amdhsa_float_round_mode_32 0
		.amdhsa_float_round_mode_16_64 0
		.amdhsa_float_denorm_mode_32 3
		.amdhsa_float_denorm_mode_16_64 3
		.amdhsa_dx10_clamp 1
		.amdhsa_ieee_mode 1
		.amdhsa_fp16_overflow 0
		.amdhsa_workgroup_processor_mode 1
		.amdhsa_memory_ordered 1
		.amdhsa_forward_progress 0
		.amdhsa_shared_vgpr_count 0
		.amdhsa_exception_fp_ieee_invalid_op 0
		.amdhsa_exception_fp_denorm_src 0
		.amdhsa_exception_fp_ieee_div_zero 0
		.amdhsa_exception_fp_ieee_overflow 0
		.amdhsa_exception_fp_ieee_underflow 0
		.amdhsa_exception_fp_ieee_inexact 0
		.amdhsa_exception_int_div_zero 0
	.end_amdhsa_kernel
	.section	.text._ZN7rocprim17ROCPRIM_400000_NS6detail17trampoline_kernelINS0_14default_configENS1_29reduce_by_key_config_selectorIjxN6thrust23THRUST_200600_302600_NS4plusIxEEEEZZNS1_33reduce_by_key_impl_wrapped_configILNS1_25lookback_scan_determinismE0ES3_S9_NS6_6detail15normal_iteratorINS6_10device_ptrIjEEEENSD_INSE_IxEEEENS6_16discard_iteratorINS6_11use_defaultEEESI_PmS8_NS6_8equal_toIjEEEE10hipError_tPvRmT2_T3_mT4_T5_T6_T7_T8_P12ihipStream_tbENKUlT_T0_E_clISt17integral_constantIbLb1EES16_EEDaS11_S12_EUlS11_E_NS1_11comp_targetILNS1_3genE3ELNS1_11target_archE908ELNS1_3gpuE7ELNS1_3repE0EEENS1_30default_config_static_selectorELNS0_4arch9wavefront6targetE0EEEvT1_,"axG",@progbits,_ZN7rocprim17ROCPRIM_400000_NS6detail17trampoline_kernelINS0_14default_configENS1_29reduce_by_key_config_selectorIjxN6thrust23THRUST_200600_302600_NS4plusIxEEEEZZNS1_33reduce_by_key_impl_wrapped_configILNS1_25lookback_scan_determinismE0ES3_S9_NS6_6detail15normal_iteratorINS6_10device_ptrIjEEEENSD_INSE_IxEEEENS6_16discard_iteratorINS6_11use_defaultEEESI_PmS8_NS6_8equal_toIjEEEE10hipError_tPvRmT2_T3_mT4_T5_T6_T7_T8_P12ihipStream_tbENKUlT_T0_E_clISt17integral_constantIbLb1EES16_EEDaS11_S12_EUlS11_E_NS1_11comp_targetILNS1_3genE3ELNS1_11target_archE908ELNS1_3gpuE7ELNS1_3repE0EEENS1_30default_config_static_selectorELNS0_4arch9wavefront6targetE0EEEvT1_,comdat
.Lfunc_end997:
	.size	_ZN7rocprim17ROCPRIM_400000_NS6detail17trampoline_kernelINS0_14default_configENS1_29reduce_by_key_config_selectorIjxN6thrust23THRUST_200600_302600_NS4plusIxEEEEZZNS1_33reduce_by_key_impl_wrapped_configILNS1_25lookback_scan_determinismE0ES3_S9_NS6_6detail15normal_iteratorINS6_10device_ptrIjEEEENSD_INSE_IxEEEENS6_16discard_iteratorINS6_11use_defaultEEESI_PmS8_NS6_8equal_toIjEEEE10hipError_tPvRmT2_T3_mT4_T5_T6_T7_T8_P12ihipStream_tbENKUlT_T0_E_clISt17integral_constantIbLb1EES16_EEDaS11_S12_EUlS11_E_NS1_11comp_targetILNS1_3genE3ELNS1_11target_archE908ELNS1_3gpuE7ELNS1_3repE0EEENS1_30default_config_static_selectorELNS0_4arch9wavefront6targetE0EEEvT1_, .Lfunc_end997-_ZN7rocprim17ROCPRIM_400000_NS6detail17trampoline_kernelINS0_14default_configENS1_29reduce_by_key_config_selectorIjxN6thrust23THRUST_200600_302600_NS4plusIxEEEEZZNS1_33reduce_by_key_impl_wrapped_configILNS1_25lookback_scan_determinismE0ES3_S9_NS6_6detail15normal_iteratorINS6_10device_ptrIjEEEENSD_INSE_IxEEEENS6_16discard_iteratorINS6_11use_defaultEEESI_PmS8_NS6_8equal_toIjEEEE10hipError_tPvRmT2_T3_mT4_T5_T6_T7_T8_P12ihipStream_tbENKUlT_T0_E_clISt17integral_constantIbLb1EES16_EEDaS11_S12_EUlS11_E_NS1_11comp_targetILNS1_3genE3ELNS1_11target_archE908ELNS1_3gpuE7ELNS1_3repE0EEENS1_30default_config_static_selectorELNS0_4arch9wavefront6targetE0EEEvT1_
                                        ; -- End function
	.section	.AMDGPU.csdata,"",@progbits
; Kernel info:
; codeLenInByte = 0
; NumSgprs: 0
; NumVgprs: 0
; ScratchSize: 0
; MemoryBound: 0
; FloatMode: 240
; IeeeMode: 1
; LDSByteSize: 0 bytes/workgroup (compile time only)
; SGPRBlocks: 0
; VGPRBlocks: 0
; NumSGPRsForWavesPerEU: 1
; NumVGPRsForWavesPerEU: 1
; Occupancy: 16
; WaveLimiterHint : 0
; COMPUTE_PGM_RSRC2:SCRATCH_EN: 0
; COMPUTE_PGM_RSRC2:USER_SGPR: 15
; COMPUTE_PGM_RSRC2:TRAP_HANDLER: 0
; COMPUTE_PGM_RSRC2:TGID_X_EN: 1
; COMPUTE_PGM_RSRC2:TGID_Y_EN: 0
; COMPUTE_PGM_RSRC2:TGID_Z_EN: 0
; COMPUTE_PGM_RSRC2:TIDIG_COMP_CNT: 0
	.section	.text._ZN7rocprim17ROCPRIM_400000_NS6detail17trampoline_kernelINS0_14default_configENS1_29reduce_by_key_config_selectorIjxN6thrust23THRUST_200600_302600_NS4plusIxEEEEZZNS1_33reduce_by_key_impl_wrapped_configILNS1_25lookback_scan_determinismE0ES3_S9_NS6_6detail15normal_iteratorINS6_10device_ptrIjEEEENSD_INSE_IxEEEENS6_16discard_iteratorINS6_11use_defaultEEESI_PmS8_NS6_8equal_toIjEEEE10hipError_tPvRmT2_T3_mT4_T5_T6_T7_T8_P12ihipStream_tbENKUlT_T0_E_clISt17integral_constantIbLb1EES16_EEDaS11_S12_EUlS11_E_NS1_11comp_targetILNS1_3genE2ELNS1_11target_archE906ELNS1_3gpuE6ELNS1_3repE0EEENS1_30default_config_static_selectorELNS0_4arch9wavefront6targetE0EEEvT1_,"axG",@progbits,_ZN7rocprim17ROCPRIM_400000_NS6detail17trampoline_kernelINS0_14default_configENS1_29reduce_by_key_config_selectorIjxN6thrust23THRUST_200600_302600_NS4plusIxEEEEZZNS1_33reduce_by_key_impl_wrapped_configILNS1_25lookback_scan_determinismE0ES3_S9_NS6_6detail15normal_iteratorINS6_10device_ptrIjEEEENSD_INSE_IxEEEENS6_16discard_iteratorINS6_11use_defaultEEESI_PmS8_NS6_8equal_toIjEEEE10hipError_tPvRmT2_T3_mT4_T5_T6_T7_T8_P12ihipStream_tbENKUlT_T0_E_clISt17integral_constantIbLb1EES16_EEDaS11_S12_EUlS11_E_NS1_11comp_targetILNS1_3genE2ELNS1_11target_archE906ELNS1_3gpuE6ELNS1_3repE0EEENS1_30default_config_static_selectorELNS0_4arch9wavefront6targetE0EEEvT1_,comdat
	.protected	_ZN7rocprim17ROCPRIM_400000_NS6detail17trampoline_kernelINS0_14default_configENS1_29reduce_by_key_config_selectorIjxN6thrust23THRUST_200600_302600_NS4plusIxEEEEZZNS1_33reduce_by_key_impl_wrapped_configILNS1_25lookback_scan_determinismE0ES3_S9_NS6_6detail15normal_iteratorINS6_10device_ptrIjEEEENSD_INSE_IxEEEENS6_16discard_iteratorINS6_11use_defaultEEESI_PmS8_NS6_8equal_toIjEEEE10hipError_tPvRmT2_T3_mT4_T5_T6_T7_T8_P12ihipStream_tbENKUlT_T0_E_clISt17integral_constantIbLb1EES16_EEDaS11_S12_EUlS11_E_NS1_11comp_targetILNS1_3genE2ELNS1_11target_archE906ELNS1_3gpuE6ELNS1_3repE0EEENS1_30default_config_static_selectorELNS0_4arch9wavefront6targetE0EEEvT1_ ; -- Begin function _ZN7rocprim17ROCPRIM_400000_NS6detail17trampoline_kernelINS0_14default_configENS1_29reduce_by_key_config_selectorIjxN6thrust23THRUST_200600_302600_NS4plusIxEEEEZZNS1_33reduce_by_key_impl_wrapped_configILNS1_25lookback_scan_determinismE0ES3_S9_NS6_6detail15normal_iteratorINS6_10device_ptrIjEEEENSD_INSE_IxEEEENS6_16discard_iteratorINS6_11use_defaultEEESI_PmS8_NS6_8equal_toIjEEEE10hipError_tPvRmT2_T3_mT4_T5_T6_T7_T8_P12ihipStream_tbENKUlT_T0_E_clISt17integral_constantIbLb1EES16_EEDaS11_S12_EUlS11_E_NS1_11comp_targetILNS1_3genE2ELNS1_11target_archE906ELNS1_3gpuE6ELNS1_3repE0EEENS1_30default_config_static_selectorELNS0_4arch9wavefront6targetE0EEEvT1_
	.globl	_ZN7rocprim17ROCPRIM_400000_NS6detail17trampoline_kernelINS0_14default_configENS1_29reduce_by_key_config_selectorIjxN6thrust23THRUST_200600_302600_NS4plusIxEEEEZZNS1_33reduce_by_key_impl_wrapped_configILNS1_25lookback_scan_determinismE0ES3_S9_NS6_6detail15normal_iteratorINS6_10device_ptrIjEEEENSD_INSE_IxEEEENS6_16discard_iteratorINS6_11use_defaultEEESI_PmS8_NS6_8equal_toIjEEEE10hipError_tPvRmT2_T3_mT4_T5_T6_T7_T8_P12ihipStream_tbENKUlT_T0_E_clISt17integral_constantIbLb1EES16_EEDaS11_S12_EUlS11_E_NS1_11comp_targetILNS1_3genE2ELNS1_11target_archE906ELNS1_3gpuE6ELNS1_3repE0EEENS1_30default_config_static_selectorELNS0_4arch9wavefront6targetE0EEEvT1_
	.p2align	8
	.type	_ZN7rocprim17ROCPRIM_400000_NS6detail17trampoline_kernelINS0_14default_configENS1_29reduce_by_key_config_selectorIjxN6thrust23THRUST_200600_302600_NS4plusIxEEEEZZNS1_33reduce_by_key_impl_wrapped_configILNS1_25lookback_scan_determinismE0ES3_S9_NS6_6detail15normal_iteratorINS6_10device_ptrIjEEEENSD_INSE_IxEEEENS6_16discard_iteratorINS6_11use_defaultEEESI_PmS8_NS6_8equal_toIjEEEE10hipError_tPvRmT2_T3_mT4_T5_T6_T7_T8_P12ihipStream_tbENKUlT_T0_E_clISt17integral_constantIbLb1EES16_EEDaS11_S12_EUlS11_E_NS1_11comp_targetILNS1_3genE2ELNS1_11target_archE906ELNS1_3gpuE6ELNS1_3repE0EEENS1_30default_config_static_selectorELNS0_4arch9wavefront6targetE0EEEvT1_,@function
_ZN7rocprim17ROCPRIM_400000_NS6detail17trampoline_kernelINS0_14default_configENS1_29reduce_by_key_config_selectorIjxN6thrust23THRUST_200600_302600_NS4plusIxEEEEZZNS1_33reduce_by_key_impl_wrapped_configILNS1_25lookback_scan_determinismE0ES3_S9_NS6_6detail15normal_iteratorINS6_10device_ptrIjEEEENSD_INSE_IxEEEENS6_16discard_iteratorINS6_11use_defaultEEESI_PmS8_NS6_8equal_toIjEEEE10hipError_tPvRmT2_T3_mT4_T5_T6_T7_T8_P12ihipStream_tbENKUlT_T0_E_clISt17integral_constantIbLb1EES16_EEDaS11_S12_EUlS11_E_NS1_11comp_targetILNS1_3genE2ELNS1_11target_archE906ELNS1_3gpuE6ELNS1_3repE0EEENS1_30default_config_static_selectorELNS0_4arch9wavefront6targetE0EEEvT1_: ; @_ZN7rocprim17ROCPRIM_400000_NS6detail17trampoline_kernelINS0_14default_configENS1_29reduce_by_key_config_selectorIjxN6thrust23THRUST_200600_302600_NS4plusIxEEEEZZNS1_33reduce_by_key_impl_wrapped_configILNS1_25lookback_scan_determinismE0ES3_S9_NS6_6detail15normal_iteratorINS6_10device_ptrIjEEEENSD_INSE_IxEEEENS6_16discard_iteratorINS6_11use_defaultEEESI_PmS8_NS6_8equal_toIjEEEE10hipError_tPvRmT2_T3_mT4_T5_T6_T7_T8_P12ihipStream_tbENKUlT_T0_E_clISt17integral_constantIbLb1EES16_EEDaS11_S12_EUlS11_E_NS1_11comp_targetILNS1_3genE2ELNS1_11target_archE906ELNS1_3gpuE6ELNS1_3repE0EEENS1_30default_config_static_selectorELNS0_4arch9wavefront6targetE0EEEvT1_
; %bb.0:
	.section	.rodata,"a",@progbits
	.p2align	6, 0x0
	.amdhsa_kernel _ZN7rocprim17ROCPRIM_400000_NS6detail17trampoline_kernelINS0_14default_configENS1_29reduce_by_key_config_selectorIjxN6thrust23THRUST_200600_302600_NS4plusIxEEEEZZNS1_33reduce_by_key_impl_wrapped_configILNS1_25lookback_scan_determinismE0ES3_S9_NS6_6detail15normal_iteratorINS6_10device_ptrIjEEEENSD_INSE_IxEEEENS6_16discard_iteratorINS6_11use_defaultEEESI_PmS8_NS6_8equal_toIjEEEE10hipError_tPvRmT2_T3_mT4_T5_T6_T7_T8_P12ihipStream_tbENKUlT_T0_E_clISt17integral_constantIbLb1EES16_EEDaS11_S12_EUlS11_E_NS1_11comp_targetILNS1_3genE2ELNS1_11target_archE906ELNS1_3gpuE6ELNS1_3repE0EEENS1_30default_config_static_selectorELNS0_4arch9wavefront6targetE0EEEvT1_
		.amdhsa_group_segment_fixed_size 0
		.amdhsa_private_segment_fixed_size 0
		.amdhsa_kernarg_size 144
		.amdhsa_user_sgpr_count 15
		.amdhsa_user_sgpr_dispatch_ptr 0
		.amdhsa_user_sgpr_queue_ptr 0
		.amdhsa_user_sgpr_kernarg_segment_ptr 1
		.amdhsa_user_sgpr_dispatch_id 0
		.amdhsa_user_sgpr_private_segment_size 0
		.amdhsa_wavefront_size32 1
		.amdhsa_uses_dynamic_stack 0
		.amdhsa_enable_private_segment 0
		.amdhsa_system_sgpr_workgroup_id_x 1
		.amdhsa_system_sgpr_workgroup_id_y 0
		.amdhsa_system_sgpr_workgroup_id_z 0
		.amdhsa_system_sgpr_workgroup_info 0
		.amdhsa_system_vgpr_workitem_id 0
		.amdhsa_next_free_vgpr 1
		.amdhsa_next_free_sgpr 1
		.amdhsa_reserve_vcc 0
		.amdhsa_float_round_mode_32 0
		.amdhsa_float_round_mode_16_64 0
		.amdhsa_float_denorm_mode_32 3
		.amdhsa_float_denorm_mode_16_64 3
		.amdhsa_dx10_clamp 1
		.amdhsa_ieee_mode 1
		.amdhsa_fp16_overflow 0
		.amdhsa_workgroup_processor_mode 1
		.amdhsa_memory_ordered 1
		.amdhsa_forward_progress 0
		.amdhsa_shared_vgpr_count 0
		.amdhsa_exception_fp_ieee_invalid_op 0
		.amdhsa_exception_fp_denorm_src 0
		.amdhsa_exception_fp_ieee_div_zero 0
		.amdhsa_exception_fp_ieee_overflow 0
		.amdhsa_exception_fp_ieee_underflow 0
		.amdhsa_exception_fp_ieee_inexact 0
		.amdhsa_exception_int_div_zero 0
	.end_amdhsa_kernel
	.section	.text._ZN7rocprim17ROCPRIM_400000_NS6detail17trampoline_kernelINS0_14default_configENS1_29reduce_by_key_config_selectorIjxN6thrust23THRUST_200600_302600_NS4plusIxEEEEZZNS1_33reduce_by_key_impl_wrapped_configILNS1_25lookback_scan_determinismE0ES3_S9_NS6_6detail15normal_iteratorINS6_10device_ptrIjEEEENSD_INSE_IxEEEENS6_16discard_iteratorINS6_11use_defaultEEESI_PmS8_NS6_8equal_toIjEEEE10hipError_tPvRmT2_T3_mT4_T5_T6_T7_T8_P12ihipStream_tbENKUlT_T0_E_clISt17integral_constantIbLb1EES16_EEDaS11_S12_EUlS11_E_NS1_11comp_targetILNS1_3genE2ELNS1_11target_archE906ELNS1_3gpuE6ELNS1_3repE0EEENS1_30default_config_static_selectorELNS0_4arch9wavefront6targetE0EEEvT1_,"axG",@progbits,_ZN7rocprim17ROCPRIM_400000_NS6detail17trampoline_kernelINS0_14default_configENS1_29reduce_by_key_config_selectorIjxN6thrust23THRUST_200600_302600_NS4plusIxEEEEZZNS1_33reduce_by_key_impl_wrapped_configILNS1_25lookback_scan_determinismE0ES3_S9_NS6_6detail15normal_iteratorINS6_10device_ptrIjEEEENSD_INSE_IxEEEENS6_16discard_iteratorINS6_11use_defaultEEESI_PmS8_NS6_8equal_toIjEEEE10hipError_tPvRmT2_T3_mT4_T5_T6_T7_T8_P12ihipStream_tbENKUlT_T0_E_clISt17integral_constantIbLb1EES16_EEDaS11_S12_EUlS11_E_NS1_11comp_targetILNS1_3genE2ELNS1_11target_archE906ELNS1_3gpuE6ELNS1_3repE0EEENS1_30default_config_static_selectorELNS0_4arch9wavefront6targetE0EEEvT1_,comdat
.Lfunc_end998:
	.size	_ZN7rocprim17ROCPRIM_400000_NS6detail17trampoline_kernelINS0_14default_configENS1_29reduce_by_key_config_selectorIjxN6thrust23THRUST_200600_302600_NS4plusIxEEEEZZNS1_33reduce_by_key_impl_wrapped_configILNS1_25lookback_scan_determinismE0ES3_S9_NS6_6detail15normal_iteratorINS6_10device_ptrIjEEEENSD_INSE_IxEEEENS6_16discard_iteratorINS6_11use_defaultEEESI_PmS8_NS6_8equal_toIjEEEE10hipError_tPvRmT2_T3_mT4_T5_T6_T7_T8_P12ihipStream_tbENKUlT_T0_E_clISt17integral_constantIbLb1EES16_EEDaS11_S12_EUlS11_E_NS1_11comp_targetILNS1_3genE2ELNS1_11target_archE906ELNS1_3gpuE6ELNS1_3repE0EEENS1_30default_config_static_selectorELNS0_4arch9wavefront6targetE0EEEvT1_, .Lfunc_end998-_ZN7rocprim17ROCPRIM_400000_NS6detail17trampoline_kernelINS0_14default_configENS1_29reduce_by_key_config_selectorIjxN6thrust23THRUST_200600_302600_NS4plusIxEEEEZZNS1_33reduce_by_key_impl_wrapped_configILNS1_25lookback_scan_determinismE0ES3_S9_NS6_6detail15normal_iteratorINS6_10device_ptrIjEEEENSD_INSE_IxEEEENS6_16discard_iteratorINS6_11use_defaultEEESI_PmS8_NS6_8equal_toIjEEEE10hipError_tPvRmT2_T3_mT4_T5_T6_T7_T8_P12ihipStream_tbENKUlT_T0_E_clISt17integral_constantIbLb1EES16_EEDaS11_S12_EUlS11_E_NS1_11comp_targetILNS1_3genE2ELNS1_11target_archE906ELNS1_3gpuE6ELNS1_3repE0EEENS1_30default_config_static_selectorELNS0_4arch9wavefront6targetE0EEEvT1_
                                        ; -- End function
	.section	.AMDGPU.csdata,"",@progbits
; Kernel info:
; codeLenInByte = 0
; NumSgprs: 0
; NumVgprs: 0
; ScratchSize: 0
; MemoryBound: 0
; FloatMode: 240
; IeeeMode: 1
; LDSByteSize: 0 bytes/workgroup (compile time only)
; SGPRBlocks: 0
; VGPRBlocks: 0
; NumSGPRsForWavesPerEU: 1
; NumVGPRsForWavesPerEU: 1
; Occupancy: 16
; WaveLimiterHint : 0
; COMPUTE_PGM_RSRC2:SCRATCH_EN: 0
; COMPUTE_PGM_RSRC2:USER_SGPR: 15
; COMPUTE_PGM_RSRC2:TRAP_HANDLER: 0
; COMPUTE_PGM_RSRC2:TGID_X_EN: 1
; COMPUTE_PGM_RSRC2:TGID_Y_EN: 0
; COMPUTE_PGM_RSRC2:TGID_Z_EN: 0
; COMPUTE_PGM_RSRC2:TIDIG_COMP_CNT: 0
	.section	.text._ZN7rocprim17ROCPRIM_400000_NS6detail17trampoline_kernelINS0_14default_configENS1_29reduce_by_key_config_selectorIjxN6thrust23THRUST_200600_302600_NS4plusIxEEEEZZNS1_33reduce_by_key_impl_wrapped_configILNS1_25lookback_scan_determinismE0ES3_S9_NS6_6detail15normal_iteratorINS6_10device_ptrIjEEEENSD_INSE_IxEEEENS6_16discard_iteratorINS6_11use_defaultEEESI_PmS8_NS6_8equal_toIjEEEE10hipError_tPvRmT2_T3_mT4_T5_T6_T7_T8_P12ihipStream_tbENKUlT_T0_E_clISt17integral_constantIbLb1EES16_EEDaS11_S12_EUlS11_E_NS1_11comp_targetILNS1_3genE10ELNS1_11target_archE1201ELNS1_3gpuE5ELNS1_3repE0EEENS1_30default_config_static_selectorELNS0_4arch9wavefront6targetE0EEEvT1_,"axG",@progbits,_ZN7rocprim17ROCPRIM_400000_NS6detail17trampoline_kernelINS0_14default_configENS1_29reduce_by_key_config_selectorIjxN6thrust23THRUST_200600_302600_NS4plusIxEEEEZZNS1_33reduce_by_key_impl_wrapped_configILNS1_25lookback_scan_determinismE0ES3_S9_NS6_6detail15normal_iteratorINS6_10device_ptrIjEEEENSD_INSE_IxEEEENS6_16discard_iteratorINS6_11use_defaultEEESI_PmS8_NS6_8equal_toIjEEEE10hipError_tPvRmT2_T3_mT4_T5_T6_T7_T8_P12ihipStream_tbENKUlT_T0_E_clISt17integral_constantIbLb1EES16_EEDaS11_S12_EUlS11_E_NS1_11comp_targetILNS1_3genE10ELNS1_11target_archE1201ELNS1_3gpuE5ELNS1_3repE0EEENS1_30default_config_static_selectorELNS0_4arch9wavefront6targetE0EEEvT1_,comdat
	.protected	_ZN7rocprim17ROCPRIM_400000_NS6detail17trampoline_kernelINS0_14default_configENS1_29reduce_by_key_config_selectorIjxN6thrust23THRUST_200600_302600_NS4plusIxEEEEZZNS1_33reduce_by_key_impl_wrapped_configILNS1_25lookback_scan_determinismE0ES3_S9_NS6_6detail15normal_iteratorINS6_10device_ptrIjEEEENSD_INSE_IxEEEENS6_16discard_iteratorINS6_11use_defaultEEESI_PmS8_NS6_8equal_toIjEEEE10hipError_tPvRmT2_T3_mT4_T5_T6_T7_T8_P12ihipStream_tbENKUlT_T0_E_clISt17integral_constantIbLb1EES16_EEDaS11_S12_EUlS11_E_NS1_11comp_targetILNS1_3genE10ELNS1_11target_archE1201ELNS1_3gpuE5ELNS1_3repE0EEENS1_30default_config_static_selectorELNS0_4arch9wavefront6targetE0EEEvT1_ ; -- Begin function _ZN7rocprim17ROCPRIM_400000_NS6detail17trampoline_kernelINS0_14default_configENS1_29reduce_by_key_config_selectorIjxN6thrust23THRUST_200600_302600_NS4plusIxEEEEZZNS1_33reduce_by_key_impl_wrapped_configILNS1_25lookback_scan_determinismE0ES3_S9_NS6_6detail15normal_iteratorINS6_10device_ptrIjEEEENSD_INSE_IxEEEENS6_16discard_iteratorINS6_11use_defaultEEESI_PmS8_NS6_8equal_toIjEEEE10hipError_tPvRmT2_T3_mT4_T5_T6_T7_T8_P12ihipStream_tbENKUlT_T0_E_clISt17integral_constantIbLb1EES16_EEDaS11_S12_EUlS11_E_NS1_11comp_targetILNS1_3genE10ELNS1_11target_archE1201ELNS1_3gpuE5ELNS1_3repE0EEENS1_30default_config_static_selectorELNS0_4arch9wavefront6targetE0EEEvT1_
	.globl	_ZN7rocprim17ROCPRIM_400000_NS6detail17trampoline_kernelINS0_14default_configENS1_29reduce_by_key_config_selectorIjxN6thrust23THRUST_200600_302600_NS4plusIxEEEEZZNS1_33reduce_by_key_impl_wrapped_configILNS1_25lookback_scan_determinismE0ES3_S9_NS6_6detail15normal_iteratorINS6_10device_ptrIjEEEENSD_INSE_IxEEEENS6_16discard_iteratorINS6_11use_defaultEEESI_PmS8_NS6_8equal_toIjEEEE10hipError_tPvRmT2_T3_mT4_T5_T6_T7_T8_P12ihipStream_tbENKUlT_T0_E_clISt17integral_constantIbLb1EES16_EEDaS11_S12_EUlS11_E_NS1_11comp_targetILNS1_3genE10ELNS1_11target_archE1201ELNS1_3gpuE5ELNS1_3repE0EEENS1_30default_config_static_selectorELNS0_4arch9wavefront6targetE0EEEvT1_
	.p2align	8
	.type	_ZN7rocprim17ROCPRIM_400000_NS6detail17trampoline_kernelINS0_14default_configENS1_29reduce_by_key_config_selectorIjxN6thrust23THRUST_200600_302600_NS4plusIxEEEEZZNS1_33reduce_by_key_impl_wrapped_configILNS1_25lookback_scan_determinismE0ES3_S9_NS6_6detail15normal_iteratorINS6_10device_ptrIjEEEENSD_INSE_IxEEEENS6_16discard_iteratorINS6_11use_defaultEEESI_PmS8_NS6_8equal_toIjEEEE10hipError_tPvRmT2_T3_mT4_T5_T6_T7_T8_P12ihipStream_tbENKUlT_T0_E_clISt17integral_constantIbLb1EES16_EEDaS11_S12_EUlS11_E_NS1_11comp_targetILNS1_3genE10ELNS1_11target_archE1201ELNS1_3gpuE5ELNS1_3repE0EEENS1_30default_config_static_selectorELNS0_4arch9wavefront6targetE0EEEvT1_,@function
_ZN7rocprim17ROCPRIM_400000_NS6detail17trampoline_kernelINS0_14default_configENS1_29reduce_by_key_config_selectorIjxN6thrust23THRUST_200600_302600_NS4plusIxEEEEZZNS1_33reduce_by_key_impl_wrapped_configILNS1_25lookback_scan_determinismE0ES3_S9_NS6_6detail15normal_iteratorINS6_10device_ptrIjEEEENSD_INSE_IxEEEENS6_16discard_iteratorINS6_11use_defaultEEESI_PmS8_NS6_8equal_toIjEEEE10hipError_tPvRmT2_T3_mT4_T5_T6_T7_T8_P12ihipStream_tbENKUlT_T0_E_clISt17integral_constantIbLb1EES16_EEDaS11_S12_EUlS11_E_NS1_11comp_targetILNS1_3genE10ELNS1_11target_archE1201ELNS1_3gpuE5ELNS1_3repE0EEENS1_30default_config_static_selectorELNS0_4arch9wavefront6targetE0EEEvT1_: ; @_ZN7rocprim17ROCPRIM_400000_NS6detail17trampoline_kernelINS0_14default_configENS1_29reduce_by_key_config_selectorIjxN6thrust23THRUST_200600_302600_NS4plusIxEEEEZZNS1_33reduce_by_key_impl_wrapped_configILNS1_25lookback_scan_determinismE0ES3_S9_NS6_6detail15normal_iteratorINS6_10device_ptrIjEEEENSD_INSE_IxEEEENS6_16discard_iteratorINS6_11use_defaultEEESI_PmS8_NS6_8equal_toIjEEEE10hipError_tPvRmT2_T3_mT4_T5_T6_T7_T8_P12ihipStream_tbENKUlT_T0_E_clISt17integral_constantIbLb1EES16_EEDaS11_S12_EUlS11_E_NS1_11comp_targetILNS1_3genE10ELNS1_11target_archE1201ELNS1_3gpuE5ELNS1_3repE0EEENS1_30default_config_static_selectorELNS0_4arch9wavefront6targetE0EEEvT1_
; %bb.0:
	.section	.rodata,"a",@progbits
	.p2align	6, 0x0
	.amdhsa_kernel _ZN7rocprim17ROCPRIM_400000_NS6detail17trampoline_kernelINS0_14default_configENS1_29reduce_by_key_config_selectorIjxN6thrust23THRUST_200600_302600_NS4plusIxEEEEZZNS1_33reduce_by_key_impl_wrapped_configILNS1_25lookback_scan_determinismE0ES3_S9_NS6_6detail15normal_iteratorINS6_10device_ptrIjEEEENSD_INSE_IxEEEENS6_16discard_iteratorINS6_11use_defaultEEESI_PmS8_NS6_8equal_toIjEEEE10hipError_tPvRmT2_T3_mT4_T5_T6_T7_T8_P12ihipStream_tbENKUlT_T0_E_clISt17integral_constantIbLb1EES16_EEDaS11_S12_EUlS11_E_NS1_11comp_targetILNS1_3genE10ELNS1_11target_archE1201ELNS1_3gpuE5ELNS1_3repE0EEENS1_30default_config_static_selectorELNS0_4arch9wavefront6targetE0EEEvT1_
		.amdhsa_group_segment_fixed_size 0
		.amdhsa_private_segment_fixed_size 0
		.amdhsa_kernarg_size 144
		.amdhsa_user_sgpr_count 15
		.amdhsa_user_sgpr_dispatch_ptr 0
		.amdhsa_user_sgpr_queue_ptr 0
		.amdhsa_user_sgpr_kernarg_segment_ptr 1
		.amdhsa_user_sgpr_dispatch_id 0
		.amdhsa_user_sgpr_private_segment_size 0
		.amdhsa_wavefront_size32 1
		.amdhsa_uses_dynamic_stack 0
		.amdhsa_enable_private_segment 0
		.amdhsa_system_sgpr_workgroup_id_x 1
		.amdhsa_system_sgpr_workgroup_id_y 0
		.amdhsa_system_sgpr_workgroup_id_z 0
		.amdhsa_system_sgpr_workgroup_info 0
		.amdhsa_system_vgpr_workitem_id 0
		.amdhsa_next_free_vgpr 1
		.amdhsa_next_free_sgpr 1
		.amdhsa_reserve_vcc 0
		.amdhsa_float_round_mode_32 0
		.amdhsa_float_round_mode_16_64 0
		.amdhsa_float_denorm_mode_32 3
		.amdhsa_float_denorm_mode_16_64 3
		.amdhsa_dx10_clamp 1
		.amdhsa_ieee_mode 1
		.amdhsa_fp16_overflow 0
		.amdhsa_workgroup_processor_mode 1
		.amdhsa_memory_ordered 1
		.amdhsa_forward_progress 0
		.amdhsa_shared_vgpr_count 0
		.amdhsa_exception_fp_ieee_invalid_op 0
		.amdhsa_exception_fp_denorm_src 0
		.amdhsa_exception_fp_ieee_div_zero 0
		.amdhsa_exception_fp_ieee_overflow 0
		.amdhsa_exception_fp_ieee_underflow 0
		.amdhsa_exception_fp_ieee_inexact 0
		.amdhsa_exception_int_div_zero 0
	.end_amdhsa_kernel
	.section	.text._ZN7rocprim17ROCPRIM_400000_NS6detail17trampoline_kernelINS0_14default_configENS1_29reduce_by_key_config_selectorIjxN6thrust23THRUST_200600_302600_NS4plusIxEEEEZZNS1_33reduce_by_key_impl_wrapped_configILNS1_25lookback_scan_determinismE0ES3_S9_NS6_6detail15normal_iteratorINS6_10device_ptrIjEEEENSD_INSE_IxEEEENS6_16discard_iteratorINS6_11use_defaultEEESI_PmS8_NS6_8equal_toIjEEEE10hipError_tPvRmT2_T3_mT4_T5_T6_T7_T8_P12ihipStream_tbENKUlT_T0_E_clISt17integral_constantIbLb1EES16_EEDaS11_S12_EUlS11_E_NS1_11comp_targetILNS1_3genE10ELNS1_11target_archE1201ELNS1_3gpuE5ELNS1_3repE0EEENS1_30default_config_static_selectorELNS0_4arch9wavefront6targetE0EEEvT1_,"axG",@progbits,_ZN7rocprim17ROCPRIM_400000_NS6detail17trampoline_kernelINS0_14default_configENS1_29reduce_by_key_config_selectorIjxN6thrust23THRUST_200600_302600_NS4plusIxEEEEZZNS1_33reduce_by_key_impl_wrapped_configILNS1_25lookback_scan_determinismE0ES3_S9_NS6_6detail15normal_iteratorINS6_10device_ptrIjEEEENSD_INSE_IxEEEENS6_16discard_iteratorINS6_11use_defaultEEESI_PmS8_NS6_8equal_toIjEEEE10hipError_tPvRmT2_T3_mT4_T5_T6_T7_T8_P12ihipStream_tbENKUlT_T0_E_clISt17integral_constantIbLb1EES16_EEDaS11_S12_EUlS11_E_NS1_11comp_targetILNS1_3genE10ELNS1_11target_archE1201ELNS1_3gpuE5ELNS1_3repE0EEENS1_30default_config_static_selectorELNS0_4arch9wavefront6targetE0EEEvT1_,comdat
.Lfunc_end999:
	.size	_ZN7rocprim17ROCPRIM_400000_NS6detail17trampoline_kernelINS0_14default_configENS1_29reduce_by_key_config_selectorIjxN6thrust23THRUST_200600_302600_NS4plusIxEEEEZZNS1_33reduce_by_key_impl_wrapped_configILNS1_25lookback_scan_determinismE0ES3_S9_NS6_6detail15normal_iteratorINS6_10device_ptrIjEEEENSD_INSE_IxEEEENS6_16discard_iteratorINS6_11use_defaultEEESI_PmS8_NS6_8equal_toIjEEEE10hipError_tPvRmT2_T3_mT4_T5_T6_T7_T8_P12ihipStream_tbENKUlT_T0_E_clISt17integral_constantIbLb1EES16_EEDaS11_S12_EUlS11_E_NS1_11comp_targetILNS1_3genE10ELNS1_11target_archE1201ELNS1_3gpuE5ELNS1_3repE0EEENS1_30default_config_static_selectorELNS0_4arch9wavefront6targetE0EEEvT1_, .Lfunc_end999-_ZN7rocprim17ROCPRIM_400000_NS6detail17trampoline_kernelINS0_14default_configENS1_29reduce_by_key_config_selectorIjxN6thrust23THRUST_200600_302600_NS4plusIxEEEEZZNS1_33reduce_by_key_impl_wrapped_configILNS1_25lookback_scan_determinismE0ES3_S9_NS6_6detail15normal_iteratorINS6_10device_ptrIjEEEENSD_INSE_IxEEEENS6_16discard_iteratorINS6_11use_defaultEEESI_PmS8_NS6_8equal_toIjEEEE10hipError_tPvRmT2_T3_mT4_T5_T6_T7_T8_P12ihipStream_tbENKUlT_T0_E_clISt17integral_constantIbLb1EES16_EEDaS11_S12_EUlS11_E_NS1_11comp_targetILNS1_3genE10ELNS1_11target_archE1201ELNS1_3gpuE5ELNS1_3repE0EEENS1_30default_config_static_selectorELNS0_4arch9wavefront6targetE0EEEvT1_
                                        ; -- End function
	.section	.AMDGPU.csdata,"",@progbits
; Kernel info:
; codeLenInByte = 0
; NumSgprs: 0
; NumVgprs: 0
; ScratchSize: 0
; MemoryBound: 0
; FloatMode: 240
; IeeeMode: 1
; LDSByteSize: 0 bytes/workgroup (compile time only)
; SGPRBlocks: 0
; VGPRBlocks: 0
; NumSGPRsForWavesPerEU: 1
; NumVGPRsForWavesPerEU: 1
; Occupancy: 16
; WaveLimiterHint : 0
; COMPUTE_PGM_RSRC2:SCRATCH_EN: 0
; COMPUTE_PGM_RSRC2:USER_SGPR: 15
; COMPUTE_PGM_RSRC2:TRAP_HANDLER: 0
; COMPUTE_PGM_RSRC2:TGID_X_EN: 1
; COMPUTE_PGM_RSRC2:TGID_Y_EN: 0
; COMPUTE_PGM_RSRC2:TGID_Z_EN: 0
; COMPUTE_PGM_RSRC2:TIDIG_COMP_CNT: 0
	.section	.text._ZN7rocprim17ROCPRIM_400000_NS6detail17trampoline_kernelINS0_14default_configENS1_29reduce_by_key_config_selectorIjxN6thrust23THRUST_200600_302600_NS4plusIxEEEEZZNS1_33reduce_by_key_impl_wrapped_configILNS1_25lookback_scan_determinismE0ES3_S9_NS6_6detail15normal_iteratorINS6_10device_ptrIjEEEENSD_INSE_IxEEEENS6_16discard_iteratorINS6_11use_defaultEEESI_PmS8_NS6_8equal_toIjEEEE10hipError_tPvRmT2_T3_mT4_T5_T6_T7_T8_P12ihipStream_tbENKUlT_T0_E_clISt17integral_constantIbLb1EES16_EEDaS11_S12_EUlS11_E_NS1_11comp_targetILNS1_3genE10ELNS1_11target_archE1200ELNS1_3gpuE4ELNS1_3repE0EEENS1_30default_config_static_selectorELNS0_4arch9wavefront6targetE0EEEvT1_,"axG",@progbits,_ZN7rocprim17ROCPRIM_400000_NS6detail17trampoline_kernelINS0_14default_configENS1_29reduce_by_key_config_selectorIjxN6thrust23THRUST_200600_302600_NS4plusIxEEEEZZNS1_33reduce_by_key_impl_wrapped_configILNS1_25lookback_scan_determinismE0ES3_S9_NS6_6detail15normal_iteratorINS6_10device_ptrIjEEEENSD_INSE_IxEEEENS6_16discard_iteratorINS6_11use_defaultEEESI_PmS8_NS6_8equal_toIjEEEE10hipError_tPvRmT2_T3_mT4_T5_T6_T7_T8_P12ihipStream_tbENKUlT_T0_E_clISt17integral_constantIbLb1EES16_EEDaS11_S12_EUlS11_E_NS1_11comp_targetILNS1_3genE10ELNS1_11target_archE1200ELNS1_3gpuE4ELNS1_3repE0EEENS1_30default_config_static_selectorELNS0_4arch9wavefront6targetE0EEEvT1_,comdat
	.protected	_ZN7rocprim17ROCPRIM_400000_NS6detail17trampoline_kernelINS0_14default_configENS1_29reduce_by_key_config_selectorIjxN6thrust23THRUST_200600_302600_NS4plusIxEEEEZZNS1_33reduce_by_key_impl_wrapped_configILNS1_25lookback_scan_determinismE0ES3_S9_NS6_6detail15normal_iteratorINS6_10device_ptrIjEEEENSD_INSE_IxEEEENS6_16discard_iteratorINS6_11use_defaultEEESI_PmS8_NS6_8equal_toIjEEEE10hipError_tPvRmT2_T3_mT4_T5_T6_T7_T8_P12ihipStream_tbENKUlT_T0_E_clISt17integral_constantIbLb1EES16_EEDaS11_S12_EUlS11_E_NS1_11comp_targetILNS1_3genE10ELNS1_11target_archE1200ELNS1_3gpuE4ELNS1_3repE0EEENS1_30default_config_static_selectorELNS0_4arch9wavefront6targetE0EEEvT1_ ; -- Begin function _ZN7rocprim17ROCPRIM_400000_NS6detail17trampoline_kernelINS0_14default_configENS1_29reduce_by_key_config_selectorIjxN6thrust23THRUST_200600_302600_NS4plusIxEEEEZZNS1_33reduce_by_key_impl_wrapped_configILNS1_25lookback_scan_determinismE0ES3_S9_NS6_6detail15normal_iteratorINS6_10device_ptrIjEEEENSD_INSE_IxEEEENS6_16discard_iteratorINS6_11use_defaultEEESI_PmS8_NS6_8equal_toIjEEEE10hipError_tPvRmT2_T3_mT4_T5_T6_T7_T8_P12ihipStream_tbENKUlT_T0_E_clISt17integral_constantIbLb1EES16_EEDaS11_S12_EUlS11_E_NS1_11comp_targetILNS1_3genE10ELNS1_11target_archE1200ELNS1_3gpuE4ELNS1_3repE0EEENS1_30default_config_static_selectorELNS0_4arch9wavefront6targetE0EEEvT1_
	.globl	_ZN7rocprim17ROCPRIM_400000_NS6detail17trampoline_kernelINS0_14default_configENS1_29reduce_by_key_config_selectorIjxN6thrust23THRUST_200600_302600_NS4plusIxEEEEZZNS1_33reduce_by_key_impl_wrapped_configILNS1_25lookback_scan_determinismE0ES3_S9_NS6_6detail15normal_iteratorINS6_10device_ptrIjEEEENSD_INSE_IxEEEENS6_16discard_iteratorINS6_11use_defaultEEESI_PmS8_NS6_8equal_toIjEEEE10hipError_tPvRmT2_T3_mT4_T5_T6_T7_T8_P12ihipStream_tbENKUlT_T0_E_clISt17integral_constantIbLb1EES16_EEDaS11_S12_EUlS11_E_NS1_11comp_targetILNS1_3genE10ELNS1_11target_archE1200ELNS1_3gpuE4ELNS1_3repE0EEENS1_30default_config_static_selectorELNS0_4arch9wavefront6targetE0EEEvT1_
	.p2align	8
	.type	_ZN7rocprim17ROCPRIM_400000_NS6detail17trampoline_kernelINS0_14default_configENS1_29reduce_by_key_config_selectorIjxN6thrust23THRUST_200600_302600_NS4plusIxEEEEZZNS1_33reduce_by_key_impl_wrapped_configILNS1_25lookback_scan_determinismE0ES3_S9_NS6_6detail15normal_iteratorINS6_10device_ptrIjEEEENSD_INSE_IxEEEENS6_16discard_iteratorINS6_11use_defaultEEESI_PmS8_NS6_8equal_toIjEEEE10hipError_tPvRmT2_T3_mT4_T5_T6_T7_T8_P12ihipStream_tbENKUlT_T0_E_clISt17integral_constantIbLb1EES16_EEDaS11_S12_EUlS11_E_NS1_11comp_targetILNS1_3genE10ELNS1_11target_archE1200ELNS1_3gpuE4ELNS1_3repE0EEENS1_30default_config_static_selectorELNS0_4arch9wavefront6targetE0EEEvT1_,@function
_ZN7rocprim17ROCPRIM_400000_NS6detail17trampoline_kernelINS0_14default_configENS1_29reduce_by_key_config_selectorIjxN6thrust23THRUST_200600_302600_NS4plusIxEEEEZZNS1_33reduce_by_key_impl_wrapped_configILNS1_25lookback_scan_determinismE0ES3_S9_NS6_6detail15normal_iteratorINS6_10device_ptrIjEEEENSD_INSE_IxEEEENS6_16discard_iteratorINS6_11use_defaultEEESI_PmS8_NS6_8equal_toIjEEEE10hipError_tPvRmT2_T3_mT4_T5_T6_T7_T8_P12ihipStream_tbENKUlT_T0_E_clISt17integral_constantIbLb1EES16_EEDaS11_S12_EUlS11_E_NS1_11comp_targetILNS1_3genE10ELNS1_11target_archE1200ELNS1_3gpuE4ELNS1_3repE0EEENS1_30default_config_static_selectorELNS0_4arch9wavefront6targetE0EEEvT1_: ; @_ZN7rocprim17ROCPRIM_400000_NS6detail17trampoline_kernelINS0_14default_configENS1_29reduce_by_key_config_selectorIjxN6thrust23THRUST_200600_302600_NS4plusIxEEEEZZNS1_33reduce_by_key_impl_wrapped_configILNS1_25lookback_scan_determinismE0ES3_S9_NS6_6detail15normal_iteratorINS6_10device_ptrIjEEEENSD_INSE_IxEEEENS6_16discard_iteratorINS6_11use_defaultEEESI_PmS8_NS6_8equal_toIjEEEE10hipError_tPvRmT2_T3_mT4_T5_T6_T7_T8_P12ihipStream_tbENKUlT_T0_E_clISt17integral_constantIbLb1EES16_EEDaS11_S12_EUlS11_E_NS1_11comp_targetILNS1_3genE10ELNS1_11target_archE1200ELNS1_3gpuE4ELNS1_3repE0EEENS1_30default_config_static_selectorELNS0_4arch9wavefront6targetE0EEEvT1_
; %bb.0:
	.section	.rodata,"a",@progbits
	.p2align	6, 0x0
	.amdhsa_kernel _ZN7rocprim17ROCPRIM_400000_NS6detail17trampoline_kernelINS0_14default_configENS1_29reduce_by_key_config_selectorIjxN6thrust23THRUST_200600_302600_NS4plusIxEEEEZZNS1_33reduce_by_key_impl_wrapped_configILNS1_25lookback_scan_determinismE0ES3_S9_NS6_6detail15normal_iteratorINS6_10device_ptrIjEEEENSD_INSE_IxEEEENS6_16discard_iteratorINS6_11use_defaultEEESI_PmS8_NS6_8equal_toIjEEEE10hipError_tPvRmT2_T3_mT4_T5_T6_T7_T8_P12ihipStream_tbENKUlT_T0_E_clISt17integral_constantIbLb1EES16_EEDaS11_S12_EUlS11_E_NS1_11comp_targetILNS1_3genE10ELNS1_11target_archE1200ELNS1_3gpuE4ELNS1_3repE0EEENS1_30default_config_static_selectorELNS0_4arch9wavefront6targetE0EEEvT1_
		.amdhsa_group_segment_fixed_size 0
		.amdhsa_private_segment_fixed_size 0
		.amdhsa_kernarg_size 144
		.amdhsa_user_sgpr_count 15
		.amdhsa_user_sgpr_dispatch_ptr 0
		.amdhsa_user_sgpr_queue_ptr 0
		.amdhsa_user_sgpr_kernarg_segment_ptr 1
		.amdhsa_user_sgpr_dispatch_id 0
		.amdhsa_user_sgpr_private_segment_size 0
		.amdhsa_wavefront_size32 1
		.amdhsa_uses_dynamic_stack 0
		.amdhsa_enable_private_segment 0
		.amdhsa_system_sgpr_workgroup_id_x 1
		.amdhsa_system_sgpr_workgroup_id_y 0
		.amdhsa_system_sgpr_workgroup_id_z 0
		.amdhsa_system_sgpr_workgroup_info 0
		.amdhsa_system_vgpr_workitem_id 0
		.amdhsa_next_free_vgpr 1
		.amdhsa_next_free_sgpr 1
		.amdhsa_reserve_vcc 0
		.amdhsa_float_round_mode_32 0
		.amdhsa_float_round_mode_16_64 0
		.amdhsa_float_denorm_mode_32 3
		.amdhsa_float_denorm_mode_16_64 3
		.amdhsa_dx10_clamp 1
		.amdhsa_ieee_mode 1
		.amdhsa_fp16_overflow 0
		.amdhsa_workgroup_processor_mode 1
		.amdhsa_memory_ordered 1
		.amdhsa_forward_progress 0
		.amdhsa_shared_vgpr_count 0
		.amdhsa_exception_fp_ieee_invalid_op 0
		.amdhsa_exception_fp_denorm_src 0
		.amdhsa_exception_fp_ieee_div_zero 0
		.amdhsa_exception_fp_ieee_overflow 0
		.amdhsa_exception_fp_ieee_underflow 0
		.amdhsa_exception_fp_ieee_inexact 0
		.amdhsa_exception_int_div_zero 0
	.end_amdhsa_kernel
	.section	.text._ZN7rocprim17ROCPRIM_400000_NS6detail17trampoline_kernelINS0_14default_configENS1_29reduce_by_key_config_selectorIjxN6thrust23THRUST_200600_302600_NS4plusIxEEEEZZNS1_33reduce_by_key_impl_wrapped_configILNS1_25lookback_scan_determinismE0ES3_S9_NS6_6detail15normal_iteratorINS6_10device_ptrIjEEEENSD_INSE_IxEEEENS6_16discard_iteratorINS6_11use_defaultEEESI_PmS8_NS6_8equal_toIjEEEE10hipError_tPvRmT2_T3_mT4_T5_T6_T7_T8_P12ihipStream_tbENKUlT_T0_E_clISt17integral_constantIbLb1EES16_EEDaS11_S12_EUlS11_E_NS1_11comp_targetILNS1_3genE10ELNS1_11target_archE1200ELNS1_3gpuE4ELNS1_3repE0EEENS1_30default_config_static_selectorELNS0_4arch9wavefront6targetE0EEEvT1_,"axG",@progbits,_ZN7rocprim17ROCPRIM_400000_NS6detail17trampoline_kernelINS0_14default_configENS1_29reduce_by_key_config_selectorIjxN6thrust23THRUST_200600_302600_NS4plusIxEEEEZZNS1_33reduce_by_key_impl_wrapped_configILNS1_25lookback_scan_determinismE0ES3_S9_NS6_6detail15normal_iteratorINS6_10device_ptrIjEEEENSD_INSE_IxEEEENS6_16discard_iteratorINS6_11use_defaultEEESI_PmS8_NS6_8equal_toIjEEEE10hipError_tPvRmT2_T3_mT4_T5_T6_T7_T8_P12ihipStream_tbENKUlT_T0_E_clISt17integral_constantIbLb1EES16_EEDaS11_S12_EUlS11_E_NS1_11comp_targetILNS1_3genE10ELNS1_11target_archE1200ELNS1_3gpuE4ELNS1_3repE0EEENS1_30default_config_static_selectorELNS0_4arch9wavefront6targetE0EEEvT1_,comdat
.Lfunc_end1000:
	.size	_ZN7rocprim17ROCPRIM_400000_NS6detail17trampoline_kernelINS0_14default_configENS1_29reduce_by_key_config_selectorIjxN6thrust23THRUST_200600_302600_NS4plusIxEEEEZZNS1_33reduce_by_key_impl_wrapped_configILNS1_25lookback_scan_determinismE0ES3_S9_NS6_6detail15normal_iteratorINS6_10device_ptrIjEEEENSD_INSE_IxEEEENS6_16discard_iteratorINS6_11use_defaultEEESI_PmS8_NS6_8equal_toIjEEEE10hipError_tPvRmT2_T3_mT4_T5_T6_T7_T8_P12ihipStream_tbENKUlT_T0_E_clISt17integral_constantIbLb1EES16_EEDaS11_S12_EUlS11_E_NS1_11comp_targetILNS1_3genE10ELNS1_11target_archE1200ELNS1_3gpuE4ELNS1_3repE0EEENS1_30default_config_static_selectorELNS0_4arch9wavefront6targetE0EEEvT1_, .Lfunc_end1000-_ZN7rocprim17ROCPRIM_400000_NS6detail17trampoline_kernelINS0_14default_configENS1_29reduce_by_key_config_selectorIjxN6thrust23THRUST_200600_302600_NS4plusIxEEEEZZNS1_33reduce_by_key_impl_wrapped_configILNS1_25lookback_scan_determinismE0ES3_S9_NS6_6detail15normal_iteratorINS6_10device_ptrIjEEEENSD_INSE_IxEEEENS6_16discard_iteratorINS6_11use_defaultEEESI_PmS8_NS6_8equal_toIjEEEE10hipError_tPvRmT2_T3_mT4_T5_T6_T7_T8_P12ihipStream_tbENKUlT_T0_E_clISt17integral_constantIbLb1EES16_EEDaS11_S12_EUlS11_E_NS1_11comp_targetILNS1_3genE10ELNS1_11target_archE1200ELNS1_3gpuE4ELNS1_3repE0EEENS1_30default_config_static_selectorELNS0_4arch9wavefront6targetE0EEEvT1_
                                        ; -- End function
	.section	.AMDGPU.csdata,"",@progbits
; Kernel info:
; codeLenInByte = 0
; NumSgprs: 0
; NumVgprs: 0
; ScratchSize: 0
; MemoryBound: 0
; FloatMode: 240
; IeeeMode: 1
; LDSByteSize: 0 bytes/workgroup (compile time only)
; SGPRBlocks: 0
; VGPRBlocks: 0
; NumSGPRsForWavesPerEU: 1
; NumVGPRsForWavesPerEU: 1
; Occupancy: 16
; WaveLimiterHint : 0
; COMPUTE_PGM_RSRC2:SCRATCH_EN: 0
; COMPUTE_PGM_RSRC2:USER_SGPR: 15
; COMPUTE_PGM_RSRC2:TRAP_HANDLER: 0
; COMPUTE_PGM_RSRC2:TGID_X_EN: 1
; COMPUTE_PGM_RSRC2:TGID_Y_EN: 0
; COMPUTE_PGM_RSRC2:TGID_Z_EN: 0
; COMPUTE_PGM_RSRC2:TIDIG_COMP_CNT: 0
	.section	.text._ZN7rocprim17ROCPRIM_400000_NS6detail17trampoline_kernelINS0_14default_configENS1_29reduce_by_key_config_selectorIjxN6thrust23THRUST_200600_302600_NS4plusIxEEEEZZNS1_33reduce_by_key_impl_wrapped_configILNS1_25lookback_scan_determinismE0ES3_S9_NS6_6detail15normal_iteratorINS6_10device_ptrIjEEEENSD_INSE_IxEEEENS6_16discard_iteratorINS6_11use_defaultEEESI_PmS8_NS6_8equal_toIjEEEE10hipError_tPvRmT2_T3_mT4_T5_T6_T7_T8_P12ihipStream_tbENKUlT_T0_E_clISt17integral_constantIbLb1EES16_EEDaS11_S12_EUlS11_E_NS1_11comp_targetILNS1_3genE9ELNS1_11target_archE1100ELNS1_3gpuE3ELNS1_3repE0EEENS1_30default_config_static_selectorELNS0_4arch9wavefront6targetE0EEEvT1_,"axG",@progbits,_ZN7rocprim17ROCPRIM_400000_NS6detail17trampoline_kernelINS0_14default_configENS1_29reduce_by_key_config_selectorIjxN6thrust23THRUST_200600_302600_NS4plusIxEEEEZZNS1_33reduce_by_key_impl_wrapped_configILNS1_25lookback_scan_determinismE0ES3_S9_NS6_6detail15normal_iteratorINS6_10device_ptrIjEEEENSD_INSE_IxEEEENS6_16discard_iteratorINS6_11use_defaultEEESI_PmS8_NS6_8equal_toIjEEEE10hipError_tPvRmT2_T3_mT4_T5_T6_T7_T8_P12ihipStream_tbENKUlT_T0_E_clISt17integral_constantIbLb1EES16_EEDaS11_S12_EUlS11_E_NS1_11comp_targetILNS1_3genE9ELNS1_11target_archE1100ELNS1_3gpuE3ELNS1_3repE0EEENS1_30default_config_static_selectorELNS0_4arch9wavefront6targetE0EEEvT1_,comdat
	.protected	_ZN7rocprim17ROCPRIM_400000_NS6detail17trampoline_kernelINS0_14default_configENS1_29reduce_by_key_config_selectorIjxN6thrust23THRUST_200600_302600_NS4plusIxEEEEZZNS1_33reduce_by_key_impl_wrapped_configILNS1_25lookback_scan_determinismE0ES3_S9_NS6_6detail15normal_iteratorINS6_10device_ptrIjEEEENSD_INSE_IxEEEENS6_16discard_iteratorINS6_11use_defaultEEESI_PmS8_NS6_8equal_toIjEEEE10hipError_tPvRmT2_T3_mT4_T5_T6_T7_T8_P12ihipStream_tbENKUlT_T0_E_clISt17integral_constantIbLb1EES16_EEDaS11_S12_EUlS11_E_NS1_11comp_targetILNS1_3genE9ELNS1_11target_archE1100ELNS1_3gpuE3ELNS1_3repE0EEENS1_30default_config_static_selectorELNS0_4arch9wavefront6targetE0EEEvT1_ ; -- Begin function _ZN7rocprim17ROCPRIM_400000_NS6detail17trampoline_kernelINS0_14default_configENS1_29reduce_by_key_config_selectorIjxN6thrust23THRUST_200600_302600_NS4plusIxEEEEZZNS1_33reduce_by_key_impl_wrapped_configILNS1_25lookback_scan_determinismE0ES3_S9_NS6_6detail15normal_iteratorINS6_10device_ptrIjEEEENSD_INSE_IxEEEENS6_16discard_iteratorINS6_11use_defaultEEESI_PmS8_NS6_8equal_toIjEEEE10hipError_tPvRmT2_T3_mT4_T5_T6_T7_T8_P12ihipStream_tbENKUlT_T0_E_clISt17integral_constantIbLb1EES16_EEDaS11_S12_EUlS11_E_NS1_11comp_targetILNS1_3genE9ELNS1_11target_archE1100ELNS1_3gpuE3ELNS1_3repE0EEENS1_30default_config_static_selectorELNS0_4arch9wavefront6targetE0EEEvT1_
	.globl	_ZN7rocprim17ROCPRIM_400000_NS6detail17trampoline_kernelINS0_14default_configENS1_29reduce_by_key_config_selectorIjxN6thrust23THRUST_200600_302600_NS4plusIxEEEEZZNS1_33reduce_by_key_impl_wrapped_configILNS1_25lookback_scan_determinismE0ES3_S9_NS6_6detail15normal_iteratorINS6_10device_ptrIjEEEENSD_INSE_IxEEEENS6_16discard_iteratorINS6_11use_defaultEEESI_PmS8_NS6_8equal_toIjEEEE10hipError_tPvRmT2_T3_mT4_T5_T6_T7_T8_P12ihipStream_tbENKUlT_T0_E_clISt17integral_constantIbLb1EES16_EEDaS11_S12_EUlS11_E_NS1_11comp_targetILNS1_3genE9ELNS1_11target_archE1100ELNS1_3gpuE3ELNS1_3repE0EEENS1_30default_config_static_selectorELNS0_4arch9wavefront6targetE0EEEvT1_
	.p2align	8
	.type	_ZN7rocprim17ROCPRIM_400000_NS6detail17trampoline_kernelINS0_14default_configENS1_29reduce_by_key_config_selectorIjxN6thrust23THRUST_200600_302600_NS4plusIxEEEEZZNS1_33reduce_by_key_impl_wrapped_configILNS1_25lookback_scan_determinismE0ES3_S9_NS6_6detail15normal_iteratorINS6_10device_ptrIjEEEENSD_INSE_IxEEEENS6_16discard_iteratorINS6_11use_defaultEEESI_PmS8_NS6_8equal_toIjEEEE10hipError_tPvRmT2_T3_mT4_T5_T6_T7_T8_P12ihipStream_tbENKUlT_T0_E_clISt17integral_constantIbLb1EES16_EEDaS11_S12_EUlS11_E_NS1_11comp_targetILNS1_3genE9ELNS1_11target_archE1100ELNS1_3gpuE3ELNS1_3repE0EEENS1_30default_config_static_selectorELNS0_4arch9wavefront6targetE0EEEvT1_,@function
_ZN7rocprim17ROCPRIM_400000_NS6detail17trampoline_kernelINS0_14default_configENS1_29reduce_by_key_config_selectorIjxN6thrust23THRUST_200600_302600_NS4plusIxEEEEZZNS1_33reduce_by_key_impl_wrapped_configILNS1_25lookback_scan_determinismE0ES3_S9_NS6_6detail15normal_iteratorINS6_10device_ptrIjEEEENSD_INSE_IxEEEENS6_16discard_iteratorINS6_11use_defaultEEESI_PmS8_NS6_8equal_toIjEEEE10hipError_tPvRmT2_T3_mT4_T5_T6_T7_T8_P12ihipStream_tbENKUlT_T0_E_clISt17integral_constantIbLb1EES16_EEDaS11_S12_EUlS11_E_NS1_11comp_targetILNS1_3genE9ELNS1_11target_archE1100ELNS1_3gpuE3ELNS1_3repE0EEENS1_30default_config_static_selectorELNS0_4arch9wavefront6targetE0EEEvT1_: ; @_ZN7rocprim17ROCPRIM_400000_NS6detail17trampoline_kernelINS0_14default_configENS1_29reduce_by_key_config_selectorIjxN6thrust23THRUST_200600_302600_NS4plusIxEEEEZZNS1_33reduce_by_key_impl_wrapped_configILNS1_25lookback_scan_determinismE0ES3_S9_NS6_6detail15normal_iteratorINS6_10device_ptrIjEEEENSD_INSE_IxEEEENS6_16discard_iteratorINS6_11use_defaultEEESI_PmS8_NS6_8equal_toIjEEEE10hipError_tPvRmT2_T3_mT4_T5_T6_T7_T8_P12ihipStream_tbENKUlT_T0_E_clISt17integral_constantIbLb1EES16_EEDaS11_S12_EUlS11_E_NS1_11comp_targetILNS1_3genE9ELNS1_11target_archE1100ELNS1_3gpuE3ELNS1_3repE0EEENS1_30default_config_static_selectorELNS0_4arch9wavefront6targetE0EEEvT1_
; %bb.0:
	s_clause 0x2
	s_load_b128 s[4:7], s[0:1], 0x0
	s_load_b64 s[8:9], s[0:1], 0x10
	s_load_b64 s[28:29], s[0:1], 0x80
	v_cmp_ne_u32_e64 s3, 0, v0
	v_cmp_eq_u32_e64 s2, 0, v0
	s_delay_alu instid0(VALU_DEP_1)
	s_and_saveexec_b32 s10, s2
	s_cbranch_execz .LBB1001_4
; %bb.1:
	s_mov_b32 s12, exec_lo
	s_mov_b32 s11, exec_lo
	v_mbcnt_lo_u32_b32 v1, s12, 0
                                        ; implicit-def: $vgpr2
	s_delay_alu instid0(VALU_DEP_1)
	v_cmpx_eq_u32_e32 0, v1
	s_cbranch_execz .LBB1001_3
; %bb.2:
	s_load_b64 s[14:15], s[0:1], 0x88
	s_bcnt1_i32_b32 s12, s12
	s_delay_alu instid0(SALU_CYCLE_1)
	v_dual_mov_b32 v2, 0 :: v_dual_mov_b32 v3, s12
	s_waitcnt lgkmcnt(0)
	global_atomic_add_u32 v2, v2, v3, s[14:15] glc
.LBB1001_3:
	s_or_b32 exec_lo, exec_lo, s11
	s_waitcnt vmcnt(0)
	v_readfirstlane_b32 s11, v2
	s_delay_alu instid0(VALU_DEP_1)
	v_dual_mov_b32 v2, 0 :: v_dual_add_nc_u32 v1, s11, v1
	ds_store_b32 v2, v1
.LBB1001_4:
	s_or_b32 exec_lo, exec_lo, s10
	v_mov_b32_e32 v2, 0
	s_clause 0x1
	s_load_b128 s[24:27], s[0:1], 0x28
	s_load_b512 s[36:51], s[0:1], 0x40
	s_waitcnt lgkmcnt(0)
	s_barrier
	buffer_gl0_inv
	ds_load_b32 v1, v2
	s_lshl_b64 s[0:1], s[6:7], 2
	s_waitcnt lgkmcnt(0)
	s_add_u32 s14, s4, s0
	s_addc_u32 s1, s5, s1
	s_lshl_b64 s[4:5], s[6:7], 3
	s_mov_b32 s0, 0
	s_add_u32 s6, s8, s4
	s_addc_u32 s7, s9, s5
	s_barrier
	buffer_gl0_inv
	s_mul_i32 s10, s44, s43
	s_mul_hi_u32 s11, s44, s42
	s_mul_i32 s13, s44, s42
	s_mul_i32 s12, s45, s42
	v_readfirstlane_b32 s44, v1
	v_mul_lo_u32 v1, 0xf00, v1
	s_add_i32 s4, s11, s10
	s_delay_alu instid0(SALU_CYCLE_1) | instskip(NEXT) | instid1(VALU_DEP_2)
	s_add_i32 s4, s4, s12
	s_add_u32 s18, s13, s44
	s_addc_u32 s19, s4, 0
	s_add_u32 s4, s46, -1
	s_addc_u32 s5, s47, -1
	s_delay_alu instid0(VALU_DEP_1)
	v_lshlrev_b64 v[3:4], 2, v[1:2]
	v_lshlrev_b64 v[1:2], 3, v[1:2]
	s_cmp_eq_u64 s[18:19], s[4:5]
	s_mul_i32 s34, s4, 0xfffff100
	s_cselect_b32 s33, -1, 0
	s_cmp_lg_u64 s[18:19], s[4:5]
	v_add_co_u32 v46, vcc_lo, s14, v3
	v_add_co_ci_u32_e32 v45, vcc_lo, s1, v4, vcc_lo
	v_add_co_u32 v47, vcc_lo, s6, v1
	v_add_co_ci_u32_e32 v48, vcc_lo, s7, v2, vcc_lo
	s_cselect_b32 s17, -1, 0
	s_and_b32 vcc_lo, exec_lo, s33
	s_cbranch_vccnz .LBB1001_6
; %bb.5:
	v_lshlrev_b32_e32 v5, 2, v0
	v_mul_u32_u24_e32 v51, 15, v0
	v_mad_u32_u24 v62, v0, 15, 1
	v_mad_u32_u24 v57, v0, 15, 2
	;; [unrolled: 1-line block ×3, first 2 shown]
	v_add_co_u32 v1, vcc_lo, v46, v5
	v_add_co_ci_u32_e32 v2, vcc_lo, 0, v45, vcc_lo
	v_mad_u32_u24 v49, v0, 56, v5
	s_delay_alu instid0(VALU_DEP_3) | instskip(NEXT) | instid1(VALU_DEP_3)
	v_add_co_u32 v3, vcc_lo, 0x1000, v1
	v_add_co_ci_u32_e32 v4, vcc_lo, 0, v2, vcc_lo
	s_clause 0x7
	flat_load_b32 v6, v[1:2]
	flat_load_b32 v7, v[1:2] offset:1024
	flat_load_b32 v8, v[1:2] offset:2048
	;; [unrolled: 1-line block ×3, first 2 shown]
	flat_load_b32 v10, v[3:4]
	flat_load_b32 v11, v[3:4] offset:1024
	flat_load_b32 v12, v[3:4] offset:2048
	;; [unrolled: 1-line block ×3, first 2 shown]
	v_add_co_u32 v3, vcc_lo, 0x2000, v1
	v_add_co_ci_u32_e32 v4, vcc_lo, 0, v2, vcc_lo
	v_add_co_u32 v1, vcc_lo, 0x3000, v1
	v_add_co_ci_u32_e32 v2, vcc_lo, 0, v2, vcc_lo
	s_clause 0x6
	flat_load_b32 v14, v[3:4]
	flat_load_b32 v31, v[3:4] offset:1024
	flat_load_b32 v32, v[3:4] offset:2048
	;; [unrolled: 1-line block ×3, first 2 shown]
	flat_load_b32 v4, v[1:2]
	flat_load_b32 v33, v[1:2] offset:1024
	flat_load_b32 v1, v[1:2] offset:2048
	v_lshlrev_b32_e32 v2, 3, v0
	v_mad_u32_u24 v56, v0, 15, 4
	v_mad_u32_u24 v60, v0, 15, 5
	;; [unrolled: 1-line block ×4, first 2 shown]
	v_add_co_u32 v15, vcc_lo, v47, v2
	v_add_co_ci_u32_e32 v16, vcc_lo, 0, v48, vcc_lo
	v_mad_u32_u24 v52, v0, 15, 8
	s_delay_alu instid0(VALU_DEP_3) | instskip(NEXT) | instid1(VALU_DEP_3)
	v_add_co_u32 v17, vcc_lo, 0x1000, v15
	v_add_co_ci_u32_e32 v18, vcc_lo, 0, v16, vcc_lo
	v_add_co_u32 v19, vcc_lo, 0x2000, v15
	v_add_co_ci_u32_e32 v20, vcc_lo, 0, v16, vcc_lo
	;; [unrolled: 2-line block ×7, first 2 shown]
	v_mad_u32_u24 v53, v0, 15, 9
	v_mad_u32_u24 v50, v0, 15, 10
	v_mad_i32_i24 v64, 0xffffffcc, v0, v49
	v_mad_u32_u24 v63, v0, 15, 11
	v_mad_u32_u24 v58, v0, 15, 12
	;; [unrolled: 1-line block ×3, first 2 shown]
	s_waitcnt vmcnt(13) lgkmcnt(13)
	ds_store_2addr_stride64_b32 v5, v6, v7 offset1:4
	s_waitcnt vmcnt(11) lgkmcnt(12)
	ds_store_2addr_stride64_b32 v5, v8, v9 offset0:8 offset1:12
	s_waitcnt vmcnt(9) lgkmcnt(11)
	ds_store_2addr_stride64_b32 v5, v10, v11 offset0:16 offset1:20
	s_waitcnt vmcnt(7) lgkmcnt(10)
	ds_store_2addr_stride64_b32 v5, v12, v13 offset0:24 offset1:28
	s_waitcnt vmcnt(5) lgkmcnt(9)
	ds_store_2addr_stride64_b32 v5, v14, v31 offset0:32 offset1:36
	s_waitcnt vmcnt(3) lgkmcnt(8)
	ds_store_2addr_stride64_b32 v5, v32, v3 offset0:40 offset1:44
	s_waitcnt vmcnt(1) lgkmcnt(7)
	ds_store_2addr_stride64_b32 v5, v4, v33 offset0:48 offset1:52
	s_waitcnt vmcnt(0) lgkmcnt(7)
	ds_store_b32 v5, v1 offset:14336
	s_waitcnt lgkmcnt(0)
	s_barrier
	buffer_gl0_inv
	ds_load_2addr_b32 v[13:14], v49 offset1:1
	ds_load_2addr_b32 v[11:12], v49 offset0:2 offset1:3
	ds_load_2addr_b32 v[9:10], v49 offset0:4 offset1:5
	;; [unrolled: 1-line block ×6, first 2 shown]
	ds_load_b32 v81, v49 offset:56
	s_waitcnt lgkmcnt(0)
	s_barrier
	buffer_gl0_inv
	s_clause 0xe
	flat_load_b64 v[31:32], v[15:16]
	flat_load_b64 v[15:16], v[15:16] offset:2048
	flat_load_b64 v[33:34], v[17:18]
	flat_load_b64 v[17:18], v[17:18] offset:2048
	;; [unrolled: 2-line block ×7, first 2 shown]
	flat_load_b64 v[29:30], v[29:30]
	v_mad_u32_u24 v49, v0, 15, 14
	s_waitcnt vmcnt(13) lgkmcnt(13)
	ds_store_2addr_stride64_b64 v64, v[31:32], v[15:16] offset1:4
	s_waitcnt vmcnt(11) lgkmcnt(12)
	ds_store_2addr_stride64_b64 v64, v[33:34], v[17:18] offset0:8 offset1:12
	s_waitcnt vmcnt(9) lgkmcnt(11)
	ds_store_2addr_stride64_b64 v64, v[35:36], v[19:20] offset0:16 offset1:20
	;; [unrolled: 2-line block ×6, first 2 shown]
	s_waitcnt vmcnt(0) lgkmcnt(7)
	ds_store_b64 v64, v[29:30] offset:28672
	s_waitcnt lgkmcnt(0)
	s_barrier
	s_and_not1_b32 vcc_lo, exec_lo, s0
	s_add_i32 s34, s34, s48
	s_cbranch_vccz .LBB1001_7
	s_branch .LBB1001_68
.LBB1001_6:
                                        ; implicit-def: $vgpr49
                                        ; implicit-def: $vgpr54
                                        ; implicit-def: $vgpr58
                                        ; implicit-def: $vgpr63
                                        ; implicit-def: $vgpr50
                                        ; implicit-def: $vgpr53
                                        ; implicit-def: $vgpr52
                                        ; implicit-def: $vgpr59
                                        ; implicit-def: $vgpr55
                                        ; implicit-def: $vgpr60
                                        ; implicit-def: $vgpr56
                                        ; implicit-def: $vgpr61
                                        ; implicit-def: $vgpr57
                                        ; implicit-def: $vgpr62
                                        ; implicit-def: $vgpr51
                                        ; implicit-def: $vgpr13
                                        ; implicit-def: $vgpr11
                                        ; implicit-def: $vgpr9
                                        ; implicit-def: $vgpr7
                                        ; implicit-def: $vgpr5
                                        ; implicit-def: $vgpr3
                                        ; implicit-def: $vgpr1
                                        ; implicit-def: $vgpr81
	s_add_i32 s34, s34, s48
.LBB1001_7:
	s_delay_alu instid0(SALU_CYCLE_1)
	v_cmp_gt_u32_e32 vcc_lo, s34, v0
                                        ; implicit-def: $vgpr1
	s_and_saveexec_b32 s1, vcc_lo
	s_cbranch_execz .LBB1001_9
; %bb.8:
	v_lshlrev_b32_e32 v1, 2, v0
	s_delay_alu instid0(VALU_DEP_1) | instskip(NEXT) | instid1(VALU_DEP_1)
	v_add_co_u32 v1, s0, v46, v1
	v_add_co_ci_u32_e64 v2, s0, 0, v45, s0
	flat_load_b32 v1, v[1:2]
.LBB1001_9:
	s_or_b32 exec_lo, exec_lo, s1
	v_or_b32_e32 v2, 0x100, v0
	s_delay_alu instid0(VALU_DEP_1) | instskip(NEXT) | instid1(VALU_DEP_1)
	v_cmp_gt_u32_e64 s0, s34, v2
                                        ; implicit-def: $vgpr2
	s_and_saveexec_b32 s4, s0
	s_cbranch_execz .LBB1001_11
; %bb.10:
	v_lshlrev_b32_e32 v2, 2, v0
	s_delay_alu instid0(VALU_DEP_1) | instskip(NEXT) | instid1(VALU_DEP_1)
	v_add_co_u32 v2, s1, v46, v2
	v_add_co_ci_u32_e64 v3, s1, 0, v45, s1
	flat_load_b32 v2, v[2:3] offset:1024
.LBB1001_11:
	s_or_b32 exec_lo, exec_lo, s4
	v_or_b32_e32 v21, 0x200, v0
                                        ; implicit-def: $vgpr3
	s_delay_alu instid0(VALU_DEP_1) | instskip(NEXT) | instid1(VALU_DEP_1)
	v_cmp_gt_u32_e64 s1, s34, v21
	s_and_saveexec_b32 s5, s1
	s_cbranch_execz .LBB1001_13
; %bb.12:
	v_lshlrev_b32_e32 v3, 2, v0
	s_delay_alu instid0(VALU_DEP_1) | instskip(NEXT) | instid1(VALU_DEP_1)
	v_add_co_u32 v3, s4, v46, v3
	v_add_co_ci_u32_e64 v4, s4, 0, v45, s4
	flat_load_b32 v3, v[3:4] offset:2048
.LBB1001_13:
	s_or_b32 exec_lo, exec_lo, s5
	v_or_b32_e32 v23, 0x300, v0
                                        ; implicit-def: $vgpr4
	s_delay_alu instid0(VALU_DEP_1) | instskip(NEXT) | instid1(VALU_DEP_1)
	v_cmp_gt_u32_e64 s4, s34, v23
	s_and_saveexec_b32 s6, s4
	s_cbranch_execz .LBB1001_15
; %bb.14:
	v_lshlrev_b32_e32 v4, 2, v0
	s_delay_alu instid0(VALU_DEP_1) | instskip(NEXT) | instid1(VALU_DEP_1)
	v_add_co_u32 v4, s5, v46, v4
	v_add_co_ci_u32_e64 v5, s5, 0, v45, s5
	flat_load_b32 v4, v[4:5] offset:3072
.LBB1001_15:
	s_or_b32 exec_lo, exec_lo, s6
	v_or_b32_e32 v25, 0x400, v0
                                        ; implicit-def: $vgpr5
	s_delay_alu instid0(VALU_DEP_1) | instskip(NEXT) | instid1(VALU_DEP_1)
	v_cmp_gt_u32_e64 s5, s34, v25
	s_and_saveexec_b32 s7, s5
	s_cbranch_execz .LBB1001_17
; %bb.16:
	v_lshlrev_b32_e32 v5, 2, v25
	s_delay_alu instid0(VALU_DEP_1) | instskip(NEXT) | instid1(VALU_DEP_1)
	v_add_co_u32 v5, s6, v46, v5
	v_add_co_ci_u32_e64 v6, s6, 0, v45, s6
	flat_load_b32 v5, v[5:6]
.LBB1001_17:
	s_or_b32 exec_lo, exec_lo, s7
	v_or_b32_e32 v27, 0x500, v0
                                        ; implicit-def: $vgpr6
	s_delay_alu instid0(VALU_DEP_1) | instskip(NEXT) | instid1(VALU_DEP_1)
	v_cmp_gt_u32_e64 s6, s34, v27
	s_and_saveexec_b32 s8, s6
	s_cbranch_execz .LBB1001_19
; %bb.18:
	v_lshlrev_b32_e32 v6, 2, v27
	s_delay_alu instid0(VALU_DEP_1) | instskip(NEXT) | instid1(VALU_DEP_1)
	v_add_co_u32 v6, s7, v46, v6
	v_add_co_ci_u32_e64 v7, s7, 0, v45, s7
	flat_load_b32 v6, v[6:7]
.LBB1001_19:
	s_or_b32 exec_lo, exec_lo, s8
	v_or_b32_e32 v29, 0x600, v0
                                        ; implicit-def: $vgpr7
	s_delay_alu instid0(VALU_DEP_1) | instskip(NEXT) | instid1(VALU_DEP_1)
	v_cmp_gt_u32_e64 s7, s34, v29
	s_and_saveexec_b32 s9, s7
	s_cbranch_execz .LBB1001_21
; %bb.20:
	v_lshlrev_b32_e32 v7, 2, v29
	s_delay_alu instid0(VALU_DEP_1) | instskip(NEXT) | instid1(VALU_DEP_1)
	v_add_co_u32 v7, s8, v46, v7
	v_add_co_ci_u32_e64 v8, s8, 0, v45, s8
	flat_load_b32 v7, v[7:8]
.LBB1001_21:
	s_or_b32 exec_lo, exec_lo, s9
	v_or_b32_e32 v31, 0x700, v0
                                        ; implicit-def: $vgpr8
	s_delay_alu instid0(VALU_DEP_1) | instskip(NEXT) | instid1(VALU_DEP_1)
	v_cmp_gt_u32_e64 s8, s34, v31
	s_and_saveexec_b32 s10, s8
	s_cbranch_execz .LBB1001_23
; %bb.22:
	v_lshlrev_b32_e32 v8, 2, v31
	s_delay_alu instid0(VALU_DEP_1) | instskip(NEXT) | instid1(VALU_DEP_1)
	v_add_co_u32 v8, s9, v46, v8
	v_add_co_ci_u32_e64 v9, s9, 0, v45, s9
	flat_load_b32 v8, v[8:9]
.LBB1001_23:
	s_or_b32 exec_lo, exec_lo, s10
	v_or_b32_e32 v33, 0x800, v0
                                        ; implicit-def: $vgpr9
	s_delay_alu instid0(VALU_DEP_1) | instskip(NEXT) | instid1(VALU_DEP_1)
	v_cmp_gt_u32_e64 s9, s34, v33
	s_and_saveexec_b32 s11, s9
	s_cbranch_execz .LBB1001_25
; %bb.24:
	v_lshlrev_b32_e32 v9, 2, v33
	s_delay_alu instid0(VALU_DEP_1) | instskip(NEXT) | instid1(VALU_DEP_1)
	v_add_co_u32 v9, s10, v46, v9
	v_add_co_ci_u32_e64 v10, s10, 0, v45, s10
	flat_load_b32 v9, v[9:10]
.LBB1001_25:
	s_or_b32 exec_lo, exec_lo, s11
	v_or_b32_e32 v35, 0x900, v0
                                        ; implicit-def: $vgpr10
	s_delay_alu instid0(VALU_DEP_1) | instskip(NEXT) | instid1(VALU_DEP_1)
	v_cmp_gt_u32_e64 s10, s34, v35
	s_and_saveexec_b32 s12, s10
	s_cbranch_execz .LBB1001_27
; %bb.26:
	v_lshlrev_b32_e32 v10, 2, v35
	s_delay_alu instid0(VALU_DEP_1) | instskip(NEXT) | instid1(VALU_DEP_1)
	v_add_co_u32 v10, s11, v46, v10
	v_add_co_ci_u32_e64 v11, s11, 0, v45, s11
	flat_load_b32 v10, v[10:11]
.LBB1001_27:
	s_or_b32 exec_lo, exec_lo, s12
	v_or_b32_e32 v37, 0xa00, v0
                                        ; implicit-def: $vgpr11
	s_delay_alu instid0(VALU_DEP_1) | instskip(NEXT) | instid1(VALU_DEP_1)
	v_cmp_gt_u32_e64 s11, s34, v37
	s_and_saveexec_b32 s13, s11
	s_cbranch_execz .LBB1001_29
; %bb.28:
	v_lshlrev_b32_e32 v11, 2, v37
	s_delay_alu instid0(VALU_DEP_1) | instskip(NEXT) | instid1(VALU_DEP_1)
	v_add_co_u32 v11, s12, v46, v11
	v_add_co_ci_u32_e64 v12, s12, 0, v45, s12
	flat_load_b32 v11, v[11:12]
.LBB1001_29:
	s_or_b32 exec_lo, exec_lo, s13
	v_or_b32_e32 v39, 0xb00, v0
                                        ; implicit-def: $vgpr12
	s_delay_alu instid0(VALU_DEP_1) | instskip(NEXT) | instid1(VALU_DEP_1)
	v_cmp_gt_u32_e64 s12, s34, v39
	s_and_saveexec_b32 s14, s12
	s_cbranch_execz .LBB1001_31
; %bb.30:
	v_lshlrev_b32_e32 v12, 2, v39
	s_delay_alu instid0(VALU_DEP_1) | instskip(NEXT) | instid1(VALU_DEP_1)
	v_add_co_u32 v12, s13, v46, v12
	v_add_co_ci_u32_e64 v13, s13, 0, v45, s13
	flat_load_b32 v12, v[12:13]
.LBB1001_31:
	s_or_b32 exec_lo, exec_lo, s14
	v_or_b32_e32 v41, 0xc00, v0
                                        ; implicit-def: $vgpr13
	s_delay_alu instid0(VALU_DEP_1) | instskip(NEXT) | instid1(VALU_DEP_1)
	v_cmp_gt_u32_e64 s13, s34, v41
	s_and_saveexec_b32 s15, s13
	s_cbranch_execz .LBB1001_33
; %bb.32:
	v_lshlrev_b32_e32 v13, 2, v41
	s_delay_alu instid0(VALU_DEP_1) | instskip(NEXT) | instid1(VALU_DEP_1)
	v_add_co_u32 v13, s14, v46, v13
	v_add_co_ci_u32_e64 v14, s14, 0, v45, s14
	flat_load_b32 v13, v[13:14]
.LBB1001_33:
	s_or_b32 exec_lo, exec_lo, s15
	v_or_b32_e32 v43, 0xd00, v0
                                        ; implicit-def: $vgpr14
	s_delay_alu instid0(VALU_DEP_1) | instskip(NEXT) | instid1(VALU_DEP_1)
	v_cmp_gt_u32_e64 s14, s34, v43
	s_and_saveexec_b32 s16, s14
	s_cbranch_execz .LBB1001_35
; %bb.34:
	v_lshlrev_b32_e32 v14, 2, v43
	s_delay_alu instid0(VALU_DEP_1) | instskip(NEXT) | instid1(VALU_DEP_1)
	v_add_co_u32 v14, s15, v46, v14
	v_add_co_ci_u32_e64 v15, s15, 0, v45, s15
	flat_load_b32 v14, v[14:15]
.LBB1001_35:
	s_or_b32 exec_lo, exec_lo, s16
	v_or_b32_e32 v50, 0xe00, v0
                                        ; implicit-def: $vgpr15
	s_delay_alu instid0(VALU_DEP_1) | instskip(NEXT) | instid1(VALU_DEP_1)
	v_cmp_gt_u32_e64 s15, s34, v50
	s_and_saveexec_b32 s20, s15
	s_cbranch_execz .LBB1001_37
; %bb.36:
	v_lshlrev_b32_e32 v15, 2, v50
	s_delay_alu instid0(VALU_DEP_1) | instskip(NEXT) | instid1(VALU_DEP_1)
	v_add_co_u32 v15, s16, v46, v15
	v_add_co_ci_u32_e64 v16, s16, 0, v45, s16
	flat_load_b32 v15, v[15:16]
.LBB1001_37:
	s_or_b32 exec_lo, exec_lo, s20
	v_lshlrev_b32_e32 v16, 2, v0
	s_waitcnt vmcnt(0) lgkmcnt(0)
	ds_store_2addr_stride64_b32 v16, v1, v2 offset1:4
	ds_store_2addr_stride64_b32 v16, v3, v4 offset0:8 offset1:12
	ds_store_2addr_stride64_b32 v16, v5, v6 offset0:16 offset1:20
	;; [unrolled: 1-line block ×6, first 2 shown]
	v_mad_u32_u24 v49, v0, 56, v16
	ds_store_b32 v16, v15 offset:14336
	s_waitcnt lgkmcnt(0)
	s_barrier
	buffer_gl0_inv
	ds_load_2addr_b32 v[13:14], v49 offset1:1
	ds_load_2addr_b32 v[11:12], v49 offset0:2 offset1:3
	ds_load_2addr_b32 v[9:10], v49 offset0:4 offset1:5
	;; [unrolled: 1-line block ×6, first 2 shown]
	ds_load_b32 v81, v49 offset:56
	s_waitcnt lgkmcnt(0)
	s_barrier
	buffer_gl0_inv
                                        ; implicit-def: $vgpr15_vgpr16
	s_and_saveexec_b32 s16, vcc_lo
	s_cbranch_execz .LBB1001_51
; %bb.38:
	v_lshlrev_b32_e32 v15, 3, v0
	s_delay_alu instid0(VALU_DEP_1)
	v_add_co_u32 v15, vcc_lo, v47, v15
	v_add_co_ci_u32_e32 v16, vcc_lo, 0, v48, vcc_lo
	flat_load_b64 v[15:16], v[15:16]
	s_or_b32 exec_lo, exec_lo, s16
                                        ; implicit-def: $vgpr17_vgpr18
	s_and_saveexec_b32 s16, s0
	s_cbranch_execnz .LBB1001_52
.LBB1001_39:
	s_or_b32 exec_lo, exec_lo, s16
                                        ; implicit-def: $vgpr19_vgpr20
	s_and_saveexec_b32 s0, s1
	s_cbranch_execz .LBB1001_53
.LBB1001_40:
	v_lshlrev_b32_e32 v19, 3, v21
	s_delay_alu instid0(VALU_DEP_1)
	v_add_co_u32 v19, vcc_lo, v47, v19
	v_add_co_ci_u32_e32 v20, vcc_lo, 0, v48, vcc_lo
	flat_load_b64 v[19:20], v[19:20]
	s_or_b32 exec_lo, exec_lo, s0
                                        ; implicit-def: $vgpr21_vgpr22
	s_and_saveexec_b32 s0, s4
	s_cbranch_execnz .LBB1001_54
.LBB1001_41:
	s_or_b32 exec_lo, exec_lo, s0
                                        ; implicit-def: $vgpr23_vgpr24
	s_and_saveexec_b32 s0, s5
	s_cbranch_execz .LBB1001_55
.LBB1001_42:
	v_lshlrev_b32_e32 v23, 3, v25
	s_delay_alu instid0(VALU_DEP_1)
	v_add_co_u32 v23, vcc_lo, v47, v23
	v_add_co_ci_u32_e32 v24, vcc_lo, 0, v48, vcc_lo
	flat_load_b64 v[23:24], v[23:24]
	s_or_b32 exec_lo, exec_lo, s0
                                        ; implicit-def: $vgpr25_vgpr26
	s_and_saveexec_b32 s0, s6
	s_cbranch_execnz .LBB1001_56
.LBB1001_43:
	s_or_b32 exec_lo, exec_lo, s0
                                        ; implicit-def: $vgpr27_vgpr28
	s_and_saveexec_b32 s0, s7
	s_cbranch_execz .LBB1001_57
.LBB1001_44:
	v_lshlrev_b32_e32 v27, 3, v29
	s_delay_alu instid0(VALU_DEP_1)
	v_add_co_u32 v27, vcc_lo, v47, v27
	v_add_co_ci_u32_e32 v28, vcc_lo, 0, v48, vcc_lo
	flat_load_b64 v[27:28], v[27:28]
	s_or_b32 exec_lo, exec_lo, s0
                                        ; implicit-def: $vgpr29_vgpr30
	s_and_saveexec_b32 s0, s8
	s_cbranch_execnz .LBB1001_58
.LBB1001_45:
	s_or_b32 exec_lo, exec_lo, s0
                                        ; implicit-def: $vgpr31_vgpr32
	s_and_saveexec_b32 s0, s9
	s_cbranch_execz .LBB1001_59
.LBB1001_46:
	v_lshlrev_b32_e32 v31, 3, v33
	s_delay_alu instid0(VALU_DEP_1)
	v_add_co_u32 v31, vcc_lo, v47, v31
	v_add_co_ci_u32_e32 v32, vcc_lo, 0, v48, vcc_lo
	flat_load_b64 v[31:32], v[31:32]
	s_or_b32 exec_lo, exec_lo, s0
                                        ; implicit-def: $vgpr33_vgpr34
	s_and_saveexec_b32 s0, s10
	s_cbranch_execnz .LBB1001_60
.LBB1001_47:
	s_or_b32 exec_lo, exec_lo, s0
                                        ; implicit-def: $vgpr35_vgpr36
	s_and_saveexec_b32 s0, s11
	s_cbranch_execz .LBB1001_61
.LBB1001_48:
	v_lshlrev_b32_e32 v35, 3, v37
	s_delay_alu instid0(VALU_DEP_1)
	v_add_co_u32 v35, vcc_lo, v47, v35
	v_add_co_ci_u32_e32 v36, vcc_lo, 0, v48, vcc_lo
	flat_load_b64 v[35:36], v[35:36]
	s_or_b32 exec_lo, exec_lo, s0
                                        ; implicit-def: $vgpr37_vgpr38
	s_and_saveexec_b32 s0, s12
	s_cbranch_execnz .LBB1001_62
.LBB1001_49:
	s_or_b32 exec_lo, exec_lo, s0
                                        ; implicit-def: $vgpr39_vgpr40
	s_and_saveexec_b32 s0, s13
	s_cbranch_execz .LBB1001_63
.LBB1001_50:
	v_lshlrev_b32_e32 v39, 3, v41
	s_delay_alu instid0(VALU_DEP_1)
	v_add_co_u32 v39, vcc_lo, v47, v39
	v_add_co_ci_u32_e32 v40, vcc_lo, 0, v48, vcc_lo
	flat_load_b64 v[39:40], v[39:40]
	s_or_b32 exec_lo, exec_lo, s0
                                        ; implicit-def: $vgpr41_vgpr42
	s_and_saveexec_b32 s0, s14
	s_cbranch_execz .LBB1001_65
	s_branch .LBB1001_64
.LBB1001_51:
	s_or_b32 exec_lo, exec_lo, s16
                                        ; implicit-def: $vgpr17_vgpr18
	s_and_saveexec_b32 s16, s0
	s_cbranch_execz .LBB1001_39
.LBB1001_52:
	v_lshlrev_b32_e32 v17, 3, v0
	s_delay_alu instid0(VALU_DEP_1)
	v_add_co_u32 v17, vcc_lo, v47, v17
	v_add_co_ci_u32_e32 v18, vcc_lo, 0, v48, vcc_lo
	flat_load_b64 v[17:18], v[17:18] offset:2048
	s_or_b32 exec_lo, exec_lo, s16
                                        ; implicit-def: $vgpr19_vgpr20
	s_and_saveexec_b32 s0, s1
	s_cbranch_execnz .LBB1001_40
.LBB1001_53:
	s_or_b32 exec_lo, exec_lo, s0
                                        ; implicit-def: $vgpr21_vgpr22
	s_and_saveexec_b32 s0, s4
	s_cbranch_execz .LBB1001_41
.LBB1001_54:
	v_lshlrev_b32_e32 v21, 3, v23
	s_delay_alu instid0(VALU_DEP_1)
	v_add_co_u32 v21, vcc_lo, v47, v21
	v_add_co_ci_u32_e32 v22, vcc_lo, 0, v48, vcc_lo
	flat_load_b64 v[21:22], v[21:22]
	s_or_b32 exec_lo, exec_lo, s0
                                        ; implicit-def: $vgpr23_vgpr24
	s_and_saveexec_b32 s0, s5
	s_cbranch_execnz .LBB1001_42
.LBB1001_55:
	s_or_b32 exec_lo, exec_lo, s0
                                        ; implicit-def: $vgpr25_vgpr26
	s_and_saveexec_b32 s0, s6
	s_cbranch_execz .LBB1001_43
.LBB1001_56:
	v_lshlrev_b32_e32 v25, 3, v27
	s_delay_alu instid0(VALU_DEP_1)
	v_add_co_u32 v25, vcc_lo, v47, v25
	v_add_co_ci_u32_e32 v26, vcc_lo, 0, v48, vcc_lo
	flat_load_b64 v[25:26], v[25:26]
	s_or_b32 exec_lo, exec_lo, s0
                                        ; implicit-def: $vgpr27_vgpr28
	s_and_saveexec_b32 s0, s7
	s_cbranch_execnz .LBB1001_44
.LBB1001_57:
	s_or_b32 exec_lo, exec_lo, s0
                                        ; implicit-def: $vgpr29_vgpr30
	s_and_saveexec_b32 s0, s8
	s_cbranch_execz .LBB1001_45
.LBB1001_58:
	v_lshlrev_b32_e32 v29, 3, v31
	s_delay_alu instid0(VALU_DEP_1)
	v_add_co_u32 v29, vcc_lo, v47, v29
	v_add_co_ci_u32_e32 v30, vcc_lo, 0, v48, vcc_lo
	flat_load_b64 v[29:30], v[29:30]
	s_or_b32 exec_lo, exec_lo, s0
                                        ; implicit-def: $vgpr31_vgpr32
	s_and_saveexec_b32 s0, s9
	s_cbranch_execnz .LBB1001_46
.LBB1001_59:
	s_or_b32 exec_lo, exec_lo, s0
                                        ; implicit-def: $vgpr33_vgpr34
	s_and_saveexec_b32 s0, s10
	s_cbranch_execz .LBB1001_47
.LBB1001_60:
	v_lshlrev_b32_e32 v33, 3, v35
	s_delay_alu instid0(VALU_DEP_1)
	v_add_co_u32 v33, vcc_lo, v47, v33
	v_add_co_ci_u32_e32 v34, vcc_lo, 0, v48, vcc_lo
	flat_load_b64 v[33:34], v[33:34]
	s_or_b32 exec_lo, exec_lo, s0
                                        ; implicit-def: $vgpr35_vgpr36
	s_and_saveexec_b32 s0, s11
	s_cbranch_execnz .LBB1001_48
.LBB1001_61:
	s_or_b32 exec_lo, exec_lo, s0
                                        ; implicit-def: $vgpr37_vgpr38
	s_and_saveexec_b32 s0, s12
	s_cbranch_execz .LBB1001_49
.LBB1001_62:
	v_lshlrev_b32_e32 v37, 3, v39
	s_delay_alu instid0(VALU_DEP_1)
	v_add_co_u32 v37, vcc_lo, v47, v37
	v_add_co_ci_u32_e32 v38, vcc_lo, 0, v48, vcc_lo
	flat_load_b64 v[37:38], v[37:38]
	s_or_b32 exec_lo, exec_lo, s0
                                        ; implicit-def: $vgpr39_vgpr40
	s_and_saveexec_b32 s0, s13
	s_cbranch_execnz .LBB1001_50
.LBB1001_63:
	s_or_b32 exec_lo, exec_lo, s0
                                        ; implicit-def: $vgpr41_vgpr42
	s_and_saveexec_b32 s0, s14
	s_cbranch_execz .LBB1001_65
.LBB1001_64:
	v_lshlrev_b32_e32 v41, 3, v43
	s_delay_alu instid0(VALU_DEP_1)
	v_add_co_u32 v41, vcc_lo, v47, v41
	v_add_co_ci_u32_e32 v42, vcc_lo, 0, v48, vcc_lo
	flat_load_b64 v[41:42], v[41:42]
.LBB1001_65:
	s_or_b32 exec_lo, exec_lo, s0
	v_mul_u32_u24_e32 v51, 15, v0
                                        ; implicit-def: $vgpr43_vgpr44
	s_and_saveexec_b32 s0, s15
	s_cbranch_execz .LBB1001_67
; %bb.66:
	v_lshlrev_b32_e32 v43, 3, v50
	s_delay_alu instid0(VALU_DEP_1)
	v_add_co_u32 v43, vcc_lo, v47, v43
	v_add_co_ci_u32_e32 v44, vcc_lo, 0, v48, vcc_lo
	flat_load_b64 v[43:44], v[43:44]
.LBB1001_67:
	s_or_b32 exec_lo, exec_lo, s0
	s_delay_alu instid0(VALU_DEP_1)
	v_add_nc_u32_e32 v62, 1, v51
	v_add_nc_u32_e32 v57, 2, v51
	;; [unrolled: 1-line block ×10, first 2 shown]
	v_mad_i32_i24 v47, 0xffffffcc, v0, v49
	v_add_nc_u32_e32 v63, 11, v51
	v_add_nc_u32_e32 v58, 12, v51
	;; [unrolled: 1-line block ×4, first 2 shown]
	s_waitcnt vmcnt(0) lgkmcnt(0)
	ds_store_2addr_stride64_b64 v47, v[15:16], v[17:18] offset1:4
	ds_store_2addr_stride64_b64 v47, v[19:20], v[21:22] offset0:8 offset1:12
	ds_store_2addr_stride64_b64 v47, v[23:24], v[25:26] offset0:16 offset1:20
	;; [unrolled: 1-line block ×6, first 2 shown]
	ds_store_b64 v47, v[43:44] offset:28672
	s_waitcnt lgkmcnt(0)
	s_barrier
.LBB1001_68:
	v_lshlrev_b32_e32 v15, 3, v51
	v_lshlrev_b32_e32 v16, 3, v62
	;; [unrolled: 1-line block ×5, first 2 shown]
	buffer_gl0_inv
	v_lshlrev_b32_e32 v20, 3, v60
	v_lshlrev_b32_e32 v21, 3, v55
	;; [unrolled: 1-line block ×3, first 2 shown]
	ds_load_b64 v[41:42], v15
	ds_load_b64 v[39:40], v16
	;; [unrolled: 1-line block ×8, first 2 shown]
	v_lshlrev_b32_e32 v15, 3, v52
	v_lshlrev_b32_e32 v16, 3, v53
	;; [unrolled: 1-line block ×7, first 2 shown]
	ds_load_b64 v[29:30], v15
	ds_load_b64 v[25:26], v16
	;; [unrolled: 1-line block ×7, first 2 shown]
	s_cmp_eq_u64 s[18:19], 0
	s_waitcnt lgkmcnt(0)
	s_cselect_b32 s35, -1, 0
	s_cmp_lg_u64 s[18:19], 0
	s_barrier
	s_cselect_b32 s15, -1, 0
	s_and_b32 vcc_lo, exec_lo, s17
	buffer_gl0_inv
	s_cbranch_vccz .LBB1001_74
; %bb.69:
	s_and_b32 vcc_lo, exec_lo, s15
	s_cbranch_vccz .LBB1001_191
; %bb.70:
	v_add_co_u32 v47, vcc_lo, -4, v46
	v_add_co_ci_u32_e32 v48, vcc_lo, -1, v45, vcc_lo
	v_cmp_ne_u32_e32 vcc_lo, v2, v81
	v_cmp_ne_u32_e64 s0, v1, v2
	v_cmp_ne_u32_e64 s1, v4, v1
	flat_load_b32 v47, v[47:48]
	v_lshlrev_b32_e32 v48, 2, v0
	v_cmp_ne_u32_e64 s4, v3, v4
	v_cmp_ne_u32_e64 s5, v6, v3
	;; [unrolled: 1-line block ×11, first 2 shown]
	s_mov_b32 s45, -1
	ds_store_b32 v48, v81
	s_waitcnt vmcnt(0) lgkmcnt(0)
	s_barrier
	buffer_gl0_inv
	s_and_saveexec_b32 s16, s3
	s_cbranch_execz .LBB1001_72
; %bb.71:
	v_add_nc_u32_e32 v47, -4, v48
	ds_load_b32 v47, v47
.LBB1001_72:
	s_or_b32 exec_lo, exec_lo, s16
	v_cndmask_b32_e64 v89, 0, 1, vcc_lo
	v_cndmask_b32_e64 v82, 0, 1, s0
	v_cndmask_b32_e64 v83, 0, 1, s1
	;; [unrolled: 1-line block ×13, first 2 shown]
	s_waitcnt lgkmcnt(0)
	v_cmp_ne_u32_e64 s0, v47, v13
.LBB1001_73:
                                        ; implicit-def: $sgpr1
	s_branch .LBB1001_75
.LBB1001_74:
	s_mov_b32 s45, 0
                                        ; implicit-def: $sgpr0
                                        ; implicit-def: $vgpr89
                                        ; implicit-def: $vgpr82
                                        ; implicit-def: $vgpr83
                                        ; implicit-def: $vgpr84
                                        ; implicit-def: $vgpr85
                                        ; implicit-def: $vgpr86
                                        ; implicit-def: $vgpr87
                                        ; implicit-def: $vgpr88
                                        ; implicit-def: $vgpr90
                                        ; implicit-def: $vgpr91
                                        ; implicit-def: $vgpr92
                                        ; implicit-def: $vgpr93
                                        ; implicit-def: $vgpr94
                                        ; implicit-def: $vgpr95
                                        ; implicit-def: $sgpr1
	s_cbranch_execnz .LBB1001_195
.LBB1001_75:
	v_mov_b32_e32 v96, s1
	s_and_saveexec_b32 s1, s45
.LBB1001_76:
	s_delay_alu instid0(VALU_DEP_2)
	v_cndmask_b32_e64 v96, 0, 1, s0
.LBB1001_77:
	s_or_b32 exec_lo, exec_lo, s1
	s_delay_alu instid0(VALU_DEP_1)
	v_add3_u32 v45, v95, v96, v94
	v_cmp_eq_u32_e64 s13, 0, v95
	v_cmp_eq_u32_e64 s12, 0, v94
	;; [unrolled: 1-line block ×4, first 2 shown]
	v_add3_u32 v99, v45, v93, v92
	v_cmp_eq_u32_e64 s9, 0, v91
	v_cmp_eq_u32_e64 s8, 0, v90
	;; [unrolled: 1-line block ×9, first 2 shown]
	v_cmp_eq_u32_e32 vcc_lo, 0, v89
	v_mbcnt_lo_u32_b32 v97, -1, 0
	s_cmp_eq_u64 s[42:43], 0
	s_cselect_b32 s15, -1, 0
	s_cmp_lg_u32 s44, 0
	s_cbranch_scc0 .LBB1001_144
; %bb.78:
	v_cndmask_b32_e64 v45, 0, v41, s13
	v_cndmask_b32_e64 v46, 0, v42, s13
	v_add3_u32 v47, v99, v91, v90
	s_delay_alu instid0(VALU_DEP_3) | instskip(NEXT) | instid1(VALU_DEP_1)
	v_add_co_u32 v45, s14, v45, v39
	v_add_co_ci_u32_e64 v46, s14, v46, v40, s14
	s_delay_alu instid0(VALU_DEP_3) | instskip(NEXT) | instid1(VALU_DEP_3)
	v_add3_u32 v47, v47, v88, v87
	v_cndmask_b32_e64 v45, 0, v45, s12
	s_delay_alu instid0(VALU_DEP_3) | instskip(NEXT) | instid1(VALU_DEP_3)
	v_cndmask_b32_e64 v46, 0, v46, s12
	v_add3_u32 v47, v47, v86, v85
	s_delay_alu instid0(VALU_DEP_3) | instskip(NEXT) | instid1(VALU_DEP_1)
	v_add_co_u32 v45, s14, v45, v37
	v_add_co_ci_u32_e64 v46, s14, v46, v38, s14
	s_delay_alu instid0(VALU_DEP_3) | instskip(NEXT) | instid1(VALU_DEP_3)
	v_add3_u32 v47, v47, v84, v83
	v_cndmask_b32_e64 v45, 0, v45, s11
	s_delay_alu instid0(VALU_DEP_3) | instskip(NEXT) | instid1(VALU_DEP_3)
	v_cndmask_b32_e64 v46, 0, v46, s11
	v_add3_u32 v49, v47, v82, v89
	s_delay_alu instid0(VALU_DEP_3) | instskip(NEXT) | instid1(VALU_DEP_1)
	v_add_co_u32 v45, s14, v45, v35
	v_add_co_ci_u32_e64 v46, s14, v46, v36, s14
	s_delay_alu instid0(VALU_DEP_2) | instskip(NEXT) | instid1(VALU_DEP_2)
	v_cndmask_b32_e64 v45, 0, v45, s10
	v_cndmask_b32_e64 v46, 0, v46, s10
	s_delay_alu instid0(VALU_DEP_2) | instskip(NEXT) | instid1(VALU_DEP_1)
	v_add_co_u32 v45, s14, v45, v33
	v_add_co_ci_u32_e64 v46, s14, v46, v34, s14
	s_delay_alu instid0(VALU_DEP_2) | instskip(NEXT) | instid1(VALU_DEP_2)
	v_cndmask_b32_e64 v45, 0, v45, s9
	v_cndmask_b32_e64 v46, 0, v46, s9
	s_delay_alu instid0(VALU_DEP_2) | instskip(NEXT) | instid1(VALU_DEP_1)
	;; [unrolled: 6-line block ×10, first 2 shown]
	v_add_co_u32 v45, s14, v45, v15
	v_add_co_ci_u32_e64 v46, s14, v46, v16, s14
	s_mov_b32 s14, exec_lo
	s_delay_alu instid0(VALU_DEP_1) | instskip(NEXT) | instid1(VALU_DEP_1)
	v_dual_cndmask_b32 v45, 0, v45 :: v_dual_cndmask_b32 v46, 0, v46
	v_add_co_u32 v47, vcc_lo, v45, v43
	s_delay_alu instid0(VALU_DEP_2) | instskip(SKIP_2) | instid1(VALU_DEP_4)
	v_add_co_ci_u32_e32 v48, vcc_lo, v46, v44, vcc_lo
	v_and_b32_e32 v45, 15, v97
	v_mov_b32_dpp v46, v49 row_shr:1 row_mask:0xf bank_mask:0xf
	v_mov_b32_dpp v50, v47 row_shr:1 row_mask:0xf bank_mask:0xf
	s_delay_alu instid0(VALU_DEP_4) | instskip(NEXT) | instid1(VALU_DEP_4)
	v_mov_b32_dpp v51, v48 row_shr:1 row_mask:0xf bank_mask:0xf
	v_cmpx_ne_u32_e32 0, v45
; %bb.79:
	v_cmp_eq_u32_e32 vcc_lo, 0, v49
	v_add_nc_u32_e32 v49, v46, v49
	s_delay_alu instid0(VALU_DEP_4) | instskip(NEXT) | instid1(VALU_DEP_1)
	v_dual_cndmask_b32 v51, 0, v51 :: v_dual_cndmask_b32 v50, 0, v50
	v_add_co_u32 v47, vcc_lo, v50, v47
	s_delay_alu instid0(VALU_DEP_2)
	v_add_co_ci_u32_e32 v48, vcc_lo, v51, v48, vcc_lo
; %bb.80:
	s_or_b32 exec_lo, exec_lo, s14
	v_mov_b32_dpp v46, v49 row_shr:2 row_mask:0xf bank_mask:0xf
	s_delay_alu instid0(VALU_DEP_3) | instskip(NEXT) | instid1(VALU_DEP_3)
	v_mov_b32_dpp v50, v47 row_shr:2 row_mask:0xf bank_mask:0xf
	v_mov_b32_dpp v51, v48 row_shr:2 row_mask:0xf bank_mask:0xf
	s_mov_b32 s14, exec_lo
	v_cmpx_lt_u32_e32 1, v45
; %bb.81:
	v_cmp_eq_u32_e32 vcc_lo, 0, v49
	v_add_nc_u32_e32 v49, v46, v49
	v_dual_cndmask_b32 v51, 0, v51 :: v_dual_cndmask_b32 v50, 0, v50
	s_delay_alu instid0(VALU_DEP_1) | instskip(NEXT) | instid1(VALU_DEP_2)
	v_add_co_u32 v47, vcc_lo, v50, v47
	v_add_co_ci_u32_e32 v48, vcc_lo, v51, v48, vcc_lo
; %bb.82:
	s_or_b32 exec_lo, exec_lo, s14
	v_mov_b32_dpp v46, v49 row_shr:4 row_mask:0xf bank_mask:0xf
	s_delay_alu instid0(VALU_DEP_3) | instskip(NEXT) | instid1(VALU_DEP_3)
	v_mov_b32_dpp v50, v47 row_shr:4 row_mask:0xf bank_mask:0xf
	v_mov_b32_dpp v51, v48 row_shr:4 row_mask:0xf bank_mask:0xf
	s_mov_b32 s14, exec_lo
	v_cmpx_lt_u32_e32 3, v45
; %bb.83:
	v_cmp_eq_u32_e32 vcc_lo, 0, v49
	v_add_nc_u32_e32 v49, v46, v49
	v_dual_cndmask_b32 v51, 0, v51 :: v_dual_cndmask_b32 v50, 0, v50
	s_delay_alu instid0(VALU_DEP_1) | instskip(NEXT) | instid1(VALU_DEP_2)
	v_add_co_u32 v47, vcc_lo, v50, v47
	;; [unrolled: 15-line block ×3, first 2 shown]
	v_add_co_ci_u32_e32 v48, vcc_lo, v45, v48, vcc_lo
; %bb.86:
	s_or_b32 exec_lo, exec_lo, s14
	ds_swizzle_b32 v45, v49 offset:swizzle(BROADCAST,32,15)
	ds_swizzle_b32 v46, v47 offset:swizzle(BROADCAST,32,15)
	;; [unrolled: 1-line block ×3, first 2 shown]
	v_and_b32_e32 v51, 16, v97
	s_mov_b32 s14, exec_lo
	s_delay_alu instid0(VALU_DEP_1)
	v_cmpx_ne_u32_e32 0, v51
	s_cbranch_execz .LBB1001_88
; %bb.87:
	v_cmp_eq_u32_e32 vcc_lo, 0, v49
	s_waitcnt lgkmcnt(1)
	v_dual_cndmask_b32 v46, 0, v46 :: v_dual_add_nc_u32 v49, v45, v49
	s_waitcnt lgkmcnt(0)
	v_cndmask_b32_e32 v50, 0, v50, vcc_lo
	s_delay_alu instid0(VALU_DEP_2) | instskip(NEXT) | instid1(VALU_DEP_2)
	v_add_co_u32 v47, vcc_lo, v46, v47
	v_add_co_ci_u32_e32 v48, vcc_lo, v50, v48, vcc_lo
.LBB1001_88:
	s_or_b32 exec_lo, exec_lo, s14
	s_waitcnt lgkmcnt(1)
	v_lshrrev_b32_e32 v46, 5, v0
	v_or_b32_e32 v45, 31, v0
	s_mov_b32 s14, exec_lo
	s_waitcnt lgkmcnt(0)
	s_delay_alu instid0(VALU_DEP_2) | instskip(NEXT) | instid1(VALU_DEP_2)
	v_lshlrev_b32_e32 v50, 4, v46
	v_cmpx_eq_u32_e64 v45, v0
	s_cbranch_execz .LBB1001_90
; %bb.89:
	ds_store_b32 v50, v49 offset:2080
	ds_store_b64 v50, v[47:48] offset:2088
.LBB1001_90:
	s_or_b32 exec_lo, exec_lo, s14
	s_delay_alu instid0(SALU_CYCLE_1)
	s_mov_b32 s14, exec_lo
	s_waitcnt lgkmcnt(0)
	s_barrier
	buffer_gl0_inv
	v_cmpx_gt_u32_e32 8, v0
	s_cbranch_execz .LBB1001_98
; %bb.91:
	v_lshlrev_b32_e32 v51, 4, v0
	v_and_b32_e32 v53, 7, v97
	s_mov_b32 s16, exec_lo
	ds_load_b32 v52, v51 offset:2080
	ds_load_b64 v[45:46], v51 offset:2088
	s_waitcnt lgkmcnt(1)
	v_mov_b32_dpp v54, v52 row_shr:1 row_mask:0xf bank_mask:0xf
	s_waitcnt lgkmcnt(0)
	v_mov_b32_dpp v55, v45 row_shr:1 row_mask:0xf bank_mask:0xf
	v_mov_b32_dpp v56, v46 row_shr:1 row_mask:0xf bank_mask:0xf
	v_cmpx_ne_u32_e32 0, v53
; %bb.92:
	v_cmp_eq_u32_e32 vcc_lo, 0, v52
	v_add_nc_u32_e32 v52, v54, v52
	s_delay_alu instid0(VALU_DEP_4) | instskip(NEXT) | instid1(VALU_DEP_1)
	v_dual_cndmask_b32 v56, 0, v56 :: v_dual_cndmask_b32 v55, 0, v55
	v_add_co_u32 v45, vcc_lo, v55, v45
	s_delay_alu instid0(VALU_DEP_2)
	v_add_co_ci_u32_e32 v46, vcc_lo, v56, v46, vcc_lo
; %bb.93:
	s_or_b32 exec_lo, exec_lo, s16
	v_mov_b32_dpp v54, v52 row_shr:2 row_mask:0xf bank_mask:0xf
	s_delay_alu instid0(VALU_DEP_3) | instskip(NEXT) | instid1(VALU_DEP_3)
	v_mov_b32_dpp v55, v45 row_shr:2 row_mask:0xf bank_mask:0xf
	v_mov_b32_dpp v56, v46 row_shr:2 row_mask:0xf bank_mask:0xf
	s_mov_b32 s16, exec_lo
	v_cmpx_lt_u32_e32 1, v53
; %bb.94:
	v_cmp_eq_u32_e32 vcc_lo, 0, v52
	v_add_nc_u32_e32 v52, v54, v52
	v_dual_cndmask_b32 v56, 0, v56 :: v_dual_cndmask_b32 v55, 0, v55
	s_delay_alu instid0(VALU_DEP_1) | instskip(NEXT) | instid1(VALU_DEP_2)
	v_add_co_u32 v45, vcc_lo, v55, v45
	v_add_co_ci_u32_e32 v46, vcc_lo, v56, v46, vcc_lo
; %bb.95:
	s_or_b32 exec_lo, exec_lo, s16
	v_mov_b32_dpp v54, v52 row_shr:4 row_mask:0xf bank_mask:0xf
	s_delay_alu instid0(VALU_DEP_3) | instskip(NEXT) | instid1(VALU_DEP_3)
	v_mov_b32_dpp v55, v45 row_shr:4 row_mask:0xf bank_mask:0xf
	v_mov_b32_dpp v56, v46 row_shr:4 row_mask:0xf bank_mask:0xf
	s_mov_b32 s16, exec_lo
	v_cmpx_lt_u32_e32 3, v53
; %bb.96:
	v_cmp_eq_u32_e32 vcc_lo, 0, v52
	v_dual_cndmask_b32 v55, 0, v55 :: v_dual_add_nc_u32 v52, v54, v52
	v_cndmask_b32_e32 v53, 0, v56, vcc_lo
	s_delay_alu instid0(VALU_DEP_2) | instskip(NEXT) | instid1(VALU_DEP_2)
	v_add_co_u32 v45, vcc_lo, v55, v45
	v_add_co_ci_u32_e32 v46, vcc_lo, v53, v46, vcc_lo
; %bb.97:
	s_or_b32 exec_lo, exec_lo, s16
	ds_store_b32 v51, v52 offset:2080
	ds_store_b64 v51, v[45:46] offset:2088
.LBB1001_98:
	s_or_b32 exec_lo, exec_lo, s14
	v_mov_b32_e32 v45, 0
	v_cmp_gt_u32_e32 vcc_lo, 32, v0
	v_dual_mov_b32 v46, 0 :: v_dual_mov_b32 v55, 0
	s_mov_b32 s16, exec_lo
	s_waitcnt lgkmcnt(0)
	s_barrier
	buffer_gl0_inv
	v_cmpx_lt_u32_e32 31, v0
	s_cbranch_execz .LBB1001_100
; %bb.99:
	ds_load_b64 v[45:46], v50 offset:2072
	ds_load_b32 v55, v50 offset:2064
	v_cmp_eq_u32_e64 s14, 0, v49
	s_waitcnt lgkmcnt(1)
	s_delay_alu instid0(VALU_DEP_1) | instskip(SKIP_3) | instid1(VALU_DEP_3)
	v_cndmask_b32_e64 v51, 0, v45, s14
	v_cndmask_b32_e64 v50, 0, v46, s14
	s_waitcnt lgkmcnt(0)
	v_add_nc_u32_e32 v49, v55, v49
	v_add_co_u32 v47, s14, v51, v47
	s_delay_alu instid0(VALU_DEP_1)
	v_add_co_ci_u32_e64 v48, s14, v50, v48, s14
.LBB1001_100:
	s_or_b32 exec_lo, exec_lo, s16
	v_add_nc_u32_e32 v50, -1, v97
	s_delay_alu instid0(VALU_DEP_1) | instskip(NEXT) | instid1(VALU_DEP_1)
	v_cmp_gt_i32_e64 s14, 0, v50
	v_cndmask_b32_e64 v50, v50, v97, s14
	v_cmp_eq_u32_e64 s14, 0, v97
	s_delay_alu instid0(VALU_DEP_2)
	v_lshlrev_b32_e32 v50, 2, v50
	ds_bpermute_b32 v58, v50, v49
	ds_bpermute_b32 v57, v50, v47
	ds_bpermute_b32 v56, v50, v48
	s_and_saveexec_b32 s16, vcc_lo
	s_cbranch_execz .LBB1001_143
; %bb.101:
	v_mov_b32_e32 v51, 0
	ds_load_b32 v59, v51 offset:2192
	ds_load_b64 v[47:48], v51 offset:2200
	s_and_saveexec_b32 s17, s14
	s_cbranch_execz .LBB1001_103
; %bb.102:
	s_add_i32 s18, s44, 32
	s_mov_b32 s19, 0
	v_dual_mov_b32 v49, s18 :: v_dual_mov_b32 v50, 1
	s_lshl_b64 s[20:21], s[18:19], 4
	s_delay_alu instid0(SALU_CYCLE_1)
	s_add_u32 s18, s36, s20
	s_addc_u32 s19, s37, s21
	s_waitcnt lgkmcnt(1)
	global_store_b32 v51, v59, s[18:19]
	s_waitcnt lgkmcnt(0)
	global_store_b64 v51, v[47:48], s[18:19] offset:8
	s_waitcnt_vscnt null, 0x0
	buffer_gl1_inv
	buffer_gl0_inv
	global_store_b8 v49, v50, s[40:41]
.LBB1001_103:
	s_or_b32 exec_lo, exec_lo, s17
	v_xad_u32 v49, v97, -1, s44
	s_mov_b32 s18, 0
	s_mov_b32 s17, exec_lo
	s_delay_alu instid0(VALU_DEP_1)
	v_add_nc_u32_e32 v50, 32, v49
	global_load_u8 v60, v50, s[40:41] glc
	s_waitcnt vmcnt(0)
	v_cmpx_eq_u16_e32 0, v60
	s_cbranch_execz .LBB1001_109
; %bb.104:
	v_add_co_u32 v52, s19, s40, v50
	s_delay_alu instid0(VALU_DEP_1)
	v_add_co_ci_u32_e64 v53, null, s41, 0, s19
	s_mov_b32 s19, 1
.LBB1001_105:                           ; =>This Loop Header: Depth=1
                                        ;     Child Loop BB1001_106 Depth 2
	s_delay_alu instid0(SALU_CYCLE_1)
	s_max_u32 s20, s19, 1
.LBB1001_106:                           ;   Parent Loop BB1001_105 Depth=1
                                        ; =>  This Inner Loop Header: Depth=2
	s_delay_alu instid0(SALU_CYCLE_1)
	s_add_i32 s20, s20, -1
	s_sleep 1
	s_cmp_eq_u32 s20, 0
	s_cbranch_scc0 .LBB1001_106
; %bb.107:                              ;   in Loop: Header=BB1001_105 Depth=1
	global_load_u8 v60, v[52:53], off glc
	s_cmp_lt_u32 s19, 32
	s_cselect_b32 s20, -1, 0
	s_delay_alu instid0(SALU_CYCLE_1) | instskip(SKIP_4) | instid1(SALU_CYCLE_1)
	s_cmp_lg_u32 s20, 0
	s_addc_u32 s19, s19, 0
	s_waitcnt vmcnt(0)
	v_cmp_ne_u16_e32 vcc_lo, 0, v60
	s_or_b32 s18, vcc_lo, s18
	s_and_not1_b32 exec_lo, exec_lo, s18
	s_cbranch_execnz .LBB1001_105
; %bb.108:
	s_or_b32 exec_lo, exec_lo, s18
.LBB1001_109:
	s_delay_alu instid0(SALU_CYCLE_1)
	s_or_b32 exec_lo, exec_lo, s17
	v_dual_mov_b32 v52, s37 :: v_dual_mov_b32 v53, s36
	v_cmp_eq_u16_e32 vcc_lo, 1, v60
	v_lshlrev_b64 v[50:51], 4, v[50:51]
	s_waitcnt lgkmcnt(0)
	s_waitcnt_vscnt null, 0x0
	buffer_gl1_inv
	buffer_gl0_inv
	v_lshlrev_b32_e64 v62, v97, -1
	s_mov_b32 s17, exec_lo
	v_cndmask_b32_e32 v53, s38, v53, vcc_lo
	v_cndmask_b32_e32 v52, s39, v52, vcc_lo
	s_delay_alu instid0(VALU_DEP_2) | instskip(NEXT) | instid1(VALU_DEP_2)
	v_add_co_u32 v50, vcc_lo, v53, v50
	v_add_co_ci_u32_e32 v51, vcc_lo, v52, v51, vcc_lo
	v_cmp_ne_u32_e32 vcc_lo, 31, v97
	s_clause 0x1
	global_load_b32 v72, v[50:51], off
	global_load_b64 v[53:54], v[50:51], off offset:8
	v_add_co_ci_u32_e32 v50, vcc_lo, 0, v97, vcc_lo
	v_cmp_eq_u16_e32 vcc_lo, 2, v60
	s_delay_alu instid0(VALU_DEP_2) | instskip(SKIP_1) | instid1(VALU_DEP_1)
	v_lshlrev_b32_e32 v61, 2, v50
	v_and_or_b32 v50, vcc_lo, v62, 0x80000000
	v_ctz_i32_b32_e32 v50, v50
	s_waitcnt vmcnt(1)
	ds_bpermute_b32 v51, v61, v72
	s_waitcnt vmcnt(0)
	ds_bpermute_b32 v52, v61, v53
	ds_bpermute_b32 v63, v61, v54
	v_cmpx_lt_u32_e64 v97, v50
	s_cbranch_execz .LBB1001_111
; %bb.110:
	v_cmp_eq_u32_e32 vcc_lo, 0, v72
	s_waitcnt lgkmcnt(0)
	v_dual_cndmask_b32 v63, 0, v63 :: v_dual_add_nc_u32 v72, v51, v72
	v_cndmask_b32_e32 v52, 0, v52, vcc_lo
	s_delay_alu instid0(VALU_DEP_1) | instskip(NEXT) | instid1(VALU_DEP_3)
	v_add_co_u32 v53, vcc_lo, v52, v53
	v_add_co_ci_u32_e32 v54, vcc_lo, v63, v54, vcc_lo
.LBB1001_111:
	s_or_b32 exec_lo, exec_lo, s17
	v_cmp_gt_u32_e32 vcc_lo, 30, v97
	v_add_nc_u32_e32 v64, 2, v97
	s_mov_b32 s17, exec_lo
	s_waitcnt lgkmcnt(2)
	v_cndmask_b32_e64 v51, 0, 1, vcc_lo
	s_delay_alu instid0(VALU_DEP_1) | instskip(SKIP_1) | instid1(VALU_DEP_1)
	v_lshlrev_b32_e32 v51, 1, v51
	s_waitcnt lgkmcnt(0)
	v_add_lshl_u32 v63, v51, v97, 2
	ds_bpermute_b32 v51, v63, v72
	ds_bpermute_b32 v52, v63, v53
	ds_bpermute_b32 v65, v63, v54
	v_cmpx_le_u32_e64 v64, v50
	s_cbranch_execz .LBB1001_113
; %bb.112:
	v_cmp_eq_u32_e32 vcc_lo, 0, v72
	s_waitcnt lgkmcnt(0)
	v_dual_cndmask_b32 v65, 0, v65 :: v_dual_add_nc_u32 v72, v51, v72
	v_cndmask_b32_e32 v52, 0, v52, vcc_lo
	s_delay_alu instid0(VALU_DEP_1) | instskip(NEXT) | instid1(VALU_DEP_3)
	v_add_co_u32 v53, vcc_lo, v52, v53
	v_add_co_ci_u32_e32 v54, vcc_lo, v65, v54, vcc_lo
.LBB1001_113:
	s_or_b32 exec_lo, exec_lo, s17
	v_cmp_gt_u32_e32 vcc_lo, 28, v97
	v_add_nc_u32_e32 v66, 4, v97
	s_mov_b32 s17, exec_lo
	s_waitcnt lgkmcnt(2)
	v_cndmask_b32_e64 v51, 0, 1, vcc_lo
	s_delay_alu instid0(VALU_DEP_1) | instskip(SKIP_1) | instid1(VALU_DEP_1)
	v_lshlrev_b32_e32 v51, 2, v51
	s_waitcnt lgkmcnt(0)
	v_add_lshl_u32 v65, v51, v97, 2
	ds_bpermute_b32 v51, v65, v72
	ds_bpermute_b32 v52, v65, v53
	ds_bpermute_b32 v67, v65, v54
	v_cmpx_le_u32_e64 v66, v50
	;; [unrolled: 24-line block ×3, first 2 shown]
	s_cbranch_execz .LBB1001_117
; %bb.116:
	v_cmp_eq_u32_e32 vcc_lo, 0, v72
	s_waitcnt lgkmcnt(0)
	v_dual_cndmask_b32 v69, 0, v69 :: v_dual_add_nc_u32 v72, v51, v72
	v_cndmask_b32_e32 v52, 0, v52, vcc_lo
	s_delay_alu instid0(VALU_DEP_1) | instskip(NEXT) | instid1(VALU_DEP_3)
	v_add_co_u32 v53, vcc_lo, v52, v53
	v_add_co_ci_u32_e32 v54, vcc_lo, v69, v54, vcc_lo
.LBB1001_117:
	s_or_b32 exec_lo, exec_lo, s17
	v_cmp_gt_u32_e32 vcc_lo, 16, v97
	v_add_nc_u32_e32 v71, 16, v97
	s_mov_b32 s17, exec_lo
	s_waitcnt lgkmcnt(2)
	v_cndmask_b32_e64 v51, 0, 1, vcc_lo
	s_delay_alu instid0(VALU_DEP_1) | instskip(NEXT) | instid1(VALU_DEP_1)
	v_lshlrev_b32_e32 v51, 4, v51
	v_add_lshl_u32 v70, v51, v97, 2
	ds_bpermute_b32 v51, v70, v72
	s_waitcnt lgkmcnt(2)
	ds_bpermute_b32 v52, v70, v53
	s_waitcnt lgkmcnt(2)
	ds_bpermute_b32 v69, v70, v54
	v_cmpx_le_u32_e64 v71, v50
	s_cbranch_execz .LBB1001_119
; %bb.118:
	v_cmp_eq_u32_e32 vcc_lo, 0, v72
	s_waitcnt lgkmcnt(2)
	v_add_nc_u32_e32 v72, v51, v72
	s_waitcnt lgkmcnt(1)
	v_cndmask_b32_e32 v52, 0, v52, vcc_lo
	s_waitcnt lgkmcnt(0)
	v_cndmask_b32_e32 v50, 0, v69, vcc_lo
	s_delay_alu instid0(VALU_DEP_2) | instskip(NEXT) | instid1(VALU_DEP_2)
	v_add_co_u32 v53, vcc_lo, v52, v53
	v_add_co_ci_u32_e32 v54, vcc_lo, v50, v54, vcc_lo
.LBB1001_119:
	s_or_b32 exec_lo, exec_lo, s17
	v_mov_b32_e32 v50, 0
	s_branch .LBB1001_121
.LBB1001_120:                           ;   in Loop: Header=BB1001_121 Depth=1
	s_or_b32 exec_lo, exec_lo, s17
	v_cmp_eq_u32_e32 vcc_lo, 0, v69
	v_subrev_nc_u32_e32 v49, 32, v49
	v_add_nc_u32_e32 v72, v72, v69
	v_dual_cndmask_b32 v54, 0, v54 :: v_dual_cndmask_b32 v53, 0, v53
	s_delay_alu instid0(VALU_DEP_1) | instskip(NEXT) | instid1(VALU_DEP_2)
	v_add_co_u32 v53, vcc_lo, v53, v51
	v_add_co_ci_u32_e32 v54, vcc_lo, v54, v52, vcc_lo
.LBB1001_121:                           ; =>This Loop Header: Depth=1
                                        ;     Child Loop BB1001_124 Depth 2
                                        ;       Child Loop BB1001_125 Depth 3
	s_waitcnt lgkmcnt(2)
	v_and_b32_e32 v51, 0xff, v60
	s_waitcnt lgkmcnt(0)
	v_mov_b32_e32 v69, v72
	s_delay_alu instid0(VALU_DEP_2) | instskip(SKIP_2) | instid1(VALU_DEP_1)
	v_cmp_ne_u16_e32 vcc_lo, 2, v51
	v_cndmask_b32_e64 v51, 0, 1, vcc_lo
	;;#ASMSTART
	;;#ASMEND
	v_cmp_ne_u32_e32 vcc_lo, 0, v51
	v_dual_mov_b32 v51, v53 :: v_dual_mov_b32 v52, v54
	s_cmp_lg_u32 vcc_lo, exec_lo
	s_cbranch_scc1 .LBB1001_138
; %bb.122:                              ;   in Loop: Header=BB1001_121 Depth=1
	global_load_u8 v60, v49, s[40:41] glc
	s_mov_b32 s17, exec_lo
	s_waitcnt vmcnt(0)
	v_cmpx_eq_u16_e32 0, v60
	s_cbranch_execz .LBB1001_128
; %bb.123:                              ;   in Loop: Header=BB1001_121 Depth=1
	v_add_co_u32 v53, s18, s40, v49
	s_delay_alu instid0(VALU_DEP_1)
	v_add_co_ci_u32_e64 v54, null, s41, 0, s18
	s_mov_b32 s19, 1
	s_mov_b32 s18, 0
.LBB1001_124:                           ;   Parent Loop BB1001_121 Depth=1
                                        ; =>  This Loop Header: Depth=2
                                        ;       Child Loop BB1001_125 Depth 3
	s_max_u32 s20, s19, 1
.LBB1001_125:                           ;   Parent Loop BB1001_121 Depth=1
                                        ;     Parent Loop BB1001_124 Depth=2
                                        ; =>    This Inner Loop Header: Depth=3
	s_delay_alu instid0(SALU_CYCLE_1)
	s_add_i32 s20, s20, -1
	s_sleep 1
	s_cmp_eq_u32 s20, 0
	s_cbranch_scc0 .LBB1001_125
; %bb.126:                              ;   in Loop: Header=BB1001_124 Depth=2
	global_load_u8 v60, v[53:54], off glc
	s_cmp_lt_u32 s19, 32
	s_cselect_b32 s20, -1, 0
	s_delay_alu instid0(SALU_CYCLE_1) | instskip(SKIP_4) | instid1(SALU_CYCLE_1)
	s_cmp_lg_u32 s20, 0
	s_addc_u32 s19, s19, 0
	s_waitcnt vmcnt(0)
	v_cmp_ne_u16_e32 vcc_lo, 0, v60
	s_or_b32 s18, vcc_lo, s18
	s_and_not1_b32 exec_lo, exec_lo, s18
	s_cbranch_execnz .LBB1001_124
; %bb.127:                              ;   in Loop: Header=BB1001_121 Depth=1
	s_or_b32 exec_lo, exec_lo, s18
.LBB1001_128:                           ;   in Loop: Header=BB1001_121 Depth=1
	s_delay_alu instid0(SALU_CYCLE_1)
	s_or_b32 exec_lo, exec_lo, s17
	v_dual_mov_b32 v72, s37 :: v_dual_mov_b32 v73, s36
	v_cmp_eq_u16_e32 vcc_lo, 1, v60
	v_lshlrev_b64 v[53:54], 4, v[49:50]
	buffer_gl1_inv
	buffer_gl0_inv
	s_mov_b32 s17, exec_lo
	v_cndmask_b32_e32 v73, s38, v73, vcc_lo
	v_cndmask_b32_e32 v72, s39, v72, vcc_lo
	s_delay_alu instid0(VALU_DEP_2) | instskip(NEXT) | instid1(VALU_DEP_2)
	v_add_co_u32 v53, vcc_lo, v73, v53
	v_add_co_ci_u32_e32 v54, vcc_lo, v72, v54, vcc_lo
	v_cmp_eq_u16_e32 vcc_lo, 2, v60
	s_clause 0x1
	global_load_b32 v72, v[53:54], off
	global_load_b64 v[53:54], v[53:54], off offset:8
	v_and_or_b32 v73, vcc_lo, v62, 0x80000000
	s_delay_alu instid0(VALU_DEP_1)
	v_ctz_i32_b32_e32 v73, v73
	s_waitcnt vmcnt(1)
	ds_bpermute_b32 v74, v61, v72
	s_waitcnt vmcnt(0)
	ds_bpermute_b32 v75, v61, v53
	ds_bpermute_b32 v76, v61, v54
	v_cmpx_lt_u32_e64 v97, v73
	s_cbranch_execz .LBB1001_130
; %bb.129:                              ;   in Loop: Header=BB1001_121 Depth=1
	v_cmp_eq_u32_e32 vcc_lo, 0, v72
	s_waitcnt lgkmcnt(2)
	v_add_nc_u32_e32 v72, v74, v72
	s_waitcnt lgkmcnt(0)
	v_dual_cndmask_b32 v76, 0, v76 :: v_dual_cndmask_b32 v75, 0, v75
	s_delay_alu instid0(VALU_DEP_1) | instskip(NEXT) | instid1(VALU_DEP_2)
	v_add_co_u32 v53, vcc_lo, v75, v53
	v_add_co_ci_u32_e32 v54, vcc_lo, v76, v54, vcc_lo
.LBB1001_130:                           ;   in Loop: Header=BB1001_121 Depth=1
	s_or_b32 exec_lo, exec_lo, s17
	s_waitcnt lgkmcnt(2)
	ds_bpermute_b32 v74, v63, v72
	s_waitcnt lgkmcnt(2)
	ds_bpermute_b32 v75, v63, v53
	s_waitcnt lgkmcnt(2)
	ds_bpermute_b32 v76, v63, v54
	s_mov_b32 s17, exec_lo
	v_cmpx_le_u32_e64 v64, v73
	s_cbranch_execz .LBB1001_132
; %bb.131:                              ;   in Loop: Header=BB1001_121 Depth=1
	v_cmp_eq_u32_e32 vcc_lo, 0, v72
	s_waitcnt lgkmcnt(2)
	v_add_nc_u32_e32 v72, v74, v72
	s_waitcnt lgkmcnt(0)
	v_dual_cndmask_b32 v76, 0, v76 :: v_dual_cndmask_b32 v75, 0, v75
	s_delay_alu instid0(VALU_DEP_1) | instskip(NEXT) | instid1(VALU_DEP_2)
	v_add_co_u32 v53, vcc_lo, v75, v53
	v_add_co_ci_u32_e32 v54, vcc_lo, v76, v54, vcc_lo
.LBB1001_132:                           ;   in Loop: Header=BB1001_121 Depth=1
	s_or_b32 exec_lo, exec_lo, s17
	s_waitcnt lgkmcnt(2)
	ds_bpermute_b32 v74, v65, v72
	s_waitcnt lgkmcnt(2)
	ds_bpermute_b32 v75, v65, v53
	s_waitcnt lgkmcnt(2)
	ds_bpermute_b32 v76, v65, v54
	s_mov_b32 s17, exec_lo
	v_cmpx_le_u32_e64 v66, v73
	;; [unrolled: 20-line block ×4, first 2 shown]
	s_cbranch_execz .LBB1001_120
; %bb.137:                              ;   in Loop: Header=BB1001_121 Depth=1
	v_cmp_eq_u32_e32 vcc_lo, 0, v72
	s_waitcnt lgkmcnt(1)
	v_dual_cndmask_b32 v75, 0, v75 :: v_dual_add_nc_u32 v72, v74, v72
	s_waitcnt lgkmcnt(0)
	v_cndmask_b32_e32 v73, 0, v76, vcc_lo
	s_delay_alu instid0(VALU_DEP_2) | instskip(NEXT) | instid1(VALU_DEP_2)
	v_add_co_u32 v53, vcc_lo, v75, v53
	v_add_co_ci_u32_e32 v54, vcc_lo, v73, v54, vcc_lo
	s_branch .LBB1001_120
.LBB1001_138:                           ;   in Loop: Header=BB1001_121 Depth=1
                                        ; implicit-def: $vgpr53_vgpr54
                                        ; implicit-def: $vgpr72
                                        ; implicit-def: $vgpr60
	s_cbranch_execz .LBB1001_121
; %bb.139:
	s_and_saveexec_b32 s17, s14
	s_cbranch_execz .LBB1001_141
; %bb.140:
	v_cmp_eq_u32_e32 vcc_lo, 0, v59
	s_mov_b32 s19, 0
	s_add_i32 s18, s44, 32
	v_dual_mov_b32 v54, 0 :: v_dual_add_nc_u32 v53, v69, v59
	v_dual_cndmask_b32 v50, 0, v52 :: v_dual_cndmask_b32 v49, 0, v51
	s_lshl_b64 s[20:21], s[18:19], 4
	v_dual_mov_b32 v60, s18 :: v_dual_mov_b32 v61, 2
	s_add_u32 s20, s38, s20
	s_delay_alu instid0(VALU_DEP_2)
	v_add_co_u32 v49, vcc_lo, v49, v47
	v_add_co_ci_u32_e32 v50, vcc_lo, v50, v48, vcc_lo
	s_addc_u32 s21, s39, s21
	s_clause 0x1
	global_store_b32 v54, v53, s[20:21]
	global_store_b64 v54, v[49:50], s[20:21] offset:8
	s_waitcnt lgkmcnt(0)
	s_waitcnt_vscnt null, 0x0
	buffer_gl1_inv
	buffer_gl0_inv
	global_store_b8 v60, v61, s[40:41]
	ds_store_b32 v54, v59 offset:2048
	ds_store_b64 v54, v[47:48] offset:2056
	ds_store_b32 v54, v69 offset:2064
	ds_store_b64 v54, v[51:52] offset:2072
.LBB1001_141:
	s_or_b32 exec_lo, exec_lo, s17
	s_delay_alu instid0(SALU_CYCLE_1)
	s_and_b32 exec_lo, exec_lo, s2
	s_cbranch_execz .LBB1001_143
; %bb.142:
	v_mov_b32_e32 v47, 0
	ds_store_b32 v47, v69 offset:2192
	ds_store_b64 v47, v[51:52] offset:2200
.LBB1001_143:
	s_or_b32 exec_lo, exec_lo, s16
	s_waitcnt lgkmcnt(2)
	v_cndmask_b32_e64 v50, v58, v55, s14
	s_waitcnt lgkmcnt(0)
	s_waitcnt_vscnt null, 0x0
	s_barrier
	buffer_gl0_inv
	v_cndmask_b32_e64 v45, v57, v45, s14
	v_cmp_eq_u32_e32 vcc_lo, 0, v50
	v_mov_b32_e32 v49, 0
	v_cndmask_b32_e64 v46, v56, v46, s14
	v_cndmask_b32_e64 v50, v50, 0, s2
	ds_load_b64 v[47:48], v49 offset:2200
	s_waitcnt lgkmcnt(0)
	v_dual_cndmask_b32 v52, 0, v47 :: v_dual_cndmask_b32 v51, 0, v48
	s_delay_alu instid0(VALU_DEP_1) | instskip(NEXT) | instid1(VALU_DEP_2)
	v_add_co_u32 v45, vcc_lo, v52, v45
	v_add_co_ci_u32_e32 v46, vcc_lo, v51, v46, vcc_lo
	v_cmp_eq_u32_e32 vcc_lo, 0, v96
	s_delay_alu instid0(VALU_DEP_3) | instskip(NEXT) | instid1(VALU_DEP_3)
	v_cndmask_b32_e64 v63, v45, v47, s2
	v_cndmask_b32_e64 v64, v46, v48, s2
	ds_load_b32 v48, v49 offset:2192
	s_waitcnt lgkmcnt(0)
	v_cndmask_b32_e32 v46, 0, v63, vcc_lo
	s_barrier
	v_cndmask_b32_e32 v45, 0, v64, vcc_lo
	buffer_gl0_inv
	ds_load_b64 v[100:101], v49 offset:2056
	v_add_co_u32 v59, vcc_lo, v46, v41
	v_add_co_ci_u32_e32 v60, vcc_lo, v45, v42, vcc_lo
	s_delay_alu instid0(VALU_DEP_2) | instskip(NEXT) | instid1(VALU_DEP_2)
	v_cndmask_b32_e64 v45, 0, v59, s13
	v_cndmask_b32_e64 v46, 0, v60, s13
	s_delay_alu instid0(VALU_DEP_2) | instskip(NEXT) | instid1(VALU_DEP_2)
	v_add_co_u32 v65, vcc_lo, v45, v39
	v_add_co_ci_u32_e32 v66, vcc_lo, v46, v40, vcc_lo
	v_add_nc_u32_e32 v98, v48, v50
	s_delay_alu instid0(VALU_DEP_3) | instskip(NEXT) | instid1(VALU_DEP_3)
	v_cndmask_b32_e64 v45, 0, v65, s12
	v_cndmask_b32_e64 v46, 0, v66, s12
	s_delay_alu instid0(VALU_DEP_2) | instskip(NEXT) | instid1(VALU_DEP_2)
	v_add_co_u32 v69, vcc_lo, v45, v37
	v_add_co_ci_u32_e32 v70, vcc_lo, v46, v38, vcc_lo
	s_delay_alu instid0(VALU_DEP_2) | instskip(NEXT) | instid1(VALU_DEP_2)
	v_cndmask_b32_e64 v45, 0, v69, s11
	v_cndmask_b32_e64 v46, 0, v70, s11
	s_delay_alu instid0(VALU_DEP_2) | instskip(NEXT) | instid1(VALU_DEP_2)
	v_add_co_u32 v51, vcc_lo, v45, v35
	v_add_co_ci_u32_e32 v52, vcc_lo, v46, v36, vcc_lo
	s_delay_alu instid0(VALU_DEP_2) | instskip(NEXT) | instid1(VALU_DEP_2)
	;; [unrolled: 6-line block ×7, first 2 shown]
	v_cndmask_b32_e64 v45, 0, v53, s5
	v_cndmask_b32_e64 v46, 0, v54, s5
	s_delay_alu instid0(VALU_DEP_2) | instskip(NEXT) | instid1(VALU_DEP_2)
	v_add_co_u32 v57, vcc_lo, v45, v25
	v_add_co_ci_u32_e32 v58, vcc_lo, v46, v26, vcc_lo
	ds_load_b32 v45, v49 offset:2048
	v_cndmask_b32_e64 v46, 0, v57, s4
	v_cndmask_b32_e64 v47, 0, v58, s4
	s_delay_alu instid0(VALU_DEP_2) | instskip(NEXT) | instid1(VALU_DEP_2)
	v_add_co_u32 v73, vcc_lo, v46, v21
	v_add_co_ci_u32_e32 v74, vcc_lo, v47, v22, vcc_lo
	ds_load_b64 v[46:47], v49 offset:2072
	v_cndmask_b32_e64 v75, 0, v73, s3
	ds_load_b32 v49, v49 offset:2064
	v_cndmask_b32_e64 v76, 0, v74, s3
	v_add_co_u32 v75, vcc_lo, v75, v19
	s_delay_alu instid0(VALU_DEP_2) | instskip(SKIP_2) | instid1(VALU_DEP_3)
	v_add_co_ci_u32_e32 v76, vcc_lo, v76, v20, vcc_lo
	s_waitcnt lgkmcnt(2)
	v_cmp_eq_u32_e32 vcc_lo, 0, v45
	v_cndmask_b32_e64 v77, 0, v75, s1
	s_delay_alu instid0(VALU_DEP_3) | instskip(NEXT) | instid1(VALU_DEP_2)
	v_cndmask_b32_e64 v78, 0, v76, s1
	v_add_co_u32 v77, s1, v77, v17
	s_delay_alu instid0(VALU_DEP_1)
	v_add_co_ci_u32_e64 v78, s1, v78, v18, s1
	s_waitcnt lgkmcnt(1)
	v_cndmask_b32_e32 v46, 0, v46, vcc_lo
	v_cndmask_b32_e32 v102, 0, v47, vcc_lo
	v_cndmask_b32_e64 v79, 0, v77, s0
	v_cndmask_b32_e64 v80, 0, v78, s0
	s_delay_alu instid0(VALU_DEP_4) | instskip(NEXT) | instid1(VALU_DEP_4)
	v_add_co_u32 v47, vcc_lo, v46, v100
	v_add_co_ci_u32_e32 v48, vcc_lo, v102, v101, vcc_lo
	s_branch .LBB1001_172
.LBB1001_144:
                                        ; implicit-def: $vgpr45
                                        ; implicit-def: $vgpr47_vgpr48
                                        ; implicit-def: $vgpr49
                                        ; implicit-def: $vgpr63_vgpr64
                                        ; implicit-def: $vgpr59_vgpr60
                                        ; implicit-def: $vgpr65_vgpr66
                                        ; implicit-def: $vgpr69_vgpr70
                                        ; implicit-def: $vgpr51_vgpr52
                                        ; implicit-def: $vgpr55_vgpr56
                                        ; implicit-def: $vgpr61_vgpr62
                                        ; implicit-def: $vgpr67_vgpr68
                                        ; implicit-def: $vgpr71_vgpr72
                                        ; implicit-def: $vgpr53_vgpr54
                                        ; implicit-def: $vgpr57_vgpr58
                                        ; implicit-def: $vgpr73_vgpr74
                                        ; implicit-def: $vgpr75_vgpr76
                                        ; implicit-def: $vgpr77_vgpr78
                                        ; implicit-def: $vgpr79_vgpr80
                                        ; implicit-def: $vgpr98
	s_cbranch_execz .LBB1001_172
; %bb.145:
	s_and_b32 s0, s15, exec_lo
	s_waitcnt lgkmcnt(0)
	v_dual_mov_b32 v50, v42 :: v_dual_mov_b32 v49, v41
	s_cselect_b32 s1, 0, s29
	s_cselect_b32 s0, 0, s28
	s_delay_alu instid0(SALU_CYCLE_1)
	s_cmp_eq_u64 s[0:1], 0
	s_cbranch_scc1 .LBB1001_147
; %bb.146:
	v_mov_b32_e32 v45, 0
	global_load_b64 v[49:50], v45, s[0:1]
.LBB1001_147:
	v_cmp_eq_u32_e64 s12, 0, v95
	v_cmp_eq_u32_e64 s11, 0, v94
	v_cmp_eq_u32_e64 s10, 0, v93
	v_cmp_eq_u32_e64 s9, 0, v92
	v_cmp_eq_u32_e64 s8, 0, v91
	v_cndmask_b32_e64 v46, 0, v41, s12
	v_cndmask_b32_e64 v45, 0, v42, s12
	v_cmp_eq_u32_e64 s7, 0, v90
	v_cmp_eq_u32_e64 s6, 0, v88
	;; [unrolled: 1-line block ×3, first 2 shown]
	v_add_co_u32 v46, vcc_lo, v46, v39
	v_add_co_ci_u32_e32 v45, vcc_lo, v45, v40, vcc_lo
	v_cmp_eq_u32_e64 s4, 0, v86
	s_delay_alu instid0(VALU_DEP_3) | instskip(SKIP_1) | instid1(VALU_DEP_4)
	v_cndmask_b32_e64 v46, 0, v46, s11
	v_cmp_eq_u32_e64 s3, 0, v85
	v_cndmask_b32_e64 v45, 0, v45, s11
	v_cmp_eq_u32_e64 s1, 0, v83
	v_add3_u32 v47, v99, v91, v90
	v_add_co_u32 v46, vcc_lo, v46, v37
	s_delay_alu instid0(VALU_DEP_4) | instskip(NEXT) | instid1(VALU_DEP_3)
	v_add_co_ci_u32_e32 v45, vcc_lo, v45, v38, vcc_lo
	v_add3_u32 v47, v47, v88, v87
	s_delay_alu instid0(VALU_DEP_3) | instskip(SKIP_1) | instid1(VALU_DEP_3)
	v_cndmask_b32_e64 v46, 0, v46, s10
	s_mov_b32 s14, exec_lo
	v_cndmask_b32_e64 v45, 0, v45, s10
	s_delay_alu instid0(VALU_DEP_3) | instskip(NEXT) | instid1(VALU_DEP_3)
	v_add3_u32 v47, v47, v86, v85
	v_add_co_u32 v46, vcc_lo, v46, v35
	s_delay_alu instid0(VALU_DEP_3) | instskip(NEXT) | instid1(VALU_DEP_3)
	v_add_co_ci_u32_e32 v45, vcc_lo, v45, v36, vcc_lo
	v_add3_u32 v47, v47, v84, v83
	s_delay_alu instid0(VALU_DEP_3) | instskip(NEXT) | instid1(VALU_DEP_3)
	v_cndmask_b32_e64 v46, 0, v46, s9
	v_cndmask_b32_e64 v45, 0, v45, s9
	s_delay_alu instid0(VALU_DEP_3) | instskip(NEXT) | instid1(VALU_DEP_3)
	v_add3_u32 v47, v47, v82, v89
	v_add_co_u32 v46, vcc_lo, v46, v33
	s_delay_alu instid0(VALU_DEP_3) | instskip(NEXT) | instid1(VALU_DEP_2)
	v_add_co_ci_u32_e32 v45, vcc_lo, v45, v34, vcc_lo
	v_cndmask_b32_e64 v46, 0, v46, s8
	s_delay_alu instid0(VALU_DEP_2) | instskip(NEXT) | instid1(VALU_DEP_2)
	v_cndmask_b32_e64 v45, 0, v45, s8
	v_add_co_u32 v46, vcc_lo, v46, v31
	s_delay_alu instid0(VALU_DEP_2) | instskip(NEXT) | instid1(VALU_DEP_2)
	v_add_co_ci_u32_e32 v45, vcc_lo, v45, v32, vcc_lo
	v_cndmask_b32_e64 v46, 0, v46, s7
	s_delay_alu instid0(VALU_DEP_2) | instskip(NEXT) | instid1(VALU_DEP_2)
	v_cndmask_b32_e64 v45, 0, v45, s7
	v_add_co_u32 v46, vcc_lo, v46, v27
	s_delay_alu instid0(VALU_DEP_2) | instskip(NEXT) | instid1(VALU_DEP_2)
	;; [unrolled: 6-line block ×5, first 2 shown]
	v_add_co_ci_u32_e32 v45, vcc_lo, v45, v26, vcc_lo
	v_cndmask_b32_e64 v46, 0, v46, s3
	s_delay_alu instid0(VALU_DEP_2) | instskip(NEXT) | instid1(VALU_DEP_2)
	v_cndmask_b32_e64 v45, 0, v45, s3
	v_add_co_u32 v46, vcc_lo, v46, v21
	s_delay_alu instid0(VALU_DEP_2) | instskip(SKIP_1) | instid1(VALU_DEP_2)
	v_add_co_ci_u32_e32 v45, vcc_lo, v45, v22, vcc_lo
	v_cmp_eq_u32_e32 vcc_lo, 0, v84
	v_dual_cndmask_b32 v45, 0, v45 :: v_dual_cndmask_b32 v46, 0, v46
	s_delay_alu instid0(VALU_DEP_1) | instskip(NEXT) | instid1(VALU_DEP_1)
	v_add_co_u32 v46, s0, v46, v19
	v_add_co_ci_u32_e64 v45, s0, v45, v20, s0
	s_delay_alu instid0(VALU_DEP_2) | instskip(NEXT) | instid1(VALU_DEP_2)
	v_cndmask_b32_e64 v46, 0, v46, s1
	v_cndmask_b32_e64 v45, 0, v45, s1
	s_delay_alu instid0(VALU_DEP_2) | instskip(NEXT) | instid1(VALU_DEP_1)
	v_add_co_u32 v46, s0, v46, v17
	v_add_co_ci_u32_e64 v45, s0, v45, v18, s0
	v_cmp_eq_u32_e64 s0, 0, v82
	s_delay_alu instid0(VALU_DEP_1) | instskip(NEXT) | instid1(VALU_DEP_3)
	v_cndmask_b32_e64 v46, 0, v46, s0
	v_cndmask_b32_e64 v45, 0, v45, s0
	s_delay_alu instid0(VALU_DEP_2) | instskip(NEXT) | instid1(VALU_DEP_1)
	v_add_co_u32 v46, s13, v46, v15
	v_add_co_ci_u32_e64 v45, s13, v45, v16, s13
	v_cmp_eq_u32_e64 s13, 0, v89
	s_delay_alu instid0(VALU_DEP_1) | instskip(NEXT) | instid1(VALU_DEP_3)
	v_cndmask_b32_e64 v46, 0, v46, s13
	v_cndmask_b32_e64 v45, 0, v45, s13
	s_delay_alu instid0(VALU_DEP_2) | instskip(NEXT) | instid1(VALU_DEP_1)
	v_add_co_u32 v43, s13, v46, v43
	v_add_co_ci_u32_e64 v44, s13, v45, v44, s13
	v_and_b32_e32 v45, 15, v97
	v_mov_b32_dpp v46, v47 row_shr:1 row_mask:0xf bank_mask:0xf
	s_delay_alu instid0(VALU_DEP_4) | instskip(NEXT) | instid1(VALU_DEP_4)
	v_mov_b32_dpp v48, v43 row_shr:1 row_mask:0xf bank_mask:0xf
	v_mov_b32_dpp v51, v44 row_shr:1 row_mask:0xf bank_mask:0xf
	s_delay_alu instid0(VALU_DEP_4)
	v_cmpx_ne_u32_e32 0, v45
; %bb.148:
	v_cmp_eq_u32_e64 s13, 0, v47
	v_add_nc_u32_e32 v47, v46, v47
	s_delay_alu instid0(VALU_DEP_2) | instskip(SKIP_1) | instid1(VALU_DEP_2)
	v_cndmask_b32_e64 v48, 0, v48, s13
	v_cndmask_b32_e64 v51, 0, v51, s13
	v_add_co_u32 v43, s13, v48, v43
	s_delay_alu instid0(VALU_DEP_1)
	v_add_co_ci_u32_e64 v44, s13, v51, v44, s13
; %bb.149:
	s_or_b32 exec_lo, exec_lo, s14
	v_mov_b32_dpp v46, v47 row_shr:2 row_mask:0xf bank_mask:0xf
	s_delay_alu instid0(VALU_DEP_3) | instskip(NEXT) | instid1(VALU_DEP_3)
	v_mov_b32_dpp v48, v43 row_shr:2 row_mask:0xf bank_mask:0xf
	v_mov_b32_dpp v51, v44 row_shr:2 row_mask:0xf bank_mask:0xf
	s_mov_b32 s14, exec_lo
	v_cmpx_lt_u32_e32 1, v45
; %bb.150:
	v_cmp_eq_u32_e64 s13, 0, v47
	v_add_nc_u32_e32 v47, v46, v47
	s_delay_alu instid0(VALU_DEP_2) | instskip(SKIP_1) | instid1(VALU_DEP_2)
	v_cndmask_b32_e64 v48, 0, v48, s13
	v_cndmask_b32_e64 v51, 0, v51, s13
	v_add_co_u32 v43, s13, v48, v43
	s_delay_alu instid0(VALU_DEP_1)
	v_add_co_ci_u32_e64 v44, s13, v51, v44, s13
; %bb.151:
	s_or_b32 exec_lo, exec_lo, s14
	v_mov_b32_dpp v46, v47 row_shr:4 row_mask:0xf bank_mask:0xf
	s_delay_alu instid0(VALU_DEP_3) | instskip(NEXT) | instid1(VALU_DEP_3)
	v_mov_b32_dpp v48, v43 row_shr:4 row_mask:0xf bank_mask:0xf
	v_mov_b32_dpp v51, v44 row_shr:4 row_mask:0xf bank_mask:0xf
	s_mov_b32 s14, exec_lo
	v_cmpx_lt_u32_e32 3, v45
	;; [unrolled: 17-line block ×3, first 2 shown]
; %bb.154:
	v_cmp_eq_u32_e64 s13, 0, v47
	v_add_nc_u32_e32 v47, v46, v47
	s_delay_alu instid0(VALU_DEP_2) | instskip(SKIP_1) | instid1(VALU_DEP_2)
	v_cndmask_b32_e64 v48, 0, v48, s13
	v_cndmask_b32_e64 v45, 0, v51, s13
	v_add_co_u32 v43, s13, v48, v43
	s_delay_alu instid0(VALU_DEP_1)
	v_add_co_ci_u32_e64 v44, s13, v45, v44, s13
; %bb.155:
	s_or_b32 exec_lo, exec_lo, s14
	ds_swizzle_b32 v45, v47 offset:swizzle(BROADCAST,32,15)
	ds_swizzle_b32 v46, v43 offset:swizzle(BROADCAST,32,15)
	ds_swizzle_b32 v48, v44 offset:swizzle(BROADCAST,32,15)
	v_and_b32_e32 v51, 16, v97
	s_mov_b32 s14, exec_lo
	s_delay_alu instid0(VALU_DEP_1)
	v_cmpx_ne_u32_e32 0, v51
	s_cbranch_execz .LBB1001_157
; %bb.156:
	v_cmp_eq_u32_e64 s13, 0, v47
	s_waitcnt lgkmcnt(2)
	v_add_nc_u32_e32 v47, v45, v47
	s_waitcnt lgkmcnt(1)
	s_delay_alu instid0(VALU_DEP_2) | instskip(SKIP_2) | instid1(VALU_DEP_2)
	v_cndmask_b32_e64 v46, 0, v46, s13
	s_waitcnt lgkmcnt(0)
	v_cndmask_b32_e64 v48, 0, v48, s13
	v_add_co_u32 v43, s13, v46, v43
	s_delay_alu instid0(VALU_DEP_1)
	v_add_co_ci_u32_e64 v44, s13, v48, v44, s13
.LBB1001_157:
	s_or_b32 exec_lo, exec_lo, s14
	s_waitcnt lgkmcnt(2)
	v_or_b32_e32 v45, 31, v0
	s_waitcnt lgkmcnt(0)
	v_lshrrev_b32_e32 v48, 5, v0
	s_mov_b32 s14, exec_lo
	s_delay_alu instid0(VALU_DEP_2)
	v_cmpx_eq_u32_e64 v45, v0
	s_cbranch_execz .LBB1001_159
; %bb.158:
	s_delay_alu instid0(VALU_DEP_2)
	v_lshlrev_b32_e32 v45, 4, v48
	ds_store_b32 v45, v47 offset:2080
	ds_store_b64 v45, v[43:44] offset:2088
.LBB1001_159:
	s_or_b32 exec_lo, exec_lo, s14
	s_delay_alu instid0(SALU_CYCLE_1)
	s_mov_b32 s14, exec_lo
	s_waitcnt vmcnt(0) lgkmcnt(0)
	s_barrier
	buffer_gl0_inv
	v_cmpx_gt_u32_e32 8, v0
	s_cbranch_execz .LBB1001_167
; %bb.160:
	v_lshlrev_b32_e32 v51, 4, v0
	v_and_b32_e32 v53, 7, v97
	s_mov_b32 s16, exec_lo
	ds_load_b32 v52, v51 offset:2080
	ds_load_b64 v[45:46], v51 offset:2088
	s_waitcnt lgkmcnt(1)
	v_mov_b32_dpp v54, v52 row_shr:1 row_mask:0xf bank_mask:0xf
	s_waitcnt lgkmcnt(0)
	v_mov_b32_dpp v55, v45 row_shr:1 row_mask:0xf bank_mask:0xf
	v_mov_b32_dpp v56, v46 row_shr:1 row_mask:0xf bank_mask:0xf
	v_cmpx_ne_u32_e32 0, v53
; %bb.161:
	v_cmp_eq_u32_e64 s13, 0, v52
	v_add_nc_u32_e32 v52, v54, v52
	s_delay_alu instid0(VALU_DEP_2) | instskip(SKIP_1) | instid1(VALU_DEP_2)
	v_cndmask_b32_e64 v55, 0, v55, s13
	v_cndmask_b32_e64 v56, 0, v56, s13
	v_add_co_u32 v45, s13, v55, v45
	s_delay_alu instid0(VALU_DEP_1)
	v_add_co_ci_u32_e64 v46, s13, v56, v46, s13
; %bb.162:
	s_or_b32 exec_lo, exec_lo, s16
	v_mov_b32_dpp v54, v52 row_shr:2 row_mask:0xf bank_mask:0xf
	s_delay_alu instid0(VALU_DEP_3) | instskip(NEXT) | instid1(VALU_DEP_3)
	v_mov_b32_dpp v55, v45 row_shr:2 row_mask:0xf bank_mask:0xf
	v_mov_b32_dpp v56, v46 row_shr:2 row_mask:0xf bank_mask:0xf
	s_mov_b32 s16, exec_lo
	v_cmpx_lt_u32_e32 1, v53
; %bb.163:
	v_cmp_eq_u32_e64 s13, 0, v52
	v_add_nc_u32_e32 v52, v54, v52
	s_delay_alu instid0(VALU_DEP_2) | instskip(SKIP_1) | instid1(VALU_DEP_2)
	v_cndmask_b32_e64 v55, 0, v55, s13
	v_cndmask_b32_e64 v56, 0, v56, s13
	v_add_co_u32 v45, s13, v55, v45
	s_delay_alu instid0(VALU_DEP_1)
	v_add_co_ci_u32_e64 v46, s13, v56, v46, s13
; %bb.164:
	s_or_b32 exec_lo, exec_lo, s16
	v_mov_b32_dpp v54, v52 row_shr:4 row_mask:0xf bank_mask:0xf
	s_delay_alu instid0(VALU_DEP_3) | instskip(NEXT) | instid1(VALU_DEP_3)
	v_mov_b32_dpp v55, v45 row_shr:4 row_mask:0xf bank_mask:0xf
	v_mov_b32_dpp v56, v46 row_shr:4 row_mask:0xf bank_mask:0xf
	s_mov_b32 s16, exec_lo
	v_cmpx_lt_u32_e32 3, v53
; %bb.165:
	v_cmp_eq_u32_e64 s13, 0, v52
	v_add_nc_u32_e32 v52, v54, v52
	s_delay_alu instid0(VALU_DEP_2) | instskip(SKIP_1) | instid1(VALU_DEP_2)
	v_cndmask_b32_e64 v55, 0, v55, s13
	v_cndmask_b32_e64 v53, 0, v56, s13
	v_add_co_u32 v45, s13, v55, v45
	s_delay_alu instid0(VALU_DEP_1)
	v_add_co_ci_u32_e64 v46, s13, v53, v46, s13
; %bb.166:
	s_or_b32 exec_lo, exec_lo, s16
	ds_store_b32 v51, v52 offset:2080
	ds_store_b64 v51, v[45:46] offset:2088
.LBB1001_167:
	s_or_b32 exec_lo, exec_lo, s14
	v_mov_b32_e32 v45, v49
	v_dual_mov_b32 v75, 0 :: v_dual_mov_b32 v46, v50
	v_mov_b32_e32 v51, 0
	s_mov_b32 s14, exec_lo
	s_waitcnt lgkmcnt(0)
	s_barrier
	buffer_gl0_inv
	v_cmpx_lt_u32_e32 31, v0
	s_cbranch_execz .LBB1001_169
; %bb.168:
	v_lshlrev_b32_e32 v45, 4, v48
	ds_load_b32 v51, v45 offset:2064
	ds_load_b64 v[45:46], v45 offset:2072
	s_waitcnt lgkmcnt(1)
	v_cmp_eq_u32_e64 s13, 0, v51
	s_delay_alu instid0(VALU_DEP_1) | instskip(SKIP_2) | instid1(VALU_DEP_2)
	v_cndmask_b32_e64 v52, 0, v49, s13
	v_cndmask_b32_e64 v48, 0, v50, s13
	s_waitcnt lgkmcnt(0)
	v_add_co_u32 v45, s13, v52, v45
	s_delay_alu instid0(VALU_DEP_1)
	v_add_co_ci_u32_e64 v46, s13, v48, v46, s13
.LBB1001_169:
	s_or_b32 exec_lo, exec_lo, s14
	v_add_nc_u32_e32 v48, -1, v97
	v_cmp_eq_u32_e64 s13, 0, v47
	v_add_nc_u32_e32 v47, v51, v47
	s_delay_alu instid0(VALU_DEP_3) | instskip(NEXT) | instid1(VALU_DEP_3)
	v_cmp_gt_i32_e64 s14, 0, v48
	v_cndmask_b32_e64 v53, 0, v45, s13
	v_cndmask_b32_e64 v52, 0, v46, s13
	s_delay_alu instid0(VALU_DEP_3) | instskip(NEXT) | instid1(VALU_DEP_3)
	v_cndmask_b32_e64 v48, v48, v97, s14
	v_add_co_u32 v43, s13, v53, v43
	s_delay_alu instid0(VALU_DEP_1) | instskip(NEXT) | instid1(VALU_DEP_3)
	v_add_co_ci_u32_e64 v44, s13, v52, v44, s13
	v_lshlrev_b32_e32 v48, 2, v48
	v_cmp_eq_u32_e64 s13, 0, v97
	ds_bpermute_b32 v43, v48, v43
	ds_bpermute_b32 v44, v48, v44
	;; [unrolled: 1-line block ×3, first 2 shown]
	s_waitcnt lgkmcnt(2)
	v_cndmask_b32_e64 v63, v43, v45, s13
	s_waitcnt lgkmcnt(1)
	v_cndmask_b32_e64 v64, v44, v46, s13
	;; [unrolled: 2-line block ×3, first 2 shown]
	v_cmp_eq_u32_e64 s13, 0, v96
	ds_load_b32 v45, v75 offset:2192
	v_cndmask_b32_e64 v43, v63, v49, s2
	v_cndmask_b32_e64 v44, v64, v50, s2
	s_delay_alu instid0(VALU_DEP_2) | instskip(NEXT) | instid1(VALU_DEP_2)
	v_cndmask_b32_e64 v43, 0, v43, s13
	v_cndmask_b32_e64 v44, 0, v44, s13
	s_delay_alu instid0(VALU_DEP_2) | instskip(NEXT) | instid1(VALU_DEP_1)
	v_add_co_u32 v59, s13, v43, v41
	v_add_co_ci_u32_e64 v60, s13, v44, v42, s13
	s_delay_alu instid0(VALU_DEP_2) | instskip(NEXT) | instid1(VALU_DEP_2)
	v_cndmask_b32_e64 v41, 0, v59, s12
	v_cndmask_b32_e64 v42, 0, v60, s12
	s_delay_alu instid0(VALU_DEP_2) | instskip(NEXT) | instid1(VALU_DEP_1)
	v_add_co_u32 v65, s12, v41, v39
	v_add_co_ci_u32_e64 v66, s12, v42, v40, s12
	;; [unrolled: 6-line block ×11, first 2 shown]
	ds_load_b64 v[21:22], v75 offset:2200
	v_dual_cndmask_b32 v23, 0, v73 :: v_dual_cndmask_b32 v24, 0, v74
	s_delay_alu instid0(VALU_DEP_1) | instskip(NEXT) | instid1(VALU_DEP_2)
	v_add_co_u32 v75, vcc_lo, v23, v19
	v_add_co_ci_u32_e32 v76, vcc_lo, v24, v20, vcc_lo
	s_waitcnt lgkmcnt(1)
	v_cmp_eq_u32_e32 vcc_lo, 0, v45
	s_delay_alu instid0(VALU_DEP_3) | instskip(NEXT) | instid1(VALU_DEP_3)
	v_cndmask_b32_e64 v19, 0, v75, s1
	v_cndmask_b32_e64 v20, 0, v76, s1
	s_delay_alu instid0(VALU_DEP_2) | instskip(NEXT) | instid1(VALU_DEP_1)
	v_add_co_u32 v77, s1, v19, v17
	v_add_co_ci_u32_e64 v78, s1, v20, v18, s1
	v_dual_cndmask_b32 v18, 0, v49 :: v_dual_cndmask_b32 v17, 0, v50
	s_delay_alu instid0(VALU_DEP_3) | instskip(NEXT) | instid1(VALU_DEP_3)
	v_cndmask_b32_e64 v79, 0, v77, s0
	v_cndmask_b32_e64 v80, 0, v78, s0
	s_waitcnt lgkmcnt(0)
	s_delay_alu instid0(VALU_DEP_3)
	v_add_co_u32 v47, vcc_lo, v18, v21
	v_add_co_ci_u32_e32 v48, vcc_lo, v17, v22, vcc_lo
	s_and_saveexec_b32 s0, s2
	s_cbranch_execz .LBB1001_171
; %bb.170:
	v_dual_mov_b32 v98, 0 :: v_dual_mov_b32 v17, 2
	v_dual_mov_b32 v64, v50 :: v_dual_mov_b32 v63, v49
	s_clause 0x1
	global_store_b32 v98, v45, s[38:39] offset:512
	global_store_b64 v98, v[47:48], s[38:39] offset:520
	s_waitcnt_vscnt null, 0x0
	buffer_gl1_inv
	buffer_gl0_inv
	global_store_b8 v98, v17, s[40:41] offset:32
.LBB1001_171:
	s_or_b32 exec_lo, exec_lo, s0
	v_mov_b32_e32 v49, 0
.LBB1001_172:
	v_mov_b32_e32 v17, 0
	s_and_b32 s0, s15, exec_lo
	v_mov_b32_e32 v18, 0
	s_cselect_b32 s1, 0, s51
	s_cselect_b32 s0, 0, s50
	s_waitcnt lgkmcnt(0)
	s_waitcnt_vscnt null, 0x0
	s_cmp_eq_u64 s[0:1], 0
	s_barrier
	buffer_gl0_inv
	s_cbranch_scc1 .LBB1001_174
; %bb.173:
	v_mov_b32_e32 v17, 0
	global_load_b64 v[17:18], v17, s[0:1]
.LBB1001_174:
	v_add_nc_u32_e32 v32, v98, v96
	v_cmp_gt_u32_e32 vcc_lo, 0x100, v45
	s_delay_alu instid0(VALU_DEP_2) | instskip(SKIP_1) | instid1(VALU_DEP_1)
	v_add_nc_u32_e32 v31, v32, v95
	s_and_b32 vcc_lo, exec_lo, vcc_lo
	v_add_nc_u32_e32 v30, v31, v94
	s_delay_alu instid0(VALU_DEP_1) | instskip(NEXT) | instid1(VALU_DEP_1)
	v_add_nc_u32_e32 v29, v30, v93
	v_add_nc_u32_e32 v28, v29, v92
	s_delay_alu instid0(VALU_DEP_1) | instskip(NEXT) | instid1(VALU_DEP_1)
	v_add_nc_u32_e32 v27, v28, v91
	v_add_nc_u32_e32 v26, v27, v90
	s_delay_alu instid0(VALU_DEP_1) | instskip(NEXT) | instid1(VALU_DEP_1)
	v_add_nc_u32_e32 v25, v26, v88
	v_add_nc_u32_e32 v24, v25, v87
	s_delay_alu instid0(VALU_DEP_1) | instskip(NEXT) | instid1(VALU_DEP_1)
	v_add_nc_u32_e32 v23, v24, v86
	v_add_nc_u32_e32 v22, v23, v85
	s_delay_alu instid0(VALU_DEP_1) | instskip(NEXT) | instid1(VALU_DEP_1)
	v_add_nc_u32_e32 v21, v22, v84
	v_add_nc_u32_e32 v20, v21, v83
	s_delay_alu instid0(VALU_DEP_1)
	v_add_nc_u32_e32 v19, v20, v82
	s_cbranch_vccnz .LBB1001_223
; %bb.175:
	v_cmp_eq_u32_e32 vcc_lo, 0, v95
	v_cmp_eq_u32_e64 s0, 0, v83
	v_cmp_eq_u32_e64 s1, 0, v82
	v_cmp_ne_u32_e64 s12, 0, v96
	v_cmp_ne_u32_e64 s3, 0, v84
	v_cndmask_b32_e64 v33, 1, 2, vcc_lo
	v_cmp_eq_u32_e32 vcc_lo, 0, v96
	v_cndmask_b32_e64 v36, 1, 2, s1
	v_cmp_ne_u32_e64 s1, 0, v83
	v_cmp_ne_u32_e64 s4, 0, v85
	;; [unrolled: 1-line block ×3, first 2 shown]
	v_cndmask_b32_e64 v34, 1, 2, vcc_lo
	v_cmp_eq_u32_e32 vcc_lo, 0, v94
	v_cmp_ne_u32_e64 s6, 0, v87
	v_cmp_ne_u32_e64 s7, 0, v88
	;; [unrolled: 1-line block ×3, first 2 shown]
	v_and_b32_e32 v33, v33, v34
	v_cndmask_b32_e64 v35, 1, 2, vcc_lo
	v_cmp_eq_u32_e32 vcc_lo, 0, v93
	v_cmp_ne_u32_e64 s9, 0, v91
	v_cmp_ne_u32_e64 s10, 0, v92
	;; [unrolled: 1-line block ×3, first 2 shown]
	v_and_b32_e32 v33, v33, v35
	v_cndmask_b32_e64 v34, 1, 2, vcc_lo
	v_cmp_eq_u32_e32 vcc_lo, 0, v92
	v_cmp_ne_u32_e64 s13, 0, v94
	v_cmp_ne_u32_e64 s14, 0, v95
	s_mov_b32 s17, 0
	v_and_b32_e32 v33, v33, v34
	v_cndmask_b32_e64 v35, 1, 2, vcc_lo
	v_cmp_eq_u32_e32 vcc_lo, 0, v91
	s_mov_b32 s16, exec_lo
	s_delay_alu instid0(VALU_DEP_2) | instskip(SKIP_2) | instid1(VALU_DEP_2)
	v_and_b32_e32 v33, v33, v35
	v_cndmask_b32_e64 v34, 1, 2, vcc_lo
	v_cmp_eq_u32_e32 vcc_lo, 0, v90
	v_and_b32_e32 v33, v33, v34
	v_cndmask_b32_e64 v35, 1, 2, vcc_lo
	v_cmp_eq_u32_e32 vcc_lo, 0, v88
	s_delay_alu instid0(VALU_DEP_2) | instskip(SKIP_2) | instid1(VALU_DEP_2)
	v_and_b32_e32 v33, v33, v35
	v_cndmask_b32_e64 v34, 1, 2, vcc_lo
	v_cmp_eq_u32_e32 vcc_lo, 0, v87
	v_and_b32_e32 v33, v33, v34
	v_cndmask_b32_e64 v35, 1, 2, vcc_lo
	v_cmp_eq_u32_e32 vcc_lo, 0, v86
	;; [unrolled: 7-line block ×3, first 2 shown]
	s_delay_alu instid0(VALU_DEP_2) | instskip(SKIP_4) | instid1(VALU_DEP_4)
	v_and_b32_e32 v33, v33, v35
	v_cndmask_b32_e64 v34, 1, 2, vcc_lo
	v_cndmask_b32_e64 v35, 1, 2, s0
	v_cmp_eq_u32_e64 s0, 0, v89
	v_cmp_ne_u32_e32 vcc_lo, 0, v89
	v_and_b32_e32 v33, v33, v34
	s_delay_alu instid0(VALU_DEP_3) | instskip(SKIP_1) | instid1(VALU_DEP_3)
	v_cndmask_b32_e64 v34, 1, 2, s0
	v_cmp_ne_u32_e64 s0, 0, v82
	v_and_b32_e32 v33, v33, v35
	s_delay_alu instid0(VALU_DEP_1) | instskip(NEXT) | instid1(VALU_DEP_1)
	v_and_b32_e32 v33, v33, v36
	v_and_b32_e32 v33, v33, v34
	s_delay_alu instid0(VALU_DEP_1)
	v_cmpx_gt_i16_e32 2, v33
	s_cbranch_execz .LBB1001_222
; %bb.176:
	v_cmp_ne_u16_e64 s15, 1, v33
	s_delay_alu instid0(VALU_DEP_1) | instskip(NEXT) | instid1(SALU_CYCLE_1)
	s_and_saveexec_b32 s18, s15
	s_xor_b32 s15, exec_lo, s18
	s_cbranch_execz .LBB1001_200
; %bb.177:
	s_and_saveexec_b32 s17, s12
	s_cbranch_execz .LBB1001_205
; %bb.178:
	v_sub_nc_u32_e32 v33, v98, v49
	s_delay_alu instid0(VALU_DEP_1)
	v_lshlrev_b32_e32 v33, 2, v33
	ds_store_b32 v33, v13
	s_or_b32 exec_lo, exec_lo, s17
	s_and_saveexec_b32 s12, s14
	s_cbranch_execnz .LBB1001_206
.LBB1001_179:
	s_or_b32 exec_lo, exec_lo, s12
	s_and_saveexec_b32 s12, s13
	s_cbranch_execz .LBB1001_207
.LBB1001_180:
	v_sub_nc_u32_e32 v13, v31, v49
	s_delay_alu instid0(VALU_DEP_1)
	v_lshlrev_b32_e32 v13, 2, v13
	ds_store_b32 v13, v11
	s_or_b32 exec_lo, exec_lo, s12
	s_and_saveexec_b32 s12, s11
	s_cbranch_execnz .LBB1001_208
.LBB1001_181:
	s_or_b32 exec_lo, exec_lo, s12
	s_and_saveexec_b32 s11, s10
	s_cbranch_execz .LBB1001_209
.LBB1001_182:
	v_sub_nc_u32_e32 v11, v29, v49
	s_delay_alu instid0(VALU_DEP_1)
	v_lshlrev_b32_e32 v11, 2, v11
	ds_store_b32 v11, v9
	s_or_b32 exec_lo, exec_lo, s11
	s_and_saveexec_b32 s10, s9
	s_cbranch_execnz .LBB1001_210
.LBB1001_183:
	s_or_b32 exec_lo, exec_lo, s10
	s_and_saveexec_b32 s9, s8
	s_cbranch_execz .LBB1001_211
.LBB1001_184:
	v_sub_nc_u32_e32 v9, v27, v49
	s_delay_alu instid0(VALU_DEP_1)
	v_lshlrev_b32_e32 v9, 2, v9
	ds_store_b32 v9, v7
	s_or_b32 exec_lo, exec_lo, s9
	s_and_saveexec_b32 s8, s7
	s_cbranch_execnz .LBB1001_212
.LBB1001_185:
	s_or_b32 exec_lo, exec_lo, s8
	s_and_saveexec_b32 s7, s6
	s_cbranch_execz .LBB1001_213
.LBB1001_186:
	v_sub_nc_u32_e32 v7, v25, v49
	s_delay_alu instid0(VALU_DEP_1)
	v_lshlrev_b32_e32 v7, 2, v7
	ds_store_b32 v7, v5
	s_or_b32 exec_lo, exec_lo, s7
	s_and_saveexec_b32 s6, s5
	s_cbranch_execnz .LBB1001_214
.LBB1001_187:
	s_or_b32 exec_lo, exec_lo, s6
	s_and_saveexec_b32 s5, s4
	s_cbranch_execz .LBB1001_215
.LBB1001_188:
	v_sub_nc_u32_e32 v5, v23, v49
	s_delay_alu instid0(VALU_DEP_1)
	v_lshlrev_b32_e32 v5, 2, v5
	ds_store_b32 v5, v3
	s_or_b32 exec_lo, exec_lo, s5
	s_and_saveexec_b32 s4, s3
	s_cbranch_execnz .LBB1001_216
.LBB1001_189:
	s_or_b32 exec_lo, exec_lo, s4
	s_and_saveexec_b32 s3, s1
	s_cbranch_execz .LBB1001_217
.LBB1001_190:
	v_sub_nc_u32_e32 v3, v21, v49
	s_delay_alu instid0(VALU_DEP_1)
	v_lshlrev_b32_e32 v3, 2, v3
	ds_store_b32 v3, v1
	s_or_b32 exec_lo, exec_lo, s3
	s_and_saveexec_b32 s1, s0
	s_cbranch_execnz .LBB1001_218
	s_branch .LBB1001_219
.LBB1001_191:
	s_mov_b32 s45, 0
                                        ; implicit-def: $sgpr0
                                        ; implicit-def: $vgpr89
                                        ; implicit-def: $vgpr82
                                        ; implicit-def: $vgpr83
                                        ; implicit-def: $vgpr84
                                        ; implicit-def: $vgpr85
                                        ; implicit-def: $vgpr86
                                        ; implicit-def: $vgpr87
                                        ; implicit-def: $vgpr88
                                        ; implicit-def: $vgpr90
                                        ; implicit-def: $vgpr91
                                        ; implicit-def: $vgpr92
                                        ; implicit-def: $vgpr93
                                        ; implicit-def: $vgpr94
                                        ; implicit-def: $vgpr95
	s_cbranch_execz .LBB1001_73
; %bb.192:
	v_cmp_ne_u32_e32 vcc_lo, v2, v81
	v_lshlrev_b32_e32 v47, 2, v0
                                        ; implicit-def: $sgpr0
	v_cndmask_b32_e64 v89, 0, 1, vcc_lo
	v_cmp_ne_u32_e32 vcc_lo, v1, v2
	ds_store_b32 v47, v81
	s_waitcnt lgkmcnt(0)
	s_barrier
	buffer_gl0_inv
	v_cndmask_b32_e64 v82, 0, 1, vcc_lo
	v_cmp_ne_u32_e32 vcc_lo, v4, v1
	v_cndmask_b32_e64 v83, 0, 1, vcc_lo
	v_cmp_ne_u32_e32 vcc_lo, v3, v4
	;; [unrolled: 2-line block ×12, first 2 shown]
	v_cndmask_b32_e64 v95, 0, 1, vcc_lo
	s_and_saveexec_b32 s1, s3
	s_delay_alu instid0(SALU_CYCLE_1)
	s_xor_b32 s1, exec_lo, s1
	s_cbranch_execz .LBB1001_194
; %bb.193:
	v_add_nc_u32_e32 v47, -4, v47
	s_or_b32 s45, s45, exec_lo
	ds_load_b32 v47, v47
	s_waitcnt lgkmcnt(0)
	v_cmp_ne_u32_e32 vcc_lo, v47, v13
	s_and_b32 s0, vcc_lo, exec_lo
.LBB1001_194:
	s_or_b32 exec_lo, exec_lo, s1
	s_mov_b32 s1, 1
	s_branch .LBB1001_75
.LBB1001_195:
	s_mul_hi_u32 s0, s18, 0xfffff100
	s_mul_i32 s1, s19, 0xfffff100
	s_sub_i32 s0, s0, s18
	s_mul_i32 s4, s18, 0xfffff100
	s_add_i32 s0, s0, s1
	s_add_u32 s30, s4, s48
	s_addc_u32 s31, s0, s49
	s_and_b32 vcc_lo, exec_lo, s15
	s_cbranch_vccz .LBB1001_202
; %bb.196:
	v_add_co_u32 v46, vcc_lo, -4, v46
	v_add_co_ci_u32_e32 v47, vcc_lo, -1, v45, vcc_lo
	v_mad_u32_u24 v45, v0, 15, 14
	v_cmp_ne_u32_e64 s8, v2, v81
	v_cmp_ne_u32_e64 s10, v4, v1
	flat_load_b32 v49, v[46:47]
	v_mov_b32_e32 v46, 0
	v_cmp_ne_u32_e64 s12, v6, v3
	v_cmp_ne_u32_e64 s11, v3, v4
	v_lshlrev_b32_e32 v48, 2, v0
	v_mul_u32_u24_e32 v47, 15, v0
	v_cmp_gt_u64_e32 vcc_lo, s[30:31], v[45:46]
	v_mad_u32_u24 v45, v0, 15, 13
	s_mov_b32 s45, -1
	s_mov_b32 s14, 0
	ds_store_b32 v48, v81
	s_waitcnt vmcnt(0) lgkmcnt(0)
	v_cmp_gt_u64_e64 s0, s[30:31], v[45:46]
	v_mad_u32_u24 v45, v0, 15, 12
	s_and_b32 s15, vcc_lo, s8
	v_cmp_ne_u32_e64 s8, v1, v2
	s_barrier
	buffer_gl0_inv
	v_cmp_gt_u64_e64 s1, s[30:31], v[45:46]
	v_mad_u32_u24 v45, v0, 15, 11
	s_and_b32 s16, s0, s8
	v_cmp_ne_u32_e64 s8, v10, v7
	s_delay_alu instid0(VALU_DEP_2) | instskip(SKIP_3) | instid1(VALU_DEP_2)
	v_cmp_gt_u64_e64 s4, s[30:31], v[45:46]
	v_mad_u32_u24 v45, v0, 15, 10
	s_and_b32 s17, s1, s10
	v_cmp_ne_u32_e64 s1, v5, v6
	v_cmp_gt_u64_e64 s5, s[30:31], v[45:46]
	v_mad_u32_u24 v45, v0, 15, 9
	s_and_b32 s11, s4, s11
	v_cmp_ne_u32_e64 s4, v8, v5
	s_delay_alu instid0(VALU_DEP_2) | instskip(SKIP_3) | instid1(VALU_DEP_2)
	v_cmp_gt_u64_e64 s6, s[30:31], v[45:46]
	v_mad_u32_u24 v45, v0, 15, 8
	s_and_b32 s12, s5, s12
	v_cmp_ne_u32_e64 s5, v7, v8
	v_cmp_gt_u64_e64 s7, s[30:31], v[45:46]
	v_mad_u32_u24 v45, v0, 15, 7
	s_and_b32 s18, s6, s1
	v_cmp_ne_u32_e64 s1, v9, v10
	v_cmp_ne_u32_e64 s6, v14, v11
	s_delay_alu instid0(VALU_DEP_3) | instskip(SKIP_3) | instid1(VALU_DEP_2)
	v_cmp_gt_u64_e64 s9, s[30:31], v[45:46]
	v_mad_u32_u24 v45, v0, 15, 6
	s_and_b32 s19, s7, s4
	v_cmp_ne_u32_e64 s4, v12, v9
	v_cmp_gt_u64_e32 vcc_lo, s[30:31], v[45:46]
	v_mad_u32_u24 v45, v0, 15, 5
	s_and_b32 s20, s9, s5
	v_cmp_ne_u32_e64 s5, v11, v12
	s_delay_alu instid0(VALU_DEP_2) | instskip(SKIP_3) | instid1(VALU_DEP_2)
	v_cmp_gt_u64_e64 s13, s[30:31], v[45:46]
	v_mad_u32_u24 v45, v0, 15, 4
	s_and_b32 s9, vcc_lo, s8
	v_cmp_ne_u32_e64 s8, v13, v14
	v_cmp_gt_u64_e64 s0, s[30:31], v[45:46]
	v_mad_u32_u24 v45, v0, 15, 3
	s_and_b32 s13, s13, s1
	s_delay_alu instid0(VALU_DEP_1) | instskip(SKIP_1) | instid1(VALU_DEP_4)
	v_cmp_gt_u64_e64 s10, s[30:31], v[45:46]
	v_mad_u32_u24 v45, v0, 15, 2
	s_and_b32 s0, s0, s4
	s_delay_alu instid0(VALU_DEP_1) | instskip(SKIP_1) | instid1(VALU_DEP_4)
	v_cmp_gt_u64_e32 vcc_lo, s[30:31], v[45:46]
	v_mad_u32_u24 v45, v0, 15, 1
	s_and_b32 s5, s10, s5
	s_delay_alu instid0(VALU_DEP_1) | instskip(SKIP_1) | instid1(VALU_DEP_1)
	v_cmp_gt_u64_e64 s7, s[30:31], v[45:46]
	s_and_b32 s1, vcc_lo, s6
	s_and_b32 s4, s7, s8
	s_and_saveexec_b32 s6, s3
	s_cbranch_execz .LBB1001_198
; %bb.197:
	v_add_nc_u32_e32 v45, -4, v48
	ds_load_b32 v49, v45
.LBB1001_198:
	s_or_b32 exec_lo, exec_lo, s6
	v_mov_b32_e32 v48, v46
	v_cndmask_b32_e64 v92, 0, 1, s0
	s_waitcnt lgkmcnt(0)
	v_cmp_ne_u32_e64 s0, v49, v13
	v_cndmask_b32_e64 v89, 0, 1, s15
	v_cndmask_b32_e64 v82, 0, 1, s16
	v_cmp_gt_u64_e32 vcc_lo, s[30:31], v[47:48]
	v_cndmask_b32_e64 v83, 0, 1, s17
	v_cndmask_b32_e64 v84, 0, 1, s11
	v_cndmask_b32_e64 v85, 0, 1, s12
	v_cndmask_b32_e64 v86, 0, 1, s18
	v_cndmask_b32_e64 v87, 0, 1, s19
	v_cndmask_b32_e64 v88, 0, 1, s20
	v_cndmask_b32_e64 v90, 0, 1, s9
	v_cndmask_b32_e64 v91, 0, 1, s13
	v_cndmask_b32_e64 v93, 0, 1, s5
	v_cndmask_b32_e64 v94, 0, 1, s1
	v_cndmask_b32_e64 v95, 0, 1, s4
	s_and_b32 s0, vcc_lo, s0
	s_and_b32 vcc_lo, exec_lo, s14
	s_cbranch_vccnz .LBB1001_203
.LBB1001_199:
                                        ; implicit-def: $sgpr1
	v_mov_b32_e32 v96, s1
	s_and_saveexec_b32 s1, s45
	s_cbranch_execnz .LBB1001_76
	s_branch .LBB1001_77
.LBB1001_200:
	s_and_not1_saveexec_b32 s0, s15
	s_cbranch_execz .LBB1001_220
.LBB1001_201:
	v_sub_nc_u32_e32 v33, v98, v49
	v_sub_nc_u32_e32 v36, v30, v49
	;; [unrolled: 1-line block ×4, first 2 shown]
	s_or_b32 s17, s17, exec_lo
	v_lshlrev_b32_e32 v33, 2, v33
	v_lshlrev_b32_e32 v36, 2, v36
	;; [unrolled: 1-line block ×4, first 2 shown]
	ds_store_b32 v33, v13
	ds_store_b32 v34, v14
	;; [unrolled: 1-line block ×3, first 2 shown]
	v_sub_nc_u32_e32 v11, v29, v49
	ds_store_b32 v36, v12
	v_sub_nc_u32_e32 v12, v28, v49
	v_sub_nc_u32_e32 v13, v27, v49
	;; [unrolled: 1-line block ×3, first 2 shown]
	v_lshlrev_b32_e32 v11, 2, v11
	v_sub_nc_u32_e32 v33, v25, v49
	v_lshlrev_b32_e32 v12, 2, v12
	v_lshlrev_b32_e32 v13, 2, v13
	;; [unrolled: 1-line block ×3, first 2 shown]
	ds_store_b32 v11, v9
	v_lshlrev_b32_e32 v9, 2, v33
	ds_store_b32 v12, v10
	ds_store_b32 v13, v7
	;; [unrolled: 1-line block ×3, first 2 shown]
	v_sub_nc_u32_e32 v7, v24, v49
	v_sub_nc_u32_e32 v10, v20, v49
	;; [unrolled: 1-line block ×3, first 2 shown]
	ds_store_b32 v9, v5
	v_sub_nc_u32_e32 v5, v23, v49
	v_lshlrev_b32_e32 v7, 2, v7
	v_sub_nc_u32_e32 v9, v21, v49
	v_lshlrev_b32_e32 v8, 2, v8
	s_delay_alu instid0(VALU_DEP_4)
	v_lshlrev_b32_e32 v5, 2, v5
	ds_store_b32 v7, v6
	v_lshlrev_b32_e32 v6, 2, v10
	v_lshlrev_b32_e32 v9, 2, v9
	ds_store_b32 v5, v3
	ds_store_b32 v8, v4
	;; [unrolled: 1-line block ×4, first 2 shown]
	s_or_b32 exec_lo, exec_lo, s0
	s_delay_alu instid0(SALU_CYCLE_1)
	s_and_b32 exec_lo, exec_lo, s17
	s_cbranch_execnz .LBB1001_221
	s_branch .LBB1001_222
.LBB1001_202:
                                        ; implicit-def: $sgpr0
                                        ; implicit-def: $vgpr89
                                        ; implicit-def: $vgpr82
                                        ; implicit-def: $vgpr83
                                        ; implicit-def: $vgpr84
                                        ; implicit-def: $vgpr85
                                        ; implicit-def: $vgpr86
                                        ; implicit-def: $vgpr87
                                        ; implicit-def: $vgpr88
                                        ; implicit-def: $vgpr90
                                        ; implicit-def: $vgpr91
                                        ; implicit-def: $vgpr92
                                        ; implicit-def: $vgpr93
                                        ; implicit-def: $vgpr94
                                        ; implicit-def: $vgpr95
	s_cbranch_execz .LBB1001_199
.LBB1001_203:
	v_mad_u32_u24 v45, v0, 15, 14
	v_dual_mov_b32 v46, 0 :: v_dual_lshlrev_b32 v47, 2, v0
	v_cmp_ne_u32_e64 s7, v1, v2
	v_cmp_ne_u32_e64 s6, v2, v81
	;; [unrolled: 1-line block ×3, first 2 shown]
	s_delay_alu instid0(VALU_DEP_4)
	v_cmp_gt_u64_e32 vcc_lo, s[30:31], v[45:46]
	v_mad_u32_u24 v45, v0, 15, 13
	v_cmp_ne_u32_e64 s10, v3, v4
	v_cmp_ne_u32_e64 s11, v6, v3
	;; [unrolled: 1-line block ×4, first 2 shown]
	v_cmp_gt_u64_e64 s0, s[30:31], v[45:46]
	v_mad_u32_u24 v45, v0, 15, 12
	s_and_b32 s6, vcc_lo, s6
	v_cmp_ne_u32_e64 s15, v7, v8
	v_cmp_ne_u32_e64 s16, v10, v7
	;; [unrolled: 1-line block ×3, first 2 shown]
	v_cmp_gt_u64_e64 s1, s[30:31], v[45:46]
	v_mad_u32_u24 v45, v0, 15, 11
	s_and_b32 s0, s0, s7
	v_cmp_ne_u32_e64 s18, v12, v9
	v_cndmask_b32_e64 v82, 0, 1, s0
	v_cmp_ne_u32_e64 s20, v11, v12
	v_cmp_gt_u64_e64 s4, s[30:31], v[45:46]
	v_mad_u32_u24 v45, v0, 15, 10
	s_and_b32 s0, s1, s8
	v_cmp_ne_u32_e64 s21, v14, v11
	v_cndmask_b32_e64 v83, 0, 1, s0
	v_cmp_ne_u32_e64 s22, v13, v14
	v_cmp_gt_u64_e64 s5, s[30:31], v[45:46]
	v_mad_u32_u24 v45, v0, 15, 9
	s_and_b32 s0, s4, s10
	v_cndmask_b32_e64 v89, 0, 1, s6
	v_cndmask_b32_e64 v84, 0, 1, s0
	ds_store_b32 v47, v81
	v_cmp_gt_u64_e64 s9, s[30:31], v[45:46]
	v_mad_u32_u24 v45, v0, 15, 8
	s_and_b32 s1, s5, s11
	s_waitcnt lgkmcnt(0)
	v_cndmask_b32_e64 v85, 0, 1, s1
	s_barrier
	v_cmp_gt_u64_e64 s14, s[30:31], v[45:46]
	v_mad_u32_u24 v45, v0, 15, 7
	s_and_b32 s1, s9, s12
	buffer_gl0_inv
	v_cndmask_b32_e64 v86, 0, 1, s1
	v_cmp_gt_u64_e64 s19, s[30:31], v[45:46]
	v_mad_u32_u24 v45, v0, 15, 6
	s_and_b32 s4, s14, s13
	s_delay_alu instid0(SALU_CYCLE_1) | instskip(NEXT) | instid1(VALU_DEP_2)
	v_cndmask_b32_e64 v87, 0, 1, s4
	v_cmp_gt_u64_e64 s23, s[30:31], v[45:46]
	v_mad_u32_u24 v45, v0, 15, 5
	s_and_b32 s4, s19, s15
	s_delay_alu instid0(SALU_CYCLE_1) | instskip(NEXT) | instid1(VALU_DEP_2)
	v_cndmask_b32_e64 v88, 0, 1, s4
	v_cmp_gt_u64_e32 vcc_lo, s[30:31], v[45:46]
	v_mad_u32_u24 v45, v0, 15, 4
	s_and_b32 s5, s23, s16
	s_delay_alu instid0(SALU_CYCLE_1) | instskip(NEXT) | instid1(VALU_DEP_2)
	v_cndmask_b32_e64 v90, 0, 1, s5
	v_cmp_gt_u64_e64 s0, s[30:31], v[45:46]
	v_mad_u32_u24 v45, v0, 15, 3
	s_and_b32 s5, vcc_lo, s17
	s_delay_alu instid0(SALU_CYCLE_1) | instskip(NEXT) | instid1(VALU_DEP_2)
	v_cndmask_b32_e64 v91, 0, 1, s5
	v_cmp_gt_u64_e64 s1, s[30:31], v[45:46]
	v_mad_u32_u24 v45, v0, 15, 2
	s_and_b32 s0, s0, s18
	s_delay_alu instid0(SALU_CYCLE_1) | instskip(NEXT) | instid1(VALU_DEP_2)
	v_cndmask_b32_e64 v92, 0, 1, s0
	v_cmp_gt_u64_e64 s4, s[30:31], v[45:46]
	v_mad_u32_u24 v45, v0, 15, 1
	s_and_b32 s0, s1, s20
	s_mov_b32 s1, 1
	v_cndmask_b32_e64 v93, 0, 1, s0
	s_delay_alu instid0(VALU_DEP_2) | instskip(SKIP_1) | instid1(SALU_CYCLE_1)
	v_cmp_gt_u64_e32 vcc_lo, s[30:31], v[45:46]
	s_and_b32 s0, s4, s21
	v_cndmask_b32_e64 v94, 0, 1, s0
	s_and_b32 s0, vcc_lo, s22
	s_delay_alu instid0(SALU_CYCLE_1)
	v_cndmask_b32_e64 v95, 0, 1, s0
                                        ; implicit-def: $sgpr0
	s_and_saveexec_b32 s4, s3
	s_cbranch_execz .LBB1001_261
; %bb.204:
	v_add_nc_u32_e32 v45, -4, v47
	s_or_b32 s45, s45, exec_lo
	ds_load_b32 v47, v45
	v_mul_u32_u24_e32 v45, 15, v0
	s_delay_alu instid0(VALU_DEP_1) | instskip(SKIP_2) | instid1(VALU_DEP_1)
	v_cmp_gt_u64_e32 vcc_lo, s[30:31], v[45:46]
	s_waitcnt lgkmcnt(0)
	v_cmp_ne_u32_e64 s0, v47, v13
	s_and_b32 s0, vcc_lo, s0
	s_delay_alu instid0(SALU_CYCLE_1)
	s_and_b32 s0, s0, exec_lo
	s_or_b32 exec_lo, exec_lo, s4
	v_mov_b32_e32 v96, s1
	s_and_saveexec_b32 s1, s45
	s_cbranch_execz .LBB1001_77
	s_branch .LBB1001_76
.LBB1001_205:
	s_or_b32 exec_lo, exec_lo, s17
	s_and_saveexec_b32 s12, s14
	s_cbranch_execz .LBB1001_179
.LBB1001_206:
	v_sub_nc_u32_e32 v13, v32, v49
	s_delay_alu instid0(VALU_DEP_1)
	v_lshlrev_b32_e32 v13, 2, v13
	ds_store_b32 v13, v14
	s_or_b32 exec_lo, exec_lo, s12
	s_and_saveexec_b32 s12, s13
	s_cbranch_execnz .LBB1001_180
.LBB1001_207:
	s_or_b32 exec_lo, exec_lo, s12
	s_and_saveexec_b32 s12, s11
	s_cbranch_execz .LBB1001_181
.LBB1001_208:
	v_sub_nc_u32_e32 v11, v30, v49
	s_delay_alu instid0(VALU_DEP_1)
	v_lshlrev_b32_e32 v11, 2, v11
	ds_store_b32 v11, v12
	s_or_b32 exec_lo, exec_lo, s12
	s_and_saveexec_b32 s11, s10
	s_cbranch_execnz .LBB1001_182
.LBB1001_209:
	s_or_b32 exec_lo, exec_lo, s11
	s_and_saveexec_b32 s10, s9
	s_cbranch_execz .LBB1001_183
.LBB1001_210:
	v_sub_nc_u32_e32 v9, v28, v49
	s_delay_alu instid0(VALU_DEP_1)
	v_lshlrev_b32_e32 v9, 2, v9
	ds_store_b32 v9, v10
	s_or_b32 exec_lo, exec_lo, s10
	s_and_saveexec_b32 s9, s8
	s_cbranch_execnz .LBB1001_184
.LBB1001_211:
	s_or_b32 exec_lo, exec_lo, s9
	s_and_saveexec_b32 s8, s7
	s_cbranch_execz .LBB1001_185
.LBB1001_212:
	v_sub_nc_u32_e32 v7, v26, v49
	s_delay_alu instid0(VALU_DEP_1)
	v_lshlrev_b32_e32 v7, 2, v7
	ds_store_b32 v7, v8
	s_or_b32 exec_lo, exec_lo, s8
	s_and_saveexec_b32 s7, s6
	s_cbranch_execnz .LBB1001_186
.LBB1001_213:
	s_or_b32 exec_lo, exec_lo, s7
	s_and_saveexec_b32 s6, s5
	s_cbranch_execz .LBB1001_187
.LBB1001_214:
	v_sub_nc_u32_e32 v5, v24, v49
	s_delay_alu instid0(VALU_DEP_1)
	v_lshlrev_b32_e32 v5, 2, v5
	ds_store_b32 v5, v6
	s_or_b32 exec_lo, exec_lo, s6
	s_and_saveexec_b32 s5, s4
	s_cbranch_execnz .LBB1001_188
.LBB1001_215:
	s_or_b32 exec_lo, exec_lo, s5
	s_and_saveexec_b32 s4, s3
	s_cbranch_execz .LBB1001_189
.LBB1001_216:
	v_sub_nc_u32_e32 v3, v22, v49
	s_delay_alu instid0(VALU_DEP_1)
	v_lshlrev_b32_e32 v3, 2, v3
	ds_store_b32 v3, v4
	s_or_b32 exec_lo, exec_lo, s4
	s_and_saveexec_b32 s3, s1
	s_cbranch_execnz .LBB1001_190
.LBB1001_217:
	s_or_b32 exec_lo, exec_lo, s3
	s_and_saveexec_b32 s1, s0
	s_cbranch_execz .LBB1001_219
.LBB1001_218:
	v_sub_nc_u32_e32 v1, v20, v49
	s_delay_alu instid0(VALU_DEP_1)
	v_lshlrev_b32_e32 v1, 2, v1
	ds_store_b32 v1, v2
.LBB1001_219:
	s_or_b32 exec_lo, exec_lo, s1
	s_delay_alu instid0(SALU_CYCLE_1)
	s_and_b32 s17, vcc_lo, exec_lo
                                        ; implicit-def: $vgpr13
                                        ; implicit-def: $vgpr11
                                        ; implicit-def: $vgpr9
                                        ; implicit-def: $vgpr7
                                        ; implicit-def: $vgpr5
                                        ; implicit-def: $vgpr3
                                        ; implicit-def: $vgpr1
	s_and_not1_saveexec_b32 s0, s15
	s_cbranch_execnz .LBB1001_201
.LBB1001_220:
	s_or_b32 exec_lo, exec_lo, s0
	s_delay_alu instid0(SALU_CYCLE_1)
	s_and_b32 exec_lo, exec_lo, s17
	s_cbranch_execz .LBB1001_222
.LBB1001_221:
	v_sub_nc_u32_e32 v1, v19, v49
	s_delay_alu instid0(VALU_DEP_1)
	v_lshlrev_b32_e32 v1, 2, v1
	ds_store_b32 v1, v81
.LBB1001_222:
	s_or_b32 exec_lo, exec_lo, s16
	s_waitcnt vmcnt(0) lgkmcnt(0)
	s_barrier
	buffer_gl0_inv
.LBB1001_223:
	s_cmpk_lg_i32 s34, 0xf00
	v_cndmask_b32_e64 v8, 0, 1, s35
	s_cselect_b32 s0, -1, 0
	v_mad_i32_i24 v5, v0, -15, s34
	s_and_b32 s0, s0, s33
	v_add_co_u32 v1, vcc_lo, v79, v15
	v_cndmask_b32_e64 v4, 0, 1, s0
	s_mul_hi_u32 s0, s34, 0x88888889
	s_and_b32 s1, s2, s35
	s_lshr_b32 s0, s0, 3
	v_add_co_ci_u32_e32 v2, vcc_lo, v80, v16, vcc_lo
	v_sub_nc_u32_e32 v3, v45, v8
	v_cndmask_b32_e64 v6, v96, 0, s1
	v_cmp_eq_u32_e32 vcc_lo, s0, v0
	v_cmp_ne_u32_e64 s0, 0, v5
	s_delay_alu instid0(VALU_DEP_4) | instskip(SKIP_2) | instid1(VALU_DEP_2)
	v_dual_mov_b32 v50, 0 :: v_dual_add_nc_u32 v3, v3, v4
	s_mov_b32 s16, -1
	s_and_b32 vcc_lo, vcc_lo, s33
	v_cndmask_b32_e64 v4, 1, v6, s0
	v_cmp_ne_u32_e64 s0, 1, v5
	s_waitcnt vmcnt(0)
	s_barrier
	buffer_gl0_inv
	v_cndmask_b32_e32 v13, v6, v4, vcc_lo
	v_cndmask_b32_e64 v7, 1, v95, s0
	v_cmp_ne_u32_e64 s0, 2, v5
	s_delay_alu instid0(VALU_DEP_3) | instskip(NEXT) | instid1(VALU_DEP_2)
	v_cmp_ne_u32_e64 s14, 0, v13
	v_cndmask_b32_e64 v9, 1, v94, s0
	v_cmp_ne_u32_e64 s0, 14, v5
	s_delay_alu instid0(VALU_DEP_2) | instskip(NEXT) | instid1(VALU_DEP_2)
	v_dual_cndmask_b32 v14, v95, v7 :: v_dual_cndmask_b32 v9, v94, v9
	v_cndmask_b32_e64 v10, 1, v89, s0
	v_cmp_ne_u32_e64 s0, 3, v5
	s_delay_alu instid0(VALU_DEP_3) | instskip(NEXT) | instid1(VALU_DEP_4)
	v_cmp_ne_u32_e64 s13, 0, v14
	v_cmp_ne_u32_e64 s12, 0, v9
	s_delay_alu instid0(VALU_DEP_4) | instskip(NEXT) | instid1(VALU_DEP_4)
	v_cndmask_b32_e32 v10, v89, v10, vcc_lo
	v_cndmask_b32_e64 v11, 1, v93, s0
	v_cmp_ne_u32_e64 s0, 4, v5
	s_delay_alu instid0(VALU_DEP_1) | instskip(SKIP_1) | instid1(VALU_DEP_2)
	v_cndmask_b32_e64 v12, 1, v92, s0
	v_cmp_ne_u32_e64 s0, 5, v5
	v_dual_cndmask_b32 v11, v93, v11 :: v_dual_cndmask_b32 v12, v92, v12
	s_delay_alu instid0(VALU_DEP_2) | instskip(SKIP_1) | instid1(VALU_DEP_3)
	v_cndmask_b32_e64 v4, 1, v91, s0
	v_cmp_ne_u32_e64 s0, 6, v5
	v_cmp_ne_u32_e64 s11, 0, v11
	s_delay_alu instid0(VALU_DEP_4) | instskip(NEXT) | instid1(VALU_DEP_4)
	v_cmp_ne_u32_e64 s10, 0, v12
	v_cndmask_b32_e32 v36, v91, v4, vcc_lo
	s_delay_alu instid0(VALU_DEP_4) | instskip(SKIP_1) | instid1(VALU_DEP_2)
	v_cndmask_b32_e64 v6, 1, v90, s0
	v_cmp_eq_u32_e64 s0, 0, v13
	v_cndmask_b32_e32 v38, v90, v6, vcc_lo
	s_delay_alu instid0(VALU_DEP_2) | instskip(SKIP_1) | instid1(VALU_DEP_3)
	v_cndmask_b32_e64 v7, 1, 2, s0
	v_cmp_eq_u32_e64 s0, 0, v14
	v_cmp_ne_u32_e64 s8, 0, v38
	s_delay_alu instid0(VALU_DEP_2) | instskip(SKIP_1) | instid1(VALU_DEP_2)
	v_cndmask_b32_e64 v15, 1, 2, s0
	v_cmp_ne_u32_e64 s0, 7, v5
	v_and_b32_e32 v7, v15, v7
	s_delay_alu instid0(VALU_DEP_2) | instskip(SKIP_1) | instid1(VALU_DEP_2)
	v_cndmask_b32_e64 v16, 1, v88, s0
	v_cmp_eq_u32_e64 s0, 0, v9
	v_cndmask_b32_e32 v16, v88, v16, vcc_lo
	s_delay_alu instid0(VALU_DEP_2) | instskip(SKIP_1) | instid1(VALU_DEP_3)
	v_cndmask_b32_e64 v15, 1, 2, s0
	v_cmp_ne_u32_e64 s0, 8, v5
	v_cmp_ne_u32_e64 s7, 0, v16
	s_delay_alu instid0(VALU_DEP_3) | instskip(NEXT) | instid1(VALU_DEP_3)
	v_and_b32_e32 v7, v7, v15
	v_cndmask_b32_e64 v33, 1, v87, s0
	v_cmp_ne_u32_e64 s0, 9, v5
	s_delay_alu instid0(VALU_DEP_2) | instskip(NEXT) | instid1(VALU_DEP_2)
	v_cndmask_b32_e32 v33, v87, v33, vcc_lo
	v_cndmask_b32_e64 v34, 1, v86, s0
	v_cmp_eq_u32_e64 s0, 0, v11
	s_delay_alu instid0(VALU_DEP_3) | instskip(NEXT) | instid1(VALU_DEP_3)
	v_cmp_ne_u32_e64 s6, 0, v33
	v_cndmask_b32_e32 v34, v86, v34, vcc_lo
	s_delay_alu instid0(VALU_DEP_3) | instskip(SKIP_1) | instid1(VALU_DEP_3)
	v_cndmask_b32_e64 v15, 1, 2, s0
	v_cmp_ne_u32_e64 s0, 10, v5
	v_cmp_ne_u32_e64 s5, 0, v34
	s_delay_alu instid0(VALU_DEP_3) | instskip(NEXT) | instid1(VALU_DEP_3)
	v_and_b32_e32 v4, v7, v15
	v_cndmask_b32_e64 v35, 1, v85, s0
	v_cmp_eq_u32_e64 s0, 0, v12
	s_delay_alu instid0(VALU_DEP_1) | instskip(SKIP_1) | instid1(VALU_DEP_2)
	v_cndmask_b32_e64 v7, 1, 2, s0
	v_cmp_ne_u32_e64 s0, 11, v5
	v_and_b32_e32 v4, v4, v7
	s_delay_alu instid0(VALU_DEP_2) | instskip(SKIP_1) | instid1(VALU_DEP_2)
	v_cndmask_b32_e64 v15, 1, v84, s0
	v_cmp_ne_u32_e64 s0, 13, v5
	v_cndmask_b32_e32 v15, v84, v15, vcc_lo
	s_delay_alu instid0(VALU_DEP_2) | instskip(NEXT) | instid1(VALU_DEP_2)
	v_cndmask_b32_e64 v37, 1, v82, s0
	v_cmp_ne_u32_e64 s3, 0, v15
	s_delay_alu instid0(VALU_DEP_2) | instskip(SKIP_2) | instid1(VALU_DEP_3)
	v_cndmask_b32_e32 v37, v82, v37, vcc_lo
	v_cmp_eq_u32_e64 s0, 0, v36
	v_cmp_ne_u32_e64 s9, 0, v36
	v_cmp_ne_u32_e64 s1, 0, v37
	s_delay_alu instid0(VALU_DEP_3) | instskip(SKIP_1) | instid1(VALU_DEP_1)
	v_cndmask_b32_e64 v7, 1, 2, s0
	v_cmp_ne_u32_e64 s0, 12, v5
	v_cndmask_b32_e64 v5, 1, v83, s0
	v_cmp_eq_u32_e64 s0, 0, v38
	s_delay_alu instid0(VALU_DEP_2) | instskip(NEXT) | instid1(VALU_DEP_2)
	v_dual_cndmask_b32 v39, v83, v5 :: v_dual_and_b32 v4, v4, v7
	v_cndmask_b32_e64 v6, 1, 2, s0
	v_cmp_eq_u32_e64 s0, 0, v16
	v_cndmask_b32_e32 v35, v85, v35, vcc_lo
	v_cmp_eq_u32_e32 vcc_lo, 0, v33
	v_cmp_ne_u32_e64 s2, 0, v39
	v_and_b32_e32 v40, v4, v6
	v_lshlrev_b64 v[4:5], 3, v[17:18]
	v_cndmask_b32_e64 v41, 1, 2, s0
	v_lshlrev_b64 v[6:7], 3, v[49:50]
	v_cmp_ne_u32_e64 s4, 0, v35
	v_cmp_ne_u32_e64 s0, 0, v10
	s_delay_alu instid0(VALU_DEP_4) | instskip(SKIP_4) | instid1(VALU_DEP_4)
	v_and_b32_e32 v40, v40, v41
	v_cndmask_b32_e64 v41, 1, 2, vcc_lo
	v_add_co_u32 v4, vcc_lo, s24, v4
	v_add_co_ci_u32_e32 v5, vcc_lo, s25, v5, vcc_lo
	v_cmp_eq_u32_e32 vcc_lo, 0, v34
	v_and_b32_e32 v40, v40, v41
	v_cndmask_b32_e64 v41, 1, 2, vcc_lo
	v_add_co_u32 v4, vcc_lo, v4, v6
	v_add_co_ci_u32_e32 v5, vcc_lo, v5, v7, vcc_lo
	v_lshlrev_b32_e32 v6, 3, v8
	v_cmp_eq_u32_e32 vcc_lo, 0, v35
	v_and_b32_e32 v7, v40, v41
	v_add_nc_u32_e32 v8, v49, v8
	v_cndmask_b32_e64 v40, 1, 2, vcc_lo
	v_add_co_u32 v6, vcc_lo, v6, v4
	v_add_co_ci_u32_e32 v41, vcc_lo, 0, v5, vcc_lo
	v_cmp_eq_u32_e32 vcc_lo, 0, v15
	s_delay_alu instid0(VALU_DEP_4) | instskip(SKIP_4) | instid1(VALU_DEP_4)
	v_and_b32_e32 v40, v7, v40
	v_cndmask_b32_e64 v42, 1, 2, vcc_lo
	v_add_co_u32 v6, vcc_lo, v6, -8
	v_add_co_ci_u32_e32 v7, vcc_lo, -1, v41, vcc_lo
	v_cmp_eq_u32_e32 vcc_lo, 0, v39
	v_and_b32_e32 v40, v40, v42
	v_cndmask_b32_e64 v41, 1, 2, vcc_lo
	v_cmp_eq_u32_e32 vcc_lo, 0, v37
	s_delay_alu instid0(VALU_DEP_2) | instskip(SKIP_2) | instid1(VALU_DEP_2)
	v_and_b32_e32 v9, v40, v41
	v_cndmask_b32_e64 v11, 1, 2, vcc_lo
	v_cmp_eq_u32_e32 vcc_lo, 0, v10
	v_and_b32_e32 v9, v9, v11
	v_cndmask_b32_e64 v11, 1, 2, vcc_lo
	v_cmp_gt_u32_e32 vcc_lo, 0x100, v3
	s_delay_alu instid0(VALU_DEP_2) | instskip(NEXT) | instid1(VALU_DEP_1)
	v_and_b32_e32 v9, v9, v11
	v_cmp_gt_i16_e64 s15, 2, v9
	s_cbranch_vccz .LBB1001_240
; %bb.224:
	s_delay_alu instid0(VALU_DEP_1)
	s_and_saveexec_b32 s16, s15
	s_cbranch_execz .LBB1001_279
; %bb.225:
	s_mov_b32 s17, 0
	s_mov_b32 s15, exec_lo
	v_cmpx_ne_u16_e32 1, v9
	s_xor_b32 s15, exec_lo, s15
	s_cbranch_execz .LBB1001_257
; %bb.226:
	s_and_saveexec_b32 s17, s14
	s_cbranch_execz .LBB1001_262
; %bb.227:
	v_sub_nc_u32_e32 v10, v98, v8
	v_mov_b32_e32 v11, 0
	s_delay_alu instid0(VALU_DEP_1) | instskip(NEXT) | instid1(VALU_DEP_1)
	v_lshlrev_b64 v[10:11], 3, v[10:11]
	v_add_co_u32 v10, vcc_lo, v6, v10
	s_delay_alu instid0(VALU_DEP_2)
	v_add_co_ci_u32_e32 v11, vcc_lo, v7, v11, vcc_lo
	global_store_b64 v[10:11], v[63:64], off
	s_or_b32 exec_lo, exec_lo, s17
	s_and_saveexec_b32 s17, s13
	s_cbranch_execnz .LBB1001_263
.LBB1001_228:
	s_or_b32 exec_lo, exec_lo, s17
	s_and_saveexec_b32 s17, s12
	s_cbranch_execz .LBB1001_264
.LBB1001_229:
	v_sub_nc_u32_e32 v10, v31, v8
	v_mov_b32_e32 v11, 0
	s_delay_alu instid0(VALU_DEP_1) | instskip(NEXT) | instid1(VALU_DEP_1)
	v_lshlrev_b64 v[10:11], 3, v[10:11]
	v_add_co_u32 v10, vcc_lo, v6, v10
	s_delay_alu instid0(VALU_DEP_2)
	v_add_co_ci_u32_e32 v11, vcc_lo, v7, v11, vcc_lo
	global_store_b64 v[10:11], v[65:66], off
	s_or_b32 exec_lo, exec_lo, s17
	s_and_saveexec_b32 s17, s11
	s_cbranch_execnz .LBB1001_265
.LBB1001_230:
	s_or_b32 exec_lo, exec_lo, s17
	s_and_saveexec_b32 s17, s10
	s_cbranch_execz .LBB1001_266
.LBB1001_231:
	v_sub_nc_u32_e32 v10, v29, v8
	v_mov_b32_e32 v11, 0
	s_delay_alu instid0(VALU_DEP_1) | instskip(NEXT) | instid1(VALU_DEP_1)
	v_lshlrev_b64 v[10:11], 3, v[10:11]
	v_add_co_u32 v10, vcc_lo, v6, v10
	s_delay_alu instid0(VALU_DEP_2)
	v_add_co_ci_u32_e32 v11, vcc_lo, v7, v11, vcc_lo
	global_store_b64 v[10:11], v[51:52], off
	s_or_b32 exec_lo, exec_lo, s17
	s_and_saveexec_b32 s17, s9
	s_cbranch_execnz .LBB1001_267
.LBB1001_232:
	s_or_b32 exec_lo, exec_lo, s17
	s_and_saveexec_b32 s17, s8
	s_cbranch_execz .LBB1001_268
.LBB1001_233:
	v_sub_nc_u32_e32 v10, v27, v8
	v_mov_b32_e32 v11, 0
	s_delay_alu instid0(VALU_DEP_1) | instskip(NEXT) | instid1(VALU_DEP_1)
	v_lshlrev_b64 v[10:11], 3, v[10:11]
	v_add_co_u32 v10, vcc_lo, v6, v10
	s_delay_alu instid0(VALU_DEP_2)
	v_add_co_ci_u32_e32 v11, vcc_lo, v7, v11, vcc_lo
	global_store_b64 v[10:11], v[61:62], off
	s_or_b32 exec_lo, exec_lo, s17
	s_and_saveexec_b32 s17, s7
	s_cbranch_execnz .LBB1001_269
.LBB1001_234:
	s_or_b32 exec_lo, exec_lo, s17
	s_and_saveexec_b32 s17, s6
	s_cbranch_execz .LBB1001_270
.LBB1001_235:
	v_sub_nc_u32_e32 v10, v25, v8
	v_mov_b32_e32 v11, 0
	s_delay_alu instid0(VALU_DEP_1) | instskip(NEXT) | instid1(VALU_DEP_1)
	v_lshlrev_b64 v[10:11], 3, v[10:11]
	v_add_co_u32 v10, vcc_lo, v6, v10
	s_delay_alu instid0(VALU_DEP_2)
	v_add_co_ci_u32_e32 v11, vcc_lo, v7, v11, vcc_lo
	global_store_b64 v[10:11], v[71:72], off
	s_or_b32 exec_lo, exec_lo, s17
	s_and_saveexec_b32 s17, s5
	s_cbranch_execnz .LBB1001_271
.LBB1001_236:
	s_or_b32 exec_lo, exec_lo, s17
	s_and_saveexec_b32 s17, s4
	s_cbranch_execz .LBB1001_272
.LBB1001_237:
	v_sub_nc_u32_e32 v10, v23, v8
	v_mov_b32_e32 v11, 0
	s_delay_alu instid0(VALU_DEP_1) | instskip(NEXT) | instid1(VALU_DEP_1)
	v_lshlrev_b64 v[10:11], 3, v[10:11]
	v_add_co_u32 v10, vcc_lo, v6, v10
	s_delay_alu instid0(VALU_DEP_2)
	v_add_co_ci_u32_e32 v11, vcc_lo, v7, v11, vcc_lo
	global_store_b64 v[10:11], v[57:58], off
	s_or_b32 exec_lo, exec_lo, s17
	s_and_saveexec_b32 s17, s3
	s_cbranch_execnz .LBB1001_273
.LBB1001_238:
	s_or_b32 exec_lo, exec_lo, s17
	s_and_saveexec_b32 s17, s2
	s_cbranch_execz .LBB1001_274
.LBB1001_239:
	v_sub_nc_u32_e32 v10, v21, v8
	v_mov_b32_e32 v11, 0
	s_delay_alu instid0(VALU_DEP_1) | instskip(NEXT) | instid1(VALU_DEP_1)
	v_lshlrev_b64 v[10:11], 3, v[10:11]
	v_add_co_u32 v10, vcc_lo, v6, v10
	s_delay_alu instid0(VALU_DEP_2)
	v_add_co_ci_u32_e32 v11, vcc_lo, v7, v11, vcc_lo
	global_store_b64 v[10:11], v[75:76], off
	s_or_b32 exec_lo, exec_lo, s17
	s_and_saveexec_b32 s17, s1
	s_cbranch_execnz .LBB1001_275
	s_branch .LBB1001_276
.LBB1001_240:
	s_and_b32 vcc_lo, exec_lo, s16
	s_cbranch_vccz .LBB1001_280
; %bb.241:
	s_mov_b32 s15, exec_lo
	v_cmpx_gt_i16_e32 2, v9
	s_cbranch_execz .LBB1001_298
; %bb.242:
	s_mov_b32 s17, 0
	s_mov_b32 s16, exec_lo
	v_cmpx_ne_u16_e32 1, v9
	s_xor_b32 s16, exec_lo, s16
	s_cbranch_execz .LBB1001_259
; %bb.243:
	s_and_saveexec_b32 s17, s14
	s_cbranch_execz .LBB1001_281
; %bb.244:
	v_sub_nc_u32_e32 v9, v98, v8
	s_delay_alu instid0(VALU_DEP_1)
	v_lshlrev_b32_e32 v9, 3, v9
	ds_store_b64 v9, v[63:64]
	s_or_b32 exec_lo, exec_lo, s17
	s_and_saveexec_b32 s14, s13
	s_cbranch_execnz .LBB1001_282
.LBB1001_245:
	s_or_b32 exec_lo, exec_lo, s14
	s_and_saveexec_b32 s13, s12
	s_cbranch_execz .LBB1001_283
.LBB1001_246:
	v_sub_nc_u32_e32 v9, v31, v8
	s_delay_alu instid0(VALU_DEP_1)
	v_lshlrev_b32_e32 v9, 3, v9
	ds_store_b64 v9, v[65:66]
	s_or_b32 exec_lo, exec_lo, s13
	s_and_saveexec_b32 s12, s11
	s_cbranch_execnz .LBB1001_284
.LBB1001_247:
	s_or_b32 exec_lo, exec_lo, s12
	s_and_saveexec_b32 s11, s10
	s_cbranch_execz .LBB1001_285
.LBB1001_248:
	v_sub_nc_u32_e32 v9, v29, v8
	s_delay_alu instid0(VALU_DEP_1)
	v_lshlrev_b32_e32 v9, 3, v9
	ds_store_b64 v9, v[51:52]
	s_or_b32 exec_lo, exec_lo, s11
	s_and_saveexec_b32 s10, s9
	s_cbranch_execnz .LBB1001_286
.LBB1001_249:
	s_or_b32 exec_lo, exec_lo, s10
	s_and_saveexec_b32 s9, s8
	s_cbranch_execz .LBB1001_287
.LBB1001_250:
	v_sub_nc_u32_e32 v9, v27, v8
	s_delay_alu instid0(VALU_DEP_1)
	v_lshlrev_b32_e32 v9, 3, v9
	ds_store_b64 v9, v[61:62]
	s_or_b32 exec_lo, exec_lo, s9
	s_and_saveexec_b32 s8, s7
	s_cbranch_execnz .LBB1001_288
.LBB1001_251:
	s_or_b32 exec_lo, exec_lo, s8
	s_and_saveexec_b32 s7, s6
	s_cbranch_execz .LBB1001_289
.LBB1001_252:
	v_sub_nc_u32_e32 v9, v25, v8
	s_delay_alu instid0(VALU_DEP_1)
	v_lshlrev_b32_e32 v9, 3, v9
	ds_store_b64 v9, v[71:72]
	s_or_b32 exec_lo, exec_lo, s7
	s_and_saveexec_b32 s6, s5
	s_cbranch_execnz .LBB1001_290
.LBB1001_253:
	s_or_b32 exec_lo, exec_lo, s6
	s_and_saveexec_b32 s5, s4
	s_cbranch_execz .LBB1001_291
.LBB1001_254:
	v_sub_nc_u32_e32 v9, v23, v8
	s_delay_alu instid0(VALU_DEP_1)
	v_lshlrev_b32_e32 v9, 3, v9
	ds_store_b64 v9, v[57:58]
	s_or_b32 exec_lo, exec_lo, s5
	s_and_saveexec_b32 s4, s3
	s_cbranch_execnz .LBB1001_292
.LBB1001_255:
	s_or_b32 exec_lo, exec_lo, s4
	s_and_saveexec_b32 s3, s2
	s_cbranch_execz .LBB1001_293
.LBB1001_256:
	v_sub_nc_u32_e32 v9, v21, v8
	s_delay_alu instid0(VALU_DEP_1)
	v_lshlrev_b32_e32 v9, 3, v9
	ds_store_b64 v9, v[75:76]
	s_or_b32 exec_lo, exec_lo, s3
	s_and_saveexec_b32 s2, s1
	s_cbranch_execnz .LBB1001_294
	s_branch .LBB1001_295
.LBB1001_257:
	s_and_not1_saveexec_b32 s15, s15
	s_cbranch_execz .LBB1001_277
.LBB1001_258:
	v_sub_nc_u32_e32 v10, v98, v8
	v_mov_b32_e32 v11, 0
	s_or_b32 s17, s17, exec_lo
	s_delay_alu instid0(VALU_DEP_1) | instskip(SKIP_1) | instid1(VALU_DEP_1)
	v_lshlrev_b64 v[12:13], 3, v[10:11]
	v_sub_nc_u32_e32 v10, v32, v8
	v_lshlrev_b64 v[14:15], 3, v[10:11]
	v_sub_nc_u32_e32 v10, v31, v8
	s_delay_alu instid0(VALU_DEP_4) | instskip(SKIP_1) | instid1(VALU_DEP_3)
	v_add_co_u32 v12, vcc_lo, v6, v12
	v_add_co_ci_u32_e32 v13, vcc_lo, v7, v13, vcc_lo
	v_lshlrev_b64 v[33:34], 3, v[10:11]
	v_sub_nc_u32_e32 v10, v30, v8
	v_add_co_u32 v14, vcc_lo, v6, v14
	v_add_co_ci_u32_e32 v15, vcc_lo, v7, v15, vcc_lo
	global_store_b64 v[12:13], v[63:64], off
	v_lshlrev_b64 v[12:13], 3, v[10:11]
	v_sub_nc_u32_e32 v10, v29, v8
	global_store_b64 v[14:15], v[59:60], off
	v_add_co_u32 v14, vcc_lo, v6, v33
	v_add_co_ci_u32_e32 v15, vcc_lo, v7, v34, vcc_lo
	v_lshlrev_b64 v[33:34], 3, v[10:11]
	v_sub_nc_u32_e32 v10, v28, v8
	v_add_co_u32 v12, vcc_lo, v6, v12
	v_add_co_ci_u32_e32 v13, vcc_lo, v7, v13, vcc_lo
	s_delay_alu instid0(VALU_DEP_3) | instskip(SKIP_3) | instid1(VALU_DEP_3)
	v_lshlrev_b64 v[35:36], 3, v[10:11]
	v_sub_nc_u32_e32 v10, v27, v8
	v_add_co_u32 v33, vcc_lo, v6, v33
	v_add_co_ci_u32_e32 v34, vcc_lo, v7, v34, vcc_lo
	v_lshlrev_b64 v[37:38], 3, v[10:11]
	v_sub_nc_u32_e32 v10, v26, v8
	v_add_co_u32 v35, vcc_lo, v6, v35
	v_add_co_ci_u32_e32 v36, vcc_lo, v7, v36, vcc_lo
	s_clause 0x3
	global_store_b64 v[14:15], v[65:66], off
	global_store_b64 v[12:13], v[69:70], off
	;; [unrolled: 1-line block ×4, first 2 shown]
	v_lshlrev_b64 v[12:13], 3, v[10:11]
	v_sub_nc_u32_e32 v10, v25, v8
	v_add_co_u32 v14, vcc_lo, v6, v37
	v_add_co_ci_u32_e32 v15, vcc_lo, v7, v38, vcc_lo
	s_delay_alu instid0(VALU_DEP_3) | instskip(SKIP_3) | instid1(VALU_DEP_3)
	v_lshlrev_b64 v[33:34], 3, v[10:11]
	v_sub_nc_u32_e32 v10, v24, v8
	v_add_co_u32 v12, vcc_lo, v6, v12
	v_add_co_ci_u32_e32 v13, vcc_lo, v7, v13, vcc_lo
	v_lshlrev_b64 v[35:36], 3, v[10:11]
	v_sub_nc_u32_e32 v10, v23, v8
	v_add_co_u32 v33, vcc_lo, v6, v33
	v_add_co_ci_u32_e32 v34, vcc_lo, v7, v34, vcc_lo
	s_delay_alu instid0(VALU_DEP_3)
	v_lshlrev_b64 v[37:38], 3, v[10:11]
	v_sub_nc_u32_e32 v10, v22, v8
	v_add_co_u32 v35, vcc_lo, v6, v35
	v_add_co_ci_u32_e32 v36, vcc_lo, v7, v36, vcc_lo
	s_clause 0x3
	global_store_b64 v[14:15], v[61:62], off
	global_store_b64 v[12:13], v[67:68], off
	;; [unrolled: 1-line block ×4, first 2 shown]
	v_lshlrev_b64 v[12:13], 3, v[10:11]
	v_sub_nc_u32_e32 v10, v21, v8
	v_add_co_u32 v14, vcc_lo, v6, v37
	v_add_co_ci_u32_e32 v15, vcc_lo, v7, v38, vcc_lo
	s_delay_alu instid0(VALU_DEP_3) | instskip(SKIP_3) | instid1(VALU_DEP_3)
	v_lshlrev_b64 v[33:34], 3, v[10:11]
	v_sub_nc_u32_e32 v10, v20, v8
	v_add_co_u32 v12, vcc_lo, v6, v12
	v_add_co_ci_u32_e32 v13, vcc_lo, v7, v13, vcc_lo
	v_lshlrev_b64 v[10:11], 3, v[10:11]
	v_add_co_u32 v33, vcc_lo, v6, v33
	v_add_co_ci_u32_e32 v34, vcc_lo, v7, v34, vcc_lo
	s_clause 0x2
	global_store_b64 v[14:15], v[57:58], off
	global_store_b64 v[12:13], v[73:74], off
	;; [unrolled: 1-line block ×3, first 2 shown]
	v_add_co_u32 v10, vcc_lo, v6, v10
	v_add_co_ci_u32_e32 v11, vcc_lo, v7, v11, vcc_lo
	global_store_b64 v[10:11], v[77:78], off
	s_or_b32 exec_lo, exec_lo, s15
	s_delay_alu instid0(SALU_CYCLE_1)
	s_and_b32 exec_lo, exec_lo, s17
	s_cbranch_execnz .LBB1001_278
	s_branch .LBB1001_279
.LBB1001_259:
	s_and_not1_saveexec_b32 s0, s16
	s_cbranch_execz .LBB1001_296
.LBB1001_260:
	v_sub_nc_u32_e32 v9, v98, v8
	v_sub_nc_u32_e32 v10, v32, v8
	;; [unrolled: 1-line block ×5, first 2 shown]
	v_lshlrev_b32_e32 v9, 3, v9
	v_lshlrev_b32_e32 v10, 3, v10
	;; [unrolled: 1-line block ×4, first 2 shown]
	s_or_b32 s17, s17, exec_lo
	ds_store_b64 v9, v[63:64]
	ds_store_b64 v10, v[59:60]
	;; [unrolled: 1-line block ×3, first 2 shown]
	v_sub_nc_u32_e32 v9, v29, v8
	v_sub_nc_u32_e32 v10, v28, v8
	;; [unrolled: 1-line block ×3, first 2 shown]
	ds_store_b64 v12, v[69:70]
	v_sub_nc_u32_e32 v12, v26, v8
	v_lshlrev_b32_e32 v9, 3, v9
	v_lshlrev_b32_e32 v10, 3, v10
	;; [unrolled: 1-line block ×3, first 2 shown]
	s_delay_alu instid0(VALU_DEP_4)
	v_lshlrev_b32_e32 v12, 3, v12
	ds_store_b64 v9, v[51:52]
	v_lshlrev_b32_e32 v9, 3, v13
	ds_store_b64 v10, v[55:56]
	ds_store_b64 v11, v[61:62]
	ds_store_b64 v12, v[67:68]
	v_sub_nc_u32_e32 v10, v24, v8
	v_sub_nc_u32_e32 v13, v20, v8
	;; [unrolled: 1-line block ×3, first 2 shown]
	ds_store_b64 v9, v[71:72]
	v_sub_nc_u32_e32 v9, v23, v8
	v_lshlrev_b32_e32 v10, 3, v10
	v_sub_nc_u32_e32 v12, v21, v8
	v_lshlrev_b32_e32 v11, 3, v11
	s_delay_alu instid0(VALU_DEP_4)
	v_lshlrev_b32_e32 v9, 3, v9
	ds_store_b64 v10, v[53:54]
	v_lshlrev_b32_e32 v10, 3, v13
	v_lshlrev_b32_e32 v12, 3, v12
	ds_store_b64 v9, v[57:58]
	ds_store_b64 v11, v[73:74]
	;; [unrolled: 1-line block ×4, first 2 shown]
	s_or_b32 exec_lo, exec_lo, s0
	s_delay_alu instid0(SALU_CYCLE_1)
	s_and_b32 exec_lo, exec_lo, s17
	s_cbranch_execnz .LBB1001_297
	s_branch .LBB1001_298
.LBB1001_261:
	s_or_b32 exec_lo, exec_lo, s4
	v_mov_b32_e32 v96, s1
	s_and_saveexec_b32 s1, s45
	s_cbranch_execnz .LBB1001_76
	s_branch .LBB1001_77
.LBB1001_262:
	s_or_b32 exec_lo, exec_lo, s17
	s_and_saveexec_b32 s17, s13
	s_cbranch_execz .LBB1001_228
.LBB1001_263:
	v_sub_nc_u32_e32 v10, v32, v8
	v_mov_b32_e32 v11, 0
	s_delay_alu instid0(VALU_DEP_1) | instskip(NEXT) | instid1(VALU_DEP_1)
	v_lshlrev_b64 v[10:11], 3, v[10:11]
	v_add_co_u32 v10, vcc_lo, v6, v10
	s_delay_alu instid0(VALU_DEP_2)
	v_add_co_ci_u32_e32 v11, vcc_lo, v7, v11, vcc_lo
	global_store_b64 v[10:11], v[59:60], off
	s_or_b32 exec_lo, exec_lo, s17
	s_and_saveexec_b32 s17, s12
	s_cbranch_execnz .LBB1001_229
.LBB1001_264:
	s_or_b32 exec_lo, exec_lo, s17
	s_and_saveexec_b32 s17, s11
	s_cbranch_execz .LBB1001_230
.LBB1001_265:
	v_sub_nc_u32_e32 v10, v30, v8
	v_mov_b32_e32 v11, 0
	s_delay_alu instid0(VALU_DEP_1) | instskip(NEXT) | instid1(VALU_DEP_1)
	v_lshlrev_b64 v[10:11], 3, v[10:11]
	v_add_co_u32 v10, vcc_lo, v6, v10
	s_delay_alu instid0(VALU_DEP_2)
	v_add_co_ci_u32_e32 v11, vcc_lo, v7, v11, vcc_lo
	global_store_b64 v[10:11], v[69:70], off
	s_or_b32 exec_lo, exec_lo, s17
	s_and_saveexec_b32 s17, s10
	s_cbranch_execnz .LBB1001_231
.LBB1001_266:
	s_or_b32 exec_lo, exec_lo, s17
	s_and_saveexec_b32 s17, s9
	s_cbranch_execz .LBB1001_232
.LBB1001_267:
	v_sub_nc_u32_e32 v10, v28, v8
	v_mov_b32_e32 v11, 0
	s_delay_alu instid0(VALU_DEP_1) | instskip(NEXT) | instid1(VALU_DEP_1)
	v_lshlrev_b64 v[10:11], 3, v[10:11]
	v_add_co_u32 v10, vcc_lo, v6, v10
	s_delay_alu instid0(VALU_DEP_2)
	v_add_co_ci_u32_e32 v11, vcc_lo, v7, v11, vcc_lo
	global_store_b64 v[10:11], v[55:56], off
	s_or_b32 exec_lo, exec_lo, s17
	s_and_saveexec_b32 s17, s8
	s_cbranch_execnz .LBB1001_233
.LBB1001_268:
	s_or_b32 exec_lo, exec_lo, s17
	s_and_saveexec_b32 s17, s7
	s_cbranch_execz .LBB1001_234
.LBB1001_269:
	v_sub_nc_u32_e32 v10, v26, v8
	v_mov_b32_e32 v11, 0
	s_delay_alu instid0(VALU_DEP_1) | instskip(NEXT) | instid1(VALU_DEP_1)
	v_lshlrev_b64 v[10:11], 3, v[10:11]
	v_add_co_u32 v10, vcc_lo, v6, v10
	s_delay_alu instid0(VALU_DEP_2)
	v_add_co_ci_u32_e32 v11, vcc_lo, v7, v11, vcc_lo
	global_store_b64 v[10:11], v[67:68], off
	s_or_b32 exec_lo, exec_lo, s17
	s_and_saveexec_b32 s17, s6
	s_cbranch_execnz .LBB1001_235
.LBB1001_270:
	s_or_b32 exec_lo, exec_lo, s17
	s_and_saveexec_b32 s17, s5
	s_cbranch_execz .LBB1001_236
.LBB1001_271:
	v_sub_nc_u32_e32 v10, v24, v8
	v_mov_b32_e32 v11, 0
	s_delay_alu instid0(VALU_DEP_1) | instskip(NEXT) | instid1(VALU_DEP_1)
	v_lshlrev_b64 v[10:11], 3, v[10:11]
	v_add_co_u32 v10, vcc_lo, v6, v10
	s_delay_alu instid0(VALU_DEP_2)
	v_add_co_ci_u32_e32 v11, vcc_lo, v7, v11, vcc_lo
	global_store_b64 v[10:11], v[53:54], off
	s_or_b32 exec_lo, exec_lo, s17
	s_and_saveexec_b32 s17, s4
	s_cbranch_execnz .LBB1001_237
.LBB1001_272:
	s_or_b32 exec_lo, exec_lo, s17
	s_and_saveexec_b32 s17, s3
	s_cbranch_execz .LBB1001_238
.LBB1001_273:
	v_sub_nc_u32_e32 v10, v22, v8
	v_mov_b32_e32 v11, 0
	s_delay_alu instid0(VALU_DEP_1) | instskip(NEXT) | instid1(VALU_DEP_1)
	v_lshlrev_b64 v[10:11], 3, v[10:11]
	v_add_co_u32 v10, vcc_lo, v6, v10
	s_delay_alu instid0(VALU_DEP_2)
	v_add_co_ci_u32_e32 v11, vcc_lo, v7, v11, vcc_lo
	global_store_b64 v[10:11], v[73:74], off
	s_or_b32 exec_lo, exec_lo, s17
	s_and_saveexec_b32 s17, s2
	s_cbranch_execnz .LBB1001_239
.LBB1001_274:
	s_or_b32 exec_lo, exec_lo, s17
	s_and_saveexec_b32 s17, s1
	s_cbranch_execz .LBB1001_276
.LBB1001_275:
	v_sub_nc_u32_e32 v10, v20, v8
	v_mov_b32_e32 v11, 0
	s_delay_alu instid0(VALU_DEP_1) | instskip(NEXT) | instid1(VALU_DEP_1)
	v_lshlrev_b64 v[10:11], 3, v[10:11]
	v_add_co_u32 v10, vcc_lo, v6, v10
	s_delay_alu instid0(VALU_DEP_2)
	v_add_co_ci_u32_e32 v11, vcc_lo, v7, v11, vcc_lo
	global_store_b64 v[10:11], v[77:78], off
.LBB1001_276:
	s_or_b32 exec_lo, exec_lo, s17
	s_delay_alu instid0(SALU_CYCLE_1)
	s_and_b32 s17, s0, exec_lo
	s_and_not1_saveexec_b32 s15, s15
	s_cbranch_execnz .LBB1001_258
.LBB1001_277:
	s_or_b32 exec_lo, exec_lo, s15
	s_delay_alu instid0(SALU_CYCLE_1)
	s_and_b32 exec_lo, exec_lo, s17
	s_cbranch_execz .LBB1001_279
.LBB1001_278:
	v_sub_nc_u32_e32 v10, v19, v8
	v_mov_b32_e32 v11, 0
	s_delay_alu instid0(VALU_DEP_1) | instskip(NEXT) | instid1(VALU_DEP_1)
	v_lshlrev_b64 v[10:11], 3, v[10:11]
	v_add_co_u32 v10, vcc_lo, v6, v10
	s_delay_alu instid0(VALU_DEP_2)
	v_add_co_ci_u32_e32 v11, vcc_lo, v7, v11, vcc_lo
	global_store_b64 v[10:11], v[1:2], off
.LBB1001_279:
	s_or_b32 exec_lo, exec_lo, s16
.LBB1001_280:
	v_cmp_eq_u32_e32 vcc_lo, 0xff, v0
	s_and_b32 s0, vcc_lo, s33
	s_delay_alu instid0(SALU_CYCLE_1)
	s_and_saveexec_b32 s1, s0
	s_cbranch_execnz .LBB1001_302
	s_branch .LBB1001_304
.LBB1001_281:
	s_or_b32 exec_lo, exec_lo, s17
	s_and_saveexec_b32 s14, s13
	s_cbranch_execz .LBB1001_245
.LBB1001_282:
	v_sub_nc_u32_e32 v9, v32, v8
	s_delay_alu instid0(VALU_DEP_1)
	v_lshlrev_b32_e32 v9, 3, v9
	ds_store_b64 v9, v[59:60]
	s_or_b32 exec_lo, exec_lo, s14
	s_and_saveexec_b32 s13, s12
	s_cbranch_execnz .LBB1001_246
.LBB1001_283:
	s_or_b32 exec_lo, exec_lo, s13
	s_and_saveexec_b32 s12, s11
	s_cbranch_execz .LBB1001_247
.LBB1001_284:
	v_sub_nc_u32_e32 v9, v30, v8
	s_delay_alu instid0(VALU_DEP_1)
	v_lshlrev_b32_e32 v9, 3, v9
	ds_store_b64 v9, v[69:70]
	s_or_b32 exec_lo, exec_lo, s12
	s_and_saveexec_b32 s11, s10
	s_cbranch_execnz .LBB1001_248
.LBB1001_285:
	s_or_b32 exec_lo, exec_lo, s11
	s_and_saveexec_b32 s10, s9
	s_cbranch_execz .LBB1001_249
.LBB1001_286:
	v_sub_nc_u32_e32 v9, v28, v8
	s_delay_alu instid0(VALU_DEP_1)
	v_lshlrev_b32_e32 v9, 3, v9
	ds_store_b64 v9, v[55:56]
	s_or_b32 exec_lo, exec_lo, s10
	s_and_saveexec_b32 s9, s8
	s_cbranch_execnz .LBB1001_250
.LBB1001_287:
	s_or_b32 exec_lo, exec_lo, s9
	s_and_saveexec_b32 s8, s7
	s_cbranch_execz .LBB1001_251
.LBB1001_288:
	v_sub_nc_u32_e32 v9, v26, v8
	s_delay_alu instid0(VALU_DEP_1)
	v_lshlrev_b32_e32 v9, 3, v9
	ds_store_b64 v9, v[67:68]
	s_or_b32 exec_lo, exec_lo, s8
	s_and_saveexec_b32 s7, s6
	s_cbranch_execnz .LBB1001_252
.LBB1001_289:
	s_or_b32 exec_lo, exec_lo, s7
	s_and_saveexec_b32 s6, s5
	s_cbranch_execz .LBB1001_253
.LBB1001_290:
	v_sub_nc_u32_e32 v9, v24, v8
	s_delay_alu instid0(VALU_DEP_1)
	v_lshlrev_b32_e32 v9, 3, v9
	ds_store_b64 v9, v[53:54]
	s_or_b32 exec_lo, exec_lo, s6
	s_and_saveexec_b32 s5, s4
	s_cbranch_execnz .LBB1001_254
.LBB1001_291:
	s_or_b32 exec_lo, exec_lo, s5
	s_and_saveexec_b32 s4, s3
	s_cbranch_execz .LBB1001_255
.LBB1001_292:
	v_sub_nc_u32_e32 v9, v22, v8
	s_delay_alu instid0(VALU_DEP_1)
	v_lshlrev_b32_e32 v9, 3, v9
	ds_store_b64 v9, v[73:74]
	s_or_b32 exec_lo, exec_lo, s4
	s_and_saveexec_b32 s3, s2
	s_cbranch_execnz .LBB1001_256
.LBB1001_293:
	s_or_b32 exec_lo, exec_lo, s3
	s_and_saveexec_b32 s2, s1
	s_cbranch_execz .LBB1001_295
.LBB1001_294:
	v_sub_nc_u32_e32 v9, v20, v8
	s_delay_alu instid0(VALU_DEP_1)
	v_lshlrev_b32_e32 v9, 3, v9
	ds_store_b64 v9, v[77:78]
.LBB1001_295:
	s_or_b32 exec_lo, exec_lo, s2
	s_delay_alu instid0(SALU_CYCLE_1)
	s_and_b32 s17, s0, exec_lo
                                        ; implicit-def: $vgpr63_vgpr64
                                        ; implicit-def: $vgpr59_vgpr60
                                        ; implicit-def: $vgpr65_vgpr66
                                        ; implicit-def: $vgpr69_vgpr70
                                        ; implicit-def: $vgpr51_vgpr52
                                        ; implicit-def: $vgpr55_vgpr56
                                        ; implicit-def: $vgpr61_vgpr62
                                        ; implicit-def: $vgpr67_vgpr68
                                        ; implicit-def: $vgpr71_vgpr72
                                        ; implicit-def: $vgpr53_vgpr54
                                        ; implicit-def: $vgpr57_vgpr58
                                        ; implicit-def: $vgpr73_vgpr74
                                        ; implicit-def: $vgpr75_vgpr76
                                        ; implicit-def: $vgpr77_vgpr78
                                        ; implicit-def: $vgpr98
                                        ; implicit-def: $vgpr32
                                        ; implicit-def: $vgpr31
                                        ; implicit-def: $vgpr30
                                        ; implicit-def: $vgpr29
                                        ; implicit-def: $vgpr28
                                        ; implicit-def: $vgpr27
                                        ; implicit-def: $vgpr26
                                        ; implicit-def: $vgpr25
                                        ; implicit-def: $vgpr24
                                        ; implicit-def: $vgpr23
                                        ; implicit-def: $vgpr22
                                        ; implicit-def: $vgpr21
                                        ; implicit-def: $vgpr20
	s_and_not1_saveexec_b32 s0, s16
	s_cbranch_execnz .LBB1001_260
.LBB1001_296:
	s_or_b32 exec_lo, exec_lo, s0
	s_delay_alu instid0(SALU_CYCLE_1)
	s_and_b32 exec_lo, exec_lo, s17
	s_cbranch_execz .LBB1001_298
.LBB1001_297:
	v_sub_nc_u32_e32 v8, v19, v8
	s_delay_alu instid0(VALU_DEP_1)
	v_lshlrev_b32_e32 v8, 3, v8
	ds_store_b64 v8, v[1:2]
.LBB1001_298:
	s_or_b32 exec_lo, exec_lo, s15
	s_delay_alu instid0(SALU_CYCLE_1)
	s_mov_b32 s1, exec_lo
	s_waitcnt lgkmcnt(0)
	s_waitcnt_vscnt null, 0x0
	s_barrier
	buffer_gl0_inv
	v_cmpx_lt_u32_e64 v0, v3
	s_cbranch_execz .LBB1001_301
; %bb.299:
	v_dual_mov_b32 v1, v0 :: v_dual_lshlrev_b32 v8, 3, v0
	v_mov_b32_e32 v2, 0
	s_mov_b32 s2, 0
	.p2align	6
.LBB1001_300:                           ; =>This Inner Loop Header: Depth=1
	ds_load_b64 v[9:10], v8
	v_lshlrev_b64 v[11:12], 3, v[1:2]
	v_add_nc_u32_e32 v1, 0x100, v1
	v_add_nc_u32_e32 v8, 0x800, v8
	s_delay_alu instid0(VALU_DEP_2) | instskip(NEXT) | instid1(VALU_DEP_4)
	v_cmp_ge_u32_e32 vcc_lo, v1, v3
	v_add_co_u32 v11, s0, v6, v11
	s_delay_alu instid0(VALU_DEP_1)
	v_add_co_ci_u32_e64 v12, s0, v7, v12, s0
	s_or_b32 s2, vcc_lo, s2
	s_waitcnt lgkmcnt(0)
	global_store_b64 v[11:12], v[9:10], off
	s_and_not1_b32 exec_lo, exec_lo, s2
	s_cbranch_execnz .LBB1001_300
.LBB1001_301:
	s_or_b32 exec_lo, exec_lo, s1
	v_cmp_eq_u32_e32 vcc_lo, 0xff, v0
	s_and_b32 s0, vcc_lo, s33
	s_delay_alu instid0(SALU_CYCLE_1)
	s_and_saveexec_b32 s1, s0
	s_cbranch_execz .LBB1001_304
.LBB1001_302:
	v_add_co_u32 v0, s0, v45, v49
	s_delay_alu instid0(VALU_DEP_1) | instskip(SKIP_1) | instid1(VALU_DEP_3)
	v_add_co_ci_u32_e64 v1, null, 0, 0, s0
	v_mov_b32_e32 v46, 0
	v_add_co_u32 v0, vcc_lo, v0, v17
	s_delay_alu instid0(VALU_DEP_3)
	v_add_co_ci_u32_e32 v1, vcc_lo, v1, v18, vcc_lo
	s_cmpk_lg_i32 s34, 0xf00
	global_store_b64 v46, v[0:1], s[26:27]
	s_cbranch_scc1 .LBB1001_304
; %bb.303:
	v_lshlrev_b64 v[0:1], 3, v[45:46]
	s_delay_alu instid0(VALU_DEP_1) | instskip(NEXT) | instid1(VALU_DEP_2)
	v_add_co_u32 v0, vcc_lo, v4, v0
	v_add_co_ci_u32_e32 v1, vcc_lo, v5, v1, vcc_lo
	global_store_b64 v[0:1], v[47:48], off offset:-8
	s_nop 0
	s_sendmsg sendmsg(MSG_DEALLOC_VGPRS)
	s_endpgm
.LBB1001_304:
	s_nop 0
	s_sendmsg sendmsg(MSG_DEALLOC_VGPRS)
	s_endpgm
	.section	.rodata,"a",@progbits
	.p2align	6, 0x0
	.amdhsa_kernel _ZN7rocprim17ROCPRIM_400000_NS6detail17trampoline_kernelINS0_14default_configENS1_29reduce_by_key_config_selectorIjxN6thrust23THRUST_200600_302600_NS4plusIxEEEEZZNS1_33reduce_by_key_impl_wrapped_configILNS1_25lookback_scan_determinismE0ES3_S9_NS6_6detail15normal_iteratorINS6_10device_ptrIjEEEENSD_INSE_IxEEEENS6_16discard_iteratorINS6_11use_defaultEEESI_PmS8_NS6_8equal_toIjEEEE10hipError_tPvRmT2_T3_mT4_T5_T6_T7_T8_P12ihipStream_tbENKUlT_T0_E_clISt17integral_constantIbLb1EES16_EEDaS11_S12_EUlS11_E_NS1_11comp_targetILNS1_3genE9ELNS1_11target_archE1100ELNS1_3gpuE3ELNS1_3repE0EEENS1_30default_config_static_selectorELNS0_4arch9wavefront6targetE0EEEvT1_
		.amdhsa_group_segment_fixed_size 30720
		.amdhsa_private_segment_fixed_size 0
		.amdhsa_kernarg_size 144
		.amdhsa_user_sgpr_count 15
		.amdhsa_user_sgpr_dispatch_ptr 0
		.amdhsa_user_sgpr_queue_ptr 0
		.amdhsa_user_sgpr_kernarg_segment_ptr 1
		.amdhsa_user_sgpr_dispatch_id 0
		.amdhsa_user_sgpr_private_segment_size 0
		.amdhsa_wavefront_size32 1
		.amdhsa_uses_dynamic_stack 0
		.amdhsa_enable_private_segment 0
		.amdhsa_system_sgpr_workgroup_id_x 1
		.amdhsa_system_sgpr_workgroup_id_y 0
		.amdhsa_system_sgpr_workgroup_id_z 0
		.amdhsa_system_sgpr_workgroup_info 0
		.amdhsa_system_vgpr_workitem_id 0
		.amdhsa_next_free_vgpr 103
		.amdhsa_next_free_sgpr 52
		.amdhsa_reserve_vcc 1
		.amdhsa_float_round_mode_32 0
		.amdhsa_float_round_mode_16_64 0
		.amdhsa_float_denorm_mode_32 3
		.amdhsa_float_denorm_mode_16_64 3
		.amdhsa_dx10_clamp 1
		.amdhsa_ieee_mode 1
		.amdhsa_fp16_overflow 0
		.amdhsa_workgroup_processor_mode 1
		.amdhsa_memory_ordered 1
		.amdhsa_forward_progress 0
		.amdhsa_shared_vgpr_count 0
		.amdhsa_exception_fp_ieee_invalid_op 0
		.amdhsa_exception_fp_denorm_src 0
		.amdhsa_exception_fp_ieee_div_zero 0
		.amdhsa_exception_fp_ieee_overflow 0
		.amdhsa_exception_fp_ieee_underflow 0
		.amdhsa_exception_fp_ieee_inexact 0
		.amdhsa_exception_int_div_zero 0
	.end_amdhsa_kernel
	.section	.text._ZN7rocprim17ROCPRIM_400000_NS6detail17trampoline_kernelINS0_14default_configENS1_29reduce_by_key_config_selectorIjxN6thrust23THRUST_200600_302600_NS4plusIxEEEEZZNS1_33reduce_by_key_impl_wrapped_configILNS1_25lookback_scan_determinismE0ES3_S9_NS6_6detail15normal_iteratorINS6_10device_ptrIjEEEENSD_INSE_IxEEEENS6_16discard_iteratorINS6_11use_defaultEEESI_PmS8_NS6_8equal_toIjEEEE10hipError_tPvRmT2_T3_mT4_T5_T6_T7_T8_P12ihipStream_tbENKUlT_T0_E_clISt17integral_constantIbLb1EES16_EEDaS11_S12_EUlS11_E_NS1_11comp_targetILNS1_3genE9ELNS1_11target_archE1100ELNS1_3gpuE3ELNS1_3repE0EEENS1_30default_config_static_selectorELNS0_4arch9wavefront6targetE0EEEvT1_,"axG",@progbits,_ZN7rocprim17ROCPRIM_400000_NS6detail17trampoline_kernelINS0_14default_configENS1_29reduce_by_key_config_selectorIjxN6thrust23THRUST_200600_302600_NS4plusIxEEEEZZNS1_33reduce_by_key_impl_wrapped_configILNS1_25lookback_scan_determinismE0ES3_S9_NS6_6detail15normal_iteratorINS6_10device_ptrIjEEEENSD_INSE_IxEEEENS6_16discard_iteratorINS6_11use_defaultEEESI_PmS8_NS6_8equal_toIjEEEE10hipError_tPvRmT2_T3_mT4_T5_T6_T7_T8_P12ihipStream_tbENKUlT_T0_E_clISt17integral_constantIbLb1EES16_EEDaS11_S12_EUlS11_E_NS1_11comp_targetILNS1_3genE9ELNS1_11target_archE1100ELNS1_3gpuE3ELNS1_3repE0EEENS1_30default_config_static_selectorELNS0_4arch9wavefront6targetE0EEEvT1_,comdat
.Lfunc_end1001:
	.size	_ZN7rocprim17ROCPRIM_400000_NS6detail17trampoline_kernelINS0_14default_configENS1_29reduce_by_key_config_selectorIjxN6thrust23THRUST_200600_302600_NS4plusIxEEEEZZNS1_33reduce_by_key_impl_wrapped_configILNS1_25lookback_scan_determinismE0ES3_S9_NS6_6detail15normal_iteratorINS6_10device_ptrIjEEEENSD_INSE_IxEEEENS6_16discard_iteratorINS6_11use_defaultEEESI_PmS8_NS6_8equal_toIjEEEE10hipError_tPvRmT2_T3_mT4_T5_T6_T7_T8_P12ihipStream_tbENKUlT_T0_E_clISt17integral_constantIbLb1EES16_EEDaS11_S12_EUlS11_E_NS1_11comp_targetILNS1_3genE9ELNS1_11target_archE1100ELNS1_3gpuE3ELNS1_3repE0EEENS1_30default_config_static_selectorELNS0_4arch9wavefront6targetE0EEEvT1_, .Lfunc_end1001-_ZN7rocprim17ROCPRIM_400000_NS6detail17trampoline_kernelINS0_14default_configENS1_29reduce_by_key_config_selectorIjxN6thrust23THRUST_200600_302600_NS4plusIxEEEEZZNS1_33reduce_by_key_impl_wrapped_configILNS1_25lookback_scan_determinismE0ES3_S9_NS6_6detail15normal_iteratorINS6_10device_ptrIjEEEENSD_INSE_IxEEEENS6_16discard_iteratorINS6_11use_defaultEEESI_PmS8_NS6_8equal_toIjEEEE10hipError_tPvRmT2_T3_mT4_T5_T6_T7_T8_P12ihipStream_tbENKUlT_T0_E_clISt17integral_constantIbLb1EES16_EEDaS11_S12_EUlS11_E_NS1_11comp_targetILNS1_3genE9ELNS1_11target_archE1100ELNS1_3gpuE3ELNS1_3repE0EEENS1_30default_config_static_selectorELNS0_4arch9wavefront6targetE0EEEvT1_
                                        ; -- End function
	.section	.AMDGPU.csdata,"",@progbits
; Kernel info:
; codeLenInByte = 17864
; NumSgprs: 54
; NumVgprs: 103
; ScratchSize: 0
; MemoryBound: 0
; FloatMode: 240
; IeeeMode: 1
; LDSByteSize: 30720 bytes/workgroup (compile time only)
; SGPRBlocks: 6
; VGPRBlocks: 12
; NumSGPRsForWavesPerEU: 54
; NumVGPRsForWavesPerEU: 103
; Occupancy: 8
; WaveLimiterHint : 1
; COMPUTE_PGM_RSRC2:SCRATCH_EN: 0
; COMPUTE_PGM_RSRC2:USER_SGPR: 15
; COMPUTE_PGM_RSRC2:TRAP_HANDLER: 0
; COMPUTE_PGM_RSRC2:TGID_X_EN: 1
; COMPUTE_PGM_RSRC2:TGID_Y_EN: 0
; COMPUTE_PGM_RSRC2:TGID_Z_EN: 0
; COMPUTE_PGM_RSRC2:TIDIG_COMP_CNT: 0
	.section	.text._ZN7rocprim17ROCPRIM_400000_NS6detail17trampoline_kernelINS0_14default_configENS1_29reduce_by_key_config_selectorIjxN6thrust23THRUST_200600_302600_NS4plusIxEEEEZZNS1_33reduce_by_key_impl_wrapped_configILNS1_25lookback_scan_determinismE0ES3_S9_NS6_6detail15normal_iteratorINS6_10device_ptrIjEEEENSD_INSE_IxEEEENS6_16discard_iteratorINS6_11use_defaultEEESI_PmS8_NS6_8equal_toIjEEEE10hipError_tPvRmT2_T3_mT4_T5_T6_T7_T8_P12ihipStream_tbENKUlT_T0_E_clISt17integral_constantIbLb1EES16_EEDaS11_S12_EUlS11_E_NS1_11comp_targetILNS1_3genE8ELNS1_11target_archE1030ELNS1_3gpuE2ELNS1_3repE0EEENS1_30default_config_static_selectorELNS0_4arch9wavefront6targetE0EEEvT1_,"axG",@progbits,_ZN7rocprim17ROCPRIM_400000_NS6detail17trampoline_kernelINS0_14default_configENS1_29reduce_by_key_config_selectorIjxN6thrust23THRUST_200600_302600_NS4plusIxEEEEZZNS1_33reduce_by_key_impl_wrapped_configILNS1_25lookback_scan_determinismE0ES3_S9_NS6_6detail15normal_iteratorINS6_10device_ptrIjEEEENSD_INSE_IxEEEENS6_16discard_iteratorINS6_11use_defaultEEESI_PmS8_NS6_8equal_toIjEEEE10hipError_tPvRmT2_T3_mT4_T5_T6_T7_T8_P12ihipStream_tbENKUlT_T0_E_clISt17integral_constantIbLb1EES16_EEDaS11_S12_EUlS11_E_NS1_11comp_targetILNS1_3genE8ELNS1_11target_archE1030ELNS1_3gpuE2ELNS1_3repE0EEENS1_30default_config_static_selectorELNS0_4arch9wavefront6targetE0EEEvT1_,comdat
	.protected	_ZN7rocprim17ROCPRIM_400000_NS6detail17trampoline_kernelINS0_14default_configENS1_29reduce_by_key_config_selectorIjxN6thrust23THRUST_200600_302600_NS4plusIxEEEEZZNS1_33reduce_by_key_impl_wrapped_configILNS1_25lookback_scan_determinismE0ES3_S9_NS6_6detail15normal_iteratorINS6_10device_ptrIjEEEENSD_INSE_IxEEEENS6_16discard_iteratorINS6_11use_defaultEEESI_PmS8_NS6_8equal_toIjEEEE10hipError_tPvRmT2_T3_mT4_T5_T6_T7_T8_P12ihipStream_tbENKUlT_T0_E_clISt17integral_constantIbLb1EES16_EEDaS11_S12_EUlS11_E_NS1_11comp_targetILNS1_3genE8ELNS1_11target_archE1030ELNS1_3gpuE2ELNS1_3repE0EEENS1_30default_config_static_selectorELNS0_4arch9wavefront6targetE0EEEvT1_ ; -- Begin function _ZN7rocprim17ROCPRIM_400000_NS6detail17trampoline_kernelINS0_14default_configENS1_29reduce_by_key_config_selectorIjxN6thrust23THRUST_200600_302600_NS4plusIxEEEEZZNS1_33reduce_by_key_impl_wrapped_configILNS1_25lookback_scan_determinismE0ES3_S9_NS6_6detail15normal_iteratorINS6_10device_ptrIjEEEENSD_INSE_IxEEEENS6_16discard_iteratorINS6_11use_defaultEEESI_PmS8_NS6_8equal_toIjEEEE10hipError_tPvRmT2_T3_mT4_T5_T6_T7_T8_P12ihipStream_tbENKUlT_T0_E_clISt17integral_constantIbLb1EES16_EEDaS11_S12_EUlS11_E_NS1_11comp_targetILNS1_3genE8ELNS1_11target_archE1030ELNS1_3gpuE2ELNS1_3repE0EEENS1_30default_config_static_selectorELNS0_4arch9wavefront6targetE0EEEvT1_
	.globl	_ZN7rocprim17ROCPRIM_400000_NS6detail17trampoline_kernelINS0_14default_configENS1_29reduce_by_key_config_selectorIjxN6thrust23THRUST_200600_302600_NS4plusIxEEEEZZNS1_33reduce_by_key_impl_wrapped_configILNS1_25lookback_scan_determinismE0ES3_S9_NS6_6detail15normal_iteratorINS6_10device_ptrIjEEEENSD_INSE_IxEEEENS6_16discard_iteratorINS6_11use_defaultEEESI_PmS8_NS6_8equal_toIjEEEE10hipError_tPvRmT2_T3_mT4_T5_T6_T7_T8_P12ihipStream_tbENKUlT_T0_E_clISt17integral_constantIbLb1EES16_EEDaS11_S12_EUlS11_E_NS1_11comp_targetILNS1_3genE8ELNS1_11target_archE1030ELNS1_3gpuE2ELNS1_3repE0EEENS1_30default_config_static_selectorELNS0_4arch9wavefront6targetE0EEEvT1_
	.p2align	8
	.type	_ZN7rocprim17ROCPRIM_400000_NS6detail17trampoline_kernelINS0_14default_configENS1_29reduce_by_key_config_selectorIjxN6thrust23THRUST_200600_302600_NS4plusIxEEEEZZNS1_33reduce_by_key_impl_wrapped_configILNS1_25lookback_scan_determinismE0ES3_S9_NS6_6detail15normal_iteratorINS6_10device_ptrIjEEEENSD_INSE_IxEEEENS6_16discard_iteratorINS6_11use_defaultEEESI_PmS8_NS6_8equal_toIjEEEE10hipError_tPvRmT2_T3_mT4_T5_T6_T7_T8_P12ihipStream_tbENKUlT_T0_E_clISt17integral_constantIbLb1EES16_EEDaS11_S12_EUlS11_E_NS1_11comp_targetILNS1_3genE8ELNS1_11target_archE1030ELNS1_3gpuE2ELNS1_3repE0EEENS1_30default_config_static_selectorELNS0_4arch9wavefront6targetE0EEEvT1_,@function
_ZN7rocprim17ROCPRIM_400000_NS6detail17trampoline_kernelINS0_14default_configENS1_29reduce_by_key_config_selectorIjxN6thrust23THRUST_200600_302600_NS4plusIxEEEEZZNS1_33reduce_by_key_impl_wrapped_configILNS1_25lookback_scan_determinismE0ES3_S9_NS6_6detail15normal_iteratorINS6_10device_ptrIjEEEENSD_INSE_IxEEEENS6_16discard_iteratorINS6_11use_defaultEEESI_PmS8_NS6_8equal_toIjEEEE10hipError_tPvRmT2_T3_mT4_T5_T6_T7_T8_P12ihipStream_tbENKUlT_T0_E_clISt17integral_constantIbLb1EES16_EEDaS11_S12_EUlS11_E_NS1_11comp_targetILNS1_3genE8ELNS1_11target_archE1030ELNS1_3gpuE2ELNS1_3repE0EEENS1_30default_config_static_selectorELNS0_4arch9wavefront6targetE0EEEvT1_: ; @_ZN7rocprim17ROCPRIM_400000_NS6detail17trampoline_kernelINS0_14default_configENS1_29reduce_by_key_config_selectorIjxN6thrust23THRUST_200600_302600_NS4plusIxEEEEZZNS1_33reduce_by_key_impl_wrapped_configILNS1_25lookback_scan_determinismE0ES3_S9_NS6_6detail15normal_iteratorINS6_10device_ptrIjEEEENSD_INSE_IxEEEENS6_16discard_iteratorINS6_11use_defaultEEESI_PmS8_NS6_8equal_toIjEEEE10hipError_tPvRmT2_T3_mT4_T5_T6_T7_T8_P12ihipStream_tbENKUlT_T0_E_clISt17integral_constantIbLb1EES16_EEDaS11_S12_EUlS11_E_NS1_11comp_targetILNS1_3genE8ELNS1_11target_archE1030ELNS1_3gpuE2ELNS1_3repE0EEENS1_30default_config_static_selectorELNS0_4arch9wavefront6targetE0EEEvT1_
; %bb.0:
	.section	.rodata,"a",@progbits
	.p2align	6, 0x0
	.amdhsa_kernel _ZN7rocprim17ROCPRIM_400000_NS6detail17trampoline_kernelINS0_14default_configENS1_29reduce_by_key_config_selectorIjxN6thrust23THRUST_200600_302600_NS4plusIxEEEEZZNS1_33reduce_by_key_impl_wrapped_configILNS1_25lookback_scan_determinismE0ES3_S9_NS6_6detail15normal_iteratorINS6_10device_ptrIjEEEENSD_INSE_IxEEEENS6_16discard_iteratorINS6_11use_defaultEEESI_PmS8_NS6_8equal_toIjEEEE10hipError_tPvRmT2_T3_mT4_T5_T6_T7_T8_P12ihipStream_tbENKUlT_T0_E_clISt17integral_constantIbLb1EES16_EEDaS11_S12_EUlS11_E_NS1_11comp_targetILNS1_3genE8ELNS1_11target_archE1030ELNS1_3gpuE2ELNS1_3repE0EEENS1_30default_config_static_selectorELNS0_4arch9wavefront6targetE0EEEvT1_
		.amdhsa_group_segment_fixed_size 0
		.amdhsa_private_segment_fixed_size 0
		.amdhsa_kernarg_size 144
		.amdhsa_user_sgpr_count 15
		.amdhsa_user_sgpr_dispatch_ptr 0
		.amdhsa_user_sgpr_queue_ptr 0
		.amdhsa_user_sgpr_kernarg_segment_ptr 1
		.amdhsa_user_sgpr_dispatch_id 0
		.amdhsa_user_sgpr_private_segment_size 0
		.amdhsa_wavefront_size32 1
		.amdhsa_uses_dynamic_stack 0
		.amdhsa_enable_private_segment 0
		.amdhsa_system_sgpr_workgroup_id_x 1
		.amdhsa_system_sgpr_workgroup_id_y 0
		.amdhsa_system_sgpr_workgroup_id_z 0
		.amdhsa_system_sgpr_workgroup_info 0
		.amdhsa_system_vgpr_workitem_id 0
		.amdhsa_next_free_vgpr 1
		.amdhsa_next_free_sgpr 1
		.amdhsa_reserve_vcc 0
		.amdhsa_float_round_mode_32 0
		.amdhsa_float_round_mode_16_64 0
		.amdhsa_float_denorm_mode_32 3
		.amdhsa_float_denorm_mode_16_64 3
		.amdhsa_dx10_clamp 1
		.amdhsa_ieee_mode 1
		.amdhsa_fp16_overflow 0
		.amdhsa_workgroup_processor_mode 1
		.amdhsa_memory_ordered 1
		.amdhsa_forward_progress 0
		.amdhsa_shared_vgpr_count 0
		.amdhsa_exception_fp_ieee_invalid_op 0
		.amdhsa_exception_fp_denorm_src 0
		.amdhsa_exception_fp_ieee_div_zero 0
		.amdhsa_exception_fp_ieee_overflow 0
		.amdhsa_exception_fp_ieee_underflow 0
		.amdhsa_exception_fp_ieee_inexact 0
		.amdhsa_exception_int_div_zero 0
	.end_amdhsa_kernel
	.section	.text._ZN7rocprim17ROCPRIM_400000_NS6detail17trampoline_kernelINS0_14default_configENS1_29reduce_by_key_config_selectorIjxN6thrust23THRUST_200600_302600_NS4plusIxEEEEZZNS1_33reduce_by_key_impl_wrapped_configILNS1_25lookback_scan_determinismE0ES3_S9_NS6_6detail15normal_iteratorINS6_10device_ptrIjEEEENSD_INSE_IxEEEENS6_16discard_iteratorINS6_11use_defaultEEESI_PmS8_NS6_8equal_toIjEEEE10hipError_tPvRmT2_T3_mT4_T5_T6_T7_T8_P12ihipStream_tbENKUlT_T0_E_clISt17integral_constantIbLb1EES16_EEDaS11_S12_EUlS11_E_NS1_11comp_targetILNS1_3genE8ELNS1_11target_archE1030ELNS1_3gpuE2ELNS1_3repE0EEENS1_30default_config_static_selectorELNS0_4arch9wavefront6targetE0EEEvT1_,"axG",@progbits,_ZN7rocprim17ROCPRIM_400000_NS6detail17trampoline_kernelINS0_14default_configENS1_29reduce_by_key_config_selectorIjxN6thrust23THRUST_200600_302600_NS4plusIxEEEEZZNS1_33reduce_by_key_impl_wrapped_configILNS1_25lookback_scan_determinismE0ES3_S9_NS6_6detail15normal_iteratorINS6_10device_ptrIjEEEENSD_INSE_IxEEEENS6_16discard_iteratorINS6_11use_defaultEEESI_PmS8_NS6_8equal_toIjEEEE10hipError_tPvRmT2_T3_mT4_T5_T6_T7_T8_P12ihipStream_tbENKUlT_T0_E_clISt17integral_constantIbLb1EES16_EEDaS11_S12_EUlS11_E_NS1_11comp_targetILNS1_3genE8ELNS1_11target_archE1030ELNS1_3gpuE2ELNS1_3repE0EEENS1_30default_config_static_selectorELNS0_4arch9wavefront6targetE0EEEvT1_,comdat
.Lfunc_end1002:
	.size	_ZN7rocprim17ROCPRIM_400000_NS6detail17trampoline_kernelINS0_14default_configENS1_29reduce_by_key_config_selectorIjxN6thrust23THRUST_200600_302600_NS4plusIxEEEEZZNS1_33reduce_by_key_impl_wrapped_configILNS1_25lookback_scan_determinismE0ES3_S9_NS6_6detail15normal_iteratorINS6_10device_ptrIjEEEENSD_INSE_IxEEEENS6_16discard_iteratorINS6_11use_defaultEEESI_PmS8_NS6_8equal_toIjEEEE10hipError_tPvRmT2_T3_mT4_T5_T6_T7_T8_P12ihipStream_tbENKUlT_T0_E_clISt17integral_constantIbLb1EES16_EEDaS11_S12_EUlS11_E_NS1_11comp_targetILNS1_3genE8ELNS1_11target_archE1030ELNS1_3gpuE2ELNS1_3repE0EEENS1_30default_config_static_selectorELNS0_4arch9wavefront6targetE0EEEvT1_, .Lfunc_end1002-_ZN7rocprim17ROCPRIM_400000_NS6detail17trampoline_kernelINS0_14default_configENS1_29reduce_by_key_config_selectorIjxN6thrust23THRUST_200600_302600_NS4plusIxEEEEZZNS1_33reduce_by_key_impl_wrapped_configILNS1_25lookback_scan_determinismE0ES3_S9_NS6_6detail15normal_iteratorINS6_10device_ptrIjEEEENSD_INSE_IxEEEENS6_16discard_iteratorINS6_11use_defaultEEESI_PmS8_NS6_8equal_toIjEEEE10hipError_tPvRmT2_T3_mT4_T5_T6_T7_T8_P12ihipStream_tbENKUlT_T0_E_clISt17integral_constantIbLb1EES16_EEDaS11_S12_EUlS11_E_NS1_11comp_targetILNS1_3genE8ELNS1_11target_archE1030ELNS1_3gpuE2ELNS1_3repE0EEENS1_30default_config_static_selectorELNS0_4arch9wavefront6targetE0EEEvT1_
                                        ; -- End function
	.section	.AMDGPU.csdata,"",@progbits
; Kernel info:
; codeLenInByte = 0
; NumSgprs: 0
; NumVgprs: 0
; ScratchSize: 0
; MemoryBound: 0
; FloatMode: 240
; IeeeMode: 1
; LDSByteSize: 0 bytes/workgroup (compile time only)
; SGPRBlocks: 0
; VGPRBlocks: 0
; NumSGPRsForWavesPerEU: 1
; NumVGPRsForWavesPerEU: 1
; Occupancy: 16
; WaveLimiterHint : 0
; COMPUTE_PGM_RSRC2:SCRATCH_EN: 0
; COMPUTE_PGM_RSRC2:USER_SGPR: 15
; COMPUTE_PGM_RSRC2:TRAP_HANDLER: 0
; COMPUTE_PGM_RSRC2:TGID_X_EN: 1
; COMPUTE_PGM_RSRC2:TGID_Y_EN: 0
; COMPUTE_PGM_RSRC2:TGID_Z_EN: 0
; COMPUTE_PGM_RSRC2:TIDIG_COMP_CNT: 0
	.section	.text._ZN7rocprim17ROCPRIM_400000_NS6detail17trampoline_kernelINS0_14default_configENS1_29reduce_by_key_config_selectorIjxN6thrust23THRUST_200600_302600_NS4plusIxEEEEZZNS1_33reduce_by_key_impl_wrapped_configILNS1_25lookback_scan_determinismE0ES3_S9_NS6_6detail15normal_iteratorINS6_10device_ptrIjEEEENSD_INSE_IxEEEENS6_16discard_iteratorINS6_11use_defaultEEESI_PmS8_NS6_8equal_toIjEEEE10hipError_tPvRmT2_T3_mT4_T5_T6_T7_T8_P12ihipStream_tbENKUlT_T0_E_clISt17integral_constantIbLb1EES15_IbLb0EEEEDaS11_S12_EUlS11_E_NS1_11comp_targetILNS1_3genE0ELNS1_11target_archE4294967295ELNS1_3gpuE0ELNS1_3repE0EEENS1_30default_config_static_selectorELNS0_4arch9wavefront6targetE0EEEvT1_,"axG",@progbits,_ZN7rocprim17ROCPRIM_400000_NS6detail17trampoline_kernelINS0_14default_configENS1_29reduce_by_key_config_selectorIjxN6thrust23THRUST_200600_302600_NS4plusIxEEEEZZNS1_33reduce_by_key_impl_wrapped_configILNS1_25lookback_scan_determinismE0ES3_S9_NS6_6detail15normal_iteratorINS6_10device_ptrIjEEEENSD_INSE_IxEEEENS6_16discard_iteratorINS6_11use_defaultEEESI_PmS8_NS6_8equal_toIjEEEE10hipError_tPvRmT2_T3_mT4_T5_T6_T7_T8_P12ihipStream_tbENKUlT_T0_E_clISt17integral_constantIbLb1EES15_IbLb0EEEEDaS11_S12_EUlS11_E_NS1_11comp_targetILNS1_3genE0ELNS1_11target_archE4294967295ELNS1_3gpuE0ELNS1_3repE0EEENS1_30default_config_static_selectorELNS0_4arch9wavefront6targetE0EEEvT1_,comdat
	.protected	_ZN7rocprim17ROCPRIM_400000_NS6detail17trampoline_kernelINS0_14default_configENS1_29reduce_by_key_config_selectorIjxN6thrust23THRUST_200600_302600_NS4plusIxEEEEZZNS1_33reduce_by_key_impl_wrapped_configILNS1_25lookback_scan_determinismE0ES3_S9_NS6_6detail15normal_iteratorINS6_10device_ptrIjEEEENSD_INSE_IxEEEENS6_16discard_iteratorINS6_11use_defaultEEESI_PmS8_NS6_8equal_toIjEEEE10hipError_tPvRmT2_T3_mT4_T5_T6_T7_T8_P12ihipStream_tbENKUlT_T0_E_clISt17integral_constantIbLb1EES15_IbLb0EEEEDaS11_S12_EUlS11_E_NS1_11comp_targetILNS1_3genE0ELNS1_11target_archE4294967295ELNS1_3gpuE0ELNS1_3repE0EEENS1_30default_config_static_selectorELNS0_4arch9wavefront6targetE0EEEvT1_ ; -- Begin function _ZN7rocprim17ROCPRIM_400000_NS6detail17trampoline_kernelINS0_14default_configENS1_29reduce_by_key_config_selectorIjxN6thrust23THRUST_200600_302600_NS4plusIxEEEEZZNS1_33reduce_by_key_impl_wrapped_configILNS1_25lookback_scan_determinismE0ES3_S9_NS6_6detail15normal_iteratorINS6_10device_ptrIjEEEENSD_INSE_IxEEEENS6_16discard_iteratorINS6_11use_defaultEEESI_PmS8_NS6_8equal_toIjEEEE10hipError_tPvRmT2_T3_mT4_T5_T6_T7_T8_P12ihipStream_tbENKUlT_T0_E_clISt17integral_constantIbLb1EES15_IbLb0EEEEDaS11_S12_EUlS11_E_NS1_11comp_targetILNS1_3genE0ELNS1_11target_archE4294967295ELNS1_3gpuE0ELNS1_3repE0EEENS1_30default_config_static_selectorELNS0_4arch9wavefront6targetE0EEEvT1_
	.globl	_ZN7rocprim17ROCPRIM_400000_NS6detail17trampoline_kernelINS0_14default_configENS1_29reduce_by_key_config_selectorIjxN6thrust23THRUST_200600_302600_NS4plusIxEEEEZZNS1_33reduce_by_key_impl_wrapped_configILNS1_25lookback_scan_determinismE0ES3_S9_NS6_6detail15normal_iteratorINS6_10device_ptrIjEEEENSD_INSE_IxEEEENS6_16discard_iteratorINS6_11use_defaultEEESI_PmS8_NS6_8equal_toIjEEEE10hipError_tPvRmT2_T3_mT4_T5_T6_T7_T8_P12ihipStream_tbENKUlT_T0_E_clISt17integral_constantIbLb1EES15_IbLb0EEEEDaS11_S12_EUlS11_E_NS1_11comp_targetILNS1_3genE0ELNS1_11target_archE4294967295ELNS1_3gpuE0ELNS1_3repE0EEENS1_30default_config_static_selectorELNS0_4arch9wavefront6targetE0EEEvT1_
	.p2align	8
	.type	_ZN7rocprim17ROCPRIM_400000_NS6detail17trampoline_kernelINS0_14default_configENS1_29reduce_by_key_config_selectorIjxN6thrust23THRUST_200600_302600_NS4plusIxEEEEZZNS1_33reduce_by_key_impl_wrapped_configILNS1_25lookback_scan_determinismE0ES3_S9_NS6_6detail15normal_iteratorINS6_10device_ptrIjEEEENSD_INSE_IxEEEENS6_16discard_iteratorINS6_11use_defaultEEESI_PmS8_NS6_8equal_toIjEEEE10hipError_tPvRmT2_T3_mT4_T5_T6_T7_T8_P12ihipStream_tbENKUlT_T0_E_clISt17integral_constantIbLb1EES15_IbLb0EEEEDaS11_S12_EUlS11_E_NS1_11comp_targetILNS1_3genE0ELNS1_11target_archE4294967295ELNS1_3gpuE0ELNS1_3repE0EEENS1_30default_config_static_selectorELNS0_4arch9wavefront6targetE0EEEvT1_,@function
_ZN7rocprim17ROCPRIM_400000_NS6detail17trampoline_kernelINS0_14default_configENS1_29reduce_by_key_config_selectorIjxN6thrust23THRUST_200600_302600_NS4plusIxEEEEZZNS1_33reduce_by_key_impl_wrapped_configILNS1_25lookback_scan_determinismE0ES3_S9_NS6_6detail15normal_iteratorINS6_10device_ptrIjEEEENSD_INSE_IxEEEENS6_16discard_iteratorINS6_11use_defaultEEESI_PmS8_NS6_8equal_toIjEEEE10hipError_tPvRmT2_T3_mT4_T5_T6_T7_T8_P12ihipStream_tbENKUlT_T0_E_clISt17integral_constantIbLb1EES15_IbLb0EEEEDaS11_S12_EUlS11_E_NS1_11comp_targetILNS1_3genE0ELNS1_11target_archE4294967295ELNS1_3gpuE0ELNS1_3repE0EEENS1_30default_config_static_selectorELNS0_4arch9wavefront6targetE0EEEvT1_: ; @_ZN7rocprim17ROCPRIM_400000_NS6detail17trampoline_kernelINS0_14default_configENS1_29reduce_by_key_config_selectorIjxN6thrust23THRUST_200600_302600_NS4plusIxEEEEZZNS1_33reduce_by_key_impl_wrapped_configILNS1_25lookback_scan_determinismE0ES3_S9_NS6_6detail15normal_iteratorINS6_10device_ptrIjEEEENSD_INSE_IxEEEENS6_16discard_iteratorINS6_11use_defaultEEESI_PmS8_NS6_8equal_toIjEEEE10hipError_tPvRmT2_T3_mT4_T5_T6_T7_T8_P12ihipStream_tbENKUlT_T0_E_clISt17integral_constantIbLb1EES15_IbLb0EEEEDaS11_S12_EUlS11_E_NS1_11comp_targetILNS1_3genE0ELNS1_11target_archE4294967295ELNS1_3gpuE0ELNS1_3repE0EEENS1_30default_config_static_selectorELNS0_4arch9wavefront6targetE0EEEvT1_
; %bb.0:
	.section	.rodata,"a",@progbits
	.p2align	6, 0x0
	.amdhsa_kernel _ZN7rocprim17ROCPRIM_400000_NS6detail17trampoline_kernelINS0_14default_configENS1_29reduce_by_key_config_selectorIjxN6thrust23THRUST_200600_302600_NS4plusIxEEEEZZNS1_33reduce_by_key_impl_wrapped_configILNS1_25lookback_scan_determinismE0ES3_S9_NS6_6detail15normal_iteratorINS6_10device_ptrIjEEEENSD_INSE_IxEEEENS6_16discard_iteratorINS6_11use_defaultEEESI_PmS8_NS6_8equal_toIjEEEE10hipError_tPvRmT2_T3_mT4_T5_T6_T7_T8_P12ihipStream_tbENKUlT_T0_E_clISt17integral_constantIbLb1EES15_IbLb0EEEEDaS11_S12_EUlS11_E_NS1_11comp_targetILNS1_3genE0ELNS1_11target_archE4294967295ELNS1_3gpuE0ELNS1_3repE0EEENS1_30default_config_static_selectorELNS0_4arch9wavefront6targetE0EEEvT1_
		.amdhsa_group_segment_fixed_size 0
		.amdhsa_private_segment_fixed_size 0
		.amdhsa_kernarg_size 144
		.amdhsa_user_sgpr_count 15
		.amdhsa_user_sgpr_dispatch_ptr 0
		.amdhsa_user_sgpr_queue_ptr 0
		.amdhsa_user_sgpr_kernarg_segment_ptr 1
		.amdhsa_user_sgpr_dispatch_id 0
		.amdhsa_user_sgpr_private_segment_size 0
		.amdhsa_wavefront_size32 1
		.amdhsa_uses_dynamic_stack 0
		.amdhsa_enable_private_segment 0
		.amdhsa_system_sgpr_workgroup_id_x 1
		.amdhsa_system_sgpr_workgroup_id_y 0
		.amdhsa_system_sgpr_workgroup_id_z 0
		.amdhsa_system_sgpr_workgroup_info 0
		.amdhsa_system_vgpr_workitem_id 0
		.amdhsa_next_free_vgpr 1
		.amdhsa_next_free_sgpr 1
		.amdhsa_reserve_vcc 0
		.amdhsa_float_round_mode_32 0
		.amdhsa_float_round_mode_16_64 0
		.amdhsa_float_denorm_mode_32 3
		.amdhsa_float_denorm_mode_16_64 3
		.amdhsa_dx10_clamp 1
		.amdhsa_ieee_mode 1
		.amdhsa_fp16_overflow 0
		.amdhsa_workgroup_processor_mode 1
		.amdhsa_memory_ordered 1
		.amdhsa_forward_progress 0
		.amdhsa_shared_vgpr_count 0
		.amdhsa_exception_fp_ieee_invalid_op 0
		.amdhsa_exception_fp_denorm_src 0
		.amdhsa_exception_fp_ieee_div_zero 0
		.amdhsa_exception_fp_ieee_overflow 0
		.amdhsa_exception_fp_ieee_underflow 0
		.amdhsa_exception_fp_ieee_inexact 0
		.amdhsa_exception_int_div_zero 0
	.end_amdhsa_kernel
	.section	.text._ZN7rocprim17ROCPRIM_400000_NS6detail17trampoline_kernelINS0_14default_configENS1_29reduce_by_key_config_selectorIjxN6thrust23THRUST_200600_302600_NS4plusIxEEEEZZNS1_33reduce_by_key_impl_wrapped_configILNS1_25lookback_scan_determinismE0ES3_S9_NS6_6detail15normal_iteratorINS6_10device_ptrIjEEEENSD_INSE_IxEEEENS6_16discard_iteratorINS6_11use_defaultEEESI_PmS8_NS6_8equal_toIjEEEE10hipError_tPvRmT2_T3_mT4_T5_T6_T7_T8_P12ihipStream_tbENKUlT_T0_E_clISt17integral_constantIbLb1EES15_IbLb0EEEEDaS11_S12_EUlS11_E_NS1_11comp_targetILNS1_3genE0ELNS1_11target_archE4294967295ELNS1_3gpuE0ELNS1_3repE0EEENS1_30default_config_static_selectorELNS0_4arch9wavefront6targetE0EEEvT1_,"axG",@progbits,_ZN7rocprim17ROCPRIM_400000_NS6detail17trampoline_kernelINS0_14default_configENS1_29reduce_by_key_config_selectorIjxN6thrust23THRUST_200600_302600_NS4plusIxEEEEZZNS1_33reduce_by_key_impl_wrapped_configILNS1_25lookback_scan_determinismE0ES3_S9_NS6_6detail15normal_iteratorINS6_10device_ptrIjEEEENSD_INSE_IxEEEENS6_16discard_iteratorINS6_11use_defaultEEESI_PmS8_NS6_8equal_toIjEEEE10hipError_tPvRmT2_T3_mT4_T5_T6_T7_T8_P12ihipStream_tbENKUlT_T0_E_clISt17integral_constantIbLb1EES15_IbLb0EEEEDaS11_S12_EUlS11_E_NS1_11comp_targetILNS1_3genE0ELNS1_11target_archE4294967295ELNS1_3gpuE0ELNS1_3repE0EEENS1_30default_config_static_selectorELNS0_4arch9wavefront6targetE0EEEvT1_,comdat
.Lfunc_end1003:
	.size	_ZN7rocprim17ROCPRIM_400000_NS6detail17trampoline_kernelINS0_14default_configENS1_29reduce_by_key_config_selectorIjxN6thrust23THRUST_200600_302600_NS4plusIxEEEEZZNS1_33reduce_by_key_impl_wrapped_configILNS1_25lookback_scan_determinismE0ES3_S9_NS6_6detail15normal_iteratorINS6_10device_ptrIjEEEENSD_INSE_IxEEEENS6_16discard_iteratorINS6_11use_defaultEEESI_PmS8_NS6_8equal_toIjEEEE10hipError_tPvRmT2_T3_mT4_T5_T6_T7_T8_P12ihipStream_tbENKUlT_T0_E_clISt17integral_constantIbLb1EES15_IbLb0EEEEDaS11_S12_EUlS11_E_NS1_11comp_targetILNS1_3genE0ELNS1_11target_archE4294967295ELNS1_3gpuE0ELNS1_3repE0EEENS1_30default_config_static_selectorELNS0_4arch9wavefront6targetE0EEEvT1_, .Lfunc_end1003-_ZN7rocprim17ROCPRIM_400000_NS6detail17trampoline_kernelINS0_14default_configENS1_29reduce_by_key_config_selectorIjxN6thrust23THRUST_200600_302600_NS4plusIxEEEEZZNS1_33reduce_by_key_impl_wrapped_configILNS1_25lookback_scan_determinismE0ES3_S9_NS6_6detail15normal_iteratorINS6_10device_ptrIjEEEENSD_INSE_IxEEEENS6_16discard_iteratorINS6_11use_defaultEEESI_PmS8_NS6_8equal_toIjEEEE10hipError_tPvRmT2_T3_mT4_T5_T6_T7_T8_P12ihipStream_tbENKUlT_T0_E_clISt17integral_constantIbLb1EES15_IbLb0EEEEDaS11_S12_EUlS11_E_NS1_11comp_targetILNS1_3genE0ELNS1_11target_archE4294967295ELNS1_3gpuE0ELNS1_3repE0EEENS1_30default_config_static_selectorELNS0_4arch9wavefront6targetE0EEEvT1_
                                        ; -- End function
	.section	.AMDGPU.csdata,"",@progbits
; Kernel info:
; codeLenInByte = 0
; NumSgprs: 0
; NumVgprs: 0
; ScratchSize: 0
; MemoryBound: 0
; FloatMode: 240
; IeeeMode: 1
; LDSByteSize: 0 bytes/workgroup (compile time only)
; SGPRBlocks: 0
; VGPRBlocks: 0
; NumSGPRsForWavesPerEU: 1
; NumVGPRsForWavesPerEU: 1
; Occupancy: 16
; WaveLimiterHint : 0
; COMPUTE_PGM_RSRC2:SCRATCH_EN: 0
; COMPUTE_PGM_RSRC2:USER_SGPR: 15
; COMPUTE_PGM_RSRC2:TRAP_HANDLER: 0
; COMPUTE_PGM_RSRC2:TGID_X_EN: 1
; COMPUTE_PGM_RSRC2:TGID_Y_EN: 0
; COMPUTE_PGM_RSRC2:TGID_Z_EN: 0
; COMPUTE_PGM_RSRC2:TIDIG_COMP_CNT: 0
	.section	.text._ZN7rocprim17ROCPRIM_400000_NS6detail17trampoline_kernelINS0_14default_configENS1_29reduce_by_key_config_selectorIjxN6thrust23THRUST_200600_302600_NS4plusIxEEEEZZNS1_33reduce_by_key_impl_wrapped_configILNS1_25lookback_scan_determinismE0ES3_S9_NS6_6detail15normal_iteratorINS6_10device_ptrIjEEEENSD_INSE_IxEEEENS6_16discard_iteratorINS6_11use_defaultEEESI_PmS8_NS6_8equal_toIjEEEE10hipError_tPvRmT2_T3_mT4_T5_T6_T7_T8_P12ihipStream_tbENKUlT_T0_E_clISt17integral_constantIbLb1EES15_IbLb0EEEEDaS11_S12_EUlS11_E_NS1_11comp_targetILNS1_3genE5ELNS1_11target_archE942ELNS1_3gpuE9ELNS1_3repE0EEENS1_30default_config_static_selectorELNS0_4arch9wavefront6targetE0EEEvT1_,"axG",@progbits,_ZN7rocprim17ROCPRIM_400000_NS6detail17trampoline_kernelINS0_14default_configENS1_29reduce_by_key_config_selectorIjxN6thrust23THRUST_200600_302600_NS4plusIxEEEEZZNS1_33reduce_by_key_impl_wrapped_configILNS1_25lookback_scan_determinismE0ES3_S9_NS6_6detail15normal_iteratorINS6_10device_ptrIjEEEENSD_INSE_IxEEEENS6_16discard_iteratorINS6_11use_defaultEEESI_PmS8_NS6_8equal_toIjEEEE10hipError_tPvRmT2_T3_mT4_T5_T6_T7_T8_P12ihipStream_tbENKUlT_T0_E_clISt17integral_constantIbLb1EES15_IbLb0EEEEDaS11_S12_EUlS11_E_NS1_11comp_targetILNS1_3genE5ELNS1_11target_archE942ELNS1_3gpuE9ELNS1_3repE0EEENS1_30default_config_static_selectorELNS0_4arch9wavefront6targetE0EEEvT1_,comdat
	.protected	_ZN7rocprim17ROCPRIM_400000_NS6detail17trampoline_kernelINS0_14default_configENS1_29reduce_by_key_config_selectorIjxN6thrust23THRUST_200600_302600_NS4plusIxEEEEZZNS1_33reduce_by_key_impl_wrapped_configILNS1_25lookback_scan_determinismE0ES3_S9_NS6_6detail15normal_iteratorINS6_10device_ptrIjEEEENSD_INSE_IxEEEENS6_16discard_iteratorINS6_11use_defaultEEESI_PmS8_NS6_8equal_toIjEEEE10hipError_tPvRmT2_T3_mT4_T5_T6_T7_T8_P12ihipStream_tbENKUlT_T0_E_clISt17integral_constantIbLb1EES15_IbLb0EEEEDaS11_S12_EUlS11_E_NS1_11comp_targetILNS1_3genE5ELNS1_11target_archE942ELNS1_3gpuE9ELNS1_3repE0EEENS1_30default_config_static_selectorELNS0_4arch9wavefront6targetE0EEEvT1_ ; -- Begin function _ZN7rocprim17ROCPRIM_400000_NS6detail17trampoline_kernelINS0_14default_configENS1_29reduce_by_key_config_selectorIjxN6thrust23THRUST_200600_302600_NS4plusIxEEEEZZNS1_33reduce_by_key_impl_wrapped_configILNS1_25lookback_scan_determinismE0ES3_S9_NS6_6detail15normal_iteratorINS6_10device_ptrIjEEEENSD_INSE_IxEEEENS6_16discard_iteratorINS6_11use_defaultEEESI_PmS8_NS6_8equal_toIjEEEE10hipError_tPvRmT2_T3_mT4_T5_T6_T7_T8_P12ihipStream_tbENKUlT_T0_E_clISt17integral_constantIbLb1EES15_IbLb0EEEEDaS11_S12_EUlS11_E_NS1_11comp_targetILNS1_3genE5ELNS1_11target_archE942ELNS1_3gpuE9ELNS1_3repE0EEENS1_30default_config_static_selectorELNS0_4arch9wavefront6targetE0EEEvT1_
	.globl	_ZN7rocprim17ROCPRIM_400000_NS6detail17trampoline_kernelINS0_14default_configENS1_29reduce_by_key_config_selectorIjxN6thrust23THRUST_200600_302600_NS4plusIxEEEEZZNS1_33reduce_by_key_impl_wrapped_configILNS1_25lookback_scan_determinismE0ES3_S9_NS6_6detail15normal_iteratorINS6_10device_ptrIjEEEENSD_INSE_IxEEEENS6_16discard_iteratorINS6_11use_defaultEEESI_PmS8_NS6_8equal_toIjEEEE10hipError_tPvRmT2_T3_mT4_T5_T6_T7_T8_P12ihipStream_tbENKUlT_T0_E_clISt17integral_constantIbLb1EES15_IbLb0EEEEDaS11_S12_EUlS11_E_NS1_11comp_targetILNS1_3genE5ELNS1_11target_archE942ELNS1_3gpuE9ELNS1_3repE0EEENS1_30default_config_static_selectorELNS0_4arch9wavefront6targetE0EEEvT1_
	.p2align	8
	.type	_ZN7rocprim17ROCPRIM_400000_NS6detail17trampoline_kernelINS0_14default_configENS1_29reduce_by_key_config_selectorIjxN6thrust23THRUST_200600_302600_NS4plusIxEEEEZZNS1_33reduce_by_key_impl_wrapped_configILNS1_25lookback_scan_determinismE0ES3_S9_NS6_6detail15normal_iteratorINS6_10device_ptrIjEEEENSD_INSE_IxEEEENS6_16discard_iteratorINS6_11use_defaultEEESI_PmS8_NS6_8equal_toIjEEEE10hipError_tPvRmT2_T3_mT4_T5_T6_T7_T8_P12ihipStream_tbENKUlT_T0_E_clISt17integral_constantIbLb1EES15_IbLb0EEEEDaS11_S12_EUlS11_E_NS1_11comp_targetILNS1_3genE5ELNS1_11target_archE942ELNS1_3gpuE9ELNS1_3repE0EEENS1_30default_config_static_selectorELNS0_4arch9wavefront6targetE0EEEvT1_,@function
_ZN7rocprim17ROCPRIM_400000_NS6detail17trampoline_kernelINS0_14default_configENS1_29reduce_by_key_config_selectorIjxN6thrust23THRUST_200600_302600_NS4plusIxEEEEZZNS1_33reduce_by_key_impl_wrapped_configILNS1_25lookback_scan_determinismE0ES3_S9_NS6_6detail15normal_iteratorINS6_10device_ptrIjEEEENSD_INSE_IxEEEENS6_16discard_iteratorINS6_11use_defaultEEESI_PmS8_NS6_8equal_toIjEEEE10hipError_tPvRmT2_T3_mT4_T5_T6_T7_T8_P12ihipStream_tbENKUlT_T0_E_clISt17integral_constantIbLb1EES15_IbLb0EEEEDaS11_S12_EUlS11_E_NS1_11comp_targetILNS1_3genE5ELNS1_11target_archE942ELNS1_3gpuE9ELNS1_3repE0EEENS1_30default_config_static_selectorELNS0_4arch9wavefront6targetE0EEEvT1_: ; @_ZN7rocprim17ROCPRIM_400000_NS6detail17trampoline_kernelINS0_14default_configENS1_29reduce_by_key_config_selectorIjxN6thrust23THRUST_200600_302600_NS4plusIxEEEEZZNS1_33reduce_by_key_impl_wrapped_configILNS1_25lookback_scan_determinismE0ES3_S9_NS6_6detail15normal_iteratorINS6_10device_ptrIjEEEENSD_INSE_IxEEEENS6_16discard_iteratorINS6_11use_defaultEEESI_PmS8_NS6_8equal_toIjEEEE10hipError_tPvRmT2_T3_mT4_T5_T6_T7_T8_P12ihipStream_tbENKUlT_T0_E_clISt17integral_constantIbLb1EES15_IbLb0EEEEDaS11_S12_EUlS11_E_NS1_11comp_targetILNS1_3genE5ELNS1_11target_archE942ELNS1_3gpuE9ELNS1_3repE0EEENS1_30default_config_static_selectorELNS0_4arch9wavefront6targetE0EEEvT1_
; %bb.0:
	.section	.rodata,"a",@progbits
	.p2align	6, 0x0
	.amdhsa_kernel _ZN7rocprim17ROCPRIM_400000_NS6detail17trampoline_kernelINS0_14default_configENS1_29reduce_by_key_config_selectorIjxN6thrust23THRUST_200600_302600_NS4plusIxEEEEZZNS1_33reduce_by_key_impl_wrapped_configILNS1_25lookback_scan_determinismE0ES3_S9_NS6_6detail15normal_iteratorINS6_10device_ptrIjEEEENSD_INSE_IxEEEENS6_16discard_iteratorINS6_11use_defaultEEESI_PmS8_NS6_8equal_toIjEEEE10hipError_tPvRmT2_T3_mT4_T5_T6_T7_T8_P12ihipStream_tbENKUlT_T0_E_clISt17integral_constantIbLb1EES15_IbLb0EEEEDaS11_S12_EUlS11_E_NS1_11comp_targetILNS1_3genE5ELNS1_11target_archE942ELNS1_3gpuE9ELNS1_3repE0EEENS1_30default_config_static_selectorELNS0_4arch9wavefront6targetE0EEEvT1_
		.amdhsa_group_segment_fixed_size 0
		.amdhsa_private_segment_fixed_size 0
		.amdhsa_kernarg_size 144
		.amdhsa_user_sgpr_count 15
		.amdhsa_user_sgpr_dispatch_ptr 0
		.amdhsa_user_sgpr_queue_ptr 0
		.amdhsa_user_sgpr_kernarg_segment_ptr 1
		.amdhsa_user_sgpr_dispatch_id 0
		.amdhsa_user_sgpr_private_segment_size 0
		.amdhsa_wavefront_size32 1
		.amdhsa_uses_dynamic_stack 0
		.amdhsa_enable_private_segment 0
		.amdhsa_system_sgpr_workgroup_id_x 1
		.amdhsa_system_sgpr_workgroup_id_y 0
		.amdhsa_system_sgpr_workgroup_id_z 0
		.amdhsa_system_sgpr_workgroup_info 0
		.amdhsa_system_vgpr_workitem_id 0
		.amdhsa_next_free_vgpr 1
		.amdhsa_next_free_sgpr 1
		.amdhsa_reserve_vcc 0
		.amdhsa_float_round_mode_32 0
		.amdhsa_float_round_mode_16_64 0
		.amdhsa_float_denorm_mode_32 3
		.amdhsa_float_denorm_mode_16_64 3
		.amdhsa_dx10_clamp 1
		.amdhsa_ieee_mode 1
		.amdhsa_fp16_overflow 0
		.amdhsa_workgroup_processor_mode 1
		.amdhsa_memory_ordered 1
		.amdhsa_forward_progress 0
		.amdhsa_shared_vgpr_count 0
		.amdhsa_exception_fp_ieee_invalid_op 0
		.amdhsa_exception_fp_denorm_src 0
		.amdhsa_exception_fp_ieee_div_zero 0
		.amdhsa_exception_fp_ieee_overflow 0
		.amdhsa_exception_fp_ieee_underflow 0
		.amdhsa_exception_fp_ieee_inexact 0
		.amdhsa_exception_int_div_zero 0
	.end_amdhsa_kernel
	.section	.text._ZN7rocprim17ROCPRIM_400000_NS6detail17trampoline_kernelINS0_14default_configENS1_29reduce_by_key_config_selectorIjxN6thrust23THRUST_200600_302600_NS4plusIxEEEEZZNS1_33reduce_by_key_impl_wrapped_configILNS1_25lookback_scan_determinismE0ES3_S9_NS6_6detail15normal_iteratorINS6_10device_ptrIjEEEENSD_INSE_IxEEEENS6_16discard_iteratorINS6_11use_defaultEEESI_PmS8_NS6_8equal_toIjEEEE10hipError_tPvRmT2_T3_mT4_T5_T6_T7_T8_P12ihipStream_tbENKUlT_T0_E_clISt17integral_constantIbLb1EES15_IbLb0EEEEDaS11_S12_EUlS11_E_NS1_11comp_targetILNS1_3genE5ELNS1_11target_archE942ELNS1_3gpuE9ELNS1_3repE0EEENS1_30default_config_static_selectorELNS0_4arch9wavefront6targetE0EEEvT1_,"axG",@progbits,_ZN7rocprim17ROCPRIM_400000_NS6detail17trampoline_kernelINS0_14default_configENS1_29reduce_by_key_config_selectorIjxN6thrust23THRUST_200600_302600_NS4plusIxEEEEZZNS1_33reduce_by_key_impl_wrapped_configILNS1_25lookback_scan_determinismE0ES3_S9_NS6_6detail15normal_iteratorINS6_10device_ptrIjEEEENSD_INSE_IxEEEENS6_16discard_iteratorINS6_11use_defaultEEESI_PmS8_NS6_8equal_toIjEEEE10hipError_tPvRmT2_T3_mT4_T5_T6_T7_T8_P12ihipStream_tbENKUlT_T0_E_clISt17integral_constantIbLb1EES15_IbLb0EEEEDaS11_S12_EUlS11_E_NS1_11comp_targetILNS1_3genE5ELNS1_11target_archE942ELNS1_3gpuE9ELNS1_3repE0EEENS1_30default_config_static_selectorELNS0_4arch9wavefront6targetE0EEEvT1_,comdat
.Lfunc_end1004:
	.size	_ZN7rocprim17ROCPRIM_400000_NS6detail17trampoline_kernelINS0_14default_configENS1_29reduce_by_key_config_selectorIjxN6thrust23THRUST_200600_302600_NS4plusIxEEEEZZNS1_33reduce_by_key_impl_wrapped_configILNS1_25lookback_scan_determinismE0ES3_S9_NS6_6detail15normal_iteratorINS6_10device_ptrIjEEEENSD_INSE_IxEEEENS6_16discard_iteratorINS6_11use_defaultEEESI_PmS8_NS6_8equal_toIjEEEE10hipError_tPvRmT2_T3_mT4_T5_T6_T7_T8_P12ihipStream_tbENKUlT_T0_E_clISt17integral_constantIbLb1EES15_IbLb0EEEEDaS11_S12_EUlS11_E_NS1_11comp_targetILNS1_3genE5ELNS1_11target_archE942ELNS1_3gpuE9ELNS1_3repE0EEENS1_30default_config_static_selectorELNS0_4arch9wavefront6targetE0EEEvT1_, .Lfunc_end1004-_ZN7rocprim17ROCPRIM_400000_NS6detail17trampoline_kernelINS0_14default_configENS1_29reduce_by_key_config_selectorIjxN6thrust23THRUST_200600_302600_NS4plusIxEEEEZZNS1_33reduce_by_key_impl_wrapped_configILNS1_25lookback_scan_determinismE0ES3_S9_NS6_6detail15normal_iteratorINS6_10device_ptrIjEEEENSD_INSE_IxEEEENS6_16discard_iteratorINS6_11use_defaultEEESI_PmS8_NS6_8equal_toIjEEEE10hipError_tPvRmT2_T3_mT4_T5_T6_T7_T8_P12ihipStream_tbENKUlT_T0_E_clISt17integral_constantIbLb1EES15_IbLb0EEEEDaS11_S12_EUlS11_E_NS1_11comp_targetILNS1_3genE5ELNS1_11target_archE942ELNS1_3gpuE9ELNS1_3repE0EEENS1_30default_config_static_selectorELNS0_4arch9wavefront6targetE0EEEvT1_
                                        ; -- End function
	.section	.AMDGPU.csdata,"",@progbits
; Kernel info:
; codeLenInByte = 0
; NumSgprs: 0
; NumVgprs: 0
; ScratchSize: 0
; MemoryBound: 0
; FloatMode: 240
; IeeeMode: 1
; LDSByteSize: 0 bytes/workgroup (compile time only)
; SGPRBlocks: 0
; VGPRBlocks: 0
; NumSGPRsForWavesPerEU: 1
; NumVGPRsForWavesPerEU: 1
; Occupancy: 16
; WaveLimiterHint : 0
; COMPUTE_PGM_RSRC2:SCRATCH_EN: 0
; COMPUTE_PGM_RSRC2:USER_SGPR: 15
; COMPUTE_PGM_RSRC2:TRAP_HANDLER: 0
; COMPUTE_PGM_RSRC2:TGID_X_EN: 1
; COMPUTE_PGM_RSRC2:TGID_Y_EN: 0
; COMPUTE_PGM_RSRC2:TGID_Z_EN: 0
; COMPUTE_PGM_RSRC2:TIDIG_COMP_CNT: 0
	.section	.text._ZN7rocprim17ROCPRIM_400000_NS6detail17trampoline_kernelINS0_14default_configENS1_29reduce_by_key_config_selectorIjxN6thrust23THRUST_200600_302600_NS4plusIxEEEEZZNS1_33reduce_by_key_impl_wrapped_configILNS1_25lookback_scan_determinismE0ES3_S9_NS6_6detail15normal_iteratorINS6_10device_ptrIjEEEENSD_INSE_IxEEEENS6_16discard_iteratorINS6_11use_defaultEEESI_PmS8_NS6_8equal_toIjEEEE10hipError_tPvRmT2_T3_mT4_T5_T6_T7_T8_P12ihipStream_tbENKUlT_T0_E_clISt17integral_constantIbLb1EES15_IbLb0EEEEDaS11_S12_EUlS11_E_NS1_11comp_targetILNS1_3genE4ELNS1_11target_archE910ELNS1_3gpuE8ELNS1_3repE0EEENS1_30default_config_static_selectorELNS0_4arch9wavefront6targetE0EEEvT1_,"axG",@progbits,_ZN7rocprim17ROCPRIM_400000_NS6detail17trampoline_kernelINS0_14default_configENS1_29reduce_by_key_config_selectorIjxN6thrust23THRUST_200600_302600_NS4plusIxEEEEZZNS1_33reduce_by_key_impl_wrapped_configILNS1_25lookback_scan_determinismE0ES3_S9_NS6_6detail15normal_iteratorINS6_10device_ptrIjEEEENSD_INSE_IxEEEENS6_16discard_iteratorINS6_11use_defaultEEESI_PmS8_NS6_8equal_toIjEEEE10hipError_tPvRmT2_T3_mT4_T5_T6_T7_T8_P12ihipStream_tbENKUlT_T0_E_clISt17integral_constantIbLb1EES15_IbLb0EEEEDaS11_S12_EUlS11_E_NS1_11comp_targetILNS1_3genE4ELNS1_11target_archE910ELNS1_3gpuE8ELNS1_3repE0EEENS1_30default_config_static_selectorELNS0_4arch9wavefront6targetE0EEEvT1_,comdat
	.protected	_ZN7rocprim17ROCPRIM_400000_NS6detail17trampoline_kernelINS0_14default_configENS1_29reduce_by_key_config_selectorIjxN6thrust23THRUST_200600_302600_NS4plusIxEEEEZZNS1_33reduce_by_key_impl_wrapped_configILNS1_25lookback_scan_determinismE0ES3_S9_NS6_6detail15normal_iteratorINS6_10device_ptrIjEEEENSD_INSE_IxEEEENS6_16discard_iteratorINS6_11use_defaultEEESI_PmS8_NS6_8equal_toIjEEEE10hipError_tPvRmT2_T3_mT4_T5_T6_T7_T8_P12ihipStream_tbENKUlT_T0_E_clISt17integral_constantIbLb1EES15_IbLb0EEEEDaS11_S12_EUlS11_E_NS1_11comp_targetILNS1_3genE4ELNS1_11target_archE910ELNS1_3gpuE8ELNS1_3repE0EEENS1_30default_config_static_selectorELNS0_4arch9wavefront6targetE0EEEvT1_ ; -- Begin function _ZN7rocprim17ROCPRIM_400000_NS6detail17trampoline_kernelINS0_14default_configENS1_29reduce_by_key_config_selectorIjxN6thrust23THRUST_200600_302600_NS4plusIxEEEEZZNS1_33reduce_by_key_impl_wrapped_configILNS1_25lookback_scan_determinismE0ES3_S9_NS6_6detail15normal_iteratorINS6_10device_ptrIjEEEENSD_INSE_IxEEEENS6_16discard_iteratorINS6_11use_defaultEEESI_PmS8_NS6_8equal_toIjEEEE10hipError_tPvRmT2_T3_mT4_T5_T6_T7_T8_P12ihipStream_tbENKUlT_T0_E_clISt17integral_constantIbLb1EES15_IbLb0EEEEDaS11_S12_EUlS11_E_NS1_11comp_targetILNS1_3genE4ELNS1_11target_archE910ELNS1_3gpuE8ELNS1_3repE0EEENS1_30default_config_static_selectorELNS0_4arch9wavefront6targetE0EEEvT1_
	.globl	_ZN7rocprim17ROCPRIM_400000_NS6detail17trampoline_kernelINS0_14default_configENS1_29reduce_by_key_config_selectorIjxN6thrust23THRUST_200600_302600_NS4plusIxEEEEZZNS1_33reduce_by_key_impl_wrapped_configILNS1_25lookback_scan_determinismE0ES3_S9_NS6_6detail15normal_iteratorINS6_10device_ptrIjEEEENSD_INSE_IxEEEENS6_16discard_iteratorINS6_11use_defaultEEESI_PmS8_NS6_8equal_toIjEEEE10hipError_tPvRmT2_T3_mT4_T5_T6_T7_T8_P12ihipStream_tbENKUlT_T0_E_clISt17integral_constantIbLb1EES15_IbLb0EEEEDaS11_S12_EUlS11_E_NS1_11comp_targetILNS1_3genE4ELNS1_11target_archE910ELNS1_3gpuE8ELNS1_3repE0EEENS1_30default_config_static_selectorELNS0_4arch9wavefront6targetE0EEEvT1_
	.p2align	8
	.type	_ZN7rocprim17ROCPRIM_400000_NS6detail17trampoline_kernelINS0_14default_configENS1_29reduce_by_key_config_selectorIjxN6thrust23THRUST_200600_302600_NS4plusIxEEEEZZNS1_33reduce_by_key_impl_wrapped_configILNS1_25lookback_scan_determinismE0ES3_S9_NS6_6detail15normal_iteratorINS6_10device_ptrIjEEEENSD_INSE_IxEEEENS6_16discard_iteratorINS6_11use_defaultEEESI_PmS8_NS6_8equal_toIjEEEE10hipError_tPvRmT2_T3_mT4_T5_T6_T7_T8_P12ihipStream_tbENKUlT_T0_E_clISt17integral_constantIbLb1EES15_IbLb0EEEEDaS11_S12_EUlS11_E_NS1_11comp_targetILNS1_3genE4ELNS1_11target_archE910ELNS1_3gpuE8ELNS1_3repE0EEENS1_30default_config_static_selectorELNS0_4arch9wavefront6targetE0EEEvT1_,@function
_ZN7rocprim17ROCPRIM_400000_NS6detail17trampoline_kernelINS0_14default_configENS1_29reduce_by_key_config_selectorIjxN6thrust23THRUST_200600_302600_NS4plusIxEEEEZZNS1_33reduce_by_key_impl_wrapped_configILNS1_25lookback_scan_determinismE0ES3_S9_NS6_6detail15normal_iteratorINS6_10device_ptrIjEEEENSD_INSE_IxEEEENS6_16discard_iteratorINS6_11use_defaultEEESI_PmS8_NS6_8equal_toIjEEEE10hipError_tPvRmT2_T3_mT4_T5_T6_T7_T8_P12ihipStream_tbENKUlT_T0_E_clISt17integral_constantIbLb1EES15_IbLb0EEEEDaS11_S12_EUlS11_E_NS1_11comp_targetILNS1_3genE4ELNS1_11target_archE910ELNS1_3gpuE8ELNS1_3repE0EEENS1_30default_config_static_selectorELNS0_4arch9wavefront6targetE0EEEvT1_: ; @_ZN7rocprim17ROCPRIM_400000_NS6detail17trampoline_kernelINS0_14default_configENS1_29reduce_by_key_config_selectorIjxN6thrust23THRUST_200600_302600_NS4plusIxEEEEZZNS1_33reduce_by_key_impl_wrapped_configILNS1_25lookback_scan_determinismE0ES3_S9_NS6_6detail15normal_iteratorINS6_10device_ptrIjEEEENSD_INSE_IxEEEENS6_16discard_iteratorINS6_11use_defaultEEESI_PmS8_NS6_8equal_toIjEEEE10hipError_tPvRmT2_T3_mT4_T5_T6_T7_T8_P12ihipStream_tbENKUlT_T0_E_clISt17integral_constantIbLb1EES15_IbLb0EEEEDaS11_S12_EUlS11_E_NS1_11comp_targetILNS1_3genE4ELNS1_11target_archE910ELNS1_3gpuE8ELNS1_3repE0EEENS1_30default_config_static_selectorELNS0_4arch9wavefront6targetE0EEEvT1_
; %bb.0:
	.section	.rodata,"a",@progbits
	.p2align	6, 0x0
	.amdhsa_kernel _ZN7rocprim17ROCPRIM_400000_NS6detail17trampoline_kernelINS0_14default_configENS1_29reduce_by_key_config_selectorIjxN6thrust23THRUST_200600_302600_NS4plusIxEEEEZZNS1_33reduce_by_key_impl_wrapped_configILNS1_25lookback_scan_determinismE0ES3_S9_NS6_6detail15normal_iteratorINS6_10device_ptrIjEEEENSD_INSE_IxEEEENS6_16discard_iteratorINS6_11use_defaultEEESI_PmS8_NS6_8equal_toIjEEEE10hipError_tPvRmT2_T3_mT4_T5_T6_T7_T8_P12ihipStream_tbENKUlT_T0_E_clISt17integral_constantIbLb1EES15_IbLb0EEEEDaS11_S12_EUlS11_E_NS1_11comp_targetILNS1_3genE4ELNS1_11target_archE910ELNS1_3gpuE8ELNS1_3repE0EEENS1_30default_config_static_selectorELNS0_4arch9wavefront6targetE0EEEvT1_
		.amdhsa_group_segment_fixed_size 0
		.amdhsa_private_segment_fixed_size 0
		.amdhsa_kernarg_size 144
		.amdhsa_user_sgpr_count 15
		.amdhsa_user_sgpr_dispatch_ptr 0
		.amdhsa_user_sgpr_queue_ptr 0
		.amdhsa_user_sgpr_kernarg_segment_ptr 1
		.amdhsa_user_sgpr_dispatch_id 0
		.amdhsa_user_sgpr_private_segment_size 0
		.amdhsa_wavefront_size32 1
		.amdhsa_uses_dynamic_stack 0
		.amdhsa_enable_private_segment 0
		.amdhsa_system_sgpr_workgroup_id_x 1
		.amdhsa_system_sgpr_workgroup_id_y 0
		.amdhsa_system_sgpr_workgroup_id_z 0
		.amdhsa_system_sgpr_workgroup_info 0
		.amdhsa_system_vgpr_workitem_id 0
		.amdhsa_next_free_vgpr 1
		.amdhsa_next_free_sgpr 1
		.amdhsa_reserve_vcc 0
		.amdhsa_float_round_mode_32 0
		.amdhsa_float_round_mode_16_64 0
		.amdhsa_float_denorm_mode_32 3
		.amdhsa_float_denorm_mode_16_64 3
		.amdhsa_dx10_clamp 1
		.amdhsa_ieee_mode 1
		.amdhsa_fp16_overflow 0
		.amdhsa_workgroup_processor_mode 1
		.amdhsa_memory_ordered 1
		.amdhsa_forward_progress 0
		.amdhsa_shared_vgpr_count 0
		.amdhsa_exception_fp_ieee_invalid_op 0
		.amdhsa_exception_fp_denorm_src 0
		.amdhsa_exception_fp_ieee_div_zero 0
		.amdhsa_exception_fp_ieee_overflow 0
		.amdhsa_exception_fp_ieee_underflow 0
		.amdhsa_exception_fp_ieee_inexact 0
		.amdhsa_exception_int_div_zero 0
	.end_amdhsa_kernel
	.section	.text._ZN7rocprim17ROCPRIM_400000_NS6detail17trampoline_kernelINS0_14default_configENS1_29reduce_by_key_config_selectorIjxN6thrust23THRUST_200600_302600_NS4plusIxEEEEZZNS1_33reduce_by_key_impl_wrapped_configILNS1_25lookback_scan_determinismE0ES3_S9_NS6_6detail15normal_iteratorINS6_10device_ptrIjEEEENSD_INSE_IxEEEENS6_16discard_iteratorINS6_11use_defaultEEESI_PmS8_NS6_8equal_toIjEEEE10hipError_tPvRmT2_T3_mT4_T5_T6_T7_T8_P12ihipStream_tbENKUlT_T0_E_clISt17integral_constantIbLb1EES15_IbLb0EEEEDaS11_S12_EUlS11_E_NS1_11comp_targetILNS1_3genE4ELNS1_11target_archE910ELNS1_3gpuE8ELNS1_3repE0EEENS1_30default_config_static_selectorELNS0_4arch9wavefront6targetE0EEEvT1_,"axG",@progbits,_ZN7rocprim17ROCPRIM_400000_NS6detail17trampoline_kernelINS0_14default_configENS1_29reduce_by_key_config_selectorIjxN6thrust23THRUST_200600_302600_NS4plusIxEEEEZZNS1_33reduce_by_key_impl_wrapped_configILNS1_25lookback_scan_determinismE0ES3_S9_NS6_6detail15normal_iteratorINS6_10device_ptrIjEEEENSD_INSE_IxEEEENS6_16discard_iteratorINS6_11use_defaultEEESI_PmS8_NS6_8equal_toIjEEEE10hipError_tPvRmT2_T3_mT4_T5_T6_T7_T8_P12ihipStream_tbENKUlT_T0_E_clISt17integral_constantIbLb1EES15_IbLb0EEEEDaS11_S12_EUlS11_E_NS1_11comp_targetILNS1_3genE4ELNS1_11target_archE910ELNS1_3gpuE8ELNS1_3repE0EEENS1_30default_config_static_selectorELNS0_4arch9wavefront6targetE0EEEvT1_,comdat
.Lfunc_end1005:
	.size	_ZN7rocprim17ROCPRIM_400000_NS6detail17trampoline_kernelINS0_14default_configENS1_29reduce_by_key_config_selectorIjxN6thrust23THRUST_200600_302600_NS4plusIxEEEEZZNS1_33reduce_by_key_impl_wrapped_configILNS1_25lookback_scan_determinismE0ES3_S9_NS6_6detail15normal_iteratorINS6_10device_ptrIjEEEENSD_INSE_IxEEEENS6_16discard_iteratorINS6_11use_defaultEEESI_PmS8_NS6_8equal_toIjEEEE10hipError_tPvRmT2_T3_mT4_T5_T6_T7_T8_P12ihipStream_tbENKUlT_T0_E_clISt17integral_constantIbLb1EES15_IbLb0EEEEDaS11_S12_EUlS11_E_NS1_11comp_targetILNS1_3genE4ELNS1_11target_archE910ELNS1_3gpuE8ELNS1_3repE0EEENS1_30default_config_static_selectorELNS0_4arch9wavefront6targetE0EEEvT1_, .Lfunc_end1005-_ZN7rocprim17ROCPRIM_400000_NS6detail17trampoline_kernelINS0_14default_configENS1_29reduce_by_key_config_selectorIjxN6thrust23THRUST_200600_302600_NS4plusIxEEEEZZNS1_33reduce_by_key_impl_wrapped_configILNS1_25lookback_scan_determinismE0ES3_S9_NS6_6detail15normal_iteratorINS6_10device_ptrIjEEEENSD_INSE_IxEEEENS6_16discard_iteratorINS6_11use_defaultEEESI_PmS8_NS6_8equal_toIjEEEE10hipError_tPvRmT2_T3_mT4_T5_T6_T7_T8_P12ihipStream_tbENKUlT_T0_E_clISt17integral_constantIbLb1EES15_IbLb0EEEEDaS11_S12_EUlS11_E_NS1_11comp_targetILNS1_3genE4ELNS1_11target_archE910ELNS1_3gpuE8ELNS1_3repE0EEENS1_30default_config_static_selectorELNS0_4arch9wavefront6targetE0EEEvT1_
                                        ; -- End function
	.section	.AMDGPU.csdata,"",@progbits
; Kernel info:
; codeLenInByte = 0
; NumSgprs: 0
; NumVgprs: 0
; ScratchSize: 0
; MemoryBound: 0
; FloatMode: 240
; IeeeMode: 1
; LDSByteSize: 0 bytes/workgroup (compile time only)
; SGPRBlocks: 0
; VGPRBlocks: 0
; NumSGPRsForWavesPerEU: 1
; NumVGPRsForWavesPerEU: 1
; Occupancy: 16
; WaveLimiterHint : 0
; COMPUTE_PGM_RSRC2:SCRATCH_EN: 0
; COMPUTE_PGM_RSRC2:USER_SGPR: 15
; COMPUTE_PGM_RSRC2:TRAP_HANDLER: 0
; COMPUTE_PGM_RSRC2:TGID_X_EN: 1
; COMPUTE_PGM_RSRC2:TGID_Y_EN: 0
; COMPUTE_PGM_RSRC2:TGID_Z_EN: 0
; COMPUTE_PGM_RSRC2:TIDIG_COMP_CNT: 0
	.section	.text._ZN7rocprim17ROCPRIM_400000_NS6detail17trampoline_kernelINS0_14default_configENS1_29reduce_by_key_config_selectorIjxN6thrust23THRUST_200600_302600_NS4plusIxEEEEZZNS1_33reduce_by_key_impl_wrapped_configILNS1_25lookback_scan_determinismE0ES3_S9_NS6_6detail15normal_iteratorINS6_10device_ptrIjEEEENSD_INSE_IxEEEENS6_16discard_iteratorINS6_11use_defaultEEESI_PmS8_NS6_8equal_toIjEEEE10hipError_tPvRmT2_T3_mT4_T5_T6_T7_T8_P12ihipStream_tbENKUlT_T0_E_clISt17integral_constantIbLb1EES15_IbLb0EEEEDaS11_S12_EUlS11_E_NS1_11comp_targetILNS1_3genE3ELNS1_11target_archE908ELNS1_3gpuE7ELNS1_3repE0EEENS1_30default_config_static_selectorELNS0_4arch9wavefront6targetE0EEEvT1_,"axG",@progbits,_ZN7rocprim17ROCPRIM_400000_NS6detail17trampoline_kernelINS0_14default_configENS1_29reduce_by_key_config_selectorIjxN6thrust23THRUST_200600_302600_NS4plusIxEEEEZZNS1_33reduce_by_key_impl_wrapped_configILNS1_25lookback_scan_determinismE0ES3_S9_NS6_6detail15normal_iteratorINS6_10device_ptrIjEEEENSD_INSE_IxEEEENS6_16discard_iteratorINS6_11use_defaultEEESI_PmS8_NS6_8equal_toIjEEEE10hipError_tPvRmT2_T3_mT4_T5_T6_T7_T8_P12ihipStream_tbENKUlT_T0_E_clISt17integral_constantIbLb1EES15_IbLb0EEEEDaS11_S12_EUlS11_E_NS1_11comp_targetILNS1_3genE3ELNS1_11target_archE908ELNS1_3gpuE7ELNS1_3repE0EEENS1_30default_config_static_selectorELNS0_4arch9wavefront6targetE0EEEvT1_,comdat
	.protected	_ZN7rocprim17ROCPRIM_400000_NS6detail17trampoline_kernelINS0_14default_configENS1_29reduce_by_key_config_selectorIjxN6thrust23THRUST_200600_302600_NS4plusIxEEEEZZNS1_33reduce_by_key_impl_wrapped_configILNS1_25lookback_scan_determinismE0ES3_S9_NS6_6detail15normal_iteratorINS6_10device_ptrIjEEEENSD_INSE_IxEEEENS6_16discard_iteratorINS6_11use_defaultEEESI_PmS8_NS6_8equal_toIjEEEE10hipError_tPvRmT2_T3_mT4_T5_T6_T7_T8_P12ihipStream_tbENKUlT_T0_E_clISt17integral_constantIbLb1EES15_IbLb0EEEEDaS11_S12_EUlS11_E_NS1_11comp_targetILNS1_3genE3ELNS1_11target_archE908ELNS1_3gpuE7ELNS1_3repE0EEENS1_30default_config_static_selectorELNS0_4arch9wavefront6targetE0EEEvT1_ ; -- Begin function _ZN7rocprim17ROCPRIM_400000_NS6detail17trampoline_kernelINS0_14default_configENS1_29reduce_by_key_config_selectorIjxN6thrust23THRUST_200600_302600_NS4plusIxEEEEZZNS1_33reduce_by_key_impl_wrapped_configILNS1_25lookback_scan_determinismE0ES3_S9_NS6_6detail15normal_iteratorINS6_10device_ptrIjEEEENSD_INSE_IxEEEENS6_16discard_iteratorINS6_11use_defaultEEESI_PmS8_NS6_8equal_toIjEEEE10hipError_tPvRmT2_T3_mT4_T5_T6_T7_T8_P12ihipStream_tbENKUlT_T0_E_clISt17integral_constantIbLb1EES15_IbLb0EEEEDaS11_S12_EUlS11_E_NS1_11comp_targetILNS1_3genE3ELNS1_11target_archE908ELNS1_3gpuE7ELNS1_3repE0EEENS1_30default_config_static_selectorELNS0_4arch9wavefront6targetE0EEEvT1_
	.globl	_ZN7rocprim17ROCPRIM_400000_NS6detail17trampoline_kernelINS0_14default_configENS1_29reduce_by_key_config_selectorIjxN6thrust23THRUST_200600_302600_NS4plusIxEEEEZZNS1_33reduce_by_key_impl_wrapped_configILNS1_25lookback_scan_determinismE0ES3_S9_NS6_6detail15normal_iteratorINS6_10device_ptrIjEEEENSD_INSE_IxEEEENS6_16discard_iteratorINS6_11use_defaultEEESI_PmS8_NS6_8equal_toIjEEEE10hipError_tPvRmT2_T3_mT4_T5_T6_T7_T8_P12ihipStream_tbENKUlT_T0_E_clISt17integral_constantIbLb1EES15_IbLb0EEEEDaS11_S12_EUlS11_E_NS1_11comp_targetILNS1_3genE3ELNS1_11target_archE908ELNS1_3gpuE7ELNS1_3repE0EEENS1_30default_config_static_selectorELNS0_4arch9wavefront6targetE0EEEvT1_
	.p2align	8
	.type	_ZN7rocprim17ROCPRIM_400000_NS6detail17trampoline_kernelINS0_14default_configENS1_29reduce_by_key_config_selectorIjxN6thrust23THRUST_200600_302600_NS4plusIxEEEEZZNS1_33reduce_by_key_impl_wrapped_configILNS1_25lookback_scan_determinismE0ES3_S9_NS6_6detail15normal_iteratorINS6_10device_ptrIjEEEENSD_INSE_IxEEEENS6_16discard_iteratorINS6_11use_defaultEEESI_PmS8_NS6_8equal_toIjEEEE10hipError_tPvRmT2_T3_mT4_T5_T6_T7_T8_P12ihipStream_tbENKUlT_T0_E_clISt17integral_constantIbLb1EES15_IbLb0EEEEDaS11_S12_EUlS11_E_NS1_11comp_targetILNS1_3genE3ELNS1_11target_archE908ELNS1_3gpuE7ELNS1_3repE0EEENS1_30default_config_static_selectorELNS0_4arch9wavefront6targetE0EEEvT1_,@function
_ZN7rocprim17ROCPRIM_400000_NS6detail17trampoline_kernelINS0_14default_configENS1_29reduce_by_key_config_selectorIjxN6thrust23THRUST_200600_302600_NS4plusIxEEEEZZNS1_33reduce_by_key_impl_wrapped_configILNS1_25lookback_scan_determinismE0ES3_S9_NS6_6detail15normal_iteratorINS6_10device_ptrIjEEEENSD_INSE_IxEEEENS6_16discard_iteratorINS6_11use_defaultEEESI_PmS8_NS6_8equal_toIjEEEE10hipError_tPvRmT2_T3_mT4_T5_T6_T7_T8_P12ihipStream_tbENKUlT_T0_E_clISt17integral_constantIbLb1EES15_IbLb0EEEEDaS11_S12_EUlS11_E_NS1_11comp_targetILNS1_3genE3ELNS1_11target_archE908ELNS1_3gpuE7ELNS1_3repE0EEENS1_30default_config_static_selectorELNS0_4arch9wavefront6targetE0EEEvT1_: ; @_ZN7rocprim17ROCPRIM_400000_NS6detail17trampoline_kernelINS0_14default_configENS1_29reduce_by_key_config_selectorIjxN6thrust23THRUST_200600_302600_NS4plusIxEEEEZZNS1_33reduce_by_key_impl_wrapped_configILNS1_25lookback_scan_determinismE0ES3_S9_NS6_6detail15normal_iteratorINS6_10device_ptrIjEEEENSD_INSE_IxEEEENS6_16discard_iteratorINS6_11use_defaultEEESI_PmS8_NS6_8equal_toIjEEEE10hipError_tPvRmT2_T3_mT4_T5_T6_T7_T8_P12ihipStream_tbENKUlT_T0_E_clISt17integral_constantIbLb1EES15_IbLb0EEEEDaS11_S12_EUlS11_E_NS1_11comp_targetILNS1_3genE3ELNS1_11target_archE908ELNS1_3gpuE7ELNS1_3repE0EEENS1_30default_config_static_selectorELNS0_4arch9wavefront6targetE0EEEvT1_
; %bb.0:
	.section	.rodata,"a",@progbits
	.p2align	6, 0x0
	.amdhsa_kernel _ZN7rocprim17ROCPRIM_400000_NS6detail17trampoline_kernelINS0_14default_configENS1_29reduce_by_key_config_selectorIjxN6thrust23THRUST_200600_302600_NS4plusIxEEEEZZNS1_33reduce_by_key_impl_wrapped_configILNS1_25lookback_scan_determinismE0ES3_S9_NS6_6detail15normal_iteratorINS6_10device_ptrIjEEEENSD_INSE_IxEEEENS6_16discard_iteratorINS6_11use_defaultEEESI_PmS8_NS6_8equal_toIjEEEE10hipError_tPvRmT2_T3_mT4_T5_T6_T7_T8_P12ihipStream_tbENKUlT_T0_E_clISt17integral_constantIbLb1EES15_IbLb0EEEEDaS11_S12_EUlS11_E_NS1_11comp_targetILNS1_3genE3ELNS1_11target_archE908ELNS1_3gpuE7ELNS1_3repE0EEENS1_30default_config_static_selectorELNS0_4arch9wavefront6targetE0EEEvT1_
		.amdhsa_group_segment_fixed_size 0
		.amdhsa_private_segment_fixed_size 0
		.amdhsa_kernarg_size 144
		.amdhsa_user_sgpr_count 15
		.amdhsa_user_sgpr_dispatch_ptr 0
		.amdhsa_user_sgpr_queue_ptr 0
		.amdhsa_user_sgpr_kernarg_segment_ptr 1
		.amdhsa_user_sgpr_dispatch_id 0
		.amdhsa_user_sgpr_private_segment_size 0
		.amdhsa_wavefront_size32 1
		.amdhsa_uses_dynamic_stack 0
		.amdhsa_enable_private_segment 0
		.amdhsa_system_sgpr_workgroup_id_x 1
		.amdhsa_system_sgpr_workgroup_id_y 0
		.amdhsa_system_sgpr_workgroup_id_z 0
		.amdhsa_system_sgpr_workgroup_info 0
		.amdhsa_system_vgpr_workitem_id 0
		.amdhsa_next_free_vgpr 1
		.amdhsa_next_free_sgpr 1
		.amdhsa_reserve_vcc 0
		.amdhsa_float_round_mode_32 0
		.amdhsa_float_round_mode_16_64 0
		.amdhsa_float_denorm_mode_32 3
		.amdhsa_float_denorm_mode_16_64 3
		.amdhsa_dx10_clamp 1
		.amdhsa_ieee_mode 1
		.amdhsa_fp16_overflow 0
		.amdhsa_workgroup_processor_mode 1
		.amdhsa_memory_ordered 1
		.amdhsa_forward_progress 0
		.amdhsa_shared_vgpr_count 0
		.amdhsa_exception_fp_ieee_invalid_op 0
		.amdhsa_exception_fp_denorm_src 0
		.amdhsa_exception_fp_ieee_div_zero 0
		.amdhsa_exception_fp_ieee_overflow 0
		.amdhsa_exception_fp_ieee_underflow 0
		.amdhsa_exception_fp_ieee_inexact 0
		.amdhsa_exception_int_div_zero 0
	.end_amdhsa_kernel
	.section	.text._ZN7rocprim17ROCPRIM_400000_NS6detail17trampoline_kernelINS0_14default_configENS1_29reduce_by_key_config_selectorIjxN6thrust23THRUST_200600_302600_NS4plusIxEEEEZZNS1_33reduce_by_key_impl_wrapped_configILNS1_25lookback_scan_determinismE0ES3_S9_NS6_6detail15normal_iteratorINS6_10device_ptrIjEEEENSD_INSE_IxEEEENS6_16discard_iteratorINS6_11use_defaultEEESI_PmS8_NS6_8equal_toIjEEEE10hipError_tPvRmT2_T3_mT4_T5_T6_T7_T8_P12ihipStream_tbENKUlT_T0_E_clISt17integral_constantIbLb1EES15_IbLb0EEEEDaS11_S12_EUlS11_E_NS1_11comp_targetILNS1_3genE3ELNS1_11target_archE908ELNS1_3gpuE7ELNS1_3repE0EEENS1_30default_config_static_selectorELNS0_4arch9wavefront6targetE0EEEvT1_,"axG",@progbits,_ZN7rocprim17ROCPRIM_400000_NS6detail17trampoline_kernelINS0_14default_configENS1_29reduce_by_key_config_selectorIjxN6thrust23THRUST_200600_302600_NS4plusIxEEEEZZNS1_33reduce_by_key_impl_wrapped_configILNS1_25lookback_scan_determinismE0ES3_S9_NS6_6detail15normal_iteratorINS6_10device_ptrIjEEEENSD_INSE_IxEEEENS6_16discard_iteratorINS6_11use_defaultEEESI_PmS8_NS6_8equal_toIjEEEE10hipError_tPvRmT2_T3_mT4_T5_T6_T7_T8_P12ihipStream_tbENKUlT_T0_E_clISt17integral_constantIbLb1EES15_IbLb0EEEEDaS11_S12_EUlS11_E_NS1_11comp_targetILNS1_3genE3ELNS1_11target_archE908ELNS1_3gpuE7ELNS1_3repE0EEENS1_30default_config_static_selectorELNS0_4arch9wavefront6targetE0EEEvT1_,comdat
.Lfunc_end1006:
	.size	_ZN7rocprim17ROCPRIM_400000_NS6detail17trampoline_kernelINS0_14default_configENS1_29reduce_by_key_config_selectorIjxN6thrust23THRUST_200600_302600_NS4plusIxEEEEZZNS1_33reduce_by_key_impl_wrapped_configILNS1_25lookback_scan_determinismE0ES3_S9_NS6_6detail15normal_iteratorINS6_10device_ptrIjEEEENSD_INSE_IxEEEENS6_16discard_iteratorINS6_11use_defaultEEESI_PmS8_NS6_8equal_toIjEEEE10hipError_tPvRmT2_T3_mT4_T5_T6_T7_T8_P12ihipStream_tbENKUlT_T0_E_clISt17integral_constantIbLb1EES15_IbLb0EEEEDaS11_S12_EUlS11_E_NS1_11comp_targetILNS1_3genE3ELNS1_11target_archE908ELNS1_3gpuE7ELNS1_3repE0EEENS1_30default_config_static_selectorELNS0_4arch9wavefront6targetE0EEEvT1_, .Lfunc_end1006-_ZN7rocprim17ROCPRIM_400000_NS6detail17trampoline_kernelINS0_14default_configENS1_29reduce_by_key_config_selectorIjxN6thrust23THRUST_200600_302600_NS4plusIxEEEEZZNS1_33reduce_by_key_impl_wrapped_configILNS1_25lookback_scan_determinismE0ES3_S9_NS6_6detail15normal_iteratorINS6_10device_ptrIjEEEENSD_INSE_IxEEEENS6_16discard_iteratorINS6_11use_defaultEEESI_PmS8_NS6_8equal_toIjEEEE10hipError_tPvRmT2_T3_mT4_T5_T6_T7_T8_P12ihipStream_tbENKUlT_T0_E_clISt17integral_constantIbLb1EES15_IbLb0EEEEDaS11_S12_EUlS11_E_NS1_11comp_targetILNS1_3genE3ELNS1_11target_archE908ELNS1_3gpuE7ELNS1_3repE0EEENS1_30default_config_static_selectorELNS0_4arch9wavefront6targetE0EEEvT1_
                                        ; -- End function
	.section	.AMDGPU.csdata,"",@progbits
; Kernel info:
; codeLenInByte = 0
; NumSgprs: 0
; NumVgprs: 0
; ScratchSize: 0
; MemoryBound: 0
; FloatMode: 240
; IeeeMode: 1
; LDSByteSize: 0 bytes/workgroup (compile time only)
; SGPRBlocks: 0
; VGPRBlocks: 0
; NumSGPRsForWavesPerEU: 1
; NumVGPRsForWavesPerEU: 1
; Occupancy: 16
; WaveLimiterHint : 0
; COMPUTE_PGM_RSRC2:SCRATCH_EN: 0
; COMPUTE_PGM_RSRC2:USER_SGPR: 15
; COMPUTE_PGM_RSRC2:TRAP_HANDLER: 0
; COMPUTE_PGM_RSRC2:TGID_X_EN: 1
; COMPUTE_PGM_RSRC2:TGID_Y_EN: 0
; COMPUTE_PGM_RSRC2:TGID_Z_EN: 0
; COMPUTE_PGM_RSRC2:TIDIG_COMP_CNT: 0
	.section	.text._ZN7rocprim17ROCPRIM_400000_NS6detail17trampoline_kernelINS0_14default_configENS1_29reduce_by_key_config_selectorIjxN6thrust23THRUST_200600_302600_NS4plusIxEEEEZZNS1_33reduce_by_key_impl_wrapped_configILNS1_25lookback_scan_determinismE0ES3_S9_NS6_6detail15normal_iteratorINS6_10device_ptrIjEEEENSD_INSE_IxEEEENS6_16discard_iteratorINS6_11use_defaultEEESI_PmS8_NS6_8equal_toIjEEEE10hipError_tPvRmT2_T3_mT4_T5_T6_T7_T8_P12ihipStream_tbENKUlT_T0_E_clISt17integral_constantIbLb1EES15_IbLb0EEEEDaS11_S12_EUlS11_E_NS1_11comp_targetILNS1_3genE2ELNS1_11target_archE906ELNS1_3gpuE6ELNS1_3repE0EEENS1_30default_config_static_selectorELNS0_4arch9wavefront6targetE0EEEvT1_,"axG",@progbits,_ZN7rocprim17ROCPRIM_400000_NS6detail17trampoline_kernelINS0_14default_configENS1_29reduce_by_key_config_selectorIjxN6thrust23THRUST_200600_302600_NS4plusIxEEEEZZNS1_33reduce_by_key_impl_wrapped_configILNS1_25lookback_scan_determinismE0ES3_S9_NS6_6detail15normal_iteratorINS6_10device_ptrIjEEEENSD_INSE_IxEEEENS6_16discard_iteratorINS6_11use_defaultEEESI_PmS8_NS6_8equal_toIjEEEE10hipError_tPvRmT2_T3_mT4_T5_T6_T7_T8_P12ihipStream_tbENKUlT_T0_E_clISt17integral_constantIbLb1EES15_IbLb0EEEEDaS11_S12_EUlS11_E_NS1_11comp_targetILNS1_3genE2ELNS1_11target_archE906ELNS1_3gpuE6ELNS1_3repE0EEENS1_30default_config_static_selectorELNS0_4arch9wavefront6targetE0EEEvT1_,comdat
	.protected	_ZN7rocprim17ROCPRIM_400000_NS6detail17trampoline_kernelINS0_14default_configENS1_29reduce_by_key_config_selectorIjxN6thrust23THRUST_200600_302600_NS4plusIxEEEEZZNS1_33reduce_by_key_impl_wrapped_configILNS1_25lookback_scan_determinismE0ES3_S9_NS6_6detail15normal_iteratorINS6_10device_ptrIjEEEENSD_INSE_IxEEEENS6_16discard_iteratorINS6_11use_defaultEEESI_PmS8_NS6_8equal_toIjEEEE10hipError_tPvRmT2_T3_mT4_T5_T6_T7_T8_P12ihipStream_tbENKUlT_T0_E_clISt17integral_constantIbLb1EES15_IbLb0EEEEDaS11_S12_EUlS11_E_NS1_11comp_targetILNS1_3genE2ELNS1_11target_archE906ELNS1_3gpuE6ELNS1_3repE0EEENS1_30default_config_static_selectorELNS0_4arch9wavefront6targetE0EEEvT1_ ; -- Begin function _ZN7rocprim17ROCPRIM_400000_NS6detail17trampoline_kernelINS0_14default_configENS1_29reduce_by_key_config_selectorIjxN6thrust23THRUST_200600_302600_NS4plusIxEEEEZZNS1_33reduce_by_key_impl_wrapped_configILNS1_25lookback_scan_determinismE0ES3_S9_NS6_6detail15normal_iteratorINS6_10device_ptrIjEEEENSD_INSE_IxEEEENS6_16discard_iteratorINS6_11use_defaultEEESI_PmS8_NS6_8equal_toIjEEEE10hipError_tPvRmT2_T3_mT4_T5_T6_T7_T8_P12ihipStream_tbENKUlT_T0_E_clISt17integral_constantIbLb1EES15_IbLb0EEEEDaS11_S12_EUlS11_E_NS1_11comp_targetILNS1_3genE2ELNS1_11target_archE906ELNS1_3gpuE6ELNS1_3repE0EEENS1_30default_config_static_selectorELNS0_4arch9wavefront6targetE0EEEvT1_
	.globl	_ZN7rocprim17ROCPRIM_400000_NS6detail17trampoline_kernelINS0_14default_configENS1_29reduce_by_key_config_selectorIjxN6thrust23THRUST_200600_302600_NS4plusIxEEEEZZNS1_33reduce_by_key_impl_wrapped_configILNS1_25lookback_scan_determinismE0ES3_S9_NS6_6detail15normal_iteratorINS6_10device_ptrIjEEEENSD_INSE_IxEEEENS6_16discard_iteratorINS6_11use_defaultEEESI_PmS8_NS6_8equal_toIjEEEE10hipError_tPvRmT2_T3_mT4_T5_T6_T7_T8_P12ihipStream_tbENKUlT_T0_E_clISt17integral_constantIbLb1EES15_IbLb0EEEEDaS11_S12_EUlS11_E_NS1_11comp_targetILNS1_3genE2ELNS1_11target_archE906ELNS1_3gpuE6ELNS1_3repE0EEENS1_30default_config_static_selectorELNS0_4arch9wavefront6targetE0EEEvT1_
	.p2align	8
	.type	_ZN7rocprim17ROCPRIM_400000_NS6detail17trampoline_kernelINS0_14default_configENS1_29reduce_by_key_config_selectorIjxN6thrust23THRUST_200600_302600_NS4plusIxEEEEZZNS1_33reduce_by_key_impl_wrapped_configILNS1_25lookback_scan_determinismE0ES3_S9_NS6_6detail15normal_iteratorINS6_10device_ptrIjEEEENSD_INSE_IxEEEENS6_16discard_iteratorINS6_11use_defaultEEESI_PmS8_NS6_8equal_toIjEEEE10hipError_tPvRmT2_T3_mT4_T5_T6_T7_T8_P12ihipStream_tbENKUlT_T0_E_clISt17integral_constantIbLb1EES15_IbLb0EEEEDaS11_S12_EUlS11_E_NS1_11comp_targetILNS1_3genE2ELNS1_11target_archE906ELNS1_3gpuE6ELNS1_3repE0EEENS1_30default_config_static_selectorELNS0_4arch9wavefront6targetE0EEEvT1_,@function
_ZN7rocprim17ROCPRIM_400000_NS6detail17trampoline_kernelINS0_14default_configENS1_29reduce_by_key_config_selectorIjxN6thrust23THRUST_200600_302600_NS4plusIxEEEEZZNS1_33reduce_by_key_impl_wrapped_configILNS1_25lookback_scan_determinismE0ES3_S9_NS6_6detail15normal_iteratorINS6_10device_ptrIjEEEENSD_INSE_IxEEEENS6_16discard_iteratorINS6_11use_defaultEEESI_PmS8_NS6_8equal_toIjEEEE10hipError_tPvRmT2_T3_mT4_T5_T6_T7_T8_P12ihipStream_tbENKUlT_T0_E_clISt17integral_constantIbLb1EES15_IbLb0EEEEDaS11_S12_EUlS11_E_NS1_11comp_targetILNS1_3genE2ELNS1_11target_archE906ELNS1_3gpuE6ELNS1_3repE0EEENS1_30default_config_static_selectorELNS0_4arch9wavefront6targetE0EEEvT1_: ; @_ZN7rocprim17ROCPRIM_400000_NS6detail17trampoline_kernelINS0_14default_configENS1_29reduce_by_key_config_selectorIjxN6thrust23THRUST_200600_302600_NS4plusIxEEEEZZNS1_33reduce_by_key_impl_wrapped_configILNS1_25lookback_scan_determinismE0ES3_S9_NS6_6detail15normal_iteratorINS6_10device_ptrIjEEEENSD_INSE_IxEEEENS6_16discard_iteratorINS6_11use_defaultEEESI_PmS8_NS6_8equal_toIjEEEE10hipError_tPvRmT2_T3_mT4_T5_T6_T7_T8_P12ihipStream_tbENKUlT_T0_E_clISt17integral_constantIbLb1EES15_IbLb0EEEEDaS11_S12_EUlS11_E_NS1_11comp_targetILNS1_3genE2ELNS1_11target_archE906ELNS1_3gpuE6ELNS1_3repE0EEENS1_30default_config_static_selectorELNS0_4arch9wavefront6targetE0EEEvT1_
; %bb.0:
	.section	.rodata,"a",@progbits
	.p2align	6, 0x0
	.amdhsa_kernel _ZN7rocprim17ROCPRIM_400000_NS6detail17trampoline_kernelINS0_14default_configENS1_29reduce_by_key_config_selectorIjxN6thrust23THRUST_200600_302600_NS4plusIxEEEEZZNS1_33reduce_by_key_impl_wrapped_configILNS1_25lookback_scan_determinismE0ES3_S9_NS6_6detail15normal_iteratorINS6_10device_ptrIjEEEENSD_INSE_IxEEEENS6_16discard_iteratorINS6_11use_defaultEEESI_PmS8_NS6_8equal_toIjEEEE10hipError_tPvRmT2_T3_mT4_T5_T6_T7_T8_P12ihipStream_tbENKUlT_T0_E_clISt17integral_constantIbLb1EES15_IbLb0EEEEDaS11_S12_EUlS11_E_NS1_11comp_targetILNS1_3genE2ELNS1_11target_archE906ELNS1_3gpuE6ELNS1_3repE0EEENS1_30default_config_static_selectorELNS0_4arch9wavefront6targetE0EEEvT1_
		.amdhsa_group_segment_fixed_size 0
		.amdhsa_private_segment_fixed_size 0
		.amdhsa_kernarg_size 144
		.amdhsa_user_sgpr_count 15
		.amdhsa_user_sgpr_dispatch_ptr 0
		.amdhsa_user_sgpr_queue_ptr 0
		.amdhsa_user_sgpr_kernarg_segment_ptr 1
		.amdhsa_user_sgpr_dispatch_id 0
		.amdhsa_user_sgpr_private_segment_size 0
		.amdhsa_wavefront_size32 1
		.amdhsa_uses_dynamic_stack 0
		.amdhsa_enable_private_segment 0
		.amdhsa_system_sgpr_workgroup_id_x 1
		.amdhsa_system_sgpr_workgroup_id_y 0
		.amdhsa_system_sgpr_workgroup_id_z 0
		.amdhsa_system_sgpr_workgroup_info 0
		.amdhsa_system_vgpr_workitem_id 0
		.amdhsa_next_free_vgpr 1
		.amdhsa_next_free_sgpr 1
		.amdhsa_reserve_vcc 0
		.amdhsa_float_round_mode_32 0
		.amdhsa_float_round_mode_16_64 0
		.amdhsa_float_denorm_mode_32 3
		.amdhsa_float_denorm_mode_16_64 3
		.amdhsa_dx10_clamp 1
		.amdhsa_ieee_mode 1
		.amdhsa_fp16_overflow 0
		.amdhsa_workgroup_processor_mode 1
		.amdhsa_memory_ordered 1
		.amdhsa_forward_progress 0
		.amdhsa_shared_vgpr_count 0
		.amdhsa_exception_fp_ieee_invalid_op 0
		.amdhsa_exception_fp_denorm_src 0
		.amdhsa_exception_fp_ieee_div_zero 0
		.amdhsa_exception_fp_ieee_overflow 0
		.amdhsa_exception_fp_ieee_underflow 0
		.amdhsa_exception_fp_ieee_inexact 0
		.amdhsa_exception_int_div_zero 0
	.end_amdhsa_kernel
	.section	.text._ZN7rocprim17ROCPRIM_400000_NS6detail17trampoline_kernelINS0_14default_configENS1_29reduce_by_key_config_selectorIjxN6thrust23THRUST_200600_302600_NS4plusIxEEEEZZNS1_33reduce_by_key_impl_wrapped_configILNS1_25lookback_scan_determinismE0ES3_S9_NS6_6detail15normal_iteratorINS6_10device_ptrIjEEEENSD_INSE_IxEEEENS6_16discard_iteratorINS6_11use_defaultEEESI_PmS8_NS6_8equal_toIjEEEE10hipError_tPvRmT2_T3_mT4_T5_T6_T7_T8_P12ihipStream_tbENKUlT_T0_E_clISt17integral_constantIbLb1EES15_IbLb0EEEEDaS11_S12_EUlS11_E_NS1_11comp_targetILNS1_3genE2ELNS1_11target_archE906ELNS1_3gpuE6ELNS1_3repE0EEENS1_30default_config_static_selectorELNS0_4arch9wavefront6targetE0EEEvT1_,"axG",@progbits,_ZN7rocprim17ROCPRIM_400000_NS6detail17trampoline_kernelINS0_14default_configENS1_29reduce_by_key_config_selectorIjxN6thrust23THRUST_200600_302600_NS4plusIxEEEEZZNS1_33reduce_by_key_impl_wrapped_configILNS1_25lookback_scan_determinismE0ES3_S9_NS6_6detail15normal_iteratorINS6_10device_ptrIjEEEENSD_INSE_IxEEEENS6_16discard_iteratorINS6_11use_defaultEEESI_PmS8_NS6_8equal_toIjEEEE10hipError_tPvRmT2_T3_mT4_T5_T6_T7_T8_P12ihipStream_tbENKUlT_T0_E_clISt17integral_constantIbLb1EES15_IbLb0EEEEDaS11_S12_EUlS11_E_NS1_11comp_targetILNS1_3genE2ELNS1_11target_archE906ELNS1_3gpuE6ELNS1_3repE0EEENS1_30default_config_static_selectorELNS0_4arch9wavefront6targetE0EEEvT1_,comdat
.Lfunc_end1007:
	.size	_ZN7rocprim17ROCPRIM_400000_NS6detail17trampoline_kernelINS0_14default_configENS1_29reduce_by_key_config_selectorIjxN6thrust23THRUST_200600_302600_NS4plusIxEEEEZZNS1_33reduce_by_key_impl_wrapped_configILNS1_25lookback_scan_determinismE0ES3_S9_NS6_6detail15normal_iteratorINS6_10device_ptrIjEEEENSD_INSE_IxEEEENS6_16discard_iteratorINS6_11use_defaultEEESI_PmS8_NS6_8equal_toIjEEEE10hipError_tPvRmT2_T3_mT4_T5_T6_T7_T8_P12ihipStream_tbENKUlT_T0_E_clISt17integral_constantIbLb1EES15_IbLb0EEEEDaS11_S12_EUlS11_E_NS1_11comp_targetILNS1_3genE2ELNS1_11target_archE906ELNS1_3gpuE6ELNS1_3repE0EEENS1_30default_config_static_selectorELNS0_4arch9wavefront6targetE0EEEvT1_, .Lfunc_end1007-_ZN7rocprim17ROCPRIM_400000_NS6detail17trampoline_kernelINS0_14default_configENS1_29reduce_by_key_config_selectorIjxN6thrust23THRUST_200600_302600_NS4plusIxEEEEZZNS1_33reduce_by_key_impl_wrapped_configILNS1_25lookback_scan_determinismE0ES3_S9_NS6_6detail15normal_iteratorINS6_10device_ptrIjEEEENSD_INSE_IxEEEENS6_16discard_iteratorINS6_11use_defaultEEESI_PmS8_NS6_8equal_toIjEEEE10hipError_tPvRmT2_T3_mT4_T5_T6_T7_T8_P12ihipStream_tbENKUlT_T0_E_clISt17integral_constantIbLb1EES15_IbLb0EEEEDaS11_S12_EUlS11_E_NS1_11comp_targetILNS1_3genE2ELNS1_11target_archE906ELNS1_3gpuE6ELNS1_3repE0EEENS1_30default_config_static_selectorELNS0_4arch9wavefront6targetE0EEEvT1_
                                        ; -- End function
	.section	.AMDGPU.csdata,"",@progbits
; Kernel info:
; codeLenInByte = 0
; NumSgprs: 0
; NumVgprs: 0
; ScratchSize: 0
; MemoryBound: 0
; FloatMode: 240
; IeeeMode: 1
; LDSByteSize: 0 bytes/workgroup (compile time only)
; SGPRBlocks: 0
; VGPRBlocks: 0
; NumSGPRsForWavesPerEU: 1
; NumVGPRsForWavesPerEU: 1
; Occupancy: 16
; WaveLimiterHint : 0
; COMPUTE_PGM_RSRC2:SCRATCH_EN: 0
; COMPUTE_PGM_RSRC2:USER_SGPR: 15
; COMPUTE_PGM_RSRC2:TRAP_HANDLER: 0
; COMPUTE_PGM_RSRC2:TGID_X_EN: 1
; COMPUTE_PGM_RSRC2:TGID_Y_EN: 0
; COMPUTE_PGM_RSRC2:TGID_Z_EN: 0
; COMPUTE_PGM_RSRC2:TIDIG_COMP_CNT: 0
	.section	.text._ZN7rocprim17ROCPRIM_400000_NS6detail17trampoline_kernelINS0_14default_configENS1_29reduce_by_key_config_selectorIjxN6thrust23THRUST_200600_302600_NS4plusIxEEEEZZNS1_33reduce_by_key_impl_wrapped_configILNS1_25lookback_scan_determinismE0ES3_S9_NS6_6detail15normal_iteratorINS6_10device_ptrIjEEEENSD_INSE_IxEEEENS6_16discard_iteratorINS6_11use_defaultEEESI_PmS8_NS6_8equal_toIjEEEE10hipError_tPvRmT2_T3_mT4_T5_T6_T7_T8_P12ihipStream_tbENKUlT_T0_E_clISt17integral_constantIbLb1EES15_IbLb0EEEEDaS11_S12_EUlS11_E_NS1_11comp_targetILNS1_3genE10ELNS1_11target_archE1201ELNS1_3gpuE5ELNS1_3repE0EEENS1_30default_config_static_selectorELNS0_4arch9wavefront6targetE0EEEvT1_,"axG",@progbits,_ZN7rocprim17ROCPRIM_400000_NS6detail17trampoline_kernelINS0_14default_configENS1_29reduce_by_key_config_selectorIjxN6thrust23THRUST_200600_302600_NS4plusIxEEEEZZNS1_33reduce_by_key_impl_wrapped_configILNS1_25lookback_scan_determinismE0ES3_S9_NS6_6detail15normal_iteratorINS6_10device_ptrIjEEEENSD_INSE_IxEEEENS6_16discard_iteratorINS6_11use_defaultEEESI_PmS8_NS6_8equal_toIjEEEE10hipError_tPvRmT2_T3_mT4_T5_T6_T7_T8_P12ihipStream_tbENKUlT_T0_E_clISt17integral_constantIbLb1EES15_IbLb0EEEEDaS11_S12_EUlS11_E_NS1_11comp_targetILNS1_3genE10ELNS1_11target_archE1201ELNS1_3gpuE5ELNS1_3repE0EEENS1_30default_config_static_selectorELNS0_4arch9wavefront6targetE0EEEvT1_,comdat
	.protected	_ZN7rocprim17ROCPRIM_400000_NS6detail17trampoline_kernelINS0_14default_configENS1_29reduce_by_key_config_selectorIjxN6thrust23THRUST_200600_302600_NS4plusIxEEEEZZNS1_33reduce_by_key_impl_wrapped_configILNS1_25lookback_scan_determinismE0ES3_S9_NS6_6detail15normal_iteratorINS6_10device_ptrIjEEEENSD_INSE_IxEEEENS6_16discard_iteratorINS6_11use_defaultEEESI_PmS8_NS6_8equal_toIjEEEE10hipError_tPvRmT2_T3_mT4_T5_T6_T7_T8_P12ihipStream_tbENKUlT_T0_E_clISt17integral_constantIbLb1EES15_IbLb0EEEEDaS11_S12_EUlS11_E_NS1_11comp_targetILNS1_3genE10ELNS1_11target_archE1201ELNS1_3gpuE5ELNS1_3repE0EEENS1_30default_config_static_selectorELNS0_4arch9wavefront6targetE0EEEvT1_ ; -- Begin function _ZN7rocprim17ROCPRIM_400000_NS6detail17trampoline_kernelINS0_14default_configENS1_29reduce_by_key_config_selectorIjxN6thrust23THRUST_200600_302600_NS4plusIxEEEEZZNS1_33reduce_by_key_impl_wrapped_configILNS1_25lookback_scan_determinismE0ES3_S9_NS6_6detail15normal_iteratorINS6_10device_ptrIjEEEENSD_INSE_IxEEEENS6_16discard_iteratorINS6_11use_defaultEEESI_PmS8_NS6_8equal_toIjEEEE10hipError_tPvRmT2_T3_mT4_T5_T6_T7_T8_P12ihipStream_tbENKUlT_T0_E_clISt17integral_constantIbLb1EES15_IbLb0EEEEDaS11_S12_EUlS11_E_NS1_11comp_targetILNS1_3genE10ELNS1_11target_archE1201ELNS1_3gpuE5ELNS1_3repE0EEENS1_30default_config_static_selectorELNS0_4arch9wavefront6targetE0EEEvT1_
	.globl	_ZN7rocprim17ROCPRIM_400000_NS6detail17trampoline_kernelINS0_14default_configENS1_29reduce_by_key_config_selectorIjxN6thrust23THRUST_200600_302600_NS4plusIxEEEEZZNS1_33reduce_by_key_impl_wrapped_configILNS1_25lookback_scan_determinismE0ES3_S9_NS6_6detail15normal_iteratorINS6_10device_ptrIjEEEENSD_INSE_IxEEEENS6_16discard_iteratorINS6_11use_defaultEEESI_PmS8_NS6_8equal_toIjEEEE10hipError_tPvRmT2_T3_mT4_T5_T6_T7_T8_P12ihipStream_tbENKUlT_T0_E_clISt17integral_constantIbLb1EES15_IbLb0EEEEDaS11_S12_EUlS11_E_NS1_11comp_targetILNS1_3genE10ELNS1_11target_archE1201ELNS1_3gpuE5ELNS1_3repE0EEENS1_30default_config_static_selectorELNS0_4arch9wavefront6targetE0EEEvT1_
	.p2align	8
	.type	_ZN7rocprim17ROCPRIM_400000_NS6detail17trampoline_kernelINS0_14default_configENS1_29reduce_by_key_config_selectorIjxN6thrust23THRUST_200600_302600_NS4plusIxEEEEZZNS1_33reduce_by_key_impl_wrapped_configILNS1_25lookback_scan_determinismE0ES3_S9_NS6_6detail15normal_iteratorINS6_10device_ptrIjEEEENSD_INSE_IxEEEENS6_16discard_iteratorINS6_11use_defaultEEESI_PmS8_NS6_8equal_toIjEEEE10hipError_tPvRmT2_T3_mT4_T5_T6_T7_T8_P12ihipStream_tbENKUlT_T0_E_clISt17integral_constantIbLb1EES15_IbLb0EEEEDaS11_S12_EUlS11_E_NS1_11comp_targetILNS1_3genE10ELNS1_11target_archE1201ELNS1_3gpuE5ELNS1_3repE0EEENS1_30default_config_static_selectorELNS0_4arch9wavefront6targetE0EEEvT1_,@function
_ZN7rocprim17ROCPRIM_400000_NS6detail17trampoline_kernelINS0_14default_configENS1_29reduce_by_key_config_selectorIjxN6thrust23THRUST_200600_302600_NS4plusIxEEEEZZNS1_33reduce_by_key_impl_wrapped_configILNS1_25lookback_scan_determinismE0ES3_S9_NS6_6detail15normal_iteratorINS6_10device_ptrIjEEEENSD_INSE_IxEEEENS6_16discard_iteratorINS6_11use_defaultEEESI_PmS8_NS6_8equal_toIjEEEE10hipError_tPvRmT2_T3_mT4_T5_T6_T7_T8_P12ihipStream_tbENKUlT_T0_E_clISt17integral_constantIbLb1EES15_IbLb0EEEEDaS11_S12_EUlS11_E_NS1_11comp_targetILNS1_3genE10ELNS1_11target_archE1201ELNS1_3gpuE5ELNS1_3repE0EEENS1_30default_config_static_selectorELNS0_4arch9wavefront6targetE0EEEvT1_: ; @_ZN7rocprim17ROCPRIM_400000_NS6detail17trampoline_kernelINS0_14default_configENS1_29reduce_by_key_config_selectorIjxN6thrust23THRUST_200600_302600_NS4plusIxEEEEZZNS1_33reduce_by_key_impl_wrapped_configILNS1_25lookback_scan_determinismE0ES3_S9_NS6_6detail15normal_iteratorINS6_10device_ptrIjEEEENSD_INSE_IxEEEENS6_16discard_iteratorINS6_11use_defaultEEESI_PmS8_NS6_8equal_toIjEEEE10hipError_tPvRmT2_T3_mT4_T5_T6_T7_T8_P12ihipStream_tbENKUlT_T0_E_clISt17integral_constantIbLb1EES15_IbLb0EEEEDaS11_S12_EUlS11_E_NS1_11comp_targetILNS1_3genE10ELNS1_11target_archE1201ELNS1_3gpuE5ELNS1_3repE0EEENS1_30default_config_static_selectorELNS0_4arch9wavefront6targetE0EEEvT1_
; %bb.0:
	.section	.rodata,"a",@progbits
	.p2align	6, 0x0
	.amdhsa_kernel _ZN7rocprim17ROCPRIM_400000_NS6detail17trampoline_kernelINS0_14default_configENS1_29reduce_by_key_config_selectorIjxN6thrust23THRUST_200600_302600_NS4plusIxEEEEZZNS1_33reduce_by_key_impl_wrapped_configILNS1_25lookback_scan_determinismE0ES3_S9_NS6_6detail15normal_iteratorINS6_10device_ptrIjEEEENSD_INSE_IxEEEENS6_16discard_iteratorINS6_11use_defaultEEESI_PmS8_NS6_8equal_toIjEEEE10hipError_tPvRmT2_T3_mT4_T5_T6_T7_T8_P12ihipStream_tbENKUlT_T0_E_clISt17integral_constantIbLb1EES15_IbLb0EEEEDaS11_S12_EUlS11_E_NS1_11comp_targetILNS1_3genE10ELNS1_11target_archE1201ELNS1_3gpuE5ELNS1_3repE0EEENS1_30default_config_static_selectorELNS0_4arch9wavefront6targetE0EEEvT1_
		.amdhsa_group_segment_fixed_size 0
		.amdhsa_private_segment_fixed_size 0
		.amdhsa_kernarg_size 144
		.amdhsa_user_sgpr_count 15
		.amdhsa_user_sgpr_dispatch_ptr 0
		.amdhsa_user_sgpr_queue_ptr 0
		.amdhsa_user_sgpr_kernarg_segment_ptr 1
		.amdhsa_user_sgpr_dispatch_id 0
		.amdhsa_user_sgpr_private_segment_size 0
		.amdhsa_wavefront_size32 1
		.amdhsa_uses_dynamic_stack 0
		.amdhsa_enable_private_segment 0
		.amdhsa_system_sgpr_workgroup_id_x 1
		.amdhsa_system_sgpr_workgroup_id_y 0
		.amdhsa_system_sgpr_workgroup_id_z 0
		.amdhsa_system_sgpr_workgroup_info 0
		.amdhsa_system_vgpr_workitem_id 0
		.amdhsa_next_free_vgpr 1
		.amdhsa_next_free_sgpr 1
		.amdhsa_reserve_vcc 0
		.amdhsa_float_round_mode_32 0
		.amdhsa_float_round_mode_16_64 0
		.amdhsa_float_denorm_mode_32 3
		.amdhsa_float_denorm_mode_16_64 3
		.amdhsa_dx10_clamp 1
		.amdhsa_ieee_mode 1
		.amdhsa_fp16_overflow 0
		.amdhsa_workgroup_processor_mode 1
		.amdhsa_memory_ordered 1
		.amdhsa_forward_progress 0
		.amdhsa_shared_vgpr_count 0
		.amdhsa_exception_fp_ieee_invalid_op 0
		.amdhsa_exception_fp_denorm_src 0
		.amdhsa_exception_fp_ieee_div_zero 0
		.amdhsa_exception_fp_ieee_overflow 0
		.amdhsa_exception_fp_ieee_underflow 0
		.amdhsa_exception_fp_ieee_inexact 0
		.amdhsa_exception_int_div_zero 0
	.end_amdhsa_kernel
	.section	.text._ZN7rocprim17ROCPRIM_400000_NS6detail17trampoline_kernelINS0_14default_configENS1_29reduce_by_key_config_selectorIjxN6thrust23THRUST_200600_302600_NS4plusIxEEEEZZNS1_33reduce_by_key_impl_wrapped_configILNS1_25lookback_scan_determinismE0ES3_S9_NS6_6detail15normal_iteratorINS6_10device_ptrIjEEEENSD_INSE_IxEEEENS6_16discard_iteratorINS6_11use_defaultEEESI_PmS8_NS6_8equal_toIjEEEE10hipError_tPvRmT2_T3_mT4_T5_T6_T7_T8_P12ihipStream_tbENKUlT_T0_E_clISt17integral_constantIbLb1EES15_IbLb0EEEEDaS11_S12_EUlS11_E_NS1_11comp_targetILNS1_3genE10ELNS1_11target_archE1201ELNS1_3gpuE5ELNS1_3repE0EEENS1_30default_config_static_selectorELNS0_4arch9wavefront6targetE0EEEvT1_,"axG",@progbits,_ZN7rocprim17ROCPRIM_400000_NS6detail17trampoline_kernelINS0_14default_configENS1_29reduce_by_key_config_selectorIjxN6thrust23THRUST_200600_302600_NS4plusIxEEEEZZNS1_33reduce_by_key_impl_wrapped_configILNS1_25lookback_scan_determinismE0ES3_S9_NS6_6detail15normal_iteratorINS6_10device_ptrIjEEEENSD_INSE_IxEEEENS6_16discard_iteratorINS6_11use_defaultEEESI_PmS8_NS6_8equal_toIjEEEE10hipError_tPvRmT2_T3_mT4_T5_T6_T7_T8_P12ihipStream_tbENKUlT_T0_E_clISt17integral_constantIbLb1EES15_IbLb0EEEEDaS11_S12_EUlS11_E_NS1_11comp_targetILNS1_3genE10ELNS1_11target_archE1201ELNS1_3gpuE5ELNS1_3repE0EEENS1_30default_config_static_selectorELNS0_4arch9wavefront6targetE0EEEvT1_,comdat
.Lfunc_end1008:
	.size	_ZN7rocprim17ROCPRIM_400000_NS6detail17trampoline_kernelINS0_14default_configENS1_29reduce_by_key_config_selectorIjxN6thrust23THRUST_200600_302600_NS4plusIxEEEEZZNS1_33reduce_by_key_impl_wrapped_configILNS1_25lookback_scan_determinismE0ES3_S9_NS6_6detail15normal_iteratorINS6_10device_ptrIjEEEENSD_INSE_IxEEEENS6_16discard_iteratorINS6_11use_defaultEEESI_PmS8_NS6_8equal_toIjEEEE10hipError_tPvRmT2_T3_mT4_T5_T6_T7_T8_P12ihipStream_tbENKUlT_T0_E_clISt17integral_constantIbLb1EES15_IbLb0EEEEDaS11_S12_EUlS11_E_NS1_11comp_targetILNS1_3genE10ELNS1_11target_archE1201ELNS1_3gpuE5ELNS1_3repE0EEENS1_30default_config_static_selectorELNS0_4arch9wavefront6targetE0EEEvT1_, .Lfunc_end1008-_ZN7rocprim17ROCPRIM_400000_NS6detail17trampoline_kernelINS0_14default_configENS1_29reduce_by_key_config_selectorIjxN6thrust23THRUST_200600_302600_NS4plusIxEEEEZZNS1_33reduce_by_key_impl_wrapped_configILNS1_25lookback_scan_determinismE0ES3_S9_NS6_6detail15normal_iteratorINS6_10device_ptrIjEEEENSD_INSE_IxEEEENS6_16discard_iteratorINS6_11use_defaultEEESI_PmS8_NS6_8equal_toIjEEEE10hipError_tPvRmT2_T3_mT4_T5_T6_T7_T8_P12ihipStream_tbENKUlT_T0_E_clISt17integral_constantIbLb1EES15_IbLb0EEEEDaS11_S12_EUlS11_E_NS1_11comp_targetILNS1_3genE10ELNS1_11target_archE1201ELNS1_3gpuE5ELNS1_3repE0EEENS1_30default_config_static_selectorELNS0_4arch9wavefront6targetE0EEEvT1_
                                        ; -- End function
	.section	.AMDGPU.csdata,"",@progbits
; Kernel info:
; codeLenInByte = 0
; NumSgprs: 0
; NumVgprs: 0
; ScratchSize: 0
; MemoryBound: 0
; FloatMode: 240
; IeeeMode: 1
; LDSByteSize: 0 bytes/workgroup (compile time only)
; SGPRBlocks: 0
; VGPRBlocks: 0
; NumSGPRsForWavesPerEU: 1
; NumVGPRsForWavesPerEU: 1
; Occupancy: 16
; WaveLimiterHint : 0
; COMPUTE_PGM_RSRC2:SCRATCH_EN: 0
; COMPUTE_PGM_RSRC2:USER_SGPR: 15
; COMPUTE_PGM_RSRC2:TRAP_HANDLER: 0
; COMPUTE_PGM_RSRC2:TGID_X_EN: 1
; COMPUTE_PGM_RSRC2:TGID_Y_EN: 0
; COMPUTE_PGM_RSRC2:TGID_Z_EN: 0
; COMPUTE_PGM_RSRC2:TIDIG_COMP_CNT: 0
	.section	.text._ZN7rocprim17ROCPRIM_400000_NS6detail17trampoline_kernelINS0_14default_configENS1_29reduce_by_key_config_selectorIjxN6thrust23THRUST_200600_302600_NS4plusIxEEEEZZNS1_33reduce_by_key_impl_wrapped_configILNS1_25lookback_scan_determinismE0ES3_S9_NS6_6detail15normal_iteratorINS6_10device_ptrIjEEEENSD_INSE_IxEEEENS6_16discard_iteratorINS6_11use_defaultEEESI_PmS8_NS6_8equal_toIjEEEE10hipError_tPvRmT2_T3_mT4_T5_T6_T7_T8_P12ihipStream_tbENKUlT_T0_E_clISt17integral_constantIbLb1EES15_IbLb0EEEEDaS11_S12_EUlS11_E_NS1_11comp_targetILNS1_3genE10ELNS1_11target_archE1200ELNS1_3gpuE4ELNS1_3repE0EEENS1_30default_config_static_selectorELNS0_4arch9wavefront6targetE0EEEvT1_,"axG",@progbits,_ZN7rocprim17ROCPRIM_400000_NS6detail17trampoline_kernelINS0_14default_configENS1_29reduce_by_key_config_selectorIjxN6thrust23THRUST_200600_302600_NS4plusIxEEEEZZNS1_33reduce_by_key_impl_wrapped_configILNS1_25lookback_scan_determinismE0ES3_S9_NS6_6detail15normal_iteratorINS6_10device_ptrIjEEEENSD_INSE_IxEEEENS6_16discard_iteratorINS6_11use_defaultEEESI_PmS8_NS6_8equal_toIjEEEE10hipError_tPvRmT2_T3_mT4_T5_T6_T7_T8_P12ihipStream_tbENKUlT_T0_E_clISt17integral_constantIbLb1EES15_IbLb0EEEEDaS11_S12_EUlS11_E_NS1_11comp_targetILNS1_3genE10ELNS1_11target_archE1200ELNS1_3gpuE4ELNS1_3repE0EEENS1_30default_config_static_selectorELNS0_4arch9wavefront6targetE0EEEvT1_,comdat
	.protected	_ZN7rocprim17ROCPRIM_400000_NS6detail17trampoline_kernelINS0_14default_configENS1_29reduce_by_key_config_selectorIjxN6thrust23THRUST_200600_302600_NS4plusIxEEEEZZNS1_33reduce_by_key_impl_wrapped_configILNS1_25lookback_scan_determinismE0ES3_S9_NS6_6detail15normal_iteratorINS6_10device_ptrIjEEEENSD_INSE_IxEEEENS6_16discard_iteratorINS6_11use_defaultEEESI_PmS8_NS6_8equal_toIjEEEE10hipError_tPvRmT2_T3_mT4_T5_T6_T7_T8_P12ihipStream_tbENKUlT_T0_E_clISt17integral_constantIbLb1EES15_IbLb0EEEEDaS11_S12_EUlS11_E_NS1_11comp_targetILNS1_3genE10ELNS1_11target_archE1200ELNS1_3gpuE4ELNS1_3repE0EEENS1_30default_config_static_selectorELNS0_4arch9wavefront6targetE0EEEvT1_ ; -- Begin function _ZN7rocprim17ROCPRIM_400000_NS6detail17trampoline_kernelINS0_14default_configENS1_29reduce_by_key_config_selectorIjxN6thrust23THRUST_200600_302600_NS4plusIxEEEEZZNS1_33reduce_by_key_impl_wrapped_configILNS1_25lookback_scan_determinismE0ES3_S9_NS6_6detail15normal_iteratorINS6_10device_ptrIjEEEENSD_INSE_IxEEEENS6_16discard_iteratorINS6_11use_defaultEEESI_PmS8_NS6_8equal_toIjEEEE10hipError_tPvRmT2_T3_mT4_T5_T6_T7_T8_P12ihipStream_tbENKUlT_T0_E_clISt17integral_constantIbLb1EES15_IbLb0EEEEDaS11_S12_EUlS11_E_NS1_11comp_targetILNS1_3genE10ELNS1_11target_archE1200ELNS1_3gpuE4ELNS1_3repE0EEENS1_30default_config_static_selectorELNS0_4arch9wavefront6targetE0EEEvT1_
	.globl	_ZN7rocprim17ROCPRIM_400000_NS6detail17trampoline_kernelINS0_14default_configENS1_29reduce_by_key_config_selectorIjxN6thrust23THRUST_200600_302600_NS4plusIxEEEEZZNS1_33reduce_by_key_impl_wrapped_configILNS1_25lookback_scan_determinismE0ES3_S9_NS6_6detail15normal_iteratorINS6_10device_ptrIjEEEENSD_INSE_IxEEEENS6_16discard_iteratorINS6_11use_defaultEEESI_PmS8_NS6_8equal_toIjEEEE10hipError_tPvRmT2_T3_mT4_T5_T6_T7_T8_P12ihipStream_tbENKUlT_T0_E_clISt17integral_constantIbLb1EES15_IbLb0EEEEDaS11_S12_EUlS11_E_NS1_11comp_targetILNS1_3genE10ELNS1_11target_archE1200ELNS1_3gpuE4ELNS1_3repE0EEENS1_30default_config_static_selectorELNS0_4arch9wavefront6targetE0EEEvT1_
	.p2align	8
	.type	_ZN7rocprim17ROCPRIM_400000_NS6detail17trampoline_kernelINS0_14default_configENS1_29reduce_by_key_config_selectorIjxN6thrust23THRUST_200600_302600_NS4plusIxEEEEZZNS1_33reduce_by_key_impl_wrapped_configILNS1_25lookback_scan_determinismE0ES3_S9_NS6_6detail15normal_iteratorINS6_10device_ptrIjEEEENSD_INSE_IxEEEENS6_16discard_iteratorINS6_11use_defaultEEESI_PmS8_NS6_8equal_toIjEEEE10hipError_tPvRmT2_T3_mT4_T5_T6_T7_T8_P12ihipStream_tbENKUlT_T0_E_clISt17integral_constantIbLb1EES15_IbLb0EEEEDaS11_S12_EUlS11_E_NS1_11comp_targetILNS1_3genE10ELNS1_11target_archE1200ELNS1_3gpuE4ELNS1_3repE0EEENS1_30default_config_static_selectorELNS0_4arch9wavefront6targetE0EEEvT1_,@function
_ZN7rocprim17ROCPRIM_400000_NS6detail17trampoline_kernelINS0_14default_configENS1_29reduce_by_key_config_selectorIjxN6thrust23THRUST_200600_302600_NS4plusIxEEEEZZNS1_33reduce_by_key_impl_wrapped_configILNS1_25lookback_scan_determinismE0ES3_S9_NS6_6detail15normal_iteratorINS6_10device_ptrIjEEEENSD_INSE_IxEEEENS6_16discard_iteratorINS6_11use_defaultEEESI_PmS8_NS6_8equal_toIjEEEE10hipError_tPvRmT2_T3_mT4_T5_T6_T7_T8_P12ihipStream_tbENKUlT_T0_E_clISt17integral_constantIbLb1EES15_IbLb0EEEEDaS11_S12_EUlS11_E_NS1_11comp_targetILNS1_3genE10ELNS1_11target_archE1200ELNS1_3gpuE4ELNS1_3repE0EEENS1_30default_config_static_selectorELNS0_4arch9wavefront6targetE0EEEvT1_: ; @_ZN7rocprim17ROCPRIM_400000_NS6detail17trampoline_kernelINS0_14default_configENS1_29reduce_by_key_config_selectorIjxN6thrust23THRUST_200600_302600_NS4plusIxEEEEZZNS1_33reduce_by_key_impl_wrapped_configILNS1_25lookback_scan_determinismE0ES3_S9_NS6_6detail15normal_iteratorINS6_10device_ptrIjEEEENSD_INSE_IxEEEENS6_16discard_iteratorINS6_11use_defaultEEESI_PmS8_NS6_8equal_toIjEEEE10hipError_tPvRmT2_T3_mT4_T5_T6_T7_T8_P12ihipStream_tbENKUlT_T0_E_clISt17integral_constantIbLb1EES15_IbLb0EEEEDaS11_S12_EUlS11_E_NS1_11comp_targetILNS1_3genE10ELNS1_11target_archE1200ELNS1_3gpuE4ELNS1_3repE0EEENS1_30default_config_static_selectorELNS0_4arch9wavefront6targetE0EEEvT1_
; %bb.0:
	.section	.rodata,"a",@progbits
	.p2align	6, 0x0
	.amdhsa_kernel _ZN7rocprim17ROCPRIM_400000_NS6detail17trampoline_kernelINS0_14default_configENS1_29reduce_by_key_config_selectorIjxN6thrust23THRUST_200600_302600_NS4plusIxEEEEZZNS1_33reduce_by_key_impl_wrapped_configILNS1_25lookback_scan_determinismE0ES3_S9_NS6_6detail15normal_iteratorINS6_10device_ptrIjEEEENSD_INSE_IxEEEENS6_16discard_iteratorINS6_11use_defaultEEESI_PmS8_NS6_8equal_toIjEEEE10hipError_tPvRmT2_T3_mT4_T5_T6_T7_T8_P12ihipStream_tbENKUlT_T0_E_clISt17integral_constantIbLb1EES15_IbLb0EEEEDaS11_S12_EUlS11_E_NS1_11comp_targetILNS1_3genE10ELNS1_11target_archE1200ELNS1_3gpuE4ELNS1_3repE0EEENS1_30default_config_static_selectorELNS0_4arch9wavefront6targetE0EEEvT1_
		.amdhsa_group_segment_fixed_size 0
		.amdhsa_private_segment_fixed_size 0
		.amdhsa_kernarg_size 144
		.amdhsa_user_sgpr_count 15
		.amdhsa_user_sgpr_dispatch_ptr 0
		.amdhsa_user_sgpr_queue_ptr 0
		.amdhsa_user_sgpr_kernarg_segment_ptr 1
		.amdhsa_user_sgpr_dispatch_id 0
		.amdhsa_user_sgpr_private_segment_size 0
		.amdhsa_wavefront_size32 1
		.amdhsa_uses_dynamic_stack 0
		.amdhsa_enable_private_segment 0
		.amdhsa_system_sgpr_workgroup_id_x 1
		.amdhsa_system_sgpr_workgroup_id_y 0
		.amdhsa_system_sgpr_workgroup_id_z 0
		.amdhsa_system_sgpr_workgroup_info 0
		.amdhsa_system_vgpr_workitem_id 0
		.amdhsa_next_free_vgpr 1
		.amdhsa_next_free_sgpr 1
		.amdhsa_reserve_vcc 0
		.amdhsa_float_round_mode_32 0
		.amdhsa_float_round_mode_16_64 0
		.amdhsa_float_denorm_mode_32 3
		.amdhsa_float_denorm_mode_16_64 3
		.amdhsa_dx10_clamp 1
		.amdhsa_ieee_mode 1
		.amdhsa_fp16_overflow 0
		.amdhsa_workgroup_processor_mode 1
		.amdhsa_memory_ordered 1
		.amdhsa_forward_progress 0
		.amdhsa_shared_vgpr_count 0
		.amdhsa_exception_fp_ieee_invalid_op 0
		.amdhsa_exception_fp_denorm_src 0
		.amdhsa_exception_fp_ieee_div_zero 0
		.amdhsa_exception_fp_ieee_overflow 0
		.amdhsa_exception_fp_ieee_underflow 0
		.amdhsa_exception_fp_ieee_inexact 0
		.amdhsa_exception_int_div_zero 0
	.end_amdhsa_kernel
	.section	.text._ZN7rocprim17ROCPRIM_400000_NS6detail17trampoline_kernelINS0_14default_configENS1_29reduce_by_key_config_selectorIjxN6thrust23THRUST_200600_302600_NS4plusIxEEEEZZNS1_33reduce_by_key_impl_wrapped_configILNS1_25lookback_scan_determinismE0ES3_S9_NS6_6detail15normal_iteratorINS6_10device_ptrIjEEEENSD_INSE_IxEEEENS6_16discard_iteratorINS6_11use_defaultEEESI_PmS8_NS6_8equal_toIjEEEE10hipError_tPvRmT2_T3_mT4_T5_T6_T7_T8_P12ihipStream_tbENKUlT_T0_E_clISt17integral_constantIbLb1EES15_IbLb0EEEEDaS11_S12_EUlS11_E_NS1_11comp_targetILNS1_3genE10ELNS1_11target_archE1200ELNS1_3gpuE4ELNS1_3repE0EEENS1_30default_config_static_selectorELNS0_4arch9wavefront6targetE0EEEvT1_,"axG",@progbits,_ZN7rocprim17ROCPRIM_400000_NS6detail17trampoline_kernelINS0_14default_configENS1_29reduce_by_key_config_selectorIjxN6thrust23THRUST_200600_302600_NS4plusIxEEEEZZNS1_33reduce_by_key_impl_wrapped_configILNS1_25lookback_scan_determinismE0ES3_S9_NS6_6detail15normal_iteratorINS6_10device_ptrIjEEEENSD_INSE_IxEEEENS6_16discard_iteratorINS6_11use_defaultEEESI_PmS8_NS6_8equal_toIjEEEE10hipError_tPvRmT2_T3_mT4_T5_T6_T7_T8_P12ihipStream_tbENKUlT_T0_E_clISt17integral_constantIbLb1EES15_IbLb0EEEEDaS11_S12_EUlS11_E_NS1_11comp_targetILNS1_3genE10ELNS1_11target_archE1200ELNS1_3gpuE4ELNS1_3repE0EEENS1_30default_config_static_selectorELNS0_4arch9wavefront6targetE0EEEvT1_,comdat
.Lfunc_end1009:
	.size	_ZN7rocprim17ROCPRIM_400000_NS6detail17trampoline_kernelINS0_14default_configENS1_29reduce_by_key_config_selectorIjxN6thrust23THRUST_200600_302600_NS4plusIxEEEEZZNS1_33reduce_by_key_impl_wrapped_configILNS1_25lookback_scan_determinismE0ES3_S9_NS6_6detail15normal_iteratorINS6_10device_ptrIjEEEENSD_INSE_IxEEEENS6_16discard_iteratorINS6_11use_defaultEEESI_PmS8_NS6_8equal_toIjEEEE10hipError_tPvRmT2_T3_mT4_T5_T6_T7_T8_P12ihipStream_tbENKUlT_T0_E_clISt17integral_constantIbLb1EES15_IbLb0EEEEDaS11_S12_EUlS11_E_NS1_11comp_targetILNS1_3genE10ELNS1_11target_archE1200ELNS1_3gpuE4ELNS1_3repE0EEENS1_30default_config_static_selectorELNS0_4arch9wavefront6targetE0EEEvT1_, .Lfunc_end1009-_ZN7rocprim17ROCPRIM_400000_NS6detail17trampoline_kernelINS0_14default_configENS1_29reduce_by_key_config_selectorIjxN6thrust23THRUST_200600_302600_NS4plusIxEEEEZZNS1_33reduce_by_key_impl_wrapped_configILNS1_25lookback_scan_determinismE0ES3_S9_NS6_6detail15normal_iteratorINS6_10device_ptrIjEEEENSD_INSE_IxEEEENS6_16discard_iteratorINS6_11use_defaultEEESI_PmS8_NS6_8equal_toIjEEEE10hipError_tPvRmT2_T3_mT4_T5_T6_T7_T8_P12ihipStream_tbENKUlT_T0_E_clISt17integral_constantIbLb1EES15_IbLb0EEEEDaS11_S12_EUlS11_E_NS1_11comp_targetILNS1_3genE10ELNS1_11target_archE1200ELNS1_3gpuE4ELNS1_3repE0EEENS1_30default_config_static_selectorELNS0_4arch9wavefront6targetE0EEEvT1_
                                        ; -- End function
	.section	.AMDGPU.csdata,"",@progbits
; Kernel info:
; codeLenInByte = 0
; NumSgprs: 0
; NumVgprs: 0
; ScratchSize: 0
; MemoryBound: 0
; FloatMode: 240
; IeeeMode: 1
; LDSByteSize: 0 bytes/workgroup (compile time only)
; SGPRBlocks: 0
; VGPRBlocks: 0
; NumSGPRsForWavesPerEU: 1
; NumVGPRsForWavesPerEU: 1
; Occupancy: 16
; WaveLimiterHint : 0
; COMPUTE_PGM_RSRC2:SCRATCH_EN: 0
; COMPUTE_PGM_RSRC2:USER_SGPR: 15
; COMPUTE_PGM_RSRC2:TRAP_HANDLER: 0
; COMPUTE_PGM_RSRC2:TGID_X_EN: 1
; COMPUTE_PGM_RSRC2:TGID_Y_EN: 0
; COMPUTE_PGM_RSRC2:TGID_Z_EN: 0
; COMPUTE_PGM_RSRC2:TIDIG_COMP_CNT: 0
	.section	.text._ZN7rocprim17ROCPRIM_400000_NS6detail17trampoline_kernelINS0_14default_configENS1_29reduce_by_key_config_selectorIjxN6thrust23THRUST_200600_302600_NS4plusIxEEEEZZNS1_33reduce_by_key_impl_wrapped_configILNS1_25lookback_scan_determinismE0ES3_S9_NS6_6detail15normal_iteratorINS6_10device_ptrIjEEEENSD_INSE_IxEEEENS6_16discard_iteratorINS6_11use_defaultEEESI_PmS8_NS6_8equal_toIjEEEE10hipError_tPvRmT2_T3_mT4_T5_T6_T7_T8_P12ihipStream_tbENKUlT_T0_E_clISt17integral_constantIbLb1EES15_IbLb0EEEEDaS11_S12_EUlS11_E_NS1_11comp_targetILNS1_3genE9ELNS1_11target_archE1100ELNS1_3gpuE3ELNS1_3repE0EEENS1_30default_config_static_selectorELNS0_4arch9wavefront6targetE0EEEvT1_,"axG",@progbits,_ZN7rocprim17ROCPRIM_400000_NS6detail17trampoline_kernelINS0_14default_configENS1_29reduce_by_key_config_selectorIjxN6thrust23THRUST_200600_302600_NS4plusIxEEEEZZNS1_33reduce_by_key_impl_wrapped_configILNS1_25lookback_scan_determinismE0ES3_S9_NS6_6detail15normal_iteratorINS6_10device_ptrIjEEEENSD_INSE_IxEEEENS6_16discard_iteratorINS6_11use_defaultEEESI_PmS8_NS6_8equal_toIjEEEE10hipError_tPvRmT2_T3_mT4_T5_T6_T7_T8_P12ihipStream_tbENKUlT_T0_E_clISt17integral_constantIbLb1EES15_IbLb0EEEEDaS11_S12_EUlS11_E_NS1_11comp_targetILNS1_3genE9ELNS1_11target_archE1100ELNS1_3gpuE3ELNS1_3repE0EEENS1_30default_config_static_selectorELNS0_4arch9wavefront6targetE0EEEvT1_,comdat
	.protected	_ZN7rocprim17ROCPRIM_400000_NS6detail17trampoline_kernelINS0_14default_configENS1_29reduce_by_key_config_selectorIjxN6thrust23THRUST_200600_302600_NS4plusIxEEEEZZNS1_33reduce_by_key_impl_wrapped_configILNS1_25lookback_scan_determinismE0ES3_S9_NS6_6detail15normal_iteratorINS6_10device_ptrIjEEEENSD_INSE_IxEEEENS6_16discard_iteratorINS6_11use_defaultEEESI_PmS8_NS6_8equal_toIjEEEE10hipError_tPvRmT2_T3_mT4_T5_T6_T7_T8_P12ihipStream_tbENKUlT_T0_E_clISt17integral_constantIbLb1EES15_IbLb0EEEEDaS11_S12_EUlS11_E_NS1_11comp_targetILNS1_3genE9ELNS1_11target_archE1100ELNS1_3gpuE3ELNS1_3repE0EEENS1_30default_config_static_selectorELNS0_4arch9wavefront6targetE0EEEvT1_ ; -- Begin function _ZN7rocprim17ROCPRIM_400000_NS6detail17trampoline_kernelINS0_14default_configENS1_29reduce_by_key_config_selectorIjxN6thrust23THRUST_200600_302600_NS4plusIxEEEEZZNS1_33reduce_by_key_impl_wrapped_configILNS1_25lookback_scan_determinismE0ES3_S9_NS6_6detail15normal_iteratorINS6_10device_ptrIjEEEENSD_INSE_IxEEEENS6_16discard_iteratorINS6_11use_defaultEEESI_PmS8_NS6_8equal_toIjEEEE10hipError_tPvRmT2_T3_mT4_T5_T6_T7_T8_P12ihipStream_tbENKUlT_T0_E_clISt17integral_constantIbLb1EES15_IbLb0EEEEDaS11_S12_EUlS11_E_NS1_11comp_targetILNS1_3genE9ELNS1_11target_archE1100ELNS1_3gpuE3ELNS1_3repE0EEENS1_30default_config_static_selectorELNS0_4arch9wavefront6targetE0EEEvT1_
	.globl	_ZN7rocprim17ROCPRIM_400000_NS6detail17trampoline_kernelINS0_14default_configENS1_29reduce_by_key_config_selectorIjxN6thrust23THRUST_200600_302600_NS4plusIxEEEEZZNS1_33reduce_by_key_impl_wrapped_configILNS1_25lookback_scan_determinismE0ES3_S9_NS6_6detail15normal_iteratorINS6_10device_ptrIjEEEENSD_INSE_IxEEEENS6_16discard_iteratorINS6_11use_defaultEEESI_PmS8_NS6_8equal_toIjEEEE10hipError_tPvRmT2_T3_mT4_T5_T6_T7_T8_P12ihipStream_tbENKUlT_T0_E_clISt17integral_constantIbLb1EES15_IbLb0EEEEDaS11_S12_EUlS11_E_NS1_11comp_targetILNS1_3genE9ELNS1_11target_archE1100ELNS1_3gpuE3ELNS1_3repE0EEENS1_30default_config_static_selectorELNS0_4arch9wavefront6targetE0EEEvT1_
	.p2align	8
	.type	_ZN7rocprim17ROCPRIM_400000_NS6detail17trampoline_kernelINS0_14default_configENS1_29reduce_by_key_config_selectorIjxN6thrust23THRUST_200600_302600_NS4plusIxEEEEZZNS1_33reduce_by_key_impl_wrapped_configILNS1_25lookback_scan_determinismE0ES3_S9_NS6_6detail15normal_iteratorINS6_10device_ptrIjEEEENSD_INSE_IxEEEENS6_16discard_iteratorINS6_11use_defaultEEESI_PmS8_NS6_8equal_toIjEEEE10hipError_tPvRmT2_T3_mT4_T5_T6_T7_T8_P12ihipStream_tbENKUlT_T0_E_clISt17integral_constantIbLb1EES15_IbLb0EEEEDaS11_S12_EUlS11_E_NS1_11comp_targetILNS1_3genE9ELNS1_11target_archE1100ELNS1_3gpuE3ELNS1_3repE0EEENS1_30default_config_static_selectorELNS0_4arch9wavefront6targetE0EEEvT1_,@function
_ZN7rocprim17ROCPRIM_400000_NS6detail17trampoline_kernelINS0_14default_configENS1_29reduce_by_key_config_selectorIjxN6thrust23THRUST_200600_302600_NS4plusIxEEEEZZNS1_33reduce_by_key_impl_wrapped_configILNS1_25lookback_scan_determinismE0ES3_S9_NS6_6detail15normal_iteratorINS6_10device_ptrIjEEEENSD_INSE_IxEEEENS6_16discard_iteratorINS6_11use_defaultEEESI_PmS8_NS6_8equal_toIjEEEE10hipError_tPvRmT2_T3_mT4_T5_T6_T7_T8_P12ihipStream_tbENKUlT_T0_E_clISt17integral_constantIbLb1EES15_IbLb0EEEEDaS11_S12_EUlS11_E_NS1_11comp_targetILNS1_3genE9ELNS1_11target_archE1100ELNS1_3gpuE3ELNS1_3repE0EEENS1_30default_config_static_selectorELNS0_4arch9wavefront6targetE0EEEvT1_: ; @_ZN7rocprim17ROCPRIM_400000_NS6detail17trampoline_kernelINS0_14default_configENS1_29reduce_by_key_config_selectorIjxN6thrust23THRUST_200600_302600_NS4plusIxEEEEZZNS1_33reduce_by_key_impl_wrapped_configILNS1_25lookback_scan_determinismE0ES3_S9_NS6_6detail15normal_iteratorINS6_10device_ptrIjEEEENSD_INSE_IxEEEENS6_16discard_iteratorINS6_11use_defaultEEESI_PmS8_NS6_8equal_toIjEEEE10hipError_tPvRmT2_T3_mT4_T5_T6_T7_T8_P12ihipStream_tbENKUlT_T0_E_clISt17integral_constantIbLb1EES15_IbLb0EEEEDaS11_S12_EUlS11_E_NS1_11comp_targetILNS1_3genE9ELNS1_11target_archE1100ELNS1_3gpuE3ELNS1_3repE0EEENS1_30default_config_static_selectorELNS0_4arch9wavefront6targetE0EEEvT1_
; %bb.0:
	s_clause 0x2
	s_load_b128 s[4:7], s[0:1], 0x0
	s_load_b512 s[36:51], s[0:1], 0x40
	s_load_b64 s[8:9], s[0:1], 0x10
	s_mov_b32 s3, 0
	s_mul_i32 s2, s15, 0xf00
	s_waitcnt lgkmcnt(0)
	s_lshl_b64 s[10:11], s[6:7], 2
	s_mul_i32 s12, s44, s43
	s_add_u32 s10, s4, s10
	s_addc_u32 s11, s5, s11
	s_lshl_b64 s[4:5], s[6:7], 3
	s_mul_hi_u32 s13, s44, s42
	s_add_u32 s7, s8, s4
	s_mul_i32 s6, s45, s42
	s_addc_u32 s8, s9, s5
	s_add_i32 s9, s13, s12
	s_lshl_b64 s[4:5], s[2:3], 2
	s_add_i32 s9, s9, s6
	s_add_u32 s20, s10, s4
	s_addc_u32 s17, s11, s5
	s_lshl_b64 s[4:5], s[2:3], 3
	s_mul_i32 s2, s44, s42
	s_add_u32 s22, s7, s4
	s_addc_u32 s24, s8, s5
	s_add_u32 s18, s2, s15
	s_addc_u32 s19, s9, 0
	s_add_u32 s4, s46, -1
	s_addc_u32 s5, s47, -1
	s_mul_i32 s33, s4, 0xfffff100
	s_cmp_eq_u64 s[18:19], s[4:5]
	s_cselect_b32 s23, -1, 0
	s_cmp_lg_u64 s[18:19], s[4:5]
	s_cselect_b32 s21, -1, 0
	s_and_b32 vcc_lo, exec_lo, s23
	s_cbranch_vccnz .LBB1010_2
; %bb.1:
	v_lshlrev_b32_e32 v5, 2, v0
	v_mul_u32_u24_e32 v47, 15, v0
	v_mad_u32_u24 v58, v0, 15, 1
	v_mad_u32_u24 v53, v0, 15, 2
	;; [unrolled: 1-line block ×3, first 2 shown]
	v_add_co_u32 v1, s2, s20, v5
	s_delay_alu instid0(VALU_DEP_1) | instskip(SKIP_1) | instid1(VALU_DEP_3)
	v_add_co_ci_u32_e64 v2, null, s17, 0, s2
	v_mad_u32_u24 v45, v0, 56, v5
	v_add_co_u32 v3, vcc_lo, 0x1000, v1
	s_delay_alu instid0(VALU_DEP_3)
	v_add_co_ci_u32_e32 v4, vcc_lo, 0, v2, vcc_lo
	s_clause 0x7
	flat_load_b32 v6, v[1:2]
	flat_load_b32 v7, v[1:2] offset:1024
	flat_load_b32 v8, v[1:2] offset:2048
	;; [unrolled: 1-line block ×3, first 2 shown]
	flat_load_b32 v10, v[3:4]
	flat_load_b32 v11, v[3:4] offset:1024
	flat_load_b32 v12, v[3:4] offset:2048
	;; [unrolled: 1-line block ×3, first 2 shown]
	v_add_co_u32 v3, vcc_lo, 0x2000, v1
	v_add_co_ci_u32_e32 v4, vcc_lo, 0, v2, vcc_lo
	v_add_co_u32 v1, vcc_lo, 0x3000, v1
	v_add_co_ci_u32_e32 v2, vcc_lo, 0, v2, vcc_lo
	s_clause 0x6
	flat_load_b32 v14, v[3:4]
	flat_load_b32 v31, v[3:4] offset:1024
	flat_load_b32 v32, v[3:4] offset:2048
	;; [unrolled: 1-line block ×3, first 2 shown]
	flat_load_b32 v4, v[1:2]
	flat_load_b32 v33, v[1:2] offset:1024
	flat_load_b32 v1, v[1:2] offset:2048
	v_lshlrev_b32_e32 v2, 3, v0
	v_mad_u32_u24 v52, v0, 15, 4
	v_mad_u32_u24 v56, v0, 15, 5
	;; [unrolled: 1-line block ×4, first 2 shown]
	v_add_co_u32 v15, s2, s22, v2
	s_delay_alu instid0(VALU_DEP_1) | instskip(SKIP_1) | instid1(VALU_DEP_3)
	v_add_co_ci_u32_e64 v16, null, s24, 0, s2
	v_mad_u32_u24 v48, v0, 15, 8
	v_add_co_u32 v17, vcc_lo, 0x1000, v15
	s_delay_alu instid0(VALU_DEP_3)
	v_add_co_ci_u32_e32 v18, vcc_lo, 0, v16, vcc_lo
	v_add_co_u32 v19, vcc_lo, 0x2000, v15
	v_add_co_ci_u32_e32 v20, vcc_lo, 0, v16, vcc_lo
	v_add_co_u32 v21, vcc_lo, 0x3000, v15
	v_add_co_ci_u32_e32 v22, vcc_lo, 0, v16, vcc_lo
	v_add_co_u32 v23, vcc_lo, 0x4000, v15
	v_add_co_ci_u32_e32 v24, vcc_lo, 0, v16, vcc_lo
	v_add_co_u32 v25, vcc_lo, 0x5000, v15
	v_add_co_ci_u32_e32 v26, vcc_lo, 0, v16, vcc_lo
	v_add_co_u32 v27, vcc_lo, 0x6000, v15
	v_add_co_ci_u32_e32 v28, vcc_lo, 0, v16, vcc_lo
	v_add_co_u32 v29, vcc_lo, 0x7000, v15
	v_add_co_ci_u32_e32 v30, vcc_lo, 0, v16, vcc_lo
	v_mad_u32_u24 v49, v0, 15, 9
	v_mad_u32_u24 v46, v0, 15, 10
	v_mad_i32_i24 v60, 0xffffffcc, v0, v45
	v_mad_u32_u24 v59, v0, 15, 11
	v_mad_u32_u24 v54, v0, 15, 12
	;; [unrolled: 1-line block ×3, first 2 shown]
	s_waitcnt vmcnt(13) lgkmcnt(13)
	ds_store_2addr_stride64_b32 v5, v6, v7 offset1:4
	s_waitcnt vmcnt(11) lgkmcnt(12)
	ds_store_2addr_stride64_b32 v5, v8, v9 offset0:8 offset1:12
	s_waitcnt vmcnt(9) lgkmcnt(11)
	ds_store_2addr_stride64_b32 v5, v10, v11 offset0:16 offset1:20
	;; [unrolled: 2-line block ×6, first 2 shown]
	s_waitcnt vmcnt(0) lgkmcnt(7)
	ds_store_b32 v5, v1 offset:14336
	s_waitcnt lgkmcnt(0)
	s_barrier
	buffer_gl0_inv
	ds_load_2addr_b32 v[13:14], v45 offset1:1
	ds_load_2addr_b32 v[11:12], v45 offset0:2 offset1:3
	ds_load_2addr_b32 v[9:10], v45 offset0:4 offset1:5
	;; [unrolled: 1-line block ×6, first 2 shown]
	ds_load_b32 v81, v45 offset:56
	s_waitcnt lgkmcnt(0)
	s_barrier
	buffer_gl0_inv
	s_clause 0xe
	flat_load_b64 v[31:32], v[15:16]
	flat_load_b64 v[15:16], v[15:16] offset:2048
	flat_load_b64 v[33:34], v[17:18]
	flat_load_b64 v[17:18], v[17:18] offset:2048
	;; [unrolled: 2-line block ×7, first 2 shown]
	flat_load_b64 v[29:30], v[29:30]
	v_mad_u32_u24 v45, v0, 15, 14
	s_waitcnt vmcnt(13) lgkmcnt(13)
	ds_store_2addr_stride64_b64 v60, v[31:32], v[15:16] offset1:4
	s_waitcnt vmcnt(11) lgkmcnt(12)
	ds_store_2addr_stride64_b64 v60, v[33:34], v[17:18] offset0:8 offset1:12
	s_waitcnt vmcnt(9) lgkmcnt(11)
	ds_store_2addr_stride64_b64 v60, v[35:36], v[19:20] offset0:16 offset1:20
	;; [unrolled: 2-line block ×6, first 2 shown]
	s_waitcnt vmcnt(0) lgkmcnt(7)
	ds_store_b64 v60, v[29:30] offset:28672
	s_waitcnt lgkmcnt(0)
	s_barrier
	s_load_b64 s[28:29], s[0:1], 0x80
	s_and_not1_b32 vcc_lo, exec_lo, s3
	s_add_i32 s33, s33, s48
	s_cbranch_vccz .LBB1010_3
	s_branch .LBB1010_64
.LBB1010_2:
                                        ; implicit-def: $vgpr45
                                        ; implicit-def: $vgpr50
                                        ; implicit-def: $vgpr54
                                        ; implicit-def: $vgpr59
                                        ; implicit-def: $vgpr46
                                        ; implicit-def: $vgpr49
                                        ; implicit-def: $vgpr48
                                        ; implicit-def: $vgpr55
                                        ; implicit-def: $vgpr51
                                        ; implicit-def: $vgpr56
                                        ; implicit-def: $vgpr52
                                        ; implicit-def: $vgpr57
                                        ; implicit-def: $vgpr53
                                        ; implicit-def: $vgpr58
                                        ; implicit-def: $vgpr47
                                        ; implicit-def: $vgpr13
                                        ; implicit-def: $vgpr11
                                        ; implicit-def: $vgpr9
                                        ; implicit-def: $vgpr7
                                        ; implicit-def: $vgpr5
                                        ; implicit-def: $vgpr3
                                        ; implicit-def: $vgpr1
                                        ; implicit-def: $vgpr81
	s_load_b64 s[28:29], s[0:1], 0x80
	s_add_i32 s33, s33, s48
.LBB1010_3:
	s_delay_alu instid0(SALU_CYCLE_1)
	v_cmp_gt_u32_e32 vcc_lo, s33, v0
                                        ; implicit-def: $vgpr1
	s_and_saveexec_b32 s2, vcc_lo
	s_cbranch_execz .LBB1010_5
; %bb.4:
	v_lshlrev_b32_e32 v1, 2, v0
	s_delay_alu instid0(VALU_DEP_1) | instskip(NEXT) | instid1(VALU_DEP_1)
	v_add_co_u32 v1, s3, s20, v1
	v_add_co_ci_u32_e64 v2, null, s17, 0, s3
	flat_load_b32 v1, v[1:2]
.LBB1010_5:
	s_or_b32 exec_lo, exec_lo, s2
	v_or_b32_e32 v2, 0x100, v0
	s_delay_alu instid0(VALU_DEP_1) | instskip(NEXT) | instid1(VALU_DEP_1)
	v_cmp_gt_u32_e64 s2, s33, v2
                                        ; implicit-def: $vgpr2
	s_and_saveexec_b32 s3, s2
	s_cbranch_execz .LBB1010_7
; %bb.6:
	v_lshlrev_b32_e32 v2, 2, v0
	s_delay_alu instid0(VALU_DEP_1) | instskip(NEXT) | instid1(VALU_DEP_1)
	v_add_co_u32 v2, s4, s20, v2
	v_add_co_ci_u32_e64 v3, null, s17, 0, s4
	flat_load_b32 v2, v[2:3] offset:1024
.LBB1010_7:
	s_or_b32 exec_lo, exec_lo, s3
	v_or_b32_e32 v21, 0x200, v0
                                        ; implicit-def: $vgpr3
	s_delay_alu instid0(VALU_DEP_1) | instskip(NEXT) | instid1(VALU_DEP_1)
	v_cmp_gt_u32_e64 s3, s33, v21
	s_and_saveexec_b32 s4, s3
	s_cbranch_execz .LBB1010_9
; %bb.8:
	v_lshlrev_b32_e32 v3, 2, v0
	s_delay_alu instid0(VALU_DEP_1) | instskip(NEXT) | instid1(VALU_DEP_1)
	v_add_co_u32 v3, s5, s20, v3
	v_add_co_ci_u32_e64 v4, null, s17, 0, s5
	flat_load_b32 v3, v[3:4] offset:2048
.LBB1010_9:
	s_or_b32 exec_lo, exec_lo, s4
	v_or_b32_e32 v23, 0x300, v0
                                        ; implicit-def: $vgpr4
	s_delay_alu instid0(VALU_DEP_1) | instskip(NEXT) | instid1(VALU_DEP_1)
	v_cmp_gt_u32_e64 s4, s33, v23
	s_and_saveexec_b32 s5, s4
	s_cbranch_execz .LBB1010_11
; %bb.10:
	v_lshlrev_b32_e32 v4, 2, v0
	s_delay_alu instid0(VALU_DEP_1) | instskip(NEXT) | instid1(VALU_DEP_1)
	v_add_co_u32 v4, s6, s20, v4
	v_add_co_ci_u32_e64 v5, null, s17, 0, s6
	flat_load_b32 v4, v[4:5] offset:3072
.LBB1010_11:
	s_or_b32 exec_lo, exec_lo, s5
	v_or_b32_e32 v25, 0x400, v0
                                        ; implicit-def: $vgpr5
	s_delay_alu instid0(VALU_DEP_1) | instskip(NEXT) | instid1(VALU_DEP_1)
	v_cmp_gt_u32_e64 s5, s33, v25
	s_and_saveexec_b32 s6, s5
	s_cbranch_execz .LBB1010_13
; %bb.12:
	v_lshlrev_b32_e32 v5, 2, v25
	s_delay_alu instid0(VALU_DEP_1) | instskip(NEXT) | instid1(VALU_DEP_1)
	v_add_co_u32 v5, s7, s20, v5
	v_add_co_ci_u32_e64 v6, null, s17, 0, s7
	flat_load_b32 v5, v[5:6]
.LBB1010_13:
	s_or_b32 exec_lo, exec_lo, s6
	v_or_b32_e32 v27, 0x500, v0
                                        ; implicit-def: $vgpr6
	s_delay_alu instid0(VALU_DEP_1) | instskip(NEXT) | instid1(VALU_DEP_1)
	v_cmp_gt_u32_e64 s6, s33, v27
	s_and_saveexec_b32 s7, s6
	s_cbranch_execz .LBB1010_15
; %bb.14:
	v_lshlrev_b32_e32 v6, 2, v27
	s_delay_alu instid0(VALU_DEP_1) | instskip(NEXT) | instid1(VALU_DEP_1)
	v_add_co_u32 v6, s8, s20, v6
	v_add_co_ci_u32_e64 v7, null, s17, 0, s8
	flat_load_b32 v6, v[6:7]
.LBB1010_15:
	s_or_b32 exec_lo, exec_lo, s7
	v_or_b32_e32 v29, 0x600, v0
                                        ; implicit-def: $vgpr7
	s_delay_alu instid0(VALU_DEP_1) | instskip(NEXT) | instid1(VALU_DEP_1)
	v_cmp_gt_u32_e64 s7, s33, v29
	s_and_saveexec_b32 s8, s7
	s_cbranch_execz .LBB1010_17
; %bb.16:
	v_lshlrev_b32_e32 v7, 2, v29
	s_delay_alu instid0(VALU_DEP_1) | instskip(NEXT) | instid1(VALU_DEP_1)
	v_add_co_u32 v7, s9, s20, v7
	v_add_co_ci_u32_e64 v8, null, s17, 0, s9
	flat_load_b32 v7, v[7:8]
.LBB1010_17:
	s_or_b32 exec_lo, exec_lo, s8
	v_or_b32_e32 v31, 0x700, v0
                                        ; implicit-def: $vgpr8
	s_delay_alu instid0(VALU_DEP_1) | instskip(NEXT) | instid1(VALU_DEP_1)
	v_cmp_gt_u32_e64 s8, s33, v31
	s_and_saveexec_b32 s9, s8
	s_cbranch_execz .LBB1010_19
; %bb.18:
	v_lshlrev_b32_e32 v8, 2, v31
	s_delay_alu instid0(VALU_DEP_1) | instskip(NEXT) | instid1(VALU_DEP_1)
	v_add_co_u32 v8, s10, s20, v8
	v_add_co_ci_u32_e64 v9, null, s17, 0, s10
	flat_load_b32 v8, v[8:9]
.LBB1010_19:
	s_or_b32 exec_lo, exec_lo, s9
	v_or_b32_e32 v33, 0x800, v0
                                        ; implicit-def: $vgpr9
	s_delay_alu instid0(VALU_DEP_1) | instskip(NEXT) | instid1(VALU_DEP_1)
	v_cmp_gt_u32_e64 s9, s33, v33
	s_and_saveexec_b32 s10, s9
	s_cbranch_execz .LBB1010_21
; %bb.20:
	v_lshlrev_b32_e32 v9, 2, v33
	s_delay_alu instid0(VALU_DEP_1) | instskip(NEXT) | instid1(VALU_DEP_1)
	v_add_co_u32 v9, s11, s20, v9
	v_add_co_ci_u32_e64 v10, null, s17, 0, s11
	flat_load_b32 v9, v[9:10]
.LBB1010_21:
	s_or_b32 exec_lo, exec_lo, s10
	v_or_b32_e32 v35, 0x900, v0
                                        ; implicit-def: $vgpr10
	s_delay_alu instid0(VALU_DEP_1) | instskip(NEXT) | instid1(VALU_DEP_1)
	v_cmp_gt_u32_e64 s10, s33, v35
	s_and_saveexec_b32 s11, s10
	s_cbranch_execz .LBB1010_23
; %bb.22:
	v_lshlrev_b32_e32 v10, 2, v35
	s_delay_alu instid0(VALU_DEP_1) | instskip(NEXT) | instid1(VALU_DEP_1)
	v_add_co_u32 v10, s12, s20, v10
	v_add_co_ci_u32_e64 v11, null, s17, 0, s12
	flat_load_b32 v10, v[10:11]
.LBB1010_23:
	s_or_b32 exec_lo, exec_lo, s11
	v_or_b32_e32 v37, 0xa00, v0
                                        ; implicit-def: $vgpr11
	s_delay_alu instid0(VALU_DEP_1) | instskip(NEXT) | instid1(VALU_DEP_1)
	v_cmp_gt_u32_e64 s11, s33, v37
	s_and_saveexec_b32 s12, s11
	s_cbranch_execz .LBB1010_25
; %bb.24:
	v_lshlrev_b32_e32 v11, 2, v37
	s_delay_alu instid0(VALU_DEP_1) | instskip(NEXT) | instid1(VALU_DEP_1)
	v_add_co_u32 v11, s13, s20, v11
	v_add_co_ci_u32_e64 v12, null, s17, 0, s13
	flat_load_b32 v11, v[11:12]
.LBB1010_25:
	s_or_b32 exec_lo, exec_lo, s12
	v_or_b32_e32 v39, 0xb00, v0
                                        ; implicit-def: $vgpr12
	s_delay_alu instid0(VALU_DEP_1) | instskip(NEXT) | instid1(VALU_DEP_1)
	v_cmp_gt_u32_e64 s12, s33, v39
	s_and_saveexec_b32 s13, s12
	s_cbranch_execz .LBB1010_27
; %bb.26:
	v_lshlrev_b32_e32 v12, 2, v39
	s_delay_alu instid0(VALU_DEP_1) | instskip(NEXT) | instid1(VALU_DEP_1)
	v_add_co_u32 v12, s14, s20, v12
	v_add_co_ci_u32_e64 v13, null, s17, 0, s14
	flat_load_b32 v12, v[12:13]
.LBB1010_27:
	s_or_b32 exec_lo, exec_lo, s13
	v_or_b32_e32 v41, 0xc00, v0
                                        ; implicit-def: $vgpr13
	s_delay_alu instid0(VALU_DEP_1) | instskip(NEXT) | instid1(VALU_DEP_1)
	v_cmp_gt_u32_e64 s13, s33, v41
	s_and_saveexec_b32 s14, s13
	s_cbranch_execz .LBB1010_29
; %bb.28:
	v_lshlrev_b32_e32 v13, 2, v41
	s_delay_alu instid0(VALU_DEP_1) | instskip(NEXT) | instid1(VALU_DEP_1)
	v_add_co_u32 v13, s16, s20, v13
	v_add_co_ci_u32_e64 v14, null, s17, 0, s16
	flat_load_b32 v13, v[13:14]
.LBB1010_29:
	s_or_b32 exec_lo, exec_lo, s14
	v_or_b32_e32 v43, 0xd00, v0
                                        ; implicit-def: $vgpr14
	s_delay_alu instid0(VALU_DEP_1) | instskip(NEXT) | instid1(VALU_DEP_1)
	v_cmp_gt_u32_e64 s14, s33, v43
	s_and_saveexec_b32 s16, s14
	s_cbranch_execz .LBB1010_31
; %bb.30:
	v_lshlrev_b32_e32 v14, 2, v43
	s_delay_alu instid0(VALU_DEP_1) | instskip(NEXT) | instid1(VALU_DEP_1)
	v_add_co_u32 v14, s25, s20, v14
	v_add_co_ci_u32_e64 v15, null, s17, 0, s25
	flat_load_b32 v14, v[14:15]
.LBB1010_31:
	s_or_b32 exec_lo, exec_lo, s16
	v_or_b32_e32 v46, 0xe00, v0
                                        ; implicit-def: $vgpr15
	s_delay_alu instid0(VALU_DEP_1) | instskip(NEXT) | instid1(VALU_DEP_1)
	v_cmp_gt_u32_e64 s16, s33, v46
	s_and_saveexec_b32 s25, s16
	s_cbranch_execz .LBB1010_33
; %bb.32:
	v_lshlrev_b32_e32 v15, 2, v46
	s_delay_alu instid0(VALU_DEP_1) | instskip(NEXT) | instid1(VALU_DEP_1)
	v_add_co_u32 v15, s26, s20, v15
	v_add_co_ci_u32_e64 v16, null, s17, 0, s26
	flat_load_b32 v15, v[15:16]
.LBB1010_33:
	s_or_b32 exec_lo, exec_lo, s25
	v_lshlrev_b32_e32 v16, 2, v0
	s_waitcnt vmcnt(0) lgkmcnt(0)
	ds_store_2addr_stride64_b32 v16, v1, v2 offset1:4
	ds_store_2addr_stride64_b32 v16, v3, v4 offset0:8 offset1:12
	ds_store_2addr_stride64_b32 v16, v5, v6 offset0:16 offset1:20
	ds_store_2addr_stride64_b32 v16, v7, v8 offset0:24 offset1:28
	ds_store_2addr_stride64_b32 v16, v9, v10 offset0:32 offset1:36
	ds_store_2addr_stride64_b32 v16, v11, v12 offset0:40 offset1:44
	ds_store_2addr_stride64_b32 v16, v13, v14 offset0:48 offset1:52
	v_mad_u32_u24 v45, v0, 56, v16
	ds_store_b32 v16, v15 offset:14336
	s_waitcnt lgkmcnt(0)
	s_barrier
	buffer_gl0_inv
	ds_load_2addr_b32 v[13:14], v45 offset1:1
	ds_load_2addr_b32 v[11:12], v45 offset0:2 offset1:3
	ds_load_2addr_b32 v[9:10], v45 offset0:4 offset1:5
	;; [unrolled: 1-line block ×6, first 2 shown]
	ds_load_b32 v81, v45 offset:56
	s_waitcnt lgkmcnt(0)
	s_barrier
	buffer_gl0_inv
                                        ; implicit-def: $vgpr15_vgpr16
	s_and_saveexec_b32 s25, vcc_lo
	s_cbranch_execz .LBB1010_47
; %bb.34:
	v_lshlrev_b32_e32 v15, 3, v0
	s_delay_alu instid0(VALU_DEP_1) | instskip(NEXT) | instid1(VALU_DEP_1)
	v_add_co_u32 v15, s26, s22, v15
	v_add_co_ci_u32_e64 v16, null, s24, 0, s26
	flat_load_b64 v[15:16], v[15:16]
	s_or_b32 exec_lo, exec_lo, s25
                                        ; implicit-def: $vgpr17_vgpr18
	s_and_saveexec_b32 s25, s2
	s_cbranch_execnz .LBB1010_48
.LBB1010_35:
	s_or_b32 exec_lo, exec_lo, s25
                                        ; implicit-def: $vgpr19_vgpr20
	s_and_saveexec_b32 s2, s3
	s_cbranch_execz .LBB1010_49
.LBB1010_36:
	v_lshlrev_b32_e32 v19, 3, v21
	s_delay_alu instid0(VALU_DEP_1) | instskip(NEXT) | instid1(VALU_DEP_1)
	v_add_co_u32 v19, s3, s22, v19
	v_add_co_ci_u32_e64 v20, null, s24, 0, s3
	flat_load_b64 v[19:20], v[19:20]
	s_or_b32 exec_lo, exec_lo, s2
                                        ; implicit-def: $vgpr21_vgpr22
	s_and_saveexec_b32 s2, s4
	s_cbranch_execnz .LBB1010_50
.LBB1010_37:
	s_or_b32 exec_lo, exec_lo, s2
                                        ; implicit-def: $vgpr23_vgpr24
	s_and_saveexec_b32 s2, s5
	s_cbranch_execz .LBB1010_51
.LBB1010_38:
	v_lshlrev_b32_e32 v23, 3, v25
	s_delay_alu instid0(VALU_DEP_1) | instskip(NEXT) | instid1(VALU_DEP_1)
	v_add_co_u32 v23, s3, s22, v23
	v_add_co_ci_u32_e64 v24, null, s24, 0, s3
	flat_load_b64 v[23:24], v[23:24]
	s_or_b32 exec_lo, exec_lo, s2
                                        ; implicit-def: $vgpr25_vgpr26
	s_and_saveexec_b32 s2, s6
	s_cbranch_execnz .LBB1010_52
.LBB1010_39:
	s_or_b32 exec_lo, exec_lo, s2
                                        ; implicit-def: $vgpr27_vgpr28
	s_and_saveexec_b32 s2, s7
	s_cbranch_execz .LBB1010_53
.LBB1010_40:
	v_lshlrev_b32_e32 v27, 3, v29
	s_delay_alu instid0(VALU_DEP_1) | instskip(NEXT) | instid1(VALU_DEP_1)
	v_add_co_u32 v27, s3, s22, v27
	v_add_co_ci_u32_e64 v28, null, s24, 0, s3
	flat_load_b64 v[27:28], v[27:28]
	s_or_b32 exec_lo, exec_lo, s2
                                        ; implicit-def: $vgpr29_vgpr30
	s_and_saveexec_b32 s2, s8
	s_cbranch_execnz .LBB1010_54
.LBB1010_41:
	s_or_b32 exec_lo, exec_lo, s2
                                        ; implicit-def: $vgpr31_vgpr32
	s_and_saveexec_b32 s2, s9
	s_cbranch_execz .LBB1010_55
.LBB1010_42:
	v_lshlrev_b32_e32 v31, 3, v33
	s_delay_alu instid0(VALU_DEP_1) | instskip(NEXT) | instid1(VALU_DEP_1)
	v_add_co_u32 v31, s3, s22, v31
	v_add_co_ci_u32_e64 v32, null, s24, 0, s3
	flat_load_b64 v[31:32], v[31:32]
	s_or_b32 exec_lo, exec_lo, s2
                                        ; implicit-def: $vgpr33_vgpr34
	s_and_saveexec_b32 s2, s10
	s_cbranch_execnz .LBB1010_56
.LBB1010_43:
	s_or_b32 exec_lo, exec_lo, s2
                                        ; implicit-def: $vgpr35_vgpr36
	s_and_saveexec_b32 s2, s11
	s_cbranch_execz .LBB1010_57
.LBB1010_44:
	v_lshlrev_b32_e32 v35, 3, v37
	s_delay_alu instid0(VALU_DEP_1) | instskip(NEXT) | instid1(VALU_DEP_1)
	v_add_co_u32 v35, s3, s22, v35
	v_add_co_ci_u32_e64 v36, null, s24, 0, s3
	flat_load_b64 v[35:36], v[35:36]
	s_or_b32 exec_lo, exec_lo, s2
                                        ; implicit-def: $vgpr37_vgpr38
	s_and_saveexec_b32 s2, s12
	s_cbranch_execnz .LBB1010_58
.LBB1010_45:
	s_or_b32 exec_lo, exec_lo, s2
                                        ; implicit-def: $vgpr39_vgpr40
	s_and_saveexec_b32 s2, s13
	s_cbranch_execz .LBB1010_59
.LBB1010_46:
	v_lshlrev_b32_e32 v39, 3, v41
	s_delay_alu instid0(VALU_DEP_1) | instskip(NEXT) | instid1(VALU_DEP_1)
	v_add_co_u32 v39, s3, s22, v39
	v_add_co_ci_u32_e64 v40, null, s24, 0, s3
	flat_load_b64 v[39:40], v[39:40]
	s_or_b32 exec_lo, exec_lo, s2
                                        ; implicit-def: $vgpr41_vgpr42
	s_and_saveexec_b32 s2, s14
	s_cbranch_execz .LBB1010_61
	s_branch .LBB1010_60
.LBB1010_47:
	s_or_b32 exec_lo, exec_lo, s25
                                        ; implicit-def: $vgpr17_vgpr18
	s_and_saveexec_b32 s25, s2
	s_cbranch_execz .LBB1010_35
.LBB1010_48:
	v_lshlrev_b32_e32 v17, 3, v0
	s_delay_alu instid0(VALU_DEP_1) | instskip(NEXT) | instid1(VALU_DEP_1)
	v_add_co_u32 v17, s2, s22, v17
	v_add_co_ci_u32_e64 v18, null, s24, 0, s2
	flat_load_b64 v[17:18], v[17:18] offset:2048
	s_or_b32 exec_lo, exec_lo, s25
                                        ; implicit-def: $vgpr19_vgpr20
	s_and_saveexec_b32 s2, s3
	s_cbranch_execnz .LBB1010_36
.LBB1010_49:
	s_or_b32 exec_lo, exec_lo, s2
                                        ; implicit-def: $vgpr21_vgpr22
	s_and_saveexec_b32 s2, s4
	s_cbranch_execz .LBB1010_37
.LBB1010_50:
	v_lshlrev_b32_e32 v21, 3, v23
	s_delay_alu instid0(VALU_DEP_1) | instskip(NEXT) | instid1(VALU_DEP_1)
	v_add_co_u32 v21, s3, s22, v21
	v_add_co_ci_u32_e64 v22, null, s24, 0, s3
	flat_load_b64 v[21:22], v[21:22]
	s_or_b32 exec_lo, exec_lo, s2
                                        ; implicit-def: $vgpr23_vgpr24
	s_and_saveexec_b32 s2, s5
	s_cbranch_execnz .LBB1010_38
.LBB1010_51:
	s_or_b32 exec_lo, exec_lo, s2
                                        ; implicit-def: $vgpr25_vgpr26
	s_and_saveexec_b32 s2, s6
	s_cbranch_execz .LBB1010_39
.LBB1010_52:
	v_lshlrev_b32_e32 v25, 3, v27
	s_delay_alu instid0(VALU_DEP_1) | instskip(NEXT) | instid1(VALU_DEP_1)
	v_add_co_u32 v25, s3, s22, v25
	v_add_co_ci_u32_e64 v26, null, s24, 0, s3
	flat_load_b64 v[25:26], v[25:26]
	s_or_b32 exec_lo, exec_lo, s2
                                        ; implicit-def: $vgpr27_vgpr28
	s_and_saveexec_b32 s2, s7
	s_cbranch_execnz .LBB1010_40
.LBB1010_53:
	s_or_b32 exec_lo, exec_lo, s2
                                        ; implicit-def: $vgpr29_vgpr30
	s_and_saveexec_b32 s2, s8
	s_cbranch_execz .LBB1010_41
.LBB1010_54:
	v_lshlrev_b32_e32 v29, 3, v31
	s_delay_alu instid0(VALU_DEP_1) | instskip(NEXT) | instid1(VALU_DEP_1)
	v_add_co_u32 v29, s3, s22, v29
	v_add_co_ci_u32_e64 v30, null, s24, 0, s3
	flat_load_b64 v[29:30], v[29:30]
	s_or_b32 exec_lo, exec_lo, s2
                                        ; implicit-def: $vgpr31_vgpr32
	s_and_saveexec_b32 s2, s9
	s_cbranch_execnz .LBB1010_42
.LBB1010_55:
	s_or_b32 exec_lo, exec_lo, s2
                                        ; implicit-def: $vgpr33_vgpr34
	s_and_saveexec_b32 s2, s10
	s_cbranch_execz .LBB1010_43
.LBB1010_56:
	v_lshlrev_b32_e32 v33, 3, v35
	s_delay_alu instid0(VALU_DEP_1) | instskip(NEXT) | instid1(VALU_DEP_1)
	v_add_co_u32 v33, s3, s22, v33
	v_add_co_ci_u32_e64 v34, null, s24, 0, s3
	flat_load_b64 v[33:34], v[33:34]
	s_or_b32 exec_lo, exec_lo, s2
                                        ; implicit-def: $vgpr35_vgpr36
	s_and_saveexec_b32 s2, s11
	s_cbranch_execnz .LBB1010_44
.LBB1010_57:
	s_or_b32 exec_lo, exec_lo, s2
                                        ; implicit-def: $vgpr37_vgpr38
	s_and_saveexec_b32 s2, s12
	s_cbranch_execz .LBB1010_45
.LBB1010_58:
	v_lshlrev_b32_e32 v37, 3, v39
	s_delay_alu instid0(VALU_DEP_1) | instskip(NEXT) | instid1(VALU_DEP_1)
	v_add_co_u32 v37, s3, s22, v37
	v_add_co_ci_u32_e64 v38, null, s24, 0, s3
	flat_load_b64 v[37:38], v[37:38]
	s_or_b32 exec_lo, exec_lo, s2
                                        ; implicit-def: $vgpr39_vgpr40
	s_and_saveexec_b32 s2, s13
	s_cbranch_execnz .LBB1010_46
.LBB1010_59:
	s_or_b32 exec_lo, exec_lo, s2
                                        ; implicit-def: $vgpr41_vgpr42
	s_and_saveexec_b32 s2, s14
	s_cbranch_execz .LBB1010_61
.LBB1010_60:
	v_lshlrev_b32_e32 v41, 3, v43
	s_delay_alu instid0(VALU_DEP_1) | instskip(NEXT) | instid1(VALU_DEP_1)
	v_add_co_u32 v41, s3, s22, v41
	v_add_co_ci_u32_e64 v42, null, s24, 0, s3
	flat_load_b64 v[41:42], v[41:42]
.LBB1010_61:
	s_or_b32 exec_lo, exec_lo, s2
	v_mul_u32_u24_e32 v47, 15, v0
                                        ; implicit-def: $vgpr43_vgpr44
	s_and_saveexec_b32 s2, s16
	s_cbranch_execz .LBB1010_63
; %bb.62:
	v_lshlrev_b32_e32 v43, 3, v46
	s_delay_alu instid0(VALU_DEP_1) | instskip(NEXT) | instid1(VALU_DEP_1)
	v_add_co_u32 v43, s3, s22, v43
	v_add_co_ci_u32_e64 v44, null, s24, 0, s3
	flat_load_b64 v[43:44], v[43:44]
.LBB1010_63:
	s_or_b32 exec_lo, exec_lo, s2
	s_delay_alu instid0(VALU_DEP_1)
	v_add_nc_u32_e32 v58, 1, v47
	v_add_nc_u32_e32 v53, 2, v47
	;; [unrolled: 1-line block ×10, first 2 shown]
	v_mad_i32_i24 v60, 0xffffffcc, v0, v45
	v_add_nc_u32_e32 v59, 11, v47
	v_add_nc_u32_e32 v54, 12, v47
	;; [unrolled: 1-line block ×4, first 2 shown]
	s_waitcnt vmcnt(0) lgkmcnt(0)
	ds_store_2addr_stride64_b64 v60, v[15:16], v[17:18] offset1:4
	ds_store_2addr_stride64_b64 v60, v[19:20], v[21:22] offset0:8 offset1:12
	ds_store_2addr_stride64_b64 v60, v[23:24], v[25:26] offset0:16 offset1:20
	;; [unrolled: 1-line block ×6, first 2 shown]
	ds_store_b64 v60, v[43:44] offset:28672
	s_waitcnt lgkmcnt(0)
	s_barrier
.LBB1010_64:
	v_lshlrev_b32_e32 v15, 3, v47
	v_lshlrev_b32_e32 v16, 3, v58
	;; [unrolled: 1-line block ×5, first 2 shown]
	s_waitcnt lgkmcnt(0)
	buffer_gl0_inv
	v_lshlrev_b32_e32 v20, 3, v56
	v_lshlrev_b32_e32 v21, 3, v51
	v_lshlrev_b32_e32 v22, 3, v55
	ds_load_b64 v[41:42], v15
	ds_load_b64 v[39:40], v16
	;; [unrolled: 1-line block ×8, first 2 shown]
	v_lshlrev_b32_e32 v15, 3, v48
	v_lshlrev_b32_e32 v16, 3, v49
	v_lshlrev_b32_e32 v17, 3, v46
	v_lshlrev_b32_e32 v18, 3, v59
	v_lshlrev_b32_e32 v43, 3, v54
	v_lshlrev_b32_e32 v44, 3, v50
	v_lshlrev_b32_e32 v45, 3, v45
	ds_load_b64 v[29:30], v15
	ds_load_b64 v[25:26], v16
	;; [unrolled: 1-line block ×7, first 2 shown]
	s_load_b128 s[24:27], s[0:1], 0x28
	s_cmp_eq_u64 s[18:19], 0
	s_waitcnt lgkmcnt(0)
	s_cselect_b32 s34, -1, 0
	s_cmp_lg_u64 s[18:19], 0
	s_barrier
	s_cselect_b32 s14, -1, 0
	s_and_b32 vcc_lo, exec_lo, s21
	buffer_gl0_inv
	s_cbranch_vccz .LBB1010_70
; %bb.65:
	s_and_b32 vcc_lo, exec_lo, s14
	s_cbranch_vccz .LBB1010_187
; %bb.66:
	v_add_co_u32 v45, s0, -4, s20
	s_delay_alu instid0(VALU_DEP_1)
	v_add_co_ci_u32_e64 v46, null, -1, s17, s0
	v_cmp_ne_u32_e32 vcc_lo, v2, v81
	v_cmp_ne_u32_e64 s0, v1, v2
	v_cmp_ne_u32_e64 s1, v4, v1
	flat_load_b32 v45, v[45:46]
	v_lshlrev_b32_e32 v46, 2, v0
	v_cmp_ne_u32_e64 s2, v3, v4
	v_cmp_ne_u32_e64 s3, v6, v3
	;; [unrolled: 1-line block ×11, first 2 shown]
	s_mov_b32 s35, -1
	s_mov_b32 s16, 0
	s_mov_b32 s21, exec_lo
	ds_store_b32 v46, v81
	s_waitcnt vmcnt(0) lgkmcnt(0)
	s_barrier
	buffer_gl0_inv
	v_cmpx_ne_u32_e32 0, v0
	s_cbranch_execz .LBB1010_68
; %bb.67:
	v_add_nc_u32_e32 v45, -4, v46
	ds_load_b32 v45, v45
.LBB1010_68:
	s_or_b32 exec_lo, exec_lo, s21
	v_cndmask_b32_e64 v89, 0, 1, vcc_lo
	v_cndmask_b32_e64 v82, 0, 1, s0
	v_cndmask_b32_e64 v83, 0, 1, s1
	;; [unrolled: 1-line block ×13, first 2 shown]
	s_waitcnt lgkmcnt(0)
	v_cmp_ne_u32_e64 s0, v45, v13
	s_and_b32 vcc_lo, exec_lo, s16
	s_cbranch_vccnz .LBB1010_188
.LBB1010_69:
                                        ; implicit-def: $sgpr1
	s_branch .LBB1010_71
.LBB1010_70:
	s_mov_b32 s35, 0
                                        ; implicit-def: $sgpr0
                                        ; implicit-def: $vgpr89
                                        ; implicit-def: $vgpr82
                                        ; implicit-def: $vgpr83
                                        ; implicit-def: $vgpr84
                                        ; implicit-def: $vgpr85
                                        ; implicit-def: $vgpr86
                                        ; implicit-def: $vgpr87
                                        ; implicit-def: $vgpr88
                                        ; implicit-def: $vgpr90
                                        ; implicit-def: $vgpr91
                                        ; implicit-def: $vgpr92
                                        ; implicit-def: $vgpr93
                                        ; implicit-def: $vgpr94
                                        ; implicit-def: $vgpr95
                                        ; implicit-def: $sgpr1
	s_cbranch_execnz .LBB1010_191
.LBB1010_71:
	v_mov_b32_e32 v96, s1
	s_and_saveexec_b32 s1, s35
.LBB1010_72:
	v_cndmask_b32_e64 v96, 0, 1, s0
.LBB1010_73:
	s_or_b32 exec_lo, exec_lo, s1
	s_delay_alu instid0(VALU_DEP_1)
	v_add3_u32 v45, v95, v96, v94
	v_cmp_eq_u32_e64 s12, 0, v95
	v_cmp_eq_u32_e64 s11, 0, v94
	;; [unrolled: 1-line block ×4, first 2 shown]
	v_add3_u32 v99, v45, v93, v92
	v_cmp_eq_u32_e64 s8, 0, v91
	v_cmp_eq_u32_e64 s7, 0, v90
	;; [unrolled: 1-line block ×9, first 2 shown]
	v_cmp_eq_u32_e32 vcc_lo, 0, v89
	v_mbcnt_lo_u32_b32 v97, -1, 0
	s_cmp_eq_u64 s[42:43], 0
	s_cselect_b32 s14, -1, 0
	s_cmp_lg_u32 s15, 0
	s_cbranch_scc0 .LBB1010_140
; %bb.74:
	v_cndmask_b32_e64 v45, 0, v41, s12
	v_cndmask_b32_e64 v46, 0, v42, s12
	v_add3_u32 v47, v99, v91, v90
	s_delay_alu instid0(VALU_DEP_3) | instskip(NEXT) | instid1(VALU_DEP_1)
	v_add_co_u32 v45, s13, v45, v39
	v_add_co_ci_u32_e64 v46, s13, v46, v40, s13
	s_delay_alu instid0(VALU_DEP_3) | instskip(NEXT) | instid1(VALU_DEP_3)
	v_add3_u32 v47, v47, v88, v87
	v_cndmask_b32_e64 v45, 0, v45, s11
	s_delay_alu instid0(VALU_DEP_3) | instskip(NEXT) | instid1(VALU_DEP_3)
	v_cndmask_b32_e64 v46, 0, v46, s11
	v_add3_u32 v47, v47, v86, v85
	s_delay_alu instid0(VALU_DEP_3) | instskip(NEXT) | instid1(VALU_DEP_1)
	v_add_co_u32 v45, s13, v45, v37
	v_add_co_ci_u32_e64 v46, s13, v46, v38, s13
	s_delay_alu instid0(VALU_DEP_3) | instskip(NEXT) | instid1(VALU_DEP_3)
	v_add3_u32 v47, v47, v84, v83
	v_cndmask_b32_e64 v45, 0, v45, s10
	s_delay_alu instid0(VALU_DEP_3) | instskip(NEXT) | instid1(VALU_DEP_3)
	v_cndmask_b32_e64 v46, 0, v46, s10
	v_add3_u32 v49, v47, v82, v89
	s_delay_alu instid0(VALU_DEP_3) | instskip(NEXT) | instid1(VALU_DEP_1)
	v_add_co_u32 v45, s13, v45, v35
	v_add_co_ci_u32_e64 v46, s13, v46, v36, s13
	s_delay_alu instid0(VALU_DEP_2) | instskip(NEXT) | instid1(VALU_DEP_2)
	v_cndmask_b32_e64 v45, 0, v45, s9
	v_cndmask_b32_e64 v46, 0, v46, s9
	s_delay_alu instid0(VALU_DEP_2) | instskip(NEXT) | instid1(VALU_DEP_1)
	v_add_co_u32 v45, s13, v45, v33
	v_add_co_ci_u32_e64 v46, s13, v46, v34, s13
	s_delay_alu instid0(VALU_DEP_2) | instskip(NEXT) | instid1(VALU_DEP_2)
	v_cndmask_b32_e64 v45, 0, v45, s8
	v_cndmask_b32_e64 v46, 0, v46, s8
	s_delay_alu instid0(VALU_DEP_2) | instskip(NEXT) | instid1(VALU_DEP_1)
	;; [unrolled: 6-line block ×10, first 2 shown]
	v_add_co_u32 v45, s13, v45, v15
	v_add_co_ci_u32_e64 v46, s13, v46, v16, s13
	s_mov_b32 s13, exec_lo
	s_delay_alu instid0(VALU_DEP_1) | instskip(NEXT) | instid1(VALU_DEP_1)
	v_dual_cndmask_b32 v45, 0, v45 :: v_dual_cndmask_b32 v46, 0, v46
	v_add_co_u32 v47, vcc_lo, v45, v43
	s_delay_alu instid0(VALU_DEP_2) | instskip(SKIP_2) | instid1(VALU_DEP_4)
	v_add_co_ci_u32_e32 v48, vcc_lo, v46, v44, vcc_lo
	v_and_b32_e32 v45, 15, v97
	v_mov_b32_dpp v46, v49 row_shr:1 row_mask:0xf bank_mask:0xf
	v_mov_b32_dpp v50, v47 row_shr:1 row_mask:0xf bank_mask:0xf
	s_delay_alu instid0(VALU_DEP_4) | instskip(NEXT) | instid1(VALU_DEP_4)
	v_mov_b32_dpp v51, v48 row_shr:1 row_mask:0xf bank_mask:0xf
	v_cmpx_ne_u32_e32 0, v45
; %bb.75:
	v_cmp_eq_u32_e32 vcc_lo, 0, v49
	v_add_nc_u32_e32 v49, v46, v49
	s_delay_alu instid0(VALU_DEP_4) | instskip(NEXT) | instid1(VALU_DEP_1)
	v_dual_cndmask_b32 v51, 0, v51 :: v_dual_cndmask_b32 v50, 0, v50
	v_add_co_u32 v47, vcc_lo, v50, v47
	s_delay_alu instid0(VALU_DEP_2)
	v_add_co_ci_u32_e32 v48, vcc_lo, v51, v48, vcc_lo
; %bb.76:
	s_or_b32 exec_lo, exec_lo, s13
	v_mov_b32_dpp v46, v49 row_shr:2 row_mask:0xf bank_mask:0xf
	s_delay_alu instid0(VALU_DEP_3) | instskip(NEXT) | instid1(VALU_DEP_3)
	v_mov_b32_dpp v50, v47 row_shr:2 row_mask:0xf bank_mask:0xf
	v_mov_b32_dpp v51, v48 row_shr:2 row_mask:0xf bank_mask:0xf
	s_mov_b32 s13, exec_lo
	v_cmpx_lt_u32_e32 1, v45
; %bb.77:
	v_cmp_eq_u32_e32 vcc_lo, 0, v49
	v_add_nc_u32_e32 v49, v46, v49
	v_dual_cndmask_b32 v51, 0, v51 :: v_dual_cndmask_b32 v50, 0, v50
	s_delay_alu instid0(VALU_DEP_1) | instskip(NEXT) | instid1(VALU_DEP_2)
	v_add_co_u32 v47, vcc_lo, v50, v47
	v_add_co_ci_u32_e32 v48, vcc_lo, v51, v48, vcc_lo
; %bb.78:
	s_or_b32 exec_lo, exec_lo, s13
	v_mov_b32_dpp v46, v49 row_shr:4 row_mask:0xf bank_mask:0xf
	s_delay_alu instid0(VALU_DEP_3) | instskip(NEXT) | instid1(VALU_DEP_3)
	v_mov_b32_dpp v50, v47 row_shr:4 row_mask:0xf bank_mask:0xf
	v_mov_b32_dpp v51, v48 row_shr:4 row_mask:0xf bank_mask:0xf
	s_mov_b32 s13, exec_lo
	v_cmpx_lt_u32_e32 3, v45
; %bb.79:
	v_cmp_eq_u32_e32 vcc_lo, 0, v49
	v_add_nc_u32_e32 v49, v46, v49
	v_dual_cndmask_b32 v51, 0, v51 :: v_dual_cndmask_b32 v50, 0, v50
	s_delay_alu instid0(VALU_DEP_1) | instskip(NEXT) | instid1(VALU_DEP_2)
	v_add_co_u32 v47, vcc_lo, v50, v47
	;; [unrolled: 15-line block ×3, first 2 shown]
	v_add_co_ci_u32_e32 v48, vcc_lo, v45, v48, vcc_lo
; %bb.82:
	s_or_b32 exec_lo, exec_lo, s13
	ds_swizzle_b32 v45, v49 offset:swizzle(BROADCAST,32,15)
	ds_swizzle_b32 v46, v47 offset:swizzle(BROADCAST,32,15)
	;; [unrolled: 1-line block ×3, first 2 shown]
	v_and_b32_e32 v51, 16, v97
	s_mov_b32 s13, exec_lo
	s_delay_alu instid0(VALU_DEP_1)
	v_cmpx_ne_u32_e32 0, v51
	s_cbranch_execz .LBB1010_84
; %bb.83:
	v_cmp_eq_u32_e32 vcc_lo, 0, v49
	s_waitcnt lgkmcnt(1)
	v_dual_cndmask_b32 v46, 0, v46 :: v_dual_add_nc_u32 v49, v45, v49
	s_waitcnt lgkmcnt(0)
	v_cndmask_b32_e32 v50, 0, v50, vcc_lo
	s_delay_alu instid0(VALU_DEP_2) | instskip(NEXT) | instid1(VALU_DEP_2)
	v_add_co_u32 v47, vcc_lo, v46, v47
	v_add_co_ci_u32_e32 v48, vcc_lo, v50, v48, vcc_lo
.LBB1010_84:
	s_or_b32 exec_lo, exec_lo, s13
	s_waitcnt lgkmcnt(1)
	v_lshrrev_b32_e32 v46, 5, v0
	v_or_b32_e32 v45, 31, v0
	s_mov_b32 s13, exec_lo
	s_waitcnt lgkmcnt(0)
	s_delay_alu instid0(VALU_DEP_2) | instskip(NEXT) | instid1(VALU_DEP_2)
	v_lshlrev_b32_e32 v50, 4, v46
	v_cmpx_eq_u32_e64 v45, v0
	s_cbranch_execz .LBB1010_86
; %bb.85:
	ds_store_b32 v50, v49 offset:2080
	ds_store_b64 v50, v[47:48] offset:2088
.LBB1010_86:
	s_or_b32 exec_lo, exec_lo, s13
	s_delay_alu instid0(SALU_CYCLE_1)
	s_mov_b32 s13, exec_lo
	s_waitcnt lgkmcnt(0)
	s_barrier
	buffer_gl0_inv
	v_cmpx_gt_u32_e32 8, v0
	s_cbranch_execz .LBB1010_94
; %bb.87:
	v_lshlrev_b32_e32 v51, 4, v0
	v_and_b32_e32 v53, 7, v97
	s_mov_b32 s16, exec_lo
	ds_load_b32 v52, v51 offset:2080
	ds_load_b64 v[45:46], v51 offset:2088
	s_waitcnt lgkmcnt(1)
	v_mov_b32_dpp v54, v52 row_shr:1 row_mask:0xf bank_mask:0xf
	s_waitcnt lgkmcnt(0)
	v_mov_b32_dpp v55, v45 row_shr:1 row_mask:0xf bank_mask:0xf
	v_mov_b32_dpp v56, v46 row_shr:1 row_mask:0xf bank_mask:0xf
	v_cmpx_ne_u32_e32 0, v53
; %bb.88:
	v_cmp_eq_u32_e32 vcc_lo, 0, v52
	v_add_nc_u32_e32 v52, v54, v52
	s_delay_alu instid0(VALU_DEP_4) | instskip(NEXT) | instid1(VALU_DEP_1)
	v_dual_cndmask_b32 v56, 0, v56 :: v_dual_cndmask_b32 v55, 0, v55
	v_add_co_u32 v45, vcc_lo, v55, v45
	s_delay_alu instid0(VALU_DEP_2)
	v_add_co_ci_u32_e32 v46, vcc_lo, v56, v46, vcc_lo
; %bb.89:
	s_or_b32 exec_lo, exec_lo, s16
	v_mov_b32_dpp v54, v52 row_shr:2 row_mask:0xf bank_mask:0xf
	s_delay_alu instid0(VALU_DEP_3) | instskip(NEXT) | instid1(VALU_DEP_3)
	v_mov_b32_dpp v55, v45 row_shr:2 row_mask:0xf bank_mask:0xf
	v_mov_b32_dpp v56, v46 row_shr:2 row_mask:0xf bank_mask:0xf
	s_mov_b32 s16, exec_lo
	v_cmpx_lt_u32_e32 1, v53
; %bb.90:
	v_cmp_eq_u32_e32 vcc_lo, 0, v52
	v_add_nc_u32_e32 v52, v54, v52
	v_dual_cndmask_b32 v56, 0, v56 :: v_dual_cndmask_b32 v55, 0, v55
	s_delay_alu instid0(VALU_DEP_1) | instskip(NEXT) | instid1(VALU_DEP_2)
	v_add_co_u32 v45, vcc_lo, v55, v45
	v_add_co_ci_u32_e32 v46, vcc_lo, v56, v46, vcc_lo
; %bb.91:
	s_or_b32 exec_lo, exec_lo, s16
	v_mov_b32_dpp v54, v52 row_shr:4 row_mask:0xf bank_mask:0xf
	s_delay_alu instid0(VALU_DEP_3) | instskip(NEXT) | instid1(VALU_DEP_3)
	v_mov_b32_dpp v55, v45 row_shr:4 row_mask:0xf bank_mask:0xf
	v_mov_b32_dpp v56, v46 row_shr:4 row_mask:0xf bank_mask:0xf
	s_mov_b32 s16, exec_lo
	v_cmpx_lt_u32_e32 3, v53
; %bb.92:
	v_cmp_eq_u32_e32 vcc_lo, 0, v52
	v_dual_cndmask_b32 v55, 0, v55 :: v_dual_add_nc_u32 v52, v54, v52
	v_cndmask_b32_e32 v53, 0, v56, vcc_lo
	s_delay_alu instid0(VALU_DEP_2) | instskip(NEXT) | instid1(VALU_DEP_2)
	v_add_co_u32 v45, vcc_lo, v55, v45
	v_add_co_ci_u32_e32 v46, vcc_lo, v53, v46, vcc_lo
; %bb.93:
	s_or_b32 exec_lo, exec_lo, s16
	ds_store_b32 v51, v52 offset:2080
	ds_store_b64 v51, v[45:46] offset:2088
.LBB1010_94:
	s_or_b32 exec_lo, exec_lo, s13
	v_mov_b32_e32 v45, 0
	v_cmp_gt_u32_e32 vcc_lo, 32, v0
	v_dual_mov_b32 v46, 0 :: v_dual_mov_b32 v55, 0
	s_mov_b32 s16, exec_lo
	s_waitcnt lgkmcnt(0)
	s_barrier
	buffer_gl0_inv
	v_cmpx_lt_u32_e32 31, v0
	s_cbranch_execz .LBB1010_96
; %bb.95:
	ds_load_b64 v[45:46], v50 offset:2072
	ds_load_b32 v55, v50 offset:2064
	v_cmp_eq_u32_e64 s13, 0, v49
	s_waitcnt lgkmcnt(1)
	s_delay_alu instid0(VALU_DEP_1) | instskip(SKIP_3) | instid1(VALU_DEP_3)
	v_cndmask_b32_e64 v51, 0, v45, s13
	v_cndmask_b32_e64 v50, 0, v46, s13
	s_waitcnt lgkmcnt(0)
	v_add_nc_u32_e32 v49, v55, v49
	v_add_co_u32 v47, s13, v51, v47
	s_delay_alu instid0(VALU_DEP_1)
	v_add_co_ci_u32_e64 v48, s13, v50, v48, s13
.LBB1010_96:
	s_or_b32 exec_lo, exec_lo, s16
	v_add_nc_u32_e32 v50, -1, v97
	s_delay_alu instid0(VALU_DEP_1) | instskip(NEXT) | instid1(VALU_DEP_1)
	v_cmp_gt_i32_e64 s13, 0, v50
	v_cndmask_b32_e64 v50, v50, v97, s13
	v_cmp_eq_u32_e64 s13, 0, v97
	s_delay_alu instid0(VALU_DEP_2)
	v_lshlrev_b32_e32 v50, 2, v50
	ds_bpermute_b32 v58, v50, v49
	ds_bpermute_b32 v57, v50, v47
	;; [unrolled: 1-line block ×3, first 2 shown]
	s_and_saveexec_b32 s16, vcc_lo
	s_cbranch_execz .LBB1010_139
; %bb.97:
	v_mov_b32_e32 v51, 0
	ds_load_b32 v59, v51 offset:2192
	ds_load_b64 v[47:48], v51 offset:2200
	s_and_saveexec_b32 s17, s13
	s_cbranch_execz .LBB1010_99
; %bb.98:
	s_add_i32 s18, s15, 32
	s_mov_b32 s19, 0
	v_dual_mov_b32 v49, s18 :: v_dual_mov_b32 v50, 1
	s_lshl_b64 s[20:21], s[18:19], 4
	s_delay_alu instid0(SALU_CYCLE_1)
	s_add_u32 s18, s36, s20
	s_addc_u32 s19, s37, s21
	s_waitcnt lgkmcnt(1)
	global_store_b32 v51, v59, s[18:19]
	s_waitcnt lgkmcnt(0)
	global_store_b64 v51, v[47:48], s[18:19] offset:8
	s_waitcnt_vscnt null, 0x0
	buffer_gl1_inv
	buffer_gl0_inv
	global_store_b8 v49, v50, s[40:41]
.LBB1010_99:
	s_or_b32 exec_lo, exec_lo, s17
	v_xad_u32 v49, v97, -1, s15
	s_mov_b32 s18, 0
	s_mov_b32 s17, exec_lo
	s_delay_alu instid0(VALU_DEP_1)
	v_add_nc_u32_e32 v50, 32, v49
	global_load_u8 v60, v50, s[40:41] glc
	s_waitcnt vmcnt(0)
	v_cmpx_eq_u16_e32 0, v60
	s_cbranch_execz .LBB1010_105
; %bb.100:
	v_add_co_u32 v52, s19, s40, v50
	s_delay_alu instid0(VALU_DEP_1)
	v_add_co_ci_u32_e64 v53, null, s41, 0, s19
	s_mov_b32 s19, 1
.LBB1010_101:                           ; =>This Loop Header: Depth=1
                                        ;     Child Loop BB1010_102 Depth 2
	s_delay_alu instid0(SALU_CYCLE_1)
	s_max_u32 s20, s19, 1
.LBB1010_102:                           ;   Parent Loop BB1010_101 Depth=1
                                        ; =>  This Inner Loop Header: Depth=2
	s_delay_alu instid0(SALU_CYCLE_1)
	s_add_i32 s20, s20, -1
	s_sleep 1
	s_cmp_eq_u32 s20, 0
	s_cbranch_scc0 .LBB1010_102
; %bb.103:                              ;   in Loop: Header=BB1010_101 Depth=1
	global_load_u8 v60, v[52:53], off glc
	s_cmp_lt_u32 s19, 32
	s_cselect_b32 s20, -1, 0
	s_delay_alu instid0(SALU_CYCLE_1) | instskip(SKIP_4) | instid1(SALU_CYCLE_1)
	s_cmp_lg_u32 s20, 0
	s_addc_u32 s19, s19, 0
	s_waitcnt vmcnt(0)
	v_cmp_ne_u16_e32 vcc_lo, 0, v60
	s_or_b32 s18, vcc_lo, s18
	s_and_not1_b32 exec_lo, exec_lo, s18
	s_cbranch_execnz .LBB1010_101
; %bb.104:
	s_or_b32 exec_lo, exec_lo, s18
.LBB1010_105:
	s_delay_alu instid0(SALU_CYCLE_1)
	s_or_b32 exec_lo, exec_lo, s17
	v_dual_mov_b32 v52, s37 :: v_dual_mov_b32 v53, s36
	v_cmp_eq_u16_e32 vcc_lo, 1, v60
	v_lshlrev_b64 v[50:51], 4, v[50:51]
	s_waitcnt lgkmcnt(0)
	s_waitcnt_vscnt null, 0x0
	buffer_gl1_inv
	buffer_gl0_inv
	v_lshlrev_b32_e64 v62, v97, -1
	s_mov_b32 s17, exec_lo
	v_cndmask_b32_e32 v53, s38, v53, vcc_lo
	v_cndmask_b32_e32 v52, s39, v52, vcc_lo
	s_delay_alu instid0(VALU_DEP_2) | instskip(NEXT) | instid1(VALU_DEP_2)
	v_add_co_u32 v50, vcc_lo, v53, v50
	v_add_co_ci_u32_e32 v51, vcc_lo, v52, v51, vcc_lo
	v_cmp_ne_u32_e32 vcc_lo, 31, v97
	s_clause 0x1
	global_load_b32 v72, v[50:51], off
	global_load_b64 v[53:54], v[50:51], off offset:8
	v_add_co_ci_u32_e32 v50, vcc_lo, 0, v97, vcc_lo
	v_cmp_eq_u16_e32 vcc_lo, 2, v60
	s_delay_alu instid0(VALU_DEP_2) | instskip(SKIP_1) | instid1(VALU_DEP_1)
	v_lshlrev_b32_e32 v61, 2, v50
	v_and_or_b32 v50, vcc_lo, v62, 0x80000000
	v_ctz_i32_b32_e32 v50, v50
	s_waitcnt vmcnt(1)
	ds_bpermute_b32 v51, v61, v72
	s_waitcnt vmcnt(0)
	ds_bpermute_b32 v52, v61, v53
	ds_bpermute_b32 v63, v61, v54
	v_cmpx_lt_u32_e64 v97, v50
	s_cbranch_execz .LBB1010_107
; %bb.106:
	v_cmp_eq_u32_e32 vcc_lo, 0, v72
	s_waitcnt lgkmcnt(0)
	v_dual_cndmask_b32 v63, 0, v63 :: v_dual_add_nc_u32 v72, v51, v72
	v_cndmask_b32_e32 v52, 0, v52, vcc_lo
	s_delay_alu instid0(VALU_DEP_1) | instskip(NEXT) | instid1(VALU_DEP_3)
	v_add_co_u32 v53, vcc_lo, v52, v53
	v_add_co_ci_u32_e32 v54, vcc_lo, v63, v54, vcc_lo
.LBB1010_107:
	s_or_b32 exec_lo, exec_lo, s17
	v_cmp_gt_u32_e32 vcc_lo, 30, v97
	v_add_nc_u32_e32 v64, 2, v97
	s_mov_b32 s17, exec_lo
	s_waitcnt lgkmcnt(2)
	v_cndmask_b32_e64 v51, 0, 1, vcc_lo
	s_delay_alu instid0(VALU_DEP_1) | instskip(SKIP_1) | instid1(VALU_DEP_1)
	v_lshlrev_b32_e32 v51, 1, v51
	s_waitcnt lgkmcnt(0)
	v_add_lshl_u32 v63, v51, v97, 2
	ds_bpermute_b32 v51, v63, v72
	ds_bpermute_b32 v52, v63, v53
	ds_bpermute_b32 v65, v63, v54
	v_cmpx_le_u32_e64 v64, v50
	s_cbranch_execz .LBB1010_109
; %bb.108:
	v_cmp_eq_u32_e32 vcc_lo, 0, v72
	s_waitcnt lgkmcnt(0)
	v_dual_cndmask_b32 v65, 0, v65 :: v_dual_add_nc_u32 v72, v51, v72
	v_cndmask_b32_e32 v52, 0, v52, vcc_lo
	s_delay_alu instid0(VALU_DEP_1) | instskip(NEXT) | instid1(VALU_DEP_3)
	v_add_co_u32 v53, vcc_lo, v52, v53
	v_add_co_ci_u32_e32 v54, vcc_lo, v65, v54, vcc_lo
.LBB1010_109:
	s_or_b32 exec_lo, exec_lo, s17
	v_cmp_gt_u32_e32 vcc_lo, 28, v97
	v_add_nc_u32_e32 v66, 4, v97
	s_mov_b32 s17, exec_lo
	s_waitcnt lgkmcnt(2)
	v_cndmask_b32_e64 v51, 0, 1, vcc_lo
	s_delay_alu instid0(VALU_DEP_1) | instskip(SKIP_1) | instid1(VALU_DEP_1)
	v_lshlrev_b32_e32 v51, 2, v51
	s_waitcnt lgkmcnt(0)
	v_add_lshl_u32 v65, v51, v97, 2
	ds_bpermute_b32 v51, v65, v72
	ds_bpermute_b32 v52, v65, v53
	ds_bpermute_b32 v67, v65, v54
	v_cmpx_le_u32_e64 v66, v50
	;; [unrolled: 24-line block ×3, first 2 shown]
	s_cbranch_execz .LBB1010_113
; %bb.112:
	v_cmp_eq_u32_e32 vcc_lo, 0, v72
	s_waitcnt lgkmcnt(0)
	v_dual_cndmask_b32 v69, 0, v69 :: v_dual_add_nc_u32 v72, v51, v72
	v_cndmask_b32_e32 v52, 0, v52, vcc_lo
	s_delay_alu instid0(VALU_DEP_1) | instskip(NEXT) | instid1(VALU_DEP_3)
	v_add_co_u32 v53, vcc_lo, v52, v53
	v_add_co_ci_u32_e32 v54, vcc_lo, v69, v54, vcc_lo
.LBB1010_113:
	s_or_b32 exec_lo, exec_lo, s17
	v_cmp_gt_u32_e32 vcc_lo, 16, v97
	v_add_nc_u32_e32 v71, 16, v97
	s_mov_b32 s17, exec_lo
	s_waitcnt lgkmcnt(2)
	v_cndmask_b32_e64 v51, 0, 1, vcc_lo
	s_delay_alu instid0(VALU_DEP_1) | instskip(NEXT) | instid1(VALU_DEP_1)
	v_lshlrev_b32_e32 v51, 4, v51
	v_add_lshl_u32 v70, v51, v97, 2
	ds_bpermute_b32 v51, v70, v72
	s_waitcnt lgkmcnt(2)
	ds_bpermute_b32 v52, v70, v53
	s_waitcnt lgkmcnt(2)
	ds_bpermute_b32 v69, v70, v54
	v_cmpx_le_u32_e64 v71, v50
	s_cbranch_execz .LBB1010_115
; %bb.114:
	v_cmp_eq_u32_e32 vcc_lo, 0, v72
	s_waitcnt lgkmcnt(2)
	v_add_nc_u32_e32 v72, v51, v72
	s_waitcnt lgkmcnt(1)
	v_cndmask_b32_e32 v52, 0, v52, vcc_lo
	s_waitcnt lgkmcnt(0)
	v_cndmask_b32_e32 v50, 0, v69, vcc_lo
	s_delay_alu instid0(VALU_DEP_2) | instskip(NEXT) | instid1(VALU_DEP_2)
	v_add_co_u32 v53, vcc_lo, v52, v53
	v_add_co_ci_u32_e32 v54, vcc_lo, v50, v54, vcc_lo
.LBB1010_115:
	s_or_b32 exec_lo, exec_lo, s17
	v_mov_b32_e32 v50, 0
	s_branch .LBB1010_117
.LBB1010_116:                           ;   in Loop: Header=BB1010_117 Depth=1
	s_or_b32 exec_lo, exec_lo, s17
	v_cmp_eq_u32_e32 vcc_lo, 0, v69
	v_subrev_nc_u32_e32 v49, 32, v49
	v_add_nc_u32_e32 v72, v72, v69
	v_dual_cndmask_b32 v54, 0, v54 :: v_dual_cndmask_b32 v53, 0, v53
	s_delay_alu instid0(VALU_DEP_1) | instskip(NEXT) | instid1(VALU_DEP_2)
	v_add_co_u32 v53, vcc_lo, v53, v51
	v_add_co_ci_u32_e32 v54, vcc_lo, v54, v52, vcc_lo
.LBB1010_117:                           ; =>This Loop Header: Depth=1
                                        ;     Child Loop BB1010_120 Depth 2
                                        ;       Child Loop BB1010_121 Depth 3
	s_waitcnt lgkmcnt(2)
	v_and_b32_e32 v51, 0xff, v60
	s_waitcnt lgkmcnt(0)
	v_mov_b32_e32 v69, v72
	s_delay_alu instid0(VALU_DEP_2) | instskip(SKIP_2) | instid1(VALU_DEP_1)
	v_cmp_ne_u16_e32 vcc_lo, 2, v51
	v_cndmask_b32_e64 v51, 0, 1, vcc_lo
	;;#ASMSTART
	;;#ASMEND
	v_cmp_ne_u32_e32 vcc_lo, 0, v51
	v_dual_mov_b32 v51, v53 :: v_dual_mov_b32 v52, v54
	s_cmp_lg_u32 vcc_lo, exec_lo
	s_cbranch_scc1 .LBB1010_134
; %bb.118:                              ;   in Loop: Header=BB1010_117 Depth=1
	global_load_u8 v60, v49, s[40:41] glc
	s_mov_b32 s17, exec_lo
	s_waitcnt vmcnt(0)
	v_cmpx_eq_u16_e32 0, v60
	s_cbranch_execz .LBB1010_124
; %bb.119:                              ;   in Loop: Header=BB1010_117 Depth=1
	v_add_co_u32 v53, s18, s40, v49
	s_delay_alu instid0(VALU_DEP_1)
	v_add_co_ci_u32_e64 v54, null, s41, 0, s18
	s_mov_b32 s19, 1
	s_mov_b32 s18, 0
.LBB1010_120:                           ;   Parent Loop BB1010_117 Depth=1
                                        ; =>  This Loop Header: Depth=2
                                        ;       Child Loop BB1010_121 Depth 3
	s_max_u32 s20, s19, 1
.LBB1010_121:                           ;   Parent Loop BB1010_117 Depth=1
                                        ;     Parent Loop BB1010_120 Depth=2
                                        ; =>    This Inner Loop Header: Depth=3
	s_delay_alu instid0(SALU_CYCLE_1)
	s_add_i32 s20, s20, -1
	s_sleep 1
	s_cmp_eq_u32 s20, 0
	s_cbranch_scc0 .LBB1010_121
; %bb.122:                              ;   in Loop: Header=BB1010_120 Depth=2
	global_load_u8 v60, v[53:54], off glc
	s_cmp_lt_u32 s19, 32
	s_cselect_b32 s20, -1, 0
	s_delay_alu instid0(SALU_CYCLE_1) | instskip(SKIP_4) | instid1(SALU_CYCLE_1)
	s_cmp_lg_u32 s20, 0
	s_addc_u32 s19, s19, 0
	s_waitcnt vmcnt(0)
	v_cmp_ne_u16_e32 vcc_lo, 0, v60
	s_or_b32 s18, vcc_lo, s18
	s_and_not1_b32 exec_lo, exec_lo, s18
	s_cbranch_execnz .LBB1010_120
; %bb.123:                              ;   in Loop: Header=BB1010_117 Depth=1
	s_or_b32 exec_lo, exec_lo, s18
.LBB1010_124:                           ;   in Loop: Header=BB1010_117 Depth=1
	s_delay_alu instid0(SALU_CYCLE_1)
	s_or_b32 exec_lo, exec_lo, s17
	v_dual_mov_b32 v72, s37 :: v_dual_mov_b32 v73, s36
	v_cmp_eq_u16_e32 vcc_lo, 1, v60
	v_lshlrev_b64 v[53:54], 4, v[49:50]
	buffer_gl1_inv
	buffer_gl0_inv
	s_mov_b32 s17, exec_lo
	v_cndmask_b32_e32 v73, s38, v73, vcc_lo
	v_cndmask_b32_e32 v72, s39, v72, vcc_lo
	s_delay_alu instid0(VALU_DEP_2) | instskip(NEXT) | instid1(VALU_DEP_2)
	v_add_co_u32 v53, vcc_lo, v73, v53
	v_add_co_ci_u32_e32 v54, vcc_lo, v72, v54, vcc_lo
	v_cmp_eq_u16_e32 vcc_lo, 2, v60
	s_clause 0x1
	global_load_b32 v72, v[53:54], off
	global_load_b64 v[53:54], v[53:54], off offset:8
	v_and_or_b32 v73, vcc_lo, v62, 0x80000000
	s_delay_alu instid0(VALU_DEP_1)
	v_ctz_i32_b32_e32 v73, v73
	s_waitcnt vmcnt(1)
	ds_bpermute_b32 v74, v61, v72
	s_waitcnt vmcnt(0)
	ds_bpermute_b32 v75, v61, v53
	ds_bpermute_b32 v76, v61, v54
	v_cmpx_lt_u32_e64 v97, v73
	s_cbranch_execz .LBB1010_126
; %bb.125:                              ;   in Loop: Header=BB1010_117 Depth=1
	v_cmp_eq_u32_e32 vcc_lo, 0, v72
	s_waitcnt lgkmcnt(2)
	v_add_nc_u32_e32 v72, v74, v72
	s_waitcnt lgkmcnt(0)
	v_dual_cndmask_b32 v76, 0, v76 :: v_dual_cndmask_b32 v75, 0, v75
	s_delay_alu instid0(VALU_DEP_1) | instskip(NEXT) | instid1(VALU_DEP_2)
	v_add_co_u32 v53, vcc_lo, v75, v53
	v_add_co_ci_u32_e32 v54, vcc_lo, v76, v54, vcc_lo
.LBB1010_126:                           ;   in Loop: Header=BB1010_117 Depth=1
	s_or_b32 exec_lo, exec_lo, s17
	s_waitcnt lgkmcnt(2)
	ds_bpermute_b32 v74, v63, v72
	s_waitcnt lgkmcnt(2)
	ds_bpermute_b32 v75, v63, v53
	s_waitcnt lgkmcnt(2)
	ds_bpermute_b32 v76, v63, v54
	s_mov_b32 s17, exec_lo
	v_cmpx_le_u32_e64 v64, v73
	s_cbranch_execz .LBB1010_128
; %bb.127:                              ;   in Loop: Header=BB1010_117 Depth=1
	v_cmp_eq_u32_e32 vcc_lo, 0, v72
	s_waitcnt lgkmcnt(2)
	v_add_nc_u32_e32 v72, v74, v72
	s_waitcnt lgkmcnt(0)
	v_dual_cndmask_b32 v76, 0, v76 :: v_dual_cndmask_b32 v75, 0, v75
	s_delay_alu instid0(VALU_DEP_1) | instskip(NEXT) | instid1(VALU_DEP_2)
	v_add_co_u32 v53, vcc_lo, v75, v53
	v_add_co_ci_u32_e32 v54, vcc_lo, v76, v54, vcc_lo
.LBB1010_128:                           ;   in Loop: Header=BB1010_117 Depth=1
	s_or_b32 exec_lo, exec_lo, s17
	s_waitcnt lgkmcnt(2)
	ds_bpermute_b32 v74, v65, v72
	s_waitcnt lgkmcnt(2)
	ds_bpermute_b32 v75, v65, v53
	s_waitcnt lgkmcnt(2)
	ds_bpermute_b32 v76, v65, v54
	s_mov_b32 s17, exec_lo
	v_cmpx_le_u32_e64 v66, v73
	;; [unrolled: 20-line block ×4, first 2 shown]
	s_cbranch_execz .LBB1010_116
; %bb.133:                              ;   in Loop: Header=BB1010_117 Depth=1
	v_cmp_eq_u32_e32 vcc_lo, 0, v72
	s_waitcnt lgkmcnt(1)
	v_dual_cndmask_b32 v75, 0, v75 :: v_dual_add_nc_u32 v72, v74, v72
	s_waitcnt lgkmcnt(0)
	v_cndmask_b32_e32 v73, 0, v76, vcc_lo
	s_delay_alu instid0(VALU_DEP_2) | instskip(NEXT) | instid1(VALU_DEP_2)
	v_add_co_u32 v53, vcc_lo, v75, v53
	v_add_co_ci_u32_e32 v54, vcc_lo, v73, v54, vcc_lo
	s_branch .LBB1010_116
.LBB1010_134:                           ;   in Loop: Header=BB1010_117 Depth=1
                                        ; implicit-def: $vgpr53_vgpr54
                                        ; implicit-def: $vgpr72
                                        ; implicit-def: $vgpr60
	s_cbranch_execz .LBB1010_117
; %bb.135:
	s_and_saveexec_b32 s17, s13
	s_cbranch_execz .LBB1010_137
; %bb.136:
	v_cmp_eq_u32_e32 vcc_lo, 0, v59
	s_mov_b32 s19, 0
	s_add_i32 s18, s15, 32
	v_dual_mov_b32 v54, 0 :: v_dual_add_nc_u32 v53, v69, v59
	v_dual_cndmask_b32 v50, 0, v52 :: v_dual_cndmask_b32 v49, 0, v51
	s_lshl_b64 s[20:21], s[18:19], 4
	v_dual_mov_b32 v60, s18 :: v_dual_mov_b32 v61, 2
	s_add_u32 s20, s38, s20
	s_delay_alu instid0(VALU_DEP_2)
	v_add_co_u32 v49, vcc_lo, v49, v47
	v_add_co_ci_u32_e32 v50, vcc_lo, v50, v48, vcc_lo
	s_addc_u32 s21, s39, s21
	s_clause 0x1
	global_store_b32 v54, v53, s[20:21]
	global_store_b64 v54, v[49:50], s[20:21] offset:8
	s_waitcnt lgkmcnt(0)
	s_waitcnt_vscnt null, 0x0
	buffer_gl1_inv
	buffer_gl0_inv
	global_store_b8 v60, v61, s[40:41]
	ds_store_b32 v54, v59 offset:2048
	ds_store_b64 v54, v[47:48] offset:2056
	ds_store_b32 v54, v69 offset:2064
	ds_store_b64 v54, v[51:52] offset:2072
.LBB1010_137:
	s_or_b32 exec_lo, exec_lo, s17
	v_cmp_eq_u32_e32 vcc_lo, 0, v0
	s_and_b32 exec_lo, exec_lo, vcc_lo
	s_cbranch_execz .LBB1010_139
; %bb.138:
	v_mov_b32_e32 v47, 0
	ds_store_b32 v47, v69 offset:2192
	ds_store_b64 v47, v[51:52] offset:2200
.LBB1010_139:
	s_or_b32 exec_lo, exec_lo, s16
	s_waitcnt lgkmcnt(2)
	v_cndmask_b32_e64 v50, v58, v55, s13
	s_waitcnt lgkmcnt(0)
	s_waitcnt_vscnt null, 0x0
	s_barrier
	buffer_gl0_inv
	v_cndmask_b32_e64 v45, v57, v45, s13
	v_cmp_eq_u32_e32 vcc_lo, 0, v50
	v_mov_b32_e32 v49, 0
	v_cndmask_b32_e64 v46, v56, v46, s13
	ds_load_b64 v[47:48], v49 offset:2200
	s_waitcnt lgkmcnt(0)
	v_dual_cndmask_b32 v52, 0, v47 :: v_dual_cndmask_b32 v51, 0, v48
	s_delay_alu instid0(VALU_DEP_1) | instskip(NEXT) | instid1(VALU_DEP_2)
	v_add_co_u32 v45, vcc_lo, v52, v45
	v_add_co_ci_u32_e32 v46, vcc_lo, v51, v46, vcc_lo
	v_cmp_eq_u32_e32 vcc_lo, 0, v0
	v_cndmask_b32_e64 v50, v50, 0, vcc_lo
	s_delay_alu instid0(VALU_DEP_3)
	v_dual_cndmask_b32 v62, v46, v48 :: v_dual_cndmask_b32 v61, v45, v47
	v_cmp_eq_u32_e32 vcc_lo, 0, v96
	ds_load_b32 v48, v49 offset:2192
	s_waitcnt lgkmcnt(0)
	s_barrier
	buffer_gl0_inv
	v_dual_cndmask_b32 v46, 0, v61 :: v_dual_cndmask_b32 v45, 0, v62
	ds_load_b64 v[100:101], v49 offset:2056
	v_add_co_u32 v59, vcc_lo, v46, v41
	v_add_co_ci_u32_e32 v60, vcc_lo, v45, v42, vcc_lo
	s_delay_alu instid0(VALU_DEP_2) | instskip(NEXT) | instid1(VALU_DEP_2)
	v_cndmask_b32_e64 v45, 0, v59, s12
	v_cndmask_b32_e64 v46, 0, v60, s12
	s_delay_alu instid0(VALU_DEP_2) | instskip(NEXT) | instid1(VALU_DEP_2)
	v_add_co_u32 v65, vcc_lo, v45, v39
	v_add_co_ci_u32_e32 v66, vcc_lo, v46, v40, vcc_lo
	v_add_nc_u32_e32 v98, v48, v50
	s_delay_alu instid0(VALU_DEP_3) | instskip(NEXT) | instid1(VALU_DEP_3)
	v_cndmask_b32_e64 v45, 0, v65, s11
	v_cndmask_b32_e64 v46, 0, v66, s11
	s_delay_alu instid0(VALU_DEP_2) | instskip(NEXT) | instid1(VALU_DEP_2)
	v_add_co_u32 v69, vcc_lo, v45, v37
	v_add_co_ci_u32_e32 v70, vcc_lo, v46, v38, vcc_lo
	s_delay_alu instid0(VALU_DEP_2) | instskip(NEXT) | instid1(VALU_DEP_2)
	v_cndmask_b32_e64 v45, 0, v69, s10
	v_cndmask_b32_e64 v46, 0, v70, s10
	s_delay_alu instid0(VALU_DEP_2) | instskip(NEXT) | instid1(VALU_DEP_2)
	v_add_co_u32 v51, vcc_lo, v45, v35
	v_add_co_ci_u32_e32 v52, vcc_lo, v46, v36, vcc_lo
	s_delay_alu instid0(VALU_DEP_2) | instskip(NEXT) | instid1(VALU_DEP_2)
	;; [unrolled: 6-line block ×7, first 2 shown]
	v_cndmask_b32_e64 v45, 0, v53, s4
	v_cndmask_b32_e64 v46, 0, v54, s4
	s_delay_alu instid0(VALU_DEP_2) | instskip(NEXT) | instid1(VALU_DEP_2)
	v_add_co_u32 v57, vcc_lo, v45, v25
	v_add_co_ci_u32_e32 v58, vcc_lo, v46, v26, vcc_lo
	ds_load_b32 v45, v49 offset:2048
	v_cndmask_b32_e64 v46, 0, v57, s3
	v_cndmask_b32_e64 v47, 0, v58, s3
	s_delay_alu instid0(VALU_DEP_2) | instskip(NEXT) | instid1(VALU_DEP_2)
	v_add_co_u32 v73, vcc_lo, v46, v21
	v_add_co_ci_u32_e32 v74, vcc_lo, v47, v22, vcc_lo
	ds_load_b64 v[46:47], v49 offset:2072
	v_cndmask_b32_e64 v75, 0, v73, s2
	ds_load_b32 v49, v49 offset:2064
	v_cndmask_b32_e64 v76, 0, v74, s2
	v_add_co_u32 v77, vcc_lo, v75, v19
	s_delay_alu instid0(VALU_DEP_2) | instskip(SKIP_2) | instid1(VALU_DEP_3)
	v_add_co_ci_u32_e32 v78, vcc_lo, v76, v20, vcc_lo
	s_waitcnt lgkmcnt(2)
	v_cmp_eq_u32_e32 vcc_lo, 0, v45
	v_cndmask_b32_e64 v75, 0, v77, s1
	s_delay_alu instid0(VALU_DEP_3) | instskip(NEXT) | instid1(VALU_DEP_2)
	v_cndmask_b32_e64 v76, 0, v78, s1
	v_add_co_u32 v75, s1, v75, v17
	s_delay_alu instid0(VALU_DEP_1)
	v_add_co_ci_u32_e64 v76, s1, v76, v18, s1
	s_waitcnt lgkmcnt(1)
	v_cndmask_b32_e32 v46, 0, v46, vcc_lo
	v_cndmask_b32_e32 v102, 0, v47, vcc_lo
	v_cndmask_b32_e64 v79, 0, v75, s0
	v_cndmask_b32_e64 v80, 0, v76, s0
	s_delay_alu instid0(VALU_DEP_4) | instskip(NEXT) | instid1(VALU_DEP_4)
	v_add_co_u32 v47, vcc_lo, v46, v100
	v_add_co_ci_u32_e32 v48, vcc_lo, v102, v101, vcc_lo
	s_branch .LBB1010_168
.LBB1010_140:
                                        ; implicit-def: $vgpr45
                                        ; implicit-def: $vgpr47_vgpr48
                                        ; implicit-def: $vgpr49
                                        ; implicit-def: $vgpr61_vgpr62
                                        ; implicit-def: $vgpr59_vgpr60
                                        ; implicit-def: $vgpr65_vgpr66
                                        ; implicit-def: $vgpr69_vgpr70
                                        ; implicit-def: $vgpr51_vgpr52
                                        ; implicit-def: $vgpr55_vgpr56
                                        ; implicit-def: $vgpr63_vgpr64
                                        ; implicit-def: $vgpr67_vgpr68
                                        ; implicit-def: $vgpr71_vgpr72
                                        ; implicit-def: $vgpr53_vgpr54
                                        ; implicit-def: $vgpr57_vgpr58
                                        ; implicit-def: $vgpr73_vgpr74
                                        ; implicit-def: $vgpr77_vgpr78
                                        ; implicit-def: $vgpr75_vgpr76
                                        ; implicit-def: $vgpr79_vgpr80
                                        ; implicit-def: $vgpr98
	s_cbranch_execz .LBB1010_168
; %bb.141:
	s_and_b32 s0, s14, exec_lo
	s_waitcnt lgkmcnt(0)
	v_dual_mov_b32 v50, v42 :: v_dual_mov_b32 v49, v41
	s_cselect_b32 s1, 0, s29
	s_cselect_b32 s0, 0, s28
	s_delay_alu instid0(SALU_CYCLE_1)
	s_cmp_eq_u64 s[0:1], 0
	s_cbranch_scc1 .LBB1010_143
; %bb.142:
	v_mov_b32_e32 v45, 0
	global_load_b64 v[49:50], v45, s[0:1]
.LBB1010_143:
	v_cmp_eq_u32_e64 s11, 0, v95
	v_cmp_eq_u32_e64 s10, 0, v94
	;; [unrolled: 1-line block ×5, first 2 shown]
	v_cndmask_b32_e64 v46, 0, v41, s11
	v_cndmask_b32_e64 v45, 0, v42, s11
	v_cmp_eq_u32_e64 s6, 0, v90
	v_cmp_eq_u32_e64 s5, 0, v88
	;; [unrolled: 1-line block ×3, first 2 shown]
	v_add_co_u32 v46, vcc_lo, v46, v39
	v_add_co_ci_u32_e32 v45, vcc_lo, v45, v40, vcc_lo
	v_cmp_eq_u32_e64 s3, 0, v86
	s_delay_alu instid0(VALU_DEP_3) | instskip(SKIP_1) | instid1(VALU_DEP_4)
	v_cndmask_b32_e64 v46, 0, v46, s10
	v_cmp_eq_u32_e64 s2, 0, v85
	v_cndmask_b32_e64 v45, 0, v45, s10
	v_cmp_eq_u32_e64 s1, 0, v83
	v_add3_u32 v47, v99, v91, v90
	v_add_co_u32 v46, vcc_lo, v46, v37
	s_delay_alu instid0(VALU_DEP_4) | instskip(NEXT) | instid1(VALU_DEP_3)
	v_add_co_ci_u32_e32 v45, vcc_lo, v45, v38, vcc_lo
	v_add3_u32 v47, v47, v88, v87
	s_delay_alu instid0(VALU_DEP_3) | instskip(SKIP_1) | instid1(VALU_DEP_3)
	v_cndmask_b32_e64 v46, 0, v46, s9
	s_mov_b32 s13, exec_lo
	v_cndmask_b32_e64 v45, 0, v45, s9
	s_delay_alu instid0(VALU_DEP_3) | instskip(NEXT) | instid1(VALU_DEP_3)
	v_add3_u32 v47, v47, v86, v85
	v_add_co_u32 v46, vcc_lo, v46, v35
	s_delay_alu instid0(VALU_DEP_3) | instskip(NEXT) | instid1(VALU_DEP_3)
	v_add_co_ci_u32_e32 v45, vcc_lo, v45, v36, vcc_lo
	v_add3_u32 v47, v47, v84, v83
	s_delay_alu instid0(VALU_DEP_3) | instskip(NEXT) | instid1(VALU_DEP_3)
	v_cndmask_b32_e64 v46, 0, v46, s8
	v_cndmask_b32_e64 v45, 0, v45, s8
	s_delay_alu instid0(VALU_DEP_3) | instskip(NEXT) | instid1(VALU_DEP_3)
	v_add3_u32 v47, v47, v82, v89
	v_add_co_u32 v46, vcc_lo, v46, v33
	s_delay_alu instid0(VALU_DEP_3) | instskip(NEXT) | instid1(VALU_DEP_2)
	v_add_co_ci_u32_e32 v45, vcc_lo, v45, v34, vcc_lo
	v_cndmask_b32_e64 v46, 0, v46, s7
	s_delay_alu instid0(VALU_DEP_2) | instskip(NEXT) | instid1(VALU_DEP_2)
	v_cndmask_b32_e64 v45, 0, v45, s7
	v_add_co_u32 v46, vcc_lo, v46, v31
	s_delay_alu instid0(VALU_DEP_2) | instskip(NEXT) | instid1(VALU_DEP_2)
	v_add_co_ci_u32_e32 v45, vcc_lo, v45, v32, vcc_lo
	v_cndmask_b32_e64 v46, 0, v46, s6
	s_delay_alu instid0(VALU_DEP_2) | instskip(NEXT) | instid1(VALU_DEP_2)
	v_cndmask_b32_e64 v45, 0, v45, s6
	v_add_co_u32 v46, vcc_lo, v46, v27
	s_delay_alu instid0(VALU_DEP_2) | instskip(NEXT) | instid1(VALU_DEP_2)
	;; [unrolled: 6-line block ×5, first 2 shown]
	v_add_co_ci_u32_e32 v45, vcc_lo, v45, v26, vcc_lo
	v_cndmask_b32_e64 v46, 0, v46, s2
	s_delay_alu instid0(VALU_DEP_2) | instskip(NEXT) | instid1(VALU_DEP_2)
	v_cndmask_b32_e64 v45, 0, v45, s2
	v_add_co_u32 v46, vcc_lo, v46, v21
	s_delay_alu instid0(VALU_DEP_2) | instskip(SKIP_1) | instid1(VALU_DEP_2)
	v_add_co_ci_u32_e32 v45, vcc_lo, v45, v22, vcc_lo
	v_cmp_eq_u32_e32 vcc_lo, 0, v84
	v_dual_cndmask_b32 v45, 0, v45 :: v_dual_cndmask_b32 v46, 0, v46
	s_delay_alu instid0(VALU_DEP_1) | instskip(NEXT) | instid1(VALU_DEP_1)
	v_add_co_u32 v46, s0, v46, v19
	v_add_co_ci_u32_e64 v45, s0, v45, v20, s0
	s_delay_alu instid0(VALU_DEP_2) | instskip(NEXT) | instid1(VALU_DEP_2)
	v_cndmask_b32_e64 v46, 0, v46, s1
	v_cndmask_b32_e64 v45, 0, v45, s1
	s_delay_alu instid0(VALU_DEP_2) | instskip(NEXT) | instid1(VALU_DEP_1)
	v_add_co_u32 v46, s0, v46, v17
	v_add_co_ci_u32_e64 v45, s0, v45, v18, s0
	v_cmp_eq_u32_e64 s0, 0, v82
	s_delay_alu instid0(VALU_DEP_1) | instskip(NEXT) | instid1(VALU_DEP_3)
	v_cndmask_b32_e64 v46, 0, v46, s0
	v_cndmask_b32_e64 v45, 0, v45, s0
	s_delay_alu instid0(VALU_DEP_2) | instskip(NEXT) | instid1(VALU_DEP_1)
	v_add_co_u32 v46, s12, v46, v15
	v_add_co_ci_u32_e64 v45, s12, v45, v16, s12
	v_cmp_eq_u32_e64 s12, 0, v89
	s_delay_alu instid0(VALU_DEP_1) | instskip(NEXT) | instid1(VALU_DEP_3)
	v_cndmask_b32_e64 v46, 0, v46, s12
	v_cndmask_b32_e64 v45, 0, v45, s12
	s_delay_alu instid0(VALU_DEP_2) | instskip(NEXT) | instid1(VALU_DEP_1)
	v_add_co_u32 v43, s12, v46, v43
	v_add_co_ci_u32_e64 v44, s12, v45, v44, s12
	v_and_b32_e32 v45, 15, v97
	v_mov_b32_dpp v46, v47 row_shr:1 row_mask:0xf bank_mask:0xf
	s_delay_alu instid0(VALU_DEP_4) | instskip(NEXT) | instid1(VALU_DEP_4)
	v_mov_b32_dpp v48, v43 row_shr:1 row_mask:0xf bank_mask:0xf
	v_mov_b32_dpp v51, v44 row_shr:1 row_mask:0xf bank_mask:0xf
	s_delay_alu instid0(VALU_DEP_4)
	v_cmpx_ne_u32_e32 0, v45
; %bb.144:
	v_cmp_eq_u32_e64 s12, 0, v47
	v_add_nc_u32_e32 v47, v46, v47
	s_delay_alu instid0(VALU_DEP_2) | instskip(SKIP_1) | instid1(VALU_DEP_2)
	v_cndmask_b32_e64 v48, 0, v48, s12
	v_cndmask_b32_e64 v51, 0, v51, s12
	v_add_co_u32 v43, s12, v48, v43
	s_delay_alu instid0(VALU_DEP_1)
	v_add_co_ci_u32_e64 v44, s12, v51, v44, s12
; %bb.145:
	s_or_b32 exec_lo, exec_lo, s13
	v_mov_b32_dpp v46, v47 row_shr:2 row_mask:0xf bank_mask:0xf
	s_delay_alu instid0(VALU_DEP_3) | instskip(NEXT) | instid1(VALU_DEP_3)
	v_mov_b32_dpp v48, v43 row_shr:2 row_mask:0xf bank_mask:0xf
	v_mov_b32_dpp v51, v44 row_shr:2 row_mask:0xf bank_mask:0xf
	s_mov_b32 s13, exec_lo
	v_cmpx_lt_u32_e32 1, v45
; %bb.146:
	v_cmp_eq_u32_e64 s12, 0, v47
	v_add_nc_u32_e32 v47, v46, v47
	s_delay_alu instid0(VALU_DEP_2) | instskip(SKIP_1) | instid1(VALU_DEP_2)
	v_cndmask_b32_e64 v48, 0, v48, s12
	v_cndmask_b32_e64 v51, 0, v51, s12
	v_add_co_u32 v43, s12, v48, v43
	s_delay_alu instid0(VALU_DEP_1)
	v_add_co_ci_u32_e64 v44, s12, v51, v44, s12
; %bb.147:
	s_or_b32 exec_lo, exec_lo, s13
	v_mov_b32_dpp v46, v47 row_shr:4 row_mask:0xf bank_mask:0xf
	s_delay_alu instid0(VALU_DEP_3) | instskip(NEXT) | instid1(VALU_DEP_3)
	v_mov_b32_dpp v48, v43 row_shr:4 row_mask:0xf bank_mask:0xf
	v_mov_b32_dpp v51, v44 row_shr:4 row_mask:0xf bank_mask:0xf
	s_mov_b32 s13, exec_lo
	v_cmpx_lt_u32_e32 3, v45
	;; [unrolled: 17-line block ×3, first 2 shown]
; %bb.150:
	v_cmp_eq_u32_e64 s12, 0, v47
	v_add_nc_u32_e32 v47, v46, v47
	s_delay_alu instid0(VALU_DEP_2) | instskip(SKIP_1) | instid1(VALU_DEP_2)
	v_cndmask_b32_e64 v48, 0, v48, s12
	v_cndmask_b32_e64 v45, 0, v51, s12
	v_add_co_u32 v43, s12, v48, v43
	s_delay_alu instid0(VALU_DEP_1)
	v_add_co_ci_u32_e64 v44, s12, v45, v44, s12
; %bb.151:
	s_or_b32 exec_lo, exec_lo, s13
	ds_swizzle_b32 v45, v47 offset:swizzle(BROADCAST,32,15)
	ds_swizzle_b32 v46, v43 offset:swizzle(BROADCAST,32,15)
	;; [unrolled: 1-line block ×3, first 2 shown]
	v_and_b32_e32 v51, 16, v97
	s_mov_b32 s13, exec_lo
	s_delay_alu instid0(VALU_DEP_1)
	v_cmpx_ne_u32_e32 0, v51
	s_cbranch_execz .LBB1010_153
; %bb.152:
	v_cmp_eq_u32_e64 s12, 0, v47
	s_waitcnt lgkmcnt(2)
	v_add_nc_u32_e32 v47, v45, v47
	s_waitcnt lgkmcnt(1)
	s_delay_alu instid0(VALU_DEP_2) | instskip(SKIP_2) | instid1(VALU_DEP_2)
	v_cndmask_b32_e64 v46, 0, v46, s12
	s_waitcnt lgkmcnt(0)
	v_cndmask_b32_e64 v48, 0, v48, s12
	v_add_co_u32 v43, s12, v46, v43
	s_delay_alu instid0(VALU_DEP_1)
	v_add_co_ci_u32_e64 v44, s12, v48, v44, s12
.LBB1010_153:
	s_or_b32 exec_lo, exec_lo, s13
	s_waitcnt lgkmcnt(2)
	v_or_b32_e32 v45, 31, v0
	s_waitcnt lgkmcnt(0)
	v_lshrrev_b32_e32 v48, 5, v0
	s_mov_b32 s13, exec_lo
	s_delay_alu instid0(VALU_DEP_2)
	v_cmpx_eq_u32_e64 v45, v0
	s_cbranch_execz .LBB1010_155
; %bb.154:
	s_delay_alu instid0(VALU_DEP_2)
	v_lshlrev_b32_e32 v45, 4, v48
	ds_store_b32 v45, v47 offset:2080
	ds_store_b64 v45, v[43:44] offset:2088
.LBB1010_155:
	s_or_b32 exec_lo, exec_lo, s13
	s_delay_alu instid0(SALU_CYCLE_1)
	s_mov_b32 s13, exec_lo
	s_waitcnt vmcnt(0) lgkmcnt(0)
	s_barrier
	buffer_gl0_inv
	v_cmpx_gt_u32_e32 8, v0
	s_cbranch_execz .LBB1010_163
; %bb.156:
	v_lshlrev_b32_e32 v51, 4, v0
	v_and_b32_e32 v53, 7, v97
	s_mov_b32 s15, exec_lo
	ds_load_b32 v52, v51 offset:2080
	ds_load_b64 v[45:46], v51 offset:2088
	s_waitcnt lgkmcnt(1)
	v_mov_b32_dpp v54, v52 row_shr:1 row_mask:0xf bank_mask:0xf
	s_waitcnt lgkmcnt(0)
	v_mov_b32_dpp v55, v45 row_shr:1 row_mask:0xf bank_mask:0xf
	v_mov_b32_dpp v56, v46 row_shr:1 row_mask:0xf bank_mask:0xf
	v_cmpx_ne_u32_e32 0, v53
; %bb.157:
	v_cmp_eq_u32_e64 s12, 0, v52
	v_add_nc_u32_e32 v52, v54, v52
	s_delay_alu instid0(VALU_DEP_2) | instskip(SKIP_1) | instid1(VALU_DEP_2)
	v_cndmask_b32_e64 v55, 0, v55, s12
	v_cndmask_b32_e64 v56, 0, v56, s12
	v_add_co_u32 v45, s12, v55, v45
	s_delay_alu instid0(VALU_DEP_1)
	v_add_co_ci_u32_e64 v46, s12, v56, v46, s12
; %bb.158:
	s_or_b32 exec_lo, exec_lo, s15
	v_mov_b32_dpp v54, v52 row_shr:2 row_mask:0xf bank_mask:0xf
	s_delay_alu instid0(VALU_DEP_3) | instskip(NEXT) | instid1(VALU_DEP_3)
	v_mov_b32_dpp v55, v45 row_shr:2 row_mask:0xf bank_mask:0xf
	v_mov_b32_dpp v56, v46 row_shr:2 row_mask:0xf bank_mask:0xf
	s_mov_b32 s15, exec_lo
	v_cmpx_lt_u32_e32 1, v53
; %bb.159:
	v_cmp_eq_u32_e64 s12, 0, v52
	v_add_nc_u32_e32 v52, v54, v52
	s_delay_alu instid0(VALU_DEP_2) | instskip(SKIP_1) | instid1(VALU_DEP_2)
	v_cndmask_b32_e64 v55, 0, v55, s12
	v_cndmask_b32_e64 v56, 0, v56, s12
	v_add_co_u32 v45, s12, v55, v45
	s_delay_alu instid0(VALU_DEP_1)
	v_add_co_ci_u32_e64 v46, s12, v56, v46, s12
; %bb.160:
	s_or_b32 exec_lo, exec_lo, s15
	v_mov_b32_dpp v54, v52 row_shr:4 row_mask:0xf bank_mask:0xf
	s_delay_alu instid0(VALU_DEP_3) | instskip(NEXT) | instid1(VALU_DEP_3)
	v_mov_b32_dpp v55, v45 row_shr:4 row_mask:0xf bank_mask:0xf
	v_mov_b32_dpp v56, v46 row_shr:4 row_mask:0xf bank_mask:0xf
	s_mov_b32 s15, exec_lo
	v_cmpx_lt_u32_e32 3, v53
; %bb.161:
	v_cmp_eq_u32_e64 s12, 0, v52
	v_add_nc_u32_e32 v52, v54, v52
	s_delay_alu instid0(VALU_DEP_2) | instskip(SKIP_1) | instid1(VALU_DEP_2)
	v_cndmask_b32_e64 v55, 0, v55, s12
	v_cndmask_b32_e64 v53, 0, v56, s12
	v_add_co_u32 v45, s12, v55, v45
	s_delay_alu instid0(VALU_DEP_1)
	v_add_co_ci_u32_e64 v46, s12, v53, v46, s12
; %bb.162:
	s_or_b32 exec_lo, exec_lo, s15
	ds_store_b32 v51, v52 offset:2080
	ds_store_b64 v51, v[45:46] offset:2088
.LBB1010_163:
	s_or_b32 exec_lo, exec_lo, s13
	v_mov_b32_e32 v45, v49
	v_dual_mov_b32 v75, 0 :: v_dual_mov_b32 v46, v50
	v_mov_b32_e32 v51, 0
	s_mov_b32 s13, exec_lo
	s_waitcnt lgkmcnt(0)
	s_barrier
	buffer_gl0_inv
	v_cmpx_lt_u32_e32 31, v0
	s_cbranch_execz .LBB1010_165
; %bb.164:
	v_lshlrev_b32_e32 v45, 4, v48
	ds_load_b32 v51, v45 offset:2064
	ds_load_b64 v[45:46], v45 offset:2072
	s_waitcnt lgkmcnt(1)
	v_cmp_eq_u32_e64 s12, 0, v51
	s_delay_alu instid0(VALU_DEP_1) | instskip(SKIP_2) | instid1(VALU_DEP_2)
	v_cndmask_b32_e64 v52, 0, v49, s12
	v_cndmask_b32_e64 v48, 0, v50, s12
	s_waitcnt lgkmcnt(0)
	v_add_co_u32 v45, s12, v52, v45
	s_delay_alu instid0(VALU_DEP_1)
	v_add_co_ci_u32_e64 v46, s12, v48, v46, s12
.LBB1010_165:
	s_or_b32 exec_lo, exec_lo, s13
	v_add_nc_u32_e32 v48, -1, v97
	v_cmp_eq_u32_e64 s12, 0, v47
	v_add_nc_u32_e32 v47, v51, v47
	s_delay_alu instid0(VALU_DEP_3) | instskip(NEXT) | instid1(VALU_DEP_3)
	v_cmp_gt_i32_e64 s13, 0, v48
	v_cndmask_b32_e64 v53, 0, v45, s12
	v_cndmask_b32_e64 v52, 0, v46, s12
	s_delay_alu instid0(VALU_DEP_3) | instskip(NEXT) | instid1(VALU_DEP_3)
	v_cndmask_b32_e64 v48, v48, v97, s13
	v_add_co_u32 v43, s12, v53, v43
	s_delay_alu instid0(VALU_DEP_1) | instskip(NEXT) | instid1(VALU_DEP_3)
	v_add_co_ci_u32_e64 v44, s12, v52, v44, s12
	v_lshlrev_b32_e32 v48, 2, v48
	v_cmp_eq_u32_e64 s12, 0, v97
	v_cmp_eq_u32_e64 s13, 0, v96
	ds_bpermute_b32 v47, v48, v47
	ds_bpermute_b32 v44, v48, v44
	;; [unrolled: 1-line block ×3, first 2 shown]
	s_waitcnt lgkmcnt(2)
	v_cndmask_b32_e64 v98, v47, v51, s12
	s_waitcnt lgkmcnt(1)
	v_cndmask_b32_e64 v62, v44, v46, s12
	s_waitcnt lgkmcnt(0)
	v_cndmask_b32_e64 v61, v43, v45, s12
	v_cmp_eq_u32_e64 s12, 0, v0
	ds_load_b32 v45, v75 offset:2192
	v_cndmask_b32_e64 v43, v61, v49, s12
	v_cndmask_b32_e64 v44, v62, v50, s12
	s_delay_alu instid0(VALU_DEP_2) | instskip(NEXT) | instid1(VALU_DEP_2)
	v_cndmask_b32_e64 v43, 0, v43, s13
	v_cndmask_b32_e64 v44, 0, v44, s13
	s_delay_alu instid0(VALU_DEP_2) | instskip(NEXT) | instid1(VALU_DEP_1)
	v_add_co_u32 v59, s13, v43, v41
	v_add_co_ci_u32_e64 v60, s13, v44, v42, s13
	s_delay_alu instid0(VALU_DEP_2) | instskip(NEXT) | instid1(VALU_DEP_2)
	v_cndmask_b32_e64 v41, 0, v59, s11
	v_cndmask_b32_e64 v42, 0, v60, s11
	s_delay_alu instid0(VALU_DEP_2) | instskip(NEXT) | instid1(VALU_DEP_1)
	v_add_co_u32 v65, s11, v41, v39
	v_add_co_ci_u32_e64 v66, s11, v42, v40, s11
	;; [unrolled: 6-line block ×11, first 2 shown]
	ds_load_b64 v[21:22], v75 offset:2200
	v_dual_cndmask_b32 v23, 0, v73 :: v_dual_cndmask_b32 v24, 0, v74
	s_delay_alu instid0(VALU_DEP_1) | instskip(NEXT) | instid1(VALU_DEP_2)
	v_add_co_u32 v77, vcc_lo, v23, v19
	v_add_co_ci_u32_e32 v78, vcc_lo, v24, v20, vcc_lo
	s_waitcnt lgkmcnt(1)
	v_cmp_eq_u32_e32 vcc_lo, 0, v45
	s_delay_alu instid0(VALU_DEP_3) | instskip(NEXT) | instid1(VALU_DEP_3)
	v_cndmask_b32_e64 v19, 0, v77, s1
	v_cndmask_b32_e64 v20, 0, v78, s1
	s_delay_alu instid0(VALU_DEP_2) | instskip(NEXT) | instid1(VALU_DEP_1)
	v_add_co_u32 v75, s1, v19, v17
	v_add_co_ci_u32_e64 v76, s1, v20, v18, s1
	v_dual_cndmask_b32 v18, 0, v49 :: v_dual_cndmask_b32 v17, 0, v50
	s_delay_alu instid0(VALU_DEP_3) | instskip(NEXT) | instid1(VALU_DEP_3)
	v_cndmask_b32_e64 v79, 0, v75, s0
	v_cndmask_b32_e64 v80, 0, v76, s0
	s_waitcnt lgkmcnt(0)
	s_delay_alu instid0(VALU_DEP_3)
	v_add_co_u32 v47, vcc_lo, v18, v21
	v_add_co_ci_u32_e32 v48, vcc_lo, v17, v22, vcc_lo
	s_and_saveexec_b32 s0, s12
	s_cbranch_execz .LBB1010_167
; %bb.166:
	v_dual_mov_b32 v98, 0 :: v_dual_mov_b32 v17, 2
	v_dual_mov_b32 v62, v50 :: v_dual_mov_b32 v61, v49
	s_clause 0x1
	global_store_b32 v98, v45, s[38:39] offset:512
	global_store_b64 v98, v[47:48], s[38:39] offset:520
	s_waitcnt_vscnt null, 0x0
	buffer_gl1_inv
	buffer_gl0_inv
	global_store_b8 v98, v17, s[40:41] offset:32
.LBB1010_167:
	s_or_b32 exec_lo, exec_lo, s0
	v_mov_b32_e32 v49, 0
.LBB1010_168:
	v_mov_b32_e32 v17, 0
	s_and_b32 s0, s14, exec_lo
	v_mov_b32_e32 v18, 0
	s_cselect_b32 s1, 0, s51
	s_cselect_b32 s0, 0, s50
	s_waitcnt lgkmcnt(0)
	s_waitcnt_vscnt null, 0x0
	s_cmp_eq_u64 s[0:1], 0
	s_barrier
	buffer_gl0_inv
	s_cbranch_scc1 .LBB1010_170
; %bb.169:
	v_mov_b32_e32 v17, 0
	global_load_b64 v[17:18], v17, s[0:1]
.LBB1010_170:
	v_add_nc_u32_e32 v32, v98, v96
	v_cmp_gt_u32_e32 vcc_lo, 0x100, v45
	s_delay_alu instid0(VALU_DEP_2) | instskip(SKIP_1) | instid1(VALU_DEP_1)
	v_add_nc_u32_e32 v31, v32, v95
	s_and_b32 vcc_lo, exec_lo, vcc_lo
	v_add_nc_u32_e32 v30, v31, v94
	s_delay_alu instid0(VALU_DEP_1) | instskip(NEXT) | instid1(VALU_DEP_1)
	v_add_nc_u32_e32 v29, v30, v93
	v_add_nc_u32_e32 v28, v29, v92
	s_delay_alu instid0(VALU_DEP_1) | instskip(NEXT) | instid1(VALU_DEP_1)
	v_add_nc_u32_e32 v27, v28, v91
	;; [unrolled: 3-line block ×5, first 2 shown]
	v_add_nc_u32_e32 v20, v21, v83
	s_delay_alu instid0(VALU_DEP_1)
	v_add_nc_u32_e32 v19, v20, v82
	s_cbranch_vccnz .LBB1010_219
; %bb.171:
	v_cmp_eq_u32_e32 vcc_lo, 0, v95
	v_cmp_eq_u32_e64 s0, 0, v83
	v_cmp_eq_u32_e64 s1, 0, v82
	v_cmp_ne_u32_e64 s11, 0, v96
	v_cmp_ne_u32_e64 s2, 0, v84
	v_cndmask_b32_e64 v33, 1, 2, vcc_lo
	v_cmp_eq_u32_e32 vcc_lo, 0, v96
	v_cndmask_b32_e64 v36, 1, 2, s1
	v_cmp_ne_u32_e64 s1, 0, v83
	v_cmp_ne_u32_e64 s3, 0, v85
	;; [unrolled: 1-line block ×3, first 2 shown]
	v_cndmask_b32_e64 v34, 1, 2, vcc_lo
	v_cmp_eq_u32_e32 vcc_lo, 0, v94
	v_cmp_ne_u32_e64 s5, 0, v87
	v_cmp_ne_u32_e64 s6, 0, v88
	;; [unrolled: 1-line block ×3, first 2 shown]
	v_and_b32_e32 v33, v33, v34
	v_cndmask_b32_e64 v35, 1, 2, vcc_lo
	v_cmp_eq_u32_e32 vcc_lo, 0, v93
	v_cmp_ne_u32_e64 s8, 0, v91
	v_cmp_ne_u32_e64 s9, 0, v92
	;; [unrolled: 1-line block ×3, first 2 shown]
	v_and_b32_e32 v33, v33, v35
	v_cndmask_b32_e64 v34, 1, 2, vcc_lo
	v_cmp_eq_u32_e32 vcc_lo, 0, v92
	v_cmp_ne_u32_e64 s12, 0, v94
	v_cmp_ne_u32_e64 s13, 0, v95
	s_mov_b32 s16, 0
	v_and_b32_e32 v33, v33, v34
	v_cndmask_b32_e64 v35, 1, 2, vcc_lo
	v_cmp_eq_u32_e32 vcc_lo, 0, v91
	s_mov_b32 s15, exec_lo
	s_delay_alu instid0(VALU_DEP_2) | instskip(SKIP_2) | instid1(VALU_DEP_2)
	v_and_b32_e32 v33, v33, v35
	v_cndmask_b32_e64 v34, 1, 2, vcc_lo
	v_cmp_eq_u32_e32 vcc_lo, 0, v90
	v_and_b32_e32 v33, v33, v34
	v_cndmask_b32_e64 v35, 1, 2, vcc_lo
	v_cmp_eq_u32_e32 vcc_lo, 0, v88
	s_delay_alu instid0(VALU_DEP_2) | instskip(SKIP_2) | instid1(VALU_DEP_2)
	v_and_b32_e32 v33, v33, v35
	v_cndmask_b32_e64 v34, 1, 2, vcc_lo
	v_cmp_eq_u32_e32 vcc_lo, 0, v87
	v_and_b32_e32 v33, v33, v34
	v_cndmask_b32_e64 v35, 1, 2, vcc_lo
	v_cmp_eq_u32_e32 vcc_lo, 0, v86
	;; [unrolled: 7-line block ×3, first 2 shown]
	s_delay_alu instid0(VALU_DEP_2) | instskip(SKIP_4) | instid1(VALU_DEP_4)
	v_and_b32_e32 v33, v33, v35
	v_cndmask_b32_e64 v34, 1, 2, vcc_lo
	v_cndmask_b32_e64 v35, 1, 2, s0
	v_cmp_eq_u32_e64 s0, 0, v89
	v_cmp_ne_u32_e32 vcc_lo, 0, v89
	v_and_b32_e32 v33, v33, v34
	s_delay_alu instid0(VALU_DEP_3) | instskip(SKIP_1) | instid1(VALU_DEP_3)
	v_cndmask_b32_e64 v34, 1, 2, s0
	v_cmp_ne_u32_e64 s0, 0, v82
	v_and_b32_e32 v33, v33, v35
	s_delay_alu instid0(VALU_DEP_1) | instskip(NEXT) | instid1(VALU_DEP_1)
	v_and_b32_e32 v33, v33, v36
	v_and_b32_e32 v33, v33, v34
	s_delay_alu instid0(VALU_DEP_1)
	v_cmpx_gt_i16_e32 2, v33
	s_cbranch_execz .LBB1010_218
; %bb.172:
	v_cmp_ne_u16_e64 s14, 1, v33
	s_delay_alu instid0(VALU_DEP_1) | instskip(NEXT) | instid1(SALU_CYCLE_1)
	s_and_saveexec_b32 s17, s14
	s_xor_b32 s14, exec_lo, s17
	s_cbranch_execz .LBB1010_196
; %bb.173:
	s_and_saveexec_b32 s16, s11
	s_cbranch_execz .LBB1010_201
; %bb.174:
	v_sub_nc_u32_e32 v33, v98, v49
	s_delay_alu instid0(VALU_DEP_1)
	v_lshlrev_b32_e32 v33, 2, v33
	ds_store_b32 v33, v13
	s_or_b32 exec_lo, exec_lo, s16
	s_and_saveexec_b32 s11, s13
	s_cbranch_execnz .LBB1010_202
.LBB1010_175:
	s_or_b32 exec_lo, exec_lo, s11
	s_and_saveexec_b32 s11, s12
	s_cbranch_execz .LBB1010_203
.LBB1010_176:
	v_sub_nc_u32_e32 v13, v31, v49
	s_delay_alu instid0(VALU_DEP_1)
	v_lshlrev_b32_e32 v13, 2, v13
	ds_store_b32 v13, v11
	s_or_b32 exec_lo, exec_lo, s11
	s_and_saveexec_b32 s11, s10
	s_cbranch_execnz .LBB1010_204
.LBB1010_177:
	s_or_b32 exec_lo, exec_lo, s11
	s_and_saveexec_b32 s10, s9
	s_cbranch_execz .LBB1010_205
.LBB1010_178:
	v_sub_nc_u32_e32 v11, v29, v49
	s_delay_alu instid0(VALU_DEP_1)
	v_lshlrev_b32_e32 v11, 2, v11
	ds_store_b32 v11, v9
	s_or_b32 exec_lo, exec_lo, s10
	s_and_saveexec_b32 s9, s8
	s_cbranch_execnz .LBB1010_206
.LBB1010_179:
	s_or_b32 exec_lo, exec_lo, s9
	s_and_saveexec_b32 s8, s7
	s_cbranch_execz .LBB1010_207
.LBB1010_180:
	v_sub_nc_u32_e32 v9, v27, v49
	s_delay_alu instid0(VALU_DEP_1)
	v_lshlrev_b32_e32 v9, 2, v9
	ds_store_b32 v9, v7
	s_or_b32 exec_lo, exec_lo, s8
	s_and_saveexec_b32 s7, s6
	s_cbranch_execnz .LBB1010_208
.LBB1010_181:
	s_or_b32 exec_lo, exec_lo, s7
	s_and_saveexec_b32 s6, s5
	s_cbranch_execz .LBB1010_209
.LBB1010_182:
	v_sub_nc_u32_e32 v7, v25, v49
	s_delay_alu instid0(VALU_DEP_1)
	v_lshlrev_b32_e32 v7, 2, v7
	ds_store_b32 v7, v5
	s_or_b32 exec_lo, exec_lo, s6
	s_and_saveexec_b32 s5, s4
	s_cbranch_execnz .LBB1010_210
.LBB1010_183:
	s_or_b32 exec_lo, exec_lo, s5
	s_and_saveexec_b32 s4, s3
	s_cbranch_execz .LBB1010_211
.LBB1010_184:
	v_sub_nc_u32_e32 v5, v23, v49
	s_delay_alu instid0(VALU_DEP_1)
	v_lshlrev_b32_e32 v5, 2, v5
	ds_store_b32 v5, v3
	s_or_b32 exec_lo, exec_lo, s4
	s_and_saveexec_b32 s3, s2
	s_cbranch_execnz .LBB1010_212
.LBB1010_185:
	s_or_b32 exec_lo, exec_lo, s3
	s_and_saveexec_b32 s2, s1
	s_cbranch_execz .LBB1010_213
.LBB1010_186:
	v_sub_nc_u32_e32 v3, v21, v49
	s_delay_alu instid0(VALU_DEP_1)
	v_lshlrev_b32_e32 v3, 2, v3
	ds_store_b32 v3, v1
	s_or_b32 exec_lo, exec_lo, s2
	s_and_saveexec_b32 s1, s0
	s_cbranch_execnz .LBB1010_214
	s_branch .LBB1010_215
.LBB1010_187:
	s_mov_b32 s35, 0
                                        ; implicit-def: $sgpr0
                                        ; implicit-def: $vgpr89
                                        ; implicit-def: $vgpr82
                                        ; implicit-def: $vgpr83
                                        ; implicit-def: $vgpr84
                                        ; implicit-def: $vgpr85
                                        ; implicit-def: $vgpr86
                                        ; implicit-def: $vgpr87
                                        ; implicit-def: $vgpr88
                                        ; implicit-def: $vgpr90
                                        ; implicit-def: $vgpr91
                                        ; implicit-def: $vgpr92
                                        ; implicit-def: $vgpr93
                                        ; implicit-def: $vgpr94
                                        ; implicit-def: $vgpr95
	s_cbranch_execz .LBB1010_69
.LBB1010_188:
	v_cmp_ne_u32_e32 vcc_lo, v2, v81
	v_lshlrev_b32_e32 v45, 2, v0
	s_mov_b32 s1, exec_lo
                                        ; implicit-def: $sgpr0
	v_cndmask_b32_e64 v89, 0, 1, vcc_lo
	v_cmp_ne_u32_e32 vcc_lo, v1, v2
	ds_store_b32 v45, v81
	s_waitcnt lgkmcnt(0)
	s_barrier
	buffer_gl0_inv
	v_cndmask_b32_e64 v82, 0, 1, vcc_lo
	v_cmp_ne_u32_e32 vcc_lo, v4, v1
	v_cndmask_b32_e64 v83, 0, 1, vcc_lo
	v_cmp_ne_u32_e32 vcc_lo, v3, v4
	;; [unrolled: 2-line block ×12, first 2 shown]
	v_cndmask_b32_e64 v95, 0, 1, vcc_lo
	v_cmpx_ne_u32_e32 0, v0
	s_xor_b32 s1, exec_lo, s1
	s_cbranch_execz .LBB1010_190
; %bb.189:
	v_add_nc_u32_e32 v45, -4, v45
	s_or_b32 s35, s35, exec_lo
	ds_load_b32 v45, v45
	s_waitcnt lgkmcnt(0)
	v_cmp_ne_u32_e32 vcc_lo, v45, v13
	s_and_b32 s0, vcc_lo, exec_lo
.LBB1010_190:
	s_or_b32 exec_lo, exec_lo, s1
	s_mov_b32 s1, 1
	s_branch .LBB1010_71
.LBB1010_191:
	s_mul_hi_u32 s0, s18, 0xfffff100
	s_mul_i32 s1, s19, 0xfffff100
	s_sub_i32 s0, s0, s18
	s_mul_i32 s2, s18, 0xfffff100
	s_add_i32 s0, s0, s1
	s_add_u32 s30, s2, s48
	s_addc_u32 s31, s0, s49
	s_and_b32 vcc_lo, exec_lo, s14
	s_cbranch_vccz .LBB1010_198
; %bb.192:
	v_add_co_u32 v45, s0, -4, s20
	s_delay_alu instid0(VALU_DEP_1)
	v_add_co_ci_u32_e64 v46, null, -1, s17, s0
	v_cmp_ne_u32_e64 s6, v2, v81
	v_cmp_ne_u32_e64 s8, v1, v2
	v_lshlrev_b32_e32 v48, 2, v0
	flat_load_b32 v49, v[45:46]
	v_mad_u32_u24 v45, v0, 15, 14
	v_mov_b32_e32 v46, 0
	v_mul_u32_u24_e32 v47, 15, v0
	s_mov_b32 s35, -1
	s_mov_b32 s10, 0
	ds_store_b32 v48, v81
	v_cmp_gt_u64_e32 vcc_lo, s[30:31], v[45:46]
	v_mad_u32_u24 v45, v0, 15, 13
	s_waitcnt vmcnt(0) lgkmcnt(0)
	s_barrier
	buffer_gl0_inv
	v_cmp_gt_u64_e64 s0, s[30:31], v[45:46]
	v_mad_u32_u24 v45, v0, 15, 12
	s_and_b32 s11, vcc_lo, s6
	v_cmp_ne_u32_e64 s6, v3, v4
	s_delay_alu instid0(VALU_DEP_2) | instskip(SKIP_4) | instid1(VALU_DEP_3)
	v_cmp_gt_u64_e64 s1, s[30:31], v[45:46]
	v_mad_u32_u24 v45, v0, 15, 11
	s_and_b32 s12, s0, s8
	v_cmp_ne_u32_e64 s0, v4, v1
	v_cmp_ne_u32_e64 s8, v6, v3
	v_cmp_gt_u64_e64 s2, s[30:31], v[45:46]
	v_mad_u32_u24 v45, v0, 15, 10
	s_delay_alu instid0(VALU_DEP_4) | instskip(SKIP_1) | instid1(VALU_DEP_2)
	s_and_b32 s13, s1, s0
	v_cmp_ne_u32_e64 s0, v5, v6
	v_cmp_gt_u64_e64 s3, s[30:31], v[45:46]
	v_mad_u32_u24 v45, v0, 15, 9
	s_and_b32 s14, s2, s6
	v_cmp_ne_u32_e64 s2, v7, v8
	v_cmp_ne_u32_e64 s6, v13, v14
	s_delay_alu instid0(VALU_DEP_3) | instskip(SKIP_3) | instid1(VALU_DEP_2)
	v_cmp_gt_u64_e64 s4, s[30:31], v[45:46]
	v_mad_u32_u24 v45, v0, 15, 8
	s_and_b32 s8, s3, s8
	v_cmp_ne_u32_e64 s3, v10, v7
	v_cmp_gt_u64_e64 s5, s[30:31], v[45:46]
	v_mad_u32_u24 v45, v0, 15, 7
	s_and_b32 s16, s4, s0
	v_cmp_ne_u32_e64 s0, v8, v5
	s_delay_alu instid0(VALU_DEP_2) | instskip(SKIP_1) | instid1(VALU_DEP_3)
	v_cmp_gt_u64_e64 s7, s[30:31], v[45:46]
	v_mad_u32_u24 v45, v0, 15, 6
	s_and_b32 s17, s5, s0
	v_cmp_ne_u32_e64 s0, v9, v10
	s_delay_alu instid0(VALU_DEP_2) | instskip(SKIP_3) | instid1(VALU_DEP_2)
	v_cmp_gt_u64_e32 vcc_lo, s[30:31], v[45:46]
	v_mad_u32_u24 v45, v0, 15, 5
	s_and_b32 s18, s7, s2
	v_cmp_ne_u32_e64 s2, v11, v12
	v_cmp_gt_u64_e64 s9, s[30:31], v[45:46]
	v_mad_u32_u24 v45, v0, 15, 4
	s_and_b32 s7, vcc_lo, s3
	v_cmp_ne_u32_e64 s3, v14, v11
	s_delay_alu instid0(VALU_DEP_2) | instskip(SKIP_3) | instid1(VALU_DEP_2)
	v_cmp_gt_u64_e64 s1, s[30:31], v[45:46]
	v_mad_u32_u24 v45, v0, 15, 3
	s_and_b32 s9, s9, s0
	v_cmp_ne_u32_e64 s0, v12, v9
	v_cmp_gt_u64_e64 s4, s[30:31], v[45:46]
	v_mad_u32_u24 v45, v0, 15, 2
	s_delay_alu instid0(VALU_DEP_3) | instskip(NEXT) | instid1(VALU_DEP_1)
	s_and_b32 s0, s1, s0
	v_cmp_gt_u64_e32 vcc_lo, s[30:31], v[45:46]
	v_mad_u32_u24 v45, v0, 15, 1
	s_delay_alu instid0(VALU_DEP_4) | instskip(SKIP_1) | instid1(VALU_DEP_1)
	s_and_b32 s2, s4, s2
	s_mov_b32 s4, exec_lo
	v_cmp_gt_u64_e64 s5, s[30:31], v[45:46]
	s_and_b32 s1, vcc_lo, s3
	s_delay_alu instid0(VALU_DEP_1)
	s_and_b32 s3, s5, s6
	v_cmpx_ne_u32_e32 0, v0
	s_cbranch_execz .LBB1010_194
; %bb.193:
	v_add_nc_u32_e32 v45, -4, v48
	ds_load_b32 v49, v45
.LBB1010_194:
	s_or_b32 exec_lo, exec_lo, s4
	v_mov_b32_e32 v48, v46
	v_cndmask_b32_e64 v92, 0, 1, s0
	s_waitcnt lgkmcnt(0)
	v_cmp_ne_u32_e64 s0, v49, v13
	v_cndmask_b32_e64 v89, 0, 1, s11
	v_cndmask_b32_e64 v82, 0, 1, s12
	v_cmp_gt_u64_e32 vcc_lo, s[30:31], v[47:48]
	v_cndmask_b32_e64 v83, 0, 1, s13
	v_cndmask_b32_e64 v84, 0, 1, s14
	;; [unrolled: 1-line block ×11, first 2 shown]
	s_and_b32 s0, vcc_lo, s0
	s_and_b32 vcc_lo, exec_lo, s10
	s_cbranch_vccnz .LBB1010_199
.LBB1010_195:
                                        ; implicit-def: $sgpr1
	v_mov_b32_e32 v96, s1
	s_and_saveexec_b32 s1, s35
	s_cbranch_execnz .LBB1010_72
	s_branch .LBB1010_73
.LBB1010_196:
	s_and_not1_saveexec_b32 s0, s14
	s_cbranch_execz .LBB1010_216
.LBB1010_197:
	v_sub_nc_u32_e32 v33, v98, v49
	v_sub_nc_u32_e32 v36, v30, v49
	;; [unrolled: 1-line block ×4, first 2 shown]
	s_or_b32 s16, s16, exec_lo
	v_lshlrev_b32_e32 v33, 2, v33
	v_lshlrev_b32_e32 v36, 2, v36
	;; [unrolled: 1-line block ×4, first 2 shown]
	ds_store_b32 v33, v13
	ds_store_b32 v34, v14
	;; [unrolled: 1-line block ×3, first 2 shown]
	v_sub_nc_u32_e32 v11, v29, v49
	ds_store_b32 v36, v12
	v_sub_nc_u32_e32 v12, v28, v49
	v_sub_nc_u32_e32 v13, v27, v49
	;; [unrolled: 1-line block ×3, first 2 shown]
	v_lshlrev_b32_e32 v11, 2, v11
	v_sub_nc_u32_e32 v33, v25, v49
	v_lshlrev_b32_e32 v12, 2, v12
	v_lshlrev_b32_e32 v13, 2, v13
	;; [unrolled: 1-line block ×3, first 2 shown]
	ds_store_b32 v11, v9
	v_lshlrev_b32_e32 v9, 2, v33
	ds_store_b32 v12, v10
	ds_store_b32 v13, v7
	;; [unrolled: 1-line block ×3, first 2 shown]
	v_sub_nc_u32_e32 v7, v24, v49
	v_sub_nc_u32_e32 v10, v20, v49
	;; [unrolled: 1-line block ×3, first 2 shown]
	ds_store_b32 v9, v5
	v_sub_nc_u32_e32 v5, v23, v49
	v_lshlrev_b32_e32 v7, 2, v7
	v_sub_nc_u32_e32 v9, v21, v49
	v_lshlrev_b32_e32 v8, 2, v8
	s_delay_alu instid0(VALU_DEP_4)
	v_lshlrev_b32_e32 v5, 2, v5
	ds_store_b32 v7, v6
	v_lshlrev_b32_e32 v6, 2, v10
	v_lshlrev_b32_e32 v9, 2, v9
	ds_store_b32 v5, v3
	ds_store_b32 v8, v4
	;; [unrolled: 1-line block ×4, first 2 shown]
	s_or_b32 exec_lo, exec_lo, s0
	s_delay_alu instid0(SALU_CYCLE_1)
	s_and_b32 exec_lo, exec_lo, s16
	s_cbranch_execnz .LBB1010_217
	s_branch .LBB1010_218
.LBB1010_198:
                                        ; implicit-def: $sgpr0
                                        ; implicit-def: $vgpr89
                                        ; implicit-def: $vgpr82
                                        ; implicit-def: $vgpr83
                                        ; implicit-def: $vgpr84
                                        ; implicit-def: $vgpr85
                                        ; implicit-def: $vgpr86
                                        ; implicit-def: $vgpr87
                                        ; implicit-def: $vgpr88
                                        ; implicit-def: $vgpr90
                                        ; implicit-def: $vgpr91
                                        ; implicit-def: $vgpr92
                                        ; implicit-def: $vgpr93
                                        ; implicit-def: $vgpr94
                                        ; implicit-def: $vgpr95
	s_cbranch_execz .LBB1010_195
.LBB1010_199:
	v_mad_u32_u24 v45, v0, 15, 14
	v_dual_mov_b32 v46, 0 :: v_dual_lshlrev_b32 v47, 2, v0
	v_cmp_ne_u32_e64 s5, v1, v2
	v_cmp_ne_u32_e64 s4, v2, v81
	;; [unrolled: 1-line block ×3, first 2 shown]
	s_delay_alu instid0(VALU_DEP_4)
	v_cmp_gt_u64_e32 vcc_lo, s[30:31], v[45:46]
	v_mad_u32_u24 v45, v0, 15, 13
	v_cmp_ne_u32_e64 s8, v3, v4
	v_cmp_ne_u32_e64 s9, v6, v3
	;; [unrolled: 1-line block ×4, first 2 shown]
	v_cmp_gt_u64_e64 s0, s[30:31], v[45:46]
	v_mad_u32_u24 v45, v0, 15, 12
	s_and_b32 s4, vcc_lo, s4
	v_cmp_ne_u32_e64 s13, v7, v8
	v_cmp_ne_u32_e64 s14, v10, v7
	;; [unrolled: 1-line block ×3, first 2 shown]
	v_cmp_gt_u64_e64 s1, s[30:31], v[45:46]
	v_mad_u32_u24 v45, v0, 15, 11
	s_and_b32 s0, s0, s5
	v_cmp_ne_u32_e64 s17, v12, v9
	v_cndmask_b32_e64 v82, 0, 1, s0
	v_cmp_ne_u32_e64 s19, v11, v12
	v_cmp_gt_u64_e64 s2, s[30:31], v[45:46]
	v_mad_u32_u24 v45, v0, 15, 10
	s_and_b32 s0, s1, s6
	v_cmp_ne_u32_e64 s20, v14, v11
	v_cndmask_b32_e64 v83, 0, 1, s0
	v_cmp_ne_u32_e64 s21, v13, v14
	v_cmp_gt_u64_e64 s3, s[30:31], v[45:46]
	v_mad_u32_u24 v45, v0, 15, 9
	s_and_b32 s0, s2, s8
	v_cndmask_b32_e64 v89, 0, 1, s4
	v_cndmask_b32_e64 v84, 0, 1, s0
	ds_store_b32 v47, v81
	v_cmp_gt_u64_e64 s7, s[30:31], v[45:46]
	v_mad_u32_u24 v45, v0, 15, 8
	s_and_b32 s1, s3, s9
	s_waitcnt lgkmcnt(0)
	v_cndmask_b32_e64 v85, 0, 1, s1
	s_barrier
	v_cmp_gt_u64_e64 s12, s[30:31], v[45:46]
	v_mad_u32_u24 v45, v0, 15, 7
	s_and_b32 s1, s7, s10
	buffer_gl0_inv
	v_cndmask_b32_e64 v86, 0, 1, s1
	v_cmp_gt_u64_e64 s18, s[30:31], v[45:46]
	v_mad_u32_u24 v45, v0, 15, 6
	s_and_b32 s2, s12, s11
	s_delay_alu instid0(SALU_CYCLE_1) | instskip(NEXT) | instid1(VALU_DEP_2)
	v_cndmask_b32_e64 v87, 0, 1, s2
	v_cmp_gt_u64_e64 s22, s[30:31], v[45:46]
	v_mad_u32_u24 v45, v0, 15, 5
	s_and_b32 s2, s18, s13
	s_delay_alu instid0(SALU_CYCLE_1) | instskip(NEXT) | instid1(VALU_DEP_2)
	v_cndmask_b32_e64 v88, 0, 1, s2
	v_cmp_gt_u64_e32 vcc_lo, s[30:31], v[45:46]
	v_mad_u32_u24 v45, v0, 15, 4
	s_and_b32 s3, s22, s14
	s_delay_alu instid0(SALU_CYCLE_1) | instskip(NEXT) | instid1(VALU_DEP_2)
	v_cndmask_b32_e64 v90, 0, 1, s3
	v_cmp_gt_u64_e64 s0, s[30:31], v[45:46]
	v_mad_u32_u24 v45, v0, 15, 3
	s_and_b32 s3, vcc_lo, s16
	s_delay_alu instid0(SALU_CYCLE_1) | instskip(NEXT) | instid1(VALU_DEP_2)
	v_cndmask_b32_e64 v91, 0, 1, s3
	v_cmp_gt_u64_e64 s1, s[30:31], v[45:46]
	v_mad_u32_u24 v45, v0, 15, 2
	s_and_b32 s0, s0, s17
	s_delay_alu instid0(SALU_CYCLE_1) | instskip(NEXT) | instid1(VALU_DEP_2)
	v_cndmask_b32_e64 v92, 0, 1, s0
	v_cmp_gt_u64_e64 s2, s[30:31], v[45:46]
	v_mad_u32_u24 v45, v0, 15, 1
	s_and_b32 s0, s1, s19
	s_mov_b32 s1, 1
	v_cndmask_b32_e64 v93, 0, 1, s0
	s_delay_alu instid0(VALU_DEP_2) | instskip(SKIP_4) | instid1(SALU_CYCLE_1)
	v_cmp_gt_u64_e32 vcc_lo, s[30:31], v[45:46]
	s_and_b32 s0, s2, s20
	s_mov_b32 s2, exec_lo
	v_cndmask_b32_e64 v94, 0, 1, s0
	s_and_b32 s0, vcc_lo, s21
	v_cndmask_b32_e64 v95, 0, 1, s0
                                        ; implicit-def: $sgpr0
	v_cmpx_ne_u32_e32 0, v0
	s_cbranch_execz .LBB1010_257
; %bb.200:
	v_add_nc_u32_e32 v45, -4, v47
	s_or_b32 s35, s35, exec_lo
	ds_load_b32 v47, v45
	v_mul_u32_u24_e32 v45, 15, v0
	s_delay_alu instid0(VALU_DEP_1) | instskip(SKIP_2) | instid1(VALU_DEP_1)
	v_cmp_gt_u64_e32 vcc_lo, s[30:31], v[45:46]
	s_waitcnt lgkmcnt(0)
	v_cmp_ne_u32_e64 s0, v47, v13
	s_and_b32 s0, vcc_lo, s0
	s_delay_alu instid0(SALU_CYCLE_1)
	s_and_b32 s0, s0, exec_lo
	s_or_b32 exec_lo, exec_lo, s2
	v_mov_b32_e32 v96, s1
	s_and_saveexec_b32 s1, s35
	s_cbranch_execz .LBB1010_73
	s_branch .LBB1010_72
.LBB1010_201:
	s_or_b32 exec_lo, exec_lo, s16
	s_and_saveexec_b32 s11, s13
	s_cbranch_execz .LBB1010_175
.LBB1010_202:
	v_sub_nc_u32_e32 v13, v32, v49
	s_delay_alu instid0(VALU_DEP_1)
	v_lshlrev_b32_e32 v13, 2, v13
	ds_store_b32 v13, v14
	s_or_b32 exec_lo, exec_lo, s11
	s_and_saveexec_b32 s11, s12
	s_cbranch_execnz .LBB1010_176
.LBB1010_203:
	s_or_b32 exec_lo, exec_lo, s11
	s_and_saveexec_b32 s11, s10
	s_cbranch_execz .LBB1010_177
.LBB1010_204:
	v_sub_nc_u32_e32 v11, v30, v49
	s_delay_alu instid0(VALU_DEP_1)
	v_lshlrev_b32_e32 v11, 2, v11
	ds_store_b32 v11, v12
	s_or_b32 exec_lo, exec_lo, s11
	s_and_saveexec_b32 s10, s9
	s_cbranch_execnz .LBB1010_178
.LBB1010_205:
	s_or_b32 exec_lo, exec_lo, s10
	s_and_saveexec_b32 s9, s8
	s_cbranch_execz .LBB1010_179
.LBB1010_206:
	v_sub_nc_u32_e32 v9, v28, v49
	s_delay_alu instid0(VALU_DEP_1)
	v_lshlrev_b32_e32 v9, 2, v9
	ds_store_b32 v9, v10
	s_or_b32 exec_lo, exec_lo, s9
	s_and_saveexec_b32 s8, s7
	s_cbranch_execnz .LBB1010_180
.LBB1010_207:
	s_or_b32 exec_lo, exec_lo, s8
	s_and_saveexec_b32 s7, s6
	s_cbranch_execz .LBB1010_181
.LBB1010_208:
	v_sub_nc_u32_e32 v7, v26, v49
	s_delay_alu instid0(VALU_DEP_1)
	v_lshlrev_b32_e32 v7, 2, v7
	ds_store_b32 v7, v8
	s_or_b32 exec_lo, exec_lo, s7
	s_and_saveexec_b32 s6, s5
	s_cbranch_execnz .LBB1010_182
.LBB1010_209:
	s_or_b32 exec_lo, exec_lo, s6
	s_and_saveexec_b32 s5, s4
	s_cbranch_execz .LBB1010_183
.LBB1010_210:
	v_sub_nc_u32_e32 v5, v24, v49
	s_delay_alu instid0(VALU_DEP_1)
	v_lshlrev_b32_e32 v5, 2, v5
	ds_store_b32 v5, v6
	s_or_b32 exec_lo, exec_lo, s5
	s_and_saveexec_b32 s4, s3
	s_cbranch_execnz .LBB1010_184
.LBB1010_211:
	s_or_b32 exec_lo, exec_lo, s4
	s_and_saveexec_b32 s3, s2
	s_cbranch_execz .LBB1010_185
.LBB1010_212:
	v_sub_nc_u32_e32 v3, v22, v49
	s_delay_alu instid0(VALU_DEP_1)
	v_lshlrev_b32_e32 v3, 2, v3
	ds_store_b32 v3, v4
	s_or_b32 exec_lo, exec_lo, s3
	s_and_saveexec_b32 s2, s1
	s_cbranch_execnz .LBB1010_186
.LBB1010_213:
	s_or_b32 exec_lo, exec_lo, s2
	s_and_saveexec_b32 s1, s0
	s_cbranch_execz .LBB1010_215
.LBB1010_214:
	v_sub_nc_u32_e32 v1, v20, v49
	s_delay_alu instid0(VALU_DEP_1)
	v_lshlrev_b32_e32 v1, 2, v1
	ds_store_b32 v1, v2
.LBB1010_215:
	s_or_b32 exec_lo, exec_lo, s1
	s_delay_alu instid0(SALU_CYCLE_1)
	s_and_b32 s16, vcc_lo, exec_lo
                                        ; implicit-def: $vgpr13
                                        ; implicit-def: $vgpr11
                                        ; implicit-def: $vgpr9
                                        ; implicit-def: $vgpr7
                                        ; implicit-def: $vgpr5
                                        ; implicit-def: $vgpr3
                                        ; implicit-def: $vgpr1
	s_and_not1_saveexec_b32 s0, s14
	s_cbranch_execnz .LBB1010_197
.LBB1010_216:
	s_or_b32 exec_lo, exec_lo, s0
	s_delay_alu instid0(SALU_CYCLE_1)
	s_and_b32 exec_lo, exec_lo, s16
	s_cbranch_execz .LBB1010_218
.LBB1010_217:
	v_sub_nc_u32_e32 v1, v19, v49
	s_delay_alu instid0(VALU_DEP_1)
	v_lshlrev_b32_e32 v1, 2, v1
	ds_store_b32 v1, v81
.LBB1010_218:
	s_or_b32 exec_lo, exec_lo, s15
	s_waitcnt vmcnt(0) lgkmcnt(0)
	s_barrier
	buffer_gl0_inv
.LBB1010_219:
	v_add_co_u32 v1, vcc_lo, v79, v15
	s_cmpk_lg_i32 s33, 0xf00
	v_add_co_ci_u32_e32 v2, vcc_lo, v80, v16, vcc_lo
	s_cselect_b32 s0, -1, 0
	v_cmp_eq_u32_e32 vcc_lo, 0, v0
	s_and_b32 s0, s23, s0
	v_cndmask_b32_e64 v8, 0, 1, s34
	v_mad_i32_i24 v5, v0, -15, s33
	v_cndmask_b32_e64 v4, 0, 1, s0
	s_mul_hi_u32 s0, s33, 0x88888889
	s_and_b32 s1, vcc_lo, s34
	s_lshr_b32 s0, s0, 3
	v_sub_nc_u32_e32 v3, v45, v8
	v_cndmask_b32_e64 v6, v96, 0, s1
	v_cmp_eq_u32_e32 vcc_lo, s0, v0
	v_cmp_ne_u32_e64 s0, 0, v5
	s_delay_alu instid0(VALU_DEP_4) | instskip(SKIP_2) | instid1(VALU_DEP_2)
	v_dual_mov_b32 v50, 0 :: v_dual_add_nc_u32 v3, v3, v4
	s_mov_b32 s16, -1
	s_and_b32 vcc_lo, s23, vcc_lo
	v_cndmask_b32_e64 v4, 1, v6, s0
	v_cmp_ne_u32_e64 s0, 1, v5
	s_waitcnt vmcnt(0)
	s_barrier
	buffer_gl0_inv
	v_cndmask_b32_e32 v13, v6, v4, vcc_lo
	v_cndmask_b32_e64 v7, 1, v95, s0
	v_cmp_ne_u32_e64 s0, 2, v5
	s_delay_alu instid0(VALU_DEP_3) | instskip(NEXT) | instid1(VALU_DEP_2)
	v_cmp_ne_u32_e64 s14, 0, v13
	v_cndmask_b32_e64 v9, 1, v94, s0
	v_cmp_ne_u32_e64 s0, 14, v5
	s_delay_alu instid0(VALU_DEP_2) | instskip(NEXT) | instid1(VALU_DEP_2)
	v_dual_cndmask_b32 v14, v95, v7 :: v_dual_cndmask_b32 v9, v94, v9
	v_cndmask_b32_e64 v10, 1, v89, s0
	v_cmp_ne_u32_e64 s0, 3, v5
	s_delay_alu instid0(VALU_DEP_3) | instskip(NEXT) | instid1(VALU_DEP_4)
	v_cmp_ne_u32_e64 s13, 0, v14
	v_cmp_ne_u32_e64 s12, 0, v9
	s_delay_alu instid0(VALU_DEP_4) | instskip(NEXT) | instid1(VALU_DEP_4)
	v_cndmask_b32_e32 v10, v89, v10, vcc_lo
	v_cndmask_b32_e64 v11, 1, v93, s0
	v_cmp_ne_u32_e64 s0, 4, v5
	s_delay_alu instid0(VALU_DEP_1) | instskip(SKIP_1) | instid1(VALU_DEP_2)
	v_cndmask_b32_e64 v12, 1, v92, s0
	v_cmp_ne_u32_e64 s0, 5, v5
	v_dual_cndmask_b32 v11, v93, v11 :: v_dual_cndmask_b32 v12, v92, v12
	s_delay_alu instid0(VALU_DEP_2) | instskip(SKIP_1) | instid1(VALU_DEP_3)
	v_cndmask_b32_e64 v4, 1, v91, s0
	v_cmp_ne_u32_e64 s0, 6, v5
	v_cmp_ne_u32_e64 s11, 0, v11
	s_delay_alu instid0(VALU_DEP_4) | instskip(NEXT) | instid1(VALU_DEP_4)
	v_cmp_ne_u32_e64 s10, 0, v12
	v_cndmask_b32_e32 v36, v91, v4, vcc_lo
	s_delay_alu instid0(VALU_DEP_4) | instskip(SKIP_1) | instid1(VALU_DEP_2)
	v_cndmask_b32_e64 v6, 1, v90, s0
	v_cmp_eq_u32_e64 s0, 0, v13
	v_cndmask_b32_e32 v38, v90, v6, vcc_lo
	s_delay_alu instid0(VALU_DEP_2) | instskip(SKIP_1) | instid1(VALU_DEP_3)
	v_cndmask_b32_e64 v7, 1, 2, s0
	v_cmp_eq_u32_e64 s0, 0, v14
	v_cmp_ne_u32_e64 s8, 0, v38
	s_delay_alu instid0(VALU_DEP_2) | instskip(SKIP_1) | instid1(VALU_DEP_2)
	v_cndmask_b32_e64 v15, 1, 2, s0
	v_cmp_ne_u32_e64 s0, 7, v5
	v_and_b32_e32 v7, v15, v7
	s_delay_alu instid0(VALU_DEP_2) | instskip(SKIP_1) | instid1(VALU_DEP_2)
	v_cndmask_b32_e64 v16, 1, v88, s0
	v_cmp_eq_u32_e64 s0, 0, v9
	v_cndmask_b32_e32 v16, v88, v16, vcc_lo
	s_delay_alu instid0(VALU_DEP_2) | instskip(SKIP_1) | instid1(VALU_DEP_3)
	v_cndmask_b32_e64 v15, 1, 2, s0
	v_cmp_ne_u32_e64 s0, 8, v5
	v_cmp_ne_u32_e64 s7, 0, v16
	s_delay_alu instid0(VALU_DEP_3) | instskip(NEXT) | instid1(VALU_DEP_3)
	v_and_b32_e32 v7, v7, v15
	v_cndmask_b32_e64 v33, 1, v87, s0
	v_cmp_ne_u32_e64 s0, 9, v5
	s_delay_alu instid0(VALU_DEP_2) | instskip(NEXT) | instid1(VALU_DEP_2)
	v_cndmask_b32_e32 v33, v87, v33, vcc_lo
	v_cndmask_b32_e64 v34, 1, v86, s0
	v_cmp_eq_u32_e64 s0, 0, v11
	s_delay_alu instid0(VALU_DEP_3) | instskip(NEXT) | instid1(VALU_DEP_3)
	v_cmp_ne_u32_e64 s6, 0, v33
	v_cndmask_b32_e32 v34, v86, v34, vcc_lo
	s_delay_alu instid0(VALU_DEP_3) | instskip(SKIP_1) | instid1(VALU_DEP_3)
	v_cndmask_b32_e64 v15, 1, 2, s0
	v_cmp_ne_u32_e64 s0, 10, v5
	v_cmp_ne_u32_e64 s5, 0, v34
	s_delay_alu instid0(VALU_DEP_3) | instskip(NEXT) | instid1(VALU_DEP_3)
	v_and_b32_e32 v4, v7, v15
	v_cndmask_b32_e64 v35, 1, v85, s0
	v_cmp_eq_u32_e64 s0, 0, v12
	s_delay_alu instid0(VALU_DEP_1) | instskip(SKIP_1) | instid1(VALU_DEP_2)
	v_cndmask_b32_e64 v7, 1, 2, s0
	v_cmp_ne_u32_e64 s0, 11, v5
	v_and_b32_e32 v4, v4, v7
	s_delay_alu instid0(VALU_DEP_2) | instskip(SKIP_1) | instid1(VALU_DEP_2)
	v_cndmask_b32_e64 v15, 1, v84, s0
	v_cmp_ne_u32_e64 s0, 13, v5
	v_cndmask_b32_e32 v15, v84, v15, vcc_lo
	s_delay_alu instid0(VALU_DEP_2) | instskip(NEXT) | instid1(VALU_DEP_2)
	v_cndmask_b32_e64 v37, 1, v82, s0
	v_cmp_ne_u32_e64 s3, 0, v15
	s_delay_alu instid0(VALU_DEP_2) | instskip(SKIP_2) | instid1(VALU_DEP_3)
	v_cndmask_b32_e32 v37, v82, v37, vcc_lo
	v_cmp_eq_u32_e64 s0, 0, v36
	v_cmp_ne_u32_e64 s9, 0, v36
	v_cmp_ne_u32_e64 s1, 0, v37
	s_delay_alu instid0(VALU_DEP_3) | instskip(SKIP_1) | instid1(VALU_DEP_1)
	v_cndmask_b32_e64 v7, 1, 2, s0
	v_cmp_ne_u32_e64 s0, 12, v5
	v_cndmask_b32_e64 v5, 1, v83, s0
	v_cmp_eq_u32_e64 s0, 0, v38
	s_delay_alu instid0(VALU_DEP_2) | instskip(NEXT) | instid1(VALU_DEP_2)
	v_dual_cndmask_b32 v39, v83, v5 :: v_dual_and_b32 v4, v4, v7
	v_cndmask_b32_e64 v6, 1, 2, s0
	v_cmp_eq_u32_e64 s0, 0, v16
	v_cndmask_b32_e32 v35, v85, v35, vcc_lo
	v_cmp_eq_u32_e32 vcc_lo, 0, v33
	v_cmp_ne_u32_e64 s2, 0, v39
	v_and_b32_e32 v40, v4, v6
	v_lshlrev_b64 v[4:5], 3, v[17:18]
	v_cndmask_b32_e64 v41, 1, 2, s0
	v_lshlrev_b64 v[6:7], 3, v[49:50]
	v_cmp_ne_u32_e64 s4, 0, v35
	v_cmp_ne_u32_e64 s0, 0, v10
	s_delay_alu instid0(VALU_DEP_4) | instskip(SKIP_4) | instid1(VALU_DEP_4)
	v_and_b32_e32 v40, v40, v41
	v_cndmask_b32_e64 v41, 1, 2, vcc_lo
	v_add_co_u32 v4, vcc_lo, s24, v4
	v_add_co_ci_u32_e32 v5, vcc_lo, s25, v5, vcc_lo
	v_cmp_eq_u32_e32 vcc_lo, 0, v34
	v_and_b32_e32 v40, v40, v41
	v_cndmask_b32_e64 v41, 1, 2, vcc_lo
	v_add_co_u32 v4, vcc_lo, v4, v6
	v_add_co_ci_u32_e32 v5, vcc_lo, v5, v7, vcc_lo
	v_lshlrev_b32_e32 v6, 3, v8
	v_cmp_eq_u32_e32 vcc_lo, 0, v35
	v_and_b32_e32 v7, v40, v41
	v_add_nc_u32_e32 v8, v49, v8
	v_cndmask_b32_e64 v40, 1, 2, vcc_lo
	v_add_co_u32 v6, vcc_lo, v6, v4
	v_add_co_ci_u32_e32 v41, vcc_lo, 0, v5, vcc_lo
	v_cmp_eq_u32_e32 vcc_lo, 0, v15
	s_delay_alu instid0(VALU_DEP_4) | instskip(SKIP_4) | instid1(VALU_DEP_4)
	v_and_b32_e32 v40, v7, v40
	v_cndmask_b32_e64 v42, 1, 2, vcc_lo
	v_add_co_u32 v6, vcc_lo, v6, -8
	v_add_co_ci_u32_e32 v7, vcc_lo, -1, v41, vcc_lo
	v_cmp_eq_u32_e32 vcc_lo, 0, v39
	v_and_b32_e32 v40, v40, v42
	v_cndmask_b32_e64 v41, 1, 2, vcc_lo
	v_cmp_eq_u32_e32 vcc_lo, 0, v37
	s_delay_alu instid0(VALU_DEP_2) | instskip(SKIP_2) | instid1(VALU_DEP_2)
	v_and_b32_e32 v9, v40, v41
	v_cndmask_b32_e64 v11, 1, 2, vcc_lo
	v_cmp_eq_u32_e32 vcc_lo, 0, v10
	v_and_b32_e32 v9, v9, v11
	v_cndmask_b32_e64 v11, 1, 2, vcc_lo
	v_cmp_gt_u32_e32 vcc_lo, 0x100, v3
	s_delay_alu instid0(VALU_DEP_2) | instskip(NEXT) | instid1(VALU_DEP_1)
	v_and_b32_e32 v9, v9, v11
	v_cmp_gt_i16_e64 s15, 2, v9
	s_cbranch_vccz .LBB1010_236
; %bb.220:
	s_delay_alu instid0(VALU_DEP_1)
	s_and_saveexec_b32 s16, s15
	s_cbranch_execz .LBB1010_275
; %bb.221:
	s_mov_b32 s17, 0
	s_mov_b32 s15, exec_lo
	v_cmpx_ne_u16_e32 1, v9
	s_xor_b32 s15, exec_lo, s15
	s_cbranch_execz .LBB1010_253
; %bb.222:
	s_and_saveexec_b32 s17, s14
	s_cbranch_execz .LBB1010_258
; %bb.223:
	v_sub_nc_u32_e32 v10, v98, v8
	v_mov_b32_e32 v11, 0
	s_delay_alu instid0(VALU_DEP_1) | instskip(NEXT) | instid1(VALU_DEP_1)
	v_lshlrev_b64 v[10:11], 3, v[10:11]
	v_add_co_u32 v10, vcc_lo, v6, v10
	s_delay_alu instid0(VALU_DEP_2)
	v_add_co_ci_u32_e32 v11, vcc_lo, v7, v11, vcc_lo
	global_store_b64 v[10:11], v[61:62], off
	s_or_b32 exec_lo, exec_lo, s17
	s_and_saveexec_b32 s17, s13
	s_cbranch_execnz .LBB1010_259
.LBB1010_224:
	s_or_b32 exec_lo, exec_lo, s17
	s_and_saveexec_b32 s17, s12
	s_cbranch_execz .LBB1010_260
.LBB1010_225:
	v_sub_nc_u32_e32 v10, v31, v8
	v_mov_b32_e32 v11, 0
	s_delay_alu instid0(VALU_DEP_1) | instskip(NEXT) | instid1(VALU_DEP_1)
	v_lshlrev_b64 v[10:11], 3, v[10:11]
	v_add_co_u32 v10, vcc_lo, v6, v10
	s_delay_alu instid0(VALU_DEP_2)
	v_add_co_ci_u32_e32 v11, vcc_lo, v7, v11, vcc_lo
	global_store_b64 v[10:11], v[65:66], off
	s_or_b32 exec_lo, exec_lo, s17
	s_and_saveexec_b32 s17, s11
	s_cbranch_execnz .LBB1010_261
.LBB1010_226:
	s_or_b32 exec_lo, exec_lo, s17
	s_and_saveexec_b32 s17, s10
	s_cbranch_execz .LBB1010_262
.LBB1010_227:
	v_sub_nc_u32_e32 v10, v29, v8
	v_mov_b32_e32 v11, 0
	s_delay_alu instid0(VALU_DEP_1) | instskip(NEXT) | instid1(VALU_DEP_1)
	v_lshlrev_b64 v[10:11], 3, v[10:11]
	v_add_co_u32 v10, vcc_lo, v6, v10
	s_delay_alu instid0(VALU_DEP_2)
	v_add_co_ci_u32_e32 v11, vcc_lo, v7, v11, vcc_lo
	global_store_b64 v[10:11], v[51:52], off
	s_or_b32 exec_lo, exec_lo, s17
	s_and_saveexec_b32 s17, s9
	s_cbranch_execnz .LBB1010_263
.LBB1010_228:
	s_or_b32 exec_lo, exec_lo, s17
	s_and_saveexec_b32 s17, s8
	s_cbranch_execz .LBB1010_264
.LBB1010_229:
	v_sub_nc_u32_e32 v10, v27, v8
	v_mov_b32_e32 v11, 0
	s_delay_alu instid0(VALU_DEP_1) | instskip(NEXT) | instid1(VALU_DEP_1)
	v_lshlrev_b64 v[10:11], 3, v[10:11]
	v_add_co_u32 v10, vcc_lo, v6, v10
	s_delay_alu instid0(VALU_DEP_2)
	v_add_co_ci_u32_e32 v11, vcc_lo, v7, v11, vcc_lo
	global_store_b64 v[10:11], v[63:64], off
	s_or_b32 exec_lo, exec_lo, s17
	s_and_saveexec_b32 s17, s7
	s_cbranch_execnz .LBB1010_265
.LBB1010_230:
	s_or_b32 exec_lo, exec_lo, s17
	s_and_saveexec_b32 s17, s6
	s_cbranch_execz .LBB1010_266
.LBB1010_231:
	v_sub_nc_u32_e32 v10, v25, v8
	v_mov_b32_e32 v11, 0
	s_delay_alu instid0(VALU_DEP_1) | instskip(NEXT) | instid1(VALU_DEP_1)
	v_lshlrev_b64 v[10:11], 3, v[10:11]
	v_add_co_u32 v10, vcc_lo, v6, v10
	s_delay_alu instid0(VALU_DEP_2)
	v_add_co_ci_u32_e32 v11, vcc_lo, v7, v11, vcc_lo
	global_store_b64 v[10:11], v[71:72], off
	s_or_b32 exec_lo, exec_lo, s17
	s_and_saveexec_b32 s17, s5
	s_cbranch_execnz .LBB1010_267
.LBB1010_232:
	s_or_b32 exec_lo, exec_lo, s17
	s_and_saveexec_b32 s17, s4
	s_cbranch_execz .LBB1010_268
.LBB1010_233:
	v_sub_nc_u32_e32 v10, v23, v8
	v_mov_b32_e32 v11, 0
	s_delay_alu instid0(VALU_DEP_1) | instskip(NEXT) | instid1(VALU_DEP_1)
	v_lshlrev_b64 v[10:11], 3, v[10:11]
	v_add_co_u32 v10, vcc_lo, v6, v10
	s_delay_alu instid0(VALU_DEP_2)
	v_add_co_ci_u32_e32 v11, vcc_lo, v7, v11, vcc_lo
	global_store_b64 v[10:11], v[57:58], off
	s_or_b32 exec_lo, exec_lo, s17
	s_and_saveexec_b32 s17, s3
	s_cbranch_execnz .LBB1010_269
.LBB1010_234:
	s_or_b32 exec_lo, exec_lo, s17
	s_and_saveexec_b32 s17, s2
	s_cbranch_execz .LBB1010_270
.LBB1010_235:
	v_sub_nc_u32_e32 v10, v21, v8
	v_mov_b32_e32 v11, 0
	s_delay_alu instid0(VALU_DEP_1) | instskip(NEXT) | instid1(VALU_DEP_1)
	v_lshlrev_b64 v[10:11], 3, v[10:11]
	v_add_co_u32 v10, vcc_lo, v6, v10
	s_delay_alu instid0(VALU_DEP_2)
	v_add_co_ci_u32_e32 v11, vcc_lo, v7, v11, vcc_lo
	global_store_b64 v[10:11], v[77:78], off
	s_or_b32 exec_lo, exec_lo, s17
	s_and_saveexec_b32 s17, s1
	s_cbranch_execnz .LBB1010_271
	s_branch .LBB1010_272
.LBB1010_236:
	s_and_b32 vcc_lo, exec_lo, s16
	s_cbranch_vccz .LBB1010_276
; %bb.237:
	s_mov_b32 s15, exec_lo
	v_cmpx_gt_i16_e32 2, v9
	s_cbranch_execz .LBB1010_294
; %bb.238:
	s_mov_b32 s17, 0
	s_mov_b32 s16, exec_lo
	v_cmpx_ne_u16_e32 1, v9
	s_xor_b32 s16, exec_lo, s16
	s_cbranch_execz .LBB1010_255
; %bb.239:
	s_and_saveexec_b32 s17, s14
	s_cbranch_execz .LBB1010_277
; %bb.240:
	v_sub_nc_u32_e32 v9, v98, v8
	s_delay_alu instid0(VALU_DEP_1)
	v_lshlrev_b32_e32 v9, 3, v9
	ds_store_b64 v9, v[61:62]
	s_or_b32 exec_lo, exec_lo, s17
	s_and_saveexec_b32 s14, s13
	s_cbranch_execnz .LBB1010_278
.LBB1010_241:
	s_or_b32 exec_lo, exec_lo, s14
	s_and_saveexec_b32 s13, s12
	s_cbranch_execz .LBB1010_279
.LBB1010_242:
	v_sub_nc_u32_e32 v9, v31, v8
	s_delay_alu instid0(VALU_DEP_1)
	v_lshlrev_b32_e32 v9, 3, v9
	ds_store_b64 v9, v[65:66]
	s_or_b32 exec_lo, exec_lo, s13
	s_and_saveexec_b32 s12, s11
	s_cbranch_execnz .LBB1010_280
.LBB1010_243:
	s_or_b32 exec_lo, exec_lo, s12
	s_and_saveexec_b32 s11, s10
	s_cbranch_execz .LBB1010_281
.LBB1010_244:
	v_sub_nc_u32_e32 v9, v29, v8
	s_delay_alu instid0(VALU_DEP_1)
	v_lshlrev_b32_e32 v9, 3, v9
	ds_store_b64 v9, v[51:52]
	s_or_b32 exec_lo, exec_lo, s11
	s_and_saveexec_b32 s10, s9
	s_cbranch_execnz .LBB1010_282
.LBB1010_245:
	s_or_b32 exec_lo, exec_lo, s10
	s_and_saveexec_b32 s9, s8
	s_cbranch_execz .LBB1010_283
.LBB1010_246:
	v_sub_nc_u32_e32 v9, v27, v8
	s_delay_alu instid0(VALU_DEP_1)
	v_lshlrev_b32_e32 v9, 3, v9
	ds_store_b64 v9, v[63:64]
	s_or_b32 exec_lo, exec_lo, s9
	s_and_saveexec_b32 s8, s7
	s_cbranch_execnz .LBB1010_284
.LBB1010_247:
	s_or_b32 exec_lo, exec_lo, s8
	s_and_saveexec_b32 s7, s6
	s_cbranch_execz .LBB1010_285
.LBB1010_248:
	v_sub_nc_u32_e32 v9, v25, v8
	s_delay_alu instid0(VALU_DEP_1)
	v_lshlrev_b32_e32 v9, 3, v9
	ds_store_b64 v9, v[71:72]
	s_or_b32 exec_lo, exec_lo, s7
	s_and_saveexec_b32 s6, s5
	s_cbranch_execnz .LBB1010_286
.LBB1010_249:
	s_or_b32 exec_lo, exec_lo, s6
	s_and_saveexec_b32 s5, s4
	s_cbranch_execz .LBB1010_287
.LBB1010_250:
	v_sub_nc_u32_e32 v9, v23, v8
	s_delay_alu instid0(VALU_DEP_1)
	v_lshlrev_b32_e32 v9, 3, v9
	ds_store_b64 v9, v[57:58]
	s_or_b32 exec_lo, exec_lo, s5
	s_and_saveexec_b32 s4, s3
	s_cbranch_execnz .LBB1010_288
.LBB1010_251:
	s_or_b32 exec_lo, exec_lo, s4
	s_and_saveexec_b32 s3, s2
	s_cbranch_execz .LBB1010_289
.LBB1010_252:
	v_sub_nc_u32_e32 v9, v21, v8
	s_delay_alu instid0(VALU_DEP_1)
	v_lshlrev_b32_e32 v9, 3, v9
	ds_store_b64 v9, v[77:78]
	s_or_b32 exec_lo, exec_lo, s3
	s_and_saveexec_b32 s2, s1
	s_cbranch_execnz .LBB1010_290
	s_branch .LBB1010_291
.LBB1010_253:
	s_and_not1_saveexec_b32 s15, s15
	s_cbranch_execz .LBB1010_273
.LBB1010_254:
	v_sub_nc_u32_e32 v10, v98, v8
	v_mov_b32_e32 v11, 0
	s_or_b32 s17, s17, exec_lo
	s_delay_alu instid0(VALU_DEP_1) | instskip(SKIP_1) | instid1(VALU_DEP_1)
	v_lshlrev_b64 v[12:13], 3, v[10:11]
	v_sub_nc_u32_e32 v10, v32, v8
	v_lshlrev_b64 v[14:15], 3, v[10:11]
	v_sub_nc_u32_e32 v10, v31, v8
	s_delay_alu instid0(VALU_DEP_4) | instskip(SKIP_1) | instid1(VALU_DEP_3)
	v_add_co_u32 v12, vcc_lo, v6, v12
	v_add_co_ci_u32_e32 v13, vcc_lo, v7, v13, vcc_lo
	v_lshlrev_b64 v[33:34], 3, v[10:11]
	v_sub_nc_u32_e32 v10, v30, v8
	v_add_co_u32 v14, vcc_lo, v6, v14
	v_add_co_ci_u32_e32 v15, vcc_lo, v7, v15, vcc_lo
	global_store_b64 v[12:13], v[61:62], off
	v_lshlrev_b64 v[12:13], 3, v[10:11]
	v_sub_nc_u32_e32 v10, v29, v8
	global_store_b64 v[14:15], v[59:60], off
	v_add_co_u32 v14, vcc_lo, v6, v33
	v_add_co_ci_u32_e32 v15, vcc_lo, v7, v34, vcc_lo
	v_lshlrev_b64 v[33:34], 3, v[10:11]
	v_sub_nc_u32_e32 v10, v28, v8
	v_add_co_u32 v12, vcc_lo, v6, v12
	v_add_co_ci_u32_e32 v13, vcc_lo, v7, v13, vcc_lo
	s_delay_alu instid0(VALU_DEP_3) | instskip(SKIP_3) | instid1(VALU_DEP_3)
	v_lshlrev_b64 v[35:36], 3, v[10:11]
	v_sub_nc_u32_e32 v10, v27, v8
	v_add_co_u32 v33, vcc_lo, v6, v33
	v_add_co_ci_u32_e32 v34, vcc_lo, v7, v34, vcc_lo
	v_lshlrev_b64 v[37:38], 3, v[10:11]
	v_sub_nc_u32_e32 v10, v26, v8
	v_add_co_u32 v35, vcc_lo, v6, v35
	v_add_co_ci_u32_e32 v36, vcc_lo, v7, v36, vcc_lo
	s_clause 0x3
	global_store_b64 v[14:15], v[65:66], off
	global_store_b64 v[12:13], v[69:70], off
	;; [unrolled: 1-line block ×4, first 2 shown]
	v_lshlrev_b64 v[12:13], 3, v[10:11]
	v_sub_nc_u32_e32 v10, v25, v8
	v_add_co_u32 v14, vcc_lo, v6, v37
	v_add_co_ci_u32_e32 v15, vcc_lo, v7, v38, vcc_lo
	s_delay_alu instid0(VALU_DEP_3) | instskip(SKIP_3) | instid1(VALU_DEP_3)
	v_lshlrev_b64 v[33:34], 3, v[10:11]
	v_sub_nc_u32_e32 v10, v24, v8
	v_add_co_u32 v12, vcc_lo, v6, v12
	v_add_co_ci_u32_e32 v13, vcc_lo, v7, v13, vcc_lo
	v_lshlrev_b64 v[35:36], 3, v[10:11]
	v_sub_nc_u32_e32 v10, v23, v8
	v_add_co_u32 v33, vcc_lo, v6, v33
	v_add_co_ci_u32_e32 v34, vcc_lo, v7, v34, vcc_lo
	s_delay_alu instid0(VALU_DEP_3)
	v_lshlrev_b64 v[37:38], 3, v[10:11]
	v_sub_nc_u32_e32 v10, v22, v8
	v_add_co_u32 v35, vcc_lo, v6, v35
	v_add_co_ci_u32_e32 v36, vcc_lo, v7, v36, vcc_lo
	s_clause 0x3
	global_store_b64 v[14:15], v[63:64], off
	global_store_b64 v[12:13], v[67:68], off
	;; [unrolled: 1-line block ×4, first 2 shown]
	v_lshlrev_b64 v[12:13], 3, v[10:11]
	v_sub_nc_u32_e32 v10, v21, v8
	v_add_co_u32 v14, vcc_lo, v6, v37
	v_add_co_ci_u32_e32 v15, vcc_lo, v7, v38, vcc_lo
	s_delay_alu instid0(VALU_DEP_3) | instskip(SKIP_3) | instid1(VALU_DEP_3)
	v_lshlrev_b64 v[33:34], 3, v[10:11]
	v_sub_nc_u32_e32 v10, v20, v8
	v_add_co_u32 v12, vcc_lo, v6, v12
	v_add_co_ci_u32_e32 v13, vcc_lo, v7, v13, vcc_lo
	v_lshlrev_b64 v[10:11], 3, v[10:11]
	v_add_co_u32 v33, vcc_lo, v6, v33
	v_add_co_ci_u32_e32 v34, vcc_lo, v7, v34, vcc_lo
	s_clause 0x2
	global_store_b64 v[14:15], v[57:58], off
	global_store_b64 v[12:13], v[73:74], off
	;; [unrolled: 1-line block ×3, first 2 shown]
	v_add_co_u32 v10, vcc_lo, v6, v10
	v_add_co_ci_u32_e32 v11, vcc_lo, v7, v11, vcc_lo
	global_store_b64 v[10:11], v[75:76], off
	s_or_b32 exec_lo, exec_lo, s15
	s_delay_alu instid0(SALU_CYCLE_1)
	s_and_b32 exec_lo, exec_lo, s17
	s_cbranch_execnz .LBB1010_274
	s_branch .LBB1010_275
.LBB1010_255:
	s_and_not1_saveexec_b32 s0, s16
	s_cbranch_execz .LBB1010_292
.LBB1010_256:
	v_sub_nc_u32_e32 v9, v98, v8
	v_sub_nc_u32_e32 v10, v32, v8
	;; [unrolled: 1-line block ×5, first 2 shown]
	v_lshlrev_b32_e32 v9, 3, v9
	v_lshlrev_b32_e32 v10, 3, v10
	;; [unrolled: 1-line block ×4, first 2 shown]
	s_or_b32 s17, s17, exec_lo
	ds_store_b64 v9, v[61:62]
	ds_store_b64 v10, v[59:60]
	;; [unrolled: 1-line block ×3, first 2 shown]
	v_sub_nc_u32_e32 v9, v29, v8
	v_sub_nc_u32_e32 v10, v28, v8
	;; [unrolled: 1-line block ×3, first 2 shown]
	ds_store_b64 v12, v[69:70]
	v_sub_nc_u32_e32 v12, v26, v8
	v_lshlrev_b32_e32 v9, 3, v9
	v_lshlrev_b32_e32 v10, 3, v10
	;; [unrolled: 1-line block ×3, first 2 shown]
	s_delay_alu instid0(VALU_DEP_4)
	v_lshlrev_b32_e32 v12, 3, v12
	ds_store_b64 v9, v[51:52]
	v_lshlrev_b32_e32 v9, 3, v13
	ds_store_b64 v10, v[55:56]
	ds_store_b64 v11, v[63:64]
	;; [unrolled: 1-line block ×3, first 2 shown]
	v_sub_nc_u32_e32 v10, v24, v8
	v_sub_nc_u32_e32 v13, v20, v8
	;; [unrolled: 1-line block ×3, first 2 shown]
	ds_store_b64 v9, v[71:72]
	v_sub_nc_u32_e32 v9, v23, v8
	v_lshlrev_b32_e32 v10, 3, v10
	v_sub_nc_u32_e32 v12, v21, v8
	v_lshlrev_b32_e32 v11, 3, v11
	s_delay_alu instid0(VALU_DEP_4)
	v_lshlrev_b32_e32 v9, 3, v9
	ds_store_b64 v10, v[53:54]
	v_lshlrev_b32_e32 v10, 3, v13
	v_lshlrev_b32_e32 v12, 3, v12
	ds_store_b64 v9, v[57:58]
	ds_store_b64 v11, v[73:74]
	;; [unrolled: 1-line block ×4, first 2 shown]
	s_or_b32 exec_lo, exec_lo, s0
	s_delay_alu instid0(SALU_CYCLE_1)
	s_and_b32 exec_lo, exec_lo, s17
	s_cbranch_execnz .LBB1010_293
	s_branch .LBB1010_294
.LBB1010_257:
	s_or_b32 exec_lo, exec_lo, s2
	v_mov_b32_e32 v96, s1
	s_and_saveexec_b32 s1, s35
	s_cbranch_execnz .LBB1010_72
	s_branch .LBB1010_73
.LBB1010_258:
	s_or_b32 exec_lo, exec_lo, s17
	s_and_saveexec_b32 s17, s13
	s_cbranch_execz .LBB1010_224
.LBB1010_259:
	v_sub_nc_u32_e32 v10, v32, v8
	v_mov_b32_e32 v11, 0
	s_delay_alu instid0(VALU_DEP_1) | instskip(NEXT) | instid1(VALU_DEP_1)
	v_lshlrev_b64 v[10:11], 3, v[10:11]
	v_add_co_u32 v10, vcc_lo, v6, v10
	s_delay_alu instid0(VALU_DEP_2)
	v_add_co_ci_u32_e32 v11, vcc_lo, v7, v11, vcc_lo
	global_store_b64 v[10:11], v[59:60], off
	s_or_b32 exec_lo, exec_lo, s17
	s_and_saveexec_b32 s17, s12
	s_cbranch_execnz .LBB1010_225
.LBB1010_260:
	s_or_b32 exec_lo, exec_lo, s17
	s_and_saveexec_b32 s17, s11
	s_cbranch_execz .LBB1010_226
.LBB1010_261:
	v_sub_nc_u32_e32 v10, v30, v8
	v_mov_b32_e32 v11, 0
	s_delay_alu instid0(VALU_DEP_1) | instskip(NEXT) | instid1(VALU_DEP_1)
	v_lshlrev_b64 v[10:11], 3, v[10:11]
	v_add_co_u32 v10, vcc_lo, v6, v10
	s_delay_alu instid0(VALU_DEP_2)
	v_add_co_ci_u32_e32 v11, vcc_lo, v7, v11, vcc_lo
	global_store_b64 v[10:11], v[69:70], off
	s_or_b32 exec_lo, exec_lo, s17
	s_and_saveexec_b32 s17, s10
	s_cbranch_execnz .LBB1010_227
.LBB1010_262:
	s_or_b32 exec_lo, exec_lo, s17
	s_and_saveexec_b32 s17, s9
	s_cbranch_execz .LBB1010_228
.LBB1010_263:
	v_sub_nc_u32_e32 v10, v28, v8
	v_mov_b32_e32 v11, 0
	s_delay_alu instid0(VALU_DEP_1) | instskip(NEXT) | instid1(VALU_DEP_1)
	v_lshlrev_b64 v[10:11], 3, v[10:11]
	v_add_co_u32 v10, vcc_lo, v6, v10
	s_delay_alu instid0(VALU_DEP_2)
	v_add_co_ci_u32_e32 v11, vcc_lo, v7, v11, vcc_lo
	global_store_b64 v[10:11], v[55:56], off
	s_or_b32 exec_lo, exec_lo, s17
	s_and_saveexec_b32 s17, s8
	s_cbranch_execnz .LBB1010_229
.LBB1010_264:
	s_or_b32 exec_lo, exec_lo, s17
	s_and_saveexec_b32 s17, s7
	s_cbranch_execz .LBB1010_230
.LBB1010_265:
	v_sub_nc_u32_e32 v10, v26, v8
	v_mov_b32_e32 v11, 0
	s_delay_alu instid0(VALU_DEP_1) | instskip(NEXT) | instid1(VALU_DEP_1)
	v_lshlrev_b64 v[10:11], 3, v[10:11]
	v_add_co_u32 v10, vcc_lo, v6, v10
	s_delay_alu instid0(VALU_DEP_2)
	v_add_co_ci_u32_e32 v11, vcc_lo, v7, v11, vcc_lo
	global_store_b64 v[10:11], v[67:68], off
	s_or_b32 exec_lo, exec_lo, s17
	s_and_saveexec_b32 s17, s6
	s_cbranch_execnz .LBB1010_231
.LBB1010_266:
	s_or_b32 exec_lo, exec_lo, s17
	s_and_saveexec_b32 s17, s5
	s_cbranch_execz .LBB1010_232
.LBB1010_267:
	v_sub_nc_u32_e32 v10, v24, v8
	v_mov_b32_e32 v11, 0
	s_delay_alu instid0(VALU_DEP_1) | instskip(NEXT) | instid1(VALU_DEP_1)
	v_lshlrev_b64 v[10:11], 3, v[10:11]
	v_add_co_u32 v10, vcc_lo, v6, v10
	s_delay_alu instid0(VALU_DEP_2)
	v_add_co_ci_u32_e32 v11, vcc_lo, v7, v11, vcc_lo
	global_store_b64 v[10:11], v[53:54], off
	s_or_b32 exec_lo, exec_lo, s17
	s_and_saveexec_b32 s17, s4
	s_cbranch_execnz .LBB1010_233
.LBB1010_268:
	s_or_b32 exec_lo, exec_lo, s17
	s_and_saveexec_b32 s17, s3
	s_cbranch_execz .LBB1010_234
.LBB1010_269:
	v_sub_nc_u32_e32 v10, v22, v8
	v_mov_b32_e32 v11, 0
	s_delay_alu instid0(VALU_DEP_1) | instskip(NEXT) | instid1(VALU_DEP_1)
	v_lshlrev_b64 v[10:11], 3, v[10:11]
	v_add_co_u32 v10, vcc_lo, v6, v10
	s_delay_alu instid0(VALU_DEP_2)
	v_add_co_ci_u32_e32 v11, vcc_lo, v7, v11, vcc_lo
	global_store_b64 v[10:11], v[73:74], off
	s_or_b32 exec_lo, exec_lo, s17
	s_and_saveexec_b32 s17, s2
	s_cbranch_execnz .LBB1010_235
.LBB1010_270:
	s_or_b32 exec_lo, exec_lo, s17
	s_and_saveexec_b32 s17, s1
	s_cbranch_execz .LBB1010_272
.LBB1010_271:
	v_sub_nc_u32_e32 v10, v20, v8
	v_mov_b32_e32 v11, 0
	s_delay_alu instid0(VALU_DEP_1) | instskip(NEXT) | instid1(VALU_DEP_1)
	v_lshlrev_b64 v[10:11], 3, v[10:11]
	v_add_co_u32 v10, vcc_lo, v6, v10
	s_delay_alu instid0(VALU_DEP_2)
	v_add_co_ci_u32_e32 v11, vcc_lo, v7, v11, vcc_lo
	global_store_b64 v[10:11], v[75:76], off
.LBB1010_272:
	s_or_b32 exec_lo, exec_lo, s17
	s_delay_alu instid0(SALU_CYCLE_1)
	s_and_b32 s17, s0, exec_lo
	s_and_not1_saveexec_b32 s15, s15
	s_cbranch_execnz .LBB1010_254
.LBB1010_273:
	s_or_b32 exec_lo, exec_lo, s15
	s_delay_alu instid0(SALU_CYCLE_1)
	s_and_b32 exec_lo, exec_lo, s17
	s_cbranch_execz .LBB1010_275
.LBB1010_274:
	v_sub_nc_u32_e32 v10, v19, v8
	v_mov_b32_e32 v11, 0
	s_delay_alu instid0(VALU_DEP_1) | instskip(NEXT) | instid1(VALU_DEP_1)
	v_lshlrev_b64 v[10:11], 3, v[10:11]
	v_add_co_u32 v10, vcc_lo, v6, v10
	s_delay_alu instid0(VALU_DEP_2)
	v_add_co_ci_u32_e32 v11, vcc_lo, v7, v11, vcc_lo
	global_store_b64 v[10:11], v[1:2], off
.LBB1010_275:
	s_or_b32 exec_lo, exec_lo, s16
.LBB1010_276:
	v_cmp_eq_u32_e32 vcc_lo, 0xff, v0
	s_and_b32 s0, vcc_lo, s23
	s_delay_alu instid0(SALU_CYCLE_1)
	s_and_saveexec_b32 s1, s0
	s_cbranch_execnz .LBB1010_298
	s_branch .LBB1010_300
.LBB1010_277:
	s_or_b32 exec_lo, exec_lo, s17
	s_and_saveexec_b32 s14, s13
	s_cbranch_execz .LBB1010_241
.LBB1010_278:
	v_sub_nc_u32_e32 v9, v32, v8
	s_delay_alu instid0(VALU_DEP_1)
	v_lshlrev_b32_e32 v9, 3, v9
	ds_store_b64 v9, v[59:60]
	s_or_b32 exec_lo, exec_lo, s14
	s_and_saveexec_b32 s13, s12
	s_cbranch_execnz .LBB1010_242
.LBB1010_279:
	s_or_b32 exec_lo, exec_lo, s13
	s_and_saveexec_b32 s12, s11
	s_cbranch_execz .LBB1010_243
.LBB1010_280:
	v_sub_nc_u32_e32 v9, v30, v8
	s_delay_alu instid0(VALU_DEP_1)
	v_lshlrev_b32_e32 v9, 3, v9
	ds_store_b64 v9, v[69:70]
	s_or_b32 exec_lo, exec_lo, s12
	s_and_saveexec_b32 s11, s10
	s_cbranch_execnz .LBB1010_244
.LBB1010_281:
	s_or_b32 exec_lo, exec_lo, s11
	s_and_saveexec_b32 s10, s9
	s_cbranch_execz .LBB1010_245
.LBB1010_282:
	v_sub_nc_u32_e32 v9, v28, v8
	s_delay_alu instid0(VALU_DEP_1)
	v_lshlrev_b32_e32 v9, 3, v9
	ds_store_b64 v9, v[55:56]
	s_or_b32 exec_lo, exec_lo, s10
	s_and_saveexec_b32 s9, s8
	s_cbranch_execnz .LBB1010_246
.LBB1010_283:
	s_or_b32 exec_lo, exec_lo, s9
	s_and_saveexec_b32 s8, s7
	s_cbranch_execz .LBB1010_247
.LBB1010_284:
	v_sub_nc_u32_e32 v9, v26, v8
	s_delay_alu instid0(VALU_DEP_1)
	v_lshlrev_b32_e32 v9, 3, v9
	ds_store_b64 v9, v[67:68]
	s_or_b32 exec_lo, exec_lo, s8
	s_and_saveexec_b32 s7, s6
	s_cbranch_execnz .LBB1010_248
.LBB1010_285:
	s_or_b32 exec_lo, exec_lo, s7
	s_and_saveexec_b32 s6, s5
	s_cbranch_execz .LBB1010_249
.LBB1010_286:
	v_sub_nc_u32_e32 v9, v24, v8
	s_delay_alu instid0(VALU_DEP_1)
	v_lshlrev_b32_e32 v9, 3, v9
	ds_store_b64 v9, v[53:54]
	s_or_b32 exec_lo, exec_lo, s6
	s_and_saveexec_b32 s5, s4
	s_cbranch_execnz .LBB1010_250
.LBB1010_287:
	s_or_b32 exec_lo, exec_lo, s5
	s_and_saveexec_b32 s4, s3
	s_cbranch_execz .LBB1010_251
.LBB1010_288:
	v_sub_nc_u32_e32 v9, v22, v8
	s_delay_alu instid0(VALU_DEP_1)
	v_lshlrev_b32_e32 v9, 3, v9
	ds_store_b64 v9, v[73:74]
	s_or_b32 exec_lo, exec_lo, s4
	s_and_saveexec_b32 s3, s2
	s_cbranch_execnz .LBB1010_252
.LBB1010_289:
	s_or_b32 exec_lo, exec_lo, s3
	s_and_saveexec_b32 s2, s1
	s_cbranch_execz .LBB1010_291
.LBB1010_290:
	v_sub_nc_u32_e32 v9, v20, v8
	s_delay_alu instid0(VALU_DEP_1)
	v_lshlrev_b32_e32 v9, 3, v9
	ds_store_b64 v9, v[75:76]
.LBB1010_291:
	s_or_b32 exec_lo, exec_lo, s2
	s_delay_alu instid0(SALU_CYCLE_1)
	s_and_b32 s17, s0, exec_lo
                                        ; implicit-def: $vgpr61_vgpr62
                                        ; implicit-def: $vgpr59_vgpr60
                                        ; implicit-def: $vgpr65_vgpr66
                                        ; implicit-def: $vgpr69_vgpr70
                                        ; implicit-def: $vgpr51_vgpr52
                                        ; implicit-def: $vgpr55_vgpr56
                                        ; implicit-def: $vgpr63_vgpr64
                                        ; implicit-def: $vgpr67_vgpr68
                                        ; implicit-def: $vgpr71_vgpr72
                                        ; implicit-def: $vgpr53_vgpr54
                                        ; implicit-def: $vgpr57_vgpr58
                                        ; implicit-def: $vgpr73_vgpr74
                                        ; implicit-def: $vgpr77_vgpr78
                                        ; implicit-def: $vgpr75_vgpr76
                                        ; implicit-def: $vgpr98
                                        ; implicit-def: $vgpr32
                                        ; implicit-def: $vgpr31
                                        ; implicit-def: $vgpr30
                                        ; implicit-def: $vgpr29
                                        ; implicit-def: $vgpr28
                                        ; implicit-def: $vgpr27
                                        ; implicit-def: $vgpr26
                                        ; implicit-def: $vgpr25
                                        ; implicit-def: $vgpr24
                                        ; implicit-def: $vgpr23
                                        ; implicit-def: $vgpr22
                                        ; implicit-def: $vgpr21
                                        ; implicit-def: $vgpr20
	s_and_not1_saveexec_b32 s0, s16
	s_cbranch_execnz .LBB1010_256
.LBB1010_292:
	s_or_b32 exec_lo, exec_lo, s0
	s_delay_alu instid0(SALU_CYCLE_1)
	s_and_b32 exec_lo, exec_lo, s17
	s_cbranch_execz .LBB1010_294
.LBB1010_293:
	v_sub_nc_u32_e32 v8, v19, v8
	s_delay_alu instid0(VALU_DEP_1)
	v_lshlrev_b32_e32 v8, 3, v8
	ds_store_b64 v8, v[1:2]
.LBB1010_294:
	s_or_b32 exec_lo, exec_lo, s15
	s_delay_alu instid0(SALU_CYCLE_1)
	s_mov_b32 s1, exec_lo
	s_waitcnt lgkmcnt(0)
	s_waitcnt_vscnt null, 0x0
	s_barrier
	buffer_gl0_inv
	v_cmpx_lt_u32_e64 v0, v3
	s_cbranch_execz .LBB1010_297
; %bb.295:
	v_dual_mov_b32 v1, v0 :: v_dual_lshlrev_b32 v8, 3, v0
	v_mov_b32_e32 v2, 0
	s_mov_b32 s2, 0
	.p2align	6
.LBB1010_296:                           ; =>This Inner Loop Header: Depth=1
	ds_load_b64 v[9:10], v8
	v_lshlrev_b64 v[11:12], 3, v[1:2]
	v_add_nc_u32_e32 v1, 0x100, v1
	v_add_nc_u32_e32 v8, 0x800, v8
	s_delay_alu instid0(VALU_DEP_2) | instskip(NEXT) | instid1(VALU_DEP_4)
	v_cmp_ge_u32_e32 vcc_lo, v1, v3
	v_add_co_u32 v11, s0, v6, v11
	s_delay_alu instid0(VALU_DEP_1)
	v_add_co_ci_u32_e64 v12, s0, v7, v12, s0
	s_or_b32 s2, vcc_lo, s2
	s_waitcnt lgkmcnt(0)
	global_store_b64 v[11:12], v[9:10], off
	s_and_not1_b32 exec_lo, exec_lo, s2
	s_cbranch_execnz .LBB1010_296
.LBB1010_297:
	s_or_b32 exec_lo, exec_lo, s1
	v_cmp_eq_u32_e32 vcc_lo, 0xff, v0
	s_and_b32 s0, vcc_lo, s23
	s_delay_alu instid0(SALU_CYCLE_1)
	s_and_saveexec_b32 s1, s0
	s_cbranch_execz .LBB1010_300
.LBB1010_298:
	v_add_co_u32 v0, s0, v45, v49
	s_delay_alu instid0(VALU_DEP_1) | instskip(SKIP_1) | instid1(VALU_DEP_3)
	v_add_co_ci_u32_e64 v1, null, 0, 0, s0
	v_mov_b32_e32 v46, 0
	v_add_co_u32 v0, vcc_lo, v0, v17
	s_delay_alu instid0(VALU_DEP_3)
	v_add_co_ci_u32_e32 v1, vcc_lo, v1, v18, vcc_lo
	s_cmpk_lg_i32 s33, 0xf00
	global_store_b64 v46, v[0:1], s[26:27]
	s_cbranch_scc1 .LBB1010_300
; %bb.299:
	v_lshlrev_b64 v[0:1], 3, v[45:46]
	s_delay_alu instid0(VALU_DEP_1) | instskip(NEXT) | instid1(VALU_DEP_2)
	v_add_co_u32 v0, vcc_lo, v4, v0
	v_add_co_ci_u32_e32 v1, vcc_lo, v5, v1, vcc_lo
	global_store_b64 v[0:1], v[47:48], off offset:-8
	s_nop 0
	s_sendmsg sendmsg(MSG_DEALLOC_VGPRS)
	s_endpgm
.LBB1010_300:
	s_nop 0
	s_sendmsg sendmsg(MSG_DEALLOC_VGPRS)
	s_endpgm
	.section	.rodata,"a",@progbits
	.p2align	6, 0x0
	.amdhsa_kernel _ZN7rocprim17ROCPRIM_400000_NS6detail17trampoline_kernelINS0_14default_configENS1_29reduce_by_key_config_selectorIjxN6thrust23THRUST_200600_302600_NS4plusIxEEEEZZNS1_33reduce_by_key_impl_wrapped_configILNS1_25lookback_scan_determinismE0ES3_S9_NS6_6detail15normal_iteratorINS6_10device_ptrIjEEEENSD_INSE_IxEEEENS6_16discard_iteratorINS6_11use_defaultEEESI_PmS8_NS6_8equal_toIjEEEE10hipError_tPvRmT2_T3_mT4_T5_T6_T7_T8_P12ihipStream_tbENKUlT_T0_E_clISt17integral_constantIbLb1EES15_IbLb0EEEEDaS11_S12_EUlS11_E_NS1_11comp_targetILNS1_3genE9ELNS1_11target_archE1100ELNS1_3gpuE3ELNS1_3repE0EEENS1_30default_config_static_selectorELNS0_4arch9wavefront6targetE0EEEvT1_
		.amdhsa_group_segment_fixed_size 30720
		.amdhsa_private_segment_fixed_size 0
		.amdhsa_kernarg_size 144
		.amdhsa_user_sgpr_count 15
		.amdhsa_user_sgpr_dispatch_ptr 0
		.amdhsa_user_sgpr_queue_ptr 0
		.amdhsa_user_sgpr_kernarg_segment_ptr 1
		.amdhsa_user_sgpr_dispatch_id 0
		.amdhsa_user_sgpr_private_segment_size 0
		.amdhsa_wavefront_size32 1
		.amdhsa_uses_dynamic_stack 0
		.amdhsa_enable_private_segment 0
		.amdhsa_system_sgpr_workgroup_id_x 1
		.amdhsa_system_sgpr_workgroup_id_y 0
		.amdhsa_system_sgpr_workgroup_id_z 0
		.amdhsa_system_sgpr_workgroup_info 0
		.amdhsa_system_vgpr_workitem_id 0
		.amdhsa_next_free_vgpr 103
		.amdhsa_next_free_sgpr 52
		.amdhsa_reserve_vcc 1
		.amdhsa_float_round_mode_32 0
		.amdhsa_float_round_mode_16_64 0
		.amdhsa_float_denorm_mode_32 3
		.amdhsa_float_denorm_mode_16_64 3
		.amdhsa_dx10_clamp 1
		.amdhsa_ieee_mode 1
		.amdhsa_fp16_overflow 0
		.amdhsa_workgroup_processor_mode 1
		.amdhsa_memory_ordered 1
		.amdhsa_forward_progress 0
		.amdhsa_shared_vgpr_count 0
		.amdhsa_exception_fp_ieee_invalid_op 0
		.amdhsa_exception_fp_denorm_src 0
		.amdhsa_exception_fp_ieee_div_zero 0
		.amdhsa_exception_fp_ieee_overflow 0
		.amdhsa_exception_fp_ieee_underflow 0
		.amdhsa_exception_fp_ieee_inexact 0
		.amdhsa_exception_int_div_zero 0
	.end_amdhsa_kernel
	.section	.text._ZN7rocprim17ROCPRIM_400000_NS6detail17trampoline_kernelINS0_14default_configENS1_29reduce_by_key_config_selectorIjxN6thrust23THRUST_200600_302600_NS4plusIxEEEEZZNS1_33reduce_by_key_impl_wrapped_configILNS1_25lookback_scan_determinismE0ES3_S9_NS6_6detail15normal_iteratorINS6_10device_ptrIjEEEENSD_INSE_IxEEEENS6_16discard_iteratorINS6_11use_defaultEEESI_PmS8_NS6_8equal_toIjEEEE10hipError_tPvRmT2_T3_mT4_T5_T6_T7_T8_P12ihipStream_tbENKUlT_T0_E_clISt17integral_constantIbLb1EES15_IbLb0EEEEDaS11_S12_EUlS11_E_NS1_11comp_targetILNS1_3genE9ELNS1_11target_archE1100ELNS1_3gpuE3ELNS1_3repE0EEENS1_30default_config_static_selectorELNS0_4arch9wavefront6targetE0EEEvT1_,"axG",@progbits,_ZN7rocprim17ROCPRIM_400000_NS6detail17trampoline_kernelINS0_14default_configENS1_29reduce_by_key_config_selectorIjxN6thrust23THRUST_200600_302600_NS4plusIxEEEEZZNS1_33reduce_by_key_impl_wrapped_configILNS1_25lookback_scan_determinismE0ES3_S9_NS6_6detail15normal_iteratorINS6_10device_ptrIjEEEENSD_INSE_IxEEEENS6_16discard_iteratorINS6_11use_defaultEEESI_PmS8_NS6_8equal_toIjEEEE10hipError_tPvRmT2_T3_mT4_T5_T6_T7_T8_P12ihipStream_tbENKUlT_T0_E_clISt17integral_constantIbLb1EES15_IbLb0EEEEDaS11_S12_EUlS11_E_NS1_11comp_targetILNS1_3genE9ELNS1_11target_archE1100ELNS1_3gpuE3ELNS1_3repE0EEENS1_30default_config_static_selectorELNS0_4arch9wavefront6targetE0EEEvT1_,comdat
.Lfunc_end1010:
	.size	_ZN7rocprim17ROCPRIM_400000_NS6detail17trampoline_kernelINS0_14default_configENS1_29reduce_by_key_config_selectorIjxN6thrust23THRUST_200600_302600_NS4plusIxEEEEZZNS1_33reduce_by_key_impl_wrapped_configILNS1_25lookback_scan_determinismE0ES3_S9_NS6_6detail15normal_iteratorINS6_10device_ptrIjEEEENSD_INSE_IxEEEENS6_16discard_iteratorINS6_11use_defaultEEESI_PmS8_NS6_8equal_toIjEEEE10hipError_tPvRmT2_T3_mT4_T5_T6_T7_T8_P12ihipStream_tbENKUlT_T0_E_clISt17integral_constantIbLb1EES15_IbLb0EEEEDaS11_S12_EUlS11_E_NS1_11comp_targetILNS1_3genE9ELNS1_11target_archE1100ELNS1_3gpuE3ELNS1_3repE0EEENS1_30default_config_static_selectorELNS0_4arch9wavefront6targetE0EEEvT1_, .Lfunc_end1010-_ZN7rocprim17ROCPRIM_400000_NS6detail17trampoline_kernelINS0_14default_configENS1_29reduce_by_key_config_selectorIjxN6thrust23THRUST_200600_302600_NS4plusIxEEEEZZNS1_33reduce_by_key_impl_wrapped_configILNS1_25lookback_scan_determinismE0ES3_S9_NS6_6detail15normal_iteratorINS6_10device_ptrIjEEEENSD_INSE_IxEEEENS6_16discard_iteratorINS6_11use_defaultEEESI_PmS8_NS6_8equal_toIjEEEE10hipError_tPvRmT2_T3_mT4_T5_T6_T7_T8_P12ihipStream_tbENKUlT_T0_E_clISt17integral_constantIbLb1EES15_IbLb0EEEEDaS11_S12_EUlS11_E_NS1_11comp_targetILNS1_3genE9ELNS1_11target_archE1100ELNS1_3gpuE3ELNS1_3repE0EEENS1_30default_config_static_selectorELNS0_4arch9wavefront6targetE0EEEvT1_
                                        ; -- End function
	.section	.AMDGPU.csdata,"",@progbits
; Kernel info:
; codeLenInByte = 17796
; NumSgprs: 54
; NumVgprs: 103
; ScratchSize: 0
; MemoryBound: 0
; FloatMode: 240
; IeeeMode: 1
; LDSByteSize: 30720 bytes/workgroup (compile time only)
; SGPRBlocks: 6
; VGPRBlocks: 12
; NumSGPRsForWavesPerEU: 54
; NumVGPRsForWavesPerEU: 103
; Occupancy: 8
; WaveLimiterHint : 1
; COMPUTE_PGM_RSRC2:SCRATCH_EN: 0
; COMPUTE_PGM_RSRC2:USER_SGPR: 15
; COMPUTE_PGM_RSRC2:TRAP_HANDLER: 0
; COMPUTE_PGM_RSRC2:TGID_X_EN: 1
; COMPUTE_PGM_RSRC2:TGID_Y_EN: 0
; COMPUTE_PGM_RSRC2:TGID_Z_EN: 0
; COMPUTE_PGM_RSRC2:TIDIG_COMP_CNT: 0
	.section	.text._ZN7rocprim17ROCPRIM_400000_NS6detail17trampoline_kernelINS0_14default_configENS1_29reduce_by_key_config_selectorIjxN6thrust23THRUST_200600_302600_NS4plusIxEEEEZZNS1_33reduce_by_key_impl_wrapped_configILNS1_25lookback_scan_determinismE0ES3_S9_NS6_6detail15normal_iteratorINS6_10device_ptrIjEEEENSD_INSE_IxEEEENS6_16discard_iteratorINS6_11use_defaultEEESI_PmS8_NS6_8equal_toIjEEEE10hipError_tPvRmT2_T3_mT4_T5_T6_T7_T8_P12ihipStream_tbENKUlT_T0_E_clISt17integral_constantIbLb1EES15_IbLb0EEEEDaS11_S12_EUlS11_E_NS1_11comp_targetILNS1_3genE8ELNS1_11target_archE1030ELNS1_3gpuE2ELNS1_3repE0EEENS1_30default_config_static_selectorELNS0_4arch9wavefront6targetE0EEEvT1_,"axG",@progbits,_ZN7rocprim17ROCPRIM_400000_NS6detail17trampoline_kernelINS0_14default_configENS1_29reduce_by_key_config_selectorIjxN6thrust23THRUST_200600_302600_NS4plusIxEEEEZZNS1_33reduce_by_key_impl_wrapped_configILNS1_25lookback_scan_determinismE0ES3_S9_NS6_6detail15normal_iteratorINS6_10device_ptrIjEEEENSD_INSE_IxEEEENS6_16discard_iteratorINS6_11use_defaultEEESI_PmS8_NS6_8equal_toIjEEEE10hipError_tPvRmT2_T3_mT4_T5_T6_T7_T8_P12ihipStream_tbENKUlT_T0_E_clISt17integral_constantIbLb1EES15_IbLb0EEEEDaS11_S12_EUlS11_E_NS1_11comp_targetILNS1_3genE8ELNS1_11target_archE1030ELNS1_3gpuE2ELNS1_3repE0EEENS1_30default_config_static_selectorELNS0_4arch9wavefront6targetE0EEEvT1_,comdat
	.protected	_ZN7rocprim17ROCPRIM_400000_NS6detail17trampoline_kernelINS0_14default_configENS1_29reduce_by_key_config_selectorIjxN6thrust23THRUST_200600_302600_NS4plusIxEEEEZZNS1_33reduce_by_key_impl_wrapped_configILNS1_25lookback_scan_determinismE0ES3_S9_NS6_6detail15normal_iteratorINS6_10device_ptrIjEEEENSD_INSE_IxEEEENS6_16discard_iteratorINS6_11use_defaultEEESI_PmS8_NS6_8equal_toIjEEEE10hipError_tPvRmT2_T3_mT4_T5_T6_T7_T8_P12ihipStream_tbENKUlT_T0_E_clISt17integral_constantIbLb1EES15_IbLb0EEEEDaS11_S12_EUlS11_E_NS1_11comp_targetILNS1_3genE8ELNS1_11target_archE1030ELNS1_3gpuE2ELNS1_3repE0EEENS1_30default_config_static_selectorELNS0_4arch9wavefront6targetE0EEEvT1_ ; -- Begin function _ZN7rocprim17ROCPRIM_400000_NS6detail17trampoline_kernelINS0_14default_configENS1_29reduce_by_key_config_selectorIjxN6thrust23THRUST_200600_302600_NS4plusIxEEEEZZNS1_33reduce_by_key_impl_wrapped_configILNS1_25lookback_scan_determinismE0ES3_S9_NS6_6detail15normal_iteratorINS6_10device_ptrIjEEEENSD_INSE_IxEEEENS6_16discard_iteratorINS6_11use_defaultEEESI_PmS8_NS6_8equal_toIjEEEE10hipError_tPvRmT2_T3_mT4_T5_T6_T7_T8_P12ihipStream_tbENKUlT_T0_E_clISt17integral_constantIbLb1EES15_IbLb0EEEEDaS11_S12_EUlS11_E_NS1_11comp_targetILNS1_3genE8ELNS1_11target_archE1030ELNS1_3gpuE2ELNS1_3repE0EEENS1_30default_config_static_selectorELNS0_4arch9wavefront6targetE0EEEvT1_
	.globl	_ZN7rocprim17ROCPRIM_400000_NS6detail17trampoline_kernelINS0_14default_configENS1_29reduce_by_key_config_selectorIjxN6thrust23THRUST_200600_302600_NS4plusIxEEEEZZNS1_33reduce_by_key_impl_wrapped_configILNS1_25lookback_scan_determinismE0ES3_S9_NS6_6detail15normal_iteratorINS6_10device_ptrIjEEEENSD_INSE_IxEEEENS6_16discard_iteratorINS6_11use_defaultEEESI_PmS8_NS6_8equal_toIjEEEE10hipError_tPvRmT2_T3_mT4_T5_T6_T7_T8_P12ihipStream_tbENKUlT_T0_E_clISt17integral_constantIbLb1EES15_IbLb0EEEEDaS11_S12_EUlS11_E_NS1_11comp_targetILNS1_3genE8ELNS1_11target_archE1030ELNS1_3gpuE2ELNS1_3repE0EEENS1_30default_config_static_selectorELNS0_4arch9wavefront6targetE0EEEvT1_
	.p2align	8
	.type	_ZN7rocprim17ROCPRIM_400000_NS6detail17trampoline_kernelINS0_14default_configENS1_29reduce_by_key_config_selectorIjxN6thrust23THRUST_200600_302600_NS4plusIxEEEEZZNS1_33reduce_by_key_impl_wrapped_configILNS1_25lookback_scan_determinismE0ES3_S9_NS6_6detail15normal_iteratorINS6_10device_ptrIjEEEENSD_INSE_IxEEEENS6_16discard_iteratorINS6_11use_defaultEEESI_PmS8_NS6_8equal_toIjEEEE10hipError_tPvRmT2_T3_mT4_T5_T6_T7_T8_P12ihipStream_tbENKUlT_T0_E_clISt17integral_constantIbLb1EES15_IbLb0EEEEDaS11_S12_EUlS11_E_NS1_11comp_targetILNS1_3genE8ELNS1_11target_archE1030ELNS1_3gpuE2ELNS1_3repE0EEENS1_30default_config_static_selectorELNS0_4arch9wavefront6targetE0EEEvT1_,@function
_ZN7rocprim17ROCPRIM_400000_NS6detail17trampoline_kernelINS0_14default_configENS1_29reduce_by_key_config_selectorIjxN6thrust23THRUST_200600_302600_NS4plusIxEEEEZZNS1_33reduce_by_key_impl_wrapped_configILNS1_25lookback_scan_determinismE0ES3_S9_NS6_6detail15normal_iteratorINS6_10device_ptrIjEEEENSD_INSE_IxEEEENS6_16discard_iteratorINS6_11use_defaultEEESI_PmS8_NS6_8equal_toIjEEEE10hipError_tPvRmT2_T3_mT4_T5_T6_T7_T8_P12ihipStream_tbENKUlT_T0_E_clISt17integral_constantIbLb1EES15_IbLb0EEEEDaS11_S12_EUlS11_E_NS1_11comp_targetILNS1_3genE8ELNS1_11target_archE1030ELNS1_3gpuE2ELNS1_3repE0EEENS1_30default_config_static_selectorELNS0_4arch9wavefront6targetE0EEEvT1_: ; @_ZN7rocprim17ROCPRIM_400000_NS6detail17trampoline_kernelINS0_14default_configENS1_29reduce_by_key_config_selectorIjxN6thrust23THRUST_200600_302600_NS4plusIxEEEEZZNS1_33reduce_by_key_impl_wrapped_configILNS1_25lookback_scan_determinismE0ES3_S9_NS6_6detail15normal_iteratorINS6_10device_ptrIjEEEENSD_INSE_IxEEEENS6_16discard_iteratorINS6_11use_defaultEEESI_PmS8_NS6_8equal_toIjEEEE10hipError_tPvRmT2_T3_mT4_T5_T6_T7_T8_P12ihipStream_tbENKUlT_T0_E_clISt17integral_constantIbLb1EES15_IbLb0EEEEDaS11_S12_EUlS11_E_NS1_11comp_targetILNS1_3genE8ELNS1_11target_archE1030ELNS1_3gpuE2ELNS1_3repE0EEENS1_30default_config_static_selectorELNS0_4arch9wavefront6targetE0EEEvT1_
; %bb.0:
	.section	.rodata,"a",@progbits
	.p2align	6, 0x0
	.amdhsa_kernel _ZN7rocprim17ROCPRIM_400000_NS6detail17trampoline_kernelINS0_14default_configENS1_29reduce_by_key_config_selectorIjxN6thrust23THRUST_200600_302600_NS4plusIxEEEEZZNS1_33reduce_by_key_impl_wrapped_configILNS1_25lookback_scan_determinismE0ES3_S9_NS6_6detail15normal_iteratorINS6_10device_ptrIjEEEENSD_INSE_IxEEEENS6_16discard_iteratorINS6_11use_defaultEEESI_PmS8_NS6_8equal_toIjEEEE10hipError_tPvRmT2_T3_mT4_T5_T6_T7_T8_P12ihipStream_tbENKUlT_T0_E_clISt17integral_constantIbLb1EES15_IbLb0EEEEDaS11_S12_EUlS11_E_NS1_11comp_targetILNS1_3genE8ELNS1_11target_archE1030ELNS1_3gpuE2ELNS1_3repE0EEENS1_30default_config_static_selectorELNS0_4arch9wavefront6targetE0EEEvT1_
		.amdhsa_group_segment_fixed_size 0
		.amdhsa_private_segment_fixed_size 0
		.amdhsa_kernarg_size 144
		.amdhsa_user_sgpr_count 15
		.amdhsa_user_sgpr_dispatch_ptr 0
		.amdhsa_user_sgpr_queue_ptr 0
		.amdhsa_user_sgpr_kernarg_segment_ptr 1
		.amdhsa_user_sgpr_dispatch_id 0
		.amdhsa_user_sgpr_private_segment_size 0
		.amdhsa_wavefront_size32 1
		.amdhsa_uses_dynamic_stack 0
		.amdhsa_enable_private_segment 0
		.amdhsa_system_sgpr_workgroup_id_x 1
		.amdhsa_system_sgpr_workgroup_id_y 0
		.amdhsa_system_sgpr_workgroup_id_z 0
		.amdhsa_system_sgpr_workgroup_info 0
		.amdhsa_system_vgpr_workitem_id 0
		.amdhsa_next_free_vgpr 1
		.amdhsa_next_free_sgpr 1
		.amdhsa_reserve_vcc 0
		.amdhsa_float_round_mode_32 0
		.amdhsa_float_round_mode_16_64 0
		.amdhsa_float_denorm_mode_32 3
		.amdhsa_float_denorm_mode_16_64 3
		.amdhsa_dx10_clamp 1
		.amdhsa_ieee_mode 1
		.amdhsa_fp16_overflow 0
		.amdhsa_workgroup_processor_mode 1
		.amdhsa_memory_ordered 1
		.amdhsa_forward_progress 0
		.amdhsa_shared_vgpr_count 0
		.amdhsa_exception_fp_ieee_invalid_op 0
		.amdhsa_exception_fp_denorm_src 0
		.amdhsa_exception_fp_ieee_div_zero 0
		.amdhsa_exception_fp_ieee_overflow 0
		.amdhsa_exception_fp_ieee_underflow 0
		.amdhsa_exception_fp_ieee_inexact 0
		.amdhsa_exception_int_div_zero 0
	.end_amdhsa_kernel
	.section	.text._ZN7rocprim17ROCPRIM_400000_NS6detail17trampoline_kernelINS0_14default_configENS1_29reduce_by_key_config_selectorIjxN6thrust23THRUST_200600_302600_NS4plusIxEEEEZZNS1_33reduce_by_key_impl_wrapped_configILNS1_25lookback_scan_determinismE0ES3_S9_NS6_6detail15normal_iteratorINS6_10device_ptrIjEEEENSD_INSE_IxEEEENS6_16discard_iteratorINS6_11use_defaultEEESI_PmS8_NS6_8equal_toIjEEEE10hipError_tPvRmT2_T3_mT4_T5_T6_T7_T8_P12ihipStream_tbENKUlT_T0_E_clISt17integral_constantIbLb1EES15_IbLb0EEEEDaS11_S12_EUlS11_E_NS1_11comp_targetILNS1_3genE8ELNS1_11target_archE1030ELNS1_3gpuE2ELNS1_3repE0EEENS1_30default_config_static_selectorELNS0_4arch9wavefront6targetE0EEEvT1_,"axG",@progbits,_ZN7rocprim17ROCPRIM_400000_NS6detail17trampoline_kernelINS0_14default_configENS1_29reduce_by_key_config_selectorIjxN6thrust23THRUST_200600_302600_NS4plusIxEEEEZZNS1_33reduce_by_key_impl_wrapped_configILNS1_25lookback_scan_determinismE0ES3_S9_NS6_6detail15normal_iteratorINS6_10device_ptrIjEEEENSD_INSE_IxEEEENS6_16discard_iteratorINS6_11use_defaultEEESI_PmS8_NS6_8equal_toIjEEEE10hipError_tPvRmT2_T3_mT4_T5_T6_T7_T8_P12ihipStream_tbENKUlT_T0_E_clISt17integral_constantIbLb1EES15_IbLb0EEEEDaS11_S12_EUlS11_E_NS1_11comp_targetILNS1_3genE8ELNS1_11target_archE1030ELNS1_3gpuE2ELNS1_3repE0EEENS1_30default_config_static_selectorELNS0_4arch9wavefront6targetE0EEEvT1_,comdat
.Lfunc_end1011:
	.size	_ZN7rocprim17ROCPRIM_400000_NS6detail17trampoline_kernelINS0_14default_configENS1_29reduce_by_key_config_selectorIjxN6thrust23THRUST_200600_302600_NS4plusIxEEEEZZNS1_33reduce_by_key_impl_wrapped_configILNS1_25lookback_scan_determinismE0ES3_S9_NS6_6detail15normal_iteratorINS6_10device_ptrIjEEEENSD_INSE_IxEEEENS6_16discard_iteratorINS6_11use_defaultEEESI_PmS8_NS6_8equal_toIjEEEE10hipError_tPvRmT2_T3_mT4_T5_T6_T7_T8_P12ihipStream_tbENKUlT_T0_E_clISt17integral_constantIbLb1EES15_IbLb0EEEEDaS11_S12_EUlS11_E_NS1_11comp_targetILNS1_3genE8ELNS1_11target_archE1030ELNS1_3gpuE2ELNS1_3repE0EEENS1_30default_config_static_selectorELNS0_4arch9wavefront6targetE0EEEvT1_, .Lfunc_end1011-_ZN7rocprim17ROCPRIM_400000_NS6detail17trampoline_kernelINS0_14default_configENS1_29reduce_by_key_config_selectorIjxN6thrust23THRUST_200600_302600_NS4plusIxEEEEZZNS1_33reduce_by_key_impl_wrapped_configILNS1_25lookback_scan_determinismE0ES3_S9_NS6_6detail15normal_iteratorINS6_10device_ptrIjEEEENSD_INSE_IxEEEENS6_16discard_iteratorINS6_11use_defaultEEESI_PmS8_NS6_8equal_toIjEEEE10hipError_tPvRmT2_T3_mT4_T5_T6_T7_T8_P12ihipStream_tbENKUlT_T0_E_clISt17integral_constantIbLb1EES15_IbLb0EEEEDaS11_S12_EUlS11_E_NS1_11comp_targetILNS1_3genE8ELNS1_11target_archE1030ELNS1_3gpuE2ELNS1_3repE0EEENS1_30default_config_static_selectorELNS0_4arch9wavefront6targetE0EEEvT1_
                                        ; -- End function
	.section	.AMDGPU.csdata,"",@progbits
; Kernel info:
; codeLenInByte = 0
; NumSgprs: 0
; NumVgprs: 0
; ScratchSize: 0
; MemoryBound: 0
; FloatMode: 240
; IeeeMode: 1
; LDSByteSize: 0 bytes/workgroup (compile time only)
; SGPRBlocks: 0
; VGPRBlocks: 0
; NumSGPRsForWavesPerEU: 1
; NumVGPRsForWavesPerEU: 1
; Occupancy: 16
; WaveLimiterHint : 0
; COMPUTE_PGM_RSRC2:SCRATCH_EN: 0
; COMPUTE_PGM_RSRC2:USER_SGPR: 15
; COMPUTE_PGM_RSRC2:TRAP_HANDLER: 0
; COMPUTE_PGM_RSRC2:TGID_X_EN: 1
; COMPUTE_PGM_RSRC2:TGID_Y_EN: 0
; COMPUTE_PGM_RSRC2:TGID_Z_EN: 0
; COMPUTE_PGM_RSRC2:TIDIG_COMP_CNT: 0
	.section	.text._ZN7rocprim17ROCPRIM_400000_NS6detail17trampoline_kernelINS0_14default_configENS1_29reduce_by_key_config_selectorIjxN6thrust23THRUST_200600_302600_NS4plusIxEEEEZZNS1_33reduce_by_key_impl_wrapped_configILNS1_25lookback_scan_determinismE0ES3_S9_NS6_6detail15normal_iteratorINS6_10device_ptrIjEEEENSD_INSE_IxEEEENS6_16discard_iteratorINS6_11use_defaultEEESI_PmS8_NS6_8equal_toIjEEEE10hipError_tPvRmT2_T3_mT4_T5_T6_T7_T8_P12ihipStream_tbENKUlT_T0_E_clISt17integral_constantIbLb0EES15_IbLb1EEEEDaS11_S12_EUlS11_E_NS1_11comp_targetILNS1_3genE0ELNS1_11target_archE4294967295ELNS1_3gpuE0ELNS1_3repE0EEENS1_30default_config_static_selectorELNS0_4arch9wavefront6targetE0EEEvT1_,"axG",@progbits,_ZN7rocprim17ROCPRIM_400000_NS6detail17trampoline_kernelINS0_14default_configENS1_29reduce_by_key_config_selectorIjxN6thrust23THRUST_200600_302600_NS4plusIxEEEEZZNS1_33reduce_by_key_impl_wrapped_configILNS1_25lookback_scan_determinismE0ES3_S9_NS6_6detail15normal_iteratorINS6_10device_ptrIjEEEENSD_INSE_IxEEEENS6_16discard_iteratorINS6_11use_defaultEEESI_PmS8_NS6_8equal_toIjEEEE10hipError_tPvRmT2_T3_mT4_T5_T6_T7_T8_P12ihipStream_tbENKUlT_T0_E_clISt17integral_constantIbLb0EES15_IbLb1EEEEDaS11_S12_EUlS11_E_NS1_11comp_targetILNS1_3genE0ELNS1_11target_archE4294967295ELNS1_3gpuE0ELNS1_3repE0EEENS1_30default_config_static_selectorELNS0_4arch9wavefront6targetE0EEEvT1_,comdat
	.protected	_ZN7rocprim17ROCPRIM_400000_NS6detail17trampoline_kernelINS0_14default_configENS1_29reduce_by_key_config_selectorIjxN6thrust23THRUST_200600_302600_NS4plusIxEEEEZZNS1_33reduce_by_key_impl_wrapped_configILNS1_25lookback_scan_determinismE0ES3_S9_NS6_6detail15normal_iteratorINS6_10device_ptrIjEEEENSD_INSE_IxEEEENS6_16discard_iteratorINS6_11use_defaultEEESI_PmS8_NS6_8equal_toIjEEEE10hipError_tPvRmT2_T3_mT4_T5_T6_T7_T8_P12ihipStream_tbENKUlT_T0_E_clISt17integral_constantIbLb0EES15_IbLb1EEEEDaS11_S12_EUlS11_E_NS1_11comp_targetILNS1_3genE0ELNS1_11target_archE4294967295ELNS1_3gpuE0ELNS1_3repE0EEENS1_30default_config_static_selectorELNS0_4arch9wavefront6targetE0EEEvT1_ ; -- Begin function _ZN7rocprim17ROCPRIM_400000_NS6detail17trampoline_kernelINS0_14default_configENS1_29reduce_by_key_config_selectorIjxN6thrust23THRUST_200600_302600_NS4plusIxEEEEZZNS1_33reduce_by_key_impl_wrapped_configILNS1_25lookback_scan_determinismE0ES3_S9_NS6_6detail15normal_iteratorINS6_10device_ptrIjEEEENSD_INSE_IxEEEENS6_16discard_iteratorINS6_11use_defaultEEESI_PmS8_NS6_8equal_toIjEEEE10hipError_tPvRmT2_T3_mT4_T5_T6_T7_T8_P12ihipStream_tbENKUlT_T0_E_clISt17integral_constantIbLb0EES15_IbLb1EEEEDaS11_S12_EUlS11_E_NS1_11comp_targetILNS1_3genE0ELNS1_11target_archE4294967295ELNS1_3gpuE0ELNS1_3repE0EEENS1_30default_config_static_selectorELNS0_4arch9wavefront6targetE0EEEvT1_
	.globl	_ZN7rocprim17ROCPRIM_400000_NS6detail17trampoline_kernelINS0_14default_configENS1_29reduce_by_key_config_selectorIjxN6thrust23THRUST_200600_302600_NS4plusIxEEEEZZNS1_33reduce_by_key_impl_wrapped_configILNS1_25lookback_scan_determinismE0ES3_S9_NS6_6detail15normal_iteratorINS6_10device_ptrIjEEEENSD_INSE_IxEEEENS6_16discard_iteratorINS6_11use_defaultEEESI_PmS8_NS6_8equal_toIjEEEE10hipError_tPvRmT2_T3_mT4_T5_T6_T7_T8_P12ihipStream_tbENKUlT_T0_E_clISt17integral_constantIbLb0EES15_IbLb1EEEEDaS11_S12_EUlS11_E_NS1_11comp_targetILNS1_3genE0ELNS1_11target_archE4294967295ELNS1_3gpuE0ELNS1_3repE0EEENS1_30default_config_static_selectorELNS0_4arch9wavefront6targetE0EEEvT1_
	.p2align	8
	.type	_ZN7rocprim17ROCPRIM_400000_NS6detail17trampoline_kernelINS0_14default_configENS1_29reduce_by_key_config_selectorIjxN6thrust23THRUST_200600_302600_NS4plusIxEEEEZZNS1_33reduce_by_key_impl_wrapped_configILNS1_25lookback_scan_determinismE0ES3_S9_NS6_6detail15normal_iteratorINS6_10device_ptrIjEEEENSD_INSE_IxEEEENS6_16discard_iteratorINS6_11use_defaultEEESI_PmS8_NS6_8equal_toIjEEEE10hipError_tPvRmT2_T3_mT4_T5_T6_T7_T8_P12ihipStream_tbENKUlT_T0_E_clISt17integral_constantIbLb0EES15_IbLb1EEEEDaS11_S12_EUlS11_E_NS1_11comp_targetILNS1_3genE0ELNS1_11target_archE4294967295ELNS1_3gpuE0ELNS1_3repE0EEENS1_30default_config_static_selectorELNS0_4arch9wavefront6targetE0EEEvT1_,@function
_ZN7rocprim17ROCPRIM_400000_NS6detail17trampoline_kernelINS0_14default_configENS1_29reduce_by_key_config_selectorIjxN6thrust23THRUST_200600_302600_NS4plusIxEEEEZZNS1_33reduce_by_key_impl_wrapped_configILNS1_25lookback_scan_determinismE0ES3_S9_NS6_6detail15normal_iteratorINS6_10device_ptrIjEEEENSD_INSE_IxEEEENS6_16discard_iteratorINS6_11use_defaultEEESI_PmS8_NS6_8equal_toIjEEEE10hipError_tPvRmT2_T3_mT4_T5_T6_T7_T8_P12ihipStream_tbENKUlT_T0_E_clISt17integral_constantIbLb0EES15_IbLb1EEEEDaS11_S12_EUlS11_E_NS1_11comp_targetILNS1_3genE0ELNS1_11target_archE4294967295ELNS1_3gpuE0ELNS1_3repE0EEENS1_30default_config_static_selectorELNS0_4arch9wavefront6targetE0EEEvT1_: ; @_ZN7rocprim17ROCPRIM_400000_NS6detail17trampoline_kernelINS0_14default_configENS1_29reduce_by_key_config_selectorIjxN6thrust23THRUST_200600_302600_NS4plusIxEEEEZZNS1_33reduce_by_key_impl_wrapped_configILNS1_25lookback_scan_determinismE0ES3_S9_NS6_6detail15normal_iteratorINS6_10device_ptrIjEEEENSD_INSE_IxEEEENS6_16discard_iteratorINS6_11use_defaultEEESI_PmS8_NS6_8equal_toIjEEEE10hipError_tPvRmT2_T3_mT4_T5_T6_T7_T8_P12ihipStream_tbENKUlT_T0_E_clISt17integral_constantIbLb0EES15_IbLb1EEEEDaS11_S12_EUlS11_E_NS1_11comp_targetILNS1_3genE0ELNS1_11target_archE4294967295ELNS1_3gpuE0ELNS1_3repE0EEENS1_30default_config_static_selectorELNS0_4arch9wavefront6targetE0EEEvT1_
; %bb.0:
	.section	.rodata,"a",@progbits
	.p2align	6, 0x0
	.amdhsa_kernel _ZN7rocprim17ROCPRIM_400000_NS6detail17trampoline_kernelINS0_14default_configENS1_29reduce_by_key_config_selectorIjxN6thrust23THRUST_200600_302600_NS4plusIxEEEEZZNS1_33reduce_by_key_impl_wrapped_configILNS1_25lookback_scan_determinismE0ES3_S9_NS6_6detail15normal_iteratorINS6_10device_ptrIjEEEENSD_INSE_IxEEEENS6_16discard_iteratorINS6_11use_defaultEEESI_PmS8_NS6_8equal_toIjEEEE10hipError_tPvRmT2_T3_mT4_T5_T6_T7_T8_P12ihipStream_tbENKUlT_T0_E_clISt17integral_constantIbLb0EES15_IbLb1EEEEDaS11_S12_EUlS11_E_NS1_11comp_targetILNS1_3genE0ELNS1_11target_archE4294967295ELNS1_3gpuE0ELNS1_3repE0EEENS1_30default_config_static_selectorELNS0_4arch9wavefront6targetE0EEEvT1_
		.amdhsa_group_segment_fixed_size 0
		.amdhsa_private_segment_fixed_size 0
		.amdhsa_kernarg_size 144
		.amdhsa_user_sgpr_count 15
		.amdhsa_user_sgpr_dispatch_ptr 0
		.amdhsa_user_sgpr_queue_ptr 0
		.amdhsa_user_sgpr_kernarg_segment_ptr 1
		.amdhsa_user_sgpr_dispatch_id 0
		.amdhsa_user_sgpr_private_segment_size 0
		.amdhsa_wavefront_size32 1
		.amdhsa_uses_dynamic_stack 0
		.amdhsa_enable_private_segment 0
		.amdhsa_system_sgpr_workgroup_id_x 1
		.amdhsa_system_sgpr_workgroup_id_y 0
		.amdhsa_system_sgpr_workgroup_id_z 0
		.amdhsa_system_sgpr_workgroup_info 0
		.amdhsa_system_vgpr_workitem_id 0
		.amdhsa_next_free_vgpr 1
		.amdhsa_next_free_sgpr 1
		.amdhsa_reserve_vcc 0
		.amdhsa_float_round_mode_32 0
		.amdhsa_float_round_mode_16_64 0
		.amdhsa_float_denorm_mode_32 3
		.amdhsa_float_denorm_mode_16_64 3
		.amdhsa_dx10_clamp 1
		.amdhsa_ieee_mode 1
		.amdhsa_fp16_overflow 0
		.amdhsa_workgroup_processor_mode 1
		.amdhsa_memory_ordered 1
		.amdhsa_forward_progress 0
		.amdhsa_shared_vgpr_count 0
		.amdhsa_exception_fp_ieee_invalid_op 0
		.amdhsa_exception_fp_denorm_src 0
		.amdhsa_exception_fp_ieee_div_zero 0
		.amdhsa_exception_fp_ieee_overflow 0
		.amdhsa_exception_fp_ieee_underflow 0
		.amdhsa_exception_fp_ieee_inexact 0
		.amdhsa_exception_int_div_zero 0
	.end_amdhsa_kernel
	.section	.text._ZN7rocprim17ROCPRIM_400000_NS6detail17trampoline_kernelINS0_14default_configENS1_29reduce_by_key_config_selectorIjxN6thrust23THRUST_200600_302600_NS4plusIxEEEEZZNS1_33reduce_by_key_impl_wrapped_configILNS1_25lookback_scan_determinismE0ES3_S9_NS6_6detail15normal_iteratorINS6_10device_ptrIjEEEENSD_INSE_IxEEEENS6_16discard_iteratorINS6_11use_defaultEEESI_PmS8_NS6_8equal_toIjEEEE10hipError_tPvRmT2_T3_mT4_T5_T6_T7_T8_P12ihipStream_tbENKUlT_T0_E_clISt17integral_constantIbLb0EES15_IbLb1EEEEDaS11_S12_EUlS11_E_NS1_11comp_targetILNS1_3genE0ELNS1_11target_archE4294967295ELNS1_3gpuE0ELNS1_3repE0EEENS1_30default_config_static_selectorELNS0_4arch9wavefront6targetE0EEEvT1_,"axG",@progbits,_ZN7rocprim17ROCPRIM_400000_NS6detail17trampoline_kernelINS0_14default_configENS1_29reduce_by_key_config_selectorIjxN6thrust23THRUST_200600_302600_NS4plusIxEEEEZZNS1_33reduce_by_key_impl_wrapped_configILNS1_25lookback_scan_determinismE0ES3_S9_NS6_6detail15normal_iteratorINS6_10device_ptrIjEEEENSD_INSE_IxEEEENS6_16discard_iteratorINS6_11use_defaultEEESI_PmS8_NS6_8equal_toIjEEEE10hipError_tPvRmT2_T3_mT4_T5_T6_T7_T8_P12ihipStream_tbENKUlT_T0_E_clISt17integral_constantIbLb0EES15_IbLb1EEEEDaS11_S12_EUlS11_E_NS1_11comp_targetILNS1_3genE0ELNS1_11target_archE4294967295ELNS1_3gpuE0ELNS1_3repE0EEENS1_30default_config_static_selectorELNS0_4arch9wavefront6targetE0EEEvT1_,comdat
.Lfunc_end1012:
	.size	_ZN7rocprim17ROCPRIM_400000_NS6detail17trampoline_kernelINS0_14default_configENS1_29reduce_by_key_config_selectorIjxN6thrust23THRUST_200600_302600_NS4plusIxEEEEZZNS1_33reduce_by_key_impl_wrapped_configILNS1_25lookback_scan_determinismE0ES3_S9_NS6_6detail15normal_iteratorINS6_10device_ptrIjEEEENSD_INSE_IxEEEENS6_16discard_iteratorINS6_11use_defaultEEESI_PmS8_NS6_8equal_toIjEEEE10hipError_tPvRmT2_T3_mT4_T5_T6_T7_T8_P12ihipStream_tbENKUlT_T0_E_clISt17integral_constantIbLb0EES15_IbLb1EEEEDaS11_S12_EUlS11_E_NS1_11comp_targetILNS1_3genE0ELNS1_11target_archE4294967295ELNS1_3gpuE0ELNS1_3repE0EEENS1_30default_config_static_selectorELNS0_4arch9wavefront6targetE0EEEvT1_, .Lfunc_end1012-_ZN7rocprim17ROCPRIM_400000_NS6detail17trampoline_kernelINS0_14default_configENS1_29reduce_by_key_config_selectorIjxN6thrust23THRUST_200600_302600_NS4plusIxEEEEZZNS1_33reduce_by_key_impl_wrapped_configILNS1_25lookback_scan_determinismE0ES3_S9_NS6_6detail15normal_iteratorINS6_10device_ptrIjEEEENSD_INSE_IxEEEENS6_16discard_iteratorINS6_11use_defaultEEESI_PmS8_NS6_8equal_toIjEEEE10hipError_tPvRmT2_T3_mT4_T5_T6_T7_T8_P12ihipStream_tbENKUlT_T0_E_clISt17integral_constantIbLb0EES15_IbLb1EEEEDaS11_S12_EUlS11_E_NS1_11comp_targetILNS1_3genE0ELNS1_11target_archE4294967295ELNS1_3gpuE0ELNS1_3repE0EEENS1_30default_config_static_selectorELNS0_4arch9wavefront6targetE0EEEvT1_
                                        ; -- End function
	.section	.AMDGPU.csdata,"",@progbits
; Kernel info:
; codeLenInByte = 0
; NumSgprs: 0
; NumVgprs: 0
; ScratchSize: 0
; MemoryBound: 0
; FloatMode: 240
; IeeeMode: 1
; LDSByteSize: 0 bytes/workgroup (compile time only)
; SGPRBlocks: 0
; VGPRBlocks: 0
; NumSGPRsForWavesPerEU: 1
; NumVGPRsForWavesPerEU: 1
; Occupancy: 16
; WaveLimiterHint : 0
; COMPUTE_PGM_RSRC2:SCRATCH_EN: 0
; COMPUTE_PGM_RSRC2:USER_SGPR: 15
; COMPUTE_PGM_RSRC2:TRAP_HANDLER: 0
; COMPUTE_PGM_RSRC2:TGID_X_EN: 1
; COMPUTE_PGM_RSRC2:TGID_Y_EN: 0
; COMPUTE_PGM_RSRC2:TGID_Z_EN: 0
; COMPUTE_PGM_RSRC2:TIDIG_COMP_CNT: 0
	.section	.text._ZN7rocprim17ROCPRIM_400000_NS6detail17trampoline_kernelINS0_14default_configENS1_29reduce_by_key_config_selectorIjxN6thrust23THRUST_200600_302600_NS4plusIxEEEEZZNS1_33reduce_by_key_impl_wrapped_configILNS1_25lookback_scan_determinismE0ES3_S9_NS6_6detail15normal_iteratorINS6_10device_ptrIjEEEENSD_INSE_IxEEEENS6_16discard_iteratorINS6_11use_defaultEEESI_PmS8_NS6_8equal_toIjEEEE10hipError_tPvRmT2_T3_mT4_T5_T6_T7_T8_P12ihipStream_tbENKUlT_T0_E_clISt17integral_constantIbLb0EES15_IbLb1EEEEDaS11_S12_EUlS11_E_NS1_11comp_targetILNS1_3genE5ELNS1_11target_archE942ELNS1_3gpuE9ELNS1_3repE0EEENS1_30default_config_static_selectorELNS0_4arch9wavefront6targetE0EEEvT1_,"axG",@progbits,_ZN7rocprim17ROCPRIM_400000_NS6detail17trampoline_kernelINS0_14default_configENS1_29reduce_by_key_config_selectorIjxN6thrust23THRUST_200600_302600_NS4plusIxEEEEZZNS1_33reduce_by_key_impl_wrapped_configILNS1_25lookback_scan_determinismE0ES3_S9_NS6_6detail15normal_iteratorINS6_10device_ptrIjEEEENSD_INSE_IxEEEENS6_16discard_iteratorINS6_11use_defaultEEESI_PmS8_NS6_8equal_toIjEEEE10hipError_tPvRmT2_T3_mT4_T5_T6_T7_T8_P12ihipStream_tbENKUlT_T0_E_clISt17integral_constantIbLb0EES15_IbLb1EEEEDaS11_S12_EUlS11_E_NS1_11comp_targetILNS1_3genE5ELNS1_11target_archE942ELNS1_3gpuE9ELNS1_3repE0EEENS1_30default_config_static_selectorELNS0_4arch9wavefront6targetE0EEEvT1_,comdat
	.protected	_ZN7rocprim17ROCPRIM_400000_NS6detail17trampoline_kernelINS0_14default_configENS1_29reduce_by_key_config_selectorIjxN6thrust23THRUST_200600_302600_NS4plusIxEEEEZZNS1_33reduce_by_key_impl_wrapped_configILNS1_25lookback_scan_determinismE0ES3_S9_NS6_6detail15normal_iteratorINS6_10device_ptrIjEEEENSD_INSE_IxEEEENS6_16discard_iteratorINS6_11use_defaultEEESI_PmS8_NS6_8equal_toIjEEEE10hipError_tPvRmT2_T3_mT4_T5_T6_T7_T8_P12ihipStream_tbENKUlT_T0_E_clISt17integral_constantIbLb0EES15_IbLb1EEEEDaS11_S12_EUlS11_E_NS1_11comp_targetILNS1_3genE5ELNS1_11target_archE942ELNS1_3gpuE9ELNS1_3repE0EEENS1_30default_config_static_selectorELNS0_4arch9wavefront6targetE0EEEvT1_ ; -- Begin function _ZN7rocprim17ROCPRIM_400000_NS6detail17trampoline_kernelINS0_14default_configENS1_29reduce_by_key_config_selectorIjxN6thrust23THRUST_200600_302600_NS4plusIxEEEEZZNS1_33reduce_by_key_impl_wrapped_configILNS1_25lookback_scan_determinismE0ES3_S9_NS6_6detail15normal_iteratorINS6_10device_ptrIjEEEENSD_INSE_IxEEEENS6_16discard_iteratorINS6_11use_defaultEEESI_PmS8_NS6_8equal_toIjEEEE10hipError_tPvRmT2_T3_mT4_T5_T6_T7_T8_P12ihipStream_tbENKUlT_T0_E_clISt17integral_constantIbLb0EES15_IbLb1EEEEDaS11_S12_EUlS11_E_NS1_11comp_targetILNS1_3genE5ELNS1_11target_archE942ELNS1_3gpuE9ELNS1_3repE0EEENS1_30default_config_static_selectorELNS0_4arch9wavefront6targetE0EEEvT1_
	.globl	_ZN7rocprim17ROCPRIM_400000_NS6detail17trampoline_kernelINS0_14default_configENS1_29reduce_by_key_config_selectorIjxN6thrust23THRUST_200600_302600_NS4plusIxEEEEZZNS1_33reduce_by_key_impl_wrapped_configILNS1_25lookback_scan_determinismE0ES3_S9_NS6_6detail15normal_iteratorINS6_10device_ptrIjEEEENSD_INSE_IxEEEENS6_16discard_iteratorINS6_11use_defaultEEESI_PmS8_NS6_8equal_toIjEEEE10hipError_tPvRmT2_T3_mT4_T5_T6_T7_T8_P12ihipStream_tbENKUlT_T0_E_clISt17integral_constantIbLb0EES15_IbLb1EEEEDaS11_S12_EUlS11_E_NS1_11comp_targetILNS1_3genE5ELNS1_11target_archE942ELNS1_3gpuE9ELNS1_3repE0EEENS1_30default_config_static_selectorELNS0_4arch9wavefront6targetE0EEEvT1_
	.p2align	8
	.type	_ZN7rocprim17ROCPRIM_400000_NS6detail17trampoline_kernelINS0_14default_configENS1_29reduce_by_key_config_selectorIjxN6thrust23THRUST_200600_302600_NS4plusIxEEEEZZNS1_33reduce_by_key_impl_wrapped_configILNS1_25lookback_scan_determinismE0ES3_S9_NS6_6detail15normal_iteratorINS6_10device_ptrIjEEEENSD_INSE_IxEEEENS6_16discard_iteratorINS6_11use_defaultEEESI_PmS8_NS6_8equal_toIjEEEE10hipError_tPvRmT2_T3_mT4_T5_T6_T7_T8_P12ihipStream_tbENKUlT_T0_E_clISt17integral_constantIbLb0EES15_IbLb1EEEEDaS11_S12_EUlS11_E_NS1_11comp_targetILNS1_3genE5ELNS1_11target_archE942ELNS1_3gpuE9ELNS1_3repE0EEENS1_30default_config_static_selectorELNS0_4arch9wavefront6targetE0EEEvT1_,@function
_ZN7rocprim17ROCPRIM_400000_NS6detail17trampoline_kernelINS0_14default_configENS1_29reduce_by_key_config_selectorIjxN6thrust23THRUST_200600_302600_NS4plusIxEEEEZZNS1_33reduce_by_key_impl_wrapped_configILNS1_25lookback_scan_determinismE0ES3_S9_NS6_6detail15normal_iteratorINS6_10device_ptrIjEEEENSD_INSE_IxEEEENS6_16discard_iteratorINS6_11use_defaultEEESI_PmS8_NS6_8equal_toIjEEEE10hipError_tPvRmT2_T3_mT4_T5_T6_T7_T8_P12ihipStream_tbENKUlT_T0_E_clISt17integral_constantIbLb0EES15_IbLb1EEEEDaS11_S12_EUlS11_E_NS1_11comp_targetILNS1_3genE5ELNS1_11target_archE942ELNS1_3gpuE9ELNS1_3repE0EEENS1_30default_config_static_selectorELNS0_4arch9wavefront6targetE0EEEvT1_: ; @_ZN7rocprim17ROCPRIM_400000_NS6detail17trampoline_kernelINS0_14default_configENS1_29reduce_by_key_config_selectorIjxN6thrust23THRUST_200600_302600_NS4plusIxEEEEZZNS1_33reduce_by_key_impl_wrapped_configILNS1_25lookback_scan_determinismE0ES3_S9_NS6_6detail15normal_iteratorINS6_10device_ptrIjEEEENSD_INSE_IxEEEENS6_16discard_iteratorINS6_11use_defaultEEESI_PmS8_NS6_8equal_toIjEEEE10hipError_tPvRmT2_T3_mT4_T5_T6_T7_T8_P12ihipStream_tbENKUlT_T0_E_clISt17integral_constantIbLb0EES15_IbLb1EEEEDaS11_S12_EUlS11_E_NS1_11comp_targetILNS1_3genE5ELNS1_11target_archE942ELNS1_3gpuE9ELNS1_3repE0EEENS1_30default_config_static_selectorELNS0_4arch9wavefront6targetE0EEEvT1_
; %bb.0:
	.section	.rodata,"a",@progbits
	.p2align	6, 0x0
	.amdhsa_kernel _ZN7rocprim17ROCPRIM_400000_NS6detail17trampoline_kernelINS0_14default_configENS1_29reduce_by_key_config_selectorIjxN6thrust23THRUST_200600_302600_NS4plusIxEEEEZZNS1_33reduce_by_key_impl_wrapped_configILNS1_25lookback_scan_determinismE0ES3_S9_NS6_6detail15normal_iteratorINS6_10device_ptrIjEEEENSD_INSE_IxEEEENS6_16discard_iteratorINS6_11use_defaultEEESI_PmS8_NS6_8equal_toIjEEEE10hipError_tPvRmT2_T3_mT4_T5_T6_T7_T8_P12ihipStream_tbENKUlT_T0_E_clISt17integral_constantIbLb0EES15_IbLb1EEEEDaS11_S12_EUlS11_E_NS1_11comp_targetILNS1_3genE5ELNS1_11target_archE942ELNS1_3gpuE9ELNS1_3repE0EEENS1_30default_config_static_selectorELNS0_4arch9wavefront6targetE0EEEvT1_
		.amdhsa_group_segment_fixed_size 0
		.amdhsa_private_segment_fixed_size 0
		.amdhsa_kernarg_size 144
		.amdhsa_user_sgpr_count 15
		.amdhsa_user_sgpr_dispatch_ptr 0
		.amdhsa_user_sgpr_queue_ptr 0
		.amdhsa_user_sgpr_kernarg_segment_ptr 1
		.amdhsa_user_sgpr_dispatch_id 0
		.amdhsa_user_sgpr_private_segment_size 0
		.amdhsa_wavefront_size32 1
		.amdhsa_uses_dynamic_stack 0
		.amdhsa_enable_private_segment 0
		.amdhsa_system_sgpr_workgroup_id_x 1
		.amdhsa_system_sgpr_workgroup_id_y 0
		.amdhsa_system_sgpr_workgroup_id_z 0
		.amdhsa_system_sgpr_workgroup_info 0
		.amdhsa_system_vgpr_workitem_id 0
		.amdhsa_next_free_vgpr 1
		.amdhsa_next_free_sgpr 1
		.amdhsa_reserve_vcc 0
		.amdhsa_float_round_mode_32 0
		.amdhsa_float_round_mode_16_64 0
		.amdhsa_float_denorm_mode_32 3
		.amdhsa_float_denorm_mode_16_64 3
		.amdhsa_dx10_clamp 1
		.amdhsa_ieee_mode 1
		.amdhsa_fp16_overflow 0
		.amdhsa_workgroup_processor_mode 1
		.amdhsa_memory_ordered 1
		.amdhsa_forward_progress 0
		.amdhsa_shared_vgpr_count 0
		.amdhsa_exception_fp_ieee_invalid_op 0
		.amdhsa_exception_fp_denorm_src 0
		.amdhsa_exception_fp_ieee_div_zero 0
		.amdhsa_exception_fp_ieee_overflow 0
		.amdhsa_exception_fp_ieee_underflow 0
		.amdhsa_exception_fp_ieee_inexact 0
		.amdhsa_exception_int_div_zero 0
	.end_amdhsa_kernel
	.section	.text._ZN7rocprim17ROCPRIM_400000_NS6detail17trampoline_kernelINS0_14default_configENS1_29reduce_by_key_config_selectorIjxN6thrust23THRUST_200600_302600_NS4plusIxEEEEZZNS1_33reduce_by_key_impl_wrapped_configILNS1_25lookback_scan_determinismE0ES3_S9_NS6_6detail15normal_iteratorINS6_10device_ptrIjEEEENSD_INSE_IxEEEENS6_16discard_iteratorINS6_11use_defaultEEESI_PmS8_NS6_8equal_toIjEEEE10hipError_tPvRmT2_T3_mT4_T5_T6_T7_T8_P12ihipStream_tbENKUlT_T0_E_clISt17integral_constantIbLb0EES15_IbLb1EEEEDaS11_S12_EUlS11_E_NS1_11comp_targetILNS1_3genE5ELNS1_11target_archE942ELNS1_3gpuE9ELNS1_3repE0EEENS1_30default_config_static_selectorELNS0_4arch9wavefront6targetE0EEEvT1_,"axG",@progbits,_ZN7rocprim17ROCPRIM_400000_NS6detail17trampoline_kernelINS0_14default_configENS1_29reduce_by_key_config_selectorIjxN6thrust23THRUST_200600_302600_NS4plusIxEEEEZZNS1_33reduce_by_key_impl_wrapped_configILNS1_25lookback_scan_determinismE0ES3_S9_NS6_6detail15normal_iteratorINS6_10device_ptrIjEEEENSD_INSE_IxEEEENS6_16discard_iteratorINS6_11use_defaultEEESI_PmS8_NS6_8equal_toIjEEEE10hipError_tPvRmT2_T3_mT4_T5_T6_T7_T8_P12ihipStream_tbENKUlT_T0_E_clISt17integral_constantIbLb0EES15_IbLb1EEEEDaS11_S12_EUlS11_E_NS1_11comp_targetILNS1_3genE5ELNS1_11target_archE942ELNS1_3gpuE9ELNS1_3repE0EEENS1_30default_config_static_selectorELNS0_4arch9wavefront6targetE0EEEvT1_,comdat
.Lfunc_end1013:
	.size	_ZN7rocprim17ROCPRIM_400000_NS6detail17trampoline_kernelINS0_14default_configENS1_29reduce_by_key_config_selectorIjxN6thrust23THRUST_200600_302600_NS4plusIxEEEEZZNS1_33reduce_by_key_impl_wrapped_configILNS1_25lookback_scan_determinismE0ES3_S9_NS6_6detail15normal_iteratorINS6_10device_ptrIjEEEENSD_INSE_IxEEEENS6_16discard_iteratorINS6_11use_defaultEEESI_PmS8_NS6_8equal_toIjEEEE10hipError_tPvRmT2_T3_mT4_T5_T6_T7_T8_P12ihipStream_tbENKUlT_T0_E_clISt17integral_constantIbLb0EES15_IbLb1EEEEDaS11_S12_EUlS11_E_NS1_11comp_targetILNS1_3genE5ELNS1_11target_archE942ELNS1_3gpuE9ELNS1_3repE0EEENS1_30default_config_static_selectorELNS0_4arch9wavefront6targetE0EEEvT1_, .Lfunc_end1013-_ZN7rocprim17ROCPRIM_400000_NS6detail17trampoline_kernelINS0_14default_configENS1_29reduce_by_key_config_selectorIjxN6thrust23THRUST_200600_302600_NS4plusIxEEEEZZNS1_33reduce_by_key_impl_wrapped_configILNS1_25lookback_scan_determinismE0ES3_S9_NS6_6detail15normal_iteratorINS6_10device_ptrIjEEEENSD_INSE_IxEEEENS6_16discard_iteratorINS6_11use_defaultEEESI_PmS8_NS6_8equal_toIjEEEE10hipError_tPvRmT2_T3_mT4_T5_T6_T7_T8_P12ihipStream_tbENKUlT_T0_E_clISt17integral_constantIbLb0EES15_IbLb1EEEEDaS11_S12_EUlS11_E_NS1_11comp_targetILNS1_3genE5ELNS1_11target_archE942ELNS1_3gpuE9ELNS1_3repE0EEENS1_30default_config_static_selectorELNS0_4arch9wavefront6targetE0EEEvT1_
                                        ; -- End function
	.section	.AMDGPU.csdata,"",@progbits
; Kernel info:
; codeLenInByte = 0
; NumSgprs: 0
; NumVgprs: 0
; ScratchSize: 0
; MemoryBound: 0
; FloatMode: 240
; IeeeMode: 1
; LDSByteSize: 0 bytes/workgroup (compile time only)
; SGPRBlocks: 0
; VGPRBlocks: 0
; NumSGPRsForWavesPerEU: 1
; NumVGPRsForWavesPerEU: 1
; Occupancy: 16
; WaveLimiterHint : 0
; COMPUTE_PGM_RSRC2:SCRATCH_EN: 0
; COMPUTE_PGM_RSRC2:USER_SGPR: 15
; COMPUTE_PGM_RSRC2:TRAP_HANDLER: 0
; COMPUTE_PGM_RSRC2:TGID_X_EN: 1
; COMPUTE_PGM_RSRC2:TGID_Y_EN: 0
; COMPUTE_PGM_RSRC2:TGID_Z_EN: 0
; COMPUTE_PGM_RSRC2:TIDIG_COMP_CNT: 0
	.section	.text._ZN7rocprim17ROCPRIM_400000_NS6detail17trampoline_kernelINS0_14default_configENS1_29reduce_by_key_config_selectorIjxN6thrust23THRUST_200600_302600_NS4plusIxEEEEZZNS1_33reduce_by_key_impl_wrapped_configILNS1_25lookback_scan_determinismE0ES3_S9_NS6_6detail15normal_iteratorINS6_10device_ptrIjEEEENSD_INSE_IxEEEENS6_16discard_iteratorINS6_11use_defaultEEESI_PmS8_NS6_8equal_toIjEEEE10hipError_tPvRmT2_T3_mT4_T5_T6_T7_T8_P12ihipStream_tbENKUlT_T0_E_clISt17integral_constantIbLb0EES15_IbLb1EEEEDaS11_S12_EUlS11_E_NS1_11comp_targetILNS1_3genE4ELNS1_11target_archE910ELNS1_3gpuE8ELNS1_3repE0EEENS1_30default_config_static_selectorELNS0_4arch9wavefront6targetE0EEEvT1_,"axG",@progbits,_ZN7rocprim17ROCPRIM_400000_NS6detail17trampoline_kernelINS0_14default_configENS1_29reduce_by_key_config_selectorIjxN6thrust23THRUST_200600_302600_NS4plusIxEEEEZZNS1_33reduce_by_key_impl_wrapped_configILNS1_25lookback_scan_determinismE0ES3_S9_NS6_6detail15normal_iteratorINS6_10device_ptrIjEEEENSD_INSE_IxEEEENS6_16discard_iteratorINS6_11use_defaultEEESI_PmS8_NS6_8equal_toIjEEEE10hipError_tPvRmT2_T3_mT4_T5_T6_T7_T8_P12ihipStream_tbENKUlT_T0_E_clISt17integral_constantIbLb0EES15_IbLb1EEEEDaS11_S12_EUlS11_E_NS1_11comp_targetILNS1_3genE4ELNS1_11target_archE910ELNS1_3gpuE8ELNS1_3repE0EEENS1_30default_config_static_selectorELNS0_4arch9wavefront6targetE0EEEvT1_,comdat
	.protected	_ZN7rocprim17ROCPRIM_400000_NS6detail17trampoline_kernelINS0_14default_configENS1_29reduce_by_key_config_selectorIjxN6thrust23THRUST_200600_302600_NS4plusIxEEEEZZNS1_33reduce_by_key_impl_wrapped_configILNS1_25lookback_scan_determinismE0ES3_S9_NS6_6detail15normal_iteratorINS6_10device_ptrIjEEEENSD_INSE_IxEEEENS6_16discard_iteratorINS6_11use_defaultEEESI_PmS8_NS6_8equal_toIjEEEE10hipError_tPvRmT2_T3_mT4_T5_T6_T7_T8_P12ihipStream_tbENKUlT_T0_E_clISt17integral_constantIbLb0EES15_IbLb1EEEEDaS11_S12_EUlS11_E_NS1_11comp_targetILNS1_3genE4ELNS1_11target_archE910ELNS1_3gpuE8ELNS1_3repE0EEENS1_30default_config_static_selectorELNS0_4arch9wavefront6targetE0EEEvT1_ ; -- Begin function _ZN7rocprim17ROCPRIM_400000_NS6detail17trampoline_kernelINS0_14default_configENS1_29reduce_by_key_config_selectorIjxN6thrust23THRUST_200600_302600_NS4plusIxEEEEZZNS1_33reduce_by_key_impl_wrapped_configILNS1_25lookback_scan_determinismE0ES3_S9_NS6_6detail15normal_iteratorINS6_10device_ptrIjEEEENSD_INSE_IxEEEENS6_16discard_iteratorINS6_11use_defaultEEESI_PmS8_NS6_8equal_toIjEEEE10hipError_tPvRmT2_T3_mT4_T5_T6_T7_T8_P12ihipStream_tbENKUlT_T0_E_clISt17integral_constantIbLb0EES15_IbLb1EEEEDaS11_S12_EUlS11_E_NS1_11comp_targetILNS1_3genE4ELNS1_11target_archE910ELNS1_3gpuE8ELNS1_3repE0EEENS1_30default_config_static_selectorELNS0_4arch9wavefront6targetE0EEEvT1_
	.globl	_ZN7rocprim17ROCPRIM_400000_NS6detail17trampoline_kernelINS0_14default_configENS1_29reduce_by_key_config_selectorIjxN6thrust23THRUST_200600_302600_NS4plusIxEEEEZZNS1_33reduce_by_key_impl_wrapped_configILNS1_25lookback_scan_determinismE0ES3_S9_NS6_6detail15normal_iteratorINS6_10device_ptrIjEEEENSD_INSE_IxEEEENS6_16discard_iteratorINS6_11use_defaultEEESI_PmS8_NS6_8equal_toIjEEEE10hipError_tPvRmT2_T3_mT4_T5_T6_T7_T8_P12ihipStream_tbENKUlT_T0_E_clISt17integral_constantIbLb0EES15_IbLb1EEEEDaS11_S12_EUlS11_E_NS1_11comp_targetILNS1_3genE4ELNS1_11target_archE910ELNS1_3gpuE8ELNS1_3repE0EEENS1_30default_config_static_selectorELNS0_4arch9wavefront6targetE0EEEvT1_
	.p2align	8
	.type	_ZN7rocprim17ROCPRIM_400000_NS6detail17trampoline_kernelINS0_14default_configENS1_29reduce_by_key_config_selectorIjxN6thrust23THRUST_200600_302600_NS4plusIxEEEEZZNS1_33reduce_by_key_impl_wrapped_configILNS1_25lookback_scan_determinismE0ES3_S9_NS6_6detail15normal_iteratorINS6_10device_ptrIjEEEENSD_INSE_IxEEEENS6_16discard_iteratorINS6_11use_defaultEEESI_PmS8_NS6_8equal_toIjEEEE10hipError_tPvRmT2_T3_mT4_T5_T6_T7_T8_P12ihipStream_tbENKUlT_T0_E_clISt17integral_constantIbLb0EES15_IbLb1EEEEDaS11_S12_EUlS11_E_NS1_11comp_targetILNS1_3genE4ELNS1_11target_archE910ELNS1_3gpuE8ELNS1_3repE0EEENS1_30default_config_static_selectorELNS0_4arch9wavefront6targetE0EEEvT1_,@function
_ZN7rocprim17ROCPRIM_400000_NS6detail17trampoline_kernelINS0_14default_configENS1_29reduce_by_key_config_selectorIjxN6thrust23THRUST_200600_302600_NS4plusIxEEEEZZNS1_33reduce_by_key_impl_wrapped_configILNS1_25lookback_scan_determinismE0ES3_S9_NS6_6detail15normal_iteratorINS6_10device_ptrIjEEEENSD_INSE_IxEEEENS6_16discard_iteratorINS6_11use_defaultEEESI_PmS8_NS6_8equal_toIjEEEE10hipError_tPvRmT2_T3_mT4_T5_T6_T7_T8_P12ihipStream_tbENKUlT_T0_E_clISt17integral_constantIbLb0EES15_IbLb1EEEEDaS11_S12_EUlS11_E_NS1_11comp_targetILNS1_3genE4ELNS1_11target_archE910ELNS1_3gpuE8ELNS1_3repE0EEENS1_30default_config_static_selectorELNS0_4arch9wavefront6targetE0EEEvT1_: ; @_ZN7rocprim17ROCPRIM_400000_NS6detail17trampoline_kernelINS0_14default_configENS1_29reduce_by_key_config_selectorIjxN6thrust23THRUST_200600_302600_NS4plusIxEEEEZZNS1_33reduce_by_key_impl_wrapped_configILNS1_25lookback_scan_determinismE0ES3_S9_NS6_6detail15normal_iteratorINS6_10device_ptrIjEEEENSD_INSE_IxEEEENS6_16discard_iteratorINS6_11use_defaultEEESI_PmS8_NS6_8equal_toIjEEEE10hipError_tPvRmT2_T3_mT4_T5_T6_T7_T8_P12ihipStream_tbENKUlT_T0_E_clISt17integral_constantIbLb0EES15_IbLb1EEEEDaS11_S12_EUlS11_E_NS1_11comp_targetILNS1_3genE4ELNS1_11target_archE910ELNS1_3gpuE8ELNS1_3repE0EEENS1_30default_config_static_selectorELNS0_4arch9wavefront6targetE0EEEvT1_
; %bb.0:
	.section	.rodata,"a",@progbits
	.p2align	6, 0x0
	.amdhsa_kernel _ZN7rocprim17ROCPRIM_400000_NS6detail17trampoline_kernelINS0_14default_configENS1_29reduce_by_key_config_selectorIjxN6thrust23THRUST_200600_302600_NS4plusIxEEEEZZNS1_33reduce_by_key_impl_wrapped_configILNS1_25lookback_scan_determinismE0ES3_S9_NS6_6detail15normal_iteratorINS6_10device_ptrIjEEEENSD_INSE_IxEEEENS6_16discard_iteratorINS6_11use_defaultEEESI_PmS8_NS6_8equal_toIjEEEE10hipError_tPvRmT2_T3_mT4_T5_T6_T7_T8_P12ihipStream_tbENKUlT_T0_E_clISt17integral_constantIbLb0EES15_IbLb1EEEEDaS11_S12_EUlS11_E_NS1_11comp_targetILNS1_3genE4ELNS1_11target_archE910ELNS1_3gpuE8ELNS1_3repE0EEENS1_30default_config_static_selectorELNS0_4arch9wavefront6targetE0EEEvT1_
		.amdhsa_group_segment_fixed_size 0
		.amdhsa_private_segment_fixed_size 0
		.amdhsa_kernarg_size 144
		.amdhsa_user_sgpr_count 15
		.amdhsa_user_sgpr_dispatch_ptr 0
		.amdhsa_user_sgpr_queue_ptr 0
		.amdhsa_user_sgpr_kernarg_segment_ptr 1
		.amdhsa_user_sgpr_dispatch_id 0
		.amdhsa_user_sgpr_private_segment_size 0
		.amdhsa_wavefront_size32 1
		.amdhsa_uses_dynamic_stack 0
		.amdhsa_enable_private_segment 0
		.amdhsa_system_sgpr_workgroup_id_x 1
		.amdhsa_system_sgpr_workgroup_id_y 0
		.amdhsa_system_sgpr_workgroup_id_z 0
		.amdhsa_system_sgpr_workgroup_info 0
		.amdhsa_system_vgpr_workitem_id 0
		.amdhsa_next_free_vgpr 1
		.amdhsa_next_free_sgpr 1
		.amdhsa_reserve_vcc 0
		.amdhsa_float_round_mode_32 0
		.amdhsa_float_round_mode_16_64 0
		.amdhsa_float_denorm_mode_32 3
		.amdhsa_float_denorm_mode_16_64 3
		.amdhsa_dx10_clamp 1
		.amdhsa_ieee_mode 1
		.amdhsa_fp16_overflow 0
		.amdhsa_workgroup_processor_mode 1
		.amdhsa_memory_ordered 1
		.amdhsa_forward_progress 0
		.amdhsa_shared_vgpr_count 0
		.amdhsa_exception_fp_ieee_invalid_op 0
		.amdhsa_exception_fp_denorm_src 0
		.amdhsa_exception_fp_ieee_div_zero 0
		.amdhsa_exception_fp_ieee_overflow 0
		.amdhsa_exception_fp_ieee_underflow 0
		.amdhsa_exception_fp_ieee_inexact 0
		.amdhsa_exception_int_div_zero 0
	.end_amdhsa_kernel
	.section	.text._ZN7rocprim17ROCPRIM_400000_NS6detail17trampoline_kernelINS0_14default_configENS1_29reduce_by_key_config_selectorIjxN6thrust23THRUST_200600_302600_NS4plusIxEEEEZZNS1_33reduce_by_key_impl_wrapped_configILNS1_25lookback_scan_determinismE0ES3_S9_NS6_6detail15normal_iteratorINS6_10device_ptrIjEEEENSD_INSE_IxEEEENS6_16discard_iteratorINS6_11use_defaultEEESI_PmS8_NS6_8equal_toIjEEEE10hipError_tPvRmT2_T3_mT4_T5_T6_T7_T8_P12ihipStream_tbENKUlT_T0_E_clISt17integral_constantIbLb0EES15_IbLb1EEEEDaS11_S12_EUlS11_E_NS1_11comp_targetILNS1_3genE4ELNS1_11target_archE910ELNS1_3gpuE8ELNS1_3repE0EEENS1_30default_config_static_selectorELNS0_4arch9wavefront6targetE0EEEvT1_,"axG",@progbits,_ZN7rocprim17ROCPRIM_400000_NS6detail17trampoline_kernelINS0_14default_configENS1_29reduce_by_key_config_selectorIjxN6thrust23THRUST_200600_302600_NS4plusIxEEEEZZNS1_33reduce_by_key_impl_wrapped_configILNS1_25lookback_scan_determinismE0ES3_S9_NS6_6detail15normal_iteratorINS6_10device_ptrIjEEEENSD_INSE_IxEEEENS6_16discard_iteratorINS6_11use_defaultEEESI_PmS8_NS6_8equal_toIjEEEE10hipError_tPvRmT2_T3_mT4_T5_T6_T7_T8_P12ihipStream_tbENKUlT_T0_E_clISt17integral_constantIbLb0EES15_IbLb1EEEEDaS11_S12_EUlS11_E_NS1_11comp_targetILNS1_3genE4ELNS1_11target_archE910ELNS1_3gpuE8ELNS1_3repE0EEENS1_30default_config_static_selectorELNS0_4arch9wavefront6targetE0EEEvT1_,comdat
.Lfunc_end1014:
	.size	_ZN7rocprim17ROCPRIM_400000_NS6detail17trampoline_kernelINS0_14default_configENS1_29reduce_by_key_config_selectorIjxN6thrust23THRUST_200600_302600_NS4plusIxEEEEZZNS1_33reduce_by_key_impl_wrapped_configILNS1_25lookback_scan_determinismE0ES3_S9_NS6_6detail15normal_iteratorINS6_10device_ptrIjEEEENSD_INSE_IxEEEENS6_16discard_iteratorINS6_11use_defaultEEESI_PmS8_NS6_8equal_toIjEEEE10hipError_tPvRmT2_T3_mT4_T5_T6_T7_T8_P12ihipStream_tbENKUlT_T0_E_clISt17integral_constantIbLb0EES15_IbLb1EEEEDaS11_S12_EUlS11_E_NS1_11comp_targetILNS1_3genE4ELNS1_11target_archE910ELNS1_3gpuE8ELNS1_3repE0EEENS1_30default_config_static_selectorELNS0_4arch9wavefront6targetE0EEEvT1_, .Lfunc_end1014-_ZN7rocprim17ROCPRIM_400000_NS6detail17trampoline_kernelINS0_14default_configENS1_29reduce_by_key_config_selectorIjxN6thrust23THRUST_200600_302600_NS4plusIxEEEEZZNS1_33reduce_by_key_impl_wrapped_configILNS1_25lookback_scan_determinismE0ES3_S9_NS6_6detail15normal_iteratorINS6_10device_ptrIjEEEENSD_INSE_IxEEEENS6_16discard_iteratorINS6_11use_defaultEEESI_PmS8_NS6_8equal_toIjEEEE10hipError_tPvRmT2_T3_mT4_T5_T6_T7_T8_P12ihipStream_tbENKUlT_T0_E_clISt17integral_constantIbLb0EES15_IbLb1EEEEDaS11_S12_EUlS11_E_NS1_11comp_targetILNS1_3genE4ELNS1_11target_archE910ELNS1_3gpuE8ELNS1_3repE0EEENS1_30default_config_static_selectorELNS0_4arch9wavefront6targetE0EEEvT1_
                                        ; -- End function
	.section	.AMDGPU.csdata,"",@progbits
; Kernel info:
; codeLenInByte = 0
; NumSgprs: 0
; NumVgprs: 0
; ScratchSize: 0
; MemoryBound: 0
; FloatMode: 240
; IeeeMode: 1
; LDSByteSize: 0 bytes/workgroup (compile time only)
; SGPRBlocks: 0
; VGPRBlocks: 0
; NumSGPRsForWavesPerEU: 1
; NumVGPRsForWavesPerEU: 1
; Occupancy: 16
; WaveLimiterHint : 0
; COMPUTE_PGM_RSRC2:SCRATCH_EN: 0
; COMPUTE_PGM_RSRC2:USER_SGPR: 15
; COMPUTE_PGM_RSRC2:TRAP_HANDLER: 0
; COMPUTE_PGM_RSRC2:TGID_X_EN: 1
; COMPUTE_PGM_RSRC2:TGID_Y_EN: 0
; COMPUTE_PGM_RSRC2:TGID_Z_EN: 0
; COMPUTE_PGM_RSRC2:TIDIG_COMP_CNT: 0
	.section	.text._ZN7rocprim17ROCPRIM_400000_NS6detail17trampoline_kernelINS0_14default_configENS1_29reduce_by_key_config_selectorIjxN6thrust23THRUST_200600_302600_NS4plusIxEEEEZZNS1_33reduce_by_key_impl_wrapped_configILNS1_25lookback_scan_determinismE0ES3_S9_NS6_6detail15normal_iteratorINS6_10device_ptrIjEEEENSD_INSE_IxEEEENS6_16discard_iteratorINS6_11use_defaultEEESI_PmS8_NS6_8equal_toIjEEEE10hipError_tPvRmT2_T3_mT4_T5_T6_T7_T8_P12ihipStream_tbENKUlT_T0_E_clISt17integral_constantIbLb0EES15_IbLb1EEEEDaS11_S12_EUlS11_E_NS1_11comp_targetILNS1_3genE3ELNS1_11target_archE908ELNS1_3gpuE7ELNS1_3repE0EEENS1_30default_config_static_selectorELNS0_4arch9wavefront6targetE0EEEvT1_,"axG",@progbits,_ZN7rocprim17ROCPRIM_400000_NS6detail17trampoline_kernelINS0_14default_configENS1_29reduce_by_key_config_selectorIjxN6thrust23THRUST_200600_302600_NS4plusIxEEEEZZNS1_33reduce_by_key_impl_wrapped_configILNS1_25lookback_scan_determinismE0ES3_S9_NS6_6detail15normal_iteratorINS6_10device_ptrIjEEEENSD_INSE_IxEEEENS6_16discard_iteratorINS6_11use_defaultEEESI_PmS8_NS6_8equal_toIjEEEE10hipError_tPvRmT2_T3_mT4_T5_T6_T7_T8_P12ihipStream_tbENKUlT_T0_E_clISt17integral_constantIbLb0EES15_IbLb1EEEEDaS11_S12_EUlS11_E_NS1_11comp_targetILNS1_3genE3ELNS1_11target_archE908ELNS1_3gpuE7ELNS1_3repE0EEENS1_30default_config_static_selectorELNS0_4arch9wavefront6targetE0EEEvT1_,comdat
	.protected	_ZN7rocprim17ROCPRIM_400000_NS6detail17trampoline_kernelINS0_14default_configENS1_29reduce_by_key_config_selectorIjxN6thrust23THRUST_200600_302600_NS4plusIxEEEEZZNS1_33reduce_by_key_impl_wrapped_configILNS1_25lookback_scan_determinismE0ES3_S9_NS6_6detail15normal_iteratorINS6_10device_ptrIjEEEENSD_INSE_IxEEEENS6_16discard_iteratorINS6_11use_defaultEEESI_PmS8_NS6_8equal_toIjEEEE10hipError_tPvRmT2_T3_mT4_T5_T6_T7_T8_P12ihipStream_tbENKUlT_T0_E_clISt17integral_constantIbLb0EES15_IbLb1EEEEDaS11_S12_EUlS11_E_NS1_11comp_targetILNS1_3genE3ELNS1_11target_archE908ELNS1_3gpuE7ELNS1_3repE0EEENS1_30default_config_static_selectorELNS0_4arch9wavefront6targetE0EEEvT1_ ; -- Begin function _ZN7rocprim17ROCPRIM_400000_NS6detail17trampoline_kernelINS0_14default_configENS1_29reduce_by_key_config_selectorIjxN6thrust23THRUST_200600_302600_NS4plusIxEEEEZZNS1_33reduce_by_key_impl_wrapped_configILNS1_25lookback_scan_determinismE0ES3_S9_NS6_6detail15normal_iteratorINS6_10device_ptrIjEEEENSD_INSE_IxEEEENS6_16discard_iteratorINS6_11use_defaultEEESI_PmS8_NS6_8equal_toIjEEEE10hipError_tPvRmT2_T3_mT4_T5_T6_T7_T8_P12ihipStream_tbENKUlT_T0_E_clISt17integral_constantIbLb0EES15_IbLb1EEEEDaS11_S12_EUlS11_E_NS1_11comp_targetILNS1_3genE3ELNS1_11target_archE908ELNS1_3gpuE7ELNS1_3repE0EEENS1_30default_config_static_selectorELNS0_4arch9wavefront6targetE0EEEvT1_
	.globl	_ZN7rocprim17ROCPRIM_400000_NS6detail17trampoline_kernelINS0_14default_configENS1_29reduce_by_key_config_selectorIjxN6thrust23THRUST_200600_302600_NS4plusIxEEEEZZNS1_33reduce_by_key_impl_wrapped_configILNS1_25lookback_scan_determinismE0ES3_S9_NS6_6detail15normal_iteratorINS6_10device_ptrIjEEEENSD_INSE_IxEEEENS6_16discard_iteratorINS6_11use_defaultEEESI_PmS8_NS6_8equal_toIjEEEE10hipError_tPvRmT2_T3_mT4_T5_T6_T7_T8_P12ihipStream_tbENKUlT_T0_E_clISt17integral_constantIbLb0EES15_IbLb1EEEEDaS11_S12_EUlS11_E_NS1_11comp_targetILNS1_3genE3ELNS1_11target_archE908ELNS1_3gpuE7ELNS1_3repE0EEENS1_30default_config_static_selectorELNS0_4arch9wavefront6targetE0EEEvT1_
	.p2align	8
	.type	_ZN7rocprim17ROCPRIM_400000_NS6detail17trampoline_kernelINS0_14default_configENS1_29reduce_by_key_config_selectorIjxN6thrust23THRUST_200600_302600_NS4plusIxEEEEZZNS1_33reduce_by_key_impl_wrapped_configILNS1_25lookback_scan_determinismE0ES3_S9_NS6_6detail15normal_iteratorINS6_10device_ptrIjEEEENSD_INSE_IxEEEENS6_16discard_iteratorINS6_11use_defaultEEESI_PmS8_NS6_8equal_toIjEEEE10hipError_tPvRmT2_T3_mT4_T5_T6_T7_T8_P12ihipStream_tbENKUlT_T0_E_clISt17integral_constantIbLb0EES15_IbLb1EEEEDaS11_S12_EUlS11_E_NS1_11comp_targetILNS1_3genE3ELNS1_11target_archE908ELNS1_3gpuE7ELNS1_3repE0EEENS1_30default_config_static_selectorELNS0_4arch9wavefront6targetE0EEEvT1_,@function
_ZN7rocprim17ROCPRIM_400000_NS6detail17trampoline_kernelINS0_14default_configENS1_29reduce_by_key_config_selectorIjxN6thrust23THRUST_200600_302600_NS4plusIxEEEEZZNS1_33reduce_by_key_impl_wrapped_configILNS1_25lookback_scan_determinismE0ES3_S9_NS6_6detail15normal_iteratorINS6_10device_ptrIjEEEENSD_INSE_IxEEEENS6_16discard_iteratorINS6_11use_defaultEEESI_PmS8_NS6_8equal_toIjEEEE10hipError_tPvRmT2_T3_mT4_T5_T6_T7_T8_P12ihipStream_tbENKUlT_T0_E_clISt17integral_constantIbLb0EES15_IbLb1EEEEDaS11_S12_EUlS11_E_NS1_11comp_targetILNS1_3genE3ELNS1_11target_archE908ELNS1_3gpuE7ELNS1_3repE0EEENS1_30default_config_static_selectorELNS0_4arch9wavefront6targetE0EEEvT1_: ; @_ZN7rocprim17ROCPRIM_400000_NS6detail17trampoline_kernelINS0_14default_configENS1_29reduce_by_key_config_selectorIjxN6thrust23THRUST_200600_302600_NS4plusIxEEEEZZNS1_33reduce_by_key_impl_wrapped_configILNS1_25lookback_scan_determinismE0ES3_S9_NS6_6detail15normal_iteratorINS6_10device_ptrIjEEEENSD_INSE_IxEEEENS6_16discard_iteratorINS6_11use_defaultEEESI_PmS8_NS6_8equal_toIjEEEE10hipError_tPvRmT2_T3_mT4_T5_T6_T7_T8_P12ihipStream_tbENKUlT_T0_E_clISt17integral_constantIbLb0EES15_IbLb1EEEEDaS11_S12_EUlS11_E_NS1_11comp_targetILNS1_3genE3ELNS1_11target_archE908ELNS1_3gpuE7ELNS1_3repE0EEENS1_30default_config_static_selectorELNS0_4arch9wavefront6targetE0EEEvT1_
; %bb.0:
	.section	.rodata,"a",@progbits
	.p2align	6, 0x0
	.amdhsa_kernel _ZN7rocprim17ROCPRIM_400000_NS6detail17trampoline_kernelINS0_14default_configENS1_29reduce_by_key_config_selectorIjxN6thrust23THRUST_200600_302600_NS4plusIxEEEEZZNS1_33reduce_by_key_impl_wrapped_configILNS1_25lookback_scan_determinismE0ES3_S9_NS6_6detail15normal_iteratorINS6_10device_ptrIjEEEENSD_INSE_IxEEEENS6_16discard_iteratorINS6_11use_defaultEEESI_PmS8_NS6_8equal_toIjEEEE10hipError_tPvRmT2_T3_mT4_T5_T6_T7_T8_P12ihipStream_tbENKUlT_T0_E_clISt17integral_constantIbLb0EES15_IbLb1EEEEDaS11_S12_EUlS11_E_NS1_11comp_targetILNS1_3genE3ELNS1_11target_archE908ELNS1_3gpuE7ELNS1_3repE0EEENS1_30default_config_static_selectorELNS0_4arch9wavefront6targetE0EEEvT1_
		.amdhsa_group_segment_fixed_size 0
		.amdhsa_private_segment_fixed_size 0
		.amdhsa_kernarg_size 144
		.amdhsa_user_sgpr_count 15
		.amdhsa_user_sgpr_dispatch_ptr 0
		.amdhsa_user_sgpr_queue_ptr 0
		.amdhsa_user_sgpr_kernarg_segment_ptr 1
		.amdhsa_user_sgpr_dispatch_id 0
		.amdhsa_user_sgpr_private_segment_size 0
		.amdhsa_wavefront_size32 1
		.amdhsa_uses_dynamic_stack 0
		.amdhsa_enable_private_segment 0
		.amdhsa_system_sgpr_workgroup_id_x 1
		.amdhsa_system_sgpr_workgroup_id_y 0
		.amdhsa_system_sgpr_workgroup_id_z 0
		.amdhsa_system_sgpr_workgroup_info 0
		.amdhsa_system_vgpr_workitem_id 0
		.amdhsa_next_free_vgpr 1
		.amdhsa_next_free_sgpr 1
		.amdhsa_reserve_vcc 0
		.amdhsa_float_round_mode_32 0
		.amdhsa_float_round_mode_16_64 0
		.amdhsa_float_denorm_mode_32 3
		.amdhsa_float_denorm_mode_16_64 3
		.amdhsa_dx10_clamp 1
		.amdhsa_ieee_mode 1
		.amdhsa_fp16_overflow 0
		.amdhsa_workgroup_processor_mode 1
		.amdhsa_memory_ordered 1
		.amdhsa_forward_progress 0
		.amdhsa_shared_vgpr_count 0
		.amdhsa_exception_fp_ieee_invalid_op 0
		.amdhsa_exception_fp_denorm_src 0
		.amdhsa_exception_fp_ieee_div_zero 0
		.amdhsa_exception_fp_ieee_overflow 0
		.amdhsa_exception_fp_ieee_underflow 0
		.amdhsa_exception_fp_ieee_inexact 0
		.amdhsa_exception_int_div_zero 0
	.end_amdhsa_kernel
	.section	.text._ZN7rocprim17ROCPRIM_400000_NS6detail17trampoline_kernelINS0_14default_configENS1_29reduce_by_key_config_selectorIjxN6thrust23THRUST_200600_302600_NS4plusIxEEEEZZNS1_33reduce_by_key_impl_wrapped_configILNS1_25lookback_scan_determinismE0ES3_S9_NS6_6detail15normal_iteratorINS6_10device_ptrIjEEEENSD_INSE_IxEEEENS6_16discard_iteratorINS6_11use_defaultEEESI_PmS8_NS6_8equal_toIjEEEE10hipError_tPvRmT2_T3_mT4_T5_T6_T7_T8_P12ihipStream_tbENKUlT_T0_E_clISt17integral_constantIbLb0EES15_IbLb1EEEEDaS11_S12_EUlS11_E_NS1_11comp_targetILNS1_3genE3ELNS1_11target_archE908ELNS1_3gpuE7ELNS1_3repE0EEENS1_30default_config_static_selectorELNS0_4arch9wavefront6targetE0EEEvT1_,"axG",@progbits,_ZN7rocprim17ROCPRIM_400000_NS6detail17trampoline_kernelINS0_14default_configENS1_29reduce_by_key_config_selectorIjxN6thrust23THRUST_200600_302600_NS4plusIxEEEEZZNS1_33reduce_by_key_impl_wrapped_configILNS1_25lookback_scan_determinismE0ES3_S9_NS6_6detail15normal_iteratorINS6_10device_ptrIjEEEENSD_INSE_IxEEEENS6_16discard_iteratorINS6_11use_defaultEEESI_PmS8_NS6_8equal_toIjEEEE10hipError_tPvRmT2_T3_mT4_T5_T6_T7_T8_P12ihipStream_tbENKUlT_T0_E_clISt17integral_constantIbLb0EES15_IbLb1EEEEDaS11_S12_EUlS11_E_NS1_11comp_targetILNS1_3genE3ELNS1_11target_archE908ELNS1_3gpuE7ELNS1_3repE0EEENS1_30default_config_static_selectorELNS0_4arch9wavefront6targetE0EEEvT1_,comdat
.Lfunc_end1015:
	.size	_ZN7rocprim17ROCPRIM_400000_NS6detail17trampoline_kernelINS0_14default_configENS1_29reduce_by_key_config_selectorIjxN6thrust23THRUST_200600_302600_NS4plusIxEEEEZZNS1_33reduce_by_key_impl_wrapped_configILNS1_25lookback_scan_determinismE0ES3_S9_NS6_6detail15normal_iteratorINS6_10device_ptrIjEEEENSD_INSE_IxEEEENS6_16discard_iteratorINS6_11use_defaultEEESI_PmS8_NS6_8equal_toIjEEEE10hipError_tPvRmT2_T3_mT4_T5_T6_T7_T8_P12ihipStream_tbENKUlT_T0_E_clISt17integral_constantIbLb0EES15_IbLb1EEEEDaS11_S12_EUlS11_E_NS1_11comp_targetILNS1_3genE3ELNS1_11target_archE908ELNS1_3gpuE7ELNS1_3repE0EEENS1_30default_config_static_selectorELNS0_4arch9wavefront6targetE0EEEvT1_, .Lfunc_end1015-_ZN7rocprim17ROCPRIM_400000_NS6detail17trampoline_kernelINS0_14default_configENS1_29reduce_by_key_config_selectorIjxN6thrust23THRUST_200600_302600_NS4plusIxEEEEZZNS1_33reduce_by_key_impl_wrapped_configILNS1_25lookback_scan_determinismE0ES3_S9_NS6_6detail15normal_iteratorINS6_10device_ptrIjEEEENSD_INSE_IxEEEENS6_16discard_iteratorINS6_11use_defaultEEESI_PmS8_NS6_8equal_toIjEEEE10hipError_tPvRmT2_T3_mT4_T5_T6_T7_T8_P12ihipStream_tbENKUlT_T0_E_clISt17integral_constantIbLb0EES15_IbLb1EEEEDaS11_S12_EUlS11_E_NS1_11comp_targetILNS1_3genE3ELNS1_11target_archE908ELNS1_3gpuE7ELNS1_3repE0EEENS1_30default_config_static_selectorELNS0_4arch9wavefront6targetE0EEEvT1_
                                        ; -- End function
	.section	.AMDGPU.csdata,"",@progbits
; Kernel info:
; codeLenInByte = 0
; NumSgprs: 0
; NumVgprs: 0
; ScratchSize: 0
; MemoryBound: 0
; FloatMode: 240
; IeeeMode: 1
; LDSByteSize: 0 bytes/workgroup (compile time only)
; SGPRBlocks: 0
; VGPRBlocks: 0
; NumSGPRsForWavesPerEU: 1
; NumVGPRsForWavesPerEU: 1
; Occupancy: 16
; WaveLimiterHint : 0
; COMPUTE_PGM_RSRC2:SCRATCH_EN: 0
; COMPUTE_PGM_RSRC2:USER_SGPR: 15
; COMPUTE_PGM_RSRC2:TRAP_HANDLER: 0
; COMPUTE_PGM_RSRC2:TGID_X_EN: 1
; COMPUTE_PGM_RSRC2:TGID_Y_EN: 0
; COMPUTE_PGM_RSRC2:TGID_Z_EN: 0
; COMPUTE_PGM_RSRC2:TIDIG_COMP_CNT: 0
	.section	.text._ZN7rocprim17ROCPRIM_400000_NS6detail17trampoline_kernelINS0_14default_configENS1_29reduce_by_key_config_selectorIjxN6thrust23THRUST_200600_302600_NS4plusIxEEEEZZNS1_33reduce_by_key_impl_wrapped_configILNS1_25lookback_scan_determinismE0ES3_S9_NS6_6detail15normal_iteratorINS6_10device_ptrIjEEEENSD_INSE_IxEEEENS6_16discard_iteratorINS6_11use_defaultEEESI_PmS8_NS6_8equal_toIjEEEE10hipError_tPvRmT2_T3_mT4_T5_T6_T7_T8_P12ihipStream_tbENKUlT_T0_E_clISt17integral_constantIbLb0EES15_IbLb1EEEEDaS11_S12_EUlS11_E_NS1_11comp_targetILNS1_3genE2ELNS1_11target_archE906ELNS1_3gpuE6ELNS1_3repE0EEENS1_30default_config_static_selectorELNS0_4arch9wavefront6targetE0EEEvT1_,"axG",@progbits,_ZN7rocprim17ROCPRIM_400000_NS6detail17trampoline_kernelINS0_14default_configENS1_29reduce_by_key_config_selectorIjxN6thrust23THRUST_200600_302600_NS4plusIxEEEEZZNS1_33reduce_by_key_impl_wrapped_configILNS1_25lookback_scan_determinismE0ES3_S9_NS6_6detail15normal_iteratorINS6_10device_ptrIjEEEENSD_INSE_IxEEEENS6_16discard_iteratorINS6_11use_defaultEEESI_PmS8_NS6_8equal_toIjEEEE10hipError_tPvRmT2_T3_mT4_T5_T6_T7_T8_P12ihipStream_tbENKUlT_T0_E_clISt17integral_constantIbLb0EES15_IbLb1EEEEDaS11_S12_EUlS11_E_NS1_11comp_targetILNS1_3genE2ELNS1_11target_archE906ELNS1_3gpuE6ELNS1_3repE0EEENS1_30default_config_static_selectorELNS0_4arch9wavefront6targetE0EEEvT1_,comdat
	.protected	_ZN7rocprim17ROCPRIM_400000_NS6detail17trampoline_kernelINS0_14default_configENS1_29reduce_by_key_config_selectorIjxN6thrust23THRUST_200600_302600_NS4plusIxEEEEZZNS1_33reduce_by_key_impl_wrapped_configILNS1_25lookback_scan_determinismE0ES3_S9_NS6_6detail15normal_iteratorINS6_10device_ptrIjEEEENSD_INSE_IxEEEENS6_16discard_iteratorINS6_11use_defaultEEESI_PmS8_NS6_8equal_toIjEEEE10hipError_tPvRmT2_T3_mT4_T5_T6_T7_T8_P12ihipStream_tbENKUlT_T0_E_clISt17integral_constantIbLb0EES15_IbLb1EEEEDaS11_S12_EUlS11_E_NS1_11comp_targetILNS1_3genE2ELNS1_11target_archE906ELNS1_3gpuE6ELNS1_3repE0EEENS1_30default_config_static_selectorELNS0_4arch9wavefront6targetE0EEEvT1_ ; -- Begin function _ZN7rocprim17ROCPRIM_400000_NS6detail17trampoline_kernelINS0_14default_configENS1_29reduce_by_key_config_selectorIjxN6thrust23THRUST_200600_302600_NS4plusIxEEEEZZNS1_33reduce_by_key_impl_wrapped_configILNS1_25lookback_scan_determinismE0ES3_S9_NS6_6detail15normal_iteratorINS6_10device_ptrIjEEEENSD_INSE_IxEEEENS6_16discard_iteratorINS6_11use_defaultEEESI_PmS8_NS6_8equal_toIjEEEE10hipError_tPvRmT2_T3_mT4_T5_T6_T7_T8_P12ihipStream_tbENKUlT_T0_E_clISt17integral_constantIbLb0EES15_IbLb1EEEEDaS11_S12_EUlS11_E_NS1_11comp_targetILNS1_3genE2ELNS1_11target_archE906ELNS1_3gpuE6ELNS1_3repE0EEENS1_30default_config_static_selectorELNS0_4arch9wavefront6targetE0EEEvT1_
	.globl	_ZN7rocprim17ROCPRIM_400000_NS6detail17trampoline_kernelINS0_14default_configENS1_29reduce_by_key_config_selectorIjxN6thrust23THRUST_200600_302600_NS4plusIxEEEEZZNS1_33reduce_by_key_impl_wrapped_configILNS1_25lookback_scan_determinismE0ES3_S9_NS6_6detail15normal_iteratorINS6_10device_ptrIjEEEENSD_INSE_IxEEEENS6_16discard_iteratorINS6_11use_defaultEEESI_PmS8_NS6_8equal_toIjEEEE10hipError_tPvRmT2_T3_mT4_T5_T6_T7_T8_P12ihipStream_tbENKUlT_T0_E_clISt17integral_constantIbLb0EES15_IbLb1EEEEDaS11_S12_EUlS11_E_NS1_11comp_targetILNS1_3genE2ELNS1_11target_archE906ELNS1_3gpuE6ELNS1_3repE0EEENS1_30default_config_static_selectorELNS0_4arch9wavefront6targetE0EEEvT1_
	.p2align	8
	.type	_ZN7rocprim17ROCPRIM_400000_NS6detail17trampoline_kernelINS0_14default_configENS1_29reduce_by_key_config_selectorIjxN6thrust23THRUST_200600_302600_NS4plusIxEEEEZZNS1_33reduce_by_key_impl_wrapped_configILNS1_25lookback_scan_determinismE0ES3_S9_NS6_6detail15normal_iteratorINS6_10device_ptrIjEEEENSD_INSE_IxEEEENS6_16discard_iteratorINS6_11use_defaultEEESI_PmS8_NS6_8equal_toIjEEEE10hipError_tPvRmT2_T3_mT4_T5_T6_T7_T8_P12ihipStream_tbENKUlT_T0_E_clISt17integral_constantIbLb0EES15_IbLb1EEEEDaS11_S12_EUlS11_E_NS1_11comp_targetILNS1_3genE2ELNS1_11target_archE906ELNS1_3gpuE6ELNS1_3repE0EEENS1_30default_config_static_selectorELNS0_4arch9wavefront6targetE0EEEvT1_,@function
_ZN7rocprim17ROCPRIM_400000_NS6detail17trampoline_kernelINS0_14default_configENS1_29reduce_by_key_config_selectorIjxN6thrust23THRUST_200600_302600_NS4plusIxEEEEZZNS1_33reduce_by_key_impl_wrapped_configILNS1_25lookback_scan_determinismE0ES3_S9_NS6_6detail15normal_iteratorINS6_10device_ptrIjEEEENSD_INSE_IxEEEENS6_16discard_iteratorINS6_11use_defaultEEESI_PmS8_NS6_8equal_toIjEEEE10hipError_tPvRmT2_T3_mT4_T5_T6_T7_T8_P12ihipStream_tbENKUlT_T0_E_clISt17integral_constantIbLb0EES15_IbLb1EEEEDaS11_S12_EUlS11_E_NS1_11comp_targetILNS1_3genE2ELNS1_11target_archE906ELNS1_3gpuE6ELNS1_3repE0EEENS1_30default_config_static_selectorELNS0_4arch9wavefront6targetE0EEEvT1_: ; @_ZN7rocprim17ROCPRIM_400000_NS6detail17trampoline_kernelINS0_14default_configENS1_29reduce_by_key_config_selectorIjxN6thrust23THRUST_200600_302600_NS4plusIxEEEEZZNS1_33reduce_by_key_impl_wrapped_configILNS1_25lookback_scan_determinismE0ES3_S9_NS6_6detail15normal_iteratorINS6_10device_ptrIjEEEENSD_INSE_IxEEEENS6_16discard_iteratorINS6_11use_defaultEEESI_PmS8_NS6_8equal_toIjEEEE10hipError_tPvRmT2_T3_mT4_T5_T6_T7_T8_P12ihipStream_tbENKUlT_T0_E_clISt17integral_constantIbLb0EES15_IbLb1EEEEDaS11_S12_EUlS11_E_NS1_11comp_targetILNS1_3genE2ELNS1_11target_archE906ELNS1_3gpuE6ELNS1_3repE0EEENS1_30default_config_static_selectorELNS0_4arch9wavefront6targetE0EEEvT1_
; %bb.0:
	.section	.rodata,"a",@progbits
	.p2align	6, 0x0
	.amdhsa_kernel _ZN7rocprim17ROCPRIM_400000_NS6detail17trampoline_kernelINS0_14default_configENS1_29reduce_by_key_config_selectorIjxN6thrust23THRUST_200600_302600_NS4plusIxEEEEZZNS1_33reduce_by_key_impl_wrapped_configILNS1_25lookback_scan_determinismE0ES3_S9_NS6_6detail15normal_iteratorINS6_10device_ptrIjEEEENSD_INSE_IxEEEENS6_16discard_iteratorINS6_11use_defaultEEESI_PmS8_NS6_8equal_toIjEEEE10hipError_tPvRmT2_T3_mT4_T5_T6_T7_T8_P12ihipStream_tbENKUlT_T0_E_clISt17integral_constantIbLb0EES15_IbLb1EEEEDaS11_S12_EUlS11_E_NS1_11comp_targetILNS1_3genE2ELNS1_11target_archE906ELNS1_3gpuE6ELNS1_3repE0EEENS1_30default_config_static_selectorELNS0_4arch9wavefront6targetE0EEEvT1_
		.amdhsa_group_segment_fixed_size 0
		.amdhsa_private_segment_fixed_size 0
		.amdhsa_kernarg_size 144
		.amdhsa_user_sgpr_count 15
		.amdhsa_user_sgpr_dispatch_ptr 0
		.amdhsa_user_sgpr_queue_ptr 0
		.amdhsa_user_sgpr_kernarg_segment_ptr 1
		.amdhsa_user_sgpr_dispatch_id 0
		.amdhsa_user_sgpr_private_segment_size 0
		.amdhsa_wavefront_size32 1
		.amdhsa_uses_dynamic_stack 0
		.amdhsa_enable_private_segment 0
		.amdhsa_system_sgpr_workgroup_id_x 1
		.amdhsa_system_sgpr_workgroup_id_y 0
		.amdhsa_system_sgpr_workgroup_id_z 0
		.amdhsa_system_sgpr_workgroup_info 0
		.amdhsa_system_vgpr_workitem_id 0
		.amdhsa_next_free_vgpr 1
		.amdhsa_next_free_sgpr 1
		.amdhsa_reserve_vcc 0
		.amdhsa_float_round_mode_32 0
		.amdhsa_float_round_mode_16_64 0
		.amdhsa_float_denorm_mode_32 3
		.amdhsa_float_denorm_mode_16_64 3
		.amdhsa_dx10_clamp 1
		.amdhsa_ieee_mode 1
		.amdhsa_fp16_overflow 0
		.amdhsa_workgroup_processor_mode 1
		.amdhsa_memory_ordered 1
		.amdhsa_forward_progress 0
		.amdhsa_shared_vgpr_count 0
		.amdhsa_exception_fp_ieee_invalid_op 0
		.amdhsa_exception_fp_denorm_src 0
		.amdhsa_exception_fp_ieee_div_zero 0
		.amdhsa_exception_fp_ieee_overflow 0
		.amdhsa_exception_fp_ieee_underflow 0
		.amdhsa_exception_fp_ieee_inexact 0
		.amdhsa_exception_int_div_zero 0
	.end_amdhsa_kernel
	.section	.text._ZN7rocprim17ROCPRIM_400000_NS6detail17trampoline_kernelINS0_14default_configENS1_29reduce_by_key_config_selectorIjxN6thrust23THRUST_200600_302600_NS4plusIxEEEEZZNS1_33reduce_by_key_impl_wrapped_configILNS1_25lookback_scan_determinismE0ES3_S9_NS6_6detail15normal_iteratorINS6_10device_ptrIjEEEENSD_INSE_IxEEEENS6_16discard_iteratorINS6_11use_defaultEEESI_PmS8_NS6_8equal_toIjEEEE10hipError_tPvRmT2_T3_mT4_T5_T6_T7_T8_P12ihipStream_tbENKUlT_T0_E_clISt17integral_constantIbLb0EES15_IbLb1EEEEDaS11_S12_EUlS11_E_NS1_11comp_targetILNS1_3genE2ELNS1_11target_archE906ELNS1_3gpuE6ELNS1_3repE0EEENS1_30default_config_static_selectorELNS0_4arch9wavefront6targetE0EEEvT1_,"axG",@progbits,_ZN7rocprim17ROCPRIM_400000_NS6detail17trampoline_kernelINS0_14default_configENS1_29reduce_by_key_config_selectorIjxN6thrust23THRUST_200600_302600_NS4plusIxEEEEZZNS1_33reduce_by_key_impl_wrapped_configILNS1_25lookback_scan_determinismE0ES3_S9_NS6_6detail15normal_iteratorINS6_10device_ptrIjEEEENSD_INSE_IxEEEENS6_16discard_iteratorINS6_11use_defaultEEESI_PmS8_NS6_8equal_toIjEEEE10hipError_tPvRmT2_T3_mT4_T5_T6_T7_T8_P12ihipStream_tbENKUlT_T0_E_clISt17integral_constantIbLb0EES15_IbLb1EEEEDaS11_S12_EUlS11_E_NS1_11comp_targetILNS1_3genE2ELNS1_11target_archE906ELNS1_3gpuE6ELNS1_3repE0EEENS1_30default_config_static_selectorELNS0_4arch9wavefront6targetE0EEEvT1_,comdat
.Lfunc_end1016:
	.size	_ZN7rocprim17ROCPRIM_400000_NS6detail17trampoline_kernelINS0_14default_configENS1_29reduce_by_key_config_selectorIjxN6thrust23THRUST_200600_302600_NS4plusIxEEEEZZNS1_33reduce_by_key_impl_wrapped_configILNS1_25lookback_scan_determinismE0ES3_S9_NS6_6detail15normal_iteratorINS6_10device_ptrIjEEEENSD_INSE_IxEEEENS6_16discard_iteratorINS6_11use_defaultEEESI_PmS8_NS6_8equal_toIjEEEE10hipError_tPvRmT2_T3_mT4_T5_T6_T7_T8_P12ihipStream_tbENKUlT_T0_E_clISt17integral_constantIbLb0EES15_IbLb1EEEEDaS11_S12_EUlS11_E_NS1_11comp_targetILNS1_3genE2ELNS1_11target_archE906ELNS1_3gpuE6ELNS1_3repE0EEENS1_30default_config_static_selectorELNS0_4arch9wavefront6targetE0EEEvT1_, .Lfunc_end1016-_ZN7rocprim17ROCPRIM_400000_NS6detail17trampoline_kernelINS0_14default_configENS1_29reduce_by_key_config_selectorIjxN6thrust23THRUST_200600_302600_NS4plusIxEEEEZZNS1_33reduce_by_key_impl_wrapped_configILNS1_25lookback_scan_determinismE0ES3_S9_NS6_6detail15normal_iteratorINS6_10device_ptrIjEEEENSD_INSE_IxEEEENS6_16discard_iteratorINS6_11use_defaultEEESI_PmS8_NS6_8equal_toIjEEEE10hipError_tPvRmT2_T3_mT4_T5_T6_T7_T8_P12ihipStream_tbENKUlT_T0_E_clISt17integral_constantIbLb0EES15_IbLb1EEEEDaS11_S12_EUlS11_E_NS1_11comp_targetILNS1_3genE2ELNS1_11target_archE906ELNS1_3gpuE6ELNS1_3repE0EEENS1_30default_config_static_selectorELNS0_4arch9wavefront6targetE0EEEvT1_
                                        ; -- End function
	.section	.AMDGPU.csdata,"",@progbits
; Kernel info:
; codeLenInByte = 0
; NumSgprs: 0
; NumVgprs: 0
; ScratchSize: 0
; MemoryBound: 0
; FloatMode: 240
; IeeeMode: 1
; LDSByteSize: 0 bytes/workgroup (compile time only)
; SGPRBlocks: 0
; VGPRBlocks: 0
; NumSGPRsForWavesPerEU: 1
; NumVGPRsForWavesPerEU: 1
; Occupancy: 16
; WaveLimiterHint : 0
; COMPUTE_PGM_RSRC2:SCRATCH_EN: 0
; COMPUTE_PGM_RSRC2:USER_SGPR: 15
; COMPUTE_PGM_RSRC2:TRAP_HANDLER: 0
; COMPUTE_PGM_RSRC2:TGID_X_EN: 1
; COMPUTE_PGM_RSRC2:TGID_Y_EN: 0
; COMPUTE_PGM_RSRC2:TGID_Z_EN: 0
; COMPUTE_PGM_RSRC2:TIDIG_COMP_CNT: 0
	.section	.text._ZN7rocprim17ROCPRIM_400000_NS6detail17trampoline_kernelINS0_14default_configENS1_29reduce_by_key_config_selectorIjxN6thrust23THRUST_200600_302600_NS4plusIxEEEEZZNS1_33reduce_by_key_impl_wrapped_configILNS1_25lookback_scan_determinismE0ES3_S9_NS6_6detail15normal_iteratorINS6_10device_ptrIjEEEENSD_INSE_IxEEEENS6_16discard_iteratorINS6_11use_defaultEEESI_PmS8_NS6_8equal_toIjEEEE10hipError_tPvRmT2_T3_mT4_T5_T6_T7_T8_P12ihipStream_tbENKUlT_T0_E_clISt17integral_constantIbLb0EES15_IbLb1EEEEDaS11_S12_EUlS11_E_NS1_11comp_targetILNS1_3genE10ELNS1_11target_archE1201ELNS1_3gpuE5ELNS1_3repE0EEENS1_30default_config_static_selectorELNS0_4arch9wavefront6targetE0EEEvT1_,"axG",@progbits,_ZN7rocprim17ROCPRIM_400000_NS6detail17trampoline_kernelINS0_14default_configENS1_29reduce_by_key_config_selectorIjxN6thrust23THRUST_200600_302600_NS4plusIxEEEEZZNS1_33reduce_by_key_impl_wrapped_configILNS1_25lookback_scan_determinismE0ES3_S9_NS6_6detail15normal_iteratorINS6_10device_ptrIjEEEENSD_INSE_IxEEEENS6_16discard_iteratorINS6_11use_defaultEEESI_PmS8_NS6_8equal_toIjEEEE10hipError_tPvRmT2_T3_mT4_T5_T6_T7_T8_P12ihipStream_tbENKUlT_T0_E_clISt17integral_constantIbLb0EES15_IbLb1EEEEDaS11_S12_EUlS11_E_NS1_11comp_targetILNS1_3genE10ELNS1_11target_archE1201ELNS1_3gpuE5ELNS1_3repE0EEENS1_30default_config_static_selectorELNS0_4arch9wavefront6targetE0EEEvT1_,comdat
	.protected	_ZN7rocprim17ROCPRIM_400000_NS6detail17trampoline_kernelINS0_14default_configENS1_29reduce_by_key_config_selectorIjxN6thrust23THRUST_200600_302600_NS4plusIxEEEEZZNS1_33reduce_by_key_impl_wrapped_configILNS1_25lookback_scan_determinismE0ES3_S9_NS6_6detail15normal_iteratorINS6_10device_ptrIjEEEENSD_INSE_IxEEEENS6_16discard_iteratorINS6_11use_defaultEEESI_PmS8_NS6_8equal_toIjEEEE10hipError_tPvRmT2_T3_mT4_T5_T6_T7_T8_P12ihipStream_tbENKUlT_T0_E_clISt17integral_constantIbLb0EES15_IbLb1EEEEDaS11_S12_EUlS11_E_NS1_11comp_targetILNS1_3genE10ELNS1_11target_archE1201ELNS1_3gpuE5ELNS1_3repE0EEENS1_30default_config_static_selectorELNS0_4arch9wavefront6targetE0EEEvT1_ ; -- Begin function _ZN7rocprim17ROCPRIM_400000_NS6detail17trampoline_kernelINS0_14default_configENS1_29reduce_by_key_config_selectorIjxN6thrust23THRUST_200600_302600_NS4plusIxEEEEZZNS1_33reduce_by_key_impl_wrapped_configILNS1_25lookback_scan_determinismE0ES3_S9_NS6_6detail15normal_iteratorINS6_10device_ptrIjEEEENSD_INSE_IxEEEENS6_16discard_iteratorINS6_11use_defaultEEESI_PmS8_NS6_8equal_toIjEEEE10hipError_tPvRmT2_T3_mT4_T5_T6_T7_T8_P12ihipStream_tbENKUlT_T0_E_clISt17integral_constantIbLb0EES15_IbLb1EEEEDaS11_S12_EUlS11_E_NS1_11comp_targetILNS1_3genE10ELNS1_11target_archE1201ELNS1_3gpuE5ELNS1_3repE0EEENS1_30default_config_static_selectorELNS0_4arch9wavefront6targetE0EEEvT1_
	.globl	_ZN7rocprim17ROCPRIM_400000_NS6detail17trampoline_kernelINS0_14default_configENS1_29reduce_by_key_config_selectorIjxN6thrust23THRUST_200600_302600_NS4plusIxEEEEZZNS1_33reduce_by_key_impl_wrapped_configILNS1_25lookback_scan_determinismE0ES3_S9_NS6_6detail15normal_iteratorINS6_10device_ptrIjEEEENSD_INSE_IxEEEENS6_16discard_iteratorINS6_11use_defaultEEESI_PmS8_NS6_8equal_toIjEEEE10hipError_tPvRmT2_T3_mT4_T5_T6_T7_T8_P12ihipStream_tbENKUlT_T0_E_clISt17integral_constantIbLb0EES15_IbLb1EEEEDaS11_S12_EUlS11_E_NS1_11comp_targetILNS1_3genE10ELNS1_11target_archE1201ELNS1_3gpuE5ELNS1_3repE0EEENS1_30default_config_static_selectorELNS0_4arch9wavefront6targetE0EEEvT1_
	.p2align	8
	.type	_ZN7rocprim17ROCPRIM_400000_NS6detail17trampoline_kernelINS0_14default_configENS1_29reduce_by_key_config_selectorIjxN6thrust23THRUST_200600_302600_NS4plusIxEEEEZZNS1_33reduce_by_key_impl_wrapped_configILNS1_25lookback_scan_determinismE0ES3_S9_NS6_6detail15normal_iteratorINS6_10device_ptrIjEEEENSD_INSE_IxEEEENS6_16discard_iteratorINS6_11use_defaultEEESI_PmS8_NS6_8equal_toIjEEEE10hipError_tPvRmT2_T3_mT4_T5_T6_T7_T8_P12ihipStream_tbENKUlT_T0_E_clISt17integral_constantIbLb0EES15_IbLb1EEEEDaS11_S12_EUlS11_E_NS1_11comp_targetILNS1_3genE10ELNS1_11target_archE1201ELNS1_3gpuE5ELNS1_3repE0EEENS1_30default_config_static_selectorELNS0_4arch9wavefront6targetE0EEEvT1_,@function
_ZN7rocprim17ROCPRIM_400000_NS6detail17trampoline_kernelINS0_14default_configENS1_29reduce_by_key_config_selectorIjxN6thrust23THRUST_200600_302600_NS4plusIxEEEEZZNS1_33reduce_by_key_impl_wrapped_configILNS1_25lookback_scan_determinismE0ES3_S9_NS6_6detail15normal_iteratorINS6_10device_ptrIjEEEENSD_INSE_IxEEEENS6_16discard_iteratorINS6_11use_defaultEEESI_PmS8_NS6_8equal_toIjEEEE10hipError_tPvRmT2_T3_mT4_T5_T6_T7_T8_P12ihipStream_tbENKUlT_T0_E_clISt17integral_constantIbLb0EES15_IbLb1EEEEDaS11_S12_EUlS11_E_NS1_11comp_targetILNS1_3genE10ELNS1_11target_archE1201ELNS1_3gpuE5ELNS1_3repE0EEENS1_30default_config_static_selectorELNS0_4arch9wavefront6targetE0EEEvT1_: ; @_ZN7rocprim17ROCPRIM_400000_NS6detail17trampoline_kernelINS0_14default_configENS1_29reduce_by_key_config_selectorIjxN6thrust23THRUST_200600_302600_NS4plusIxEEEEZZNS1_33reduce_by_key_impl_wrapped_configILNS1_25lookback_scan_determinismE0ES3_S9_NS6_6detail15normal_iteratorINS6_10device_ptrIjEEEENSD_INSE_IxEEEENS6_16discard_iteratorINS6_11use_defaultEEESI_PmS8_NS6_8equal_toIjEEEE10hipError_tPvRmT2_T3_mT4_T5_T6_T7_T8_P12ihipStream_tbENKUlT_T0_E_clISt17integral_constantIbLb0EES15_IbLb1EEEEDaS11_S12_EUlS11_E_NS1_11comp_targetILNS1_3genE10ELNS1_11target_archE1201ELNS1_3gpuE5ELNS1_3repE0EEENS1_30default_config_static_selectorELNS0_4arch9wavefront6targetE0EEEvT1_
; %bb.0:
	.section	.rodata,"a",@progbits
	.p2align	6, 0x0
	.amdhsa_kernel _ZN7rocprim17ROCPRIM_400000_NS6detail17trampoline_kernelINS0_14default_configENS1_29reduce_by_key_config_selectorIjxN6thrust23THRUST_200600_302600_NS4plusIxEEEEZZNS1_33reduce_by_key_impl_wrapped_configILNS1_25lookback_scan_determinismE0ES3_S9_NS6_6detail15normal_iteratorINS6_10device_ptrIjEEEENSD_INSE_IxEEEENS6_16discard_iteratorINS6_11use_defaultEEESI_PmS8_NS6_8equal_toIjEEEE10hipError_tPvRmT2_T3_mT4_T5_T6_T7_T8_P12ihipStream_tbENKUlT_T0_E_clISt17integral_constantIbLb0EES15_IbLb1EEEEDaS11_S12_EUlS11_E_NS1_11comp_targetILNS1_3genE10ELNS1_11target_archE1201ELNS1_3gpuE5ELNS1_3repE0EEENS1_30default_config_static_selectorELNS0_4arch9wavefront6targetE0EEEvT1_
		.amdhsa_group_segment_fixed_size 0
		.amdhsa_private_segment_fixed_size 0
		.amdhsa_kernarg_size 144
		.amdhsa_user_sgpr_count 15
		.amdhsa_user_sgpr_dispatch_ptr 0
		.amdhsa_user_sgpr_queue_ptr 0
		.amdhsa_user_sgpr_kernarg_segment_ptr 1
		.amdhsa_user_sgpr_dispatch_id 0
		.amdhsa_user_sgpr_private_segment_size 0
		.amdhsa_wavefront_size32 1
		.amdhsa_uses_dynamic_stack 0
		.amdhsa_enable_private_segment 0
		.amdhsa_system_sgpr_workgroup_id_x 1
		.amdhsa_system_sgpr_workgroup_id_y 0
		.amdhsa_system_sgpr_workgroup_id_z 0
		.amdhsa_system_sgpr_workgroup_info 0
		.amdhsa_system_vgpr_workitem_id 0
		.amdhsa_next_free_vgpr 1
		.amdhsa_next_free_sgpr 1
		.amdhsa_reserve_vcc 0
		.amdhsa_float_round_mode_32 0
		.amdhsa_float_round_mode_16_64 0
		.amdhsa_float_denorm_mode_32 3
		.amdhsa_float_denorm_mode_16_64 3
		.amdhsa_dx10_clamp 1
		.amdhsa_ieee_mode 1
		.amdhsa_fp16_overflow 0
		.amdhsa_workgroup_processor_mode 1
		.amdhsa_memory_ordered 1
		.amdhsa_forward_progress 0
		.amdhsa_shared_vgpr_count 0
		.amdhsa_exception_fp_ieee_invalid_op 0
		.amdhsa_exception_fp_denorm_src 0
		.amdhsa_exception_fp_ieee_div_zero 0
		.amdhsa_exception_fp_ieee_overflow 0
		.amdhsa_exception_fp_ieee_underflow 0
		.amdhsa_exception_fp_ieee_inexact 0
		.amdhsa_exception_int_div_zero 0
	.end_amdhsa_kernel
	.section	.text._ZN7rocprim17ROCPRIM_400000_NS6detail17trampoline_kernelINS0_14default_configENS1_29reduce_by_key_config_selectorIjxN6thrust23THRUST_200600_302600_NS4plusIxEEEEZZNS1_33reduce_by_key_impl_wrapped_configILNS1_25lookback_scan_determinismE0ES3_S9_NS6_6detail15normal_iteratorINS6_10device_ptrIjEEEENSD_INSE_IxEEEENS6_16discard_iteratorINS6_11use_defaultEEESI_PmS8_NS6_8equal_toIjEEEE10hipError_tPvRmT2_T3_mT4_T5_T6_T7_T8_P12ihipStream_tbENKUlT_T0_E_clISt17integral_constantIbLb0EES15_IbLb1EEEEDaS11_S12_EUlS11_E_NS1_11comp_targetILNS1_3genE10ELNS1_11target_archE1201ELNS1_3gpuE5ELNS1_3repE0EEENS1_30default_config_static_selectorELNS0_4arch9wavefront6targetE0EEEvT1_,"axG",@progbits,_ZN7rocprim17ROCPRIM_400000_NS6detail17trampoline_kernelINS0_14default_configENS1_29reduce_by_key_config_selectorIjxN6thrust23THRUST_200600_302600_NS4plusIxEEEEZZNS1_33reduce_by_key_impl_wrapped_configILNS1_25lookback_scan_determinismE0ES3_S9_NS6_6detail15normal_iteratorINS6_10device_ptrIjEEEENSD_INSE_IxEEEENS6_16discard_iteratorINS6_11use_defaultEEESI_PmS8_NS6_8equal_toIjEEEE10hipError_tPvRmT2_T3_mT4_T5_T6_T7_T8_P12ihipStream_tbENKUlT_T0_E_clISt17integral_constantIbLb0EES15_IbLb1EEEEDaS11_S12_EUlS11_E_NS1_11comp_targetILNS1_3genE10ELNS1_11target_archE1201ELNS1_3gpuE5ELNS1_3repE0EEENS1_30default_config_static_selectorELNS0_4arch9wavefront6targetE0EEEvT1_,comdat
.Lfunc_end1017:
	.size	_ZN7rocprim17ROCPRIM_400000_NS6detail17trampoline_kernelINS0_14default_configENS1_29reduce_by_key_config_selectorIjxN6thrust23THRUST_200600_302600_NS4plusIxEEEEZZNS1_33reduce_by_key_impl_wrapped_configILNS1_25lookback_scan_determinismE0ES3_S9_NS6_6detail15normal_iteratorINS6_10device_ptrIjEEEENSD_INSE_IxEEEENS6_16discard_iteratorINS6_11use_defaultEEESI_PmS8_NS6_8equal_toIjEEEE10hipError_tPvRmT2_T3_mT4_T5_T6_T7_T8_P12ihipStream_tbENKUlT_T0_E_clISt17integral_constantIbLb0EES15_IbLb1EEEEDaS11_S12_EUlS11_E_NS1_11comp_targetILNS1_3genE10ELNS1_11target_archE1201ELNS1_3gpuE5ELNS1_3repE0EEENS1_30default_config_static_selectorELNS0_4arch9wavefront6targetE0EEEvT1_, .Lfunc_end1017-_ZN7rocprim17ROCPRIM_400000_NS6detail17trampoline_kernelINS0_14default_configENS1_29reduce_by_key_config_selectorIjxN6thrust23THRUST_200600_302600_NS4plusIxEEEEZZNS1_33reduce_by_key_impl_wrapped_configILNS1_25lookback_scan_determinismE0ES3_S9_NS6_6detail15normal_iteratorINS6_10device_ptrIjEEEENSD_INSE_IxEEEENS6_16discard_iteratorINS6_11use_defaultEEESI_PmS8_NS6_8equal_toIjEEEE10hipError_tPvRmT2_T3_mT4_T5_T6_T7_T8_P12ihipStream_tbENKUlT_T0_E_clISt17integral_constantIbLb0EES15_IbLb1EEEEDaS11_S12_EUlS11_E_NS1_11comp_targetILNS1_3genE10ELNS1_11target_archE1201ELNS1_3gpuE5ELNS1_3repE0EEENS1_30default_config_static_selectorELNS0_4arch9wavefront6targetE0EEEvT1_
                                        ; -- End function
	.section	.AMDGPU.csdata,"",@progbits
; Kernel info:
; codeLenInByte = 0
; NumSgprs: 0
; NumVgprs: 0
; ScratchSize: 0
; MemoryBound: 0
; FloatMode: 240
; IeeeMode: 1
; LDSByteSize: 0 bytes/workgroup (compile time only)
; SGPRBlocks: 0
; VGPRBlocks: 0
; NumSGPRsForWavesPerEU: 1
; NumVGPRsForWavesPerEU: 1
; Occupancy: 16
; WaveLimiterHint : 0
; COMPUTE_PGM_RSRC2:SCRATCH_EN: 0
; COMPUTE_PGM_RSRC2:USER_SGPR: 15
; COMPUTE_PGM_RSRC2:TRAP_HANDLER: 0
; COMPUTE_PGM_RSRC2:TGID_X_EN: 1
; COMPUTE_PGM_RSRC2:TGID_Y_EN: 0
; COMPUTE_PGM_RSRC2:TGID_Z_EN: 0
; COMPUTE_PGM_RSRC2:TIDIG_COMP_CNT: 0
	.section	.text._ZN7rocprim17ROCPRIM_400000_NS6detail17trampoline_kernelINS0_14default_configENS1_29reduce_by_key_config_selectorIjxN6thrust23THRUST_200600_302600_NS4plusIxEEEEZZNS1_33reduce_by_key_impl_wrapped_configILNS1_25lookback_scan_determinismE0ES3_S9_NS6_6detail15normal_iteratorINS6_10device_ptrIjEEEENSD_INSE_IxEEEENS6_16discard_iteratorINS6_11use_defaultEEESI_PmS8_NS6_8equal_toIjEEEE10hipError_tPvRmT2_T3_mT4_T5_T6_T7_T8_P12ihipStream_tbENKUlT_T0_E_clISt17integral_constantIbLb0EES15_IbLb1EEEEDaS11_S12_EUlS11_E_NS1_11comp_targetILNS1_3genE10ELNS1_11target_archE1200ELNS1_3gpuE4ELNS1_3repE0EEENS1_30default_config_static_selectorELNS0_4arch9wavefront6targetE0EEEvT1_,"axG",@progbits,_ZN7rocprim17ROCPRIM_400000_NS6detail17trampoline_kernelINS0_14default_configENS1_29reduce_by_key_config_selectorIjxN6thrust23THRUST_200600_302600_NS4plusIxEEEEZZNS1_33reduce_by_key_impl_wrapped_configILNS1_25lookback_scan_determinismE0ES3_S9_NS6_6detail15normal_iteratorINS6_10device_ptrIjEEEENSD_INSE_IxEEEENS6_16discard_iteratorINS6_11use_defaultEEESI_PmS8_NS6_8equal_toIjEEEE10hipError_tPvRmT2_T3_mT4_T5_T6_T7_T8_P12ihipStream_tbENKUlT_T0_E_clISt17integral_constantIbLb0EES15_IbLb1EEEEDaS11_S12_EUlS11_E_NS1_11comp_targetILNS1_3genE10ELNS1_11target_archE1200ELNS1_3gpuE4ELNS1_3repE0EEENS1_30default_config_static_selectorELNS0_4arch9wavefront6targetE0EEEvT1_,comdat
	.protected	_ZN7rocprim17ROCPRIM_400000_NS6detail17trampoline_kernelINS0_14default_configENS1_29reduce_by_key_config_selectorIjxN6thrust23THRUST_200600_302600_NS4plusIxEEEEZZNS1_33reduce_by_key_impl_wrapped_configILNS1_25lookback_scan_determinismE0ES3_S9_NS6_6detail15normal_iteratorINS6_10device_ptrIjEEEENSD_INSE_IxEEEENS6_16discard_iteratorINS6_11use_defaultEEESI_PmS8_NS6_8equal_toIjEEEE10hipError_tPvRmT2_T3_mT4_T5_T6_T7_T8_P12ihipStream_tbENKUlT_T0_E_clISt17integral_constantIbLb0EES15_IbLb1EEEEDaS11_S12_EUlS11_E_NS1_11comp_targetILNS1_3genE10ELNS1_11target_archE1200ELNS1_3gpuE4ELNS1_3repE0EEENS1_30default_config_static_selectorELNS0_4arch9wavefront6targetE0EEEvT1_ ; -- Begin function _ZN7rocprim17ROCPRIM_400000_NS6detail17trampoline_kernelINS0_14default_configENS1_29reduce_by_key_config_selectorIjxN6thrust23THRUST_200600_302600_NS4plusIxEEEEZZNS1_33reduce_by_key_impl_wrapped_configILNS1_25lookback_scan_determinismE0ES3_S9_NS6_6detail15normal_iteratorINS6_10device_ptrIjEEEENSD_INSE_IxEEEENS6_16discard_iteratorINS6_11use_defaultEEESI_PmS8_NS6_8equal_toIjEEEE10hipError_tPvRmT2_T3_mT4_T5_T6_T7_T8_P12ihipStream_tbENKUlT_T0_E_clISt17integral_constantIbLb0EES15_IbLb1EEEEDaS11_S12_EUlS11_E_NS1_11comp_targetILNS1_3genE10ELNS1_11target_archE1200ELNS1_3gpuE4ELNS1_3repE0EEENS1_30default_config_static_selectorELNS0_4arch9wavefront6targetE0EEEvT1_
	.globl	_ZN7rocprim17ROCPRIM_400000_NS6detail17trampoline_kernelINS0_14default_configENS1_29reduce_by_key_config_selectorIjxN6thrust23THRUST_200600_302600_NS4plusIxEEEEZZNS1_33reduce_by_key_impl_wrapped_configILNS1_25lookback_scan_determinismE0ES3_S9_NS6_6detail15normal_iteratorINS6_10device_ptrIjEEEENSD_INSE_IxEEEENS6_16discard_iteratorINS6_11use_defaultEEESI_PmS8_NS6_8equal_toIjEEEE10hipError_tPvRmT2_T3_mT4_T5_T6_T7_T8_P12ihipStream_tbENKUlT_T0_E_clISt17integral_constantIbLb0EES15_IbLb1EEEEDaS11_S12_EUlS11_E_NS1_11comp_targetILNS1_3genE10ELNS1_11target_archE1200ELNS1_3gpuE4ELNS1_3repE0EEENS1_30default_config_static_selectorELNS0_4arch9wavefront6targetE0EEEvT1_
	.p2align	8
	.type	_ZN7rocprim17ROCPRIM_400000_NS6detail17trampoline_kernelINS0_14default_configENS1_29reduce_by_key_config_selectorIjxN6thrust23THRUST_200600_302600_NS4plusIxEEEEZZNS1_33reduce_by_key_impl_wrapped_configILNS1_25lookback_scan_determinismE0ES3_S9_NS6_6detail15normal_iteratorINS6_10device_ptrIjEEEENSD_INSE_IxEEEENS6_16discard_iteratorINS6_11use_defaultEEESI_PmS8_NS6_8equal_toIjEEEE10hipError_tPvRmT2_T3_mT4_T5_T6_T7_T8_P12ihipStream_tbENKUlT_T0_E_clISt17integral_constantIbLb0EES15_IbLb1EEEEDaS11_S12_EUlS11_E_NS1_11comp_targetILNS1_3genE10ELNS1_11target_archE1200ELNS1_3gpuE4ELNS1_3repE0EEENS1_30default_config_static_selectorELNS0_4arch9wavefront6targetE0EEEvT1_,@function
_ZN7rocprim17ROCPRIM_400000_NS6detail17trampoline_kernelINS0_14default_configENS1_29reduce_by_key_config_selectorIjxN6thrust23THRUST_200600_302600_NS4plusIxEEEEZZNS1_33reduce_by_key_impl_wrapped_configILNS1_25lookback_scan_determinismE0ES3_S9_NS6_6detail15normal_iteratorINS6_10device_ptrIjEEEENSD_INSE_IxEEEENS6_16discard_iteratorINS6_11use_defaultEEESI_PmS8_NS6_8equal_toIjEEEE10hipError_tPvRmT2_T3_mT4_T5_T6_T7_T8_P12ihipStream_tbENKUlT_T0_E_clISt17integral_constantIbLb0EES15_IbLb1EEEEDaS11_S12_EUlS11_E_NS1_11comp_targetILNS1_3genE10ELNS1_11target_archE1200ELNS1_3gpuE4ELNS1_3repE0EEENS1_30default_config_static_selectorELNS0_4arch9wavefront6targetE0EEEvT1_: ; @_ZN7rocprim17ROCPRIM_400000_NS6detail17trampoline_kernelINS0_14default_configENS1_29reduce_by_key_config_selectorIjxN6thrust23THRUST_200600_302600_NS4plusIxEEEEZZNS1_33reduce_by_key_impl_wrapped_configILNS1_25lookback_scan_determinismE0ES3_S9_NS6_6detail15normal_iteratorINS6_10device_ptrIjEEEENSD_INSE_IxEEEENS6_16discard_iteratorINS6_11use_defaultEEESI_PmS8_NS6_8equal_toIjEEEE10hipError_tPvRmT2_T3_mT4_T5_T6_T7_T8_P12ihipStream_tbENKUlT_T0_E_clISt17integral_constantIbLb0EES15_IbLb1EEEEDaS11_S12_EUlS11_E_NS1_11comp_targetILNS1_3genE10ELNS1_11target_archE1200ELNS1_3gpuE4ELNS1_3repE0EEENS1_30default_config_static_selectorELNS0_4arch9wavefront6targetE0EEEvT1_
; %bb.0:
	.section	.rodata,"a",@progbits
	.p2align	6, 0x0
	.amdhsa_kernel _ZN7rocprim17ROCPRIM_400000_NS6detail17trampoline_kernelINS0_14default_configENS1_29reduce_by_key_config_selectorIjxN6thrust23THRUST_200600_302600_NS4plusIxEEEEZZNS1_33reduce_by_key_impl_wrapped_configILNS1_25lookback_scan_determinismE0ES3_S9_NS6_6detail15normal_iteratorINS6_10device_ptrIjEEEENSD_INSE_IxEEEENS6_16discard_iteratorINS6_11use_defaultEEESI_PmS8_NS6_8equal_toIjEEEE10hipError_tPvRmT2_T3_mT4_T5_T6_T7_T8_P12ihipStream_tbENKUlT_T0_E_clISt17integral_constantIbLb0EES15_IbLb1EEEEDaS11_S12_EUlS11_E_NS1_11comp_targetILNS1_3genE10ELNS1_11target_archE1200ELNS1_3gpuE4ELNS1_3repE0EEENS1_30default_config_static_selectorELNS0_4arch9wavefront6targetE0EEEvT1_
		.amdhsa_group_segment_fixed_size 0
		.amdhsa_private_segment_fixed_size 0
		.amdhsa_kernarg_size 144
		.amdhsa_user_sgpr_count 15
		.amdhsa_user_sgpr_dispatch_ptr 0
		.amdhsa_user_sgpr_queue_ptr 0
		.amdhsa_user_sgpr_kernarg_segment_ptr 1
		.amdhsa_user_sgpr_dispatch_id 0
		.amdhsa_user_sgpr_private_segment_size 0
		.amdhsa_wavefront_size32 1
		.amdhsa_uses_dynamic_stack 0
		.amdhsa_enable_private_segment 0
		.amdhsa_system_sgpr_workgroup_id_x 1
		.amdhsa_system_sgpr_workgroup_id_y 0
		.amdhsa_system_sgpr_workgroup_id_z 0
		.amdhsa_system_sgpr_workgroup_info 0
		.amdhsa_system_vgpr_workitem_id 0
		.amdhsa_next_free_vgpr 1
		.amdhsa_next_free_sgpr 1
		.amdhsa_reserve_vcc 0
		.amdhsa_float_round_mode_32 0
		.amdhsa_float_round_mode_16_64 0
		.amdhsa_float_denorm_mode_32 3
		.amdhsa_float_denorm_mode_16_64 3
		.amdhsa_dx10_clamp 1
		.amdhsa_ieee_mode 1
		.amdhsa_fp16_overflow 0
		.amdhsa_workgroup_processor_mode 1
		.amdhsa_memory_ordered 1
		.amdhsa_forward_progress 0
		.amdhsa_shared_vgpr_count 0
		.amdhsa_exception_fp_ieee_invalid_op 0
		.amdhsa_exception_fp_denorm_src 0
		.amdhsa_exception_fp_ieee_div_zero 0
		.amdhsa_exception_fp_ieee_overflow 0
		.amdhsa_exception_fp_ieee_underflow 0
		.amdhsa_exception_fp_ieee_inexact 0
		.amdhsa_exception_int_div_zero 0
	.end_amdhsa_kernel
	.section	.text._ZN7rocprim17ROCPRIM_400000_NS6detail17trampoline_kernelINS0_14default_configENS1_29reduce_by_key_config_selectorIjxN6thrust23THRUST_200600_302600_NS4plusIxEEEEZZNS1_33reduce_by_key_impl_wrapped_configILNS1_25lookback_scan_determinismE0ES3_S9_NS6_6detail15normal_iteratorINS6_10device_ptrIjEEEENSD_INSE_IxEEEENS6_16discard_iteratorINS6_11use_defaultEEESI_PmS8_NS6_8equal_toIjEEEE10hipError_tPvRmT2_T3_mT4_T5_T6_T7_T8_P12ihipStream_tbENKUlT_T0_E_clISt17integral_constantIbLb0EES15_IbLb1EEEEDaS11_S12_EUlS11_E_NS1_11comp_targetILNS1_3genE10ELNS1_11target_archE1200ELNS1_3gpuE4ELNS1_3repE0EEENS1_30default_config_static_selectorELNS0_4arch9wavefront6targetE0EEEvT1_,"axG",@progbits,_ZN7rocprim17ROCPRIM_400000_NS6detail17trampoline_kernelINS0_14default_configENS1_29reduce_by_key_config_selectorIjxN6thrust23THRUST_200600_302600_NS4plusIxEEEEZZNS1_33reduce_by_key_impl_wrapped_configILNS1_25lookback_scan_determinismE0ES3_S9_NS6_6detail15normal_iteratorINS6_10device_ptrIjEEEENSD_INSE_IxEEEENS6_16discard_iteratorINS6_11use_defaultEEESI_PmS8_NS6_8equal_toIjEEEE10hipError_tPvRmT2_T3_mT4_T5_T6_T7_T8_P12ihipStream_tbENKUlT_T0_E_clISt17integral_constantIbLb0EES15_IbLb1EEEEDaS11_S12_EUlS11_E_NS1_11comp_targetILNS1_3genE10ELNS1_11target_archE1200ELNS1_3gpuE4ELNS1_3repE0EEENS1_30default_config_static_selectorELNS0_4arch9wavefront6targetE0EEEvT1_,comdat
.Lfunc_end1018:
	.size	_ZN7rocprim17ROCPRIM_400000_NS6detail17trampoline_kernelINS0_14default_configENS1_29reduce_by_key_config_selectorIjxN6thrust23THRUST_200600_302600_NS4plusIxEEEEZZNS1_33reduce_by_key_impl_wrapped_configILNS1_25lookback_scan_determinismE0ES3_S9_NS6_6detail15normal_iteratorINS6_10device_ptrIjEEEENSD_INSE_IxEEEENS6_16discard_iteratorINS6_11use_defaultEEESI_PmS8_NS6_8equal_toIjEEEE10hipError_tPvRmT2_T3_mT4_T5_T6_T7_T8_P12ihipStream_tbENKUlT_T0_E_clISt17integral_constantIbLb0EES15_IbLb1EEEEDaS11_S12_EUlS11_E_NS1_11comp_targetILNS1_3genE10ELNS1_11target_archE1200ELNS1_3gpuE4ELNS1_3repE0EEENS1_30default_config_static_selectorELNS0_4arch9wavefront6targetE0EEEvT1_, .Lfunc_end1018-_ZN7rocprim17ROCPRIM_400000_NS6detail17trampoline_kernelINS0_14default_configENS1_29reduce_by_key_config_selectorIjxN6thrust23THRUST_200600_302600_NS4plusIxEEEEZZNS1_33reduce_by_key_impl_wrapped_configILNS1_25lookback_scan_determinismE0ES3_S9_NS6_6detail15normal_iteratorINS6_10device_ptrIjEEEENSD_INSE_IxEEEENS6_16discard_iteratorINS6_11use_defaultEEESI_PmS8_NS6_8equal_toIjEEEE10hipError_tPvRmT2_T3_mT4_T5_T6_T7_T8_P12ihipStream_tbENKUlT_T0_E_clISt17integral_constantIbLb0EES15_IbLb1EEEEDaS11_S12_EUlS11_E_NS1_11comp_targetILNS1_3genE10ELNS1_11target_archE1200ELNS1_3gpuE4ELNS1_3repE0EEENS1_30default_config_static_selectorELNS0_4arch9wavefront6targetE0EEEvT1_
                                        ; -- End function
	.section	.AMDGPU.csdata,"",@progbits
; Kernel info:
; codeLenInByte = 0
; NumSgprs: 0
; NumVgprs: 0
; ScratchSize: 0
; MemoryBound: 0
; FloatMode: 240
; IeeeMode: 1
; LDSByteSize: 0 bytes/workgroup (compile time only)
; SGPRBlocks: 0
; VGPRBlocks: 0
; NumSGPRsForWavesPerEU: 1
; NumVGPRsForWavesPerEU: 1
; Occupancy: 16
; WaveLimiterHint : 0
; COMPUTE_PGM_RSRC2:SCRATCH_EN: 0
; COMPUTE_PGM_RSRC2:USER_SGPR: 15
; COMPUTE_PGM_RSRC2:TRAP_HANDLER: 0
; COMPUTE_PGM_RSRC2:TGID_X_EN: 1
; COMPUTE_PGM_RSRC2:TGID_Y_EN: 0
; COMPUTE_PGM_RSRC2:TGID_Z_EN: 0
; COMPUTE_PGM_RSRC2:TIDIG_COMP_CNT: 0
	.section	.text._ZN7rocprim17ROCPRIM_400000_NS6detail17trampoline_kernelINS0_14default_configENS1_29reduce_by_key_config_selectorIjxN6thrust23THRUST_200600_302600_NS4plusIxEEEEZZNS1_33reduce_by_key_impl_wrapped_configILNS1_25lookback_scan_determinismE0ES3_S9_NS6_6detail15normal_iteratorINS6_10device_ptrIjEEEENSD_INSE_IxEEEENS6_16discard_iteratorINS6_11use_defaultEEESI_PmS8_NS6_8equal_toIjEEEE10hipError_tPvRmT2_T3_mT4_T5_T6_T7_T8_P12ihipStream_tbENKUlT_T0_E_clISt17integral_constantIbLb0EES15_IbLb1EEEEDaS11_S12_EUlS11_E_NS1_11comp_targetILNS1_3genE9ELNS1_11target_archE1100ELNS1_3gpuE3ELNS1_3repE0EEENS1_30default_config_static_selectorELNS0_4arch9wavefront6targetE0EEEvT1_,"axG",@progbits,_ZN7rocprim17ROCPRIM_400000_NS6detail17trampoline_kernelINS0_14default_configENS1_29reduce_by_key_config_selectorIjxN6thrust23THRUST_200600_302600_NS4plusIxEEEEZZNS1_33reduce_by_key_impl_wrapped_configILNS1_25lookback_scan_determinismE0ES3_S9_NS6_6detail15normal_iteratorINS6_10device_ptrIjEEEENSD_INSE_IxEEEENS6_16discard_iteratorINS6_11use_defaultEEESI_PmS8_NS6_8equal_toIjEEEE10hipError_tPvRmT2_T3_mT4_T5_T6_T7_T8_P12ihipStream_tbENKUlT_T0_E_clISt17integral_constantIbLb0EES15_IbLb1EEEEDaS11_S12_EUlS11_E_NS1_11comp_targetILNS1_3genE9ELNS1_11target_archE1100ELNS1_3gpuE3ELNS1_3repE0EEENS1_30default_config_static_selectorELNS0_4arch9wavefront6targetE0EEEvT1_,comdat
	.protected	_ZN7rocprim17ROCPRIM_400000_NS6detail17trampoline_kernelINS0_14default_configENS1_29reduce_by_key_config_selectorIjxN6thrust23THRUST_200600_302600_NS4plusIxEEEEZZNS1_33reduce_by_key_impl_wrapped_configILNS1_25lookback_scan_determinismE0ES3_S9_NS6_6detail15normal_iteratorINS6_10device_ptrIjEEEENSD_INSE_IxEEEENS6_16discard_iteratorINS6_11use_defaultEEESI_PmS8_NS6_8equal_toIjEEEE10hipError_tPvRmT2_T3_mT4_T5_T6_T7_T8_P12ihipStream_tbENKUlT_T0_E_clISt17integral_constantIbLb0EES15_IbLb1EEEEDaS11_S12_EUlS11_E_NS1_11comp_targetILNS1_3genE9ELNS1_11target_archE1100ELNS1_3gpuE3ELNS1_3repE0EEENS1_30default_config_static_selectorELNS0_4arch9wavefront6targetE0EEEvT1_ ; -- Begin function _ZN7rocprim17ROCPRIM_400000_NS6detail17trampoline_kernelINS0_14default_configENS1_29reduce_by_key_config_selectorIjxN6thrust23THRUST_200600_302600_NS4plusIxEEEEZZNS1_33reduce_by_key_impl_wrapped_configILNS1_25lookback_scan_determinismE0ES3_S9_NS6_6detail15normal_iteratorINS6_10device_ptrIjEEEENSD_INSE_IxEEEENS6_16discard_iteratorINS6_11use_defaultEEESI_PmS8_NS6_8equal_toIjEEEE10hipError_tPvRmT2_T3_mT4_T5_T6_T7_T8_P12ihipStream_tbENKUlT_T0_E_clISt17integral_constantIbLb0EES15_IbLb1EEEEDaS11_S12_EUlS11_E_NS1_11comp_targetILNS1_3genE9ELNS1_11target_archE1100ELNS1_3gpuE3ELNS1_3repE0EEENS1_30default_config_static_selectorELNS0_4arch9wavefront6targetE0EEEvT1_
	.globl	_ZN7rocprim17ROCPRIM_400000_NS6detail17trampoline_kernelINS0_14default_configENS1_29reduce_by_key_config_selectorIjxN6thrust23THRUST_200600_302600_NS4plusIxEEEEZZNS1_33reduce_by_key_impl_wrapped_configILNS1_25lookback_scan_determinismE0ES3_S9_NS6_6detail15normal_iteratorINS6_10device_ptrIjEEEENSD_INSE_IxEEEENS6_16discard_iteratorINS6_11use_defaultEEESI_PmS8_NS6_8equal_toIjEEEE10hipError_tPvRmT2_T3_mT4_T5_T6_T7_T8_P12ihipStream_tbENKUlT_T0_E_clISt17integral_constantIbLb0EES15_IbLb1EEEEDaS11_S12_EUlS11_E_NS1_11comp_targetILNS1_3genE9ELNS1_11target_archE1100ELNS1_3gpuE3ELNS1_3repE0EEENS1_30default_config_static_selectorELNS0_4arch9wavefront6targetE0EEEvT1_
	.p2align	8
	.type	_ZN7rocprim17ROCPRIM_400000_NS6detail17trampoline_kernelINS0_14default_configENS1_29reduce_by_key_config_selectorIjxN6thrust23THRUST_200600_302600_NS4plusIxEEEEZZNS1_33reduce_by_key_impl_wrapped_configILNS1_25lookback_scan_determinismE0ES3_S9_NS6_6detail15normal_iteratorINS6_10device_ptrIjEEEENSD_INSE_IxEEEENS6_16discard_iteratorINS6_11use_defaultEEESI_PmS8_NS6_8equal_toIjEEEE10hipError_tPvRmT2_T3_mT4_T5_T6_T7_T8_P12ihipStream_tbENKUlT_T0_E_clISt17integral_constantIbLb0EES15_IbLb1EEEEDaS11_S12_EUlS11_E_NS1_11comp_targetILNS1_3genE9ELNS1_11target_archE1100ELNS1_3gpuE3ELNS1_3repE0EEENS1_30default_config_static_selectorELNS0_4arch9wavefront6targetE0EEEvT1_,@function
_ZN7rocprim17ROCPRIM_400000_NS6detail17trampoline_kernelINS0_14default_configENS1_29reduce_by_key_config_selectorIjxN6thrust23THRUST_200600_302600_NS4plusIxEEEEZZNS1_33reduce_by_key_impl_wrapped_configILNS1_25lookback_scan_determinismE0ES3_S9_NS6_6detail15normal_iteratorINS6_10device_ptrIjEEEENSD_INSE_IxEEEENS6_16discard_iteratorINS6_11use_defaultEEESI_PmS8_NS6_8equal_toIjEEEE10hipError_tPvRmT2_T3_mT4_T5_T6_T7_T8_P12ihipStream_tbENKUlT_T0_E_clISt17integral_constantIbLb0EES15_IbLb1EEEEDaS11_S12_EUlS11_E_NS1_11comp_targetILNS1_3genE9ELNS1_11target_archE1100ELNS1_3gpuE3ELNS1_3repE0EEENS1_30default_config_static_selectorELNS0_4arch9wavefront6targetE0EEEvT1_: ; @_ZN7rocprim17ROCPRIM_400000_NS6detail17trampoline_kernelINS0_14default_configENS1_29reduce_by_key_config_selectorIjxN6thrust23THRUST_200600_302600_NS4plusIxEEEEZZNS1_33reduce_by_key_impl_wrapped_configILNS1_25lookback_scan_determinismE0ES3_S9_NS6_6detail15normal_iteratorINS6_10device_ptrIjEEEENSD_INSE_IxEEEENS6_16discard_iteratorINS6_11use_defaultEEESI_PmS8_NS6_8equal_toIjEEEE10hipError_tPvRmT2_T3_mT4_T5_T6_T7_T8_P12ihipStream_tbENKUlT_T0_E_clISt17integral_constantIbLb0EES15_IbLb1EEEEDaS11_S12_EUlS11_E_NS1_11comp_targetILNS1_3genE9ELNS1_11target_archE1100ELNS1_3gpuE3ELNS1_3repE0EEENS1_30default_config_static_selectorELNS0_4arch9wavefront6targetE0EEEvT1_
; %bb.0:
	s_clause 0x2
	s_load_b128 s[4:7], s[0:1], 0x0
	s_load_b64 s[8:9], s[0:1], 0x10
	s_load_b64 s[18:19], s[0:1], 0x80
	v_cmp_ne_u32_e64 s3, 0, v0
	v_cmp_eq_u32_e64 s2, 0, v0
	s_delay_alu instid0(VALU_DEP_1)
	s_and_saveexec_b32 s10, s2
	s_cbranch_execz .LBB1019_4
; %bb.1:
	s_mov_b32 s12, exec_lo
	s_mov_b32 s11, exec_lo
	v_mbcnt_lo_u32_b32 v1, s12, 0
                                        ; implicit-def: $vgpr2
	s_delay_alu instid0(VALU_DEP_1)
	v_cmpx_eq_u32_e32 0, v1
	s_cbranch_execz .LBB1019_3
; %bb.2:
	s_load_b64 s[14:15], s[0:1], 0x88
	s_bcnt1_i32_b32 s12, s12
	s_delay_alu instid0(SALU_CYCLE_1)
	v_dual_mov_b32 v2, 0 :: v_dual_mov_b32 v3, s12
	s_waitcnt lgkmcnt(0)
	global_atomic_add_u32 v2, v2, v3, s[14:15] glc
.LBB1019_3:
	s_or_b32 exec_lo, exec_lo, s11
	s_waitcnt vmcnt(0)
	v_readfirstlane_b32 s11, v2
	s_delay_alu instid0(VALU_DEP_1)
	v_dual_mov_b32 v2, 0 :: v_dual_add_nc_u32 v1, s11, v1
	ds_store_b32 v2, v1
.LBB1019_4:
	s_or_b32 exec_lo, exec_lo, s10
	v_mov_b32_e32 v2, 0
	s_clause 0x1
	s_load_b128 s[20:23], s[0:1], 0x28
	s_load_b512 s[36:51], s[0:1], 0x40
	s_waitcnt lgkmcnt(0)
	s_barrier
	buffer_gl0_inv
	ds_load_b32 v1, v2
	s_lshl_b64 s[0:1], s[6:7], 2
	v_lshlrev_b32_e32 v74, 2, v0
	s_add_u32 s14, s4, s0
	s_addc_u32 s1, s5, s1
	s_lshl_b64 s[4:5], s[6:7], 3
	v_mad_u32_u24 v47, v0, 15, 1
	s_add_u32 s6, s8, s4
	s_addc_u32 s7, s9, s5
	v_mad_u32_u24 v49, v0, 15, 2
	v_mad_u32_u24 v51, v0, 15, 3
	;; [unrolled: 1-line block ×7, first 2 shown]
	s_mul_i32 s10, s44, s43
	s_mul_hi_u32 s11, s44, s42
	s_mul_i32 s12, s45, s42
	s_add_i32 s4, s11, s10
	s_waitcnt lgkmcnt(0)
	v_readfirstlane_b32 s28, v1
	v_mul_lo_u32 v1, 0xf00, v1
	s_mul_i32 s13, s44, s42
	s_add_i32 s4, s4, s12
	v_mad_u32_u24 v63, v0, 15, 9
	s_add_u32 s24, s13, s28
	s_addc_u32 s25, s4, 0
	s_add_u32 s4, s46, -1
	s_addc_u32 s5, s47, -1
	v_lshlrev_b64 v[3:4], 2, v[1:2]
	v_lshlrev_b64 v[1:2], 3, v[1:2]
	s_cmp_eq_u64 s[24:25], s[4:5]
	v_mad_u32_u24 v65, v0, 15, 10
	v_mad_u32_u24 v67, v0, 15, 11
	;; [unrolled: 1-line block ×3, first 2 shown]
	v_add_co_u32 v48, vcc_lo, s14, v3
	v_add_co_ci_u32_e32 v46, vcc_lo, s1, v4, vcc_lo
	v_add_co_u32 v50, vcc_lo, s6, v1
	v_add_co_ci_u32_e32 v52, vcc_lo, s7, v2, vcc_lo
	v_mad_u32_u24 v71, v0, 15, 13
	v_mad_u32_u24 v45, v0, 15, 14
	s_cselect_b32 s17, -1, 0
	s_cmp_lg_u64 s[24:25], s[4:5]
	s_mov_b32 s0, 0
	s_cselect_b32 s29, -1, 0
	s_and_b32 vcc_lo, exec_lo, s17
	s_mul_i32 s26, s4, 0xfffff100
	s_barrier
	buffer_gl0_inv
	s_cbranch_vccnz .LBB1019_6
; %bb.5:
	v_add_co_u32 v1, vcc_lo, v48, v74
	v_add_co_ci_u32_e32 v2, vcc_lo, 0, v46, vcc_lo
	v_mad_u32_u24 v54, v0, 56, v74
	s_delay_alu instid0(VALU_DEP_3) | instskip(NEXT) | instid1(VALU_DEP_3)
	v_add_co_u32 v3, vcc_lo, 0x1000, v1
	v_add_co_ci_u32_e32 v4, vcc_lo, 0, v2, vcc_lo
	s_clause 0x7
	flat_load_b32 v5, v[1:2]
	flat_load_b32 v6, v[1:2] offset:1024
	flat_load_b32 v7, v[1:2] offset:2048
	;; [unrolled: 1-line block ×3, first 2 shown]
	flat_load_b32 v9, v[3:4]
	flat_load_b32 v10, v[3:4] offset:1024
	flat_load_b32 v11, v[3:4] offset:2048
	;; [unrolled: 1-line block ×3, first 2 shown]
	v_add_co_u32 v3, vcc_lo, 0x2000, v1
	v_add_co_ci_u32_e32 v4, vcc_lo, 0, v2, vcc_lo
	v_add_co_u32 v1, vcc_lo, 0x3000, v1
	v_add_co_ci_u32_e32 v2, vcc_lo, 0, v2, vcc_lo
	s_clause 0x6
	flat_load_b32 v13, v[3:4]
	flat_load_b32 v14, v[3:4] offset:1024
	flat_load_b32 v31, v[3:4] offset:2048
	;; [unrolled: 1-line block ×3, first 2 shown]
	flat_load_b32 v4, v[1:2]
	flat_load_b32 v32, v[1:2] offset:1024
	flat_load_b32 v1, v[1:2] offset:2048
	v_lshlrev_b32_e32 v2, 3, v0
	v_mul_u32_u24_e32 v58, 15, v0
	s_waitcnt vmcnt(13) lgkmcnt(13)
	ds_store_2addr_stride64_b32 v74, v5, v6 offset1:4
	s_waitcnt vmcnt(11) lgkmcnt(12)
	ds_store_2addr_stride64_b32 v74, v7, v8 offset0:8 offset1:12
	s_waitcnt vmcnt(9) lgkmcnt(11)
	ds_store_2addr_stride64_b32 v74, v9, v10 offset0:16 offset1:20
	;; [unrolled: 2-line block ×6, first 2 shown]
	s_waitcnt vmcnt(0) lgkmcnt(7)
	ds_store_b32 v74, v1 offset:14336
	v_add_co_u32 v15, vcc_lo, v50, v2
	v_add_co_ci_u32_e32 v16, vcc_lo, 0, v52, vcc_lo
	s_waitcnt lgkmcnt(0)
	s_delay_alu instid0(VALU_DEP_2) | instskip(NEXT) | instid1(VALU_DEP_2)
	v_add_co_u32 v17, vcc_lo, 0x1000, v15
	v_add_co_ci_u32_e32 v18, vcc_lo, 0, v16, vcc_lo
	v_add_co_u32 v19, vcc_lo, 0x2000, v15
	v_add_co_ci_u32_e32 v20, vcc_lo, 0, v16, vcc_lo
	;; [unrolled: 2-line block ×7, first 2 shown]
	s_barrier
	buffer_gl0_inv
	ds_load_2addr_b32 v[13:14], v54 offset1:1
	ds_load_2addr_b32 v[11:12], v54 offset0:2 offset1:3
	ds_load_2addr_b32 v[9:10], v54 offset0:4 offset1:5
	;; [unrolled: 1-line block ×6, first 2 shown]
	ds_load_b32 v81, v54 offset:56
	s_waitcnt lgkmcnt(0)
	s_barrier
	buffer_gl0_inv
	s_clause 0xe
	flat_load_b64 v[31:32], v[15:16]
	flat_load_b64 v[15:16], v[15:16] offset:2048
	flat_load_b64 v[33:34], v[17:18]
	flat_load_b64 v[17:18], v[17:18] offset:2048
	;; [unrolled: 2-line block ×7, first 2 shown]
	flat_load_b64 v[29:30], v[29:30]
	v_mad_i32_i24 v54, 0xffffffcc, v0, v54
	s_waitcnt vmcnt(13) lgkmcnt(13)
	ds_store_2addr_stride64_b64 v54, v[31:32], v[15:16] offset1:4
	s_waitcnt vmcnt(11) lgkmcnt(12)
	ds_store_2addr_stride64_b64 v54, v[33:34], v[17:18] offset0:8 offset1:12
	s_waitcnt vmcnt(9) lgkmcnt(11)
	ds_store_2addr_stride64_b64 v54, v[35:36], v[19:20] offset0:16 offset1:20
	;; [unrolled: 2-line block ×6, first 2 shown]
	s_waitcnt vmcnt(0) lgkmcnt(7)
	ds_store_b64 v54, v[29:30] offset:28672
	s_waitcnt lgkmcnt(0)
	s_barrier
	s_branch .LBB1019_7
.LBB1019_6:
	s_mov_b32 s0, -1
                                        ; implicit-def: $vgpr58
                                        ; implicit-def: $vgpr13
                                        ; implicit-def: $vgpr11
                                        ; implicit-def: $vgpr9
                                        ; implicit-def: $vgpr7
                                        ; implicit-def: $vgpr5
                                        ; implicit-def: $vgpr3
                                        ; implicit-def: $vgpr1
                                        ; implicit-def: $vgpr81
.LBB1019_7:
	v_dual_mov_b32 v54, v45 :: v_dual_mov_b32 v73, v55
	v_dual_mov_b32 v60, v71 :: v_dual_mov_b32 v75, v53
	v_mov_b32_e32 v66, v69
	v_dual_mov_b32 v68, v67 :: v_dual_mov_b32 v77, v49
	v_mov_b32_e32 v56, v65
	v_mov_b32_e32 v62, v63
	;; [unrolled: 1-line block ×7, first 2 shown]
	s_and_not1_b32 vcc_lo, exec_lo, s0
	s_add_i32 s26, s26, s48
	s_cbranch_vccnz .LBB1019_69
; %bb.8:
	v_cmp_gt_u32_e32 vcc_lo, s26, v0
                                        ; implicit-def: $vgpr1
	s_and_saveexec_b32 s1, vcc_lo
	s_cbranch_execz .LBB1019_10
; %bb.9:
	v_add_co_u32 v1, s0, v48, v74
	s_delay_alu instid0(VALU_DEP_1)
	v_add_co_ci_u32_e64 v2, s0, 0, v46, s0
	flat_load_b32 v1, v[1:2]
.LBB1019_10:
	s_or_b32 exec_lo, exec_lo, s1
	v_or_b32_e32 v2, 0x100, v0
	s_delay_alu instid0(VALU_DEP_1) | instskip(NEXT) | instid1(VALU_DEP_1)
	v_cmp_gt_u32_e64 s0, s26, v2
                                        ; implicit-def: $vgpr2
	s_and_saveexec_b32 s4, s0
	s_cbranch_execz .LBB1019_12
; %bb.11:
	v_add_co_u32 v2, s1, v48, v74
	s_delay_alu instid0(VALU_DEP_1)
	v_add_co_ci_u32_e64 v3, s1, 0, v46, s1
	flat_load_b32 v2, v[2:3] offset:1024
.LBB1019_12:
	s_or_b32 exec_lo, exec_lo, s4
	v_or_b32_e32 v21, 0x200, v0
                                        ; implicit-def: $vgpr3
	s_delay_alu instid0(VALU_DEP_1) | instskip(NEXT) | instid1(VALU_DEP_1)
	v_cmp_gt_u32_e64 s1, s26, v21
	s_and_saveexec_b32 s5, s1
	s_cbranch_execz .LBB1019_14
; %bb.13:
	v_add_co_u32 v3, s4, v48, v74
	s_delay_alu instid0(VALU_DEP_1)
	v_add_co_ci_u32_e64 v4, s4, 0, v46, s4
	flat_load_b32 v3, v[3:4] offset:2048
.LBB1019_14:
	s_or_b32 exec_lo, exec_lo, s5
	v_or_b32_e32 v23, 0x300, v0
                                        ; implicit-def: $vgpr4
	s_delay_alu instid0(VALU_DEP_1) | instskip(NEXT) | instid1(VALU_DEP_1)
	v_cmp_gt_u32_e64 s4, s26, v23
	s_and_saveexec_b32 s6, s4
	s_cbranch_execz .LBB1019_16
; %bb.15:
	v_add_co_u32 v4, s5, v48, v74
	s_delay_alu instid0(VALU_DEP_1)
	v_add_co_ci_u32_e64 v5, s5, 0, v46, s5
	flat_load_b32 v4, v[4:5] offset:3072
.LBB1019_16:
	s_or_b32 exec_lo, exec_lo, s6
	v_or_b32_e32 v25, 0x400, v0
                                        ; implicit-def: $vgpr5
	s_delay_alu instid0(VALU_DEP_1) | instskip(NEXT) | instid1(VALU_DEP_1)
	v_cmp_gt_u32_e64 s5, s26, v25
	s_and_saveexec_b32 s7, s5
	s_cbranch_execz .LBB1019_18
; %bb.17:
	v_lshlrev_b32_e32 v5, 2, v25
	s_delay_alu instid0(VALU_DEP_1) | instskip(NEXT) | instid1(VALU_DEP_1)
	v_add_co_u32 v5, s6, v48, v5
	v_add_co_ci_u32_e64 v6, s6, 0, v46, s6
	flat_load_b32 v5, v[5:6]
.LBB1019_18:
	s_or_b32 exec_lo, exec_lo, s7
	v_or_b32_e32 v27, 0x500, v0
                                        ; implicit-def: $vgpr6
	s_delay_alu instid0(VALU_DEP_1) | instskip(NEXT) | instid1(VALU_DEP_1)
	v_cmp_gt_u32_e64 s6, s26, v27
	s_and_saveexec_b32 s8, s6
	s_cbranch_execz .LBB1019_20
; %bb.19:
	v_lshlrev_b32_e32 v6, 2, v27
	s_delay_alu instid0(VALU_DEP_1) | instskip(NEXT) | instid1(VALU_DEP_1)
	v_add_co_u32 v6, s7, v48, v6
	v_add_co_ci_u32_e64 v7, s7, 0, v46, s7
	flat_load_b32 v6, v[6:7]
.LBB1019_20:
	s_or_b32 exec_lo, exec_lo, s8
	v_or_b32_e32 v29, 0x600, v0
                                        ; implicit-def: $vgpr7
	s_delay_alu instid0(VALU_DEP_1) | instskip(NEXT) | instid1(VALU_DEP_1)
	v_cmp_gt_u32_e64 s7, s26, v29
	s_and_saveexec_b32 s9, s7
	s_cbranch_execz .LBB1019_22
; %bb.21:
	v_lshlrev_b32_e32 v7, 2, v29
	s_delay_alu instid0(VALU_DEP_1) | instskip(NEXT) | instid1(VALU_DEP_1)
	v_add_co_u32 v7, s8, v48, v7
	v_add_co_ci_u32_e64 v8, s8, 0, v46, s8
	flat_load_b32 v7, v[7:8]
.LBB1019_22:
	s_or_b32 exec_lo, exec_lo, s9
	v_or_b32_e32 v31, 0x700, v0
                                        ; implicit-def: $vgpr8
	s_delay_alu instid0(VALU_DEP_1) | instskip(NEXT) | instid1(VALU_DEP_1)
	v_cmp_gt_u32_e64 s8, s26, v31
	s_and_saveexec_b32 s10, s8
	s_cbranch_execz .LBB1019_24
; %bb.23:
	v_lshlrev_b32_e32 v8, 2, v31
	s_delay_alu instid0(VALU_DEP_1) | instskip(NEXT) | instid1(VALU_DEP_1)
	v_add_co_u32 v8, s9, v48, v8
	v_add_co_ci_u32_e64 v9, s9, 0, v46, s9
	flat_load_b32 v8, v[8:9]
.LBB1019_24:
	s_or_b32 exec_lo, exec_lo, s10
	v_or_b32_e32 v33, 0x800, v0
                                        ; implicit-def: $vgpr9
	s_delay_alu instid0(VALU_DEP_1) | instskip(NEXT) | instid1(VALU_DEP_1)
	v_cmp_gt_u32_e64 s9, s26, v33
	s_and_saveexec_b32 s11, s9
	s_cbranch_execz .LBB1019_26
; %bb.25:
	v_lshlrev_b32_e32 v9, 2, v33
	s_delay_alu instid0(VALU_DEP_1) | instskip(NEXT) | instid1(VALU_DEP_1)
	v_add_co_u32 v9, s10, v48, v9
	v_add_co_ci_u32_e64 v10, s10, 0, v46, s10
	flat_load_b32 v9, v[9:10]
.LBB1019_26:
	s_or_b32 exec_lo, exec_lo, s11
	v_or_b32_e32 v35, 0x900, v0
                                        ; implicit-def: $vgpr10
	s_delay_alu instid0(VALU_DEP_1) | instskip(NEXT) | instid1(VALU_DEP_1)
	v_cmp_gt_u32_e64 s10, s26, v35
	s_and_saveexec_b32 s12, s10
	s_cbranch_execz .LBB1019_28
; %bb.27:
	v_lshlrev_b32_e32 v10, 2, v35
	s_delay_alu instid0(VALU_DEP_1) | instskip(NEXT) | instid1(VALU_DEP_1)
	v_add_co_u32 v10, s11, v48, v10
	v_add_co_ci_u32_e64 v11, s11, 0, v46, s11
	flat_load_b32 v10, v[10:11]
.LBB1019_28:
	s_or_b32 exec_lo, exec_lo, s12
	v_or_b32_e32 v37, 0xa00, v0
                                        ; implicit-def: $vgpr11
	s_delay_alu instid0(VALU_DEP_1) | instskip(NEXT) | instid1(VALU_DEP_1)
	v_cmp_gt_u32_e64 s11, s26, v37
	s_and_saveexec_b32 s13, s11
	s_cbranch_execz .LBB1019_30
; %bb.29:
	v_lshlrev_b32_e32 v11, 2, v37
	s_delay_alu instid0(VALU_DEP_1) | instskip(NEXT) | instid1(VALU_DEP_1)
	v_add_co_u32 v11, s12, v48, v11
	v_add_co_ci_u32_e64 v12, s12, 0, v46, s12
	flat_load_b32 v11, v[11:12]
.LBB1019_30:
	s_or_b32 exec_lo, exec_lo, s13
	v_or_b32_e32 v39, 0xb00, v0
                                        ; implicit-def: $vgpr12
	s_delay_alu instid0(VALU_DEP_1) | instskip(NEXT) | instid1(VALU_DEP_1)
	v_cmp_gt_u32_e64 s12, s26, v39
	s_and_saveexec_b32 s14, s12
	s_cbranch_execz .LBB1019_32
; %bb.31:
	v_lshlrev_b32_e32 v12, 2, v39
	s_delay_alu instid0(VALU_DEP_1) | instskip(NEXT) | instid1(VALU_DEP_1)
	v_add_co_u32 v12, s13, v48, v12
	v_add_co_ci_u32_e64 v13, s13, 0, v46, s13
	flat_load_b32 v12, v[12:13]
.LBB1019_32:
	s_or_b32 exec_lo, exec_lo, s14
	v_or_b32_e32 v41, 0xc00, v0
                                        ; implicit-def: $vgpr13
	s_delay_alu instid0(VALU_DEP_1) | instskip(NEXT) | instid1(VALU_DEP_1)
	v_cmp_gt_u32_e64 s13, s26, v41
	s_and_saveexec_b32 s15, s13
	s_cbranch_execz .LBB1019_34
; %bb.33:
	v_lshlrev_b32_e32 v13, 2, v41
	s_delay_alu instid0(VALU_DEP_1) | instskip(NEXT) | instid1(VALU_DEP_1)
	v_add_co_u32 v13, s14, v48, v13
	v_add_co_ci_u32_e64 v14, s14, 0, v46, s14
	flat_load_b32 v13, v[13:14]
.LBB1019_34:
	s_or_b32 exec_lo, exec_lo, s15
	v_or_b32_e32 v43, 0xd00, v0
                                        ; implicit-def: $vgpr14
	s_delay_alu instid0(VALU_DEP_1) | instskip(NEXT) | instid1(VALU_DEP_1)
	v_cmp_gt_u32_e64 s14, s26, v43
	s_and_saveexec_b32 s16, s14
	s_cbranch_execz .LBB1019_36
; %bb.35:
	v_lshlrev_b32_e32 v14, 2, v43
	s_delay_alu instid0(VALU_DEP_1) | instskip(NEXT) | instid1(VALU_DEP_1)
	v_add_co_u32 v14, s15, v48, v14
	v_add_co_ci_u32_e64 v15, s15, 0, v46, s15
	flat_load_b32 v14, v[14:15]
.LBB1019_36:
	s_or_b32 exec_lo, exec_lo, s16
	v_or_b32_e32 v56, 0xe00, v0
                                        ; implicit-def: $vgpr15
	s_delay_alu instid0(VALU_DEP_1) | instskip(NEXT) | instid1(VALU_DEP_1)
	v_cmp_gt_u32_e64 s15, s26, v56
	s_and_saveexec_b32 s27, s15
	s_cbranch_execz .LBB1019_38
; %bb.37:
	v_lshlrev_b32_e32 v15, 2, v56
	s_delay_alu instid0(VALU_DEP_1) | instskip(NEXT) | instid1(VALU_DEP_1)
	v_add_co_u32 v15, s16, v48, v15
	v_add_co_ci_u32_e64 v16, s16, 0, v46, s16
	flat_load_b32 v15, v[15:16]
.LBB1019_38:
	s_or_b32 exec_lo, exec_lo, s27
	v_mad_u32_u24 v54, v0, 56, v74
	s_waitcnt vmcnt(0) lgkmcnt(0)
	ds_store_2addr_stride64_b32 v74, v1, v2 offset1:4
	ds_store_2addr_stride64_b32 v74, v3, v4 offset0:8 offset1:12
	ds_store_2addr_stride64_b32 v74, v5, v6 offset0:16 offset1:20
	;; [unrolled: 1-line block ×6, first 2 shown]
	ds_store_b32 v74, v15 offset:14336
	s_waitcnt lgkmcnt(0)
	s_barrier
	buffer_gl0_inv
	ds_load_2addr_b32 v[13:14], v54 offset1:1
	ds_load_2addr_b32 v[11:12], v54 offset0:2 offset1:3
	ds_load_2addr_b32 v[9:10], v54 offset0:4 offset1:5
	;; [unrolled: 1-line block ×6, first 2 shown]
	ds_load_b32 v81, v54 offset:56
	s_waitcnt lgkmcnt(0)
	s_barrier
	buffer_gl0_inv
                                        ; implicit-def: $vgpr15_vgpr16
	s_and_saveexec_b32 s16, vcc_lo
	s_cbranch_execz .LBB1019_52
; %bb.39:
	v_lshlrev_b32_e32 v15, 3, v0
	s_delay_alu instid0(VALU_DEP_1)
	v_add_co_u32 v15, vcc_lo, v50, v15
	v_add_co_ci_u32_e32 v16, vcc_lo, 0, v52, vcc_lo
	flat_load_b64 v[15:16], v[15:16]
	s_or_b32 exec_lo, exec_lo, s16
                                        ; implicit-def: $vgpr17_vgpr18
	s_and_saveexec_b32 s16, s0
	s_cbranch_execnz .LBB1019_53
.LBB1019_40:
	s_or_b32 exec_lo, exec_lo, s16
                                        ; implicit-def: $vgpr19_vgpr20
	s_and_saveexec_b32 s0, s1
	s_cbranch_execz .LBB1019_54
.LBB1019_41:
	v_lshlrev_b32_e32 v19, 3, v21
	s_delay_alu instid0(VALU_DEP_1)
	v_add_co_u32 v19, vcc_lo, v50, v19
	v_add_co_ci_u32_e32 v20, vcc_lo, 0, v52, vcc_lo
	flat_load_b64 v[19:20], v[19:20]
	s_or_b32 exec_lo, exec_lo, s0
                                        ; implicit-def: $vgpr21_vgpr22
	s_and_saveexec_b32 s0, s4
	s_cbranch_execnz .LBB1019_55
.LBB1019_42:
	s_or_b32 exec_lo, exec_lo, s0
                                        ; implicit-def: $vgpr23_vgpr24
	s_and_saveexec_b32 s0, s5
	s_cbranch_execz .LBB1019_56
.LBB1019_43:
	v_lshlrev_b32_e32 v23, 3, v25
	s_delay_alu instid0(VALU_DEP_1)
	v_add_co_u32 v23, vcc_lo, v50, v23
	v_add_co_ci_u32_e32 v24, vcc_lo, 0, v52, vcc_lo
	flat_load_b64 v[23:24], v[23:24]
	s_or_b32 exec_lo, exec_lo, s0
                                        ; implicit-def: $vgpr25_vgpr26
	s_and_saveexec_b32 s0, s6
	s_cbranch_execnz .LBB1019_57
.LBB1019_44:
	s_or_b32 exec_lo, exec_lo, s0
                                        ; implicit-def: $vgpr27_vgpr28
	s_and_saveexec_b32 s0, s7
	s_cbranch_execz .LBB1019_58
.LBB1019_45:
	v_lshlrev_b32_e32 v27, 3, v29
	s_delay_alu instid0(VALU_DEP_1)
	v_add_co_u32 v27, vcc_lo, v50, v27
	v_add_co_ci_u32_e32 v28, vcc_lo, 0, v52, vcc_lo
	flat_load_b64 v[27:28], v[27:28]
	s_or_b32 exec_lo, exec_lo, s0
                                        ; implicit-def: $vgpr29_vgpr30
	s_and_saveexec_b32 s0, s8
	s_cbranch_execnz .LBB1019_59
.LBB1019_46:
	s_or_b32 exec_lo, exec_lo, s0
                                        ; implicit-def: $vgpr31_vgpr32
	s_and_saveexec_b32 s0, s9
	s_cbranch_execz .LBB1019_60
.LBB1019_47:
	v_lshlrev_b32_e32 v31, 3, v33
	s_delay_alu instid0(VALU_DEP_1)
	v_add_co_u32 v31, vcc_lo, v50, v31
	v_add_co_ci_u32_e32 v32, vcc_lo, 0, v52, vcc_lo
	flat_load_b64 v[31:32], v[31:32]
	s_or_b32 exec_lo, exec_lo, s0
                                        ; implicit-def: $vgpr33_vgpr34
	s_and_saveexec_b32 s0, s10
	s_cbranch_execnz .LBB1019_61
.LBB1019_48:
	s_or_b32 exec_lo, exec_lo, s0
                                        ; implicit-def: $vgpr35_vgpr36
	s_and_saveexec_b32 s0, s11
	s_cbranch_execz .LBB1019_62
.LBB1019_49:
	v_lshlrev_b32_e32 v35, 3, v37
	s_delay_alu instid0(VALU_DEP_1)
	v_add_co_u32 v35, vcc_lo, v50, v35
	v_add_co_ci_u32_e32 v36, vcc_lo, 0, v52, vcc_lo
	flat_load_b64 v[35:36], v[35:36]
	s_or_b32 exec_lo, exec_lo, s0
                                        ; implicit-def: $vgpr37_vgpr38
	s_and_saveexec_b32 s0, s12
	s_cbranch_execnz .LBB1019_63
.LBB1019_50:
	s_or_b32 exec_lo, exec_lo, s0
                                        ; implicit-def: $vgpr39_vgpr40
	s_and_saveexec_b32 s0, s13
	s_cbranch_execz .LBB1019_64
.LBB1019_51:
	v_lshlrev_b32_e32 v39, 3, v41
	s_delay_alu instid0(VALU_DEP_1)
	v_add_co_u32 v39, vcc_lo, v50, v39
	v_add_co_ci_u32_e32 v40, vcc_lo, 0, v52, vcc_lo
	flat_load_b64 v[39:40], v[39:40]
	s_or_b32 exec_lo, exec_lo, s0
                                        ; implicit-def: $vgpr41_vgpr42
	s_and_saveexec_b32 s0, s14
	s_cbranch_execz .LBB1019_66
	s_branch .LBB1019_65
.LBB1019_52:
	s_or_b32 exec_lo, exec_lo, s16
                                        ; implicit-def: $vgpr17_vgpr18
	s_and_saveexec_b32 s16, s0
	s_cbranch_execz .LBB1019_40
.LBB1019_53:
	v_lshlrev_b32_e32 v17, 3, v0
	s_delay_alu instid0(VALU_DEP_1)
	v_add_co_u32 v17, vcc_lo, v50, v17
	v_add_co_ci_u32_e32 v18, vcc_lo, 0, v52, vcc_lo
	flat_load_b64 v[17:18], v[17:18] offset:2048
	s_or_b32 exec_lo, exec_lo, s16
                                        ; implicit-def: $vgpr19_vgpr20
	s_and_saveexec_b32 s0, s1
	s_cbranch_execnz .LBB1019_41
.LBB1019_54:
	s_or_b32 exec_lo, exec_lo, s0
                                        ; implicit-def: $vgpr21_vgpr22
	s_and_saveexec_b32 s0, s4
	s_cbranch_execz .LBB1019_42
.LBB1019_55:
	v_lshlrev_b32_e32 v21, 3, v23
	s_delay_alu instid0(VALU_DEP_1)
	v_add_co_u32 v21, vcc_lo, v50, v21
	v_add_co_ci_u32_e32 v22, vcc_lo, 0, v52, vcc_lo
	flat_load_b64 v[21:22], v[21:22]
	s_or_b32 exec_lo, exec_lo, s0
                                        ; implicit-def: $vgpr23_vgpr24
	s_and_saveexec_b32 s0, s5
	s_cbranch_execnz .LBB1019_43
.LBB1019_56:
	s_or_b32 exec_lo, exec_lo, s0
                                        ; implicit-def: $vgpr25_vgpr26
	s_and_saveexec_b32 s0, s6
	s_cbranch_execz .LBB1019_44
.LBB1019_57:
	v_lshlrev_b32_e32 v25, 3, v27
	s_delay_alu instid0(VALU_DEP_1)
	v_add_co_u32 v25, vcc_lo, v50, v25
	v_add_co_ci_u32_e32 v26, vcc_lo, 0, v52, vcc_lo
	flat_load_b64 v[25:26], v[25:26]
	s_or_b32 exec_lo, exec_lo, s0
                                        ; implicit-def: $vgpr27_vgpr28
	s_and_saveexec_b32 s0, s7
	s_cbranch_execnz .LBB1019_45
.LBB1019_58:
	s_or_b32 exec_lo, exec_lo, s0
                                        ; implicit-def: $vgpr29_vgpr30
	s_and_saveexec_b32 s0, s8
	s_cbranch_execz .LBB1019_46
.LBB1019_59:
	v_lshlrev_b32_e32 v29, 3, v31
	s_delay_alu instid0(VALU_DEP_1)
	v_add_co_u32 v29, vcc_lo, v50, v29
	v_add_co_ci_u32_e32 v30, vcc_lo, 0, v52, vcc_lo
	flat_load_b64 v[29:30], v[29:30]
	s_or_b32 exec_lo, exec_lo, s0
                                        ; implicit-def: $vgpr31_vgpr32
	s_and_saveexec_b32 s0, s9
	s_cbranch_execnz .LBB1019_47
.LBB1019_60:
	s_or_b32 exec_lo, exec_lo, s0
                                        ; implicit-def: $vgpr33_vgpr34
	s_and_saveexec_b32 s0, s10
	s_cbranch_execz .LBB1019_48
.LBB1019_61:
	v_lshlrev_b32_e32 v33, 3, v35
	s_delay_alu instid0(VALU_DEP_1)
	v_add_co_u32 v33, vcc_lo, v50, v33
	v_add_co_ci_u32_e32 v34, vcc_lo, 0, v52, vcc_lo
	flat_load_b64 v[33:34], v[33:34]
	s_or_b32 exec_lo, exec_lo, s0
                                        ; implicit-def: $vgpr35_vgpr36
	s_and_saveexec_b32 s0, s11
	s_cbranch_execnz .LBB1019_49
.LBB1019_62:
	s_or_b32 exec_lo, exec_lo, s0
                                        ; implicit-def: $vgpr37_vgpr38
	s_and_saveexec_b32 s0, s12
	s_cbranch_execz .LBB1019_50
.LBB1019_63:
	v_lshlrev_b32_e32 v37, 3, v39
	s_delay_alu instid0(VALU_DEP_1)
	v_add_co_u32 v37, vcc_lo, v50, v37
	v_add_co_ci_u32_e32 v38, vcc_lo, 0, v52, vcc_lo
	flat_load_b64 v[37:38], v[37:38]
	s_or_b32 exec_lo, exec_lo, s0
                                        ; implicit-def: $vgpr39_vgpr40
	s_and_saveexec_b32 s0, s13
	s_cbranch_execnz .LBB1019_51
.LBB1019_64:
	s_or_b32 exec_lo, exec_lo, s0
                                        ; implicit-def: $vgpr41_vgpr42
	s_and_saveexec_b32 s0, s14
	s_cbranch_execz .LBB1019_66
.LBB1019_65:
	v_lshlrev_b32_e32 v41, 3, v43
	s_delay_alu instid0(VALU_DEP_1)
	v_add_co_u32 v41, vcc_lo, v50, v41
	v_add_co_ci_u32_e32 v42, vcc_lo, 0, v52, vcc_lo
	flat_load_b64 v[41:42], v[41:42]
.LBB1019_66:
	s_or_b32 exec_lo, exec_lo, s0
	v_mul_u32_u24_e32 v58, 15, v0
                                        ; implicit-def: $vgpr43_vgpr44
	s_and_saveexec_b32 s0, s15
	s_cbranch_execz .LBB1019_68
; %bb.67:
	v_lshlrev_b32_e32 v43, 3, v56
	s_delay_alu instid0(VALU_DEP_1)
	v_add_co_u32 v43, vcc_lo, v50, v43
	v_add_co_ci_u32_e32 v44, vcc_lo, 0, v52, vcc_lo
	flat_load_b64 v[43:44], v[43:44]
.LBB1019_68:
	s_or_b32 exec_lo, exec_lo, s0
	s_delay_alu instid0(VALU_DEP_1)
	v_add_nc_u32_e32 v78, 1, v58
	v_add_nc_u32_e32 v77, 2, v58
	;; [unrolled: 1-line block ×10, first 2 shown]
	v_mad_i32_i24 v50, 0xffffffcc, v0, v54
	v_add_nc_u32_e32 v68, 11, v58
	v_add_nc_u32_e32 v66, 12, v58
	;; [unrolled: 1-line block ×4, first 2 shown]
	s_waitcnt vmcnt(0) lgkmcnt(0)
	ds_store_2addr_stride64_b64 v50, v[15:16], v[17:18] offset1:4
	ds_store_2addr_stride64_b64 v50, v[19:20], v[21:22] offset0:8 offset1:12
	ds_store_2addr_stride64_b64 v50, v[23:24], v[25:26] offset0:16 offset1:20
	;; [unrolled: 1-line block ×6, first 2 shown]
	ds_store_b64 v50, v[43:44] offset:28672
	s_waitcnt lgkmcnt(0)
	s_barrier
.LBB1019_69:
	v_lshlrev_b32_e32 v15, 3, v58
	v_lshlrev_b32_e32 v16, 3, v78
	;; [unrolled: 1-line block ×5, first 2 shown]
	buffer_gl0_inv
	v_lshlrev_b32_e32 v20, 3, v73
	v_lshlrev_b32_e32 v21, 3, v72
	;; [unrolled: 1-line block ×3, first 2 shown]
	ds_load_b64 v[41:42], v15
	ds_load_b64 v[39:40], v16
	;; [unrolled: 1-line block ×8, first 2 shown]
	v_lshlrev_b32_e32 v15, 3, v64
	v_lshlrev_b32_e32 v16, 3, v62
	;; [unrolled: 1-line block ×7, first 2 shown]
	ds_load_b64 v[29:30], v15
	ds_load_b64 v[25:26], v16
	;; [unrolled: 1-line block ×7, first 2 shown]
	s_cmp_eq_u64 s[24:25], 0
	s_waitcnt lgkmcnt(0)
	s_cselect_b32 s27, -1, 0
	s_cmp_lg_u64 s[24:25], 0
	s_barrier
	s_cselect_b32 s15, -1, 0
	s_and_b32 vcc_lo, exec_lo, s29
	buffer_gl0_inv
	s_cbranch_vccz .LBB1019_75
; %bb.70:
	s_and_b32 vcc_lo, exec_lo, s15
	s_cbranch_vccz .LBB1019_188
; %bb.71:
	v_add_co_u32 v72, vcc_lo, -4, v48
	v_add_co_ci_u32_e32 v73, vcc_lo, -1, v46, vcc_lo
	v_cmp_ne_u32_e32 vcc_lo, v2, v81
	v_cmp_ne_u32_e64 s0, v1, v2
	v_cmp_ne_u32_e64 s1, v4, v1
	flat_load_b32 v50, v[72:73]
	v_cmp_ne_u32_e64 s4, v3, v4
	v_cmp_ne_u32_e64 s5, v6, v3
	;; [unrolled: 1-line block ×11, first 2 shown]
	s_mov_b32 s29, -1
	ds_store_b32 v74, v81
	s_waitcnt vmcnt(0) lgkmcnt(0)
	s_barrier
	buffer_gl0_inv
	s_and_saveexec_b32 s16, s3
	s_cbranch_execz .LBB1019_73
; %bb.72:
	v_add_nc_u32_e32 v50, -4, v74
	ds_load_b32 v50, v50
.LBB1019_73:
	s_or_b32 exec_lo, exec_lo, s16
	v_cndmask_b32_e64 v88, 0, 1, vcc_lo
	v_cndmask_b32_e64 v82, 0, 1, s0
	v_cndmask_b32_e64 v83, 0, 1, s1
	;; [unrolled: 1-line block ×13, first 2 shown]
	s_waitcnt lgkmcnt(0)
	v_cmp_ne_u32_e64 s0, v50, v13
.LBB1019_74:
                                        ; implicit-def: $sgpr1
	s_branch .LBB1019_76
.LBB1019_75:
	s_mov_b32 s29, 0
                                        ; implicit-def: $sgpr0
                                        ; implicit-def: $vgpr88
                                        ; implicit-def: $vgpr82
                                        ; implicit-def: $vgpr83
                                        ; implicit-def: $vgpr84
                                        ; implicit-def: $vgpr85
                                        ; implicit-def: $vgpr86
                                        ; implicit-def: $vgpr87
                                        ; implicit-def: $vgpr89
                                        ; implicit-def: $vgpr90
                                        ; implicit-def: $vgpr91
                                        ; implicit-def: $vgpr92
                                        ; implicit-def: $vgpr93
                                        ; implicit-def: $vgpr94
                                        ; implicit-def: $vgpr95
                                        ; implicit-def: $sgpr1
	s_cbranch_execnz .LBB1019_192
.LBB1019_76:
	v_mov_b32_e32 v96, s1
	s_and_saveexec_b32 s1, s29
.LBB1019_77:
	s_delay_alu instid0(VALU_DEP_2)
	v_cndmask_b32_e64 v96, 0, 1, s0
.LBB1019_78:
	s_or_b32 exec_lo, exec_lo, s1
	s_delay_alu instid0(VALU_DEP_1)
	v_add3_u32 v45, v95, v96, v94
	v_cmp_eq_u32_e64 s13, 0, v95
	v_cmp_eq_u32_e64 s12, 0, v94
	v_cmp_eq_u32_e64 s11, 0, v93
	v_cmp_eq_u32_e64 s10, 0, v92
	v_add3_u32 v99, v45, v93, v92
	v_cmp_eq_u32_e64 s9, 0, v91
	v_cmp_eq_u32_e64 s8, 0, v90
	;; [unrolled: 1-line block ×9, first 2 shown]
	v_cmp_eq_u32_e32 vcc_lo, 0, v88
	v_mbcnt_lo_u32_b32 v97, -1, 0
	s_cmp_eq_u64 s[42:43], 0
	s_cselect_b32 s15, -1, 0
	s_cmp_lg_u32 s28, 0
	s_cbranch_scc0 .LBB1019_141
; %bb.79:
	v_cndmask_b32_e64 v45, 0, v41, s13
	v_cndmask_b32_e64 v46, 0, v42, s13
	v_add3_u32 v47, v99, v91, v90
	s_delay_alu instid0(VALU_DEP_3) | instskip(NEXT) | instid1(VALU_DEP_1)
	v_add_co_u32 v45, s14, v45, v39
	v_add_co_ci_u32_e64 v46, s14, v46, v40, s14
	s_delay_alu instid0(VALU_DEP_3) | instskip(NEXT) | instid1(VALU_DEP_3)
	v_add3_u32 v47, v47, v89, v87
	v_cndmask_b32_e64 v45, 0, v45, s12
	s_delay_alu instid0(VALU_DEP_3) | instskip(NEXT) | instid1(VALU_DEP_3)
	v_cndmask_b32_e64 v46, 0, v46, s12
	v_add3_u32 v47, v47, v86, v85
	s_delay_alu instid0(VALU_DEP_3) | instskip(NEXT) | instid1(VALU_DEP_1)
	v_add_co_u32 v45, s14, v45, v37
	v_add_co_ci_u32_e64 v46, s14, v46, v38, s14
	s_delay_alu instid0(VALU_DEP_3) | instskip(NEXT) | instid1(VALU_DEP_3)
	v_add3_u32 v47, v47, v84, v83
	v_cndmask_b32_e64 v45, 0, v45, s11
	s_delay_alu instid0(VALU_DEP_3) | instskip(NEXT) | instid1(VALU_DEP_3)
	v_cndmask_b32_e64 v46, 0, v46, s11
	v_add3_u32 v49, v47, v82, v88
	s_delay_alu instid0(VALU_DEP_3) | instskip(NEXT) | instid1(VALU_DEP_1)
	v_add_co_u32 v45, s14, v45, v35
	v_add_co_ci_u32_e64 v46, s14, v46, v36, s14
	s_delay_alu instid0(VALU_DEP_2) | instskip(NEXT) | instid1(VALU_DEP_2)
	v_cndmask_b32_e64 v45, 0, v45, s10
	v_cndmask_b32_e64 v46, 0, v46, s10
	s_delay_alu instid0(VALU_DEP_2) | instskip(NEXT) | instid1(VALU_DEP_1)
	v_add_co_u32 v45, s14, v45, v33
	v_add_co_ci_u32_e64 v46, s14, v46, v34, s14
	s_delay_alu instid0(VALU_DEP_2) | instskip(NEXT) | instid1(VALU_DEP_2)
	v_cndmask_b32_e64 v45, 0, v45, s9
	v_cndmask_b32_e64 v46, 0, v46, s9
	s_delay_alu instid0(VALU_DEP_2) | instskip(NEXT) | instid1(VALU_DEP_1)
	;; [unrolled: 6-line block ×10, first 2 shown]
	v_add_co_u32 v45, s14, v45, v15
	v_add_co_ci_u32_e64 v46, s14, v46, v16, s14
	s_mov_b32 s14, exec_lo
	s_delay_alu instid0(VALU_DEP_1) | instskip(NEXT) | instid1(VALU_DEP_1)
	v_dual_cndmask_b32 v45, 0, v45 :: v_dual_cndmask_b32 v46, 0, v46
	v_add_co_u32 v47, vcc_lo, v45, v43
	s_delay_alu instid0(VALU_DEP_2) | instskip(SKIP_2) | instid1(VALU_DEP_4)
	v_add_co_ci_u32_e32 v48, vcc_lo, v46, v44, vcc_lo
	v_and_b32_e32 v45, 15, v97
	v_mov_b32_dpp v46, v49 row_shr:1 row_mask:0xf bank_mask:0xf
	v_mov_b32_dpp v50, v47 row_shr:1 row_mask:0xf bank_mask:0xf
	s_delay_alu instid0(VALU_DEP_4) | instskip(NEXT) | instid1(VALU_DEP_4)
	v_mov_b32_dpp v51, v48 row_shr:1 row_mask:0xf bank_mask:0xf
	v_cmpx_ne_u32_e32 0, v45
; %bb.80:
	v_cmp_eq_u32_e32 vcc_lo, 0, v49
	v_add_nc_u32_e32 v49, v46, v49
	s_delay_alu instid0(VALU_DEP_4) | instskip(NEXT) | instid1(VALU_DEP_1)
	v_dual_cndmask_b32 v51, 0, v51 :: v_dual_cndmask_b32 v50, 0, v50
	v_add_co_u32 v47, vcc_lo, v50, v47
	s_delay_alu instid0(VALU_DEP_2)
	v_add_co_ci_u32_e32 v48, vcc_lo, v51, v48, vcc_lo
; %bb.81:
	s_or_b32 exec_lo, exec_lo, s14
	v_mov_b32_dpp v46, v49 row_shr:2 row_mask:0xf bank_mask:0xf
	s_delay_alu instid0(VALU_DEP_3) | instskip(NEXT) | instid1(VALU_DEP_3)
	v_mov_b32_dpp v50, v47 row_shr:2 row_mask:0xf bank_mask:0xf
	v_mov_b32_dpp v51, v48 row_shr:2 row_mask:0xf bank_mask:0xf
	s_mov_b32 s14, exec_lo
	v_cmpx_lt_u32_e32 1, v45
; %bb.82:
	v_cmp_eq_u32_e32 vcc_lo, 0, v49
	v_add_nc_u32_e32 v49, v46, v49
	v_dual_cndmask_b32 v51, 0, v51 :: v_dual_cndmask_b32 v50, 0, v50
	s_delay_alu instid0(VALU_DEP_1) | instskip(NEXT) | instid1(VALU_DEP_2)
	v_add_co_u32 v47, vcc_lo, v50, v47
	v_add_co_ci_u32_e32 v48, vcc_lo, v51, v48, vcc_lo
; %bb.83:
	s_or_b32 exec_lo, exec_lo, s14
	v_mov_b32_dpp v46, v49 row_shr:4 row_mask:0xf bank_mask:0xf
	s_delay_alu instid0(VALU_DEP_3) | instskip(NEXT) | instid1(VALU_DEP_3)
	v_mov_b32_dpp v50, v47 row_shr:4 row_mask:0xf bank_mask:0xf
	v_mov_b32_dpp v51, v48 row_shr:4 row_mask:0xf bank_mask:0xf
	s_mov_b32 s14, exec_lo
	v_cmpx_lt_u32_e32 3, v45
; %bb.84:
	v_cmp_eq_u32_e32 vcc_lo, 0, v49
	v_add_nc_u32_e32 v49, v46, v49
	v_dual_cndmask_b32 v51, 0, v51 :: v_dual_cndmask_b32 v50, 0, v50
	s_delay_alu instid0(VALU_DEP_1) | instskip(NEXT) | instid1(VALU_DEP_2)
	v_add_co_u32 v47, vcc_lo, v50, v47
	;; [unrolled: 15-line block ×3, first 2 shown]
	v_add_co_ci_u32_e32 v48, vcc_lo, v45, v48, vcc_lo
; %bb.87:
	s_or_b32 exec_lo, exec_lo, s14
	ds_swizzle_b32 v45, v49 offset:swizzle(BROADCAST,32,15)
	ds_swizzle_b32 v46, v47 offset:swizzle(BROADCAST,32,15)
	;; [unrolled: 1-line block ×3, first 2 shown]
	v_and_b32_e32 v51, 16, v97
	s_mov_b32 s14, exec_lo
	s_delay_alu instid0(VALU_DEP_1)
	v_cmpx_ne_u32_e32 0, v51
	s_cbranch_execz .LBB1019_89
; %bb.88:
	v_cmp_eq_u32_e32 vcc_lo, 0, v49
	s_waitcnt lgkmcnt(1)
	v_dual_cndmask_b32 v46, 0, v46 :: v_dual_add_nc_u32 v49, v45, v49
	s_waitcnt lgkmcnt(0)
	v_cndmask_b32_e32 v50, 0, v50, vcc_lo
	s_delay_alu instid0(VALU_DEP_2) | instskip(NEXT) | instid1(VALU_DEP_2)
	v_add_co_u32 v47, vcc_lo, v46, v47
	v_add_co_ci_u32_e32 v48, vcc_lo, v50, v48, vcc_lo
.LBB1019_89:
	s_or_b32 exec_lo, exec_lo, s14
	s_waitcnt lgkmcnt(1)
	v_lshrrev_b32_e32 v46, 5, v0
	v_or_b32_e32 v45, 31, v0
	s_mov_b32 s14, exec_lo
	s_waitcnt lgkmcnt(0)
	s_delay_alu instid0(VALU_DEP_2) | instskip(NEXT) | instid1(VALU_DEP_2)
	v_lshlrev_b32_e32 v50, 4, v46
	v_cmpx_eq_u32_e64 v45, v0
	s_cbranch_execz .LBB1019_91
; %bb.90:
	ds_store_b32 v50, v49 offset:2080
	ds_store_b64 v50, v[47:48] offset:2088
.LBB1019_91:
	s_or_b32 exec_lo, exec_lo, s14
	s_delay_alu instid0(SALU_CYCLE_1)
	s_mov_b32 s14, exec_lo
	s_waitcnt lgkmcnt(0)
	s_barrier
	buffer_gl0_inv
	v_cmpx_gt_u32_e32 8, v0
	s_cbranch_execz .LBB1019_99
; %bb.92:
	v_lshlrev_b32_e32 v51, 4, v0
	v_and_b32_e32 v53, 7, v97
	s_mov_b32 s16, exec_lo
	ds_load_b32 v52, v51 offset:2080
	ds_load_b64 v[45:46], v51 offset:2088
	s_waitcnt lgkmcnt(1)
	v_mov_b32_dpp v54, v52 row_shr:1 row_mask:0xf bank_mask:0xf
	s_waitcnt lgkmcnt(0)
	v_mov_b32_dpp v55, v45 row_shr:1 row_mask:0xf bank_mask:0xf
	v_mov_b32_dpp v56, v46 row_shr:1 row_mask:0xf bank_mask:0xf
	v_cmpx_ne_u32_e32 0, v53
; %bb.93:
	v_cmp_eq_u32_e32 vcc_lo, 0, v52
	v_add_nc_u32_e32 v52, v54, v52
	s_delay_alu instid0(VALU_DEP_4) | instskip(NEXT) | instid1(VALU_DEP_1)
	v_dual_cndmask_b32 v56, 0, v56 :: v_dual_cndmask_b32 v55, 0, v55
	v_add_co_u32 v45, vcc_lo, v55, v45
	s_delay_alu instid0(VALU_DEP_2)
	v_add_co_ci_u32_e32 v46, vcc_lo, v56, v46, vcc_lo
; %bb.94:
	s_or_b32 exec_lo, exec_lo, s16
	v_mov_b32_dpp v54, v52 row_shr:2 row_mask:0xf bank_mask:0xf
	s_delay_alu instid0(VALU_DEP_3) | instskip(NEXT) | instid1(VALU_DEP_3)
	v_mov_b32_dpp v55, v45 row_shr:2 row_mask:0xf bank_mask:0xf
	v_mov_b32_dpp v56, v46 row_shr:2 row_mask:0xf bank_mask:0xf
	s_mov_b32 s16, exec_lo
	v_cmpx_lt_u32_e32 1, v53
; %bb.95:
	v_cmp_eq_u32_e32 vcc_lo, 0, v52
	v_add_nc_u32_e32 v52, v54, v52
	v_dual_cndmask_b32 v56, 0, v56 :: v_dual_cndmask_b32 v55, 0, v55
	s_delay_alu instid0(VALU_DEP_1) | instskip(NEXT) | instid1(VALU_DEP_2)
	v_add_co_u32 v45, vcc_lo, v55, v45
	v_add_co_ci_u32_e32 v46, vcc_lo, v56, v46, vcc_lo
; %bb.96:
	s_or_b32 exec_lo, exec_lo, s16
	v_mov_b32_dpp v54, v52 row_shr:4 row_mask:0xf bank_mask:0xf
	s_delay_alu instid0(VALU_DEP_3) | instskip(NEXT) | instid1(VALU_DEP_3)
	v_mov_b32_dpp v55, v45 row_shr:4 row_mask:0xf bank_mask:0xf
	v_mov_b32_dpp v56, v46 row_shr:4 row_mask:0xf bank_mask:0xf
	s_mov_b32 s16, exec_lo
	v_cmpx_lt_u32_e32 3, v53
; %bb.97:
	v_cmp_eq_u32_e32 vcc_lo, 0, v52
	v_dual_cndmask_b32 v55, 0, v55 :: v_dual_add_nc_u32 v52, v54, v52
	v_cndmask_b32_e32 v53, 0, v56, vcc_lo
	s_delay_alu instid0(VALU_DEP_2) | instskip(NEXT) | instid1(VALU_DEP_2)
	v_add_co_u32 v45, vcc_lo, v55, v45
	v_add_co_ci_u32_e32 v46, vcc_lo, v53, v46, vcc_lo
; %bb.98:
	s_or_b32 exec_lo, exec_lo, s16
	ds_store_b32 v51, v52 offset:2080
	ds_store_b64 v51, v[45:46] offset:2088
.LBB1019_99:
	s_or_b32 exec_lo, exec_lo, s14
	v_mov_b32_e32 v45, 0
	v_cmp_gt_u32_e32 vcc_lo, 32, v0
	v_dual_mov_b32 v46, 0 :: v_dual_mov_b32 v55, 0
	s_mov_b32 s16, exec_lo
	s_waitcnt lgkmcnt(0)
	s_barrier
	buffer_gl0_inv
	v_cmpx_lt_u32_e32 31, v0
	s_cbranch_execz .LBB1019_101
; %bb.100:
	ds_load_b64 v[45:46], v50 offset:2072
	ds_load_b32 v55, v50 offset:2064
	v_cmp_eq_u32_e64 s14, 0, v49
	s_waitcnt lgkmcnt(1)
	s_delay_alu instid0(VALU_DEP_1) | instskip(SKIP_3) | instid1(VALU_DEP_3)
	v_cndmask_b32_e64 v51, 0, v45, s14
	v_cndmask_b32_e64 v50, 0, v46, s14
	s_waitcnt lgkmcnt(0)
	v_add_nc_u32_e32 v49, v55, v49
	v_add_co_u32 v47, s14, v51, v47
	s_delay_alu instid0(VALU_DEP_1)
	v_add_co_ci_u32_e64 v48, s14, v50, v48, s14
.LBB1019_101:
	s_or_b32 exec_lo, exec_lo, s16
	v_add_nc_u32_e32 v50, -1, v97
	s_delay_alu instid0(VALU_DEP_1) | instskip(NEXT) | instid1(VALU_DEP_1)
	v_cmp_gt_i32_e64 s14, 0, v50
	v_cndmask_b32_e64 v50, v50, v97, s14
	v_cmp_eq_u32_e64 s14, 0, v97
	s_delay_alu instid0(VALU_DEP_2)
	v_lshlrev_b32_e32 v50, 2, v50
	ds_bpermute_b32 v58, v50, v49
	ds_bpermute_b32 v57, v50, v47
	;; [unrolled: 1-line block ×3, first 2 shown]
	s_and_saveexec_b32 s16, vcc_lo
	s_cbranch_execz .LBB1019_140
; %bb.102:
	v_mov_b32_e32 v51, 0
	ds_load_b32 v59, v51 offset:2192
	ds_load_b64 v[47:48], v51 offset:2200
	s_and_saveexec_b32 s24, s14
	s_cbranch_execz .LBB1019_104
; %bb.103:
	s_add_i32 s30, s28, 32
	s_mov_b32 s31, 0
	v_dual_mov_b32 v49, s30 :: v_dual_mov_b32 v50, 1
	s_lshl_b64 s[34:35], s[30:31], 4
	s_delay_alu instid0(SALU_CYCLE_1)
	s_add_u32 s30, s36, s34
	s_addc_u32 s31, s37, s35
	s_waitcnt lgkmcnt(1)
	global_store_b32 v51, v59, s[30:31]
	s_waitcnt lgkmcnt(0)
	global_store_b64 v51, v[47:48], s[30:31] offset:8
	s_waitcnt_vscnt null, 0x0
	buffer_gl1_inv
	buffer_gl0_inv
	global_store_b8 v49, v50, s[40:41]
.LBB1019_104:
	s_or_b32 exec_lo, exec_lo, s24
	v_xad_u32 v49, v97, -1, s28
	s_mov_b32 s25, 0
	s_mov_b32 s24, exec_lo
	s_delay_alu instid0(VALU_DEP_1)
	v_add_nc_u32_e32 v50, 32, v49
	global_load_u8 v60, v50, s[40:41] glc
	s_waitcnt vmcnt(0)
	v_cmpx_eq_u16_e32 0, v60
	s_cbranch_execz .LBB1019_108
; %bb.105:
	v_add_co_u32 v52, s29, s40, v50
	s_delay_alu instid0(VALU_DEP_1)
	v_add_co_ci_u32_e64 v53, null, s41, 0, s29
.LBB1019_106:                           ; =>This Inner Loop Header: Depth=1
	global_load_u8 v60, v[52:53], off glc
	s_waitcnt vmcnt(0)
	v_cmp_ne_u16_e32 vcc_lo, 0, v60
	s_or_b32 s25, vcc_lo, s25
	s_delay_alu instid0(SALU_CYCLE_1)
	s_and_not1_b32 exec_lo, exec_lo, s25
	s_cbranch_execnz .LBB1019_106
; %bb.107:
	s_or_b32 exec_lo, exec_lo, s25
.LBB1019_108:
	s_delay_alu instid0(SALU_CYCLE_1)
	s_or_b32 exec_lo, exec_lo, s24
	v_dual_mov_b32 v52, s37 :: v_dual_mov_b32 v53, s36
	v_cmp_eq_u16_e32 vcc_lo, 1, v60
	v_lshlrev_b64 v[50:51], 4, v[50:51]
	s_waitcnt lgkmcnt(0)
	s_waitcnt_vscnt null, 0x0
	buffer_gl1_inv
	buffer_gl0_inv
	v_lshlrev_b32_e64 v62, v97, -1
	s_mov_b32 s24, exec_lo
	v_cndmask_b32_e32 v53, s38, v53, vcc_lo
	v_cndmask_b32_e32 v52, s39, v52, vcc_lo
	s_delay_alu instid0(VALU_DEP_2) | instskip(NEXT) | instid1(VALU_DEP_2)
	v_add_co_u32 v50, vcc_lo, v53, v50
	v_add_co_ci_u32_e32 v51, vcc_lo, v52, v51, vcc_lo
	v_cmp_ne_u32_e32 vcc_lo, 31, v97
	s_clause 0x1
	global_load_b32 v72, v[50:51], off
	global_load_b64 v[53:54], v[50:51], off offset:8
	v_add_co_ci_u32_e32 v50, vcc_lo, 0, v97, vcc_lo
	v_cmp_eq_u16_e32 vcc_lo, 2, v60
	s_delay_alu instid0(VALU_DEP_2) | instskip(SKIP_1) | instid1(VALU_DEP_1)
	v_lshlrev_b32_e32 v61, 2, v50
	v_and_or_b32 v50, vcc_lo, v62, 0x80000000
	v_ctz_i32_b32_e32 v50, v50
	s_waitcnt vmcnt(1)
	ds_bpermute_b32 v51, v61, v72
	s_waitcnt vmcnt(0)
	ds_bpermute_b32 v52, v61, v53
	ds_bpermute_b32 v63, v61, v54
	v_cmpx_lt_u32_e64 v97, v50
	s_cbranch_execz .LBB1019_110
; %bb.109:
	v_cmp_eq_u32_e32 vcc_lo, 0, v72
	s_waitcnt lgkmcnt(0)
	v_dual_cndmask_b32 v63, 0, v63 :: v_dual_add_nc_u32 v72, v51, v72
	v_cndmask_b32_e32 v52, 0, v52, vcc_lo
	s_delay_alu instid0(VALU_DEP_1) | instskip(NEXT) | instid1(VALU_DEP_3)
	v_add_co_u32 v53, vcc_lo, v52, v53
	v_add_co_ci_u32_e32 v54, vcc_lo, v63, v54, vcc_lo
.LBB1019_110:
	s_or_b32 exec_lo, exec_lo, s24
	v_cmp_gt_u32_e32 vcc_lo, 30, v97
	v_add_nc_u32_e32 v64, 2, v97
	s_mov_b32 s24, exec_lo
	s_waitcnt lgkmcnt(2)
	v_cndmask_b32_e64 v51, 0, 1, vcc_lo
	s_delay_alu instid0(VALU_DEP_1) | instskip(SKIP_1) | instid1(VALU_DEP_1)
	v_lshlrev_b32_e32 v51, 1, v51
	s_waitcnt lgkmcnt(0)
	v_add_lshl_u32 v63, v51, v97, 2
	ds_bpermute_b32 v51, v63, v72
	ds_bpermute_b32 v52, v63, v53
	ds_bpermute_b32 v65, v63, v54
	v_cmpx_le_u32_e64 v64, v50
	s_cbranch_execz .LBB1019_112
; %bb.111:
	v_cmp_eq_u32_e32 vcc_lo, 0, v72
	s_waitcnt lgkmcnt(0)
	v_dual_cndmask_b32 v65, 0, v65 :: v_dual_add_nc_u32 v72, v51, v72
	v_cndmask_b32_e32 v52, 0, v52, vcc_lo
	s_delay_alu instid0(VALU_DEP_1) | instskip(NEXT) | instid1(VALU_DEP_3)
	v_add_co_u32 v53, vcc_lo, v52, v53
	v_add_co_ci_u32_e32 v54, vcc_lo, v65, v54, vcc_lo
.LBB1019_112:
	s_or_b32 exec_lo, exec_lo, s24
	v_cmp_gt_u32_e32 vcc_lo, 28, v97
	v_add_nc_u32_e32 v66, 4, v97
	s_mov_b32 s24, exec_lo
	s_waitcnt lgkmcnt(2)
	v_cndmask_b32_e64 v51, 0, 1, vcc_lo
	s_delay_alu instid0(VALU_DEP_1) | instskip(SKIP_1) | instid1(VALU_DEP_1)
	v_lshlrev_b32_e32 v51, 2, v51
	s_waitcnt lgkmcnt(0)
	v_add_lshl_u32 v65, v51, v97, 2
	ds_bpermute_b32 v51, v65, v72
	ds_bpermute_b32 v52, v65, v53
	ds_bpermute_b32 v67, v65, v54
	v_cmpx_le_u32_e64 v66, v50
	;; [unrolled: 24-line block ×3, first 2 shown]
	s_cbranch_execz .LBB1019_116
; %bb.115:
	v_cmp_eq_u32_e32 vcc_lo, 0, v72
	s_waitcnt lgkmcnt(0)
	v_dual_cndmask_b32 v69, 0, v69 :: v_dual_add_nc_u32 v72, v51, v72
	v_cndmask_b32_e32 v52, 0, v52, vcc_lo
	s_delay_alu instid0(VALU_DEP_1) | instskip(NEXT) | instid1(VALU_DEP_3)
	v_add_co_u32 v53, vcc_lo, v52, v53
	v_add_co_ci_u32_e32 v54, vcc_lo, v69, v54, vcc_lo
.LBB1019_116:
	s_or_b32 exec_lo, exec_lo, s24
	v_cmp_gt_u32_e32 vcc_lo, 16, v97
	v_add_nc_u32_e32 v71, 16, v97
	s_mov_b32 s24, exec_lo
	s_waitcnt lgkmcnt(2)
	v_cndmask_b32_e64 v51, 0, 1, vcc_lo
	s_delay_alu instid0(VALU_DEP_1) | instskip(NEXT) | instid1(VALU_DEP_1)
	v_lshlrev_b32_e32 v51, 4, v51
	v_add_lshl_u32 v70, v51, v97, 2
	ds_bpermute_b32 v51, v70, v72
	s_waitcnt lgkmcnt(2)
	ds_bpermute_b32 v52, v70, v53
	s_waitcnt lgkmcnt(2)
	ds_bpermute_b32 v69, v70, v54
	v_cmpx_le_u32_e64 v71, v50
	s_cbranch_execz .LBB1019_118
; %bb.117:
	v_cmp_eq_u32_e32 vcc_lo, 0, v72
	s_waitcnt lgkmcnt(2)
	v_add_nc_u32_e32 v72, v51, v72
	s_waitcnt lgkmcnt(1)
	v_cndmask_b32_e32 v52, 0, v52, vcc_lo
	s_waitcnt lgkmcnt(0)
	v_cndmask_b32_e32 v50, 0, v69, vcc_lo
	s_delay_alu instid0(VALU_DEP_2) | instskip(NEXT) | instid1(VALU_DEP_2)
	v_add_co_u32 v53, vcc_lo, v52, v53
	v_add_co_ci_u32_e32 v54, vcc_lo, v50, v54, vcc_lo
.LBB1019_118:
	s_or_b32 exec_lo, exec_lo, s24
	v_mov_b32_e32 v50, 0
	s_branch .LBB1019_120
.LBB1019_119:                           ;   in Loop: Header=BB1019_120 Depth=1
	s_or_b32 exec_lo, exec_lo, s24
	v_cmp_eq_u32_e32 vcc_lo, 0, v69
	v_subrev_nc_u32_e32 v49, 32, v49
	v_add_nc_u32_e32 v72, v72, v69
	v_dual_cndmask_b32 v54, 0, v54 :: v_dual_cndmask_b32 v53, 0, v53
	s_delay_alu instid0(VALU_DEP_1) | instskip(NEXT) | instid1(VALU_DEP_2)
	v_add_co_u32 v53, vcc_lo, v53, v51
	v_add_co_ci_u32_e32 v54, vcc_lo, v54, v52, vcc_lo
.LBB1019_120:                           ; =>This Loop Header: Depth=1
                                        ;     Child Loop BB1019_123 Depth 2
	s_waitcnt lgkmcnt(2)
	v_and_b32_e32 v51, 0xff, v60
	s_waitcnt lgkmcnt(0)
	v_mov_b32_e32 v69, v72
	s_delay_alu instid0(VALU_DEP_2) | instskip(SKIP_2) | instid1(VALU_DEP_1)
	v_cmp_ne_u16_e32 vcc_lo, 2, v51
	v_cndmask_b32_e64 v51, 0, 1, vcc_lo
	;;#ASMSTART
	;;#ASMEND
	v_cmp_ne_u32_e32 vcc_lo, 0, v51
	v_dual_mov_b32 v51, v53 :: v_dual_mov_b32 v52, v54
	s_cmp_lg_u32 vcc_lo, exec_lo
	s_cbranch_scc1 .LBB1019_135
; %bb.121:                              ;   in Loop: Header=BB1019_120 Depth=1
	global_load_u8 v60, v49, s[40:41] glc
	s_mov_b32 s24, exec_lo
	s_waitcnt vmcnt(0)
	v_cmpx_eq_u16_e32 0, v60
	s_cbranch_execz .LBB1019_125
; %bb.122:                              ;   in Loop: Header=BB1019_120 Depth=1
	v_add_co_u32 v53, s25, s40, v49
	s_delay_alu instid0(VALU_DEP_1)
	v_add_co_ci_u32_e64 v54, null, s41, 0, s25
	s_mov_b32 s25, 0
.LBB1019_123:                           ;   Parent Loop BB1019_120 Depth=1
                                        ; =>  This Inner Loop Header: Depth=2
	global_load_u8 v60, v[53:54], off glc
	s_waitcnt vmcnt(0)
	v_cmp_ne_u16_e32 vcc_lo, 0, v60
	s_or_b32 s25, vcc_lo, s25
	s_delay_alu instid0(SALU_CYCLE_1)
	s_and_not1_b32 exec_lo, exec_lo, s25
	s_cbranch_execnz .LBB1019_123
; %bb.124:                              ;   in Loop: Header=BB1019_120 Depth=1
	s_or_b32 exec_lo, exec_lo, s25
.LBB1019_125:                           ;   in Loop: Header=BB1019_120 Depth=1
	s_delay_alu instid0(SALU_CYCLE_1)
	s_or_b32 exec_lo, exec_lo, s24
	v_dual_mov_b32 v72, s37 :: v_dual_mov_b32 v73, s36
	v_cmp_eq_u16_e32 vcc_lo, 1, v60
	v_lshlrev_b64 v[53:54], 4, v[49:50]
	buffer_gl1_inv
	buffer_gl0_inv
	s_mov_b32 s24, exec_lo
	v_cndmask_b32_e32 v73, s38, v73, vcc_lo
	v_cndmask_b32_e32 v72, s39, v72, vcc_lo
	s_delay_alu instid0(VALU_DEP_2) | instskip(NEXT) | instid1(VALU_DEP_2)
	v_add_co_u32 v53, vcc_lo, v73, v53
	v_add_co_ci_u32_e32 v54, vcc_lo, v72, v54, vcc_lo
	v_cmp_eq_u16_e32 vcc_lo, 2, v60
	s_clause 0x1
	global_load_b32 v72, v[53:54], off
	global_load_b64 v[53:54], v[53:54], off offset:8
	v_and_or_b32 v73, vcc_lo, v62, 0x80000000
	s_delay_alu instid0(VALU_DEP_1)
	v_ctz_i32_b32_e32 v73, v73
	s_waitcnt vmcnt(1)
	ds_bpermute_b32 v74, v61, v72
	s_waitcnt vmcnt(0)
	ds_bpermute_b32 v75, v61, v53
	ds_bpermute_b32 v76, v61, v54
	v_cmpx_lt_u32_e64 v97, v73
	s_cbranch_execz .LBB1019_127
; %bb.126:                              ;   in Loop: Header=BB1019_120 Depth=1
	v_cmp_eq_u32_e32 vcc_lo, 0, v72
	s_waitcnt lgkmcnt(2)
	v_add_nc_u32_e32 v72, v74, v72
	s_waitcnt lgkmcnt(0)
	v_dual_cndmask_b32 v76, 0, v76 :: v_dual_cndmask_b32 v75, 0, v75
	s_delay_alu instid0(VALU_DEP_1) | instskip(NEXT) | instid1(VALU_DEP_2)
	v_add_co_u32 v53, vcc_lo, v75, v53
	v_add_co_ci_u32_e32 v54, vcc_lo, v76, v54, vcc_lo
.LBB1019_127:                           ;   in Loop: Header=BB1019_120 Depth=1
	s_or_b32 exec_lo, exec_lo, s24
	s_waitcnt lgkmcnt(2)
	ds_bpermute_b32 v74, v63, v72
	s_waitcnt lgkmcnt(2)
	ds_bpermute_b32 v75, v63, v53
	s_waitcnt lgkmcnt(2)
	ds_bpermute_b32 v76, v63, v54
	s_mov_b32 s24, exec_lo
	v_cmpx_le_u32_e64 v64, v73
	s_cbranch_execz .LBB1019_129
; %bb.128:                              ;   in Loop: Header=BB1019_120 Depth=1
	v_cmp_eq_u32_e32 vcc_lo, 0, v72
	s_waitcnt lgkmcnt(2)
	v_add_nc_u32_e32 v72, v74, v72
	s_waitcnt lgkmcnt(0)
	v_dual_cndmask_b32 v76, 0, v76 :: v_dual_cndmask_b32 v75, 0, v75
	s_delay_alu instid0(VALU_DEP_1) | instskip(NEXT) | instid1(VALU_DEP_2)
	v_add_co_u32 v53, vcc_lo, v75, v53
	v_add_co_ci_u32_e32 v54, vcc_lo, v76, v54, vcc_lo
.LBB1019_129:                           ;   in Loop: Header=BB1019_120 Depth=1
	s_or_b32 exec_lo, exec_lo, s24
	s_waitcnt lgkmcnt(2)
	ds_bpermute_b32 v74, v65, v72
	s_waitcnt lgkmcnt(2)
	ds_bpermute_b32 v75, v65, v53
	s_waitcnt lgkmcnt(2)
	ds_bpermute_b32 v76, v65, v54
	s_mov_b32 s24, exec_lo
	v_cmpx_le_u32_e64 v66, v73
	;; [unrolled: 20-line block ×4, first 2 shown]
	s_cbranch_execz .LBB1019_119
; %bb.134:                              ;   in Loop: Header=BB1019_120 Depth=1
	v_cmp_eq_u32_e32 vcc_lo, 0, v72
	s_waitcnt lgkmcnt(1)
	v_dual_cndmask_b32 v75, 0, v75 :: v_dual_add_nc_u32 v72, v74, v72
	s_waitcnt lgkmcnt(0)
	v_cndmask_b32_e32 v73, 0, v76, vcc_lo
	s_delay_alu instid0(VALU_DEP_2) | instskip(NEXT) | instid1(VALU_DEP_2)
	v_add_co_u32 v53, vcc_lo, v75, v53
	v_add_co_ci_u32_e32 v54, vcc_lo, v73, v54, vcc_lo
	s_branch .LBB1019_119
.LBB1019_135:                           ;   in Loop: Header=BB1019_120 Depth=1
                                        ; implicit-def: $vgpr53_vgpr54
                                        ; implicit-def: $vgpr72
                                        ; implicit-def: $vgpr60
	s_cbranch_execz .LBB1019_120
; %bb.136:
	s_and_saveexec_b32 s24, s14
	s_cbranch_execz .LBB1019_138
; %bb.137:
	v_cmp_eq_u32_e32 vcc_lo, 0, v59
	s_mov_b32 s29, 0
	s_add_i32 s28, s28, 32
	v_dual_mov_b32 v54, 0 :: v_dual_add_nc_u32 v53, v69, v59
	v_dual_cndmask_b32 v50, 0, v52 :: v_dual_cndmask_b32 v49, 0, v51
	s_lshl_b64 s[30:31], s[28:29], 4
	v_dual_mov_b32 v60, s28 :: v_dual_mov_b32 v61, 2
	s_add_u32 s30, s38, s30
	s_delay_alu instid0(VALU_DEP_2)
	v_add_co_u32 v49, vcc_lo, v49, v47
	v_add_co_ci_u32_e32 v50, vcc_lo, v50, v48, vcc_lo
	s_addc_u32 s31, s39, s31
	s_clause 0x1
	global_store_b32 v54, v53, s[30:31]
	global_store_b64 v54, v[49:50], s[30:31] offset:8
	s_waitcnt lgkmcnt(0)
	s_waitcnt_vscnt null, 0x0
	buffer_gl1_inv
	buffer_gl0_inv
	global_store_b8 v60, v61, s[40:41]
	ds_store_b32 v54, v59 offset:2048
	ds_store_b64 v54, v[47:48] offset:2056
	ds_store_b32 v54, v69 offset:2064
	ds_store_b64 v54, v[51:52] offset:2072
.LBB1019_138:
	s_or_b32 exec_lo, exec_lo, s24
	s_delay_alu instid0(SALU_CYCLE_1)
	s_and_b32 exec_lo, exec_lo, s2
	s_cbranch_execz .LBB1019_140
; %bb.139:
	v_mov_b32_e32 v47, 0
	ds_store_b32 v47, v69 offset:2192
	ds_store_b64 v47, v[51:52] offset:2200
.LBB1019_140:
	s_or_b32 exec_lo, exec_lo, s16
	s_waitcnt lgkmcnt(2)
	v_cndmask_b32_e64 v50, v58, v55, s14
	s_waitcnt lgkmcnt(0)
	s_waitcnt_vscnt null, 0x0
	s_barrier
	buffer_gl0_inv
	v_cndmask_b32_e64 v45, v57, v45, s14
	v_cmp_eq_u32_e32 vcc_lo, 0, v50
	v_mov_b32_e32 v49, 0
	v_cndmask_b32_e64 v46, v56, v46, s14
	v_cndmask_b32_e64 v50, v50, 0, s2
	ds_load_b64 v[47:48], v49 offset:2200
	s_waitcnt lgkmcnt(0)
	v_dual_cndmask_b32 v52, 0, v47 :: v_dual_cndmask_b32 v51, 0, v48
	s_delay_alu instid0(VALU_DEP_1) | instskip(NEXT) | instid1(VALU_DEP_2)
	v_add_co_u32 v45, vcc_lo, v52, v45
	v_add_co_ci_u32_e32 v46, vcc_lo, v51, v46, vcc_lo
	v_cmp_eq_u32_e32 vcc_lo, 0, v96
	s_delay_alu instid0(VALU_DEP_3) | instskip(NEXT) | instid1(VALU_DEP_3)
	v_cndmask_b32_e64 v63, v45, v47, s2
	v_cndmask_b32_e64 v64, v46, v48, s2
	ds_load_b32 v48, v49 offset:2192
	s_waitcnt lgkmcnt(0)
	v_cndmask_b32_e32 v46, 0, v63, vcc_lo
	s_barrier
	v_cndmask_b32_e32 v45, 0, v64, vcc_lo
	buffer_gl0_inv
	ds_load_b64 v[100:101], v49 offset:2056
	v_add_co_u32 v59, vcc_lo, v46, v41
	v_add_co_ci_u32_e32 v60, vcc_lo, v45, v42, vcc_lo
	s_delay_alu instid0(VALU_DEP_2) | instskip(NEXT) | instid1(VALU_DEP_2)
	v_cndmask_b32_e64 v45, 0, v59, s13
	v_cndmask_b32_e64 v46, 0, v60, s13
	s_delay_alu instid0(VALU_DEP_2) | instskip(NEXT) | instid1(VALU_DEP_2)
	v_add_co_u32 v65, vcc_lo, v45, v39
	v_add_co_ci_u32_e32 v66, vcc_lo, v46, v40, vcc_lo
	v_add_nc_u32_e32 v98, v48, v50
	s_delay_alu instid0(VALU_DEP_3) | instskip(NEXT) | instid1(VALU_DEP_3)
	v_cndmask_b32_e64 v45, 0, v65, s12
	v_cndmask_b32_e64 v46, 0, v66, s12
	s_delay_alu instid0(VALU_DEP_2) | instskip(NEXT) | instid1(VALU_DEP_2)
	v_add_co_u32 v69, vcc_lo, v45, v37
	v_add_co_ci_u32_e32 v70, vcc_lo, v46, v38, vcc_lo
	s_delay_alu instid0(VALU_DEP_2) | instskip(NEXT) | instid1(VALU_DEP_2)
	v_cndmask_b32_e64 v45, 0, v69, s11
	v_cndmask_b32_e64 v46, 0, v70, s11
	s_delay_alu instid0(VALU_DEP_2) | instskip(NEXT) | instid1(VALU_DEP_2)
	v_add_co_u32 v51, vcc_lo, v45, v35
	v_add_co_ci_u32_e32 v52, vcc_lo, v46, v36, vcc_lo
	s_delay_alu instid0(VALU_DEP_2) | instskip(NEXT) | instid1(VALU_DEP_2)
	;; [unrolled: 6-line block ×7, first 2 shown]
	v_cndmask_b32_e64 v45, 0, v53, s5
	v_cndmask_b32_e64 v46, 0, v54, s5
	s_delay_alu instid0(VALU_DEP_2) | instskip(NEXT) | instid1(VALU_DEP_2)
	v_add_co_u32 v57, vcc_lo, v45, v25
	v_add_co_ci_u32_e32 v58, vcc_lo, v46, v26, vcc_lo
	ds_load_b32 v45, v49 offset:2048
	v_cndmask_b32_e64 v46, 0, v57, s4
	v_cndmask_b32_e64 v47, 0, v58, s4
	s_delay_alu instid0(VALU_DEP_2) | instskip(NEXT) | instid1(VALU_DEP_2)
	v_add_co_u32 v73, vcc_lo, v46, v21
	v_add_co_ci_u32_e32 v74, vcc_lo, v47, v22, vcc_lo
	ds_load_b64 v[46:47], v49 offset:2072
	v_cndmask_b32_e64 v75, 0, v73, s3
	ds_load_b32 v49, v49 offset:2064
	v_cndmask_b32_e64 v76, 0, v74, s3
	v_add_co_u32 v75, vcc_lo, v75, v19
	s_delay_alu instid0(VALU_DEP_2) | instskip(SKIP_2) | instid1(VALU_DEP_3)
	v_add_co_ci_u32_e32 v76, vcc_lo, v76, v20, vcc_lo
	s_waitcnt lgkmcnt(2)
	v_cmp_eq_u32_e32 vcc_lo, 0, v45
	v_cndmask_b32_e64 v77, 0, v75, s1
	s_delay_alu instid0(VALU_DEP_3) | instskip(NEXT) | instid1(VALU_DEP_2)
	v_cndmask_b32_e64 v78, 0, v76, s1
	v_add_co_u32 v77, s1, v77, v17
	s_delay_alu instid0(VALU_DEP_1)
	v_add_co_ci_u32_e64 v78, s1, v78, v18, s1
	s_waitcnt lgkmcnt(1)
	v_cndmask_b32_e32 v46, 0, v46, vcc_lo
	v_cndmask_b32_e32 v102, 0, v47, vcc_lo
	v_cndmask_b32_e64 v79, 0, v77, s0
	v_cndmask_b32_e64 v80, 0, v78, s0
	s_delay_alu instid0(VALU_DEP_4) | instskip(NEXT) | instid1(VALU_DEP_4)
	v_add_co_u32 v47, vcc_lo, v46, v100
	v_add_co_ci_u32_e32 v48, vcc_lo, v102, v101, vcc_lo
	s_branch .LBB1019_169
.LBB1019_141:
                                        ; implicit-def: $vgpr45
                                        ; implicit-def: $vgpr47_vgpr48
                                        ; implicit-def: $vgpr49
                                        ; implicit-def: $vgpr63_vgpr64
                                        ; implicit-def: $vgpr59_vgpr60
                                        ; implicit-def: $vgpr65_vgpr66
                                        ; implicit-def: $vgpr69_vgpr70
                                        ; implicit-def: $vgpr51_vgpr52
                                        ; implicit-def: $vgpr55_vgpr56
                                        ; implicit-def: $vgpr61_vgpr62
                                        ; implicit-def: $vgpr67_vgpr68
                                        ; implicit-def: $vgpr71_vgpr72
                                        ; implicit-def: $vgpr53_vgpr54
                                        ; implicit-def: $vgpr57_vgpr58
                                        ; implicit-def: $vgpr73_vgpr74
                                        ; implicit-def: $vgpr75_vgpr76
                                        ; implicit-def: $vgpr77_vgpr78
                                        ; implicit-def: $vgpr79_vgpr80
                                        ; implicit-def: $vgpr98
	s_cbranch_execz .LBB1019_169
; %bb.142:
	s_and_b32 s0, s15, exec_lo
	s_waitcnt lgkmcnt(0)
	v_dual_mov_b32 v50, v42 :: v_dual_mov_b32 v49, v41
	s_cselect_b32 s1, 0, s19
	s_cselect_b32 s0, 0, s18
	s_delay_alu instid0(SALU_CYCLE_1)
	s_cmp_eq_u64 s[0:1], 0
	s_cbranch_scc1 .LBB1019_144
; %bb.143:
	v_mov_b32_e32 v45, 0
	global_load_b64 v[49:50], v45, s[0:1]
.LBB1019_144:
	v_cmp_eq_u32_e64 s12, 0, v95
	v_cmp_eq_u32_e64 s11, 0, v94
	;; [unrolled: 1-line block ×5, first 2 shown]
	v_cndmask_b32_e64 v46, 0, v41, s12
	v_cndmask_b32_e64 v45, 0, v42, s12
	v_cmp_eq_u32_e64 s7, 0, v90
	v_cmp_eq_u32_e64 s6, 0, v89
	;; [unrolled: 1-line block ×3, first 2 shown]
	v_add_co_u32 v46, vcc_lo, v46, v39
	v_add_co_ci_u32_e32 v45, vcc_lo, v45, v40, vcc_lo
	v_cmp_eq_u32_e64 s4, 0, v86
	s_delay_alu instid0(VALU_DEP_3) | instskip(SKIP_1) | instid1(VALU_DEP_4)
	v_cndmask_b32_e64 v46, 0, v46, s11
	v_cmp_eq_u32_e64 s3, 0, v85
	v_cndmask_b32_e64 v45, 0, v45, s11
	v_cmp_eq_u32_e64 s1, 0, v83
	v_add3_u32 v47, v99, v91, v90
	v_add_co_u32 v46, vcc_lo, v46, v37
	s_delay_alu instid0(VALU_DEP_4) | instskip(NEXT) | instid1(VALU_DEP_3)
	v_add_co_ci_u32_e32 v45, vcc_lo, v45, v38, vcc_lo
	v_add3_u32 v47, v47, v89, v87
	s_delay_alu instid0(VALU_DEP_3) | instskip(SKIP_1) | instid1(VALU_DEP_3)
	v_cndmask_b32_e64 v46, 0, v46, s10
	s_mov_b32 s14, exec_lo
	v_cndmask_b32_e64 v45, 0, v45, s10
	s_delay_alu instid0(VALU_DEP_3) | instskip(NEXT) | instid1(VALU_DEP_3)
	v_add3_u32 v47, v47, v86, v85
	v_add_co_u32 v46, vcc_lo, v46, v35
	s_delay_alu instid0(VALU_DEP_3) | instskip(NEXT) | instid1(VALU_DEP_3)
	v_add_co_ci_u32_e32 v45, vcc_lo, v45, v36, vcc_lo
	v_add3_u32 v47, v47, v84, v83
	s_delay_alu instid0(VALU_DEP_3) | instskip(NEXT) | instid1(VALU_DEP_3)
	v_cndmask_b32_e64 v46, 0, v46, s9
	v_cndmask_b32_e64 v45, 0, v45, s9
	s_delay_alu instid0(VALU_DEP_3) | instskip(NEXT) | instid1(VALU_DEP_3)
	v_add3_u32 v47, v47, v82, v88
	v_add_co_u32 v46, vcc_lo, v46, v33
	s_delay_alu instid0(VALU_DEP_3) | instskip(NEXT) | instid1(VALU_DEP_2)
	v_add_co_ci_u32_e32 v45, vcc_lo, v45, v34, vcc_lo
	v_cndmask_b32_e64 v46, 0, v46, s8
	s_delay_alu instid0(VALU_DEP_2) | instskip(NEXT) | instid1(VALU_DEP_2)
	v_cndmask_b32_e64 v45, 0, v45, s8
	v_add_co_u32 v46, vcc_lo, v46, v31
	s_delay_alu instid0(VALU_DEP_2) | instskip(NEXT) | instid1(VALU_DEP_2)
	v_add_co_ci_u32_e32 v45, vcc_lo, v45, v32, vcc_lo
	v_cndmask_b32_e64 v46, 0, v46, s7
	s_delay_alu instid0(VALU_DEP_2) | instskip(NEXT) | instid1(VALU_DEP_2)
	v_cndmask_b32_e64 v45, 0, v45, s7
	v_add_co_u32 v46, vcc_lo, v46, v27
	s_delay_alu instid0(VALU_DEP_2) | instskip(NEXT) | instid1(VALU_DEP_2)
	v_add_co_ci_u32_e32 v45, vcc_lo, v45, v28, vcc_lo
	v_cndmask_b32_e64 v46, 0, v46, s6
	s_delay_alu instid0(VALU_DEP_2) | instskip(NEXT) | instid1(VALU_DEP_2)
	v_cndmask_b32_e64 v45, 0, v45, s6
	v_add_co_u32 v46, vcc_lo, v46, v23
	s_delay_alu instid0(VALU_DEP_2) | instskip(NEXT) | instid1(VALU_DEP_2)
	v_add_co_ci_u32_e32 v45, vcc_lo, v45, v24, vcc_lo
	v_cndmask_b32_e64 v46, 0, v46, s5
	s_delay_alu instid0(VALU_DEP_2) | instskip(NEXT) | instid1(VALU_DEP_2)
	v_cndmask_b32_e64 v45, 0, v45, s5
	v_add_co_u32 v46, vcc_lo, v46, v29
	s_delay_alu instid0(VALU_DEP_2) | instskip(NEXT) | instid1(VALU_DEP_2)
	v_add_co_ci_u32_e32 v45, vcc_lo, v45, v30, vcc_lo
	v_cndmask_b32_e64 v46, 0, v46, s4
	s_delay_alu instid0(VALU_DEP_2) | instskip(NEXT) | instid1(VALU_DEP_2)
	v_cndmask_b32_e64 v45, 0, v45, s4
	v_add_co_u32 v46, vcc_lo, v46, v25
	s_delay_alu instid0(VALU_DEP_2) | instskip(NEXT) | instid1(VALU_DEP_2)
	v_add_co_ci_u32_e32 v45, vcc_lo, v45, v26, vcc_lo
	v_cndmask_b32_e64 v46, 0, v46, s3
	s_delay_alu instid0(VALU_DEP_2) | instskip(NEXT) | instid1(VALU_DEP_2)
	v_cndmask_b32_e64 v45, 0, v45, s3
	v_add_co_u32 v46, vcc_lo, v46, v21
	s_delay_alu instid0(VALU_DEP_2) | instskip(SKIP_1) | instid1(VALU_DEP_2)
	v_add_co_ci_u32_e32 v45, vcc_lo, v45, v22, vcc_lo
	v_cmp_eq_u32_e32 vcc_lo, 0, v84
	v_dual_cndmask_b32 v45, 0, v45 :: v_dual_cndmask_b32 v46, 0, v46
	s_delay_alu instid0(VALU_DEP_1) | instskip(NEXT) | instid1(VALU_DEP_1)
	v_add_co_u32 v46, s0, v46, v19
	v_add_co_ci_u32_e64 v45, s0, v45, v20, s0
	s_delay_alu instid0(VALU_DEP_2) | instskip(NEXT) | instid1(VALU_DEP_2)
	v_cndmask_b32_e64 v46, 0, v46, s1
	v_cndmask_b32_e64 v45, 0, v45, s1
	s_delay_alu instid0(VALU_DEP_2) | instskip(NEXT) | instid1(VALU_DEP_1)
	v_add_co_u32 v46, s0, v46, v17
	v_add_co_ci_u32_e64 v45, s0, v45, v18, s0
	v_cmp_eq_u32_e64 s0, 0, v82
	s_delay_alu instid0(VALU_DEP_1) | instskip(NEXT) | instid1(VALU_DEP_3)
	v_cndmask_b32_e64 v46, 0, v46, s0
	v_cndmask_b32_e64 v45, 0, v45, s0
	s_delay_alu instid0(VALU_DEP_2) | instskip(NEXT) | instid1(VALU_DEP_1)
	v_add_co_u32 v46, s13, v46, v15
	v_add_co_ci_u32_e64 v45, s13, v45, v16, s13
	v_cmp_eq_u32_e64 s13, 0, v88
	s_delay_alu instid0(VALU_DEP_1) | instskip(NEXT) | instid1(VALU_DEP_3)
	v_cndmask_b32_e64 v46, 0, v46, s13
	v_cndmask_b32_e64 v45, 0, v45, s13
	s_delay_alu instid0(VALU_DEP_2) | instskip(NEXT) | instid1(VALU_DEP_1)
	v_add_co_u32 v43, s13, v46, v43
	v_add_co_ci_u32_e64 v44, s13, v45, v44, s13
	v_and_b32_e32 v45, 15, v97
	v_mov_b32_dpp v46, v47 row_shr:1 row_mask:0xf bank_mask:0xf
	s_delay_alu instid0(VALU_DEP_4) | instskip(NEXT) | instid1(VALU_DEP_4)
	v_mov_b32_dpp v48, v43 row_shr:1 row_mask:0xf bank_mask:0xf
	v_mov_b32_dpp v51, v44 row_shr:1 row_mask:0xf bank_mask:0xf
	s_delay_alu instid0(VALU_DEP_4)
	v_cmpx_ne_u32_e32 0, v45
; %bb.145:
	v_cmp_eq_u32_e64 s13, 0, v47
	v_add_nc_u32_e32 v47, v46, v47
	s_delay_alu instid0(VALU_DEP_2) | instskip(SKIP_1) | instid1(VALU_DEP_2)
	v_cndmask_b32_e64 v48, 0, v48, s13
	v_cndmask_b32_e64 v51, 0, v51, s13
	v_add_co_u32 v43, s13, v48, v43
	s_delay_alu instid0(VALU_DEP_1)
	v_add_co_ci_u32_e64 v44, s13, v51, v44, s13
; %bb.146:
	s_or_b32 exec_lo, exec_lo, s14
	v_mov_b32_dpp v46, v47 row_shr:2 row_mask:0xf bank_mask:0xf
	s_delay_alu instid0(VALU_DEP_3) | instskip(NEXT) | instid1(VALU_DEP_3)
	v_mov_b32_dpp v48, v43 row_shr:2 row_mask:0xf bank_mask:0xf
	v_mov_b32_dpp v51, v44 row_shr:2 row_mask:0xf bank_mask:0xf
	s_mov_b32 s14, exec_lo
	v_cmpx_lt_u32_e32 1, v45
; %bb.147:
	v_cmp_eq_u32_e64 s13, 0, v47
	v_add_nc_u32_e32 v47, v46, v47
	s_delay_alu instid0(VALU_DEP_2) | instskip(SKIP_1) | instid1(VALU_DEP_2)
	v_cndmask_b32_e64 v48, 0, v48, s13
	v_cndmask_b32_e64 v51, 0, v51, s13
	v_add_co_u32 v43, s13, v48, v43
	s_delay_alu instid0(VALU_DEP_1)
	v_add_co_ci_u32_e64 v44, s13, v51, v44, s13
; %bb.148:
	s_or_b32 exec_lo, exec_lo, s14
	v_mov_b32_dpp v46, v47 row_shr:4 row_mask:0xf bank_mask:0xf
	s_delay_alu instid0(VALU_DEP_3) | instskip(NEXT) | instid1(VALU_DEP_3)
	v_mov_b32_dpp v48, v43 row_shr:4 row_mask:0xf bank_mask:0xf
	v_mov_b32_dpp v51, v44 row_shr:4 row_mask:0xf bank_mask:0xf
	s_mov_b32 s14, exec_lo
	v_cmpx_lt_u32_e32 3, v45
; %bb.149:
	v_cmp_eq_u32_e64 s13, 0, v47
	v_add_nc_u32_e32 v47, v46, v47
	s_delay_alu instid0(VALU_DEP_2) | instskip(SKIP_1) | instid1(VALU_DEP_2)
	v_cndmask_b32_e64 v48, 0, v48, s13
	v_cndmask_b32_e64 v51, 0, v51, s13
	v_add_co_u32 v43, s13, v48, v43
	s_delay_alu instid0(VALU_DEP_1)
	v_add_co_ci_u32_e64 v44, s13, v51, v44, s13
; %bb.150:
	s_or_b32 exec_lo, exec_lo, s14
	v_mov_b32_dpp v46, v47 row_shr:8 row_mask:0xf bank_mask:0xf
	s_delay_alu instid0(VALU_DEP_3) | instskip(NEXT) | instid1(VALU_DEP_3)
	v_mov_b32_dpp v48, v43 row_shr:8 row_mask:0xf bank_mask:0xf
	v_mov_b32_dpp v51, v44 row_shr:8 row_mask:0xf bank_mask:0xf
	s_mov_b32 s14, exec_lo
	v_cmpx_lt_u32_e32 7, v45
; %bb.151:
	v_cmp_eq_u32_e64 s13, 0, v47
	v_add_nc_u32_e32 v47, v46, v47
	s_delay_alu instid0(VALU_DEP_2) | instskip(SKIP_1) | instid1(VALU_DEP_2)
	v_cndmask_b32_e64 v48, 0, v48, s13
	v_cndmask_b32_e64 v45, 0, v51, s13
	v_add_co_u32 v43, s13, v48, v43
	s_delay_alu instid0(VALU_DEP_1)
	v_add_co_ci_u32_e64 v44, s13, v45, v44, s13
; %bb.152:
	s_or_b32 exec_lo, exec_lo, s14
	ds_swizzle_b32 v45, v47 offset:swizzle(BROADCAST,32,15)
	ds_swizzle_b32 v46, v43 offset:swizzle(BROADCAST,32,15)
	;; [unrolled: 1-line block ×3, first 2 shown]
	v_and_b32_e32 v51, 16, v97
	s_mov_b32 s14, exec_lo
	s_delay_alu instid0(VALU_DEP_1)
	v_cmpx_ne_u32_e32 0, v51
	s_cbranch_execz .LBB1019_154
; %bb.153:
	v_cmp_eq_u32_e64 s13, 0, v47
	s_waitcnt lgkmcnt(2)
	v_add_nc_u32_e32 v47, v45, v47
	s_waitcnt lgkmcnt(1)
	s_delay_alu instid0(VALU_DEP_2) | instskip(SKIP_2) | instid1(VALU_DEP_2)
	v_cndmask_b32_e64 v46, 0, v46, s13
	s_waitcnt lgkmcnt(0)
	v_cndmask_b32_e64 v48, 0, v48, s13
	v_add_co_u32 v43, s13, v46, v43
	s_delay_alu instid0(VALU_DEP_1)
	v_add_co_ci_u32_e64 v44, s13, v48, v44, s13
.LBB1019_154:
	s_or_b32 exec_lo, exec_lo, s14
	s_waitcnt lgkmcnt(1)
	v_lshrrev_b32_e32 v46, 5, v0
	v_or_b32_e32 v45, 31, v0
	s_mov_b32 s14, exec_lo
	s_waitcnt lgkmcnt(0)
	s_delay_alu instid0(VALU_DEP_2) | instskip(NEXT) | instid1(VALU_DEP_2)
	v_lshlrev_b32_e32 v48, 4, v46
	v_cmpx_eq_u32_e64 v45, v0
	s_cbranch_execz .LBB1019_156
; %bb.155:
	ds_store_b32 v48, v47 offset:2080
	ds_store_b64 v48, v[43:44] offset:2088
.LBB1019_156:
	s_or_b32 exec_lo, exec_lo, s14
	s_delay_alu instid0(SALU_CYCLE_1)
	s_mov_b32 s14, exec_lo
	s_waitcnt vmcnt(0) lgkmcnt(0)
	s_barrier
	buffer_gl0_inv
	v_cmpx_gt_u32_e32 8, v0
	s_cbranch_execz .LBB1019_164
; %bb.157:
	v_lshlrev_b32_e32 v51, 4, v0
	v_and_b32_e32 v53, 7, v97
	s_mov_b32 s16, exec_lo
	ds_load_b32 v52, v51 offset:2080
	ds_load_b64 v[45:46], v51 offset:2088
	s_waitcnt lgkmcnt(1)
	v_mov_b32_dpp v54, v52 row_shr:1 row_mask:0xf bank_mask:0xf
	s_waitcnt lgkmcnt(0)
	v_mov_b32_dpp v55, v45 row_shr:1 row_mask:0xf bank_mask:0xf
	v_mov_b32_dpp v56, v46 row_shr:1 row_mask:0xf bank_mask:0xf
	v_cmpx_ne_u32_e32 0, v53
; %bb.158:
	v_cmp_eq_u32_e64 s13, 0, v52
	v_add_nc_u32_e32 v52, v54, v52
	s_delay_alu instid0(VALU_DEP_2) | instskip(SKIP_1) | instid1(VALU_DEP_2)
	v_cndmask_b32_e64 v55, 0, v55, s13
	v_cndmask_b32_e64 v56, 0, v56, s13
	v_add_co_u32 v45, s13, v55, v45
	s_delay_alu instid0(VALU_DEP_1)
	v_add_co_ci_u32_e64 v46, s13, v56, v46, s13
; %bb.159:
	s_or_b32 exec_lo, exec_lo, s16
	v_mov_b32_dpp v54, v52 row_shr:2 row_mask:0xf bank_mask:0xf
	s_delay_alu instid0(VALU_DEP_3) | instskip(NEXT) | instid1(VALU_DEP_3)
	v_mov_b32_dpp v55, v45 row_shr:2 row_mask:0xf bank_mask:0xf
	v_mov_b32_dpp v56, v46 row_shr:2 row_mask:0xf bank_mask:0xf
	s_mov_b32 s16, exec_lo
	v_cmpx_lt_u32_e32 1, v53
; %bb.160:
	v_cmp_eq_u32_e64 s13, 0, v52
	v_add_nc_u32_e32 v52, v54, v52
	s_delay_alu instid0(VALU_DEP_2) | instskip(SKIP_1) | instid1(VALU_DEP_2)
	v_cndmask_b32_e64 v55, 0, v55, s13
	v_cndmask_b32_e64 v56, 0, v56, s13
	v_add_co_u32 v45, s13, v55, v45
	s_delay_alu instid0(VALU_DEP_1)
	v_add_co_ci_u32_e64 v46, s13, v56, v46, s13
; %bb.161:
	s_or_b32 exec_lo, exec_lo, s16
	v_mov_b32_dpp v54, v52 row_shr:4 row_mask:0xf bank_mask:0xf
	s_delay_alu instid0(VALU_DEP_3) | instskip(NEXT) | instid1(VALU_DEP_3)
	v_mov_b32_dpp v55, v45 row_shr:4 row_mask:0xf bank_mask:0xf
	v_mov_b32_dpp v56, v46 row_shr:4 row_mask:0xf bank_mask:0xf
	s_mov_b32 s16, exec_lo
	v_cmpx_lt_u32_e32 3, v53
; %bb.162:
	v_cmp_eq_u32_e64 s13, 0, v52
	v_add_nc_u32_e32 v52, v54, v52
	s_delay_alu instid0(VALU_DEP_2) | instskip(SKIP_1) | instid1(VALU_DEP_2)
	v_cndmask_b32_e64 v55, 0, v55, s13
	v_cndmask_b32_e64 v53, 0, v56, s13
	v_add_co_u32 v45, s13, v55, v45
	s_delay_alu instid0(VALU_DEP_1)
	v_add_co_ci_u32_e64 v46, s13, v53, v46, s13
; %bb.163:
	s_or_b32 exec_lo, exec_lo, s16
	ds_store_b32 v51, v52 offset:2080
	ds_store_b64 v51, v[45:46] offset:2088
.LBB1019_164:
	s_or_b32 exec_lo, exec_lo, s14
	v_mov_b32_e32 v45, v49
	v_dual_mov_b32 v75, 0 :: v_dual_mov_b32 v46, v50
	v_mov_b32_e32 v51, 0
	s_mov_b32 s14, exec_lo
	s_waitcnt lgkmcnt(0)
	s_barrier
	buffer_gl0_inv
	v_cmpx_lt_u32_e32 31, v0
	s_cbranch_execz .LBB1019_166
; %bb.165:
	ds_load_b32 v51, v48 offset:2064
	ds_load_b64 v[45:46], v48 offset:2072
	s_waitcnt lgkmcnt(1)
	v_cmp_eq_u32_e64 s13, 0, v51
	s_delay_alu instid0(VALU_DEP_1) | instskip(SKIP_2) | instid1(VALU_DEP_2)
	v_cndmask_b32_e64 v52, 0, v49, s13
	v_cndmask_b32_e64 v48, 0, v50, s13
	s_waitcnt lgkmcnt(0)
	v_add_co_u32 v45, s13, v52, v45
	s_delay_alu instid0(VALU_DEP_1)
	v_add_co_ci_u32_e64 v46, s13, v48, v46, s13
.LBB1019_166:
	s_or_b32 exec_lo, exec_lo, s14
	v_add_nc_u32_e32 v48, -1, v97
	v_cmp_eq_u32_e64 s13, 0, v47
	v_add_nc_u32_e32 v47, v51, v47
	s_delay_alu instid0(VALU_DEP_3) | instskip(NEXT) | instid1(VALU_DEP_3)
	v_cmp_gt_i32_e64 s14, 0, v48
	v_cndmask_b32_e64 v53, 0, v45, s13
	v_cndmask_b32_e64 v52, 0, v46, s13
	s_delay_alu instid0(VALU_DEP_3) | instskip(NEXT) | instid1(VALU_DEP_3)
	v_cndmask_b32_e64 v48, v48, v97, s14
	v_add_co_u32 v43, s13, v53, v43
	s_delay_alu instid0(VALU_DEP_1) | instskip(NEXT) | instid1(VALU_DEP_3)
	v_add_co_ci_u32_e64 v44, s13, v52, v44, s13
	v_lshlrev_b32_e32 v48, 2, v48
	v_cmp_eq_u32_e64 s13, 0, v97
	ds_bpermute_b32 v43, v48, v43
	ds_bpermute_b32 v44, v48, v44
	;; [unrolled: 1-line block ×3, first 2 shown]
	s_waitcnt lgkmcnt(2)
	v_cndmask_b32_e64 v63, v43, v45, s13
	s_waitcnt lgkmcnt(1)
	v_cndmask_b32_e64 v64, v44, v46, s13
	s_waitcnt lgkmcnt(0)
	v_cndmask_b32_e64 v98, v47, v51, s13
	v_cmp_eq_u32_e64 s13, 0, v96
	ds_load_b32 v45, v75 offset:2192
	v_cndmask_b32_e64 v43, v63, v49, s2
	v_cndmask_b32_e64 v44, v64, v50, s2
	s_delay_alu instid0(VALU_DEP_2) | instskip(NEXT) | instid1(VALU_DEP_2)
	v_cndmask_b32_e64 v43, 0, v43, s13
	v_cndmask_b32_e64 v44, 0, v44, s13
	s_delay_alu instid0(VALU_DEP_2) | instskip(NEXT) | instid1(VALU_DEP_1)
	v_add_co_u32 v59, s13, v43, v41
	v_add_co_ci_u32_e64 v60, s13, v44, v42, s13
	s_delay_alu instid0(VALU_DEP_2) | instskip(NEXT) | instid1(VALU_DEP_2)
	v_cndmask_b32_e64 v41, 0, v59, s12
	v_cndmask_b32_e64 v42, 0, v60, s12
	s_delay_alu instid0(VALU_DEP_2) | instskip(NEXT) | instid1(VALU_DEP_1)
	v_add_co_u32 v65, s12, v41, v39
	v_add_co_ci_u32_e64 v66, s12, v42, v40, s12
	s_delay_alu instid0(VALU_DEP_2) | instskip(NEXT) | instid1(VALU_DEP_2)
	v_cndmask_b32_e64 v39, 0, v65, s11
	v_cndmask_b32_e64 v40, 0, v66, s11
	s_delay_alu instid0(VALU_DEP_2) | instskip(NEXT) | instid1(VALU_DEP_1)
	v_add_co_u32 v69, s11, v39, v37
	v_add_co_ci_u32_e64 v70, s11, v40, v38, s11
	s_delay_alu instid0(VALU_DEP_2) | instskip(NEXT) | instid1(VALU_DEP_2)
	v_cndmask_b32_e64 v37, 0, v69, s10
	v_cndmask_b32_e64 v38, 0, v70, s10
	s_delay_alu instid0(VALU_DEP_2) | instskip(NEXT) | instid1(VALU_DEP_1)
	v_add_co_u32 v51, s10, v37, v35
	v_add_co_ci_u32_e64 v52, s10, v38, v36, s10
	s_delay_alu instid0(VALU_DEP_2) | instskip(NEXT) | instid1(VALU_DEP_2)
	v_cndmask_b32_e64 v35, 0, v51, s9
	v_cndmask_b32_e64 v36, 0, v52, s9
	s_delay_alu instid0(VALU_DEP_2) | instskip(NEXT) | instid1(VALU_DEP_1)
	v_add_co_u32 v55, s9, v35, v33
	v_add_co_ci_u32_e64 v56, s9, v36, v34, s9
	s_delay_alu instid0(VALU_DEP_2) | instskip(NEXT) | instid1(VALU_DEP_2)
	v_cndmask_b32_e64 v33, 0, v55, s8
	v_cndmask_b32_e64 v34, 0, v56, s8
	s_delay_alu instid0(VALU_DEP_2) | instskip(NEXT) | instid1(VALU_DEP_1)
	v_add_co_u32 v61, s8, v33, v31
	v_add_co_ci_u32_e64 v62, s8, v34, v32, s8
	s_delay_alu instid0(VALU_DEP_2) | instskip(NEXT) | instid1(VALU_DEP_2)
	v_cndmask_b32_e64 v31, 0, v61, s7
	v_cndmask_b32_e64 v32, 0, v62, s7
	s_delay_alu instid0(VALU_DEP_2) | instskip(NEXT) | instid1(VALU_DEP_1)
	v_add_co_u32 v67, s7, v31, v27
	v_add_co_ci_u32_e64 v68, s7, v32, v28, s7
	s_delay_alu instid0(VALU_DEP_2) | instskip(NEXT) | instid1(VALU_DEP_2)
	v_cndmask_b32_e64 v27, 0, v67, s6
	v_cndmask_b32_e64 v28, 0, v68, s6
	s_delay_alu instid0(VALU_DEP_2) | instskip(NEXT) | instid1(VALU_DEP_1)
	v_add_co_u32 v71, s6, v27, v23
	v_add_co_ci_u32_e64 v72, s6, v28, v24, s6
	s_delay_alu instid0(VALU_DEP_2) | instskip(NEXT) | instid1(VALU_DEP_2)
	v_cndmask_b32_e64 v23, 0, v71, s5
	v_cndmask_b32_e64 v24, 0, v72, s5
	s_delay_alu instid0(VALU_DEP_2) | instskip(NEXT) | instid1(VALU_DEP_1)
	v_add_co_u32 v53, s5, v23, v29
	v_add_co_ci_u32_e64 v54, s5, v24, v30, s5
	s_delay_alu instid0(VALU_DEP_2) | instskip(NEXT) | instid1(VALU_DEP_2)
	v_cndmask_b32_e64 v23, 0, v53, s4
	v_cndmask_b32_e64 v24, 0, v54, s4
	s_delay_alu instid0(VALU_DEP_2) | instskip(NEXT) | instid1(VALU_DEP_1)
	v_add_co_u32 v57, s4, v23, v25
	v_add_co_ci_u32_e64 v58, s4, v24, v26, s4
	s_delay_alu instid0(VALU_DEP_2) | instskip(NEXT) | instid1(VALU_DEP_2)
	v_cndmask_b32_e64 v23, 0, v57, s3
	v_cndmask_b32_e64 v24, 0, v58, s3
	s_delay_alu instid0(VALU_DEP_2) | instskip(NEXT) | instid1(VALU_DEP_1)
	v_add_co_u32 v73, s3, v23, v21
	v_add_co_ci_u32_e64 v74, s3, v24, v22, s3
	ds_load_b64 v[21:22], v75 offset:2200
	v_dual_cndmask_b32 v23, 0, v73 :: v_dual_cndmask_b32 v24, 0, v74
	s_delay_alu instid0(VALU_DEP_1) | instskip(NEXT) | instid1(VALU_DEP_2)
	v_add_co_u32 v75, vcc_lo, v23, v19
	v_add_co_ci_u32_e32 v76, vcc_lo, v24, v20, vcc_lo
	s_waitcnt lgkmcnt(1)
	v_cmp_eq_u32_e32 vcc_lo, 0, v45
	s_delay_alu instid0(VALU_DEP_3) | instskip(NEXT) | instid1(VALU_DEP_3)
	v_cndmask_b32_e64 v19, 0, v75, s1
	v_cndmask_b32_e64 v20, 0, v76, s1
	s_delay_alu instid0(VALU_DEP_2) | instskip(NEXT) | instid1(VALU_DEP_1)
	v_add_co_u32 v77, s1, v19, v17
	v_add_co_ci_u32_e64 v78, s1, v20, v18, s1
	v_dual_cndmask_b32 v18, 0, v49 :: v_dual_cndmask_b32 v17, 0, v50
	s_delay_alu instid0(VALU_DEP_3) | instskip(NEXT) | instid1(VALU_DEP_3)
	v_cndmask_b32_e64 v79, 0, v77, s0
	v_cndmask_b32_e64 v80, 0, v78, s0
	s_waitcnt lgkmcnt(0)
	s_delay_alu instid0(VALU_DEP_3)
	v_add_co_u32 v47, vcc_lo, v18, v21
	v_add_co_ci_u32_e32 v48, vcc_lo, v17, v22, vcc_lo
	s_and_saveexec_b32 s0, s2
	s_cbranch_execz .LBB1019_168
; %bb.167:
	v_dual_mov_b32 v98, 0 :: v_dual_mov_b32 v17, 2
	v_dual_mov_b32 v64, v50 :: v_dual_mov_b32 v63, v49
	s_clause 0x1
	global_store_b32 v98, v45, s[38:39] offset:512
	global_store_b64 v98, v[47:48], s[38:39] offset:520
	s_waitcnt_vscnt null, 0x0
	buffer_gl1_inv
	buffer_gl0_inv
	global_store_b8 v98, v17, s[40:41] offset:32
.LBB1019_168:
	s_or_b32 exec_lo, exec_lo, s0
	v_mov_b32_e32 v49, 0
.LBB1019_169:
	v_mov_b32_e32 v17, 0
	s_and_b32 s0, s15, exec_lo
	v_mov_b32_e32 v18, 0
	s_cselect_b32 s1, 0, s51
	s_cselect_b32 s0, 0, s50
	s_waitcnt lgkmcnt(0)
	s_waitcnt_vscnt null, 0x0
	s_cmp_eq_u64 s[0:1], 0
	s_barrier
	buffer_gl0_inv
	s_cbranch_scc1 .LBB1019_171
; %bb.170:
	v_mov_b32_e32 v17, 0
	global_load_b64 v[17:18], v17, s[0:1]
.LBB1019_171:
	v_add_nc_u32_e32 v32, v98, v96
	v_cmp_gt_u32_e32 vcc_lo, 0x100, v45
	s_delay_alu instid0(VALU_DEP_2) | instskip(SKIP_1) | instid1(VALU_DEP_1)
	v_add_nc_u32_e32 v31, v32, v95
	s_and_b32 vcc_lo, exec_lo, vcc_lo
	v_add_nc_u32_e32 v30, v31, v94
	s_delay_alu instid0(VALU_DEP_1) | instskip(NEXT) | instid1(VALU_DEP_1)
	v_add_nc_u32_e32 v29, v30, v93
	v_add_nc_u32_e32 v28, v29, v92
	s_delay_alu instid0(VALU_DEP_1) | instskip(NEXT) | instid1(VALU_DEP_1)
	v_add_nc_u32_e32 v27, v28, v91
	;; [unrolled: 3-line block ×5, first 2 shown]
	v_add_nc_u32_e32 v20, v21, v83
	s_delay_alu instid0(VALU_DEP_1)
	v_add_nc_u32_e32 v19, v20, v82
	s_cbranch_vccnz .LBB1019_220
; %bb.172:
	v_cmp_eq_u32_e32 vcc_lo, 0, v95
	v_cmp_eq_u32_e64 s0, 0, v83
	v_cmp_eq_u32_e64 s1, 0, v82
	v_cmp_ne_u32_e64 s12, 0, v96
	v_cmp_ne_u32_e64 s3, 0, v84
	v_cndmask_b32_e64 v33, 1, 2, vcc_lo
	v_cmp_eq_u32_e32 vcc_lo, 0, v96
	v_cndmask_b32_e64 v36, 1, 2, s1
	v_cmp_ne_u32_e64 s1, 0, v83
	v_cmp_ne_u32_e64 s4, 0, v85
	;; [unrolled: 1-line block ×3, first 2 shown]
	v_cndmask_b32_e64 v34, 1, 2, vcc_lo
	v_cmp_eq_u32_e32 vcc_lo, 0, v94
	v_cmp_ne_u32_e64 s6, 0, v87
	v_cmp_ne_u32_e64 s7, 0, v89
	;; [unrolled: 1-line block ×3, first 2 shown]
	v_and_b32_e32 v33, v33, v34
	v_cndmask_b32_e64 v35, 1, 2, vcc_lo
	v_cmp_eq_u32_e32 vcc_lo, 0, v93
	v_cmp_ne_u32_e64 s9, 0, v91
	v_cmp_ne_u32_e64 s10, 0, v92
	;; [unrolled: 1-line block ×3, first 2 shown]
	v_and_b32_e32 v33, v33, v35
	v_cndmask_b32_e64 v34, 1, 2, vcc_lo
	v_cmp_eq_u32_e32 vcc_lo, 0, v92
	v_cmp_ne_u32_e64 s13, 0, v94
	v_cmp_ne_u32_e64 s14, 0, v95
	s_mov_b32 s18, 0
	v_and_b32_e32 v33, v33, v34
	v_cndmask_b32_e64 v35, 1, 2, vcc_lo
	v_cmp_eq_u32_e32 vcc_lo, 0, v91
	s_mov_b32 s16, exec_lo
	s_delay_alu instid0(VALU_DEP_2) | instskip(SKIP_2) | instid1(VALU_DEP_2)
	v_and_b32_e32 v33, v33, v35
	v_cndmask_b32_e64 v34, 1, 2, vcc_lo
	v_cmp_eq_u32_e32 vcc_lo, 0, v90
	v_and_b32_e32 v33, v33, v34
	v_cndmask_b32_e64 v35, 1, 2, vcc_lo
	v_cmp_eq_u32_e32 vcc_lo, 0, v89
	s_delay_alu instid0(VALU_DEP_2) | instskip(SKIP_2) | instid1(VALU_DEP_2)
	v_and_b32_e32 v33, v33, v35
	v_cndmask_b32_e64 v34, 1, 2, vcc_lo
	v_cmp_eq_u32_e32 vcc_lo, 0, v87
	v_and_b32_e32 v33, v33, v34
	v_cndmask_b32_e64 v35, 1, 2, vcc_lo
	v_cmp_eq_u32_e32 vcc_lo, 0, v86
	;; [unrolled: 7-line block ×3, first 2 shown]
	s_delay_alu instid0(VALU_DEP_2) | instskip(SKIP_4) | instid1(VALU_DEP_4)
	v_and_b32_e32 v33, v33, v35
	v_cndmask_b32_e64 v34, 1, 2, vcc_lo
	v_cndmask_b32_e64 v35, 1, 2, s0
	v_cmp_eq_u32_e64 s0, 0, v88
	v_cmp_ne_u32_e32 vcc_lo, 0, v88
	v_and_b32_e32 v33, v33, v34
	s_delay_alu instid0(VALU_DEP_3) | instskip(SKIP_1) | instid1(VALU_DEP_3)
	v_cndmask_b32_e64 v34, 1, 2, s0
	v_cmp_ne_u32_e64 s0, 0, v82
	v_and_b32_e32 v33, v33, v35
	s_delay_alu instid0(VALU_DEP_1) | instskip(NEXT) | instid1(VALU_DEP_1)
	v_and_b32_e32 v33, v33, v36
	v_and_b32_e32 v33, v33, v34
	s_delay_alu instid0(VALU_DEP_1)
	v_cmpx_gt_i16_e32 2, v33
	s_cbranch_execz .LBB1019_219
; %bb.173:
	v_cmp_ne_u16_e64 s15, 1, v33
	s_delay_alu instid0(VALU_DEP_1) | instskip(NEXT) | instid1(SALU_CYCLE_1)
	s_and_saveexec_b32 s19, s15
	s_xor_b32 s15, exec_lo, s19
	s_cbranch_execz .LBB1019_197
; %bb.174:
	s_and_saveexec_b32 s18, s12
	s_cbranch_execz .LBB1019_202
; %bb.175:
	v_sub_nc_u32_e32 v33, v98, v49
	s_delay_alu instid0(VALU_DEP_1)
	v_lshlrev_b32_e32 v33, 2, v33
	ds_store_b32 v33, v13
	s_or_b32 exec_lo, exec_lo, s18
	s_and_saveexec_b32 s12, s14
	s_cbranch_execnz .LBB1019_203
.LBB1019_176:
	s_or_b32 exec_lo, exec_lo, s12
	s_and_saveexec_b32 s12, s13
	s_cbranch_execz .LBB1019_204
.LBB1019_177:
	v_sub_nc_u32_e32 v13, v31, v49
	s_delay_alu instid0(VALU_DEP_1)
	v_lshlrev_b32_e32 v13, 2, v13
	ds_store_b32 v13, v11
	s_or_b32 exec_lo, exec_lo, s12
	s_and_saveexec_b32 s12, s11
	s_cbranch_execnz .LBB1019_205
.LBB1019_178:
	s_or_b32 exec_lo, exec_lo, s12
	s_and_saveexec_b32 s11, s10
	s_cbranch_execz .LBB1019_206
.LBB1019_179:
	v_sub_nc_u32_e32 v11, v29, v49
	s_delay_alu instid0(VALU_DEP_1)
	v_lshlrev_b32_e32 v11, 2, v11
	ds_store_b32 v11, v9
	s_or_b32 exec_lo, exec_lo, s11
	s_and_saveexec_b32 s10, s9
	s_cbranch_execnz .LBB1019_207
.LBB1019_180:
	s_or_b32 exec_lo, exec_lo, s10
	s_and_saveexec_b32 s9, s8
	s_cbranch_execz .LBB1019_208
.LBB1019_181:
	v_sub_nc_u32_e32 v9, v27, v49
	s_delay_alu instid0(VALU_DEP_1)
	v_lshlrev_b32_e32 v9, 2, v9
	ds_store_b32 v9, v7
	s_or_b32 exec_lo, exec_lo, s9
	s_and_saveexec_b32 s8, s7
	s_cbranch_execnz .LBB1019_209
.LBB1019_182:
	s_or_b32 exec_lo, exec_lo, s8
	s_and_saveexec_b32 s7, s6
	s_cbranch_execz .LBB1019_210
.LBB1019_183:
	v_sub_nc_u32_e32 v7, v25, v49
	s_delay_alu instid0(VALU_DEP_1)
	v_lshlrev_b32_e32 v7, 2, v7
	ds_store_b32 v7, v5
	s_or_b32 exec_lo, exec_lo, s7
	s_and_saveexec_b32 s6, s5
	s_cbranch_execnz .LBB1019_211
.LBB1019_184:
	s_or_b32 exec_lo, exec_lo, s6
	s_and_saveexec_b32 s5, s4
	s_cbranch_execz .LBB1019_212
.LBB1019_185:
	v_sub_nc_u32_e32 v5, v23, v49
	s_delay_alu instid0(VALU_DEP_1)
	v_lshlrev_b32_e32 v5, 2, v5
	ds_store_b32 v5, v3
	s_or_b32 exec_lo, exec_lo, s5
	s_and_saveexec_b32 s4, s3
	s_cbranch_execnz .LBB1019_213
.LBB1019_186:
	s_or_b32 exec_lo, exec_lo, s4
	s_and_saveexec_b32 s3, s1
	s_cbranch_execz .LBB1019_214
.LBB1019_187:
	v_sub_nc_u32_e32 v3, v21, v49
	s_delay_alu instid0(VALU_DEP_1)
	v_lshlrev_b32_e32 v3, 2, v3
	ds_store_b32 v3, v1
	s_or_b32 exec_lo, exec_lo, s3
	s_and_saveexec_b32 s1, s0
	s_cbranch_execnz .LBB1019_215
	s_branch .LBB1019_216
.LBB1019_188:
	s_mov_b32 s29, 0
                                        ; implicit-def: $sgpr0
                                        ; implicit-def: $vgpr88
                                        ; implicit-def: $vgpr82
                                        ; implicit-def: $vgpr83
                                        ; implicit-def: $vgpr84
                                        ; implicit-def: $vgpr85
                                        ; implicit-def: $vgpr86
                                        ; implicit-def: $vgpr87
                                        ; implicit-def: $vgpr89
                                        ; implicit-def: $vgpr90
                                        ; implicit-def: $vgpr91
                                        ; implicit-def: $vgpr92
                                        ; implicit-def: $vgpr93
                                        ; implicit-def: $vgpr94
                                        ; implicit-def: $vgpr95
	s_cbranch_execz .LBB1019_74
; %bb.189:
	v_cmp_ne_u32_e32 vcc_lo, v2, v81
	ds_store_b32 v74, v81
	s_waitcnt lgkmcnt(0)
	s_barrier
	buffer_gl0_inv
	v_cndmask_b32_e64 v88, 0, 1, vcc_lo
	v_cmp_ne_u32_e32 vcc_lo, v1, v2
                                        ; implicit-def: $sgpr0
	v_cndmask_b32_e64 v82, 0, 1, vcc_lo
	v_cmp_ne_u32_e32 vcc_lo, v4, v1
	v_cndmask_b32_e64 v83, 0, 1, vcc_lo
	v_cmp_ne_u32_e32 vcc_lo, v3, v4
	;; [unrolled: 2-line block ×12, first 2 shown]
	v_cndmask_b32_e64 v95, 0, 1, vcc_lo
	s_and_saveexec_b32 s1, s3
	s_delay_alu instid0(SALU_CYCLE_1)
	s_xor_b32 s1, exec_lo, s1
	s_cbranch_execz .LBB1019_191
; %bb.190:
	v_add_nc_u32_e32 v50, -4, v74
	s_or_b32 s29, s29, exec_lo
	ds_load_b32 v50, v50
	s_waitcnt lgkmcnt(0)
	v_cmp_ne_u32_e32 vcc_lo, v50, v13
	s_and_b32 s0, vcc_lo, exec_lo
.LBB1019_191:
	s_or_b32 exec_lo, exec_lo, s1
	s_mov_b32 s1, 1
	s_branch .LBB1019_76
.LBB1019_192:
	s_mul_hi_u32 s0, s24, 0xfffff100
	s_mul_i32 s1, s25, 0xfffff100
	s_sub_i32 s0, s0, s24
	s_mul_i32 s4, s24, 0xfffff100
	s_add_i32 s0, s0, s1
	s_add_u32 s24, s4, s48
	s_addc_u32 s25, s0, s49
	s_and_b32 vcc_lo, exec_lo, s15
	v_cmp_ne_u32_e64 s14, v2, v81
	v_cmp_ne_u32_e64 s15, v1, v2
	;; [unrolled: 1-line block ×14, first 2 shown]
	s_cbranch_vccz .LBB1019_199
; %bb.193:
	v_add_co_u32 v72, vcc_lo, -4, v48
	v_add_co_ci_u32_e32 v73, vcc_lo, -1, v46, vcc_lo
	v_mov_b32_e32 v46, 0
	s_mov_b32 s29, -1
	s_mov_b32 s30, 0
	flat_load_b32 v75, v[72:73]
	ds_store_b32 v74, v81
	v_cmp_gt_u64_e32 vcc_lo, s[24:25], v[45:46]
	v_mov_b32_e32 v72, v46
	v_mov_b32_e32 v70, v46
	;; [unrolled: 1-line block ×5, first 2 shown]
	v_cmp_gt_u64_e64 s16, s[24:25], v[71:72]
	s_and_b32 s31, vcc_lo, s14
	v_cmp_gt_u64_e32 vcc_lo, s[24:25], v[69:70]
	v_mov_b32_e32 v62, v46
	v_mov_b32_e32 v60, v46
	v_cmp_gt_u64_e64 s14, s[24:25], v[67:68]
	s_and_b32 s33, s16, s15
	v_mov_b32_e32 v58, v46
	s_and_b32 s34, vcc_lo, s13
	v_cmp_gt_u64_e32 vcc_lo, s[24:25], v[65:66]
	v_cmp_gt_u64_e64 s13, s[24:25], v[63:64]
	v_cmp_gt_u64_e64 s15, s[24:25], v[61:62]
	;; [unrolled: 1-line block ×3, first 2 shown]
	v_mov_b32_e32 v56, v46
	v_mov_b32_e32 v54, v46
	;; [unrolled: 1-line block ×5, first 2 shown]
	s_and_b32 s14, s14, s12
	s_and_b32 s35, vcc_lo, s8
	s_and_b32 s13, s13, s9
	s_and_b32 s15, s15, s10
	s_and_b32 s16, s16, s11
	v_cmp_gt_u64_e32 vcc_lo, s[24:25], v[57:58]
	v_cmp_gt_u64_e64 s8, s[24:25], v[55:56]
	v_cmp_gt_u64_e64 s9, s[24:25], v[53:54]
	;; [unrolled: 1-line block ×5, first 2 shown]
	v_mul_u32_u24_e32 v72, 15, v0
	s_and_b32 s0, vcc_lo, s0
	s_and_b32 s8, s8, s1
	s_and_b32 s9, s9, s4
	;; [unrolled: 1-line block ×5, first 2 shown]
	s_waitcnt vmcnt(0) lgkmcnt(0)
	s_barrier
	buffer_gl0_inv
	s_and_saveexec_b32 s6, s3
	s_cbranch_execz .LBB1019_195
; %bb.194:
	v_add_nc_u32_e32 v48, -4, v74
	ds_load_b32 v75, v48
.LBB1019_195:
	s_or_b32 exec_lo, exec_lo, s6
	v_mov_b32_e32 v73, v46
	v_cndmask_b32_e64 v90, 0, 1, s0
	s_waitcnt lgkmcnt(0)
	v_cmp_ne_u32_e64 s0, v75, v13
	v_cndmask_b32_e64 v88, 0, 1, s31
	v_cndmask_b32_e64 v82, 0, 1, s33
	v_cmp_gt_u64_e32 vcc_lo, s[24:25], v[72:73]
	v_cndmask_b32_e64 v83, 0, 1, s34
	v_cndmask_b32_e64 v84, 0, 1, s14
	;; [unrolled: 1-line block ×11, first 2 shown]
	s_and_b32 s0, vcc_lo, s0
	s_and_b32 vcc_lo, exec_lo, s30
	s_cbranch_vccnz .LBB1019_200
.LBB1019_196:
                                        ; implicit-def: $sgpr1
	v_mov_b32_e32 v96, s1
	s_and_saveexec_b32 s1, s29
	s_cbranch_execnz .LBB1019_77
	s_branch .LBB1019_78
.LBB1019_197:
	s_and_not1_saveexec_b32 s0, s15
	s_cbranch_execz .LBB1019_217
.LBB1019_198:
	v_sub_nc_u32_e32 v33, v98, v49
	v_sub_nc_u32_e32 v36, v30, v49
	;; [unrolled: 1-line block ×4, first 2 shown]
	s_or_b32 s18, s18, exec_lo
	v_lshlrev_b32_e32 v33, 2, v33
	v_lshlrev_b32_e32 v36, 2, v36
	;; [unrolled: 1-line block ×4, first 2 shown]
	ds_store_b32 v33, v13
	ds_store_b32 v34, v14
	;; [unrolled: 1-line block ×3, first 2 shown]
	v_sub_nc_u32_e32 v11, v29, v49
	ds_store_b32 v36, v12
	v_sub_nc_u32_e32 v12, v28, v49
	v_sub_nc_u32_e32 v13, v27, v49
	;; [unrolled: 1-line block ×3, first 2 shown]
	v_lshlrev_b32_e32 v11, 2, v11
	v_sub_nc_u32_e32 v33, v25, v49
	v_lshlrev_b32_e32 v12, 2, v12
	v_lshlrev_b32_e32 v13, 2, v13
	;; [unrolled: 1-line block ×3, first 2 shown]
	ds_store_b32 v11, v9
	v_lshlrev_b32_e32 v9, 2, v33
	ds_store_b32 v12, v10
	ds_store_b32 v13, v7
	;; [unrolled: 1-line block ×3, first 2 shown]
	v_sub_nc_u32_e32 v7, v24, v49
	v_sub_nc_u32_e32 v10, v20, v49
	;; [unrolled: 1-line block ×3, first 2 shown]
	ds_store_b32 v9, v5
	v_sub_nc_u32_e32 v5, v23, v49
	v_lshlrev_b32_e32 v7, 2, v7
	v_sub_nc_u32_e32 v9, v21, v49
	v_lshlrev_b32_e32 v8, 2, v8
	s_delay_alu instid0(VALU_DEP_4)
	v_lshlrev_b32_e32 v5, 2, v5
	ds_store_b32 v7, v6
	v_lshlrev_b32_e32 v6, 2, v10
	v_lshlrev_b32_e32 v9, 2, v9
	ds_store_b32 v5, v3
	ds_store_b32 v8, v4
	ds_store_b32 v9, v1
	ds_store_b32 v6, v2
	s_or_b32 exec_lo, exec_lo, s0
	s_delay_alu instid0(SALU_CYCLE_1)
	s_and_b32 exec_lo, exec_lo, s18
	s_cbranch_execnz .LBB1019_218
	s_branch .LBB1019_219
.LBB1019_199:
                                        ; implicit-def: $sgpr0
                                        ; implicit-def: $vgpr88
                                        ; implicit-def: $vgpr82
                                        ; implicit-def: $vgpr83
                                        ; implicit-def: $vgpr84
                                        ; implicit-def: $vgpr85
                                        ; implicit-def: $vgpr86
                                        ; implicit-def: $vgpr87
                                        ; implicit-def: $vgpr89
                                        ; implicit-def: $vgpr90
                                        ; implicit-def: $vgpr91
                                        ; implicit-def: $vgpr92
                                        ; implicit-def: $vgpr93
                                        ; implicit-def: $vgpr94
                                        ; implicit-def: $vgpr95
	s_cbranch_execz .LBB1019_196
.LBB1019_200:
	v_mov_b32_e32 v46, 0
	v_cmp_ne_u32_e64 s0, v1, v2
	v_cmp_ne_u32_e64 s4, v4, v1
	v_cmp_ne_u32_e32 vcc_lo, v2, v81
	ds_store_b32 v74, v81
	v_mov_b32_e32 v72, v46
	v_mov_b32_e32 v70, v46
	v_cmp_gt_u64_e64 s1, s[24:25], v[45:46]
	v_mov_b32_e32 v66, v46
	v_mov_b32_e32 v68, v46
	v_cmp_gt_u64_e64 s5, s[24:25], v[71:72]
	v_cmp_gt_u64_e64 s6, s[24:25], v[69:70]
	v_mov_b32_e32 v62, v46
	s_and_b32 s1, s1, vcc_lo
	v_cmp_gt_u64_e64 s7, s[24:25], v[67:68]
	v_cndmask_b32_e64 v88, 0, 1, s1
	s_and_b32 s0, s5, s0
	v_cmp_ne_u32_e64 s1, v6, v3
	v_cndmask_b32_e64 v82, 0, 1, s0
	s_and_b32 s0, s6, s4
	v_cmp_ne_u32_e32 vcc_lo, v3, v4
	v_cndmask_b32_e64 v83, 0, 1, s0
	v_cmp_gt_u64_e64 s0, s[24:25], v[65:66]
	v_mov_b32_e32 v64, v46
	v_mov_b32_e32 v58, v46
	s_and_b32 s4, s7, vcc_lo
	v_mov_b32_e32 v60, v46
	v_cndmask_b32_e64 v84, 0, 1, s4
	s_and_b32 s0, s0, s1
	v_cmp_ne_u32_e64 s1, v8, v5
	v_cndmask_b32_e64 v85, 0, 1, s0
	v_cmp_gt_u64_e64 s0, s[24:25], v[61:62]
	v_cmp_gt_u64_e32 vcc_lo, s[24:25], v[63:64]
	v_cmp_ne_u32_e64 s4, v5, v6
	v_mov_b32_e32 v54, v46
	v_mov_b32_e32 v56, v46
	v_mov_b32_e32 v52, v46
	s_and_b32 s0, s0, s1
	s_and_b32 s4, vcc_lo, s4
	v_cndmask_b32_e64 v87, 0, 1, s0
	v_cmp_gt_u64_e64 s0, s[24:25], v[57:58]
	v_cmp_ne_u32_e64 s1, v10, v7
	v_cmp_gt_u64_e32 vcc_lo, s[24:25], v[59:60]
	v_cndmask_b32_e64 v86, 0, 1, s4
	v_cmp_ne_u32_e64 s4, v7, v8
	v_mov_b32_e32 v50, v46
	s_and_b32 s0, s0, s1
	v_cmp_ne_u32_e64 s1, v12, v9
	v_cndmask_b32_e64 v90, 0, 1, s0
	s_and_b32 s4, vcc_lo, s4
	v_cmp_gt_u64_e64 s0, s[24:25], v[53:54]
	v_cmp_gt_u64_e32 vcc_lo, s[24:25], v[55:56]
	v_cndmask_b32_e64 v89, 0, 1, s4
	v_cmp_ne_u32_e64 s4, v9, v10
	v_mov_b32_e32 v48, v46
	v_cmp_ne_u32_e64 s6, v13, v14
	s_and_b32 s0, s0, s1
	v_cmp_gt_u64_e64 s1, s[24:25], v[49:50]
	s_and_b32 s4, vcc_lo, s4
	v_cmp_gt_u64_e32 vcc_lo, s[24:25], v[51:52]
	v_cndmask_b32_e64 v92, 0, 1, s0
	v_cmp_ne_u32_e64 s0, v11, v12
	v_cndmask_b32_e64 v91, 0, 1, s4
	v_cmp_ne_u32_e64 s4, v14, v11
	v_cmp_gt_u64_e64 s5, s[24:25], v[47:48]
	s_waitcnt lgkmcnt(0)
	s_and_b32 s0, vcc_lo, s0
	s_barrier
	v_cndmask_b32_e64 v93, 0, 1, s0
	s_and_b32 s0, s1, s4
	s_mov_b32 s1, 1
	v_cndmask_b32_e64 v94, 0, 1, s0
	s_and_b32 s0, s5, s6
	buffer_gl0_inv
	v_cndmask_b32_e64 v95, 0, 1, s0
                                        ; implicit-def: $sgpr0
	s_and_saveexec_b32 s4, s3
	s_cbranch_execz .LBB1019_258
; %bb.201:
	v_add_nc_u32_e32 v45, -4, v74
	s_or_b32 s29, s29, exec_lo
	ds_load_b32 v47, v45
	v_mul_u32_u24_e32 v45, 15, v0
	s_delay_alu instid0(VALU_DEP_1) | instskip(SKIP_2) | instid1(VALU_DEP_1)
	v_cmp_gt_u64_e32 vcc_lo, s[24:25], v[45:46]
	s_waitcnt lgkmcnt(0)
	v_cmp_ne_u32_e64 s0, v47, v13
	s_and_b32 s0, vcc_lo, s0
	s_delay_alu instid0(SALU_CYCLE_1)
	s_and_b32 s0, s0, exec_lo
	s_or_b32 exec_lo, exec_lo, s4
	v_mov_b32_e32 v96, s1
	s_and_saveexec_b32 s1, s29
	s_cbranch_execz .LBB1019_78
	s_branch .LBB1019_77
.LBB1019_202:
	s_or_b32 exec_lo, exec_lo, s18
	s_and_saveexec_b32 s12, s14
	s_cbranch_execz .LBB1019_176
.LBB1019_203:
	v_sub_nc_u32_e32 v13, v32, v49
	s_delay_alu instid0(VALU_DEP_1)
	v_lshlrev_b32_e32 v13, 2, v13
	ds_store_b32 v13, v14
	s_or_b32 exec_lo, exec_lo, s12
	s_and_saveexec_b32 s12, s13
	s_cbranch_execnz .LBB1019_177
.LBB1019_204:
	s_or_b32 exec_lo, exec_lo, s12
	s_and_saveexec_b32 s12, s11
	s_cbranch_execz .LBB1019_178
.LBB1019_205:
	v_sub_nc_u32_e32 v11, v30, v49
	s_delay_alu instid0(VALU_DEP_1)
	v_lshlrev_b32_e32 v11, 2, v11
	ds_store_b32 v11, v12
	s_or_b32 exec_lo, exec_lo, s12
	s_and_saveexec_b32 s11, s10
	s_cbranch_execnz .LBB1019_179
.LBB1019_206:
	s_or_b32 exec_lo, exec_lo, s11
	s_and_saveexec_b32 s10, s9
	s_cbranch_execz .LBB1019_180
.LBB1019_207:
	v_sub_nc_u32_e32 v9, v28, v49
	s_delay_alu instid0(VALU_DEP_1)
	v_lshlrev_b32_e32 v9, 2, v9
	ds_store_b32 v9, v10
	s_or_b32 exec_lo, exec_lo, s10
	s_and_saveexec_b32 s9, s8
	s_cbranch_execnz .LBB1019_181
.LBB1019_208:
	s_or_b32 exec_lo, exec_lo, s9
	s_and_saveexec_b32 s8, s7
	s_cbranch_execz .LBB1019_182
.LBB1019_209:
	v_sub_nc_u32_e32 v7, v26, v49
	s_delay_alu instid0(VALU_DEP_1)
	v_lshlrev_b32_e32 v7, 2, v7
	ds_store_b32 v7, v8
	s_or_b32 exec_lo, exec_lo, s8
	s_and_saveexec_b32 s7, s6
	s_cbranch_execnz .LBB1019_183
.LBB1019_210:
	s_or_b32 exec_lo, exec_lo, s7
	s_and_saveexec_b32 s6, s5
	s_cbranch_execz .LBB1019_184
.LBB1019_211:
	v_sub_nc_u32_e32 v5, v24, v49
	s_delay_alu instid0(VALU_DEP_1)
	v_lshlrev_b32_e32 v5, 2, v5
	ds_store_b32 v5, v6
	s_or_b32 exec_lo, exec_lo, s6
	s_and_saveexec_b32 s5, s4
	s_cbranch_execnz .LBB1019_185
.LBB1019_212:
	s_or_b32 exec_lo, exec_lo, s5
	s_and_saveexec_b32 s4, s3
	s_cbranch_execz .LBB1019_186
.LBB1019_213:
	v_sub_nc_u32_e32 v3, v22, v49
	s_delay_alu instid0(VALU_DEP_1)
	v_lshlrev_b32_e32 v3, 2, v3
	ds_store_b32 v3, v4
	s_or_b32 exec_lo, exec_lo, s4
	s_and_saveexec_b32 s3, s1
	s_cbranch_execnz .LBB1019_187
.LBB1019_214:
	s_or_b32 exec_lo, exec_lo, s3
	s_and_saveexec_b32 s1, s0
	s_cbranch_execz .LBB1019_216
.LBB1019_215:
	v_sub_nc_u32_e32 v1, v20, v49
	s_delay_alu instid0(VALU_DEP_1)
	v_lshlrev_b32_e32 v1, 2, v1
	ds_store_b32 v1, v2
.LBB1019_216:
	s_or_b32 exec_lo, exec_lo, s1
	s_delay_alu instid0(SALU_CYCLE_1)
	s_and_b32 s18, vcc_lo, exec_lo
                                        ; implicit-def: $vgpr13
                                        ; implicit-def: $vgpr11
                                        ; implicit-def: $vgpr9
                                        ; implicit-def: $vgpr7
                                        ; implicit-def: $vgpr5
                                        ; implicit-def: $vgpr3
                                        ; implicit-def: $vgpr1
	s_and_not1_saveexec_b32 s0, s15
	s_cbranch_execnz .LBB1019_198
.LBB1019_217:
	s_or_b32 exec_lo, exec_lo, s0
	s_delay_alu instid0(SALU_CYCLE_1)
	s_and_b32 exec_lo, exec_lo, s18
	s_cbranch_execz .LBB1019_219
.LBB1019_218:
	v_sub_nc_u32_e32 v1, v19, v49
	s_delay_alu instid0(VALU_DEP_1)
	v_lshlrev_b32_e32 v1, 2, v1
	ds_store_b32 v1, v81
.LBB1019_219:
	s_or_b32 exec_lo, exec_lo, s16
	s_waitcnt vmcnt(0) lgkmcnt(0)
	s_barrier
	buffer_gl0_inv
.LBB1019_220:
	s_cmpk_lg_i32 s26, 0xf00
	v_cndmask_b32_e64 v8, 0, 1, s27
	s_cselect_b32 s0, -1, 0
	v_mad_i32_i24 v5, v0, -15, s26
	s_and_b32 s0, s0, s17
	v_add_co_u32 v1, vcc_lo, v79, v15
	v_cndmask_b32_e64 v4, 0, 1, s0
	s_mul_hi_u32 s0, s26, 0x88888889
	s_and_b32 s1, s2, s27
	s_lshr_b32 s0, s0, 3
	v_add_co_ci_u32_e32 v2, vcc_lo, v80, v16, vcc_lo
	v_sub_nc_u32_e32 v3, v45, v8
	v_cndmask_b32_e64 v6, v96, 0, s1
	v_cmp_eq_u32_e32 vcc_lo, s0, v0
	v_cmp_ne_u32_e64 s0, 0, v5
	s_delay_alu instid0(VALU_DEP_4) | instskip(SKIP_2) | instid1(VALU_DEP_2)
	v_dual_mov_b32 v50, 0 :: v_dual_add_nc_u32 v3, v3, v4
	s_mov_b32 s16, -1
	s_and_b32 vcc_lo, vcc_lo, s17
	v_cndmask_b32_e64 v4, 1, v6, s0
	v_cmp_ne_u32_e64 s0, 1, v5
	s_waitcnt vmcnt(0)
	s_barrier
	buffer_gl0_inv
	v_cndmask_b32_e32 v13, v6, v4, vcc_lo
	v_cndmask_b32_e64 v7, 1, v95, s0
	v_cmp_ne_u32_e64 s0, 2, v5
	s_delay_alu instid0(VALU_DEP_3) | instskip(NEXT) | instid1(VALU_DEP_2)
	v_cmp_ne_u32_e64 s14, 0, v13
	v_cndmask_b32_e64 v9, 1, v94, s0
	v_cmp_ne_u32_e64 s0, 14, v5
	s_delay_alu instid0(VALU_DEP_2) | instskip(NEXT) | instid1(VALU_DEP_2)
	v_dual_cndmask_b32 v14, v95, v7 :: v_dual_cndmask_b32 v9, v94, v9
	v_cndmask_b32_e64 v10, 1, v88, s0
	v_cmp_ne_u32_e64 s0, 3, v5
	s_delay_alu instid0(VALU_DEP_3) | instskip(NEXT) | instid1(VALU_DEP_4)
	v_cmp_ne_u32_e64 s13, 0, v14
	v_cmp_ne_u32_e64 s12, 0, v9
	s_delay_alu instid0(VALU_DEP_4) | instskip(NEXT) | instid1(VALU_DEP_4)
	v_cndmask_b32_e32 v10, v88, v10, vcc_lo
	v_cndmask_b32_e64 v11, 1, v93, s0
	v_cmp_ne_u32_e64 s0, 4, v5
	s_delay_alu instid0(VALU_DEP_1) | instskip(SKIP_1) | instid1(VALU_DEP_2)
	v_cndmask_b32_e64 v12, 1, v92, s0
	v_cmp_ne_u32_e64 s0, 5, v5
	v_dual_cndmask_b32 v11, v93, v11 :: v_dual_cndmask_b32 v12, v92, v12
	s_delay_alu instid0(VALU_DEP_2) | instskip(SKIP_1) | instid1(VALU_DEP_3)
	v_cndmask_b32_e64 v4, 1, v91, s0
	v_cmp_ne_u32_e64 s0, 6, v5
	v_cmp_ne_u32_e64 s11, 0, v11
	s_delay_alu instid0(VALU_DEP_4) | instskip(NEXT) | instid1(VALU_DEP_4)
	v_cmp_ne_u32_e64 s10, 0, v12
	v_cndmask_b32_e32 v36, v91, v4, vcc_lo
	s_delay_alu instid0(VALU_DEP_4) | instskip(SKIP_1) | instid1(VALU_DEP_2)
	v_cndmask_b32_e64 v6, 1, v90, s0
	v_cmp_eq_u32_e64 s0, 0, v13
	v_cndmask_b32_e32 v38, v90, v6, vcc_lo
	s_delay_alu instid0(VALU_DEP_2) | instskip(SKIP_1) | instid1(VALU_DEP_3)
	v_cndmask_b32_e64 v7, 1, 2, s0
	v_cmp_eq_u32_e64 s0, 0, v14
	v_cmp_ne_u32_e64 s8, 0, v38
	s_delay_alu instid0(VALU_DEP_2) | instskip(SKIP_1) | instid1(VALU_DEP_2)
	v_cndmask_b32_e64 v15, 1, 2, s0
	v_cmp_ne_u32_e64 s0, 7, v5
	v_and_b32_e32 v7, v15, v7
	s_delay_alu instid0(VALU_DEP_2) | instskip(SKIP_1) | instid1(VALU_DEP_2)
	v_cndmask_b32_e64 v16, 1, v89, s0
	v_cmp_eq_u32_e64 s0, 0, v9
	v_cndmask_b32_e32 v16, v89, v16, vcc_lo
	s_delay_alu instid0(VALU_DEP_2) | instskip(SKIP_1) | instid1(VALU_DEP_3)
	v_cndmask_b32_e64 v15, 1, 2, s0
	v_cmp_ne_u32_e64 s0, 8, v5
	v_cmp_ne_u32_e64 s7, 0, v16
	s_delay_alu instid0(VALU_DEP_3) | instskip(NEXT) | instid1(VALU_DEP_3)
	v_and_b32_e32 v7, v7, v15
	v_cndmask_b32_e64 v33, 1, v87, s0
	v_cmp_ne_u32_e64 s0, 9, v5
	s_delay_alu instid0(VALU_DEP_2) | instskip(NEXT) | instid1(VALU_DEP_2)
	v_cndmask_b32_e32 v33, v87, v33, vcc_lo
	v_cndmask_b32_e64 v34, 1, v86, s0
	v_cmp_eq_u32_e64 s0, 0, v11
	s_delay_alu instid0(VALU_DEP_3) | instskip(NEXT) | instid1(VALU_DEP_3)
	v_cmp_ne_u32_e64 s6, 0, v33
	v_cndmask_b32_e32 v34, v86, v34, vcc_lo
	s_delay_alu instid0(VALU_DEP_3) | instskip(SKIP_1) | instid1(VALU_DEP_3)
	v_cndmask_b32_e64 v15, 1, 2, s0
	v_cmp_ne_u32_e64 s0, 10, v5
	v_cmp_ne_u32_e64 s5, 0, v34
	s_delay_alu instid0(VALU_DEP_3) | instskip(NEXT) | instid1(VALU_DEP_3)
	v_and_b32_e32 v4, v7, v15
	v_cndmask_b32_e64 v35, 1, v85, s0
	v_cmp_eq_u32_e64 s0, 0, v12
	s_delay_alu instid0(VALU_DEP_1) | instskip(SKIP_1) | instid1(VALU_DEP_2)
	v_cndmask_b32_e64 v7, 1, 2, s0
	v_cmp_ne_u32_e64 s0, 11, v5
	v_and_b32_e32 v4, v4, v7
	s_delay_alu instid0(VALU_DEP_2) | instskip(SKIP_1) | instid1(VALU_DEP_2)
	v_cndmask_b32_e64 v15, 1, v84, s0
	v_cmp_ne_u32_e64 s0, 13, v5
	v_cndmask_b32_e32 v15, v84, v15, vcc_lo
	s_delay_alu instid0(VALU_DEP_2) | instskip(NEXT) | instid1(VALU_DEP_2)
	v_cndmask_b32_e64 v37, 1, v82, s0
	v_cmp_ne_u32_e64 s3, 0, v15
	s_delay_alu instid0(VALU_DEP_2) | instskip(SKIP_2) | instid1(VALU_DEP_3)
	v_cndmask_b32_e32 v37, v82, v37, vcc_lo
	v_cmp_eq_u32_e64 s0, 0, v36
	v_cmp_ne_u32_e64 s9, 0, v36
	v_cmp_ne_u32_e64 s1, 0, v37
	s_delay_alu instid0(VALU_DEP_3) | instskip(SKIP_1) | instid1(VALU_DEP_1)
	v_cndmask_b32_e64 v7, 1, 2, s0
	v_cmp_ne_u32_e64 s0, 12, v5
	v_cndmask_b32_e64 v5, 1, v83, s0
	v_cmp_eq_u32_e64 s0, 0, v38
	s_delay_alu instid0(VALU_DEP_2) | instskip(NEXT) | instid1(VALU_DEP_2)
	v_dual_cndmask_b32 v39, v83, v5 :: v_dual_and_b32 v4, v4, v7
	v_cndmask_b32_e64 v6, 1, 2, s0
	v_cmp_eq_u32_e64 s0, 0, v16
	v_cndmask_b32_e32 v35, v85, v35, vcc_lo
	v_cmp_eq_u32_e32 vcc_lo, 0, v33
	v_cmp_ne_u32_e64 s2, 0, v39
	v_and_b32_e32 v40, v4, v6
	v_lshlrev_b64 v[4:5], 3, v[17:18]
	v_cndmask_b32_e64 v41, 1, 2, s0
	v_lshlrev_b64 v[6:7], 3, v[49:50]
	v_cmp_ne_u32_e64 s4, 0, v35
	v_cmp_ne_u32_e64 s0, 0, v10
	s_delay_alu instid0(VALU_DEP_4) | instskip(SKIP_4) | instid1(VALU_DEP_4)
	v_and_b32_e32 v40, v40, v41
	v_cndmask_b32_e64 v41, 1, 2, vcc_lo
	v_add_co_u32 v4, vcc_lo, s20, v4
	v_add_co_ci_u32_e32 v5, vcc_lo, s21, v5, vcc_lo
	v_cmp_eq_u32_e32 vcc_lo, 0, v34
	v_and_b32_e32 v40, v40, v41
	v_cndmask_b32_e64 v41, 1, 2, vcc_lo
	v_add_co_u32 v4, vcc_lo, v4, v6
	v_add_co_ci_u32_e32 v5, vcc_lo, v5, v7, vcc_lo
	v_lshlrev_b32_e32 v6, 3, v8
	v_cmp_eq_u32_e32 vcc_lo, 0, v35
	v_and_b32_e32 v7, v40, v41
	v_add_nc_u32_e32 v8, v49, v8
	v_cndmask_b32_e64 v40, 1, 2, vcc_lo
	v_add_co_u32 v6, vcc_lo, v6, v4
	v_add_co_ci_u32_e32 v41, vcc_lo, 0, v5, vcc_lo
	v_cmp_eq_u32_e32 vcc_lo, 0, v15
	s_delay_alu instid0(VALU_DEP_4) | instskip(SKIP_4) | instid1(VALU_DEP_4)
	v_and_b32_e32 v40, v7, v40
	v_cndmask_b32_e64 v42, 1, 2, vcc_lo
	v_add_co_u32 v6, vcc_lo, v6, -8
	v_add_co_ci_u32_e32 v7, vcc_lo, -1, v41, vcc_lo
	v_cmp_eq_u32_e32 vcc_lo, 0, v39
	v_and_b32_e32 v40, v40, v42
	v_cndmask_b32_e64 v41, 1, 2, vcc_lo
	v_cmp_eq_u32_e32 vcc_lo, 0, v37
	s_delay_alu instid0(VALU_DEP_2) | instskip(SKIP_2) | instid1(VALU_DEP_2)
	v_and_b32_e32 v9, v40, v41
	v_cndmask_b32_e64 v11, 1, 2, vcc_lo
	v_cmp_eq_u32_e32 vcc_lo, 0, v10
	v_and_b32_e32 v9, v9, v11
	v_cndmask_b32_e64 v11, 1, 2, vcc_lo
	v_cmp_gt_u32_e32 vcc_lo, 0x100, v3
	s_delay_alu instid0(VALU_DEP_2) | instskip(NEXT) | instid1(VALU_DEP_1)
	v_and_b32_e32 v9, v9, v11
	v_cmp_gt_i16_e64 s15, 2, v9
	s_cbranch_vccz .LBB1019_237
; %bb.221:
	s_delay_alu instid0(VALU_DEP_1)
	s_and_saveexec_b32 s16, s15
	s_cbranch_execz .LBB1019_276
; %bb.222:
	s_mov_b32 s18, 0
	s_mov_b32 s15, exec_lo
	v_cmpx_ne_u16_e32 1, v9
	s_xor_b32 s15, exec_lo, s15
	s_cbranch_execz .LBB1019_254
; %bb.223:
	s_and_saveexec_b32 s18, s14
	s_cbranch_execz .LBB1019_259
; %bb.224:
	v_sub_nc_u32_e32 v10, v98, v8
	v_mov_b32_e32 v11, 0
	s_delay_alu instid0(VALU_DEP_1) | instskip(NEXT) | instid1(VALU_DEP_1)
	v_lshlrev_b64 v[10:11], 3, v[10:11]
	v_add_co_u32 v10, vcc_lo, v6, v10
	s_delay_alu instid0(VALU_DEP_2)
	v_add_co_ci_u32_e32 v11, vcc_lo, v7, v11, vcc_lo
	global_store_b64 v[10:11], v[63:64], off
	s_or_b32 exec_lo, exec_lo, s18
	s_and_saveexec_b32 s18, s13
	s_cbranch_execnz .LBB1019_260
.LBB1019_225:
	s_or_b32 exec_lo, exec_lo, s18
	s_and_saveexec_b32 s18, s12
	s_cbranch_execz .LBB1019_261
.LBB1019_226:
	v_sub_nc_u32_e32 v10, v31, v8
	v_mov_b32_e32 v11, 0
	s_delay_alu instid0(VALU_DEP_1) | instskip(NEXT) | instid1(VALU_DEP_1)
	v_lshlrev_b64 v[10:11], 3, v[10:11]
	v_add_co_u32 v10, vcc_lo, v6, v10
	s_delay_alu instid0(VALU_DEP_2)
	v_add_co_ci_u32_e32 v11, vcc_lo, v7, v11, vcc_lo
	global_store_b64 v[10:11], v[65:66], off
	s_or_b32 exec_lo, exec_lo, s18
	s_and_saveexec_b32 s18, s11
	s_cbranch_execnz .LBB1019_262
.LBB1019_227:
	s_or_b32 exec_lo, exec_lo, s18
	s_and_saveexec_b32 s18, s10
	s_cbranch_execz .LBB1019_263
.LBB1019_228:
	v_sub_nc_u32_e32 v10, v29, v8
	v_mov_b32_e32 v11, 0
	s_delay_alu instid0(VALU_DEP_1) | instskip(NEXT) | instid1(VALU_DEP_1)
	v_lshlrev_b64 v[10:11], 3, v[10:11]
	v_add_co_u32 v10, vcc_lo, v6, v10
	s_delay_alu instid0(VALU_DEP_2)
	v_add_co_ci_u32_e32 v11, vcc_lo, v7, v11, vcc_lo
	global_store_b64 v[10:11], v[51:52], off
	s_or_b32 exec_lo, exec_lo, s18
	s_and_saveexec_b32 s18, s9
	s_cbranch_execnz .LBB1019_264
.LBB1019_229:
	s_or_b32 exec_lo, exec_lo, s18
	s_and_saveexec_b32 s18, s8
	s_cbranch_execz .LBB1019_265
.LBB1019_230:
	v_sub_nc_u32_e32 v10, v27, v8
	v_mov_b32_e32 v11, 0
	s_delay_alu instid0(VALU_DEP_1) | instskip(NEXT) | instid1(VALU_DEP_1)
	v_lshlrev_b64 v[10:11], 3, v[10:11]
	v_add_co_u32 v10, vcc_lo, v6, v10
	s_delay_alu instid0(VALU_DEP_2)
	v_add_co_ci_u32_e32 v11, vcc_lo, v7, v11, vcc_lo
	global_store_b64 v[10:11], v[61:62], off
	s_or_b32 exec_lo, exec_lo, s18
	s_and_saveexec_b32 s18, s7
	s_cbranch_execnz .LBB1019_266
.LBB1019_231:
	s_or_b32 exec_lo, exec_lo, s18
	s_and_saveexec_b32 s18, s6
	s_cbranch_execz .LBB1019_267
.LBB1019_232:
	v_sub_nc_u32_e32 v10, v25, v8
	v_mov_b32_e32 v11, 0
	s_delay_alu instid0(VALU_DEP_1) | instskip(NEXT) | instid1(VALU_DEP_1)
	v_lshlrev_b64 v[10:11], 3, v[10:11]
	v_add_co_u32 v10, vcc_lo, v6, v10
	s_delay_alu instid0(VALU_DEP_2)
	v_add_co_ci_u32_e32 v11, vcc_lo, v7, v11, vcc_lo
	global_store_b64 v[10:11], v[71:72], off
	s_or_b32 exec_lo, exec_lo, s18
	s_and_saveexec_b32 s18, s5
	s_cbranch_execnz .LBB1019_268
.LBB1019_233:
	s_or_b32 exec_lo, exec_lo, s18
	s_and_saveexec_b32 s18, s4
	s_cbranch_execz .LBB1019_269
.LBB1019_234:
	v_sub_nc_u32_e32 v10, v23, v8
	v_mov_b32_e32 v11, 0
	s_delay_alu instid0(VALU_DEP_1) | instskip(NEXT) | instid1(VALU_DEP_1)
	v_lshlrev_b64 v[10:11], 3, v[10:11]
	v_add_co_u32 v10, vcc_lo, v6, v10
	s_delay_alu instid0(VALU_DEP_2)
	v_add_co_ci_u32_e32 v11, vcc_lo, v7, v11, vcc_lo
	global_store_b64 v[10:11], v[57:58], off
	s_or_b32 exec_lo, exec_lo, s18
	s_and_saveexec_b32 s18, s3
	s_cbranch_execnz .LBB1019_270
.LBB1019_235:
	s_or_b32 exec_lo, exec_lo, s18
	s_and_saveexec_b32 s18, s2
	s_cbranch_execz .LBB1019_271
.LBB1019_236:
	v_sub_nc_u32_e32 v10, v21, v8
	v_mov_b32_e32 v11, 0
	s_delay_alu instid0(VALU_DEP_1) | instskip(NEXT) | instid1(VALU_DEP_1)
	v_lshlrev_b64 v[10:11], 3, v[10:11]
	v_add_co_u32 v10, vcc_lo, v6, v10
	s_delay_alu instid0(VALU_DEP_2)
	v_add_co_ci_u32_e32 v11, vcc_lo, v7, v11, vcc_lo
	global_store_b64 v[10:11], v[75:76], off
	s_or_b32 exec_lo, exec_lo, s18
	s_and_saveexec_b32 s18, s1
	s_cbranch_execnz .LBB1019_272
	s_branch .LBB1019_273
.LBB1019_237:
	s_and_b32 vcc_lo, exec_lo, s16
	s_cbranch_vccz .LBB1019_277
; %bb.238:
	s_mov_b32 s15, exec_lo
	v_cmpx_gt_i16_e32 2, v9
	s_cbranch_execz .LBB1019_295
; %bb.239:
	s_mov_b32 s18, 0
	s_mov_b32 s16, exec_lo
	v_cmpx_ne_u16_e32 1, v9
	s_xor_b32 s16, exec_lo, s16
	s_cbranch_execz .LBB1019_256
; %bb.240:
	s_and_saveexec_b32 s18, s14
	s_cbranch_execz .LBB1019_278
; %bb.241:
	v_sub_nc_u32_e32 v9, v98, v8
	s_delay_alu instid0(VALU_DEP_1)
	v_lshlrev_b32_e32 v9, 3, v9
	ds_store_b64 v9, v[63:64]
	s_or_b32 exec_lo, exec_lo, s18
	s_and_saveexec_b32 s14, s13
	s_cbranch_execnz .LBB1019_279
.LBB1019_242:
	s_or_b32 exec_lo, exec_lo, s14
	s_and_saveexec_b32 s13, s12
	s_cbranch_execz .LBB1019_280
.LBB1019_243:
	v_sub_nc_u32_e32 v9, v31, v8
	s_delay_alu instid0(VALU_DEP_1)
	v_lshlrev_b32_e32 v9, 3, v9
	ds_store_b64 v9, v[65:66]
	s_or_b32 exec_lo, exec_lo, s13
	s_and_saveexec_b32 s12, s11
	s_cbranch_execnz .LBB1019_281
.LBB1019_244:
	s_or_b32 exec_lo, exec_lo, s12
	s_and_saveexec_b32 s11, s10
	s_cbranch_execz .LBB1019_282
.LBB1019_245:
	v_sub_nc_u32_e32 v9, v29, v8
	s_delay_alu instid0(VALU_DEP_1)
	v_lshlrev_b32_e32 v9, 3, v9
	ds_store_b64 v9, v[51:52]
	s_or_b32 exec_lo, exec_lo, s11
	s_and_saveexec_b32 s10, s9
	s_cbranch_execnz .LBB1019_283
.LBB1019_246:
	s_or_b32 exec_lo, exec_lo, s10
	s_and_saveexec_b32 s9, s8
	s_cbranch_execz .LBB1019_284
.LBB1019_247:
	v_sub_nc_u32_e32 v9, v27, v8
	s_delay_alu instid0(VALU_DEP_1)
	v_lshlrev_b32_e32 v9, 3, v9
	ds_store_b64 v9, v[61:62]
	s_or_b32 exec_lo, exec_lo, s9
	s_and_saveexec_b32 s8, s7
	s_cbranch_execnz .LBB1019_285
.LBB1019_248:
	s_or_b32 exec_lo, exec_lo, s8
	s_and_saveexec_b32 s7, s6
	s_cbranch_execz .LBB1019_286
.LBB1019_249:
	v_sub_nc_u32_e32 v9, v25, v8
	s_delay_alu instid0(VALU_DEP_1)
	v_lshlrev_b32_e32 v9, 3, v9
	ds_store_b64 v9, v[71:72]
	s_or_b32 exec_lo, exec_lo, s7
	s_and_saveexec_b32 s6, s5
	s_cbranch_execnz .LBB1019_287
.LBB1019_250:
	s_or_b32 exec_lo, exec_lo, s6
	s_and_saveexec_b32 s5, s4
	s_cbranch_execz .LBB1019_288
.LBB1019_251:
	v_sub_nc_u32_e32 v9, v23, v8
	s_delay_alu instid0(VALU_DEP_1)
	v_lshlrev_b32_e32 v9, 3, v9
	ds_store_b64 v9, v[57:58]
	s_or_b32 exec_lo, exec_lo, s5
	s_and_saveexec_b32 s4, s3
	s_cbranch_execnz .LBB1019_289
.LBB1019_252:
	s_or_b32 exec_lo, exec_lo, s4
	s_and_saveexec_b32 s3, s2
	s_cbranch_execz .LBB1019_290
.LBB1019_253:
	v_sub_nc_u32_e32 v9, v21, v8
	s_delay_alu instid0(VALU_DEP_1)
	v_lshlrev_b32_e32 v9, 3, v9
	ds_store_b64 v9, v[75:76]
	s_or_b32 exec_lo, exec_lo, s3
	s_and_saveexec_b32 s2, s1
	s_cbranch_execnz .LBB1019_291
	s_branch .LBB1019_292
.LBB1019_254:
	s_and_not1_saveexec_b32 s15, s15
	s_cbranch_execz .LBB1019_274
.LBB1019_255:
	v_sub_nc_u32_e32 v10, v98, v8
	v_mov_b32_e32 v11, 0
	s_or_b32 s18, s18, exec_lo
	s_delay_alu instid0(VALU_DEP_1) | instskip(SKIP_1) | instid1(VALU_DEP_1)
	v_lshlrev_b64 v[12:13], 3, v[10:11]
	v_sub_nc_u32_e32 v10, v32, v8
	v_lshlrev_b64 v[14:15], 3, v[10:11]
	v_sub_nc_u32_e32 v10, v31, v8
	s_delay_alu instid0(VALU_DEP_4) | instskip(SKIP_1) | instid1(VALU_DEP_3)
	v_add_co_u32 v12, vcc_lo, v6, v12
	v_add_co_ci_u32_e32 v13, vcc_lo, v7, v13, vcc_lo
	v_lshlrev_b64 v[33:34], 3, v[10:11]
	v_sub_nc_u32_e32 v10, v30, v8
	v_add_co_u32 v14, vcc_lo, v6, v14
	v_add_co_ci_u32_e32 v15, vcc_lo, v7, v15, vcc_lo
	global_store_b64 v[12:13], v[63:64], off
	v_lshlrev_b64 v[12:13], 3, v[10:11]
	v_sub_nc_u32_e32 v10, v29, v8
	global_store_b64 v[14:15], v[59:60], off
	v_add_co_u32 v14, vcc_lo, v6, v33
	v_add_co_ci_u32_e32 v15, vcc_lo, v7, v34, vcc_lo
	v_lshlrev_b64 v[33:34], 3, v[10:11]
	v_sub_nc_u32_e32 v10, v28, v8
	v_add_co_u32 v12, vcc_lo, v6, v12
	v_add_co_ci_u32_e32 v13, vcc_lo, v7, v13, vcc_lo
	s_delay_alu instid0(VALU_DEP_3) | instskip(SKIP_3) | instid1(VALU_DEP_3)
	v_lshlrev_b64 v[35:36], 3, v[10:11]
	v_sub_nc_u32_e32 v10, v27, v8
	v_add_co_u32 v33, vcc_lo, v6, v33
	v_add_co_ci_u32_e32 v34, vcc_lo, v7, v34, vcc_lo
	v_lshlrev_b64 v[37:38], 3, v[10:11]
	v_sub_nc_u32_e32 v10, v26, v8
	v_add_co_u32 v35, vcc_lo, v6, v35
	v_add_co_ci_u32_e32 v36, vcc_lo, v7, v36, vcc_lo
	s_clause 0x3
	global_store_b64 v[14:15], v[65:66], off
	global_store_b64 v[12:13], v[69:70], off
	;; [unrolled: 1-line block ×4, first 2 shown]
	v_lshlrev_b64 v[12:13], 3, v[10:11]
	v_sub_nc_u32_e32 v10, v25, v8
	v_add_co_u32 v14, vcc_lo, v6, v37
	v_add_co_ci_u32_e32 v15, vcc_lo, v7, v38, vcc_lo
	s_delay_alu instid0(VALU_DEP_3) | instskip(SKIP_3) | instid1(VALU_DEP_3)
	v_lshlrev_b64 v[33:34], 3, v[10:11]
	v_sub_nc_u32_e32 v10, v24, v8
	v_add_co_u32 v12, vcc_lo, v6, v12
	v_add_co_ci_u32_e32 v13, vcc_lo, v7, v13, vcc_lo
	v_lshlrev_b64 v[35:36], 3, v[10:11]
	v_sub_nc_u32_e32 v10, v23, v8
	v_add_co_u32 v33, vcc_lo, v6, v33
	v_add_co_ci_u32_e32 v34, vcc_lo, v7, v34, vcc_lo
	s_delay_alu instid0(VALU_DEP_3)
	v_lshlrev_b64 v[37:38], 3, v[10:11]
	v_sub_nc_u32_e32 v10, v22, v8
	v_add_co_u32 v35, vcc_lo, v6, v35
	v_add_co_ci_u32_e32 v36, vcc_lo, v7, v36, vcc_lo
	s_clause 0x3
	global_store_b64 v[14:15], v[61:62], off
	global_store_b64 v[12:13], v[67:68], off
	;; [unrolled: 1-line block ×4, first 2 shown]
	v_lshlrev_b64 v[12:13], 3, v[10:11]
	v_sub_nc_u32_e32 v10, v21, v8
	v_add_co_u32 v14, vcc_lo, v6, v37
	v_add_co_ci_u32_e32 v15, vcc_lo, v7, v38, vcc_lo
	s_delay_alu instid0(VALU_DEP_3) | instskip(SKIP_3) | instid1(VALU_DEP_3)
	v_lshlrev_b64 v[33:34], 3, v[10:11]
	v_sub_nc_u32_e32 v10, v20, v8
	v_add_co_u32 v12, vcc_lo, v6, v12
	v_add_co_ci_u32_e32 v13, vcc_lo, v7, v13, vcc_lo
	v_lshlrev_b64 v[10:11], 3, v[10:11]
	v_add_co_u32 v33, vcc_lo, v6, v33
	v_add_co_ci_u32_e32 v34, vcc_lo, v7, v34, vcc_lo
	s_clause 0x2
	global_store_b64 v[14:15], v[57:58], off
	global_store_b64 v[12:13], v[73:74], off
	;; [unrolled: 1-line block ×3, first 2 shown]
	v_add_co_u32 v10, vcc_lo, v6, v10
	v_add_co_ci_u32_e32 v11, vcc_lo, v7, v11, vcc_lo
	global_store_b64 v[10:11], v[77:78], off
	s_or_b32 exec_lo, exec_lo, s15
	s_delay_alu instid0(SALU_CYCLE_1)
	s_and_b32 exec_lo, exec_lo, s18
	s_cbranch_execnz .LBB1019_275
	s_branch .LBB1019_276
.LBB1019_256:
	s_and_not1_saveexec_b32 s0, s16
	s_cbranch_execz .LBB1019_293
.LBB1019_257:
	v_sub_nc_u32_e32 v9, v98, v8
	v_sub_nc_u32_e32 v10, v32, v8
	;; [unrolled: 1-line block ×5, first 2 shown]
	v_lshlrev_b32_e32 v9, 3, v9
	v_lshlrev_b32_e32 v10, 3, v10
	;; [unrolled: 1-line block ×4, first 2 shown]
	s_or_b32 s18, s18, exec_lo
	ds_store_b64 v9, v[63:64]
	ds_store_b64 v10, v[59:60]
	;; [unrolled: 1-line block ×3, first 2 shown]
	v_sub_nc_u32_e32 v9, v29, v8
	v_sub_nc_u32_e32 v10, v28, v8
	;; [unrolled: 1-line block ×3, first 2 shown]
	ds_store_b64 v12, v[69:70]
	v_sub_nc_u32_e32 v12, v26, v8
	v_lshlrev_b32_e32 v9, 3, v9
	v_lshlrev_b32_e32 v10, 3, v10
	;; [unrolled: 1-line block ×3, first 2 shown]
	s_delay_alu instid0(VALU_DEP_4)
	v_lshlrev_b32_e32 v12, 3, v12
	ds_store_b64 v9, v[51:52]
	v_lshlrev_b32_e32 v9, 3, v13
	ds_store_b64 v10, v[55:56]
	ds_store_b64 v11, v[61:62]
	;; [unrolled: 1-line block ×3, first 2 shown]
	v_sub_nc_u32_e32 v10, v24, v8
	v_sub_nc_u32_e32 v13, v20, v8
	;; [unrolled: 1-line block ×3, first 2 shown]
	ds_store_b64 v9, v[71:72]
	v_sub_nc_u32_e32 v9, v23, v8
	v_lshlrev_b32_e32 v10, 3, v10
	v_sub_nc_u32_e32 v12, v21, v8
	v_lshlrev_b32_e32 v11, 3, v11
	s_delay_alu instid0(VALU_DEP_4)
	v_lshlrev_b32_e32 v9, 3, v9
	ds_store_b64 v10, v[53:54]
	v_lshlrev_b32_e32 v10, 3, v13
	v_lshlrev_b32_e32 v12, 3, v12
	ds_store_b64 v9, v[57:58]
	ds_store_b64 v11, v[73:74]
	;; [unrolled: 1-line block ×4, first 2 shown]
	s_or_b32 exec_lo, exec_lo, s0
	s_delay_alu instid0(SALU_CYCLE_1)
	s_and_b32 exec_lo, exec_lo, s18
	s_cbranch_execnz .LBB1019_294
	s_branch .LBB1019_295
.LBB1019_258:
	s_or_b32 exec_lo, exec_lo, s4
	v_mov_b32_e32 v96, s1
	s_and_saveexec_b32 s1, s29
	s_cbranch_execnz .LBB1019_77
	s_branch .LBB1019_78
.LBB1019_259:
	s_or_b32 exec_lo, exec_lo, s18
	s_and_saveexec_b32 s18, s13
	s_cbranch_execz .LBB1019_225
.LBB1019_260:
	v_sub_nc_u32_e32 v10, v32, v8
	v_mov_b32_e32 v11, 0
	s_delay_alu instid0(VALU_DEP_1) | instskip(NEXT) | instid1(VALU_DEP_1)
	v_lshlrev_b64 v[10:11], 3, v[10:11]
	v_add_co_u32 v10, vcc_lo, v6, v10
	s_delay_alu instid0(VALU_DEP_2)
	v_add_co_ci_u32_e32 v11, vcc_lo, v7, v11, vcc_lo
	global_store_b64 v[10:11], v[59:60], off
	s_or_b32 exec_lo, exec_lo, s18
	s_and_saveexec_b32 s18, s12
	s_cbranch_execnz .LBB1019_226
.LBB1019_261:
	s_or_b32 exec_lo, exec_lo, s18
	s_and_saveexec_b32 s18, s11
	s_cbranch_execz .LBB1019_227
.LBB1019_262:
	v_sub_nc_u32_e32 v10, v30, v8
	v_mov_b32_e32 v11, 0
	s_delay_alu instid0(VALU_DEP_1) | instskip(NEXT) | instid1(VALU_DEP_1)
	v_lshlrev_b64 v[10:11], 3, v[10:11]
	v_add_co_u32 v10, vcc_lo, v6, v10
	s_delay_alu instid0(VALU_DEP_2)
	v_add_co_ci_u32_e32 v11, vcc_lo, v7, v11, vcc_lo
	global_store_b64 v[10:11], v[69:70], off
	s_or_b32 exec_lo, exec_lo, s18
	s_and_saveexec_b32 s18, s10
	s_cbranch_execnz .LBB1019_228
.LBB1019_263:
	s_or_b32 exec_lo, exec_lo, s18
	s_and_saveexec_b32 s18, s9
	s_cbranch_execz .LBB1019_229
.LBB1019_264:
	v_sub_nc_u32_e32 v10, v28, v8
	v_mov_b32_e32 v11, 0
	s_delay_alu instid0(VALU_DEP_1) | instskip(NEXT) | instid1(VALU_DEP_1)
	v_lshlrev_b64 v[10:11], 3, v[10:11]
	v_add_co_u32 v10, vcc_lo, v6, v10
	s_delay_alu instid0(VALU_DEP_2)
	v_add_co_ci_u32_e32 v11, vcc_lo, v7, v11, vcc_lo
	global_store_b64 v[10:11], v[55:56], off
	s_or_b32 exec_lo, exec_lo, s18
	s_and_saveexec_b32 s18, s8
	s_cbranch_execnz .LBB1019_230
.LBB1019_265:
	s_or_b32 exec_lo, exec_lo, s18
	s_and_saveexec_b32 s18, s7
	s_cbranch_execz .LBB1019_231
.LBB1019_266:
	v_sub_nc_u32_e32 v10, v26, v8
	v_mov_b32_e32 v11, 0
	s_delay_alu instid0(VALU_DEP_1) | instskip(NEXT) | instid1(VALU_DEP_1)
	v_lshlrev_b64 v[10:11], 3, v[10:11]
	v_add_co_u32 v10, vcc_lo, v6, v10
	s_delay_alu instid0(VALU_DEP_2)
	v_add_co_ci_u32_e32 v11, vcc_lo, v7, v11, vcc_lo
	global_store_b64 v[10:11], v[67:68], off
	s_or_b32 exec_lo, exec_lo, s18
	s_and_saveexec_b32 s18, s6
	s_cbranch_execnz .LBB1019_232
.LBB1019_267:
	s_or_b32 exec_lo, exec_lo, s18
	s_and_saveexec_b32 s18, s5
	s_cbranch_execz .LBB1019_233
.LBB1019_268:
	v_sub_nc_u32_e32 v10, v24, v8
	v_mov_b32_e32 v11, 0
	s_delay_alu instid0(VALU_DEP_1) | instskip(NEXT) | instid1(VALU_DEP_1)
	v_lshlrev_b64 v[10:11], 3, v[10:11]
	v_add_co_u32 v10, vcc_lo, v6, v10
	s_delay_alu instid0(VALU_DEP_2)
	v_add_co_ci_u32_e32 v11, vcc_lo, v7, v11, vcc_lo
	global_store_b64 v[10:11], v[53:54], off
	s_or_b32 exec_lo, exec_lo, s18
	s_and_saveexec_b32 s18, s4
	s_cbranch_execnz .LBB1019_234
.LBB1019_269:
	s_or_b32 exec_lo, exec_lo, s18
	s_and_saveexec_b32 s18, s3
	s_cbranch_execz .LBB1019_235
.LBB1019_270:
	v_sub_nc_u32_e32 v10, v22, v8
	v_mov_b32_e32 v11, 0
	s_delay_alu instid0(VALU_DEP_1) | instskip(NEXT) | instid1(VALU_DEP_1)
	v_lshlrev_b64 v[10:11], 3, v[10:11]
	v_add_co_u32 v10, vcc_lo, v6, v10
	s_delay_alu instid0(VALU_DEP_2)
	v_add_co_ci_u32_e32 v11, vcc_lo, v7, v11, vcc_lo
	global_store_b64 v[10:11], v[73:74], off
	s_or_b32 exec_lo, exec_lo, s18
	s_and_saveexec_b32 s18, s2
	s_cbranch_execnz .LBB1019_236
.LBB1019_271:
	s_or_b32 exec_lo, exec_lo, s18
	s_and_saveexec_b32 s18, s1
	s_cbranch_execz .LBB1019_273
.LBB1019_272:
	v_sub_nc_u32_e32 v10, v20, v8
	v_mov_b32_e32 v11, 0
	s_delay_alu instid0(VALU_DEP_1) | instskip(NEXT) | instid1(VALU_DEP_1)
	v_lshlrev_b64 v[10:11], 3, v[10:11]
	v_add_co_u32 v10, vcc_lo, v6, v10
	s_delay_alu instid0(VALU_DEP_2)
	v_add_co_ci_u32_e32 v11, vcc_lo, v7, v11, vcc_lo
	global_store_b64 v[10:11], v[77:78], off
.LBB1019_273:
	s_or_b32 exec_lo, exec_lo, s18
	s_delay_alu instid0(SALU_CYCLE_1)
	s_and_b32 s18, s0, exec_lo
	s_and_not1_saveexec_b32 s15, s15
	s_cbranch_execnz .LBB1019_255
.LBB1019_274:
	s_or_b32 exec_lo, exec_lo, s15
	s_delay_alu instid0(SALU_CYCLE_1)
	s_and_b32 exec_lo, exec_lo, s18
	s_cbranch_execz .LBB1019_276
.LBB1019_275:
	v_sub_nc_u32_e32 v10, v19, v8
	v_mov_b32_e32 v11, 0
	s_delay_alu instid0(VALU_DEP_1) | instskip(NEXT) | instid1(VALU_DEP_1)
	v_lshlrev_b64 v[10:11], 3, v[10:11]
	v_add_co_u32 v10, vcc_lo, v6, v10
	s_delay_alu instid0(VALU_DEP_2)
	v_add_co_ci_u32_e32 v11, vcc_lo, v7, v11, vcc_lo
	global_store_b64 v[10:11], v[1:2], off
.LBB1019_276:
	s_or_b32 exec_lo, exec_lo, s16
.LBB1019_277:
	v_cmp_eq_u32_e32 vcc_lo, 0xff, v0
	s_and_b32 s0, vcc_lo, s17
	s_delay_alu instid0(SALU_CYCLE_1)
	s_and_saveexec_b32 s1, s0
	s_cbranch_execnz .LBB1019_299
	s_branch .LBB1019_301
.LBB1019_278:
	s_or_b32 exec_lo, exec_lo, s18
	s_and_saveexec_b32 s14, s13
	s_cbranch_execz .LBB1019_242
.LBB1019_279:
	v_sub_nc_u32_e32 v9, v32, v8
	s_delay_alu instid0(VALU_DEP_1)
	v_lshlrev_b32_e32 v9, 3, v9
	ds_store_b64 v9, v[59:60]
	s_or_b32 exec_lo, exec_lo, s14
	s_and_saveexec_b32 s13, s12
	s_cbranch_execnz .LBB1019_243
.LBB1019_280:
	s_or_b32 exec_lo, exec_lo, s13
	s_and_saveexec_b32 s12, s11
	s_cbranch_execz .LBB1019_244
.LBB1019_281:
	v_sub_nc_u32_e32 v9, v30, v8
	s_delay_alu instid0(VALU_DEP_1)
	v_lshlrev_b32_e32 v9, 3, v9
	ds_store_b64 v9, v[69:70]
	s_or_b32 exec_lo, exec_lo, s12
	s_and_saveexec_b32 s11, s10
	s_cbranch_execnz .LBB1019_245
.LBB1019_282:
	s_or_b32 exec_lo, exec_lo, s11
	s_and_saveexec_b32 s10, s9
	s_cbranch_execz .LBB1019_246
.LBB1019_283:
	v_sub_nc_u32_e32 v9, v28, v8
	s_delay_alu instid0(VALU_DEP_1)
	v_lshlrev_b32_e32 v9, 3, v9
	ds_store_b64 v9, v[55:56]
	s_or_b32 exec_lo, exec_lo, s10
	s_and_saveexec_b32 s9, s8
	s_cbranch_execnz .LBB1019_247
.LBB1019_284:
	s_or_b32 exec_lo, exec_lo, s9
	s_and_saveexec_b32 s8, s7
	s_cbranch_execz .LBB1019_248
.LBB1019_285:
	v_sub_nc_u32_e32 v9, v26, v8
	s_delay_alu instid0(VALU_DEP_1)
	v_lshlrev_b32_e32 v9, 3, v9
	ds_store_b64 v9, v[67:68]
	s_or_b32 exec_lo, exec_lo, s8
	s_and_saveexec_b32 s7, s6
	s_cbranch_execnz .LBB1019_249
.LBB1019_286:
	s_or_b32 exec_lo, exec_lo, s7
	s_and_saveexec_b32 s6, s5
	s_cbranch_execz .LBB1019_250
.LBB1019_287:
	v_sub_nc_u32_e32 v9, v24, v8
	s_delay_alu instid0(VALU_DEP_1)
	v_lshlrev_b32_e32 v9, 3, v9
	ds_store_b64 v9, v[53:54]
	s_or_b32 exec_lo, exec_lo, s6
	s_and_saveexec_b32 s5, s4
	s_cbranch_execnz .LBB1019_251
.LBB1019_288:
	s_or_b32 exec_lo, exec_lo, s5
	s_and_saveexec_b32 s4, s3
	s_cbranch_execz .LBB1019_252
.LBB1019_289:
	v_sub_nc_u32_e32 v9, v22, v8
	s_delay_alu instid0(VALU_DEP_1)
	v_lshlrev_b32_e32 v9, 3, v9
	ds_store_b64 v9, v[73:74]
	s_or_b32 exec_lo, exec_lo, s4
	s_and_saveexec_b32 s3, s2
	s_cbranch_execnz .LBB1019_253
.LBB1019_290:
	s_or_b32 exec_lo, exec_lo, s3
	s_and_saveexec_b32 s2, s1
	s_cbranch_execz .LBB1019_292
.LBB1019_291:
	v_sub_nc_u32_e32 v9, v20, v8
	s_delay_alu instid0(VALU_DEP_1)
	v_lshlrev_b32_e32 v9, 3, v9
	ds_store_b64 v9, v[77:78]
.LBB1019_292:
	s_or_b32 exec_lo, exec_lo, s2
	s_delay_alu instid0(SALU_CYCLE_1)
	s_and_b32 s18, s0, exec_lo
                                        ; implicit-def: $vgpr63_vgpr64
                                        ; implicit-def: $vgpr59_vgpr60
                                        ; implicit-def: $vgpr65_vgpr66
                                        ; implicit-def: $vgpr69_vgpr70
                                        ; implicit-def: $vgpr51_vgpr52
                                        ; implicit-def: $vgpr55_vgpr56
                                        ; implicit-def: $vgpr61_vgpr62
                                        ; implicit-def: $vgpr67_vgpr68
                                        ; implicit-def: $vgpr71_vgpr72
                                        ; implicit-def: $vgpr53_vgpr54
                                        ; implicit-def: $vgpr57_vgpr58
                                        ; implicit-def: $vgpr73_vgpr74
                                        ; implicit-def: $vgpr75_vgpr76
                                        ; implicit-def: $vgpr77_vgpr78
                                        ; implicit-def: $vgpr98
                                        ; implicit-def: $vgpr32
                                        ; implicit-def: $vgpr31
                                        ; implicit-def: $vgpr30
                                        ; implicit-def: $vgpr29
                                        ; implicit-def: $vgpr28
                                        ; implicit-def: $vgpr27
                                        ; implicit-def: $vgpr26
                                        ; implicit-def: $vgpr25
                                        ; implicit-def: $vgpr24
                                        ; implicit-def: $vgpr23
                                        ; implicit-def: $vgpr22
                                        ; implicit-def: $vgpr21
                                        ; implicit-def: $vgpr20
	s_and_not1_saveexec_b32 s0, s16
	s_cbranch_execnz .LBB1019_257
.LBB1019_293:
	s_or_b32 exec_lo, exec_lo, s0
	s_delay_alu instid0(SALU_CYCLE_1)
	s_and_b32 exec_lo, exec_lo, s18
	s_cbranch_execz .LBB1019_295
.LBB1019_294:
	v_sub_nc_u32_e32 v8, v19, v8
	s_delay_alu instid0(VALU_DEP_1)
	v_lshlrev_b32_e32 v8, 3, v8
	ds_store_b64 v8, v[1:2]
.LBB1019_295:
	s_or_b32 exec_lo, exec_lo, s15
	s_delay_alu instid0(SALU_CYCLE_1)
	s_mov_b32 s1, exec_lo
	s_waitcnt lgkmcnt(0)
	s_waitcnt_vscnt null, 0x0
	s_barrier
	buffer_gl0_inv
	v_cmpx_lt_u32_e64 v0, v3
	s_cbranch_execz .LBB1019_298
; %bb.296:
	v_dual_mov_b32 v1, v0 :: v_dual_lshlrev_b32 v8, 3, v0
	v_mov_b32_e32 v2, 0
	s_mov_b32 s2, 0
	.p2align	6
.LBB1019_297:                           ; =>This Inner Loop Header: Depth=1
	ds_load_b64 v[9:10], v8
	v_lshlrev_b64 v[11:12], 3, v[1:2]
	v_add_nc_u32_e32 v1, 0x100, v1
	v_add_nc_u32_e32 v8, 0x800, v8
	s_delay_alu instid0(VALU_DEP_2) | instskip(NEXT) | instid1(VALU_DEP_4)
	v_cmp_ge_u32_e32 vcc_lo, v1, v3
	v_add_co_u32 v11, s0, v6, v11
	s_delay_alu instid0(VALU_DEP_1)
	v_add_co_ci_u32_e64 v12, s0, v7, v12, s0
	s_or_b32 s2, vcc_lo, s2
	s_waitcnt lgkmcnt(0)
	global_store_b64 v[11:12], v[9:10], off
	s_and_not1_b32 exec_lo, exec_lo, s2
	s_cbranch_execnz .LBB1019_297
.LBB1019_298:
	s_or_b32 exec_lo, exec_lo, s1
	v_cmp_eq_u32_e32 vcc_lo, 0xff, v0
	s_and_b32 s0, vcc_lo, s17
	s_delay_alu instid0(SALU_CYCLE_1)
	s_and_saveexec_b32 s1, s0
	s_cbranch_execz .LBB1019_301
.LBB1019_299:
	v_add_co_u32 v0, s0, v45, v49
	s_delay_alu instid0(VALU_DEP_1) | instskip(SKIP_1) | instid1(VALU_DEP_3)
	v_add_co_ci_u32_e64 v1, null, 0, 0, s0
	v_mov_b32_e32 v46, 0
	v_add_co_u32 v0, vcc_lo, v0, v17
	s_delay_alu instid0(VALU_DEP_3)
	v_add_co_ci_u32_e32 v1, vcc_lo, v1, v18, vcc_lo
	s_cmpk_lg_i32 s26, 0xf00
	global_store_b64 v46, v[0:1], s[22:23]
	s_cbranch_scc1 .LBB1019_301
; %bb.300:
	v_lshlrev_b64 v[0:1], 3, v[45:46]
	s_delay_alu instid0(VALU_DEP_1) | instskip(NEXT) | instid1(VALU_DEP_2)
	v_add_co_u32 v0, vcc_lo, v4, v0
	v_add_co_ci_u32_e32 v1, vcc_lo, v5, v1, vcc_lo
	global_store_b64 v[0:1], v[47:48], off offset:-8
	s_nop 0
	s_sendmsg sendmsg(MSG_DEALLOC_VGPRS)
	s_endpgm
.LBB1019_301:
	s_nop 0
	s_sendmsg sendmsg(MSG_DEALLOC_VGPRS)
	s_endpgm
	.section	.rodata,"a",@progbits
	.p2align	6, 0x0
	.amdhsa_kernel _ZN7rocprim17ROCPRIM_400000_NS6detail17trampoline_kernelINS0_14default_configENS1_29reduce_by_key_config_selectorIjxN6thrust23THRUST_200600_302600_NS4plusIxEEEEZZNS1_33reduce_by_key_impl_wrapped_configILNS1_25lookback_scan_determinismE0ES3_S9_NS6_6detail15normal_iteratorINS6_10device_ptrIjEEEENSD_INSE_IxEEEENS6_16discard_iteratorINS6_11use_defaultEEESI_PmS8_NS6_8equal_toIjEEEE10hipError_tPvRmT2_T3_mT4_T5_T6_T7_T8_P12ihipStream_tbENKUlT_T0_E_clISt17integral_constantIbLb0EES15_IbLb1EEEEDaS11_S12_EUlS11_E_NS1_11comp_targetILNS1_3genE9ELNS1_11target_archE1100ELNS1_3gpuE3ELNS1_3repE0EEENS1_30default_config_static_selectorELNS0_4arch9wavefront6targetE0EEEvT1_
		.amdhsa_group_segment_fixed_size 30720
		.amdhsa_private_segment_fixed_size 0
		.amdhsa_kernarg_size 144
		.amdhsa_user_sgpr_count 15
		.amdhsa_user_sgpr_dispatch_ptr 0
		.amdhsa_user_sgpr_queue_ptr 0
		.amdhsa_user_sgpr_kernarg_segment_ptr 1
		.amdhsa_user_sgpr_dispatch_id 0
		.amdhsa_user_sgpr_private_segment_size 0
		.amdhsa_wavefront_size32 1
		.amdhsa_uses_dynamic_stack 0
		.amdhsa_enable_private_segment 0
		.amdhsa_system_sgpr_workgroup_id_x 1
		.amdhsa_system_sgpr_workgroup_id_y 0
		.amdhsa_system_sgpr_workgroup_id_z 0
		.amdhsa_system_sgpr_workgroup_info 0
		.amdhsa_system_vgpr_workitem_id 0
		.amdhsa_next_free_vgpr 103
		.amdhsa_next_free_sgpr 52
		.amdhsa_reserve_vcc 1
		.amdhsa_float_round_mode_32 0
		.amdhsa_float_round_mode_16_64 0
		.amdhsa_float_denorm_mode_32 3
		.amdhsa_float_denorm_mode_16_64 3
		.amdhsa_dx10_clamp 1
		.amdhsa_ieee_mode 1
		.amdhsa_fp16_overflow 0
		.amdhsa_workgroup_processor_mode 1
		.amdhsa_memory_ordered 1
		.amdhsa_forward_progress 0
		.amdhsa_shared_vgpr_count 0
		.amdhsa_exception_fp_ieee_invalid_op 0
		.amdhsa_exception_fp_denorm_src 0
		.amdhsa_exception_fp_ieee_div_zero 0
		.amdhsa_exception_fp_ieee_overflow 0
		.amdhsa_exception_fp_ieee_underflow 0
		.amdhsa_exception_fp_ieee_inexact 0
		.amdhsa_exception_int_div_zero 0
	.end_amdhsa_kernel
	.section	.text._ZN7rocprim17ROCPRIM_400000_NS6detail17trampoline_kernelINS0_14default_configENS1_29reduce_by_key_config_selectorIjxN6thrust23THRUST_200600_302600_NS4plusIxEEEEZZNS1_33reduce_by_key_impl_wrapped_configILNS1_25lookback_scan_determinismE0ES3_S9_NS6_6detail15normal_iteratorINS6_10device_ptrIjEEEENSD_INSE_IxEEEENS6_16discard_iteratorINS6_11use_defaultEEESI_PmS8_NS6_8equal_toIjEEEE10hipError_tPvRmT2_T3_mT4_T5_T6_T7_T8_P12ihipStream_tbENKUlT_T0_E_clISt17integral_constantIbLb0EES15_IbLb1EEEEDaS11_S12_EUlS11_E_NS1_11comp_targetILNS1_3genE9ELNS1_11target_archE1100ELNS1_3gpuE3ELNS1_3repE0EEENS1_30default_config_static_selectorELNS0_4arch9wavefront6targetE0EEEvT1_,"axG",@progbits,_ZN7rocprim17ROCPRIM_400000_NS6detail17trampoline_kernelINS0_14default_configENS1_29reduce_by_key_config_selectorIjxN6thrust23THRUST_200600_302600_NS4plusIxEEEEZZNS1_33reduce_by_key_impl_wrapped_configILNS1_25lookback_scan_determinismE0ES3_S9_NS6_6detail15normal_iteratorINS6_10device_ptrIjEEEENSD_INSE_IxEEEENS6_16discard_iteratorINS6_11use_defaultEEESI_PmS8_NS6_8equal_toIjEEEE10hipError_tPvRmT2_T3_mT4_T5_T6_T7_T8_P12ihipStream_tbENKUlT_T0_E_clISt17integral_constantIbLb0EES15_IbLb1EEEEDaS11_S12_EUlS11_E_NS1_11comp_targetILNS1_3genE9ELNS1_11target_archE1100ELNS1_3gpuE3ELNS1_3repE0EEENS1_30default_config_static_selectorELNS0_4arch9wavefront6targetE0EEEvT1_,comdat
.Lfunc_end1019:
	.size	_ZN7rocprim17ROCPRIM_400000_NS6detail17trampoline_kernelINS0_14default_configENS1_29reduce_by_key_config_selectorIjxN6thrust23THRUST_200600_302600_NS4plusIxEEEEZZNS1_33reduce_by_key_impl_wrapped_configILNS1_25lookback_scan_determinismE0ES3_S9_NS6_6detail15normal_iteratorINS6_10device_ptrIjEEEENSD_INSE_IxEEEENS6_16discard_iteratorINS6_11use_defaultEEESI_PmS8_NS6_8equal_toIjEEEE10hipError_tPvRmT2_T3_mT4_T5_T6_T7_T8_P12ihipStream_tbENKUlT_T0_E_clISt17integral_constantIbLb0EES15_IbLb1EEEEDaS11_S12_EUlS11_E_NS1_11comp_targetILNS1_3genE9ELNS1_11target_archE1100ELNS1_3gpuE3ELNS1_3repE0EEENS1_30default_config_static_selectorELNS0_4arch9wavefront6targetE0EEEvT1_, .Lfunc_end1019-_ZN7rocprim17ROCPRIM_400000_NS6detail17trampoline_kernelINS0_14default_configENS1_29reduce_by_key_config_selectorIjxN6thrust23THRUST_200600_302600_NS4plusIxEEEEZZNS1_33reduce_by_key_impl_wrapped_configILNS1_25lookback_scan_determinismE0ES3_S9_NS6_6detail15normal_iteratorINS6_10device_ptrIjEEEENSD_INSE_IxEEEENS6_16discard_iteratorINS6_11use_defaultEEESI_PmS8_NS6_8equal_toIjEEEE10hipError_tPvRmT2_T3_mT4_T5_T6_T7_T8_P12ihipStream_tbENKUlT_T0_E_clISt17integral_constantIbLb0EES15_IbLb1EEEEDaS11_S12_EUlS11_E_NS1_11comp_targetILNS1_3genE9ELNS1_11target_archE1100ELNS1_3gpuE3ELNS1_3repE0EEENS1_30default_config_static_selectorELNS0_4arch9wavefront6targetE0EEEvT1_
                                        ; -- End function
	.section	.AMDGPU.csdata,"",@progbits
; Kernel info:
; codeLenInByte = 17576
; NumSgprs: 54
; NumVgprs: 103
; ScratchSize: 0
; MemoryBound: 0
; FloatMode: 240
; IeeeMode: 1
; LDSByteSize: 30720 bytes/workgroup (compile time only)
; SGPRBlocks: 6
; VGPRBlocks: 12
; NumSGPRsForWavesPerEU: 54
; NumVGPRsForWavesPerEU: 103
; Occupancy: 8
; WaveLimiterHint : 1
; COMPUTE_PGM_RSRC2:SCRATCH_EN: 0
; COMPUTE_PGM_RSRC2:USER_SGPR: 15
; COMPUTE_PGM_RSRC2:TRAP_HANDLER: 0
; COMPUTE_PGM_RSRC2:TGID_X_EN: 1
; COMPUTE_PGM_RSRC2:TGID_Y_EN: 0
; COMPUTE_PGM_RSRC2:TGID_Z_EN: 0
; COMPUTE_PGM_RSRC2:TIDIG_COMP_CNT: 0
	.section	.text._ZN7rocprim17ROCPRIM_400000_NS6detail17trampoline_kernelINS0_14default_configENS1_29reduce_by_key_config_selectorIjxN6thrust23THRUST_200600_302600_NS4plusIxEEEEZZNS1_33reduce_by_key_impl_wrapped_configILNS1_25lookback_scan_determinismE0ES3_S9_NS6_6detail15normal_iteratorINS6_10device_ptrIjEEEENSD_INSE_IxEEEENS6_16discard_iteratorINS6_11use_defaultEEESI_PmS8_NS6_8equal_toIjEEEE10hipError_tPvRmT2_T3_mT4_T5_T6_T7_T8_P12ihipStream_tbENKUlT_T0_E_clISt17integral_constantIbLb0EES15_IbLb1EEEEDaS11_S12_EUlS11_E_NS1_11comp_targetILNS1_3genE8ELNS1_11target_archE1030ELNS1_3gpuE2ELNS1_3repE0EEENS1_30default_config_static_selectorELNS0_4arch9wavefront6targetE0EEEvT1_,"axG",@progbits,_ZN7rocprim17ROCPRIM_400000_NS6detail17trampoline_kernelINS0_14default_configENS1_29reduce_by_key_config_selectorIjxN6thrust23THRUST_200600_302600_NS4plusIxEEEEZZNS1_33reduce_by_key_impl_wrapped_configILNS1_25lookback_scan_determinismE0ES3_S9_NS6_6detail15normal_iteratorINS6_10device_ptrIjEEEENSD_INSE_IxEEEENS6_16discard_iteratorINS6_11use_defaultEEESI_PmS8_NS6_8equal_toIjEEEE10hipError_tPvRmT2_T3_mT4_T5_T6_T7_T8_P12ihipStream_tbENKUlT_T0_E_clISt17integral_constantIbLb0EES15_IbLb1EEEEDaS11_S12_EUlS11_E_NS1_11comp_targetILNS1_3genE8ELNS1_11target_archE1030ELNS1_3gpuE2ELNS1_3repE0EEENS1_30default_config_static_selectorELNS0_4arch9wavefront6targetE0EEEvT1_,comdat
	.protected	_ZN7rocprim17ROCPRIM_400000_NS6detail17trampoline_kernelINS0_14default_configENS1_29reduce_by_key_config_selectorIjxN6thrust23THRUST_200600_302600_NS4plusIxEEEEZZNS1_33reduce_by_key_impl_wrapped_configILNS1_25lookback_scan_determinismE0ES3_S9_NS6_6detail15normal_iteratorINS6_10device_ptrIjEEEENSD_INSE_IxEEEENS6_16discard_iteratorINS6_11use_defaultEEESI_PmS8_NS6_8equal_toIjEEEE10hipError_tPvRmT2_T3_mT4_T5_T6_T7_T8_P12ihipStream_tbENKUlT_T0_E_clISt17integral_constantIbLb0EES15_IbLb1EEEEDaS11_S12_EUlS11_E_NS1_11comp_targetILNS1_3genE8ELNS1_11target_archE1030ELNS1_3gpuE2ELNS1_3repE0EEENS1_30default_config_static_selectorELNS0_4arch9wavefront6targetE0EEEvT1_ ; -- Begin function _ZN7rocprim17ROCPRIM_400000_NS6detail17trampoline_kernelINS0_14default_configENS1_29reduce_by_key_config_selectorIjxN6thrust23THRUST_200600_302600_NS4plusIxEEEEZZNS1_33reduce_by_key_impl_wrapped_configILNS1_25lookback_scan_determinismE0ES3_S9_NS6_6detail15normal_iteratorINS6_10device_ptrIjEEEENSD_INSE_IxEEEENS6_16discard_iteratorINS6_11use_defaultEEESI_PmS8_NS6_8equal_toIjEEEE10hipError_tPvRmT2_T3_mT4_T5_T6_T7_T8_P12ihipStream_tbENKUlT_T0_E_clISt17integral_constantIbLb0EES15_IbLb1EEEEDaS11_S12_EUlS11_E_NS1_11comp_targetILNS1_3genE8ELNS1_11target_archE1030ELNS1_3gpuE2ELNS1_3repE0EEENS1_30default_config_static_selectorELNS0_4arch9wavefront6targetE0EEEvT1_
	.globl	_ZN7rocprim17ROCPRIM_400000_NS6detail17trampoline_kernelINS0_14default_configENS1_29reduce_by_key_config_selectorIjxN6thrust23THRUST_200600_302600_NS4plusIxEEEEZZNS1_33reduce_by_key_impl_wrapped_configILNS1_25lookback_scan_determinismE0ES3_S9_NS6_6detail15normal_iteratorINS6_10device_ptrIjEEEENSD_INSE_IxEEEENS6_16discard_iteratorINS6_11use_defaultEEESI_PmS8_NS6_8equal_toIjEEEE10hipError_tPvRmT2_T3_mT4_T5_T6_T7_T8_P12ihipStream_tbENKUlT_T0_E_clISt17integral_constantIbLb0EES15_IbLb1EEEEDaS11_S12_EUlS11_E_NS1_11comp_targetILNS1_3genE8ELNS1_11target_archE1030ELNS1_3gpuE2ELNS1_3repE0EEENS1_30default_config_static_selectorELNS0_4arch9wavefront6targetE0EEEvT1_
	.p2align	8
	.type	_ZN7rocprim17ROCPRIM_400000_NS6detail17trampoline_kernelINS0_14default_configENS1_29reduce_by_key_config_selectorIjxN6thrust23THRUST_200600_302600_NS4plusIxEEEEZZNS1_33reduce_by_key_impl_wrapped_configILNS1_25lookback_scan_determinismE0ES3_S9_NS6_6detail15normal_iteratorINS6_10device_ptrIjEEEENSD_INSE_IxEEEENS6_16discard_iteratorINS6_11use_defaultEEESI_PmS8_NS6_8equal_toIjEEEE10hipError_tPvRmT2_T3_mT4_T5_T6_T7_T8_P12ihipStream_tbENKUlT_T0_E_clISt17integral_constantIbLb0EES15_IbLb1EEEEDaS11_S12_EUlS11_E_NS1_11comp_targetILNS1_3genE8ELNS1_11target_archE1030ELNS1_3gpuE2ELNS1_3repE0EEENS1_30default_config_static_selectorELNS0_4arch9wavefront6targetE0EEEvT1_,@function
_ZN7rocprim17ROCPRIM_400000_NS6detail17trampoline_kernelINS0_14default_configENS1_29reduce_by_key_config_selectorIjxN6thrust23THRUST_200600_302600_NS4plusIxEEEEZZNS1_33reduce_by_key_impl_wrapped_configILNS1_25lookback_scan_determinismE0ES3_S9_NS6_6detail15normal_iteratorINS6_10device_ptrIjEEEENSD_INSE_IxEEEENS6_16discard_iteratorINS6_11use_defaultEEESI_PmS8_NS6_8equal_toIjEEEE10hipError_tPvRmT2_T3_mT4_T5_T6_T7_T8_P12ihipStream_tbENKUlT_T0_E_clISt17integral_constantIbLb0EES15_IbLb1EEEEDaS11_S12_EUlS11_E_NS1_11comp_targetILNS1_3genE8ELNS1_11target_archE1030ELNS1_3gpuE2ELNS1_3repE0EEENS1_30default_config_static_selectorELNS0_4arch9wavefront6targetE0EEEvT1_: ; @_ZN7rocprim17ROCPRIM_400000_NS6detail17trampoline_kernelINS0_14default_configENS1_29reduce_by_key_config_selectorIjxN6thrust23THRUST_200600_302600_NS4plusIxEEEEZZNS1_33reduce_by_key_impl_wrapped_configILNS1_25lookback_scan_determinismE0ES3_S9_NS6_6detail15normal_iteratorINS6_10device_ptrIjEEEENSD_INSE_IxEEEENS6_16discard_iteratorINS6_11use_defaultEEESI_PmS8_NS6_8equal_toIjEEEE10hipError_tPvRmT2_T3_mT4_T5_T6_T7_T8_P12ihipStream_tbENKUlT_T0_E_clISt17integral_constantIbLb0EES15_IbLb1EEEEDaS11_S12_EUlS11_E_NS1_11comp_targetILNS1_3genE8ELNS1_11target_archE1030ELNS1_3gpuE2ELNS1_3repE0EEENS1_30default_config_static_selectorELNS0_4arch9wavefront6targetE0EEEvT1_
; %bb.0:
	.section	.rodata,"a",@progbits
	.p2align	6, 0x0
	.amdhsa_kernel _ZN7rocprim17ROCPRIM_400000_NS6detail17trampoline_kernelINS0_14default_configENS1_29reduce_by_key_config_selectorIjxN6thrust23THRUST_200600_302600_NS4plusIxEEEEZZNS1_33reduce_by_key_impl_wrapped_configILNS1_25lookback_scan_determinismE0ES3_S9_NS6_6detail15normal_iteratorINS6_10device_ptrIjEEEENSD_INSE_IxEEEENS6_16discard_iteratorINS6_11use_defaultEEESI_PmS8_NS6_8equal_toIjEEEE10hipError_tPvRmT2_T3_mT4_T5_T6_T7_T8_P12ihipStream_tbENKUlT_T0_E_clISt17integral_constantIbLb0EES15_IbLb1EEEEDaS11_S12_EUlS11_E_NS1_11comp_targetILNS1_3genE8ELNS1_11target_archE1030ELNS1_3gpuE2ELNS1_3repE0EEENS1_30default_config_static_selectorELNS0_4arch9wavefront6targetE0EEEvT1_
		.amdhsa_group_segment_fixed_size 0
		.amdhsa_private_segment_fixed_size 0
		.amdhsa_kernarg_size 144
		.amdhsa_user_sgpr_count 15
		.amdhsa_user_sgpr_dispatch_ptr 0
		.amdhsa_user_sgpr_queue_ptr 0
		.amdhsa_user_sgpr_kernarg_segment_ptr 1
		.amdhsa_user_sgpr_dispatch_id 0
		.amdhsa_user_sgpr_private_segment_size 0
		.amdhsa_wavefront_size32 1
		.amdhsa_uses_dynamic_stack 0
		.amdhsa_enable_private_segment 0
		.amdhsa_system_sgpr_workgroup_id_x 1
		.amdhsa_system_sgpr_workgroup_id_y 0
		.amdhsa_system_sgpr_workgroup_id_z 0
		.amdhsa_system_sgpr_workgroup_info 0
		.amdhsa_system_vgpr_workitem_id 0
		.amdhsa_next_free_vgpr 1
		.amdhsa_next_free_sgpr 1
		.amdhsa_reserve_vcc 0
		.amdhsa_float_round_mode_32 0
		.amdhsa_float_round_mode_16_64 0
		.amdhsa_float_denorm_mode_32 3
		.amdhsa_float_denorm_mode_16_64 3
		.amdhsa_dx10_clamp 1
		.amdhsa_ieee_mode 1
		.amdhsa_fp16_overflow 0
		.amdhsa_workgroup_processor_mode 1
		.amdhsa_memory_ordered 1
		.amdhsa_forward_progress 0
		.amdhsa_shared_vgpr_count 0
		.amdhsa_exception_fp_ieee_invalid_op 0
		.amdhsa_exception_fp_denorm_src 0
		.amdhsa_exception_fp_ieee_div_zero 0
		.amdhsa_exception_fp_ieee_overflow 0
		.amdhsa_exception_fp_ieee_underflow 0
		.amdhsa_exception_fp_ieee_inexact 0
		.amdhsa_exception_int_div_zero 0
	.end_amdhsa_kernel
	.section	.text._ZN7rocprim17ROCPRIM_400000_NS6detail17trampoline_kernelINS0_14default_configENS1_29reduce_by_key_config_selectorIjxN6thrust23THRUST_200600_302600_NS4plusIxEEEEZZNS1_33reduce_by_key_impl_wrapped_configILNS1_25lookback_scan_determinismE0ES3_S9_NS6_6detail15normal_iteratorINS6_10device_ptrIjEEEENSD_INSE_IxEEEENS6_16discard_iteratorINS6_11use_defaultEEESI_PmS8_NS6_8equal_toIjEEEE10hipError_tPvRmT2_T3_mT4_T5_T6_T7_T8_P12ihipStream_tbENKUlT_T0_E_clISt17integral_constantIbLb0EES15_IbLb1EEEEDaS11_S12_EUlS11_E_NS1_11comp_targetILNS1_3genE8ELNS1_11target_archE1030ELNS1_3gpuE2ELNS1_3repE0EEENS1_30default_config_static_selectorELNS0_4arch9wavefront6targetE0EEEvT1_,"axG",@progbits,_ZN7rocprim17ROCPRIM_400000_NS6detail17trampoline_kernelINS0_14default_configENS1_29reduce_by_key_config_selectorIjxN6thrust23THRUST_200600_302600_NS4plusIxEEEEZZNS1_33reduce_by_key_impl_wrapped_configILNS1_25lookback_scan_determinismE0ES3_S9_NS6_6detail15normal_iteratorINS6_10device_ptrIjEEEENSD_INSE_IxEEEENS6_16discard_iteratorINS6_11use_defaultEEESI_PmS8_NS6_8equal_toIjEEEE10hipError_tPvRmT2_T3_mT4_T5_T6_T7_T8_P12ihipStream_tbENKUlT_T0_E_clISt17integral_constantIbLb0EES15_IbLb1EEEEDaS11_S12_EUlS11_E_NS1_11comp_targetILNS1_3genE8ELNS1_11target_archE1030ELNS1_3gpuE2ELNS1_3repE0EEENS1_30default_config_static_selectorELNS0_4arch9wavefront6targetE0EEEvT1_,comdat
.Lfunc_end1020:
	.size	_ZN7rocprim17ROCPRIM_400000_NS6detail17trampoline_kernelINS0_14default_configENS1_29reduce_by_key_config_selectorIjxN6thrust23THRUST_200600_302600_NS4plusIxEEEEZZNS1_33reduce_by_key_impl_wrapped_configILNS1_25lookback_scan_determinismE0ES3_S9_NS6_6detail15normal_iteratorINS6_10device_ptrIjEEEENSD_INSE_IxEEEENS6_16discard_iteratorINS6_11use_defaultEEESI_PmS8_NS6_8equal_toIjEEEE10hipError_tPvRmT2_T3_mT4_T5_T6_T7_T8_P12ihipStream_tbENKUlT_T0_E_clISt17integral_constantIbLb0EES15_IbLb1EEEEDaS11_S12_EUlS11_E_NS1_11comp_targetILNS1_3genE8ELNS1_11target_archE1030ELNS1_3gpuE2ELNS1_3repE0EEENS1_30default_config_static_selectorELNS0_4arch9wavefront6targetE0EEEvT1_, .Lfunc_end1020-_ZN7rocprim17ROCPRIM_400000_NS6detail17trampoline_kernelINS0_14default_configENS1_29reduce_by_key_config_selectorIjxN6thrust23THRUST_200600_302600_NS4plusIxEEEEZZNS1_33reduce_by_key_impl_wrapped_configILNS1_25lookback_scan_determinismE0ES3_S9_NS6_6detail15normal_iteratorINS6_10device_ptrIjEEEENSD_INSE_IxEEEENS6_16discard_iteratorINS6_11use_defaultEEESI_PmS8_NS6_8equal_toIjEEEE10hipError_tPvRmT2_T3_mT4_T5_T6_T7_T8_P12ihipStream_tbENKUlT_T0_E_clISt17integral_constantIbLb0EES15_IbLb1EEEEDaS11_S12_EUlS11_E_NS1_11comp_targetILNS1_3genE8ELNS1_11target_archE1030ELNS1_3gpuE2ELNS1_3repE0EEENS1_30default_config_static_selectorELNS0_4arch9wavefront6targetE0EEEvT1_
                                        ; -- End function
	.section	.AMDGPU.csdata,"",@progbits
; Kernel info:
; codeLenInByte = 0
; NumSgprs: 0
; NumVgprs: 0
; ScratchSize: 0
; MemoryBound: 0
; FloatMode: 240
; IeeeMode: 1
; LDSByteSize: 0 bytes/workgroup (compile time only)
; SGPRBlocks: 0
; VGPRBlocks: 0
; NumSGPRsForWavesPerEU: 1
; NumVGPRsForWavesPerEU: 1
; Occupancy: 16
; WaveLimiterHint : 0
; COMPUTE_PGM_RSRC2:SCRATCH_EN: 0
; COMPUTE_PGM_RSRC2:USER_SGPR: 15
; COMPUTE_PGM_RSRC2:TRAP_HANDLER: 0
; COMPUTE_PGM_RSRC2:TGID_X_EN: 1
; COMPUTE_PGM_RSRC2:TGID_Y_EN: 0
; COMPUTE_PGM_RSRC2:TGID_Z_EN: 0
; COMPUTE_PGM_RSRC2:TIDIG_COMP_CNT: 0
	.section	.text._ZN7rocprim17ROCPRIM_400000_NS6detail17trampoline_kernelINS0_14default_configENS1_29reduce_by_key_config_selectorIjiN6thrust23THRUST_200600_302600_NS4plusIiEEEEZZNS1_33reduce_by_key_impl_wrapped_configILNS1_25lookback_scan_determinismE0ES3_S9_NS6_6detail15normal_iteratorINS6_10device_ptrIjEEEENSD_INSE_IiEEEENS6_16discard_iteratorINS6_11use_defaultEEESI_PmS8_NS6_8equal_toIjEEEE10hipError_tPvRmT2_T3_mT4_T5_T6_T7_T8_P12ihipStream_tbENKUlT_T0_E_clISt17integral_constantIbLb0EES16_EEDaS11_S12_EUlS11_E_NS1_11comp_targetILNS1_3genE0ELNS1_11target_archE4294967295ELNS1_3gpuE0ELNS1_3repE0EEENS1_30default_config_static_selectorELNS0_4arch9wavefront6targetE0EEEvT1_,"axG",@progbits,_ZN7rocprim17ROCPRIM_400000_NS6detail17trampoline_kernelINS0_14default_configENS1_29reduce_by_key_config_selectorIjiN6thrust23THRUST_200600_302600_NS4plusIiEEEEZZNS1_33reduce_by_key_impl_wrapped_configILNS1_25lookback_scan_determinismE0ES3_S9_NS6_6detail15normal_iteratorINS6_10device_ptrIjEEEENSD_INSE_IiEEEENS6_16discard_iteratorINS6_11use_defaultEEESI_PmS8_NS6_8equal_toIjEEEE10hipError_tPvRmT2_T3_mT4_T5_T6_T7_T8_P12ihipStream_tbENKUlT_T0_E_clISt17integral_constantIbLb0EES16_EEDaS11_S12_EUlS11_E_NS1_11comp_targetILNS1_3genE0ELNS1_11target_archE4294967295ELNS1_3gpuE0ELNS1_3repE0EEENS1_30default_config_static_selectorELNS0_4arch9wavefront6targetE0EEEvT1_,comdat
	.protected	_ZN7rocprim17ROCPRIM_400000_NS6detail17trampoline_kernelINS0_14default_configENS1_29reduce_by_key_config_selectorIjiN6thrust23THRUST_200600_302600_NS4plusIiEEEEZZNS1_33reduce_by_key_impl_wrapped_configILNS1_25lookback_scan_determinismE0ES3_S9_NS6_6detail15normal_iteratorINS6_10device_ptrIjEEEENSD_INSE_IiEEEENS6_16discard_iteratorINS6_11use_defaultEEESI_PmS8_NS6_8equal_toIjEEEE10hipError_tPvRmT2_T3_mT4_T5_T6_T7_T8_P12ihipStream_tbENKUlT_T0_E_clISt17integral_constantIbLb0EES16_EEDaS11_S12_EUlS11_E_NS1_11comp_targetILNS1_3genE0ELNS1_11target_archE4294967295ELNS1_3gpuE0ELNS1_3repE0EEENS1_30default_config_static_selectorELNS0_4arch9wavefront6targetE0EEEvT1_ ; -- Begin function _ZN7rocprim17ROCPRIM_400000_NS6detail17trampoline_kernelINS0_14default_configENS1_29reduce_by_key_config_selectorIjiN6thrust23THRUST_200600_302600_NS4plusIiEEEEZZNS1_33reduce_by_key_impl_wrapped_configILNS1_25lookback_scan_determinismE0ES3_S9_NS6_6detail15normal_iteratorINS6_10device_ptrIjEEEENSD_INSE_IiEEEENS6_16discard_iteratorINS6_11use_defaultEEESI_PmS8_NS6_8equal_toIjEEEE10hipError_tPvRmT2_T3_mT4_T5_T6_T7_T8_P12ihipStream_tbENKUlT_T0_E_clISt17integral_constantIbLb0EES16_EEDaS11_S12_EUlS11_E_NS1_11comp_targetILNS1_3genE0ELNS1_11target_archE4294967295ELNS1_3gpuE0ELNS1_3repE0EEENS1_30default_config_static_selectorELNS0_4arch9wavefront6targetE0EEEvT1_
	.globl	_ZN7rocprim17ROCPRIM_400000_NS6detail17trampoline_kernelINS0_14default_configENS1_29reduce_by_key_config_selectorIjiN6thrust23THRUST_200600_302600_NS4plusIiEEEEZZNS1_33reduce_by_key_impl_wrapped_configILNS1_25lookback_scan_determinismE0ES3_S9_NS6_6detail15normal_iteratorINS6_10device_ptrIjEEEENSD_INSE_IiEEEENS6_16discard_iteratorINS6_11use_defaultEEESI_PmS8_NS6_8equal_toIjEEEE10hipError_tPvRmT2_T3_mT4_T5_T6_T7_T8_P12ihipStream_tbENKUlT_T0_E_clISt17integral_constantIbLb0EES16_EEDaS11_S12_EUlS11_E_NS1_11comp_targetILNS1_3genE0ELNS1_11target_archE4294967295ELNS1_3gpuE0ELNS1_3repE0EEENS1_30default_config_static_selectorELNS0_4arch9wavefront6targetE0EEEvT1_
	.p2align	8
	.type	_ZN7rocprim17ROCPRIM_400000_NS6detail17trampoline_kernelINS0_14default_configENS1_29reduce_by_key_config_selectorIjiN6thrust23THRUST_200600_302600_NS4plusIiEEEEZZNS1_33reduce_by_key_impl_wrapped_configILNS1_25lookback_scan_determinismE0ES3_S9_NS6_6detail15normal_iteratorINS6_10device_ptrIjEEEENSD_INSE_IiEEEENS6_16discard_iteratorINS6_11use_defaultEEESI_PmS8_NS6_8equal_toIjEEEE10hipError_tPvRmT2_T3_mT4_T5_T6_T7_T8_P12ihipStream_tbENKUlT_T0_E_clISt17integral_constantIbLb0EES16_EEDaS11_S12_EUlS11_E_NS1_11comp_targetILNS1_3genE0ELNS1_11target_archE4294967295ELNS1_3gpuE0ELNS1_3repE0EEENS1_30default_config_static_selectorELNS0_4arch9wavefront6targetE0EEEvT1_,@function
_ZN7rocprim17ROCPRIM_400000_NS6detail17trampoline_kernelINS0_14default_configENS1_29reduce_by_key_config_selectorIjiN6thrust23THRUST_200600_302600_NS4plusIiEEEEZZNS1_33reduce_by_key_impl_wrapped_configILNS1_25lookback_scan_determinismE0ES3_S9_NS6_6detail15normal_iteratorINS6_10device_ptrIjEEEENSD_INSE_IiEEEENS6_16discard_iteratorINS6_11use_defaultEEESI_PmS8_NS6_8equal_toIjEEEE10hipError_tPvRmT2_T3_mT4_T5_T6_T7_T8_P12ihipStream_tbENKUlT_T0_E_clISt17integral_constantIbLb0EES16_EEDaS11_S12_EUlS11_E_NS1_11comp_targetILNS1_3genE0ELNS1_11target_archE4294967295ELNS1_3gpuE0ELNS1_3repE0EEENS1_30default_config_static_selectorELNS0_4arch9wavefront6targetE0EEEvT1_: ; @_ZN7rocprim17ROCPRIM_400000_NS6detail17trampoline_kernelINS0_14default_configENS1_29reduce_by_key_config_selectorIjiN6thrust23THRUST_200600_302600_NS4plusIiEEEEZZNS1_33reduce_by_key_impl_wrapped_configILNS1_25lookback_scan_determinismE0ES3_S9_NS6_6detail15normal_iteratorINS6_10device_ptrIjEEEENSD_INSE_IiEEEENS6_16discard_iteratorINS6_11use_defaultEEESI_PmS8_NS6_8equal_toIjEEEE10hipError_tPvRmT2_T3_mT4_T5_T6_T7_T8_P12ihipStream_tbENKUlT_T0_E_clISt17integral_constantIbLb0EES16_EEDaS11_S12_EUlS11_E_NS1_11comp_targetILNS1_3genE0ELNS1_11target_archE4294967295ELNS1_3gpuE0ELNS1_3repE0EEENS1_30default_config_static_selectorELNS0_4arch9wavefront6targetE0EEEvT1_
; %bb.0:
	.section	.rodata,"a",@progbits
	.p2align	6, 0x0
	.amdhsa_kernel _ZN7rocprim17ROCPRIM_400000_NS6detail17trampoline_kernelINS0_14default_configENS1_29reduce_by_key_config_selectorIjiN6thrust23THRUST_200600_302600_NS4plusIiEEEEZZNS1_33reduce_by_key_impl_wrapped_configILNS1_25lookback_scan_determinismE0ES3_S9_NS6_6detail15normal_iteratorINS6_10device_ptrIjEEEENSD_INSE_IiEEEENS6_16discard_iteratorINS6_11use_defaultEEESI_PmS8_NS6_8equal_toIjEEEE10hipError_tPvRmT2_T3_mT4_T5_T6_T7_T8_P12ihipStream_tbENKUlT_T0_E_clISt17integral_constantIbLb0EES16_EEDaS11_S12_EUlS11_E_NS1_11comp_targetILNS1_3genE0ELNS1_11target_archE4294967295ELNS1_3gpuE0ELNS1_3repE0EEENS1_30default_config_static_selectorELNS0_4arch9wavefront6targetE0EEEvT1_
		.amdhsa_group_segment_fixed_size 0
		.amdhsa_private_segment_fixed_size 0
		.amdhsa_kernarg_size 128
		.amdhsa_user_sgpr_count 15
		.amdhsa_user_sgpr_dispatch_ptr 0
		.amdhsa_user_sgpr_queue_ptr 0
		.amdhsa_user_sgpr_kernarg_segment_ptr 1
		.amdhsa_user_sgpr_dispatch_id 0
		.amdhsa_user_sgpr_private_segment_size 0
		.amdhsa_wavefront_size32 1
		.amdhsa_uses_dynamic_stack 0
		.amdhsa_enable_private_segment 0
		.amdhsa_system_sgpr_workgroup_id_x 1
		.amdhsa_system_sgpr_workgroup_id_y 0
		.amdhsa_system_sgpr_workgroup_id_z 0
		.amdhsa_system_sgpr_workgroup_info 0
		.amdhsa_system_vgpr_workitem_id 0
		.amdhsa_next_free_vgpr 1
		.amdhsa_next_free_sgpr 1
		.amdhsa_reserve_vcc 0
		.amdhsa_float_round_mode_32 0
		.amdhsa_float_round_mode_16_64 0
		.amdhsa_float_denorm_mode_32 3
		.amdhsa_float_denorm_mode_16_64 3
		.amdhsa_dx10_clamp 1
		.amdhsa_ieee_mode 1
		.amdhsa_fp16_overflow 0
		.amdhsa_workgroup_processor_mode 1
		.amdhsa_memory_ordered 1
		.amdhsa_forward_progress 0
		.amdhsa_shared_vgpr_count 0
		.amdhsa_exception_fp_ieee_invalid_op 0
		.amdhsa_exception_fp_denorm_src 0
		.amdhsa_exception_fp_ieee_div_zero 0
		.amdhsa_exception_fp_ieee_overflow 0
		.amdhsa_exception_fp_ieee_underflow 0
		.amdhsa_exception_fp_ieee_inexact 0
		.amdhsa_exception_int_div_zero 0
	.end_amdhsa_kernel
	.section	.text._ZN7rocprim17ROCPRIM_400000_NS6detail17trampoline_kernelINS0_14default_configENS1_29reduce_by_key_config_selectorIjiN6thrust23THRUST_200600_302600_NS4plusIiEEEEZZNS1_33reduce_by_key_impl_wrapped_configILNS1_25lookback_scan_determinismE0ES3_S9_NS6_6detail15normal_iteratorINS6_10device_ptrIjEEEENSD_INSE_IiEEEENS6_16discard_iteratorINS6_11use_defaultEEESI_PmS8_NS6_8equal_toIjEEEE10hipError_tPvRmT2_T3_mT4_T5_T6_T7_T8_P12ihipStream_tbENKUlT_T0_E_clISt17integral_constantIbLb0EES16_EEDaS11_S12_EUlS11_E_NS1_11comp_targetILNS1_3genE0ELNS1_11target_archE4294967295ELNS1_3gpuE0ELNS1_3repE0EEENS1_30default_config_static_selectorELNS0_4arch9wavefront6targetE0EEEvT1_,"axG",@progbits,_ZN7rocprim17ROCPRIM_400000_NS6detail17trampoline_kernelINS0_14default_configENS1_29reduce_by_key_config_selectorIjiN6thrust23THRUST_200600_302600_NS4plusIiEEEEZZNS1_33reduce_by_key_impl_wrapped_configILNS1_25lookback_scan_determinismE0ES3_S9_NS6_6detail15normal_iteratorINS6_10device_ptrIjEEEENSD_INSE_IiEEEENS6_16discard_iteratorINS6_11use_defaultEEESI_PmS8_NS6_8equal_toIjEEEE10hipError_tPvRmT2_T3_mT4_T5_T6_T7_T8_P12ihipStream_tbENKUlT_T0_E_clISt17integral_constantIbLb0EES16_EEDaS11_S12_EUlS11_E_NS1_11comp_targetILNS1_3genE0ELNS1_11target_archE4294967295ELNS1_3gpuE0ELNS1_3repE0EEENS1_30default_config_static_selectorELNS0_4arch9wavefront6targetE0EEEvT1_,comdat
.Lfunc_end1021:
	.size	_ZN7rocprim17ROCPRIM_400000_NS6detail17trampoline_kernelINS0_14default_configENS1_29reduce_by_key_config_selectorIjiN6thrust23THRUST_200600_302600_NS4plusIiEEEEZZNS1_33reduce_by_key_impl_wrapped_configILNS1_25lookback_scan_determinismE0ES3_S9_NS6_6detail15normal_iteratorINS6_10device_ptrIjEEEENSD_INSE_IiEEEENS6_16discard_iteratorINS6_11use_defaultEEESI_PmS8_NS6_8equal_toIjEEEE10hipError_tPvRmT2_T3_mT4_T5_T6_T7_T8_P12ihipStream_tbENKUlT_T0_E_clISt17integral_constantIbLb0EES16_EEDaS11_S12_EUlS11_E_NS1_11comp_targetILNS1_3genE0ELNS1_11target_archE4294967295ELNS1_3gpuE0ELNS1_3repE0EEENS1_30default_config_static_selectorELNS0_4arch9wavefront6targetE0EEEvT1_, .Lfunc_end1021-_ZN7rocprim17ROCPRIM_400000_NS6detail17trampoline_kernelINS0_14default_configENS1_29reduce_by_key_config_selectorIjiN6thrust23THRUST_200600_302600_NS4plusIiEEEEZZNS1_33reduce_by_key_impl_wrapped_configILNS1_25lookback_scan_determinismE0ES3_S9_NS6_6detail15normal_iteratorINS6_10device_ptrIjEEEENSD_INSE_IiEEEENS6_16discard_iteratorINS6_11use_defaultEEESI_PmS8_NS6_8equal_toIjEEEE10hipError_tPvRmT2_T3_mT4_T5_T6_T7_T8_P12ihipStream_tbENKUlT_T0_E_clISt17integral_constantIbLb0EES16_EEDaS11_S12_EUlS11_E_NS1_11comp_targetILNS1_3genE0ELNS1_11target_archE4294967295ELNS1_3gpuE0ELNS1_3repE0EEENS1_30default_config_static_selectorELNS0_4arch9wavefront6targetE0EEEvT1_
                                        ; -- End function
	.section	.AMDGPU.csdata,"",@progbits
; Kernel info:
; codeLenInByte = 0
; NumSgprs: 0
; NumVgprs: 0
; ScratchSize: 0
; MemoryBound: 0
; FloatMode: 240
; IeeeMode: 1
; LDSByteSize: 0 bytes/workgroup (compile time only)
; SGPRBlocks: 0
; VGPRBlocks: 0
; NumSGPRsForWavesPerEU: 1
; NumVGPRsForWavesPerEU: 1
; Occupancy: 16
; WaveLimiterHint : 0
; COMPUTE_PGM_RSRC2:SCRATCH_EN: 0
; COMPUTE_PGM_RSRC2:USER_SGPR: 15
; COMPUTE_PGM_RSRC2:TRAP_HANDLER: 0
; COMPUTE_PGM_RSRC2:TGID_X_EN: 1
; COMPUTE_PGM_RSRC2:TGID_Y_EN: 0
; COMPUTE_PGM_RSRC2:TGID_Z_EN: 0
; COMPUTE_PGM_RSRC2:TIDIG_COMP_CNT: 0
	.section	.text._ZN7rocprim17ROCPRIM_400000_NS6detail17trampoline_kernelINS0_14default_configENS1_29reduce_by_key_config_selectorIjiN6thrust23THRUST_200600_302600_NS4plusIiEEEEZZNS1_33reduce_by_key_impl_wrapped_configILNS1_25lookback_scan_determinismE0ES3_S9_NS6_6detail15normal_iteratorINS6_10device_ptrIjEEEENSD_INSE_IiEEEENS6_16discard_iteratorINS6_11use_defaultEEESI_PmS8_NS6_8equal_toIjEEEE10hipError_tPvRmT2_T3_mT4_T5_T6_T7_T8_P12ihipStream_tbENKUlT_T0_E_clISt17integral_constantIbLb0EES16_EEDaS11_S12_EUlS11_E_NS1_11comp_targetILNS1_3genE5ELNS1_11target_archE942ELNS1_3gpuE9ELNS1_3repE0EEENS1_30default_config_static_selectorELNS0_4arch9wavefront6targetE0EEEvT1_,"axG",@progbits,_ZN7rocprim17ROCPRIM_400000_NS6detail17trampoline_kernelINS0_14default_configENS1_29reduce_by_key_config_selectorIjiN6thrust23THRUST_200600_302600_NS4plusIiEEEEZZNS1_33reduce_by_key_impl_wrapped_configILNS1_25lookback_scan_determinismE0ES3_S9_NS6_6detail15normal_iteratorINS6_10device_ptrIjEEEENSD_INSE_IiEEEENS6_16discard_iteratorINS6_11use_defaultEEESI_PmS8_NS6_8equal_toIjEEEE10hipError_tPvRmT2_T3_mT4_T5_T6_T7_T8_P12ihipStream_tbENKUlT_T0_E_clISt17integral_constantIbLb0EES16_EEDaS11_S12_EUlS11_E_NS1_11comp_targetILNS1_3genE5ELNS1_11target_archE942ELNS1_3gpuE9ELNS1_3repE0EEENS1_30default_config_static_selectorELNS0_4arch9wavefront6targetE0EEEvT1_,comdat
	.protected	_ZN7rocprim17ROCPRIM_400000_NS6detail17trampoline_kernelINS0_14default_configENS1_29reduce_by_key_config_selectorIjiN6thrust23THRUST_200600_302600_NS4plusIiEEEEZZNS1_33reduce_by_key_impl_wrapped_configILNS1_25lookback_scan_determinismE0ES3_S9_NS6_6detail15normal_iteratorINS6_10device_ptrIjEEEENSD_INSE_IiEEEENS6_16discard_iteratorINS6_11use_defaultEEESI_PmS8_NS6_8equal_toIjEEEE10hipError_tPvRmT2_T3_mT4_T5_T6_T7_T8_P12ihipStream_tbENKUlT_T0_E_clISt17integral_constantIbLb0EES16_EEDaS11_S12_EUlS11_E_NS1_11comp_targetILNS1_3genE5ELNS1_11target_archE942ELNS1_3gpuE9ELNS1_3repE0EEENS1_30default_config_static_selectorELNS0_4arch9wavefront6targetE0EEEvT1_ ; -- Begin function _ZN7rocprim17ROCPRIM_400000_NS6detail17trampoline_kernelINS0_14default_configENS1_29reduce_by_key_config_selectorIjiN6thrust23THRUST_200600_302600_NS4plusIiEEEEZZNS1_33reduce_by_key_impl_wrapped_configILNS1_25lookback_scan_determinismE0ES3_S9_NS6_6detail15normal_iteratorINS6_10device_ptrIjEEEENSD_INSE_IiEEEENS6_16discard_iteratorINS6_11use_defaultEEESI_PmS8_NS6_8equal_toIjEEEE10hipError_tPvRmT2_T3_mT4_T5_T6_T7_T8_P12ihipStream_tbENKUlT_T0_E_clISt17integral_constantIbLb0EES16_EEDaS11_S12_EUlS11_E_NS1_11comp_targetILNS1_3genE5ELNS1_11target_archE942ELNS1_3gpuE9ELNS1_3repE0EEENS1_30default_config_static_selectorELNS0_4arch9wavefront6targetE0EEEvT1_
	.globl	_ZN7rocprim17ROCPRIM_400000_NS6detail17trampoline_kernelINS0_14default_configENS1_29reduce_by_key_config_selectorIjiN6thrust23THRUST_200600_302600_NS4plusIiEEEEZZNS1_33reduce_by_key_impl_wrapped_configILNS1_25lookback_scan_determinismE0ES3_S9_NS6_6detail15normal_iteratorINS6_10device_ptrIjEEEENSD_INSE_IiEEEENS6_16discard_iteratorINS6_11use_defaultEEESI_PmS8_NS6_8equal_toIjEEEE10hipError_tPvRmT2_T3_mT4_T5_T6_T7_T8_P12ihipStream_tbENKUlT_T0_E_clISt17integral_constantIbLb0EES16_EEDaS11_S12_EUlS11_E_NS1_11comp_targetILNS1_3genE5ELNS1_11target_archE942ELNS1_3gpuE9ELNS1_3repE0EEENS1_30default_config_static_selectorELNS0_4arch9wavefront6targetE0EEEvT1_
	.p2align	8
	.type	_ZN7rocprim17ROCPRIM_400000_NS6detail17trampoline_kernelINS0_14default_configENS1_29reduce_by_key_config_selectorIjiN6thrust23THRUST_200600_302600_NS4plusIiEEEEZZNS1_33reduce_by_key_impl_wrapped_configILNS1_25lookback_scan_determinismE0ES3_S9_NS6_6detail15normal_iteratorINS6_10device_ptrIjEEEENSD_INSE_IiEEEENS6_16discard_iteratorINS6_11use_defaultEEESI_PmS8_NS6_8equal_toIjEEEE10hipError_tPvRmT2_T3_mT4_T5_T6_T7_T8_P12ihipStream_tbENKUlT_T0_E_clISt17integral_constantIbLb0EES16_EEDaS11_S12_EUlS11_E_NS1_11comp_targetILNS1_3genE5ELNS1_11target_archE942ELNS1_3gpuE9ELNS1_3repE0EEENS1_30default_config_static_selectorELNS0_4arch9wavefront6targetE0EEEvT1_,@function
_ZN7rocprim17ROCPRIM_400000_NS6detail17trampoline_kernelINS0_14default_configENS1_29reduce_by_key_config_selectorIjiN6thrust23THRUST_200600_302600_NS4plusIiEEEEZZNS1_33reduce_by_key_impl_wrapped_configILNS1_25lookback_scan_determinismE0ES3_S9_NS6_6detail15normal_iteratorINS6_10device_ptrIjEEEENSD_INSE_IiEEEENS6_16discard_iteratorINS6_11use_defaultEEESI_PmS8_NS6_8equal_toIjEEEE10hipError_tPvRmT2_T3_mT4_T5_T6_T7_T8_P12ihipStream_tbENKUlT_T0_E_clISt17integral_constantIbLb0EES16_EEDaS11_S12_EUlS11_E_NS1_11comp_targetILNS1_3genE5ELNS1_11target_archE942ELNS1_3gpuE9ELNS1_3repE0EEENS1_30default_config_static_selectorELNS0_4arch9wavefront6targetE0EEEvT1_: ; @_ZN7rocprim17ROCPRIM_400000_NS6detail17trampoline_kernelINS0_14default_configENS1_29reduce_by_key_config_selectorIjiN6thrust23THRUST_200600_302600_NS4plusIiEEEEZZNS1_33reduce_by_key_impl_wrapped_configILNS1_25lookback_scan_determinismE0ES3_S9_NS6_6detail15normal_iteratorINS6_10device_ptrIjEEEENSD_INSE_IiEEEENS6_16discard_iteratorINS6_11use_defaultEEESI_PmS8_NS6_8equal_toIjEEEE10hipError_tPvRmT2_T3_mT4_T5_T6_T7_T8_P12ihipStream_tbENKUlT_T0_E_clISt17integral_constantIbLb0EES16_EEDaS11_S12_EUlS11_E_NS1_11comp_targetILNS1_3genE5ELNS1_11target_archE942ELNS1_3gpuE9ELNS1_3repE0EEENS1_30default_config_static_selectorELNS0_4arch9wavefront6targetE0EEEvT1_
; %bb.0:
	.section	.rodata,"a",@progbits
	.p2align	6, 0x0
	.amdhsa_kernel _ZN7rocprim17ROCPRIM_400000_NS6detail17trampoline_kernelINS0_14default_configENS1_29reduce_by_key_config_selectorIjiN6thrust23THRUST_200600_302600_NS4plusIiEEEEZZNS1_33reduce_by_key_impl_wrapped_configILNS1_25lookback_scan_determinismE0ES3_S9_NS6_6detail15normal_iteratorINS6_10device_ptrIjEEEENSD_INSE_IiEEEENS6_16discard_iteratorINS6_11use_defaultEEESI_PmS8_NS6_8equal_toIjEEEE10hipError_tPvRmT2_T3_mT4_T5_T6_T7_T8_P12ihipStream_tbENKUlT_T0_E_clISt17integral_constantIbLb0EES16_EEDaS11_S12_EUlS11_E_NS1_11comp_targetILNS1_3genE5ELNS1_11target_archE942ELNS1_3gpuE9ELNS1_3repE0EEENS1_30default_config_static_selectorELNS0_4arch9wavefront6targetE0EEEvT1_
		.amdhsa_group_segment_fixed_size 0
		.amdhsa_private_segment_fixed_size 0
		.amdhsa_kernarg_size 128
		.amdhsa_user_sgpr_count 15
		.amdhsa_user_sgpr_dispatch_ptr 0
		.amdhsa_user_sgpr_queue_ptr 0
		.amdhsa_user_sgpr_kernarg_segment_ptr 1
		.amdhsa_user_sgpr_dispatch_id 0
		.amdhsa_user_sgpr_private_segment_size 0
		.amdhsa_wavefront_size32 1
		.amdhsa_uses_dynamic_stack 0
		.amdhsa_enable_private_segment 0
		.amdhsa_system_sgpr_workgroup_id_x 1
		.amdhsa_system_sgpr_workgroup_id_y 0
		.amdhsa_system_sgpr_workgroup_id_z 0
		.amdhsa_system_sgpr_workgroup_info 0
		.amdhsa_system_vgpr_workitem_id 0
		.amdhsa_next_free_vgpr 1
		.amdhsa_next_free_sgpr 1
		.amdhsa_reserve_vcc 0
		.amdhsa_float_round_mode_32 0
		.amdhsa_float_round_mode_16_64 0
		.amdhsa_float_denorm_mode_32 3
		.amdhsa_float_denorm_mode_16_64 3
		.amdhsa_dx10_clamp 1
		.amdhsa_ieee_mode 1
		.amdhsa_fp16_overflow 0
		.amdhsa_workgroup_processor_mode 1
		.amdhsa_memory_ordered 1
		.amdhsa_forward_progress 0
		.amdhsa_shared_vgpr_count 0
		.amdhsa_exception_fp_ieee_invalid_op 0
		.amdhsa_exception_fp_denorm_src 0
		.amdhsa_exception_fp_ieee_div_zero 0
		.amdhsa_exception_fp_ieee_overflow 0
		.amdhsa_exception_fp_ieee_underflow 0
		.amdhsa_exception_fp_ieee_inexact 0
		.amdhsa_exception_int_div_zero 0
	.end_amdhsa_kernel
	.section	.text._ZN7rocprim17ROCPRIM_400000_NS6detail17trampoline_kernelINS0_14default_configENS1_29reduce_by_key_config_selectorIjiN6thrust23THRUST_200600_302600_NS4plusIiEEEEZZNS1_33reduce_by_key_impl_wrapped_configILNS1_25lookback_scan_determinismE0ES3_S9_NS6_6detail15normal_iteratorINS6_10device_ptrIjEEEENSD_INSE_IiEEEENS6_16discard_iteratorINS6_11use_defaultEEESI_PmS8_NS6_8equal_toIjEEEE10hipError_tPvRmT2_T3_mT4_T5_T6_T7_T8_P12ihipStream_tbENKUlT_T0_E_clISt17integral_constantIbLb0EES16_EEDaS11_S12_EUlS11_E_NS1_11comp_targetILNS1_3genE5ELNS1_11target_archE942ELNS1_3gpuE9ELNS1_3repE0EEENS1_30default_config_static_selectorELNS0_4arch9wavefront6targetE0EEEvT1_,"axG",@progbits,_ZN7rocprim17ROCPRIM_400000_NS6detail17trampoline_kernelINS0_14default_configENS1_29reduce_by_key_config_selectorIjiN6thrust23THRUST_200600_302600_NS4plusIiEEEEZZNS1_33reduce_by_key_impl_wrapped_configILNS1_25lookback_scan_determinismE0ES3_S9_NS6_6detail15normal_iteratorINS6_10device_ptrIjEEEENSD_INSE_IiEEEENS6_16discard_iteratorINS6_11use_defaultEEESI_PmS8_NS6_8equal_toIjEEEE10hipError_tPvRmT2_T3_mT4_T5_T6_T7_T8_P12ihipStream_tbENKUlT_T0_E_clISt17integral_constantIbLb0EES16_EEDaS11_S12_EUlS11_E_NS1_11comp_targetILNS1_3genE5ELNS1_11target_archE942ELNS1_3gpuE9ELNS1_3repE0EEENS1_30default_config_static_selectorELNS0_4arch9wavefront6targetE0EEEvT1_,comdat
.Lfunc_end1022:
	.size	_ZN7rocprim17ROCPRIM_400000_NS6detail17trampoline_kernelINS0_14default_configENS1_29reduce_by_key_config_selectorIjiN6thrust23THRUST_200600_302600_NS4plusIiEEEEZZNS1_33reduce_by_key_impl_wrapped_configILNS1_25lookback_scan_determinismE0ES3_S9_NS6_6detail15normal_iteratorINS6_10device_ptrIjEEEENSD_INSE_IiEEEENS6_16discard_iteratorINS6_11use_defaultEEESI_PmS8_NS6_8equal_toIjEEEE10hipError_tPvRmT2_T3_mT4_T5_T6_T7_T8_P12ihipStream_tbENKUlT_T0_E_clISt17integral_constantIbLb0EES16_EEDaS11_S12_EUlS11_E_NS1_11comp_targetILNS1_3genE5ELNS1_11target_archE942ELNS1_3gpuE9ELNS1_3repE0EEENS1_30default_config_static_selectorELNS0_4arch9wavefront6targetE0EEEvT1_, .Lfunc_end1022-_ZN7rocprim17ROCPRIM_400000_NS6detail17trampoline_kernelINS0_14default_configENS1_29reduce_by_key_config_selectorIjiN6thrust23THRUST_200600_302600_NS4plusIiEEEEZZNS1_33reduce_by_key_impl_wrapped_configILNS1_25lookback_scan_determinismE0ES3_S9_NS6_6detail15normal_iteratorINS6_10device_ptrIjEEEENSD_INSE_IiEEEENS6_16discard_iteratorINS6_11use_defaultEEESI_PmS8_NS6_8equal_toIjEEEE10hipError_tPvRmT2_T3_mT4_T5_T6_T7_T8_P12ihipStream_tbENKUlT_T0_E_clISt17integral_constantIbLb0EES16_EEDaS11_S12_EUlS11_E_NS1_11comp_targetILNS1_3genE5ELNS1_11target_archE942ELNS1_3gpuE9ELNS1_3repE0EEENS1_30default_config_static_selectorELNS0_4arch9wavefront6targetE0EEEvT1_
                                        ; -- End function
	.section	.AMDGPU.csdata,"",@progbits
; Kernel info:
; codeLenInByte = 0
; NumSgprs: 0
; NumVgprs: 0
; ScratchSize: 0
; MemoryBound: 0
; FloatMode: 240
; IeeeMode: 1
; LDSByteSize: 0 bytes/workgroup (compile time only)
; SGPRBlocks: 0
; VGPRBlocks: 0
; NumSGPRsForWavesPerEU: 1
; NumVGPRsForWavesPerEU: 1
; Occupancy: 16
; WaveLimiterHint : 0
; COMPUTE_PGM_RSRC2:SCRATCH_EN: 0
; COMPUTE_PGM_RSRC2:USER_SGPR: 15
; COMPUTE_PGM_RSRC2:TRAP_HANDLER: 0
; COMPUTE_PGM_RSRC2:TGID_X_EN: 1
; COMPUTE_PGM_RSRC2:TGID_Y_EN: 0
; COMPUTE_PGM_RSRC2:TGID_Z_EN: 0
; COMPUTE_PGM_RSRC2:TIDIG_COMP_CNT: 0
	.section	.text._ZN7rocprim17ROCPRIM_400000_NS6detail17trampoline_kernelINS0_14default_configENS1_29reduce_by_key_config_selectorIjiN6thrust23THRUST_200600_302600_NS4plusIiEEEEZZNS1_33reduce_by_key_impl_wrapped_configILNS1_25lookback_scan_determinismE0ES3_S9_NS6_6detail15normal_iteratorINS6_10device_ptrIjEEEENSD_INSE_IiEEEENS6_16discard_iteratorINS6_11use_defaultEEESI_PmS8_NS6_8equal_toIjEEEE10hipError_tPvRmT2_T3_mT4_T5_T6_T7_T8_P12ihipStream_tbENKUlT_T0_E_clISt17integral_constantIbLb0EES16_EEDaS11_S12_EUlS11_E_NS1_11comp_targetILNS1_3genE4ELNS1_11target_archE910ELNS1_3gpuE8ELNS1_3repE0EEENS1_30default_config_static_selectorELNS0_4arch9wavefront6targetE0EEEvT1_,"axG",@progbits,_ZN7rocprim17ROCPRIM_400000_NS6detail17trampoline_kernelINS0_14default_configENS1_29reduce_by_key_config_selectorIjiN6thrust23THRUST_200600_302600_NS4plusIiEEEEZZNS1_33reduce_by_key_impl_wrapped_configILNS1_25lookback_scan_determinismE0ES3_S9_NS6_6detail15normal_iteratorINS6_10device_ptrIjEEEENSD_INSE_IiEEEENS6_16discard_iteratorINS6_11use_defaultEEESI_PmS8_NS6_8equal_toIjEEEE10hipError_tPvRmT2_T3_mT4_T5_T6_T7_T8_P12ihipStream_tbENKUlT_T0_E_clISt17integral_constantIbLb0EES16_EEDaS11_S12_EUlS11_E_NS1_11comp_targetILNS1_3genE4ELNS1_11target_archE910ELNS1_3gpuE8ELNS1_3repE0EEENS1_30default_config_static_selectorELNS0_4arch9wavefront6targetE0EEEvT1_,comdat
	.protected	_ZN7rocprim17ROCPRIM_400000_NS6detail17trampoline_kernelINS0_14default_configENS1_29reduce_by_key_config_selectorIjiN6thrust23THRUST_200600_302600_NS4plusIiEEEEZZNS1_33reduce_by_key_impl_wrapped_configILNS1_25lookback_scan_determinismE0ES3_S9_NS6_6detail15normal_iteratorINS6_10device_ptrIjEEEENSD_INSE_IiEEEENS6_16discard_iteratorINS6_11use_defaultEEESI_PmS8_NS6_8equal_toIjEEEE10hipError_tPvRmT2_T3_mT4_T5_T6_T7_T8_P12ihipStream_tbENKUlT_T0_E_clISt17integral_constantIbLb0EES16_EEDaS11_S12_EUlS11_E_NS1_11comp_targetILNS1_3genE4ELNS1_11target_archE910ELNS1_3gpuE8ELNS1_3repE0EEENS1_30default_config_static_selectorELNS0_4arch9wavefront6targetE0EEEvT1_ ; -- Begin function _ZN7rocprim17ROCPRIM_400000_NS6detail17trampoline_kernelINS0_14default_configENS1_29reduce_by_key_config_selectorIjiN6thrust23THRUST_200600_302600_NS4plusIiEEEEZZNS1_33reduce_by_key_impl_wrapped_configILNS1_25lookback_scan_determinismE0ES3_S9_NS6_6detail15normal_iteratorINS6_10device_ptrIjEEEENSD_INSE_IiEEEENS6_16discard_iteratorINS6_11use_defaultEEESI_PmS8_NS6_8equal_toIjEEEE10hipError_tPvRmT2_T3_mT4_T5_T6_T7_T8_P12ihipStream_tbENKUlT_T0_E_clISt17integral_constantIbLb0EES16_EEDaS11_S12_EUlS11_E_NS1_11comp_targetILNS1_3genE4ELNS1_11target_archE910ELNS1_3gpuE8ELNS1_3repE0EEENS1_30default_config_static_selectorELNS0_4arch9wavefront6targetE0EEEvT1_
	.globl	_ZN7rocprim17ROCPRIM_400000_NS6detail17trampoline_kernelINS0_14default_configENS1_29reduce_by_key_config_selectorIjiN6thrust23THRUST_200600_302600_NS4plusIiEEEEZZNS1_33reduce_by_key_impl_wrapped_configILNS1_25lookback_scan_determinismE0ES3_S9_NS6_6detail15normal_iteratorINS6_10device_ptrIjEEEENSD_INSE_IiEEEENS6_16discard_iteratorINS6_11use_defaultEEESI_PmS8_NS6_8equal_toIjEEEE10hipError_tPvRmT2_T3_mT4_T5_T6_T7_T8_P12ihipStream_tbENKUlT_T0_E_clISt17integral_constantIbLb0EES16_EEDaS11_S12_EUlS11_E_NS1_11comp_targetILNS1_3genE4ELNS1_11target_archE910ELNS1_3gpuE8ELNS1_3repE0EEENS1_30default_config_static_selectorELNS0_4arch9wavefront6targetE0EEEvT1_
	.p2align	8
	.type	_ZN7rocprim17ROCPRIM_400000_NS6detail17trampoline_kernelINS0_14default_configENS1_29reduce_by_key_config_selectorIjiN6thrust23THRUST_200600_302600_NS4plusIiEEEEZZNS1_33reduce_by_key_impl_wrapped_configILNS1_25lookback_scan_determinismE0ES3_S9_NS6_6detail15normal_iteratorINS6_10device_ptrIjEEEENSD_INSE_IiEEEENS6_16discard_iteratorINS6_11use_defaultEEESI_PmS8_NS6_8equal_toIjEEEE10hipError_tPvRmT2_T3_mT4_T5_T6_T7_T8_P12ihipStream_tbENKUlT_T0_E_clISt17integral_constantIbLb0EES16_EEDaS11_S12_EUlS11_E_NS1_11comp_targetILNS1_3genE4ELNS1_11target_archE910ELNS1_3gpuE8ELNS1_3repE0EEENS1_30default_config_static_selectorELNS0_4arch9wavefront6targetE0EEEvT1_,@function
_ZN7rocprim17ROCPRIM_400000_NS6detail17trampoline_kernelINS0_14default_configENS1_29reduce_by_key_config_selectorIjiN6thrust23THRUST_200600_302600_NS4plusIiEEEEZZNS1_33reduce_by_key_impl_wrapped_configILNS1_25lookback_scan_determinismE0ES3_S9_NS6_6detail15normal_iteratorINS6_10device_ptrIjEEEENSD_INSE_IiEEEENS6_16discard_iteratorINS6_11use_defaultEEESI_PmS8_NS6_8equal_toIjEEEE10hipError_tPvRmT2_T3_mT4_T5_T6_T7_T8_P12ihipStream_tbENKUlT_T0_E_clISt17integral_constantIbLb0EES16_EEDaS11_S12_EUlS11_E_NS1_11comp_targetILNS1_3genE4ELNS1_11target_archE910ELNS1_3gpuE8ELNS1_3repE0EEENS1_30default_config_static_selectorELNS0_4arch9wavefront6targetE0EEEvT1_: ; @_ZN7rocprim17ROCPRIM_400000_NS6detail17trampoline_kernelINS0_14default_configENS1_29reduce_by_key_config_selectorIjiN6thrust23THRUST_200600_302600_NS4plusIiEEEEZZNS1_33reduce_by_key_impl_wrapped_configILNS1_25lookback_scan_determinismE0ES3_S9_NS6_6detail15normal_iteratorINS6_10device_ptrIjEEEENSD_INSE_IiEEEENS6_16discard_iteratorINS6_11use_defaultEEESI_PmS8_NS6_8equal_toIjEEEE10hipError_tPvRmT2_T3_mT4_T5_T6_T7_T8_P12ihipStream_tbENKUlT_T0_E_clISt17integral_constantIbLb0EES16_EEDaS11_S12_EUlS11_E_NS1_11comp_targetILNS1_3genE4ELNS1_11target_archE910ELNS1_3gpuE8ELNS1_3repE0EEENS1_30default_config_static_selectorELNS0_4arch9wavefront6targetE0EEEvT1_
; %bb.0:
	.section	.rodata,"a",@progbits
	.p2align	6, 0x0
	.amdhsa_kernel _ZN7rocprim17ROCPRIM_400000_NS6detail17trampoline_kernelINS0_14default_configENS1_29reduce_by_key_config_selectorIjiN6thrust23THRUST_200600_302600_NS4plusIiEEEEZZNS1_33reduce_by_key_impl_wrapped_configILNS1_25lookback_scan_determinismE0ES3_S9_NS6_6detail15normal_iteratorINS6_10device_ptrIjEEEENSD_INSE_IiEEEENS6_16discard_iteratorINS6_11use_defaultEEESI_PmS8_NS6_8equal_toIjEEEE10hipError_tPvRmT2_T3_mT4_T5_T6_T7_T8_P12ihipStream_tbENKUlT_T0_E_clISt17integral_constantIbLb0EES16_EEDaS11_S12_EUlS11_E_NS1_11comp_targetILNS1_3genE4ELNS1_11target_archE910ELNS1_3gpuE8ELNS1_3repE0EEENS1_30default_config_static_selectorELNS0_4arch9wavefront6targetE0EEEvT1_
		.amdhsa_group_segment_fixed_size 0
		.amdhsa_private_segment_fixed_size 0
		.amdhsa_kernarg_size 128
		.amdhsa_user_sgpr_count 15
		.amdhsa_user_sgpr_dispatch_ptr 0
		.amdhsa_user_sgpr_queue_ptr 0
		.amdhsa_user_sgpr_kernarg_segment_ptr 1
		.amdhsa_user_sgpr_dispatch_id 0
		.amdhsa_user_sgpr_private_segment_size 0
		.amdhsa_wavefront_size32 1
		.amdhsa_uses_dynamic_stack 0
		.amdhsa_enable_private_segment 0
		.amdhsa_system_sgpr_workgroup_id_x 1
		.amdhsa_system_sgpr_workgroup_id_y 0
		.amdhsa_system_sgpr_workgroup_id_z 0
		.amdhsa_system_sgpr_workgroup_info 0
		.amdhsa_system_vgpr_workitem_id 0
		.amdhsa_next_free_vgpr 1
		.amdhsa_next_free_sgpr 1
		.amdhsa_reserve_vcc 0
		.amdhsa_float_round_mode_32 0
		.amdhsa_float_round_mode_16_64 0
		.amdhsa_float_denorm_mode_32 3
		.amdhsa_float_denorm_mode_16_64 3
		.amdhsa_dx10_clamp 1
		.amdhsa_ieee_mode 1
		.amdhsa_fp16_overflow 0
		.amdhsa_workgroup_processor_mode 1
		.amdhsa_memory_ordered 1
		.amdhsa_forward_progress 0
		.amdhsa_shared_vgpr_count 0
		.amdhsa_exception_fp_ieee_invalid_op 0
		.amdhsa_exception_fp_denorm_src 0
		.amdhsa_exception_fp_ieee_div_zero 0
		.amdhsa_exception_fp_ieee_overflow 0
		.amdhsa_exception_fp_ieee_underflow 0
		.amdhsa_exception_fp_ieee_inexact 0
		.amdhsa_exception_int_div_zero 0
	.end_amdhsa_kernel
	.section	.text._ZN7rocprim17ROCPRIM_400000_NS6detail17trampoline_kernelINS0_14default_configENS1_29reduce_by_key_config_selectorIjiN6thrust23THRUST_200600_302600_NS4plusIiEEEEZZNS1_33reduce_by_key_impl_wrapped_configILNS1_25lookback_scan_determinismE0ES3_S9_NS6_6detail15normal_iteratorINS6_10device_ptrIjEEEENSD_INSE_IiEEEENS6_16discard_iteratorINS6_11use_defaultEEESI_PmS8_NS6_8equal_toIjEEEE10hipError_tPvRmT2_T3_mT4_T5_T6_T7_T8_P12ihipStream_tbENKUlT_T0_E_clISt17integral_constantIbLb0EES16_EEDaS11_S12_EUlS11_E_NS1_11comp_targetILNS1_3genE4ELNS1_11target_archE910ELNS1_3gpuE8ELNS1_3repE0EEENS1_30default_config_static_selectorELNS0_4arch9wavefront6targetE0EEEvT1_,"axG",@progbits,_ZN7rocprim17ROCPRIM_400000_NS6detail17trampoline_kernelINS0_14default_configENS1_29reduce_by_key_config_selectorIjiN6thrust23THRUST_200600_302600_NS4plusIiEEEEZZNS1_33reduce_by_key_impl_wrapped_configILNS1_25lookback_scan_determinismE0ES3_S9_NS6_6detail15normal_iteratorINS6_10device_ptrIjEEEENSD_INSE_IiEEEENS6_16discard_iteratorINS6_11use_defaultEEESI_PmS8_NS6_8equal_toIjEEEE10hipError_tPvRmT2_T3_mT4_T5_T6_T7_T8_P12ihipStream_tbENKUlT_T0_E_clISt17integral_constantIbLb0EES16_EEDaS11_S12_EUlS11_E_NS1_11comp_targetILNS1_3genE4ELNS1_11target_archE910ELNS1_3gpuE8ELNS1_3repE0EEENS1_30default_config_static_selectorELNS0_4arch9wavefront6targetE0EEEvT1_,comdat
.Lfunc_end1023:
	.size	_ZN7rocprim17ROCPRIM_400000_NS6detail17trampoline_kernelINS0_14default_configENS1_29reduce_by_key_config_selectorIjiN6thrust23THRUST_200600_302600_NS4plusIiEEEEZZNS1_33reduce_by_key_impl_wrapped_configILNS1_25lookback_scan_determinismE0ES3_S9_NS6_6detail15normal_iteratorINS6_10device_ptrIjEEEENSD_INSE_IiEEEENS6_16discard_iteratorINS6_11use_defaultEEESI_PmS8_NS6_8equal_toIjEEEE10hipError_tPvRmT2_T3_mT4_T5_T6_T7_T8_P12ihipStream_tbENKUlT_T0_E_clISt17integral_constantIbLb0EES16_EEDaS11_S12_EUlS11_E_NS1_11comp_targetILNS1_3genE4ELNS1_11target_archE910ELNS1_3gpuE8ELNS1_3repE0EEENS1_30default_config_static_selectorELNS0_4arch9wavefront6targetE0EEEvT1_, .Lfunc_end1023-_ZN7rocprim17ROCPRIM_400000_NS6detail17trampoline_kernelINS0_14default_configENS1_29reduce_by_key_config_selectorIjiN6thrust23THRUST_200600_302600_NS4plusIiEEEEZZNS1_33reduce_by_key_impl_wrapped_configILNS1_25lookback_scan_determinismE0ES3_S9_NS6_6detail15normal_iteratorINS6_10device_ptrIjEEEENSD_INSE_IiEEEENS6_16discard_iteratorINS6_11use_defaultEEESI_PmS8_NS6_8equal_toIjEEEE10hipError_tPvRmT2_T3_mT4_T5_T6_T7_T8_P12ihipStream_tbENKUlT_T0_E_clISt17integral_constantIbLb0EES16_EEDaS11_S12_EUlS11_E_NS1_11comp_targetILNS1_3genE4ELNS1_11target_archE910ELNS1_3gpuE8ELNS1_3repE0EEENS1_30default_config_static_selectorELNS0_4arch9wavefront6targetE0EEEvT1_
                                        ; -- End function
	.section	.AMDGPU.csdata,"",@progbits
; Kernel info:
; codeLenInByte = 0
; NumSgprs: 0
; NumVgprs: 0
; ScratchSize: 0
; MemoryBound: 0
; FloatMode: 240
; IeeeMode: 1
; LDSByteSize: 0 bytes/workgroup (compile time only)
; SGPRBlocks: 0
; VGPRBlocks: 0
; NumSGPRsForWavesPerEU: 1
; NumVGPRsForWavesPerEU: 1
; Occupancy: 16
; WaveLimiterHint : 0
; COMPUTE_PGM_RSRC2:SCRATCH_EN: 0
; COMPUTE_PGM_RSRC2:USER_SGPR: 15
; COMPUTE_PGM_RSRC2:TRAP_HANDLER: 0
; COMPUTE_PGM_RSRC2:TGID_X_EN: 1
; COMPUTE_PGM_RSRC2:TGID_Y_EN: 0
; COMPUTE_PGM_RSRC2:TGID_Z_EN: 0
; COMPUTE_PGM_RSRC2:TIDIG_COMP_CNT: 0
	.section	.text._ZN7rocprim17ROCPRIM_400000_NS6detail17trampoline_kernelINS0_14default_configENS1_29reduce_by_key_config_selectorIjiN6thrust23THRUST_200600_302600_NS4plusIiEEEEZZNS1_33reduce_by_key_impl_wrapped_configILNS1_25lookback_scan_determinismE0ES3_S9_NS6_6detail15normal_iteratorINS6_10device_ptrIjEEEENSD_INSE_IiEEEENS6_16discard_iteratorINS6_11use_defaultEEESI_PmS8_NS6_8equal_toIjEEEE10hipError_tPvRmT2_T3_mT4_T5_T6_T7_T8_P12ihipStream_tbENKUlT_T0_E_clISt17integral_constantIbLb0EES16_EEDaS11_S12_EUlS11_E_NS1_11comp_targetILNS1_3genE3ELNS1_11target_archE908ELNS1_3gpuE7ELNS1_3repE0EEENS1_30default_config_static_selectorELNS0_4arch9wavefront6targetE0EEEvT1_,"axG",@progbits,_ZN7rocprim17ROCPRIM_400000_NS6detail17trampoline_kernelINS0_14default_configENS1_29reduce_by_key_config_selectorIjiN6thrust23THRUST_200600_302600_NS4plusIiEEEEZZNS1_33reduce_by_key_impl_wrapped_configILNS1_25lookback_scan_determinismE0ES3_S9_NS6_6detail15normal_iteratorINS6_10device_ptrIjEEEENSD_INSE_IiEEEENS6_16discard_iteratorINS6_11use_defaultEEESI_PmS8_NS6_8equal_toIjEEEE10hipError_tPvRmT2_T3_mT4_T5_T6_T7_T8_P12ihipStream_tbENKUlT_T0_E_clISt17integral_constantIbLb0EES16_EEDaS11_S12_EUlS11_E_NS1_11comp_targetILNS1_3genE3ELNS1_11target_archE908ELNS1_3gpuE7ELNS1_3repE0EEENS1_30default_config_static_selectorELNS0_4arch9wavefront6targetE0EEEvT1_,comdat
	.protected	_ZN7rocprim17ROCPRIM_400000_NS6detail17trampoline_kernelINS0_14default_configENS1_29reduce_by_key_config_selectorIjiN6thrust23THRUST_200600_302600_NS4plusIiEEEEZZNS1_33reduce_by_key_impl_wrapped_configILNS1_25lookback_scan_determinismE0ES3_S9_NS6_6detail15normal_iteratorINS6_10device_ptrIjEEEENSD_INSE_IiEEEENS6_16discard_iteratorINS6_11use_defaultEEESI_PmS8_NS6_8equal_toIjEEEE10hipError_tPvRmT2_T3_mT4_T5_T6_T7_T8_P12ihipStream_tbENKUlT_T0_E_clISt17integral_constantIbLb0EES16_EEDaS11_S12_EUlS11_E_NS1_11comp_targetILNS1_3genE3ELNS1_11target_archE908ELNS1_3gpuE7ELNS1_3repE0EEENS1_30default_config_static_selectorELNS0_4arch9wavefront6targetE0EEEvT1_ ; -- Begin function _ZN7rocprim17ROCPRIM_400000_NS6detail17trampoline_kernelINS0_14default_configENS1_29reduce_by_key_config_selectorIjiN6thrust23THRUST_200600_302600_NS4plusIiEEEEZZNS1_33reduce_by_key_impl_wrapped_configILNS1_25lookback_scan_determinismE0ES3_S9_NS6_6detail15normal_iteratorINS6_10device_ptrIjEEEENSD_INSE_IiEEEENS6_16discard_iteratorINS6_11use_defaultEEESI_PmS8_NS6_8equal_toIjEEEE10hipError_tPvRmT2_T3_mT4_T5_T6_T7_T8_P12ihipStream_tbENKUlT_T0_E_clISt17integral_constantIbLb0EES16_EEDaS11_S12_EUlS11_E_NS1_11comp_targetILNS1_3genE3ELNS1_11target_archE908ELNS1_3gpuE7ELNS1_3repE0EEENS1_30default_config_static_selectorELNS0_4arch9wavefront6targetE0EEEvT1_
	.globl	_ZN7rocprim17ROCPRIM_400000_NS6detail17trampoline_kernelINS0_14default_configENS1_29reduce_by_key_config_selectorIjiN6thrust23THRUST_200600_302600_NS4plusIiEEEEZZNS1_33reduce_by_key_impl_wrapped_configILNS1_25lookback_scan_determinismE0ES3_S9_NS6_6detail15normal_iteratorINS6_10device_ptrIjEEEENSD_INSE_IiEEEENS6_16discard_iteratorINS6_11use_defaultEEESI_PmS8_NS6_8equal_toIjEEEE10hipError_tPvRmT2_T3_mT4_T5_T6_T7_T8_P12ihipStream_tbENKUlT_T0_E_clISt17integral_constantIbLb0EES16_EEDaS11_S12_EUlS11_E_NS1_11comp_targetILNS1_3genE3ELNS1_11target_archE908ELNS1_3gpuE7ELNS1_3repE0EEENS1_30default_config_static_selectorELNS0_4arch9wavefront6targetE0EEEvT1_
	.p2align	8
	.type	_ZN7rocprim17ROCPRIM_400000_NS6detail17trampoline_kernelINS0_14default_configENS1_29reduce_by_key_config_selectorIjiN6thrust23THRUST_200600_302600_NS4plusIiEEEEZZNS1_33reduce_by_key_impl_wrapped_configILNS1_25lookback_scan_determinismE0ES3_S9_NS6_6detail15normal_iteratorINS6_10device_ptrIjEEEENSD_INSE_IiEEEENS6_16discard_iteratorINS6_11use_defaultEEESI_PmS8_NS6_8equal_toIjEEEE10hipError_tPvRmT2_T3_mT4_T5_T6_T7_T8_P12ihipStream_tbENKUlT_T0_E_clISt17integral_constantIbLb0EES16_EEDaS11_S12_EUlS11_E_NS1_11comp_targetILNS1_3genE3ELNS1_11target_archE908ELNS1_3gpuE7ELNS1_3repE0EEENS1_30default_config_static_selectorELNS0_4arch9wavefront6targetE0EEEvT1_,@function
_ZN7rocprim17ROCPRIM_400000_NS6detail17trampoline_kernelINS0_14default_configENS1_29reduce_by_key_config_selectorIjiN6thrust23THRUST_200600_302600_NS4plusIiEEEEZZNS1_33reduce_by_key_impl_wrapped_configILNS1_25lookback_scan_determinismE0ES3_S9_NS6_6detail15normal_iteratorINS6_10device_ptrIjEEEENSD_INSE_IiEEEENS6_16discard_iteratorINS6_11use_defaultEEESI_PmS8_NS6_8equal_toIjEEEE10hipError_tPvRmT2_T3_mT4_T5_T6_T7_T8_P12ihipStream_tbENKUlT_T0_E_clISt17integral_constantIbLb0EES16_EEDaS11_S12_EUlS11_E_NS1_11comp_targetILNS1_3genE3ELNS1_11target_archE908ELNS1_3gpuE7ELNS1_3repE0EEENS1_30default_config_static_selectorELNS0_4arch9wavefront6targetE0EEEvT1_: ; @_ZN7rocprim17ROCPRIM_400000_NS6detail17trampoline_kernelINS0_14default_configENS1_29reduce_by_key_config_selectorIjiN6thrust23THRUST_200600_302600_NS4plusIiEEEEZZNS1_33reduce_by_key_impl_wrapped_configILNS1_25lookback_scan_determinismE0ES3_S9_NS6_6detail15normal_iteratorINS6_10device_ptrIjEEEENSD_INSE_IiEEEENS6_16discard_iteratorINS6_11use_defaultEEESI_PmS8_NS6_8equal_toIjEEEE10hipError_tPvRmT2_T3_mT4_T5_T6_T7_T8_P12ihipStream_tbENKUlT_T0_E_clISt17integral_constantIbLb0EES16_EEDaS11_S12_EUlS11_E_NS1_11comp_targetILNS1_3genE3ELNS1_11target_archE908ELNS1_3gpuE7ELNS1_3repE0EEENS1_30default_config_static_selectorELNS0_4arch9wavefront6targetE0EEEvT1_
; %bb.0:
	.section	.rodata,"a",@progbits
	.p2align	6, 0x0
	.amdhsa_kernel _ZN7rocprim17ROCPRIM_400000_NS6detail17trampoline_kernelINS0_14default_configENS1_29reduce_by_key_config_selectorIjiN6thrust23THRUST_200600_302600_NS4plusIiEEEEZZNS1_33reduce_by_key_impl_wrapped_configILNS1_25lookback_scan_determinismE0ES3_S9_NS6_6detail15normal_iteratorINS6_10device_ptrIjEEEENSD_INSE_IiEEEENS6_16discard_iteratorINS6_11use_defaultEEESI_PmS8_NS6_8equal_toIjEEEE10hipError_tPvRmT2_T3_mT4_T5_T6_T7_T8_P12ihipStream_tbENKUlT_T0_E_clISt17integral_constantIbLb0EES16_EEDaS11_S12_EUlS11_E_NS1_11comp_targetILNS1_3genE3ELNS1_11target_archE908ELNS1_3gpuE7ELNS1_3repE0EEENS1_30default_config_static_selectorELNS0_4arch9wavefront6targetE0EEEvT1_
		.amdhsa_group_segment_fixed_size 0
		.amdhsa_private_segment_fixed_size 0
		.amdhsa_kernarg_size 128
		.amdhsa_user_sgpr_count 15
		.amdhsa_user_sgpr_dispatch_ptr 0
		.amdhsa_user_sgpr_queue_ptr 0
		.amdhsa_user_sgpr_kernarg_segment_ptr 1
		.amdhsa_user_sgpr_dispatch_id 0
		.amdhsa_user_sgpr_private_segment_size 0
		.amdhsa_wavefront_size32 1
		.amdhsa_uses_dynamic_stack 0
		.amdhsa_enable_private_segment 0
		.amdhsa_system_sgpr_workgroup_id_x 1
		.amdhsa_system_sgpr_workgroup_id_y 0
		.amdhsa_system_sgpr_workgroup_id_z 0
		.amdhsa_system_sgpr_workgroup_info 0
		.amdhsa_system_vgpr_workitem_id 0
		.amdhsa_next_free_vgpr 1
		.amdhsa_next_free_sgpr 1
		.amdhsa_reserve_vcc 0
		.amdhsa_float_round_mode_32 0
		.amdhsa_float_round_mode_16_64 0
		.amdhsa_float_denorm_mode_32 3
		.amdhsa_float_denorm_mode_16_64 3
		.amdhsa_dx10_clamp 1
		.amdhsa_ieee_mode 1
		.amdhsa_fp16_overflow 0
		.amdhsa_workgroup_processor_mode 1
		.amdhsa_memory_ordered 1
		.amdhsa_forward_progress 0
		.amdhsa_shared_vgpr_count 0
		.amdhsa_exception_fp_ieee_invalid_op 0
		.amdhsa_exception_fp_denorm_src 0
		.amdhsa_exception_fp_ieee_div_zero 0
		.amdhsa_exception_fp_ieee_overflow 0
		.amdhsa_exception_fp_ieee_underflow 0
		.amdhsa_exception_fp_ieee_inexact 0
		.amdhsa_exception_int_div_zero 0
	.end_amdhsa_kernel
	.section	.text._ZN7rocprim17ROCPRIM_400000_NS6detail17trampoline_kernelINS0_14default_configENS1_29reduce_by_key_config_selectorIjiN6thrust23THRUST_200600_302600_NS4plusIiEEEEZZNS1_33reduce_by_key_impl_wrapped_configILNS1_25lookback_scan_determinismE0ES3_S9_NS6_6detail15normal_iteratorINS6_10device_ptrIjEEEENSD_INSE_IiEEEENS6_16discard_iteratorINS6_11use_defaultEEESI_PmS8_NS6_8equal_toIjEEEE10hipError_tPvRmT2_T3_mT4_T5_T6_T7_T8_P12ihipStream_tbENKUlT_T0_E_clISt17integral_constantIbLb0EES16_EEDaS11_S12_EUlS11_E_NS1_11comp_targetILNS1_3genE3ELNS1_11target_archE908ELNS1_3gpuE7ELNS1_3repE0EEENS1_30default_config_static_selectorELNS0_4arch9wavefront6targetE0EEEvT1_,"axG",@progbits,_ZN7rocprim17ROCPRIM_400000_NS6detail17trampoline_kernelINS0_14default_configENS1_29reduce_by_key_config_selectorIjiN6thrust23THRUST_200600_302600_NS4plusIiEEEEZZNS1_33reduce_by_key_impl_wrapped_configILNS1_25lookback_scan_determinismE0ES3_S9_NS6_6detail15normal_iteratorINS6_10device_ptrIjEEEENSD_INSE_IiEEEENS6_16discard_iteratorINS6_11use_defaultEEESI_PmS8_NS6_8equal_toIjEEEE10hipError_tPvRmT2_T3_mT4_T5_T6_T7_T8_P12ihipStream_tbENKUlT_T0_E_clISt17integral_constantIbLb0EES16_EEDaS11_S12_EUlS11_E_NS1_11comp_targetILNS1_3genE3ELNS1_11target_archE908ELNS1_3gpuE7ELNS1_3repE0EEENS1_30default_config_static_selectorELNS0_4arch9wavefront6targetE0EEEvT1_,comdat
.Lfunc_end1024:
	.size	_ZN7rocprim17ROCPRIM_400000_NS6detail17trampoline_kernelINS0_14default_configENS1_29reduce_by_key_config_selectorIjiN6thrust23THRUST_200600_302600_NS4plusIiEEEEZZNS1_33reduce_by_key_impl_wrapped_configILNS1_25lookback_scan_determinismE0ES3_S9_NS6_6detail15normal_iteratorINS6_10device_ptrIjEEEENSD_INSE_IiEEEENS6_16discard_iteratorINS6_11use_defaultEEESI_PmS8_NS6_8equal_toIjEEEE10hipError_tPvRmT2_T3_mT4_T5_T6_T7_T8_P12ihipStream_tbENKUlT_T0_E_clISt17integral_constantIbLb0EES16_EEDaS11_S12_EUlS11_E_NS1_11comp_targetILNS1_3genE3ELNS1_11target_archE908ELNS1_3gpuE7ELNS1_3repE0EEENS1_30default_config_static_selectorELNS0_4arch9wavefront6targetE0EEEvT1_, .Lfunc_end1024-_ZN7rocprim17ROCPRIM_400000_NS6detail17trampoline_kernelINS0_14default_configENS1_29reduce_by_key_config_selectorIjiN6thrust23THRUST_200600_302600_NS4plusIiEEEEZZNS1_33reduce_by_key_impl_wrapped_configILNS1_25lookback_scan_determinismE0ES3_S9_NS6_6detail15normal_iteratorINS6_10device_ptrIjEEEENSD_INSE_IiEEEENS6_16discard_iteratorINS6_11use_defaultEEESI_PmS8_NS6_8equal_toIjEEEE10hipError_tPvRmT2_T3_mT4_T5_T6_T7_T8_P12ihipStream_tbENKUlT_T0_E_clISt17integral_constantIbLb0EES16_EEDaS11_S12_EUlS11_E_NS1_11comp_targetILNS1_3genE3ELNS1_11target_archE908ELNS1_3gpuE7ELNS1_3repE0EEENS1_30default_config_static_selectorELNS0_4arch9wavefront6targetE0EEEvT1_
                                        ; -- End function
	.section	.AMDGPU.csdata,"",@progbits
; Kernel info:
; codeLenInByte = 0
; NumSgprs: 0
; NumVgprs: 0
; ScratchSize: 0
; MemoryBound: 0
; FloatMode: 240
; IeeeMode: 1
; LDSByteSize: 0 bytes/workgroup (compile time only)
; SGPRBlocks: 0
; VGPRBlocks: 0
; NumSGPRsForWavesPerEU: 1
; NumVGPRsForWavesPerEU: 1
; Occupancy: 16
; WaveLimiterHint : 0
; COMPUTE_PGM_RSRC2:SCRATCH_EN: 0
; COMPUTE_PGM_RSRC2:USER_SGPR: 15
; COMPUTE_PGM_RSRC2:TRAP_HANDLER: 0
; COMPUTE_PGM_RSRC2:TGID_X_EN: 1
; COMPUTE_PGM_RSRC2:TGID_Y_EN: 0
; COMPUTE_PGM_RSRC2:TGID_Z_EN: 0
; COMPUTE_PGM_RSRC2:TIDIG_COMP_CNT: 0
	.section	.text._ZN7rocprim17ROCPRIM_400000_NS6detail17trampoline_kernelINS0_14default_configENS1_29reduce_by_key_config_selectorIjiN6thrust23THRUST_200600_302600_NS4plusIiEEEEZZNS1_33reduce_by_key_impl_wrapped_configILNS1_25lookback_scan_determinismE0ES3_S9_NS6_6detail15normal_iteratorINS6_10device_ptrIjEEEENSD_INSE_IiEEEENS6_16discard_iteratorINS6_11use_defaultEEESI_PmS8_NS6_8equal_toIjEEEE10hipError_tPvRmT2_T3_mT4_T5_T6_T7_T8_P12ihipStream_tbENKUlT_T0_E_clISt17integral_constantIbLb0EES16_EEDaS11_S12_EUlS11_E_NS1_11comp_targetILNS1_3genE2ELNS1_11target_archE906ELNS1_3gpuE6ELNS1_3repE0EEENS1_30default_config_static_selectorELNS0_4arch9wavefront6targetE0EEEvT1_,"axG",@progbits,_ZN7rocprim17ROCPRIM_400000_NS6detail17trampoline_kernelINS0_14default_configENS1_29reduce_by_key_config_selectorIjiN6thrust23THRUST_200600_302600_NS4plusIiEEEEZZNS1_33reduce_by_key_impl_wrapped_configILNS1_25lookback_scan_determinismE0ES3_S9_NS6_6detail15normal_iteratorINS6_10device_ptrIjEEEENSD_INSE_IiEEEENS6_16discard_iteratorINS6_11use_defaultEEESI_PmS8_NS6_8equal_toIjEEEE10hipError_tPvRmT2_T3_mT4_T5_T6_T7_T8_P12ihipStream_tbENKUlT_T0_E_clISt17integral_constantIbLb0EES16_EEDaS11_S12_EUlS11_E_NS1_11comp_targetILNS1_3genE2ELNS1_11target_archE906ELNS1_3gpuE6ELNS1_3repE0EEENS1_30default_config_static_selectorELNS0_4arch9wavefront6targetE0EEEvT1_,comdat
	.protected	_ZN7rocprim17ROCPRIM_400000_NS6detail17trampoline_kernelINS0_14default_configENS1_29reduce_by_key_config_selectorIjiN6thrust23THRUST_200600_302600_NS4plusIiEEEEZZNS1_33reduce_by_key_impl_wrapped_configILNS1_25lookback_scan_determinismE0ES3_S9_NS6_6detail15normal_iteratorINS6_10device_ptrIjEEEENSD_INSE_IiEEEENS6_16discard_iteratorINS6_11use_defaultEEESI_PmS8_NS6_8equal_toIjEEEE10hipError_tPvRmT2_T3_mT4_T5_T6_T7_T8_P12ihipStream_tbENKUlT_T0_E_clISt17integral_constantIbLb0EES16_EEDaS11_S12_EUlS11_E_NS1_11comp_targetILNS1_3genE2ELNS1_11target_archE906ELNS1_3gpuE6ELNS1_3repE0EEENS1_30default_config_static_selectorELNS0_4arch9wavefront6targetE0EEEvT1_ ; -- Begin function _ZN7rocprim17ROCPRIM_400000_NS6detail17trampoline_kernelINS0_14default_configENS1_29reduce_by_key_config_selectorIjiN6thrust23THRUST_200600_302600_NS4plusIiEEEEZZNS1_33reduce_by_key_impl_wrapped_configILNS1_25lookback_scan_determinismE0ES3_S9_NS6_6detail15normal_iteratorINS6_10device_ptrIjEEEENSD_INSE_IiEEEENS6_16discard_iteratorINS6_11use_defaultEEESI_PmS8_NS6_8equal_toIjEEEE10hipError_tPvRmT2_T3_mT4_T5_T6_T7_T8_P12ihipStream_tbENKUlT_T0_E_clISt17integral_constantIbLb0EES16_EEDaS11_S12_EUlS11_E_NS1_11comp_targetILNS1_3genE2ELNS1_11target_archE906ELNS1_3gpuE6ELNS1_3repE0EEENS1_30default_config_static_selectorELNS0_4arch9wavefront6targetE0EEEvT1_
	.globl	_ZN7rocprim17ROCPRIM_400000_NS6detail17trampoline_kernelINS0_14default_configENS1_29reduce_by_key_config_selectorIjiN6thrust23THRUST_200600_302600_NS4plusIiEEEEZZNS1_33reduce_by_key_impl_wrapped_configILNS1_25lookback_scan_determinismE0ES3_S9_NS6_6detail15normal_iteratorINS6_10device_ptrIjEEEENSD_INSE_IiEEEENS6_16discard_iteratorINS6_11use_defaultEEESI_PmS8_NS6_8equal_toIjEEEE10hipError_tPvRmT2_T3_mT4_T5_T6_T7_T8_P12ihipStream_tbENKUlT_T0_E_clISt17integral_constantIbLb0EES16_EEDaS11_S12_EUlS11_E_NS1_11comp_targetILNS1_3genE2ELNS1_11target_archE906ELNS1_3gpuE6ELNS1_3repE0EEENS1_30default_config_static_selectorELNS0_4arch9wavefront6targetE0EEEvT1_
	.p2align	8
	.type	_ZN7rocprim17ROCPRIM_400000_NS6detail17trampoline_kernelINS0_14default_configENS1_29reduce_by_key_config_selectorIjiN6thrust23THRUST_200600_302600_NS4plusIiEEEEZZNS1_33reduce_by_key_impl_wrapped_configILNS1_25lookback_scan_determinismE0ES3_S9_NS6_6detail15normal_iteratorINS6_10device_ptrIjEEEENSD_INSE_IiEEEENS6_16discard_iteratorINS6_11use_defaultEEESI_PmS8_NS6_8equal_toIjEEEE10hipError_tPvRmT2_T3_mT4_T5_T6_T7_T8_P12ihipStream_tbENKUlT_T0_E_clISt17integral_constantIbLb0EES16_EEDaS11_S12_EUlS11_E_NS1_11comp_targetILNS1_3genE2ELNS1_11target_archE906ELNS1_3gpuE6ELNS1_3repE0EEENS1_30default_config_static_selectorELNS0_4arch9wavefront6targetE0EEEvT1_,@function
_ZN7rocprim17ROCPRIM_400000_NS6detail17trampoline_kernelINS0_14default_configENS1_29reduce_by_key_config_selectorIjiN6thrust23THRUST_200600_302600_NS4plusIiEEEEZZNS1_33reduce_by_key_impl_wrapped_configILNS1_25lookback_scan_determinismE0ES3_S9_NS6_6detail15normal_iteratorINS6_10device_ptrIjEEEENSD_INSE_IiEEEENS6_16discard_iteratorINS6_11use_defaultEEESI_PmS8_NS6_8equal_toIjEEEE10hipError_tPvRmT2_T3_mT4_T5_T6_T7_T8_P12ihipStream_tbENKUlT_T0_E_clISt17integral_constantIbLb0EES16_EEDaS11_S12_EUlS11_E_NS1_11comp_targetILNS1_3genE2ELNS1_11target_archE906ELNS1_3gpuE6ELNS1_3repE0EEENS1_30default_config_static_selectorELNS0_4arch9wavefront6targetE0EEEvT1_: ; @_ZN7rocprim17ROCPRIM_400000_NS6detail17trampoline_kernelINS0_14default_configENS1_29reduce_by_key_config_selectorIjiN6thrust23THRUST_200600_302600_NS4plusIiEEEEZZNS1_33reduce_by_key_impl_wrapped_configILNS1_25lookback_scan_determinismE0ES3_S9_NS6_6detail15normal_iteratorINS6_10device_ptrIjEEEENSD_INSE_IiEEEENS6_16discard_iteratorINS6_11use_defaultEEESI_PmS8_NS6_8equal_toIjEEEE10hipError_tPvRmT2_T3_mT4_T5_T6_T7_T8_P12ihipStream_tbENKUlT_T0_E_clISt17integral_constantIbLb0EES16_EEDaS11_S12_EUlS11_E_NS1_11comp_targetILNS1_3genE2ELNS1_11target_archE906ELNS1_3gpuE6ELNS1_3repE0EEENS1_30default_config_static_selectorELNS0_4arch9wavefront6targetE0EEEvT1_
; %bb.0:
	.section	.rodata,"a",@progbits
	.p2align	6, 0x0
	.amdhsa_kernel _ZN7rocprim17ROCPRIM_400000_NS6detail17trampoline_kernelINS0_14default_configENS1_29reduce_by_key_config_selectorIjiN6thrust23THRUST_200600_302600_NS4plusIiEEEEZZNS1_33reduce_by_key_impl_wrapped_configILNS1_25lookback_scan_determinismE0ES3_S9_NS6_6detail15normal_iteratorINS6_10device_ptrIjEEEENSD_INSE_IiEEEENS6_16discard_iteratorINS6_11use_defaultEEESI_PmS8_NS6_8equal_toIjEEEE10hipError_tPvRmT2_T3_mT4_T5_T6_T7_T8_P12ihipStream_tbENKUlT_T0_E_clISt17integral_constantIbLb0EES16_EEDaS11_S12_EUlS11_E_NS1_11comp_targetILNS1_3genE2ELNS1_11target_archE906ELNS1_3gpuE6ELNS1_3repE0EEENS1_30default_config_static_selectorELNS0_4arch9wavefront6targetE0EEEvT1_
		.amdhsa_group_segment_fixed_size 0
		.amdhsa_private_segment_fixed_size 0
		.amdhsa_kernarg_size 128
		.amdhsa_user_sgpr_count 15
		.amdhsa_user_sgpr_dispatch_ptr 0
		.amdhsa_user_sgpr_queue_ptr 0
		.amdhsa_user_sgpr_kernarg_segment_ptr 1
		.amdhsa_user_sgpr_dispatch_id 0
		.amdhsa_user_sgpr_private_segment_size 0
		.amdhsa_wavefront_size32 1
		.amdhsa_uses_dynamic_stack 0
		.amdhsa_enable_private_segment 0
		.amdhsa_system_sgpr_workgroup_id_x 1
		.amdhsa_system_sgpr_workgroup_id_y 0
		.amdhsa_system_sgpr_workgroup_id_z 0
		.amdhsa_system_sgpr_workgroup_info 0
		.amdhsa_system_vgpr_workitem_id 0
		.amdhsa_next_free_vgpr 1
		.amdhsa_next_free_sgpr 1
		.amdhsa_reserve_vcc 0
		.amdhsa_float_round_mode_32 0
		.amdhsa_float_round_mode_16_64 0
		.amdhsa_float_denorm_mode_32 3
		.amdhsa_float_denorm_mode_16_64 3
		.amdhsa_dx10_clamp 1
		.amdhsa_ieee_mode 1
		.amdhsa_fp16_overflow 0
		.amdhsa_workgroup_processor_mode 1
		.amdhsa_memory_ordered 1
		.amdhsa_forward_progress 0
		.amdhsa_shared_vgpr_count 0
		.amdhsa_exception_fp_ieee_invalid_op 0
		.amdhsa_exception_fp_denorm_src 0
		.amdhsa_exception_fp_ieee_div_zero 0
		.amdhsa_exception_fp_ieee_overflow 0
		.amdhsa_exception_fp_ieee_underflow 0
		.amdhsa_exception_fp_ieee_inexact 0
		.amdhsa_exception_int_div_zero 0
	.end_amdhsa_kernel
	.section	.text._ZN7rocprim17ROCPRIM_400000_NS6detail17trampoline_kernelINS0_14default_configENS1_29reduce_by_key_config_selectorIjiN6thrust23THRUST_200600_302600_NS4plusIiEEEEZZNS1_33reduce_by_key_impl_wrapped_configILNS1_25lookback_scan_determinismE0ES3_S9_NS6_6detail15normal_iteratorINS6_10device_ptrIjEEEENSD_INSE_IiEEEENS6_16discard_iteratorINS6_11use_defaultEEESI_PmS8_NS6_8equal_toIjEEEE10hipError_tPvRmT2_T3_mT4_T5_T6_T7_T8_P12ihipStream_tbENKUlT_T0_E_clISt17integral_constantIbLb0EES16_EEDaS11_S12_EUlS11_E_NS1_11comp_targetILNS1_3genE2ELNS1_11target_archE906ELNS1_3gpuE6ELNS1_3repE0EEENS1_30default_config_static_selectorELNS0_4arch9wavefront6targetE0EEEvT1_,"axG",@progbits,_ZN7rocprim17ROCPRIM_400000_NS6detail17trampoline_kernelINS0_14default_configENS1_29reduce_by_key_config_selectorIjiN6thrust23THRUST_200600_302600_NS4plusIiEEEEZZNS1_33reduce_by_key_impl_wrapped_configILNS1_25lookback_scan_determinismE0ES3_S9_NS6_6detail15normal_iteratorINS6_10device_ptrIjEEEENSD_INSE_IiEEEENS6_16discard_iteratorINS6_11use_defaultEEESI_PmS8_NS6_8equal_toIjEEEE10hipError_tPvRmT2_T3_mT4_T5_T6_T7_T8_P12ihipStream_tbENKUlT_T0_E_clISt17integral_constantIbLb0EES16_EEDaS11_S12_EUlS11_E_NS1_11comp_targetILNS1_3genE2ELNS1_11target_archE906ELNS1_3gpuE6ELNS1_3repE0EEENS1_30default_config_static_selectorELNS0_4arch9wavefront6targetE0EEEvT1_,comdat
.Lfunc_end1025:
	.size	_ZN7rocprim17ROCPRIM_400000_NS6detail17trampoline_kernelINS0_14default_configENS1_29reduce_by_key_config_selectorIjiN6thrust23THRUST_200600_302600_NS4plusIiEEEEZZNS1_33reduce_by_key_impl_wrapped_configILNS1_25lookback_scan_determinismE0ES3_S9_NS6_6detail15normal_iteratorINS6_10device_ptrIjEEEENSD_INSE_IiEEEENS6_16discard_iteratorINS6_11use_defaultEEESI_PmS8_NS6_8equal_toIjEEEE10hipError_tPvRmT2_T3_mT4_T5_T6_T7_T8_P12ihipStream_tbENKUlT_T0_E_clISt17integral_constantIbLb0EES16_EEDaS11_S12_EUlS11_E_NS1_11comp_targetILNS1_3genE2ELNS1_11target_archE906ELNS1_3gpuE6ELNS1_3repE0EEENS1_30default_config_static_selectorELNS0_4arch9wavefront6targetE0EEEvT1_, .Lfunc_end1025-_ZN7rocprim17ROCPRIM_400000_NS6detail17trampoline_kernelINS0_14default_configENS1_29reduce_by_key_config_selectorIjiN6thrust23THRUST_200600_302600_NS4plusIiEEEEZZNS1_33reduce_by_key_impl_wrapped_configILNS1_25lookback_scan_determinismE0ES3_S9_NS6_6detail15normal_iteratorINS6_10device_ptrIjEEEENSD_INSE_IiEEEENS6_16discard_iteratorINS6_11use_defaultEEESI_PmS8_NS6_8equal_toIjEEEE10hipError_tPvRmT2_T3_mT4_T5_T6_T7_T8_P12ihipStream_tbENKUlT_T0_E_clISt17integral_constantIbLb0EES16_EEDaS11_S12_EUlS11_E_NS1_11comp_targetILNS1_3genE2ELNS1_11target_archE906ELNS1_3gpuE6ELNS1_3repE0EEENS1_30default_config_static_selectorELNS0_4arch9wavefront6targetE0EEEvT1_
                                        ; -- End function
	.section	.AMDGPU.csdata,"",@progbits
; Kernel info:
; codeLenInByte = 0
; NumSgprs: 0
; NumVgprs: 0
; ScratchSize: 0
; MemoryBound: 0
; FloatMode: 240
; IeeeMode: 1
; LDSByteSize: 0 bytes/workgroup (compile time only)
; SGPRBlocks: 0
; VGPRBlocks: 0
; NumSGPRsForWavesPerEU: 1
; NumVGPRsForWavesPerEU: 1
; Occupancy: 16
; WaveLimiterHint : 0
; COMPUTE_PGM_RSRC2:SCRATCH_EN: 0
; COMPUTE_PGM_RSRC2:USER_SGPR: 15
; COMPUTE_PGM_RSRC2:TRAP_HANDLER: 0
; COMPUTE_PGM_RSRC2:TGID_X_EN: 1
; COMPUTE_PGM_RSRC2:TGID_Y_EN: 0
; COMPUTE_PGM_RSRC2:TGID_Z_EN: 0
; COMPUTE_PGM_RSRC2:TIDIG_COMP_CNT: 0
	.section	.text._ZN7rocprim17ROCPRIM_400000_NS6detail17trampoline_kernelINS0_14default_configENS1_29reduce_by_key_config_selectorIjiN6thrust23THRUST_200600_302600_NS4plusIiEEEEZZNS1_33reduce_by_key_impl_wrapped_configILNS1_25lookback_scan_determinismE0ES3_S9_NS6_6detail15normal_iteratorINS6_10device_ptrIjEEEENSD_INSE_IiEEEENS6_16discard_iteratorINS6_11use_defaultEEESI_PmS8_NS6_8equal_toIjEEEE10hipError_tPvRmT2_T3_mT4_T5_T6_T7_T8_P12ihipStream_tbENKUlT_T0_E_clISt17integral_constantIbLb0EES16_EEDaS11_S12_EUlS11_E_NS1_11comp_targetILNS1_3genE10ELNS1_11target_archE1201ELNS1_3gpuE5ELNS1_3repE0EEENS1_30default_config_static_selectorELNS0_4arch9wavefront6targetE0EEEvT1_,"axG",@progbits,_ZN7rocprim17ROCPRIM_400000_NS6detail17trampoline_kernelINS0_14default_configENS1_29reduce_by_key_config_selectorIjiN6thrust23THRUST_200600_302600_NS4plusIiEEEEZZNS1_33reduce_by_key_impl_wrapped_configILNS1_25lookback_scan_determinismE0ES3_S9_NS6_6detail15normal_iteratorINS6_10device_ptrIjEEEENSD_INSE_IiEEEENS6_16discard_iteratorINS6_11use_defaultEEESI_PmS8_NS6_8equal_toIjEEEE10hipError_tPvRmT2_T3_mT4_T5_T6_T7_T8_P12ihipStream_tbENKUlT_T0_E_clISt17integral_constantIbLb0EES16_EEDaS11_S12_EUlS11_E_NS1_11comp_targetILNS1_3genE10ELNS1_11target_archE1201ELNS1_3gpuE5ELNS1_3repE0EEENS1_30default_config_static_selectorELNS0_4arch9wavefront6targetE0EEEvT1_,comdat
	.protected	_ZN7rocprim17ROCPRIM_400000_NS6detail17trampoline_kernelINS0_14default_configENS1_29reduce_by_key_config_selectorIjiN6thrust23THRUST_200600_302600_NS4plusIiEEEEZZNS1_33reduce_by_key_impl_wrapped_configILNS1_25lookback_scan_determinismE0ES3_S9_NS6_6detail15normal_iteratorINS6_10device_ptrIjEEEENSD_INSE_IiEEEENS6_16discard_iteratorINS6_11use_defaultEEESI_PmS8_NS6_8equal_toIjEEEE10hipError_tPvRmT2_T3_mT4_T5_T6_T7_T8_P12ihipStream_tbENKUlT_T0_E_clISt17integral_constantIbLb0EES16_EEDaS11_S12_EUlS11_E_NS1_11comp_targetILNS1_3genE10ELNS1_11target_archE1201ELNS1_3gpuE5ELNS1_3repE0EEENS1_30default_config_static_selectorELNS0_4arch9wavefront6targetE0EEEvT1_ ; -- Begin function _ZN7rocprim17ROCPRIM_400000_NS6detail17trampoline_kernelINS0_14default_configENS1_29reduce_by_key_config_selectorIjiN6thrust23THRUST_200600_302600_NS4plusIiEEEEZZNS1_33reduce_by_key_impl_wrapped_configILNS1_25lookback_scan_determinismE0ES3_S9_NS6_6detail15normal_iteratorINS6_10device_ptrIjEEEENSD_INSE_IiEEEENS6_16discard_iteratorINS6_11use_defaultEEESI_PmS8_NS6_8equal_toIjEEEE10hipError_tPvRmT2_T3_mT4_T5_T6_T7_T8_P12ihipStream_tbENKUlT_T0_E_clISt17integral_constantIbLb0EES16_EEDaS11_S12_EUlS11_E_NS1_11comp_targetILNS1_3genE10ELNS1_11target_archE1201ELNS1_3gpuE5ELNS1_3repE0EEENS1_30default_config_static_selectorELNS0_4arch9wavefront6targetE0EEEvT1_
	.globl	_ZN7rocprim17ROCPRIM_400000_NS6detail17trampoline_kernelINS0_14default_configENS1_29reduce_by_key_config_selectorIjiN6thrust23THRUST_200600_302600_NS4plusIiEEEEZZNS1_33reduce_by_key_impl_wrapped_configILNS1_25lookback_scan_determinismE0ES3_S9_NS6_6detail15normal_iteratorINS6_10device_ptrIjEEEENSD_INSE_IiEEEENS6_16discard_iteratorINS6_11use_defaultEEESI_PmS8_NS6_8equal_toIjEEEE10hipError_tPvRmT2_T3_mT4_T5_T6_T7_T8_P12ihipStream_tbENKUlT_T0_E_clISt17integral_constantIbLb0EES16_EEDaS11_S12_EUlS11_E_NS1_11comp_targetILNS1_3genE10ELNS1_11target_archE1201ELNS1_3gpuE5ELNS1_3repE0EEENS1_30default_config_static_selectorELNS0_4arch9wavefront6targetE0EEEvT1_
	.p2align	8
	.type	_ZN7rocprim17ROCPRIM_400000_NS6detail17trampoline_kernelINS0_14default_configENS1_29reduce_by_key_config_selectorIjiN6thrust23THRUST_200600_302600_NS4plusIiEEEEZZNS1_33reduce_by_key_impl_wrapped_configILNS1_25lookback_scan_determinismE0ES3_S9_NS6_6detail15normal_iteratorINS6_10device_ptrIjEEEENSD_INSE_IiEEEENS6_16discard_iteratorINS6_11use_defaultEEESI_PmS8_NS6_8equal_toIjEEEE10hipError_tPvRmT2_T3_mT4_T5_T6_T7_T8_P12ihipStream_tbENKUlT_T0_E_clISt17integral_constantIbLb0EES16_EEDaS11_S12_EUlS11_E_NS1_11comp_targetILNS1_3genE10ELNS1_11target_archE1201ELNS1_3gpuE5ELNS1_3repE0EEENS1_30default_config_static_selectorELNS0_4arch9wavefront6targetE0EEEvT1_,@function
_ZN7rocprim17ROCPRIM_400000_NS6detail17trampoline_kernelINS0_14default_configENS1_29reduce_by_key_config_selectorIjiN6thrust23THRUST_200600_302600_NS4plusIiEEEEZZNS1_33reduce_by_key_impl_wrapped_configILNS1_25lookback_scan_determinismE0ES3_S9_NS6_6detail15normal_iteratorINS6_10device_ptrIjEEEENSD_INSE_IiEEEENS6_16discard_iteratorINS6_11use_defaultEEESI_PmS8_NS6_8equal_toIjEEEE10hipError_tPvRmT2_T3_mT4_T5_T6_T7_T8_P12ihipStream_tbENKUlT_T0_E_clISt17integral_constantIbLb0EES16_EEDaS11_S12_EUlS11_E_NS1_11comp_targetILNS1_3genE10ELNS1_11target_archE1201ELNS1_3gpuE5ELNS1_3repE0EEENS1_30default_config_static_selectorELNS0_4arch9wavefront6targetE0EEEvT1_: ; @_ZN7rocprim17ROCPRIM_400000_NS6detail17trampoline_kernelINS0_14default_configENS1_29reduce_by_key_config_selectorIjiN6thrust23THRUST_200600_302600_NS4plusIiEEEEZZNS1_33reduce_by_key_impl_wrapped_configILNS1_25lookback_scan_determinismE0ES3_S9_NS6_6detail15normal_iteratorINS6_10device_ptrIjEEEENSD_INSE_IiEEEENS6_16discard_iteratorINS6_11use_defaultEEESI_PmS8_NS6_8equal_toIjEEEE10hipError_tPvRmT2_T3_mT4_T5_T6_T7_T8_P12ihipStream_tbENKUlT_T0_E_clISt17integral_constantIbLb0EES16_EEDaS11_S12_EUlS11_E_NS1_11comp_targetILNS1_3genE10ELNS1_11target_archE1201ELNS1_3gpuE5ELNS1_3repE0EEENS1_30default_config_static_selectorELNS0_4arch9wavefront6targetE0EEEvT1_
; %bb.0:
	.section	.rodata,"a",@progbits
	.p2align	6, 0x0
	.amdhsa_kernel _ZN7rocprim17ROCPRIM_400000_NS6detail17trampoline_kernelINS0_14default_configENS1_29reduce_by_key_config_selectorIjiN6thrust23THRUST_200600_302600_NS4plusIiEEEEZZNS1_33reduce_by_key_impl_wrapped_configILNS1_25lookback_scan_determinismE0ES3_S9_NS6_6detail15normal_iteratorINS6_10device_ptrIjEEEENSD_INSE_IiEEEENS6_16discard_iteratorINS6_11use_defaultEEESI_PmS8_NS6_8equal_toIjEEEE10hipError_tPvRmT2_T3_mT4_T5_T6_T7_T8_P12ihipStream_tbENKUlT_T0_E_clISt17integral_constantIbLb0EES16_EEDaS11_S12_EUlS11_E_NS1_11comp_targetILNS1_3genE10ELNS1_11target_archE1201ELNS1_3gpuE5ELNS1_3repE0EEENS1_30default_config_static_selectorELNS0_4arch9wavefront6targetE0EEEvT1_
		.amdhsa_group_segment_fixed_size 0
		.amdhsa_private_segment_fixed_size 0
		.amdhsa_kernarg_size 128
		.amdhsa_user_sgpr_count 15
		.amdhsa_user_sgpr_dispatch_ptr 0
		.amdhsa_user_sgpr_queue_ptr 0
		.amdhsa_user_sgpr_kernarg_segment_ptr 1
		.amdhsa_user_sgpr_dispatch_id 0
		.amdhsa_user_sgpr_private_segment_size 0
		.amdhsa_wavefront_size32 1
		.amdhsa_uses_dynamic_stack 0
		.amdhsa_enable_private_segment 0
		.amdhsa_system_sgpr_workgroup_id_x 1
		.amdhsa_system_sgpr_workgroup_id_y 0
		.amdhsa_system_sgpr_workgroup_id_z 0
		.amdhsa_system_sgpr_workgroup_info 0
		.amdhsa_system_vgpr_workitem_id 0
		.amdhsa_next_free_vgpr 1
		.amdhsa_next_free_sgpr 1
		.amdhsa_reserve_vcc 0
		.amdhsa_float_round_mode_32 0
		.amdhsa_float_round_mode_16_64 0
		.amdhsa_float_denorm_mode_32 3
		.amdhsa_float_denorm_mode_16_64 3
		.amdhsa_dx10_clamp 1
		.amdhsa_ieee_mode 1
		.amdhsa_fp16_overflow 0
		.amdhsa_workgroup_processor_mode 1
		.amdhsa_memory_ordered 1
		.amdhsa_forward_progress 0
		.amdhsa_shared_vgpr_count 0
		.amdhsa_exception_fp_ieee_invalid_op 0
		.amdhsa_exception_fp_denorm_src 0
		.amdhsa_exception_fp_ieee_div_zero 0
		.amdhsa_exception_fp_ieee_overflow 0
		.amdhsa_exception_fp_ieee_underflow 0
		.amdhsa_exception_fp_ieee_inexact 0
		.amdhsa_exception_int_div_zero 0
	.end_amdhsa_kernel
	.section	.text._ZN7rocprim17ROCPRIM_400000_NS6detail17trampoline_kernelINS0_14default_configENS1_29reduce_by_key_config_selectorIjiN6thrust23THRUST_200600_302600_NS4plusIiEEEEZZNS1_33reduce_by_key_impl_wrapped_configILNS1_25lookback_scan_determinismE0ES3_S9_NS6_6detail15normal_iteratorINS6_10device_ptrIjEEEENSD_INSE_IiEEEENS6_16discard_iteratorINS6_11use_defaultEEESI_PmS8_NS6_8equal_toIjEEEE10hipError_tPvRmT2_T3_mT4_T5_T6_T7_T8_P12ihipStream_tbENKUlT_T0_E_clISt17integral_constantIbLb0EES16_EEDaS11_S12_EUlS11_E_NS1_11comp_targetILNS1_3genE10ELNS1_11target_archE1201ELNS1_3gpuE5ELNS1_3repE0EEENS1_30default_config_static_selectorELNS0_4arch9wavefront6targetE0EEEvT1_,"axG",@progbits,_ZN7rocprim17ROCPRIM_400000_NS6detail17trampoline_kernelINS0_14default_configENS1_29reduce_by_key_config_selectorIjiN6thrust23THRUST_200600_302600_NS4plusIiEEEEZZNS1_33reduce_by_key_impl_wrapped_configILNS1_25lookback_scan_determinismE0ES3_S9_NS6_6detail15normal_iteratorINS6_10device_ptrIjEEEENSD_INSE_IiEEEENS6_16discard_iteratorINS6_11use_defaultEEESI_PmS8_NS6_8equal_toIjEEEE10hipError_tPvRmT2_T3_mT4_T5_T6_T7_T8_P12ihipStream_tbENKUlT_T0_E_clISt17integral_constantIbLb0EES16_EEDaS11_S12_EUlS11_E_NS1_11comp_targetILNS1_3genE10ELNS1_11target_archE1201ELNS1_3gpuE5ELNS1_3repE0EEENS1_30default_config_static_selectorELNS0_4arch9wavefront6targetE0EEEvT1_,comdat
.Lfunc_end1026:
	.size	_ZN7rocprim17ROCPRIM_400000_NS6detail17trampoline_kernelINS0_14default_configENS1_29reduce_by_key_config_selectorIjiN6thrust23THRUST_200600_302600_NS4plusIiEEEEZZNS1_33reduce_by_key_impl_wrapped_configILNS1_25lookback_scan_determinismE0ES3_S9_NS6_6detail15normal_iteratorINS6_10device_ptrIjEEEENSD_INSE_IiEEEENS6_16discard_iteratorINS6_11use_defaultEEESI_PmS8_NS6_8equal_toIjEEEE10hipError_tPvRmT2_T3_mT4_T5_T6_T7_T8_P12ihipStream_tbENKUlT_T0_E_clISt17integral_constantIbLb0EES16_EEDaS11_S12_EUlS11_E_NS1_11comp_targetILNS1_3genE10ELNS1_11target_archE1201ELNS1_3gpuE5ELNS1_3repE0EEENS1_30default_config_static_selectorELNS0_4arch9wavefront6targetE0EEEvT1_, .Lfunc_end1026-_ZN7rocprim17ROCPRIM_400000_NS6detail17trampoline_kernelINS0_14default_configENS1_29reduce_by_key_config_selectorIjiN6thrust23THRUST_200600_302600_NS4plusIiEEEEZZNS1_33reduce_by_key_impl_wrapped_configILNS1_25lookback_scan_determinismE0ES3_S9_NS6_6detail15normal_iteratorINS6_10device_ptrIjEEEENSD_INSE_IiEEEENS6_16discard_iteratorINS6_11use_defaultEEESI_PmS8_NS6_8equal_toIjEEEE10hipError_tPvRmT2_T3_mT4_T5_T6_T7_T8_P12ihipStream_tbENKUlT_T0_E_clISt17integral_constantIbLb0EES16_EEDaS11_S12_EUlS11_E_NS1_11comp_targetILNS1_3genE10ELNS1_11target_archE1201ELNS1_3gpuE5ELNS1_3repE0EEENS1_30default_config_static_selectorELNS0_4arch9wavefront6targetE0EEEvT1_
                                        ; -- End function
	.section	.AMDGPU.csdata,"",@progbits
; Kernel info:
; codeLenInByte = 0
; NumSgprs: 0
; NumVgprs: 0
; ScratchSize: 0
; MemoryBound: 0
; FloatMode: 240
; IeeeMode: 1
; LDSByteSize: 0 bytes/workgroup (compile time only)
; SGPRBlocks: 0
; VGPRBlocks: 0
; NumSGPRsForWavesPerEU: 1
; NumVGPRsForWavesPerEU: 1
; Occupancy: 16
; WaveLimiterHint : 0
; COMPUTE_PGM_RSRC2:SCRATCH_EN: 0
; COMPUTE_PGM_RSRC2:USER_SGPR: 15
; COMPUTE_PGM_RSRC2:TRAP_HANDLER: 0
; COMPUTE_PGM_RSRC2:TGID_X_EN: 1
; COMPUTE_PGM_RSRC2:TGID_Y_EN: 0
; COMPUTE_PGM_RSRC2:TGID_Z_EN: 0
; COMPUTE_PGM_RSRC2:TIDIG_COMP_CNT: 0
	.section	.text._ZN7rocprim17ROCPRIM_400000_NS6detail17trampoline_kernelINS0_14default_configENS1_29reduce_by_key_config_selectorIjiN6thrust23THRUST_200600_302600_NS4plusIiEEEEZZNS1_33reduce_by_key_impl_wrapped_configILNS1_25lookback_scan_determinismE0ES3_S9_NS6_6detail15normal_iteratorINS6_10device_ptrIjEEEENSD_INSE_IiEEEENS6_16discard_iteratorINS6_11use_defaultEEESI_PmS8_NS6_8equal_toIjEEEE10hipError_tPvRmT2_T3_mT4_T5_T6_T7_T8_P12ihipStream_tbENKUlT_T0_E_clISt17integral_constantIbLb0EES16_EEDaS11_S12_EUlS11_E_NS1_11comp_targetILNS1_3genE10ELNS1_11target_archE1200ELNS1_3gpuE4ELNS1_3repE0EEENS1_30default_config_static_selectorELNS0_4arch9wavefront6targetE0EEEvT1_,"axG",@progbits,_ZN7rocprim17ROCPRIM_400000_NS6detail17trampoline_kernelINS0_14default_configENS1_29reduce_by_key_config_selectorIjiN6thrust23THRUST_200600_302600_NS4plusIiEEEEZZNS1_33reduce_by_key_impl_wrapped_configILNS1_25lookback_scan_determinismE0ES3_S9_NS6_6detail15normal_iteratorINS6_10device_ptrIjEEEENSD_INSE_IiEEEENS6_16discard_iteratorINS6_11use_defaultEEESI_PmS8_NS6_8equal_toIjEEEE10hipError_tPvRmT2_T3_mT4_T5_T6_T7_T8_P12ihipStream_tbENKUlT_T0_E_clISt17integral_constantIbLb0EES16_EEDaS11_S12_EUlS11_E_NS1_11comp_targetILNS1_3genE10ELNS1_11target_archE1200ELNS1_3gpuE4ELNS1_3repE0EEENS1_30default_config_static_selectorELNS0_4arch9wavefront6targetE0EEEvT1_,comdat
	.protected	_ZN7rocprim17ROCPRIM_400000_NS6detail17trampoline_kernelINS0_14default_configENS1_29reduce_by_key_config_selectorIjiN6thrust23THRUST_200600_302600_NS4plusIiEEEEZZNS1_33reduce_by_key_impl_wrapped_configILNS1_25lookback_scan_determinismE0ES3_S9_NS6_6detail15normal_iteratorINS6_10device_ptrIjEEEENSD_INSE_IiEEEENS6_16discard_iteratorINS6_11use_defaultEEESI_PmS8_NS6_8equal_toIjEEEE10hipError_tPvRmT2_T3_mT4_T5_T6_T7_T8_P12ihipStream_tbENKUlT_T0_E_clISt17integral_constantIbLb0EES16_EEDaS11_S12_EUlS11_E_NS1_11comp_targetILNS1_3genE10ELNS1_11target_archE1200ELNS1_3gpuE4ELNS1_3repE0EEENS1_30default_config_static_selectorELNS0_4arch9wavefront6targetE0EEEvT1_ ; -- Begin function _ZN7rocprim17ROCPRIM_400000_NS6detail17trampoline_kernelINS0_14default_configENS1_29reduce_by_key_config_selectorIjiN6thrust23THRUST_200600_302600_NS4plusIiEEEEZZNS1_33reduce_by_key_impl_wrapped_configILNS1_25lookback_scan_determinismE0ES3_S9_NS6_6detail15normal_iteratorINS6_10device_ptrIjEEEENSD_INSE_IiEEEENS6_16discard_iteratorINS6_11use_defaultEEESI_PmS8_NS6_8equal_toIjEEEE10hipError_tPvRmT2_T3_mT4_T5_T6_T7_T8_P12ihipStream_tbENKUlT_T0_E_clISt17integral_constantIbLb0EES16_EEDaS11_S12_EUlS11_E_NS1_11comp_targetILNS1_3genE10ELNS1_11target_archE1200ELNS1_3gpuE4ELNS1_3repE0EEENS1_30default_config_static_selectorELNS0_4arch9wavefront6targetE0EEEvT1_
	.globl	_ZN7rocprim17ROCPRIM_400000_NS6detail17trampoline_kernelINS0_14default_configENS1_29reduce_by_key_config_selectorIjiN6thrust23THRUST_200600_302600_NS4plusIiEEEEZZNS1_33reduce_by_key_impl_wrapped_configILNS1_25lookback_scan_determinismE0ES3_S9_NS6_6detail15normal_iteratorINS6_10device_ptrIjEEEENSD_INSE_IiEEEENS6_16discard_iteratorINS6_11use_defaultEEESI_PmS8_NS6_8equal_toIjEEEE10hipError_tPvRmT2_T3_mT4_T5_T6_T7_T8_P12ihipStream_tbENKUlT_T0_E_clISt17integral_constantIbLb0EES16_EEDaS11_S12_EUlS11_E_NS1_11comp_targetILNS1_3genE10ELNS1_11target_archE1200ELNS1_3gpuE4ELNS1_3repE0EEENS1_30default_config_static_selectorELNS0_4arch9wavefront6targetE0EEEvT1_
	.p2align	8
	.type	_ZN7rocprim17ROCPRIM_400000_NS6detail17trampoline_kernelINS0_14default_configENS1_29reduce_by_key_config_selectorIjiN6thrust23THRUST_200600_302600_NS4plusIiEEEEZZNS1_33reduce_by_key_impl_wrapped_configILNS1_25lookback_scan_determinismE0ES3_S9_NS6_6detail15normal_iteratorINS6_10device_ptrIjEEEENSD_INSE_IiEEEENS6_16discard_iteratorINS6_11use_defaultEEESI_PmS8_NS6_8equal_toIjEEEE10hipError_tPvRmT2_T3_mT4_T5_T6_T7_T8_P12ihipStream_tbENKUlT_T0_E_clISt17integral_constantIbLb0EES16_EEDaS11_S12_EUlS11_E_NS1_11comp_targetILNS1_3genE10ELNS1_11target_archE1200ELNS1_3gpuE4ELNS1_3repE0EEENS1_30default_config_static_selectorELNS0_4arch9wavefront6targetE0EEEvT1_,@function
_ZN7rocprim17ROCPRIM_400000_NS6detail17trampoline_kernelINS0_14default_configENS1_29reduce_by_key_config_selectorIjiN6thrust23THRUST_200600_302600_NS4plusIiEEEEZZNS1_33reduce_by_key_impl_wrapped_configILNS1_25lookback_scan_determinismE0ES3_S9_NS6_6detail15normal_iteratorINS6_10device_ptrIjEEEENSD_INSE_IiEEEENS6_16discard_iteratorINS6_11use_defaultEEESI_PmS8_NS6_8equal_toIjEEEE10hipError_tPvRmT2_T3_mT4_T5_T6_T7_T8_P12ihipStream_tbENKUlT_T0_E_clISt17integral_constantIbLb0EES16_EEDaS11_S12_EUlS11_E_NS1_11comp_targetILNS1_3genE10ELNS1_11target_archE1200ELNS1_3gpuE4ELNS1_3repE0EEENS1_30default_config_static_selectorELNS0_4arch9wavefront6targetE0EEEvT1_: ; @_ZN7rocprim17ROCPRIM_400000_NS6detail17trampoline_kernelINS0_14default_configENS1_29reduce_by_key_config_selectorIjiN6thrust23THRUST_200600_302600_NS4plusIiEEEEZZNS1_33reduce_by_key_impl_wrapped_configILNS1_25lookback_scan_determinismE0ES3_S9_NS6_6detail15normal_iteratorINS6_10device_ptrIjEEEENSD_INSE_IiEEEENS6_16discard_iteratorINS6_11use_defaultEEESI_PmS8_NS6_8equal_toIjEEEE10hipError_tPvRmT2_T3_mT4_T5_T6_T7_T8_P12ihipStream_tbENKUlT_T0_E_clISt17integral_constantIbLb0EES16_EEDaS11_S12_EUlS11_E_NS1_11comp_targetILNS1_3genE10ELNS1_11target_archE1200ELNS1_3gpuE4ELNS1_3repE0EEENS1_30default_config_static_selectorELNS0_4arch9wavefront6targetE0EEEvT1_
; %bb.0:
	.section	.rodata,"a",@progbits
	.p2align	6, 0x0
	.amdhsa_kernel _ZN7rocprim17ROCPRIM_400000_NS6detail17trampoline_kernelINS0_14default_configENS1_29reduce_by_key_config_selectorIjiN6thrust23THRUST_200600_302600_NS4plusIiEEEEZZNS1_33reduce_by_key_impl_wrapped_configILNS1_25lookback_scan_determinismE0ES3_S9_NS6_6detail15normal_iteratorINS6_10device_ptrIjEEEENSD_INSE_IiEEEENS6_16discard_iteratorINS6_11use_defaultEEESI_PmS8_NS6_8equal_toIjEEEE10hipError_tPvRmT2_T3_mT4_T5_T6_T7_T8_P12ihipStream_tbENKUlT_T0_E_clISt17integral_constantIbLb0EES16_EEDaS11_S12_EUlS11_E_NS1_11comp_targetILNS1_3genE10ELNS1_11target_archE1200ELNS1_3gpuE4ELNS1_3repE0EEENS1_30default_config_static_selectorELNS0_4arch9wavefront6targetE0EEEvT1_
		.amdhsa_group_segment_fixed_size 0
		.amdhsa_private_segment_fixed_size 0
		.amdhsa_kernarg_size 128
		.amdhsa_user_sgpr_count 15
		.amdhsa_user_sgpr_dispatch_ptr 0
		.amdhsa_user_sgpr_queue_ptr 0
		.amdhsa_user_sgpr_kernarg_segment_ptr 1
		.amdhsa_user_sgpr_dispatch_id 0
		.amdhsa_user_sgpr_private_segment_size 0
		.amdhsa_wavefront_size32 1
		.amdhsa_uses_dynamic_stack 0
		.amdhsa_enable_private_segment 0
		.amdhsa_system_sgpr_workgroup_id_x 1
		.amdhsa_system_sgpr_workgroup_id_y 0
		.amdhsa_system_sgpr_workgroup_id_z 0
		.amdhsa_system_sgpr_workgroup_info 0
		.amdhsa_system_vgpr_workitem_id 0
		.amdhsa_next_free_vgpr 1
		.amdhsa_next_free_sgpr 1
		.amdhsa_reserve_vcc 0
		.amdhsa_float_round_mode_32 0
		.amdhsa_float_round_mode_16_64 0
		.amdhsa_float_denorm_mode_32 3
		.amdhsa_float_denorm_mode_16_64 3
		.amdhsa_dx10_clamp 1
		.amdhsa_ieee_mode 1
		.amdhsa_fp16_overflow 0
		.amdhsa_workgroup_processor_mode 1
		.amdhsa_memory_ordered 1
		.amdhsa_forward_progress 0
		.amdhsa_shared_vgpr_count 0
		.amdhsa_exception_fp_ieee_invalid_op 0
		.amdhsa_exception_fp_denorm_src 0
		.amdhsa_exception_fp_ieee_div_zero 0
		.amdhsa_exception_fp_ieee_overflow 0
		.amdhsa_exception_fp_ieee_underflow 0
		.amdhsa_exception_fp_ieee_inexact 0
		.amdhsa_exception_int_div_zero 0
	.end_amdhsa_kernel
	.section	.text._ZN7rocprim17ROCPRIM_400000_NS6detail17trampoline_kernelINS0_14default_configENS1_29reduce_by_key_config_selectorIjiN6thrust23THRUST_200600_302600_NS4plusIiEEEEZZNS1_33reduce_by_key_impl_wrapped_configILNS1_25lookback_scan_determinismE0ES3_S9_NS6_6detail15normal_iteratorINS6_10device_ptrIjEEEENSD_INSE_IiEEEENS6_16discard_iteratorINS6_11use_defaultEEESI_PmS8_NS6_8equal_toIjEEEE10hipError_tPvRmT2_T3_mT4_T5_T6_T7_T8_P12ihipStream_tbENKUlT_T0_E_clISt17integral_constantIbLb0EES16_EEDaS11_S12_EUlS11_E_NS1_11comp_targetILNS1_3genE10ELNS1_11target_archE1200ELNS1_3gpuE4ELNS1_3repE0EEENS1_30default_config_static_selectorELNS0_4arch9wavefront6targetE0EEEvT1_,"axG",@progbits,_ZN7rocprim17ROCPRIM_400000_NS6detail17trampoline_kernelINS0_14default_configENS1_29reduce_by_key_config_selectorIjiN6thrust23THRUST_200600_302600_NS4plusIiEEEEZZNS1_33reduce_by_key_impl_wrapped_configILNS1_25lookback_scan_determinismE0ES3_S9_NS6_6detail15normal_iteratorINS6_10device_ptrIjEEEENSD_INSE_IiEEEENS6_16discard_iteratorINS6_11use_defaultEEESI_PmS8_NS6_8equal_toIjEEEE10hipError_tPvRmT2_T3_mT4_T5_T6_T7_T8_P12ihipStream_tbENKUlT_T0_E_clISt17integral_constantIbLb0EES16_EEDaS11_S12_EUlS11_E_NS1_11comp_targetILNS1_3genE10ELNS1_11target_archE1200ELNS1_3gpuE4ELNS1_3repE0EEENS1_30default_config_static_selectorELNS0_4arch9wavefront6targetE0EEEvT1_,comdat
.Lfunc_end1027:
	.size	_ZN7rocprim17ROCPRIM_400000_NS6detail17trampoline_kernelINS0_14default_configENS1_29reduce_by_key_config_selectorIjiN6thrust23THRUST_200600_302600_NS4plusIiEEEEZZNS1_33reduce_by_key_impl_wrapped_configILNS1_25lookback_scan_determinismE0ES3_S9_NS6_6detail15normal_iteratorINS6_10device_ptrIjEEEENSD_INSE_IiEEEENS6_16discard_iteratorINS6_11use_defaultEEESI_PmS8_NS6_8equal_toIjEEEE10hipError_tPvRmT2_T3_mT4_T5_T6_T7_T8_P12ihipStream_tbENKUlT_T0_E_clISt17integral_constantIbLb0EES16_EEDaS11_S12_EUlS11_E_NS1_11comp_targetILNS1_3genE10ELNS1_11target_archE1200ELNS1_3gpuE4ELNS1_3repE0EEENS1_30default_config_static_selectorELNS0_4arch9wavefront6targetE0EEEvT1_, .Lfunc_end1027-_ZN7rocprim17ROCPRIM_400000_NS6detail17trampoline_kernelINS0_14default_configENS1_29reduce_by_key_config_selectorIjiN6thrust23THRUST_200600_302600_NS4plusIiEEEEZZNS1_33reduce_by_key_impl_wrapped_configILNS1_25lookback_scan_determinismE0ES3_S9_NS6_6detail15normal_iteratorINS6_10device_ptrIjEEEENSD_INSE_IiEEEENS6_16discard_iteratorINS6_11use_defaultEEESI_PmS8_NS6_8equal_toIjEEEE10hipError_tPvRmT2_T3_mT4_T5_T6_T7_T8_P12ihipStream_tbENKUlT_T0_E_clISt17integral_constantIbLb0EES16_EEDaS11_S12_EUlS11_E_NS1_11comp_targetILNS1_3genE10ELNS1_11target_archE1200ELNS1_3gpuE4ELNS1_3repE0EEENS1_30default_config_static_selectorELNS0_4arch9wavefront6targetE0EEEvT1_
                                        ; -- End function
	.section	.AMDGPU.csdata,"",@progbits
; Kernel info:
; codeLenInByte = 0
; NumSgprs: 0
; NumVgprs: 0
; ScratchSize: 0
; MemoryBound: 0
; FloatMode: 240
; IeeeMode: 1
; LDSByteSize: 0 bytes/workgroup (compile time only)
; SGPRBlocks: 0
; VGPRBlocks: 0
; NumSGPRsForWavesPerEU: 1
; NumVGPRsForWavesPerEU: 1
; Occupancy: 16
; WaveLimiterHint : 0
; COMPUTE_PGM_RSRC2:SCRATCH_EN: 0
; COMPUTE_PGM_RSRC2:USER_SGPR: 15
; COMPUTE_PGM_RSRC2:TRAP_HANDLER: 0
; COMPUTE_PGM_RSRC2:TGID_X_EN: 1
; COMPUTE_PGM_RSRC2:TGID_Y_EN: 0
; COMPUTE_PGM_RSRC2:TGID_Z_EN: 0
; COMPUTE_PGM_RSRC2:TIDIG_COMP_CNT: 0
	.section	.text._ZN7rocprim17ROCPRIM_400000_NS6detail17trampoline_kernelINS0_14default_configENS1_29reduce_by_key_config_selectorIjiN6thrust23THRUST_200600_302600_NS4plusIiEEEEZZNS1_33reduce_by_key_impl_wrapped_configILNS1_25lookback_scan_determinismE0ES3_S9_NS6_6detail15normal_iteratorINS6_10device_ptrIjEEEENSD_INSE_IiEEEENS6_16discard_iteratorINS6_11use_defaultEEESI_PmS8_NS6_8equal_toIjEEEE10hipError_tPvRmT2_T3_mT4_T5_T6_T7_T8_P12ihipStream_tbENKUlT_T0_E_clISt17integral_constantIbLb0EES16_EEDaS11_S12_EUlS11_E_NS1_11comp_targetILNS1_3genE9ELNS1_11target_archE1100ELNS1_3gpuE3ELNS1_3repE0EEENS1_30default_config_static_selectorELNS0_4arch9wavefront6targetE0EEEvT1_,"axG",@progbits,_ZN7rocprim17ROCPRIM_400000_NS6detail17trampoline_kernelINS0_14default_configENS1_29reduce_by_key_config_selectorIjiN6thrust23THRUST_200600_302600_NS4plusIiEEEEZZNS1_33reduce_by_key_impl_wrapped_configILNS1_25lookback_scan_determinismE0ES3_S9_NS6_6detail15normal_iteratorINS6_10device_ptrIjEEEENSD_INSE_IiEEEENS6_16discard_iteratorINS6_11use_defaultEEESI_PmS8_NS6_8equal_toIjEEEE10hipError_tPvRmT2_T3_mT4_T5_T6_T7_T8_P12ihipStream_tbENKUlT_T0_E_clISt17integral_constantIbLb0EES16_EEDaS11_S12_EUlS11_E_NS1_11comp_targetILNS1_3genE9ELNS1_11target_archE1100ELNS1_3gpuE3ELNS1_3repE0EEENS1_30default_config_static_selectorELNS0_4arch9wavefront6targetE0EEEvT1_,comdat
	.protected	_ZN7rocprim17ROCPRIM_400000_NS6detail17trampoline_kernelINS0_14default_configENS1_29reduce_by_key_config_selectorIjiN6thrust23THRUST_200600_302600_NS4plusIiEEEEZZNS1_33reduce_by_key_impl_wrapped_configILNS1_25lookback_scan_determinismE0ES3_S9_NS6_6detail15normal_iteratorINS6_10device_ptrIjEEEENSD_INSE_IiEEEENS6_16discard_iteratorINS6_11use_defaultEEESI_PmS8_NS6_8equal_toIjEEEE10hipError_tPvRmT2_T3_mT4_T5_T6_T7_T8_P12ihipStream_tbENKUlT_T0_E_clISt17integral_constantIbLb0EES16_EEDaS11_S12_EUlS11_E_NS1_11comp_targetILNS1_3genE9ELNS1_11target_archE1100ELNS1_3gpuE3ELNS1_3repE0EEENS1_30default_config_static_selectorELNS0_4arch9wavefront6targetE0EEEvT1_ ; -- Begin function _ZN7rocprim17ROCPRIM_400000_NS6detail17trampoline_kernelINS0_14default_configENS1_29reduce_by_key_config_selectorIjiN6thrust23THRUST_200600_302600_NS4plusIiEEEEZZNS1_33reduce_by_key_impl_wrapped_configILNS1_25lookback_scan_determinismE0ES3_S9_NS6_6detail15normal_iteratorINS6_10device_ptrIjEEEENSD_INSE_IiEEEENS6_16discard_iteratorINS6_11use_defaultEEESI_PmS8_NS6_8equal_toIjEEEE10hipError_tPvRmT2_T3_mT4_T5_T6_T7_T8_P12ihipStream_tbENKUlT_T0_E_clISt17integral_constantIbLb0EES16_EEDaS11_S12_EUlS11_E_NS1_11comp_targetILNS1_3genE9ELNS1_11target_archE1100ELNS1_3gpuE3ELNS1_3repE0EEENS1_30default_config_static_selectorELNS0_4arch9wavefront6targetE0EEEvT1_
	.globl	_ZN7rocprim17ROCPRIM_400000_NS6detail17trampoline_kernelINS0_14default_configENS1_29reduce_by_key_config_selectorIjiN6thrust23THRUST_200600_302600_NS4plusIiEEEEZZNS1_33reduce_by_key_impl_wrapped_configILNS1_25lookback_scan_determinismE0ES3_S9_NS6_6detail15normal_iteratorINS6_10device_ptrIjEEEENSD_INSE_IiEEEENS6_16discard_iteratorINS6_11use_defaultEEESI_PmS8_NS6_8equal_toIjEEEE10hipError_tPvRmT2_T3_mT4_T5_T6_T7_T8_P12ihipStream_tbENKUlT_T0_E_clISt17integral_constantIbLb0EES16_EEDaS11_S12_EUlS11_E_NS1_11comp_targetILNS1_3genE9ELNS1_11target_archE1100ELNS1_3gpuE3ELNS1_3repE0EEENS1_30default_config_static_selectorELNS0_4arch9wavefront6targetE0EEEvT1_
	.p2align	8
	.type	_ZN7rocprim17ROCPRIM_400000_NS6detail17trampoline_kernelINS0_14default_configENS1_29reduce_by_key_config_selectorIjiN6thrust23THRUST_200600_302600_NS4plusIiEEEEZZNS1_33reduce_by_key_impl_wrapped_configILNS1_25lookback_scan_determinismE0ES3_S9_NS6_6detail15normal_iteratorINS6_10device_ptrIjEEEENSD_INSE_IiEEEENS6_16discard_iteratorINS6_11use_defaultEEESI_PmS8_NS6_8equal_toIjEEEE10hipError_tPvRmT2_T3_mT4_T5_T6_T7_T8_P12ihipStream_tbENKUlT_T0_E_clISt17integral_constantIbLb0EES16_EEDaS11_S12_EUlS11_E_NS1_11comp_targetILNS1_3genE9ELNS1_11target_archE1100ELNS1_3gpuE3ELNS1_3repE0EEENS1_30default_config_static_selectorELNS0_4arch9wavefront6targetE0EEEvT1_,@function
_ZN7rocprim17ROCPRIM_400000_NS6detail17trampoline_kernelINS0_14default_configENS1_29reduce_by_key_config_selectorIjiN6thrust23THRUST_200600_302600_NS4plusIiEEEEZZNS1_33reduce_by_key_impl_wrapped_configILNS1_25lookback_scan_determinismE0ES3_S9_NS6_6detail15normal_iteratorINS6_10device_ptrIjEEEENSD_INSE_IiEEEENS6_16discard_iteratorINS6_11use_defaultEEESI_PmS8_NS6_8equal_toIjEEEE10hipError_tPvRmT2_T3_mT4_T5_T6_T7_T8_P12ihipStream_tbENKUlT_T0_E_clISt17integral_constantIbLb0EES16_EEDaS11_S12_EUlS11_E_NS1_11comp_targetILNS1_3genE9ELNS1_11target_archE1100ELNS1_3gpuE3ELNS1_3repE0EEENS1_30default_config_static_selectorELNS0_4arch9wavefront6targetE0EEEvT1_: ; @_ZN7rocprim17ROCPRIM_400000_NS6detail17trampoline_kernelINS0_14default_configENS1_29reduce_by_key_config_selectorIjiN6thrust23THRUST_200600_302600_NS4plusIiEEEEZZNS1_33reduce_by_key_impl_wrapped_configILNS1_25lookback_scan_determinismE0ES3_S9_NS6_6detail15normal_iteratorINS6_10device_ptrIjEEEENSD_INSE_IiEEEENS6_16discard_iteratorINS6_11use_defaultEEESI_PmS8_NS6_8equal_toIjEEEE10hipError_tPvRmT2_T3_mT4_T5_T6_T7_T8_P12ihipStream_tbENKUlT_T0_E_clISt17integral_constantIbLb0EES16_EEDaS11_S12_EUlS11_E_NS1_11comp_targetILNS1_3genE9ELNS1_11target_archE1100ELNS1_3gpuE3ELNS1_3repE0EEENS1_30default_config_static_selectorELNS0_4arch9wavefront6targetE0EEEvT1_
; %bb.0:
	s_clause 0x4
	s_load_b128 s[4:7], s[0:1], 0x0
	s_load_b256 s[20:27], s[0:1], 0x40
	s_load_b64 s[8:9], s[0:1], 0x10
	s_load_b64 s[18:19], s[0:1], 0x70
	s_load_b128 s[28:31], s[0:1], 0x60
	s_mov_b32 s3, 0
	s_mul_i32 s2, s15, 0xf00
	s_waitcnt lgkmcnt(0)
	s_lshl_b64 s[6:7], s[6:7], 2
	s_mul_i32 s10, s24, s23
	s_add_u32 s14, s4, s6
	s_mul_hi_u32 s11, s24, s22
	s_addc_u32 s16, s5, s7
	s_add_u32 s6, s8, s6
	s_mul_i32 s12, s25, s22
	s_addc_u32 s7, s9, s7
	s_add_i32 s8, s11, s10
	s_lshl_b64 s[4:5], s[2:3], 2
	s_add_i32 s8, s8, s12
	s_add_u32 s38, s14, s4
	s_addc_u32 s37, s16, s5
	s_mul_i32 s13, s24, s22
	s_add_u32 s24, s6, s4
	s_addc_u32 s25, s7, s5
	s_add_u32 s34, s13, s15
	s_addc_u32 s35, s8, 0
	s_add_u32 s4, s26, -1
	s_addc_u32 s5, s27, -1
	s_mul_i32 s33, s4, 0xfffff100
	s_cmp_eq_u64 s[34:35], s[4:5]
	s_cselect_b32 s17, -1, 0
	s_cmp_lg_u64 s[34:35], s[4:5]
	s_cselect_b32 s39, -1, 0
	s_and_b32 vcc_lo, exec_lo, s17
	s_cbranch_vccnz .LBB1028_2
; %bb.1:
	v_lshlrev_b32_e32 v8, 2, v0
	s_delay_alu instid0(VALU_DEP_1) | instskip(NEXT) | instid1(VALU_DEP_1)
	v_add_co_u32 v1, s2, s38, v8
	v_add_co_ci_u32_e64 v2, null, s37, 0, s2
	s_delay_alu instid0(VALU_DEP_2) | instskip(NEXT) | instid1(VALU_DEP_2)
	v_add_co_u32 v3, vcc_lo, 0x1000, v1
	v_add_co_ci_u32_e32 v4, vcc_lo, 0, v2, vcc_lo
	s_clause 0x7
	flat_load_b32 v9, v[1:2]
	flat_load_b32 v10, v[1:2] offset:1024
	flat_load_b32 v11, v[1:2] offset:2048
	;; [unrolled: 1-line block ×3, first 2 shown]
	flat_load_b32 v13, v[3:4]
	flat_load_b32 v14, v[3:4] offset:1024
	flat_load_b32 v15, v[3:4] offset:2048
	flat_load_b32 v16, v[3:4] offset:3072
	v_add_co_u32 v3, vcc_lo, 0x2000, v1
	v_add_co_ci_u32_e32 v4, vcc_lo, 0, v2, vcc_lo
	v_add_co_u32 v1, vcc_lo, 0x3000, v1
	v_add_co_ci_u32_e32 v2, vcc_lo, 0, v2, vcc_lo
	s_clause 0x6
	flat_load_b32 v17, v[3:4]
	flat_load_b32 v18, v[3:4] offset:1024
	flat_load_b32 v19, v[3:4] offset:2048
	;; [unrolled: 1-line block ×3, first 2 shown]
	flat_load_b32 v21, v[1:2]
	flat_load_b32 v22, v[1:2] offset:1024
	flat_load_b32 v25, v[1:2] offset:2048
	v_add_co_u32 v2, s2, s24, v8
	s_delay_alu instid0(VALU_DEP_1) | instskip(SKIP_1) | instid1(VALU_DEP_3)
	v_add_co_ci_u32_e64 v3, null, s25, 0, s2
	v_mad_u32_u24 v1, v0, 56, v8
	v_add_co_u32 v4, vcc_lo, 0x1000, v2
	s_delay_alu instid0(VALU_DEP_3)
	v_add_co_ci_u32_e32 v5, vcc_lo, 0, v3, vcc_lo
	v_add_co_u32 v6, vcc_lo, 0x2000, v2
	v_add_co_ci_u32_e32 v7, vcc_lo, 0, v3, vcc_lo
	v_add_co_u32 v23, vcc_lo, 0x3000, v2
	v_add_co_ci_u32_e32 v24, vcc_lo, 0, v3, vcc_lo
	s_waitcnt vmcnt(13) lgkmcnt(13)
	ds_store_2addr_stride64_b32 v8, v9, v10 offset1:4
	s_waitcnt vmcnt(11) lgkmcnt(12)
	ds_store_2addr_stride64_b32 v8, v11, v12 offset0:8 offset1:12
	s_waitcnt vmcnt(9) lgkmcnt(11)
	ds_store_2addr_stride64_b32 v8, v13, v14 offset0:16 offset1:20
	;; [unrolled: 2-line block ×6, first 2 shown]
	s_waitcnt vmcnt(0) lgkmcnt(7)
	ds_store_b32 v8, v25 offset:14336
	s_waitcnt lgkmcnt(0)
	s_barrier
	buffer_gl0_inv
	ds_load_2addr_b32 v[21:22], v1 offset1:1
	ds_load_2addr_b32 v[19:20], v1 offset0:2 offset1:3
	ds_load_2addr_b32 v[17:18], v1 offset0:4 offset1:5
	;; [unrolled: 1-line block ×6, first 2 shown]
	ds_load_b32 v63, v1 offset:56
	s_waitcnt lgkmcnt(0)
	s_barrier
	buffer_gl0_inv
	s_clause 0xe
	flat_load_b32 v25, v[2:3]
	flat_load_b32 v26, v[2:3] offset:1024
	flat_load_b32 v27, v[2:3] offset:2048
	flat_load_b32 v2, v[2:3] offset:3072
	flat_load_b32 v3, v[4:5]
	flat_load_b32 v28, v[4:5] offset:1024
	flat_load_b32 v29, v[4:5] offset:2048
	flat_load_b32 v4, v[4:5] offset:3072
	;; [unrolled: 4-line block ×3, first 2 shown]
	flat_load_b32 v7, v[23:24]
	flat_load_b32 v32, v[23:24] offset:1024
	flat_load_b32 v23, v[23:24] offset:2048
	s_waitcnt vmcnt(13) lgkmcnt(13)
	ds_store_2addr_stride64_b32 v8, v25, v26 offset1:4
	s_waitcnt vmcnt(11) lgkmcnt(12)
	ds_store_2addr_stride64_b32 v8, v27, v2 offset0:8 offset1:12
	s_waitcnt vmcnt(9) lgkmcnt(11)
	ds_store_2addr_stride64_b32 v8, v3, v28 offset0:16 offset1:20
	;; [unrolled: 2-line block ×6, first 2 shown]
	s_waitcnt vmcnt(0) lgkmcnt(7)
	ds_store_b32 v8, v23 offset:14336
	s_waitcnt lgkmcnt(0)
	s_barrier
	s_and_not1_b32 vcc_lo, exec_lo, s3
	s_add_i32 s33, s33, s28
	s_cbranch_vccz .LBB1028_3
	s_branch .LBB1028_50
.LBB1028_2:
                                        ; implicit-def: $vgpr1
                                        ; implicit-def: $vgpr21
                                        ; implicit-def: $vgpr19
                                        ; implicit-def: $vgpr17
                                        ; implicit-def: $vgpr15
                                        ; implicit-def: $vgpr13
                                        ; implicit-def: $vgpr11
                                        ; implicit-def: $vgpr9
                                        ; implicit-def: $vgpr63
	s_add_i32 s33, s33, s28
.LBB1028_3:
	s_delay_alu instid0(SALU_CYCLE_1)
	v_cmp_gt_u32_e32 vcc_lo, s33, v0
                                        ; implicit-def: $vgpr1
	s_and_saveexec_b32 s2, vcc_lo
	s_cbranch_execz .LBB1028_5
; %bb.4:
	v_lshlrev_b32_e32 v1, 2, v0
	s_delay_alu instid0(VALU_DEP_1) | instskip(NEXT) | instid1(VALU_DEP_1)
	v_add_co_u32 v1, s3, s38, v1
	v_add_co_ci_u32_e64 v2, null, s37, 0, s3
	flat_load_b32 v1, v[1:2]
.LBB1028_5:
	s_or_b32 exec_lo, exec_lo, s2
	v_or_b32_e32 v2, 0x100, v0
                                        ; implicit-def: $vgpr9
	s_delay_alu instid0(VALU_DEP_1) | instskip(NEXT) | instid1(VALU_DEP_1)
	v_cmp_gt_u32_e64 s2, s33, v2
	s_and_saveexec_b32 s3, s2
	s_cbranch_execz .LBB1028_7
; %bb.6:
	v_lshlrev_b32_e32 v2, 2, v0
	s_delay_alu instid0(VALU_DEP_1) | instskip(NEXT) | instid1(VALU_DEP_1)
	v_add_co_u32 v2, s4, s38, v2
	v_add_co_ci_u32_e64 v3, null, s37, 0, s4
	flat_load_b32 v9, v[2:3] offset:1024
.LBB1028_7:
	s_or_b32 exec_lo, exec_lo, s3
	v_or_b32_e32 v2, 0x200, v0
                                        ; implicit-def: $vgpr10
	s_delay_alu instid0(VALU_DEP_1) | instskip(NEXT) | instid1(VALU_DEP_1)
	v_cmp_gt_u32_e64 s3, s33, v2
	s_and_saveexec_b32 s4, s3
	s_cbranch_execz .LBB1028_9
; %bb.8:
	v_lshlrev_b32_e32 v2, 2, v0
	s_delay_alu instid0(VALU_DEP_1) | instskip(NEXT) | instid1(VALU_DEP_1)
	v_add_co_u32 v2, s5, s38, v2
	v_add_co_ci_u32_e64 v3, null, s37, 0, s5
	flat_load_b32 v10, v[2:3] offset:2048
.LBB1028_9:
	s_or_b32 exec_lo, exec_lo, s4
	v_or_b32_e32 v2, 0x300, v0
                                        ; implicit-def: $vgpr11
	s_delay_alu instid0(VALU_DEP_1) | instskip(NEXT) | instid1(VALU_DEP_1)
	v_cmp_gt_u32_e64 s4, s33, v2
	s_and_saveexec_b32 s5, s4
	s_cbranch_execz .LBB1028_11
; %bb.10:
	v_lshlrev_b32_e32 v2, 2, v0
	s_delay_alu instid0(VALU_DEP_1) | instskip(NEXT) | instid1(VALU_DEP_1)
	v_add_co_u32 v2, s6, s38, v2
	v_add_co_ci_u32_e64 v3, null, s37, 0, s6
	flat_load_b32 v11, v[2:3] offset:3072
.LBB1028_11:
	s_or_b32 exec_lo, exec_lo, s5
	v_or_b32_e32 v2, 0x400, v0
                                        ; implicit-def: $vgpr12
	s_delay_alu instid0(VALU_DEP_1) | instskip(SKIP_1) | instid1(VALU_DEP_2)
	v_cmp_gt_u32_e64 s5, s33, v2
	v_lshlrev_b32_e32 v2, 2, v2
	s_and_saveexec_b32 s6, s5
	s_cbranch_execz .LBB1028_13
; %bb.12:
	s_delay_alu instid0(VALU_DEP_1) | instskip(NEXT) | instid1(VALU_DEP_1)
	v_add_co_u32 v3, s7, s38, v2
	v_add_co_ci_u32_e64 v4, null, s37, 0, s7
	flat_load_b32 v12, v[3:4]
.LBB1028_13:
	s_or_b32 exec_lo, exec_lo, s6
	v_or_b32_e32 v3, 0x500, v0
                                        ; implicit-def: $vgpr13
	s_delay_alu instid0(VALU_DEP_1) | instskip(SKIP_1) | instid1(VALU_DEP_2)
	v_cmp_gt_u32_e64 s6, s33, v3
	v_lshlrev_b32_e32 v3, 2, v3
	s_and_saveexec_b32 s7, s6
	s_cbranch_execz .LBB1028_15
; %bb.14:
	s_delay_alu instid0(VALU_DEP_1) | instskip(NEXT) | instid1(VALU_DEP_1)
	v_add_co_u32 v4, s8, s38, v3
	v_add_co_ci_u32_e64 v5, null, s37, 0, s8
	flat_load_b32 v13, v[4:5]
.LBB1028_15:
	s_or_b32 exec_lo, exec_lo, s7
	v_or_b32_e32 v4, 0x600, v0
                                        ; implicit-def: $vgpr14
	s_delay_alu instid0(VALU_DEP_1) | instskip(SKIP_1) | instid1(VALU_DEP_2)
	v_cmp_gt_u32_e64 s7, s33, v4
	v_lshlrev_b32_e32 v4, 2, v4
	s_and_saveexec_b32 s8, s7
	s_cbranch_execz .LBB1028_17
; %bb.16:
	s_delay_alu instid0(VALU_DEP_1) | instskip(NEXT) | instid1(VALU_DEP_1)
	v_add_co_u32 v5, s9, s38, v4
	v_add_co_ci_u32_e64 v6, null, s37, 0, s9
	flat_load_b32 v14, v[5:6]
.LBB1028_17:
	s_or_b32 exec_lo, exec_lo, s8
	v_or_b32_e32 v5, 0x700, v0
                                        ; implicit-def: $vgpr15
	s_delay_alu instid0(VALU_DEP_1) | instskip(SKIP_1) | instid1(VALU_DEP_2)
	v_cmp_gt_u32_e64 s8, s33, v5
	v_lshlrev_b32_e32 v5, 2, v5
	s_and_saveexec_b32 s9, s8
	s_cbranch_execz .LBB1028_19
; %bb.18:
	s_delay_alu instid0(VALU_DEP_1) | instskip(NEXT) | instid1(VALU_DEP_1)
	v_add_co_u32 v6, s10, s38, v5
	v_add_co_ci_u32_e64 v7, null, s37, 0, s10
	flat_load_b32 v15, v[6:7]
.LBB1028_19:
	s_or_b32 exec_lo, exec_lo, s9
	v_or_b32_e32 v6, 0x800, v0
                                        ; implicit-def: $vgpr16
	s_delay_alu instid0(VALU_DEP_1) | instskip(SKIP_1) | instid1(VALU_DEP_2)
	v_cmp_gt_u32_e64 s9, s33, v6
	v_lshlrev_b32_e32 v6, 2, v6
	s_and_saveexec_b32 s10, s9
	s_cbranch_execz .LBB1028_21
; %bb.20:
	s_delay_alu instid0(VALU_DEP_1) | instskip(NEXT) | instid1(VALU_DEP_1)
	v_add_co_u32 v7, s11, s38, v6
	v_add_co_ci_u32_e64 v8, null, s37, 0, s11
	flat_load_b32 v16, v[7:8]
.LBB1028_21:
	s_or_b32 exec_lo, exec_lo, s10
	v_or_b32_e32 v7, 0x900, v0
                                        ; implicit-def: $vgpr17
	s_delay_alu instid0(VALU_DEP_1) | instskip(SKIP_1) | instid1(VALU_DEP_2)
	v_cmp_gt_u32_e64 s10, s33, v7
	v_lshlrev_b32_e32 v7, 2, v7
	s_and_saveexec_b32 s11, s10
	s_cbranch_execz .LBB1028_23
; %bb.22:
	s_delay_alu instid0(VALU_DEP_1) | instskip(NEXT) | instid1(VALU_DEP_1)
	v_add_co_u32 v17, s12, s38, v7
	v_add_co_ci_u32_e64 v18, null, s37, 0, s12
	flat_load_b32 v17, v[17:18]
.LBB1028_23:
	s_or_b32 exec_lo, exec_lo, s11
	v_or_b32_e32 v8, 0xa00, v0
                                        ; implicit-def: $vgpr18
	s_delay_alu instid0(VALU_DEP_1) | instskip(SKIP_1) | instid1(VALU_DEP_2)
	v_cmp_gt_u32_e64 s11, s33, v8
	v_lshlrev_b32_e32 v23, 2, v8
	s_and_saveexec_b32 s12, s11
	s_cbranch_execz .LBB1028_25
; %bb.24:
	s_delay_alu instid0(VALU_DEP_1) | instskip(NEXT) | instid1(VALU_DEP_1)
	v_add_co_u32 v18, s13, s38, v23
	v_add_co_ci_u32_e64 v19, null, s37, 0, s13
	flat_load_b32 v18, v[18:19]
.LBB1028_25:
	s_or_b32 exec_lo, exec_lo, s12
	v_or_b32_e32 v8, 0xb00, v0
                                        ; implicit-def: $vgpr19
	s_delay_alu instid0(VALU_DEP_1) | instskip(SKIP_1) | instid1(VALU_DEP_2)
	v_cmp_gt_u32_e64 s12, s33, v8
	v_lshlrev_b32_e32 v24, 2, v8
	s_and_saveexec_b32 s13, s12
	s_cbranch_execz .LBB1028_27
; %bb.26:
	s_delay_alu instid0(VALU_DEP_1) | instskip(NEXT) | instid1(VALU_DEP_1)
	v_add_co_u32 v19, s14, s38, v24
	v_add_co_ci_u32_e64 v20, null, s37, 0, s14
	flat_load_b32 v19, v[19:20]
.LBB1028_27:
	s_or_b32 exec_lo, exec_lo, s13
	v_or_b32_e32 v8, 0xc00, v0
                                        ; implicit-def: $vgpr20
	s_delay_alu instid0(VALU_DEP_1) | instskip(SKIP_1) | instid1(VALU_DEP_2)
	v_cmp_gt_u32_e64 s13, s33, v8
	v_lshlrev_b32_e32 v25, 2, v8
	s_and_saveexec_b32 s14, s13
	s_cbranch_execz .LBB1028_29
; %bb.28:
	s_delay_alu instid0(VALU_DEP_1) | instskip(NEXT) | instid1(VALU_DEP_1)
	v_add_co_u32 v20, s16, s38, v25
	v_add_co_ci_u32_e64 v21, null, s37, 0, s16
	flat_load_b32 v20, v[20:21]
.LBB1028_29:
	s_or_b32 exec_lo, exec_lo, s14
	v_or_b32_e32 v8, 0xd00, v0
                                        ; implicit-def: $vgpr21
	s_delay_alu instid0(VALU_DEP_1) | instskip(SKIP_1) | instid1(VALU_DEP_2)
	v_cmp_gt_u32_e64 s14, s33, v8
	v_lshlrev_b32_e32 v26, 2, v8
	s_and_saveexec_b32 s16, s14
	s_cbranch_execz .LBB1028_31
; %bb.30:
	s_delay_alu instid0(VALU_DEP_1) | instskip(NEXT) | instid1(VALU_DEP_1)
	v_add_co_u32 v21, s26, s38, v26
	v_add_co_ci_u32_e64 v22, null, s37, 0, s26
	flat_load_b32 v21, v[21:22]
.LBB1028_31:
	s_or_b32 exec_lo, exec_lo, s16
	v_or_b32_e32 v8, 0xe00, v0
                                        ; implicit-def: $vgpr22
	s_delay_alu instid0(VALU_DEP_1) | instskip(SKIP_1) | instid1(VALU_DEP_2)
	v_cmp_gt_u32_e64 s16, s33, v8
	v_lshlrev_b32_e32 v27, 2, v8
	s_and_saveexec_b32 s26, s16
	s_cbranch_execz .LBB1028_33
; %bb.32:
	s_delay_alu instid0(VALU_DEP_1) | instskip(NEXT) | instid1(VALU_DEP_1)
	v_add_co_u32 v28, s27, s38, v27
	v_add_co_ci_u32_e64 v29, null, s37, 0, s27
	flat_load_b32 v22, v[28:29]
.LBB1028_33:
	s_or_b32 exec_lo, exec_lo, s26
	v_lshlrev_b32_e32 v8, 2, v0
                                        ; implicit-def: $vgpr28
	s_waitcnt vmcnt(0) lgkmcnt(0)
	ds_store_2addr_stride64_b32 v8, v1, v9 offset1:4
	ds_store_2addr_stride64_b32 v8, v10, v11 offset0:8 offset1:12
	ds_store_2addr_stride64_b32 v8, v12, v13 offset0:16 offset1:20
	;; [unrolled: 1-line block ×6, first 2 shown]
	v_mad_u32_u24 v1, v0, 56, v8
	ds_store_b32 v8, v22 offset:14336
	s_waitcnt lgkmcnt(0)
	s_barrier
	buffer_gl0_inv
	ds_load_2addr_b32 v[21:22], v1 offset1:1
	ds_load_2addr_b32 v[19:20], v1 offset0:2 offset1:3
	ds_load_2addr_b32 v[17:18], v1 offset0:4 offset1:5
	;; [unrolled: 1-line block ×6, first 2 shown]
	ds_load_b32 v63, v1 offset:56
	s_waitcnt lgkmcnt(0)
	s_barrier
	buffer_gl0_inv
	s_and_saveexec_b32 s26, vcc_lo
	s_cbranch_execnz .LBB1028_57
; %bb.34:
	s_or_b32 exec_lo, exec_lo, s26
                                        ; implicit-def: $vgpr29
	s_and_saveexec_b32 s26, s2
	s_cbranch_execnz .LBB1028_58
.LBB1028_35:
	s_or_b32 exec_lo, exec_lo, s26
                                        ; implicit-def: $vgpr30
	s_and_saveexec_b32 s2, s3
	s_cbranch_execnz .LBB1028_59
.LBB1028_36:
	s_or_b32 exec_lo, exec_lo, s2
                                        ; implicit-def: $vgpr31
	s_and_saveexec_b32 s2, s4
	s_cbranch_execnz .LBB1028_60
.LBB1028_37:
	s_or_b32 exec_lo, exec_lo, s2
                                        ; implicit-def: $vgpr32
	s_and_saveexec_b32 s2, s5
	s_cbranch_execnz .LBB1028_61
.LBB1028_38:
	s_or_b32 exec_lo, exec_lo, s2
                                        ; implicit-def: $vgpr2
	s_and_saveexec_b32 s2, s6
	s_cbranch_execnz .LBB1028_62
.LBB1028_39:
	s_or_b32 exec_lo, exec_lo, s2
                                        ; implicit-def: $vgpr3
	s_and_saveexec_b32 s2, s7
	s_cbranch_execnz .LBB1028_63
.LBB1028_40:
	s_or_b32 exec_lo, exec_lo, s2
                                        ; implicit-def: $vgpr4
	s_and_saveexec_b32 s2, s8
	s_cbranch_execnz .LBB1028_64
.LBB1028_41:
	s_or_b32 exec_lo, exec_lo, s2
                                        ; implicit-def: $vgpr5
	s_and_saveexec_b32 s2, s9
	s_cbranch_execnz .LBB1028_65
.LBB1028_42:
	s_or_b32 exec_lo, exec_lo, s2
                                        ; implicit-def: $vgpr6
	s_and_saveexec_b32 s2, s10
	s_cbranch_execnz .LBB1028_66
.LBB1028_43:
	s_or_b32 exec_lo, exec_lo, s2
                                        ; implicit-def: $vgpr7
	s_and_saveexec_b32 s2, s11
	s_cbranch_execnz .LBB1028_67
.LBB1028_44:
	s_or_b32 exec_lo, exec_lo, s2
                                        ; implicit-def: $vgpr23
	s_and_saveexec_b32 s2, s12
	s_cbranch_execnz .LBB1028_68
.LBB1028_45:
	s_or_b32 exec_lo, exec_lo, s2
                                        ; implicit-def: $vgpr24
	s_and_saveexec_b32 s2, s13
	s_cbranch_execnz .LBB1028_69
.LBB1028_46:
	s_or_b32 exec_lo, exec_lo, s2
                                        ; implicit-def: $vgpr25
	s_and_saveexec_b32 s2, s14
	s_cbranch_execnz .LBB1028_70
.LBB1028_47:
	s_or_b32 exec_lo, exec_lo, s2
                                        ; implicit-def: $vgpr26
	s_and_saveexec_b32 s2, s16
	s_cbranch_execz .LBB1028_49
.LBB1028_48:
	v_add_co_u32 v26, s3, s24, v27
	s_delay_alu instid0(VALU_DEP_1)
	v_add_co_ci_u32_e64 v27, null, s25, 0, s3
	flat_load_b32 v26, v[26:27]
.LBB1028_49:
	s_or_b32 exec_lo, exec_lo, s2
	s_waitcnt vmcnt(0) lgkmcnt(0)
	ds_store_2addr_stride64_b32 v8, v28, v29 offset1:4
	ds_store_2addr_stride64_b32 v8, v30, v31 offset0:8 offset1:12
	ds_store_2addr_stride64_b32 v8, v32, v2 offset0:16 offset1:20
	;; [unrolled: 1-line block ×6, first 2 shown]
	ds_store_b32 v8, v26 offset:14336
	s_waitcnt lgkmcnt(0)
	s_barrier
.LBB1028_50:
	buffer_gl0_inv
	ds_load_2addr_b32 v[35:36], v1 offset1:1
	ds_load_2addr_b32 v[33:34], v1 offset0:2 offset1:3
	ds_load_2addr_b32 v[31:32], v1 offset0:4 offset1:5
	;; [unrolled: 1-line block ×6, first 2 shown]
	ds_load_b32 v78, v1 offset:56
	s_load_b128 s[24:27], s[0:1], 0x28
	s_cmp_eq_u64 s[34:35], 0
	s_waitcnt lgkmcnt(0)
	s_cselect_b32 s36, -1, 0
	s_cmp_lg_u64 s[34:35], 0
	s_barrier
	s_cselect_b32 s14, -1, 0
	s_and_b32 vcc_lo, exec_lo, s39
	buffer_gl0_inv
	s_cbranch_vccz .LBB1028_56
; %bb.51:
	s_and_b32 vcc_lo, exec_lo, s14
	s_cbranch_vccz .LBB1028_71
; %bb.52:
	v_add_co_u32 v1, s0, -4, s38
	s_delay_alu instid0(VALU_DEP_1)
	v_add_co_ci_u32_e64 v2, null, -1, s37, s0
	v_cmp_ne_u32_e32 vcc_lo, v10, v63
	v_cmp_ne_u32_e64 s0, v9, v10
	v_cmp_ne_u32_e64 s1, v12, v9
	flat_load_b32 v1, v[1:2]
	v_lshlrev_b32_e32 v2, 2, v0
	v_cmp_ne_u32_e64 s2, v11, v12
	v_cmp_ne_u32_e64 s3, v14, v11
	;; [unrolled: 1-line block ×11, first 2 shown]
	s_mov_b32 s39, -1
	s_mov_b32 s16, 0
	s_mov_b32 s40, exec_lo
	ds_store_b32 v2, v63
	s_waitcnt vmcnt(0) lgkmcnt(0)
	s_barrier
	buffer_gl0_inv
	v_cmpx_ne_u32_e32 0, v0
	s_cbranch_execz .LBB1028_54
; %bb.53:
	v_add_nc_u32_e32 v1, -4, v2
	ds_load_b32 v1, v1
.LBB1028_54:
	s_or_b32 exec_lo, exec_lo, s40
	v_cndmask_b32_e64 v69, 0, 1, vcc_lo
	v_cndmask_b32_e64 v64, 0, 1, s0
	v_cndmask_b32_e64 v65, 0, 1, s1
	;; [unrolled: 1-line block ×13, first 2 shown]
	s_waitcnt lgkmcnt(0)
	v_cmp_ne_u32_e64 s0, v1, v21
	s_and_b32 vcc_lo, exec_lo, s16
	s_cbranch_vccnz .LBB1028_72
.LBB1028_55:
                                        ; implicit-def: $sgpr1
	s_branch .LBB1028_83
.LBB1028_56:
	s_mov_b32 s39, 0
                                        ; implicit-def: $sgpr0
                                        ; implicit-def: $vgpr69
                                        ; implicit-def: $vgpr64
                                        ; implicit-def: $vgpr65
                                        ; implicit-def: $vgpr66
                                        ; implicit-def: $vgpr67
                                        ; implicit-def: $vgpr68
                                        ; implicit-def: $vgpr70
                                        ; implicit-def: $vgpr71
                                        ; implicit-def: $vgpr72
                                        ; implicit-def: $vgpr73
                                        ; implicit-def: $vgpr74
                                        ; implicit-def: $vgpr75
                                        ; implicit-def: $vgpr76
                                        ; implicit-def: $vgpr77
                                        ; implicit-def: $sgpr1
	s_cbranch_execnz .LBB1028_75
	s_branch .LBB1028_83
.LBB1028_57:
	v_add_co_u32 v28, s27, s24, v8
	s_delay_alu instid0(VALU_DEP_1)
	v_add_co_ci_u32_e64 v29, null, s25, 0, s27
	flat_load_b32 v28, v[28:29]
	s_or_b32 exec_lo, exec_lo, s26
                                        ; implicit-def: $vgpr29
	s_and_saveexec_b32 s26, s2
	s_cbranch_execz .LBB1028_35
.LBB1028_58:
	v_add_co_u32 v29, s2, s24, v8
	s_delay_alu instid0(VALU_DEP_1)
	v_add_co_ci_u32_e64 v30, null, s25, 0, s2
	flat_load_b32 v29, v[29:30] offset:1024
	s_or_b32 exec_lo, exec_lo, s26
                                        ; implicit-def: $vgpr30
	s_and_saveexec_b32 s2, s3
	s_cbranch_execz .LBB1028_36
.LBB1028_59:
	v_add_co_u32 v30, s3, s24, v8
	s_delay_alu instid0(VALU_DEP_1)
	v_add_co_ci_u32_e64 v31, null, s25, 0, s3
	flat_load_b32 v30, v[30:31] offset:2048
	s_or_b32 exec_lo, exec_lo, s2
                                        ; implicit-def: $vgpr31
	s_and_saveexec_b32 s2, s4
	s_cbranch_execz .LBB1028_37
.LBB1028_60:
	v_add_co_u32 v31, s3, s24, v8
	s_delay_alu instid0(VALU_DEP_1)
	v_add_co_ci_u32_e64 v32, null, s25, 0, s3
	flat_load_b32 v31, v[31:32] offset:3072
	s_or_b32 exec_lo, exec_lo, s2
                                        ; implicit-def: $vgpr32
	s_and_saveexec_b32 s2, s5
	s_cbranch_execz .LBB1028_38
.LBB1028_61:
	v_add_co_u32 v32, s3, s24, v2
	s_delay_alu instid0(VALU_DEP_1)
	v_add_co_ci_u32_e64 v33, null, s25, 0, s3
	flat_load_b32 v32, v[32:33]
	s_or_b32 exec_lo, exec_lo, s2
                                        ; implicit-def: $vgpr2
	s_and_saveexec_b32 s2, s6
	s_cbranch_execz .LBB1028_39
.LBB1028_62:
	v_add_co_u32 v2, s3, s24, v3
	s_delay_alu instid0(VALU_DEP_1)
	v_add_co_ci_u32_e64 v3, null, s25, 0, s3
	flat_load_b32 v2, v[2:3]
	s_or_b32 exec_lo, exec_lo, s2
                                        ; implicit-def: $vgpr3
	s_and_saveexec_b32 s2, s7
	s_cbranch_execz .LBB1028_40
.LBB1028_63:
	v_add_co_u32 v3, s3, s24, v4
	s_delay_alu instid0(VALU_DEP_1)
	v_add_co_ci_u32_e64 v4, null, s25, 0, s3
	flat_load_b32 v3, v[3:4]
	s_or_b32 exec_lo, exec_lo, s2
                                        ; implicit-def: $vgpr4
	s_and_saveexec_b32 s2, s8
	s_cbranch_execz .LBB1028_41
.LBB1028_64:
	v_add_co_u32 v4, s3, s24, v5
	s_delay_alu instid0(VALU_DEP_1)
	v_add_co_ci_u32_e64 v5, null, s25, 0, s3
	flat_load_b32 v4, v[4:5]
	s_or_b32 exec_lo, exec_lo, s2
                                        ; implicit-def: $vgpr5
	s_and_saveexec_b32 s2, s9
	s_cbranch_execz .LBB1028_42
.LBB1028_65:
	v_add_co_u32 v5, s3, s24, v6
	s_delay_alu instid0(VALU_DEP_1)
	v_add_co_ci_u32_e64 v6, null, s25, 0, s3
	flat_load_b32 v5, v[5:6]
	s_or_b32 exec_lo, exec_lo, s2
                                        ; implicit-def: $vgpr6
	s_and_saveexec_b32 s2, s10
	s_cbranch_execz .LBB1028_43
.LBB1028_66:
	v_add_co_u32 v6, s3, s24, v7
	s_delay_alu instid0(VALU_DEP_1)
	v_add_co_ci_u32_e64 v7, null, s25, 0, s3
	flat_load_b32 v6, v[6:7]
	s_or_b32 exec_lo, exec_lo, s2
                                        ; implicit-def: $vgpr7
	s_and_saveexec_b32 s2, s11
	s_cbranch_execz .LBB1028_44
.LBB1028_67:
	v_add_co_u32 v33, s3, s24, v23
	s_delay_alu instid0(VALU_DEP_1)
	v_add_co_ci_u32_e64 v34, null, s25, 0, s3
	flat_load_b32 v7, v[33:34]
	s_or_b32 exec_lo, exec_lo, s2
                                        ; implicit-def: $vgpr23
	s_and_saveexec_b32 s2, s12
	s_cbranch_execz .LBB1028_45
.LBB1028_68:
	v_add_co_u32 v23, s3, s24, v24
	s_delay_alu instid0(VALU_DEP_1)
	v_add_co_ci_u32_e64 v24, null, s25, 0, s3
	flat_load_b32 v23, v[23:24]
	s_or_b32 exec_lo, exec_lo, s2
                                        ; implicit-def: $vgpr24
	s_and_saveexec_b32 s2, s13
	s_cbranch_execz .LBB1028_46
.LBB1028_69:
	v_add_co_u32 v24, s3, s24, v25
	s_delay_alu instid0(VALU_DEP_1)
	v_add_co_ci_u32_e64 v25, null, s25, 0, s3
	flat_load_b32 v24, v[24:25]
	s_or_b32 exec_lo, exec_lo, s2
                                        ; implicit-def: $vgpr25
	s_and_saveexec_b32 s2, s14
	s_cbranch_execz .LBB1028_47
.LBB1028_70:
	v_add_co_u32 v25, s3, s24, v26
	s_delay_alu instid0(VALU_DEP_1)
	v_add_co_ci_u32_e64 v26, null, s25, 0, s3
	flat_load_b32 v25, v[25:26]
	s_or_b32 exec_lo, exec_lo, s2
                                        ; implicit-def: $vgpr26
	s_and_saveexec_b32 s2, s16
	s_cbranch_execnz .LBB1028_48
	s_branch .LBB1028_49
.LBB1028_71:
	s_mov_b32 s39, 0
                                        ; implicit-def: $sgpr0
                                        ; implicit-def: $vgpr69
                                        ; implicit-def: $vgpr64
                                        ; implicit-def: $vgpr65
                                        ; implicit-def: $vgpr66
                                        ; implicit-def: $vgpr67
                                        ; implicit-def: $vgpr68
                                        ; implicit-def: $vgpr70
                                        ; implicit-def: $vgpr71
                                        ; implicit-def: $vgpr72
                                        ; implicit-def: $vgpr73
                                        ; implicit-def: $vgpr74
                                        ; implicit-def: $vgpr75
                                        ; implicit-def: $vgpr76
                                        ; implicit-def: $vgpr77
	s_cbranch_execz .LBB1028_55
.LBB1028_72:
	v_cmp_ne_u32_e32 vcc_lo, v10, v63
	v_lshlrev_b32_e32 v1, 2, v0
	s_mov_b32 s1, exec_lo
                                        ; implicit-def: $sgpr0
	v_cndmask_b32_e64 v69, 0, 1, vcc_lo
	v_cmp_ne_u32_e32 vcc_lo, v9, v10
	ds_store_b32 v1, v63
	s_waitcnt lgkmcnt(0)
	s_barrier
	buffer_gl0_inv
	v_cndmask_b32_e64 v64, 0, 1, vcc_lo
	v_cmp_ne_u32_e32 vcc_lo, v12, v9
	v_cndmask_b32_e64 v65, 0, 1, vcc_lo
	v_cmp_ne_u32_e32 vcc_lo, v11, v12
	;; [unrolled: 2-line block ×12, first 2 shown]
	v_cndmask_b32_e64 v77, 0, 1, vcc_lo
	v_cmpx_ne_u32_e32 0, v0
	s_xor_b32 s1, exec_lo, s1
	s_cbranch_execz .LBB1028_74
; %bb.73:
	v_add_nc_u32_e32 v1, -4, v1
	s_or_b32 s39, s39, exec_lo
	ds_load_b32 v1, v1
	s_waitcnt lgkmcnt(0)
	v_cmp_ne_u32_e32 vcc_lo, v1, v21
	s_and_b32 s0, vcc_lo, exec_lo
.LBB1028_74:
	s_or_b32 exec_lo, exec_lo, s1
	s_mov_b32 s1, 1
	s_branch .LBB1028_83
.LBB1028_75:
	s_mul_hi_u32 s0, s34, 0xfffff100
	s_mul_i32 s1, s35, 0xfffff100
	s_sub_i32 s0, s0, s34
	s_mul_i32 s2, s34, 0xfffff100
	s_add_i32 s0, s0, s1
	s_add_u32 s28, s2, s28
	s_addc_u32 s29, s0, s29
	s_and_b32 vcc_lo, exec_lo, s14
	v_cmp_ne_u32_e64 s13, v10, v63
	v_cmp_ne_u32_e64 s14, v9, v10
	;; [unrolled: 1-line block ×14, first 2 shown]
	v_mad_u32_u24 v1, v0, 15, 14
	v_mad_u32_u24 v55, v0, 15, 13
	;; [unrolled: 1-line block ×14, first 2 shown]
	v_cmp_ne_u32_e64 s6, 0, v0
	s_cbranch_vccz .LBB1028_80
; %bb.76:
	v_add_co_u32 v56, s16, -4, s38
	s_delay_alu instid0(VALU_DEP_1)
	v_add_co_ci_u32_e64 v57, null, -1, s37, s16
	v_mov_b32_e32 v2, 0
	s_mov_b32 s39, -1
	s_mov_b32 s34, 0
	flat_load_b32 v58, v[56:57]
	v_lshlrev_b32_e32 v57, 2, v0
	v_cmp_gt_u64_e32 vcc_lo, s[28:29], v[1:2]
	v_mov_b32_e32 v56, v2
	v_mov_b32_e32 v54, v2
	;; [unrolled: 1-line block ×5, first 2 shown]
	v_cmp_gt_u64_e64 s16, s[28:29], v[55:56]
	s_and_b32 s35, vcc_lo, s13
	v_cmp_gt_u64_e32 vcc_lo, s[28:29], v[53:54]
	v_mov_b32_e32 v46, v2
	v_mov_b32_e32 v44, v2
	v_cmp_gt_u64_e64 s13, s[28:29], v[51:52]
	s_and_b32 s37, s16, s14
	v_mov_b32_e32 v42, v2
	s_and_b32 s38, vcc_lo, s12
	v_cmp_gt_u64_e32 vcc_lo, s[28:29], v[49:50]
	v_cmp_gt_u64_e64 s12, s[28:29], v[47:48]
	v_cmp_gt_u64_e64 s14, s[28:29], v[45:46]
	;; [unrolled: 1-line block ×3, first 2 shown]
	v_mov_b32_e32 v40, v2
	v_mov_b32_e32 v38, v2
	;; [unrolled: 1-line block ×5, first 2 shown]
	s_and_b32 s13, s13, s11
	s_and_b32 s40, vcc_lo, s7
	s_and_b32 s12, s12, s8
	s_and_b32 s14, s14, s9
	;; [unrolled: 1-line block ×3, first 2 shown]
	v_cmp_gt_u64_e32 vcc_lo, s[28:29], v[41:42]
	v_cmp_gt_u64_e64 s7, s[28:29], v[39:40]
	v_cmp_gt_u64_e64 s8, s[28:29], v[37:38]
	;; [unrolled: 1-line block ×5, first 2 shown]
	v_mul_u32_u24_e32 v56, 15, v0
	s_and_b32 s0, vcc_lo, s0
	s_and_b32 s7, s7, s1
	s_and_b32 s8, s8, s2
	;; [unrolled: 1-line block ×5, first 2 shown]
	ds_store_b32 v57, v63
	s_waitcnt vmcnt(0) lgkmcnt(0)
	s_barrier
	buffer_gl0_inv
	s_and_saveexec_b32 s4, s6
	s_cbranch_execz .LBB1028_78
; %bb.77:
	v_add_nc_u32_e32 v4, -4, v57
	ds_load_b32 v58, v4
.LBB1028_78:
	s_or_b32 exec_lo, exec_lo, s4
	v_mov_b32_e32 v57, v2
	v_cndmask_b32_e64 v72, 0, 1, s0
	s_waitcnt lgkmcnt(0)
	v_cmp_ne_u32_e64 s0, v58, v21
	v_cndmask_b32_e64 v69, 0, 1, s35
	v_cndmask_b32_e64 v64, 0, 1, s37
	v_cmp_gt_u64_e32 vcc_lo, s[28:29], v[56:57]
	v_cndmask_b32_e64 v65, 0, 1, s38
	v_cndmask_b32_e64 v66, 0, 1, s13
	;; [unrolled: 1-line block ×11, first 2 shown]
	s_and_b32 s0, vcc_lo, s0
	s_and_b32 vcc_lo, exec_lo, s34
	s_cbranch_vccnz .LBB1028_81
.LBB1028_79:
                                        ; implicit-def: $sgpr1
	v_mov_b32_e32 v79, s1
	s_and_saveexec_b32 s1, s39
	s_cbranch_execnz .LBB1028_84
	s_branch .LBB1028_85
.LBB1028_80:
                                        ; implicit-def: $sgpr0
                                        ; implicit-def: $vgpr69
                                        ; implicit-def: $vgpr64
                                        ; implicit-def: $vgpr65
                                        ; implicit-def: $vgpr66
                                        ; implicit-def: $vgpr67
                                        ; implicit-def: $vgpr68
                                        ; implicit-def: $vgpr70
                                        ; implicit-def: $vgpr71
                                        ; implicit-def: $vgpr72
                                        ; implicit-def: $vgpr73
                                        ; implicit-def: $vgpr74
                                        ; implicit-def: $vgpr75
                                        ; implicit-def: $vgpr76
                                        ; implicit-def: $vgpr77
	s_cbranch_execz .LBB1028_79
.LBB1028_81:
	v_dual_mov_b32 v2, 0 :: v_dual_lshlrev_b32 v57, 2, v0
	v_cmp_ne_u32_e64 s1, v12, v9
	v_cmp_ne_u32_e32 vcc_lo, v10, v63
	v_cmp_ne_u32_e64 s0, v9, v10
	s_delay_alu instid0(VALU_DEP_4)
	v_mov_b32_e32 v54, v2
	v_mov_b32_e32 v56, v2
	v_cmp_gt_u64_e64 s2, s[28:29], v[1:2]
	v_mov_b32_e32 v50, v2
	v_mov_b32_e32 v52, v2
	v_cmp_gt_u64_e64 s4, s[28:29], v[53:54]
	v_cmp_gt_u64_e64 s3, s[28:29], v[55:56]
	v_mov_b32_e32 v48, v2
	s_and_b32 s2, s2, vcc_lo
	v_cmp_gt_u64_e32 vcc_lo, s[28:29], v[51:52]
	v_cndmask_b32_e64 v69, 0, 1, s2
	s_and_b32 s1, s4, s1
	s_and_b32 s0, s3, s0
	v_cndmask_b32_e64 v65, 0, 1, s1
	v_cmp_gt_u64_e64 s1, s[28:29], v[49:50]
	v_cmp_ne_u32_e64 s2, v14, v11
	v_cndmask_b32_e64 v64, 0, 1, s0
	v_cmp_ne_u32_e64 s0, v11, v12
	v_mov_b32_e32 v46, v2
	v_mov_b32_e32 v44, v2
	s_and_b32 s1, s1, s2
	v_cmp_ne_u32_e64 s2, v16, v13
	s_and_b32 s0, vcc_lo, s0
	v_cmp_gt_u64_e32 vcc_lo, s[28:29], v[47:48]
	v_cndmask_b32_e64 v67, 0, 1, s1
	v_cmp_gt_u64_e64 s1, s[28:29], v[45:46]
	v_cndmask_b32_e64 v66, 0, 1, s0
	v_cmp_ne_u32_e64 s0, v13, v14
	v_mov_b32_e32 v42, v2
	v_mov_b32_e32 v40, v2
	;; [unrolled: 1-line block ×3, first 2 shown]
	s_and_b32 s1, s1, s2
	s_and_b32 s0, vcc_lo, s0
	v_cmp_gt_u64_e32 vcc_lo, s[28:29], v[43:44]
	v_cndmask_b32_e64 v68, 0, 1, s0
	v_cmp_ne_u32_e64 s0, v15, v16
	v_cndmask_b32_e64 v70, 0, 1, s1
	v_cmp_gt_u64_e64 s1, s[28:29], v[41:42]
	v_cmp_ne_u32_e64 s2, v18, v15
	v_mov_b32_e32 v8, v2
	s_and_b32 s0, vcc_lo, s0
	v_cmp_gt_u64_e32 vcc_lo, s[28:29], v[39:40]
	v_cndmask_b32_e64 v71, 0, 1, s0
	s_and_b32 s1, s1, s2
	v_cmp_ne_u32_e64 s0, v17, v18
	v_cndmask_b32_e64 v72, 0, 1, s1
	v_cmp_gt_u64_e64 s1, s[28:29], v[37:38]
	v_cmp_ne_u32_e64 s2, v20, v17
	v_mov_b32_e32 v6, v2
	s_and_b32 s0, vcc_lo, s0
	v_mov_b32_e32 v4, v2
	v_cndmask_b32_e64 v73, 0, 1, s0
	s_and_b32 s0, s1, s2
	v_cmp_gt_u64_e32 vcc_lo, s[28:29], v[7:8]
	v_cndmask_b32_e64 v74, 0, 1, s0
	v_cmp_ne_u32_e64 s0, v19, v20
	v_cmp_gt_u64_e64 s1, s[28:29], v[5:6]
	v_cmp_ne_u32_e64 s2, v22, v19
	v_cmp_gt_u64_e64 s3, s[28:29], v[3:4]
	v_cmp_ne_u32_e64 s4, v21, v22
	s_and_b32 s0, vcc_lo, s0
	ds_store_b32 v57, v63
	v_cndmask_b32_e64 v75, 0, 1, s0
	s_and_b32 s0, s1, s2
	s_mov_b32 s1, 1
	v_cndmask_b32_e64 v76, 0, 1, s0
	s_and_b32 s0, s3, s4
	s_mov_b32 s2, exec_lo
	v_cndmask_b32_e64 v77, 0, 1, s0
	s_waitcnt lgkmcnt(0)
	s_barrier
	buffer_gl0_inv
                                        ; implicit-def: $sgpr0
	v_cmpx_ne_u32_e32 0, v0
	s_cbranch_execz .LBB1028_153
; %bb.82:
	v_add_nc_u32_e32 v1, -4, v57
	s_or_b32 s39, s39, exec_lo
	ds_load_b32 v3, v1
	v_mul_u32_u24_e32 v1, 15, v0
	s_delay_alu instid0(VALU_DEP_1) | instskip(SKIP_2) | instid1(VALU_DEP_1)
	v_cmp_gt_u64_e32 vcc_lo, s[28:29], v[1:2]
	s_waitcnt lgkmcnt(0)
	v_cmp_ne_u32_e64 s0, v3, v21
	s_and_b32 s0, vcc_lo, s0
	s_delay_alu instid0(SALU_CYCLE_1)
	s_and_b32 s0, s0, exec_lo
	s_or_b32 exec_lo, exec_lo, s2
.LBB1028_83:
	v_mov_b32_e32 v79, s1
	s_and_saveexec_b32 s1, s39
.LBB1028_84:
	v_cndmask_b32_e64 v79, 0, 1, s0
.LBB1028_85:
	s_or_b32 exec_lo, exec_lo, s1
	s_delay_alu instid0(VALU_DEP_1)
	v_add3_u32 v1, v77, v79, v76
	v_cmp_eq_u32_e64 s12, 0, v77
	v_cmp_eq_u32_e64 s11, 0, v76
	;; [unrolled: 1-line block ×4, first 2 shown]
	v_add3_u32 v84, v1, v75, v74
	v_cmp_eq_u32_e64 s8, 0, v73
	v_cmp_eq_u32_e64 s7, 0, v72
	;; [unrolled: 1-line block ×9, first 2 shown]
	v_cmp_eq_u32_e32 vcc_lo, 0, v69
	v_mbcnt_lo_u32_b32 v81, -1, 0
	v_lshrrev_b32_e32 v82, 5, v0
	v_or_b32_e32 v83, 31, v0
	s_cmp_eq_u64 s[22:23], 0
	s_cselect_b32 s16, -1, 0
	s_cmp_lg_u32 s15, 0
	s_cbranch_scc0 .LBB1028_111
; %bb.86:
	v_cndmask_b32_e64 v1, 0, v35, s12
	v_add3_u32 v2, v84, v73, v72
	s_delay_alu instid0(VALU_DEP_2) | instskip(NEXT) | instid1(VALU_DEP_2)
	v_add_nc_u32_e32 v1, v1, v36
	v_add3_u32 v2, v2, v71, v70
	s_delay_alu instid0(VALU_DEP_2) | instskip(NEXT) | instid1(VALU_DEP_2)
	v_cndmask_b32_e64 v1, 0, v1, s11
	v_add3_u32 v2, v2, v68, v67
	s_delay_alu instid0(VALU_DEP_2) | instskip(NEXT) | instid1(VALU_DEP_2)
	v_add_nc_u32_e32 v1, v1, v33
	v_add3_u32 v2, v2, v66, v65
	s_delay_alu instid0(VALU_DEP_2) | instskip(NEXT) | instid1(VALU_DEP_2)
	v_cndmask_b32_e64 v1, 0, v1, s10
	v_add3_u32 v2, v2, v64, v69
	s_delay_alu instid0(VALU_DEP_2) | instskip(NEXT) | instid1(VALU_DEP_2)
	v_add_nc_u32_e32 v1, v1, v34
	v_mov_b32_dpp v5, v2 row_shr:1 row_mask:0xf bank_mask:0xf
	s_delay_alu instid0(VALU_DEP_2) | instskip(NEXT) | instid1(VALU_DEP_1)
	v_cndmask_b32_e64 v1, 0, v1, s9
	v_add_nc_u32_e32 v1, v1, v31
	s_delay_alu instid0(VALU_DEP_1) | instskip(NEXT) | instid1(VALU_DEP_1)
	v_cndmask_b32_e64 v1, 0, v1, s8
	v_add_nc_u32_e32 v1, v1, v32
	s_delay_alu instid0(VALU_DEP_1) | instskip(NEXT) | instid1(VALU_DEP_1)
	;; [unrolled: 3-line block ×9, first 2 shown]
	v_cndmask_b32_e64 v1, 0, v1, s0
	v_add_nc_u32_e32 v1, v1, v24
	s_delay_alu instid0(VALU_DEP_1) | instskip(SKIP_1) | instid1(VALU_DEP_2)
	v_cndmask_b32_e32 v1, 0, v1, vcc_lo
	v_cmp_eq_u32_e32 vcc_lo, 0, v2
	v_add_nc_u32_e32 v1, v1, v78
	s_delay_alu instid0(VALU_DEP_1) | instskip(NEXT) | instid1(VALU_DEP_1)
	v_mov_b32_dpp v3, v1 row_shr:1 row_mask:0xf bank_mask:0xf
	v_dual_cndmask_b32 v3, 0, v3 :: v_dual_and_b32 v4, 15, v81
	s_delay_alu instid0(VALU_DEP_1) | instskip(SKIP_2) | instid1(VALU_DEP_4)
	v_cmp_eq_u32_e32 vcc_lo, 0, v4
	v_cmp_lt_u32_e64 s13, 1, v4
	v_cndmask_b32_e64 v5, v5, 0, vcc_lo
	v_cndmask_b32_e64 v3, v3, 0, vcc_lo
	s_delay_alu instid0(VALU_DEP_2) | instskip(NEXT) | instid1(VALU_DEP_2)
	v_add_nc_u32_e32 v2, v5, v2
	v_add_nc_u32_e32 v1, v3, v1
	s_delay_alu instid0(VALU_DEP_2) | instskip(SKIP_1) | instid1(VALU_DEP_3)
	v_mov_b32_dpp v3, v2 row_shr:2 row_mask:0xf bank_mask:0xf
	v_cmp_eq_u32_e32 vcc_lo, 0, v2
	v_mov_b32_dpp v5, v1 row_shr:2 row_mask:0xf bank_mask:0xf
	s_delay_alu instid0(VALU_DEP_3) | instskip(SKIP_2) | instid1(VALU_DEP_2)
	v_cndmask_b32_e64 v3, 0, v3, s13
	s_and_b32 vcc_lo, s13, vcc_lo
	v_cmp_lt_u32_e64 s13, 3, v4
	v_dual_cndmask_b32 v5, 0, v5 :: v_dual_add_nc_u32 v2, v2, v3
	s_delay_alu instid0(VALU_DEP_1) | instskip(NEXT) | instid1(VALU_DEP_2)
	v_add_nc_u32_e32 v1, v5, v1
	v_mov_b32_dpp v3, v2 row_shr:4 row_mask:0xf bank_mask:0xf
	v_cmp_eq_u32_e32 vcc_lo, 0, v2
	s_delay_alu instid0(VALU_DEP_3) | instskip(NEXT) | instid1(VALU_DEP_3)
	v_mov_b32_dpp v5, v1 row_shr:4 row_mask:0xf bank_mask:0xf
	v_cndmask_b32_e64 v3, 0, v3, s13
	s_and_b32 vcc_lo, s13, vcc_lo
	v_cmp_lt_u32_e64 s13, 7, v4
	s_delay_alu instid0(VALU_DEP_2) | instskip(NEXT) | instid1(VALU_DEP_1)
	v_dual_cndmask_b32 v5, 0, v5 :: v_dual_add_nc_u32 v2, v3, v2
	v_add_nc_u32_e32 v1, v1, v5
	v_bfe_i32 v5, v81, 4, 1
	s_delay_alu instid0(VALU_DEP_3) | instskip(SKIP_1) | instid1(VALU_DEP_4)
	v_cmp_eq_u32_e32 vcc_lo, 0, v2
	v_mov_b32_dpp v3, v2 row_shr:8 row_mask:0xf bank_mask:0xf
	v_mov_b32_dpp v4, v1 row_shr:8 row_mask:0xf bank_mask:0xf
	s_and_b32 vcc_lo, s13, vcc_lo
	s_delay_alu instid0(VALU_DEP_2) | instskip(SKIP_1) | instid1(VALU_DEP_2)
	v_cndmask_b32_e64 v3, 0, v3, s13
	s_mov_b32 s13, exec_lo
	v_cndmask_b32_e32 v4, 0, v4, vcc_lo
	s_delay_alu instid0(VALU_DEP_1) | instskip(NEXT) | instid1(VALU_DEP_3)
	v_add_nc_u32_e32 v4, v4, v1
	v_add_nc_u32_e32 v1, v3, v2
	ds_swizzle_b32 v2, v4 offset:swizzle(BROADCAST,32,15)
	ds_swizzle_b32 v3, v1 offset:swizzle(BROADCAST,32,15)
	v_cmp_eq_u32_e32 vcc_lo, 0, v1
	s_waitcnt lgkmcnt(0)
	v_dual_cndmask_b32 v2, 0, v2 :: v_dual_and_b32 v3, v5, v3
	s_delay_alu instid0(VALU_DEP_1) | instskip(NEXT) | instid1(VALU_DEP_2)
	v_and_b32_e32 v2, v5, v2
	v_add_nc_u32_e32 v1, v3, v1
	v_lshlrev_b32_e32 v3, 3, v82
	s_delay_alu instid0(VALU_DEP_3)
	v_add_nc_u32_e32 v2, v2, v4
	v_cmpx_eq_u32_e64 v83, v0
	s_cbranch_execz .LBB1028_88
; %bb.87:
	ds_store_b64 v3, v[1:2] offset:2064
.LBB1028_88:
	s_or_b32 exec_lo, exec_lo, s13
	s_delay_alu instid0(SALU_CYCLE_1)
	s_mov_b32 s14, exec_lo
	s_waitcnt lgkmcnt(0)
	s_barrier
	buffer_gl0_inv
	v_cmpx_gt_u32_e32 8, v0
	s_cbranch_execz .LBB1028_90
; %bb.89:
	v_lshlrev_b32_e32 v6, 3, v0
	v_and_b32_e32 v8, 7, v81
	ds_load_b64 v[4:5], v6 offset:2064
	v_cmp_lt_u32_e64 s13, 1, v8
	s_waitcnt lgkmcnt(0)
	v_mov_b32_dpp v7, v5 row_shr:1 row_mask:0xf bank_mask:0xf
	v_cmp_eq_u32_e32 vcc_lo, 0, v4
	v_mov_b32_dpp v37, v4 row_shr:1 row_mask:0xf bank_mask:0xf
	s_delay_alu instid0(VALU_DEP_3) | instskip(SKIP_1) | instid1(VALU_DEP_3)
	v_cndmask_b32_e32 v7, 0, v7, vcc_lo
	v_cmp_eq_u32_e32 vcc_lo, 0, v8
	v_cndmask_b32_e64 v37, v37, 0, vcc_lo
	s_delay_alu instid0(VALU_DEP_3) | instskip(NEXT) | instid1(VALU_DEP_2)
	v_cndmask_b32_e64 v7, v7, 0, vcc_lo
	v_add_nc_u32_e32 v4, v37, v4
	s_delay_alu instid0(VALU_DEP_2) | instskip(NEXT) | instid1(VALU_DEP_2)
	v_add_nc_u32_e32 v5, v7, v5
	v_cmp_eq_u32_e32 vcc_lo, 0, v4
	s_delay_alu instid0(VALU_DEP_2) | instskip(SKIP_1) | instid1(VALU_DEP_1)
	v_mov_b32_dpp v37, v5 row_shr:2 row_mask:0xf bank_mask:0xf
	s_and_b32 vcc_lo, s13, vcc_lo
	v_cndmask_b32_e32 v37, 0, v37, vcc_lo
	v_mov_b32_dpp v7, v4 row_shr:2 row_mask:0xf bank_mask:0xf
	s_delay_alu instid0(VALU_DEP_2) | instskip(NEXT) | instid1(VALU_DEP_2)
	v_add_nc_u32_e32 v5, v37, v5
	v_cndmask_b32_e64 v7, 0, v7, s13
	v_cmp_lt_u32_e64 s13, 3, v8
	s_delay_alu instid0(VALU_DEP_3) | instskip(NEXT) | instid1(VALU_DEP_3)
	v_mov_b32_dpp v8, v5 row_shr:4 row_mask:0xf bank_mask:0xf
	v_add_nc_u32_e32 v4, v7, v4
	s_delay_alu instid0(VALU_DEP_1) | instskip(SKIP_2) | instid1(VALU_DEP_1)
	v_cmp_eq_u32_e32 vcc_lo, 0, v4
	v_mov_b32_dpp v7, v4 row_shr:4 row_mask:0xf bank_mask:0xf
	s_and_b32 vcc_lo, s13, vcc_lo
	v_cndmask_b32_e64 v7, 0, v7, s13
	v_cndmask_b32_e32 v8, 0, v8, vcc_lo
	s_delay_alu instid0(VALU_DEP_2) | instskip(NEXT) | instid1(VALU_DEP_2)
	v_add_nc_u32_e32 v4, v7, v4
	v_add_nc_u32_e32 v5, v8, v5
	ds_store_b64 v6, v[4:5] offset:2064
.LBB1028_90:
	s_or_b32 exec_lo, exec_lo, s14
	v_cmp_gt_u32_e32 vcc_lo, 32, v0
	v_dual_mov_b32 v37, 0 :: v_dual_mov_b32 v38, 0
	s_mov_b32 s14, exec_lo
	s_waitcnt lgkmcnt(0)
	s_barrier
	buffer_gl0_inv
	v_cmpx_lt_u32_e32 31, v0
	s_cbranch_execz .LBB1028_92
; %bb.91:
	ds_load_b64 v[37:38], v3 offset:2056
	v_cmp_eq_u32_e64 s13, 0, v1
	s_waitcnt lgkmcnt(0)
	s_delay_alu instid0(VALU_DEP_1) | instskip(SKIP_1) | instid1(VALU_DEP_2)
	v_cndmask_b32_e64 v3, 0, v38, s13
	v_add_nc_u32_e32 v1, v37, v1
	v_add_nc_u32_e32 v2, v3, v2
.LBB1028_92:
	s_or_b32 exec_lo, exec_lo, s14
	v_add_nc_u32_e32 v3, -1, v81
	s_delay_alu instid0(VALU_DEP_1) | instskip(NEXT) | instid1(VALU_DEP_1)
	v_cmp_gt_i32_e64 s13, 0, v3
	v_cndmask_b32_e64 v3, v3, v81, s13
	v_cmp_eq_u32_e64 s13, 0, v81
	s_delay_alu instid0(VALU_DEP_2)
	v_lshlrev_b32_e32 v3, 2, v3
	ds_bpermute_b32 v43, v3, v1
	ds_bpermute_b32 v44, v3, v2
	s_and_saveexec_b32 s22, vcc_lo
	s_cbranch_execz .LBB1028_110
; %bb.93:
	v_mov_b32_e32 v4, 0
	ds_load_b64 v[1:2], v4 offset:2120
	s_waitcnt lgkmcnt(0)
	v_readfirstlane_b32 s23, v2
	s_and_saveexec_b32 s14, s13
	s_cbranch_execz .LBB1028_95
; %bb.94:
	s_add_i32 s28, s15, 32
	s_mov_b32 s29, 0
	v_mov_b32_e32 v3, 1
	s_lshl_b64 s[34:35], s[28:29], 4
	s_mov_b32 s38, s29
	s_add_u32 s34, s20, s34
	s_addc_u32 s35, s21, s35
	s_and_b32 s39, s23, 0xff000000
	s_and_b32 s41, s23, 0xff0000
	s_mov_b32 s40, s29
	v_dual_mov_b32 v5, s34 :: v_dual_mov_b32 v6, s35
	s_or_b64 s[38:39], s[40:41], s[38:39]
	s_and_b32 s41, s23, 0xff00
	s_delay_alu instid0(SALU_CYCLE_1) | instskip(SKIP_1) | instid1(SALU_CYCLE_1)
	s_or_b64 s[38:39], s[38:39], s[40:41]
	s_and_b32 s41, s23, 0xff
	s_or_b64 s[28:29], s[38:39], s[40:41]
	s_delay_alu instid0(SALU_CYCLE_1)
	v_mov_b32_e32 v2, s29
	;;#ASMSTART
	global_store_dwordx4 v[5:6], v[1:4] off	
s_waitcnt vmcnt(0)
	;;#ASMEND
.LBB1028_95:
	s_or_b32 exec_lo, exec_lo, s14
	v_xad_u32 v39, v81, -1, s15
	s_mov_b32 s28, 0
	s_mov_b32 s14, exec_lo
	s_delay_alu instid0(VALU_DEP_1) | instskip(NEXT) | instid1(VALU_DEP_1)
	v_add_nc_u32_e32 v3, 32, v39
	v_lshlrev_b64 v[2:3], 4, v[3:4]
	s_delay_alu instid0(VALU_DEP_1) | instskip(NEXT) | instid1(VALU_DEP_2)
	v_add_co_u32 v2, vcc_lo, s20, v2
	v_add_co_ci_u32_e32 v3, vcc_lo, s21, v3, vcc_lo
	;;#ASMSTART
	global_load_dwordx4 v[5:8], v[2:3] off glc	
s_waitcnt vmcnt(0)
	;;#ASMEND
	v_and_b32_e32 v4, 0xff, v6
	v_and_b32_e32 v8, 0xff00, v6
	;; [unrolled: 1-line block ×3, first 2 shown]
	v_or3_b32 v5, v5, 0, 0
	v_and_b32_e32 v6, 0xff000000, v6
	s_delay_alu instid0(VALU_DEP_4) | instskip(SKIP_1) | instid1(VALU_DEP_4)
	v_or3_b32 v4, 0, v4, v8
	v_and_b32_e32 v8, 0xff, v7
	v_or3_b32 v5, v5, 0, 0
	s_delay_alu instid0(VALU_DEP_3) | instskip(NEXT) | instid1(VALU_DEP_3)
	v_or3_b32 v6, v4, v40, v6
	v_cmpx_eq_u16_e32 0, v8
	s_cbranch_execz .LBB1028_98
.LBB1028_96:                            ; =>This Inner Loop Header: Depth=1
	;;#ASMSTART
	global_load_dwordx4 v[5:8], v[2:3] off glc	
s_waitcnt vmcnt(0)
	;;#ASMEND
	v_and_b32_e32 v4, 0xff, v7
	s_delay_alu instid0(VALU_DEP_1) | instskip(SKIP_1) | instid1(SALU_CYCLE_1)
	v_cmp_ne_u16_e32 vcc_lo, 0, v4
	s_or_b32 s28, vcc_lo, s28
	s_and_not1_b32 exec_lo, exec_lo, s28
	s_cbranch_execnz .LBB1028_96
; %bb.97:
	s_or_b32 exec_lo, exec_lo, s28
.LBB1028_98:
	s_delay_alu instid0(SALU_CYCLE_1)
	s_or_b32 exec_lo, exec_lo, s14
	v_cmp_ne_u32_e32 vcc_lo, 31, v81
	v_and_b32_e32 v3, 0xff, v7
	v_lshlrev_b32_e64 v45, v81, -1
	v_add_nc_u32_e32 v47, 2, v81
	v_add_nc_u32_e32 v49, 4, v81
	v_add_co_ci_u32_e32 v2, vcc_lo, 0, v81, vcc_lo
	v_cmp_eq_u16_e32 vcc_lo, 2, v3
	v_add_nc_u32_e32 v51, 8, v81
	v_add_nc_u32_e32 v53, 16, v81
	v_and_or_b32 v8, vcc_lo, v45, 0x80000000
	v_cmp_gt_u32_e32 vcc_lo, 30, v81
	s_delay_alu instid0(VALU_DEP_2) | instskip(SKIP_2) | instid1(VALU_DEP_3)
	v_ctz_i32_b32_e32 v8, v8
	v_cndmask_b32_e64 v40, 0, 1, vcc_lo
	v_cmp_eq_u32_e32 vcc_lo, 0, v5
	v_cmp_lt_u32_e64 s14, v81, v8
	s_delay_alu instid0(VALU_DEP_3) | instskip(NEXT) | instid1(VALU_DEP_2)
	v_lshlrev_b32_e32 v40, 1, v40
	s_and_b32 vcc_lo, s14, vcc_lo
	v_lshlrev_b32_e32 v2, 2, v2
	s_delay_alu instid0(VALU_DEP_2)
	v_add_lshl_u32 v46, v40, v81, 2
	ds_bpermute_b32 v3, v2, v6
	s_waitcnt lgkmcnt(0)
	v_cndmask_b32_e32 v3, 0, v3, vcc_lo
	ds_bpermute_b32 v4, v2, v5
	v_cmp_gt_u32_e32 vcc_lo, 28, v81
	v_add_nc_u32_e32 v3, v3, v6
	ds_bpermute_b32 v6, v46, v3
	s_waitcnt lgkmcnt(1)
	v_cndmask_b32_e64 v4, 0, v4, s14
	s_delay_alu instid0(VALU_DEP_1) | instskip(SKIP_1) | instid1(VALU_DEP_2)
	v_add_nc_u32_e32 v4, v4, v5
	v_cndmask_b32_e64 v5, 0, 1, vcc_lo
	v_cmp_eq_u32_e32 vcc_lo, 0, v4
	ds_bpermute_b32 v40, v46, v4
	s_waitcnt lgkmcnt(1)
	v_dual_cndmask_b32 v6, 0, v6 :: v_dual_lshlrev_b32 v5, 2, v5
	v_cmp_gt_u32_e32 vcc_lo, v47, v8
	s_delay_alu instid0(VALU_DEP_2) | instskip(NEXT) | instid1(VALU_DEP_3)
	v_add_lshl_u32 v48, v5, v81, 2
	v_cndmask_b32_e64 v6, v6, 0, vcc_lo
	s_delay_alu instid0(VALU_DEP_1) | instskip(SKIP_4) | instid1(VALU_DEP_2)
	v_add_nc_u32_e32 v3, v6, v3
	ds_bpermute_b32 v5, v48, v3
	s_waitcnt lgkmcnt(1)
	v_cndmask_b32_e64 v6, v40, 0, vcc_lo
	v_cmp_gt_u32_e32 vcc_lo, 24, v81
	v_add_nc_u32_e32 v4, v4, v6
	v_cndmask_b32_e64 v40, 0, 1, vcc_lo
	ds_bpermute_b32 v6, v48, v4
	v_cmp_eq_u32_e32 vcc_lo, 0, v4
	v_lshlrev_b32_e32 v40, 3, v40
	s_delay_alu instid0(VALU_DEP_1) | instskip(SKIP_3) | instid1(VALU_DEP_2)
	v_add_lshl_u32 v50, v40, v81, 2
	s_waitcnt lgkmcnt(1)
	v_cndmask_b32_e32 v5, 0, v5, vcc_lo
	v_cmp_gt_u32_e32 vcc_lo, v49, v8
	v_cndmask_b32_e64 v5, v5, 0, vcc_lo
	s_delay_alu instid0(VALU_DEP_1)
	v_add_nc_u32_e32 v3, v3, v5
	s_waitcnt lgkmcnt(0)
	v_cndmask_b32_e64 v6, v6, 0, vcc_lo
	v_cmp_gt_u32_e32 vcc_lo, 16, v81
	ds_bpermute_b32 v5, v50, v3
	v_add_nc_u32_e32 v4, v4, v6
	v_cndmask_b32_e64 v40, 0, 1, vcc_lo
	ds_bpermute_b32 v6, v50, v4
	v_cmp_eq_u32_e32 vcc_lo, 0, v4
	v_lshlrev_b32_e32 v40, 4, v40
	s_delay_alu instid0(VALU_DEP_1) | instskip(SKIP_3) | instid1(VALU_DEP_2)
	v_add_lshl_u32 v52, v40, v81, 2
	s_waitcnt lgkmcnt(1)
	v_dual_mov_b32 v40, 0 :: v_dual_cndmask_b32 v5, 0, v5
	v_cmp_gt_u32_e32 vcc_lo, v51, v8
	v_cndmask_b32_e64 v5, v5, 0, vcc_lo
	s_delay_alu instid0(VALU_DEP_1)
	v_add_nc_u32_e32 v3, v3, v5
	s_waitcnt lgkmcnt(0)
	v_cndmask_b32_e64 v5, v6, 0, vcc_lo
	ds_bpermute_b32 v6, v52, v3
	v_add_nc_u32_e32 v4, v4, v5
	ds_bpermute_b32 v5, v52, v4
	v_cmp_eq_u32_e32 vcc_lo, 0, v4
	s_waitcnt lgkmcnt(1)
	v_cndmask_b32_e32 v6, 0, v6, vcc_lo
	v_cmp_gt_u32_e32 vcc_lo, v53, v8
	s_delay_alu instid0(VALU_DEP_2) | instskip(SKIP_2) | instid1(VALU_DEP_2)
	v_cndmask_b32_e64 v6, v6, 0, vcc_lo
	s_waitcnt lgkmcnt(0)
	v_cndmask_b32_e64 v5, v5, 0, vcc_lo
	v_add_nc_u32_e32 v6, v6, v3
	s_delay_alu instid0(VALU_DEP_2)
	v_add_nc_u32_e32 v5, v5, v4
	s_branch .LBB1028_100
.LBB1028_99:                            ;   in Loop: Header=BB1028_100 Depth=1
	s_or_b32 exec_lo, exec_lo, s14
	v_and_b32_e32 v8, 0xff, v7
	ds_bpermute_b32 v41, v2, v5
	v_subrev_nc_u32_e32 v39, 32, v39
	v_cmp_eq_u16_e32 vcc_lo, 2, v8
	ds_bpermute_b32 v8, v2, v6
	v_and_or_b32 v42, vcc_lo, v45, 0x80000000
	v_cmp_eq_u32_e32 vcc_lo, 0, v5
	s_delay_alu instid0(VALU_DEP_2) | instskip(NEXT) | instid1(VALU_DEP_1)
	v_ctz_i32_b32_e32 v42, v42
	v_cmp_lt_u32_e64 s14, v81, v42
	s_delay_alu instid0(VALU_DEP_1) | instskip(SKIP_4) | instid1(VALU_DEP_2)
	s_and_b32 vcc_lo, s14, vcc_lo
	s_waitcnt lgkmcnt(1)
	v_cndmask_b32_e64 v41, 0, v41, s14
	s_waitcnt lgkmcnt(0)
	v_cndmask_b32_e32 v8, 0, v8, vcc_lo
	v_add_nc_u32_e32 v5, v41, v5
	s_delay_alu instid0(VALU_DEP_2)
	v_add_nc_u32_e32 v6, v8, v6
	ds_bpermute_b32 v41, v46, v5
	ds_bpermute_b32 v8, v46, v6
	v_cmp_eq_u32_e32 vcc_lo, 0, v5
	s_waitcnt lgkmcnt(0)
	v_cndmask_b32_e32 v8, 0, v8, vcc_lo
	v_cmp_gt_u32_e32 vcc_lo, v47, v42
	v_cndmask_b32_e64 v41, v41, 0, vcc_lo
	s_delay_alu instid0(VALU_DEP_1) | instskip(NEXT) | instid1(VALU_DEP_4)
	v_add_nc_u32_e32 v5, v5, v41
	v_cndmask_b32_e64 v8, v8, 0, vcc_lo
	ds_bpermute_b32 v41, v48, v5
	v_add_nc_u32_e32 v6, v8, v6
	v_cmp_eq_u32_e32 vcc_lo, 0, v5
	ds_bpermute_b32 v8, v48, v6
	s_waitcnt lgkmcnt(0)
	v_cndmask_b32_e32 v8, 0, v8, vcc_lo
	v_cmp_gt_u32_e32 vcc_lo, v49, v42
	v_cndmask_b32_e64 v41, v41, 0, vcc_lo
	s_delay_alu instid0(VALU_DEP_1) | instskip(NEXT) | instid1(VALU_DEP_4)
	v_add_nc_u32_e32 v5, v5, v41
	v_cndmask_b32_e64 v8, v8, 0, vcc_lo
	ds_bpermute_b32 v41, v50, v5
	v_add_nc_u32_e32 v6, v6, v8
	v_cmp_eq_u32_e32 vcc_lo, 0, v5
	ds_bpermute_b32 v8, v50, v6
	;; [unrolled: 11-line block ×3, first 2 shown]
	s_waitcnt lgkmcnt(0)
	v_cndmask_b32_e32 v8, 0, v8, vcc_lo
	v_cmp_gt_u32_e32 vcc_lo, v53, v42
	s_delay_alu instid0(VALU_DEP_2) | instskip(NEXT) | instid1(VALU_DEP_1)
	v_cndmask_b32_e64 v8, v8, 0, vcc_lo
	v_add_nc_u32_e32 v6, v8, v6
	v_cndmask_b32_e64 v8, v41, 0, vcc_lo
	v_cmp_eq_u32_e32 vcc_lo, 0, v3
	s_delay_alu instid0(VALU_DEP_2) | instskip(NEXT) | instid1(VALU_DEP_4)
	v_add3_u32 v5, v5, v3, v8
	v_cndmask_b32_e32 v6, 0, v6, vcc_lo
	s_delay_alu instid0(VALU_DEP_1)
	v_add_nc_u32_e32 v6, v6, v4
.LBB1028_100:                           ; =>This Loop Header: Depth=1
                                        ;     Child Loop BB1028_103 Depth 2
	s_delay_alu instid0(VALU_DEP_1) | instskip(NEXT) | instid1(VALU_DEP_1)
	v_dual_mov_b32 v4, v6 :: v_dual_and_b32 v3, 0xff, v7
	v_cmp_ne_u16_e32 vcc_lo, 2, v3
	v_cndmask_b32_e64 v3, 0, 1, vcc_lo
	;;#ASMSTART
	;;#ASMEND
	s_delay_alu instid0(VALU_DEP_1)
	v_cmp_ne_u32_e32 vcc_lo, 0, v3
	v_mov_b32_e32 v3, v5
	s_cmp_lg_u32 vcc_lo, exec_lo
	s_cbranch_scc1 .LBB1028_105
; %bb.101:                              ;   in Loop: Header=BB1028_100 Depth=1
	v_lshlrev_b64 v[5:6], 4, v[39:40]
	s_mov_b32 s14, exec_lo
	s_delay_alu instid0(VALU_DEP_1) | instskip(NEXT) | instid1(VALU_DEP_2)
	v_add_co_u32 v41, vcc_lo, s20, v5
	v_add_co_ci_u32_e32 v42, vcc_lo, s21, v6, vcc_lo
	;;#ASMSTART
	global_load_dwordx4 v[5:8], v[41:42] off glc	
s_waitcnt vmcnt(0)
	;;#ASMEND
	v_and_b32_e32 v8, 0xff, v6
	v_and_b32_e32 v54, 0xff00, v6
	v_and_b32_e32 v55, 0xff0000, v6
	v_or3_b32 v5, v5, 0, 0
	v_and_b32_e32 v6, 0xff000000, v6
	s_delay_alu instid0(VALU_DEP_4) | instskip(SKIP_1) | instid1(VALU_DEP_4)
	v_or3_b32 v8, 0, v8, v54
	v_and_b32_e32 v54, 0xff, v7
	v_or3_b32 v5, v5, 0, 0
	s_delay_alu instid0(VALU_DEP_3) | instskip(NEXT) | instid1(VALU_DEP_3)
	v_or3_b32 v6, v8, v55, v6
	v_cmpx_eq_u16_e32 0, v54
	s_cbranch_execz .LBB1028_99
; %bb.102:                              ;   in Loop: Header=BB1028_100 Depth=1
	s_mov_b32 s28, 0
.LBB1028_103:                           ;   Parent Loop BB1028_100 Depth=1
                                        ; =>  This Inner Loop Header: Depth=2
	;;#ASMSTART
	global_load_dwordx4 v[5:8], v[41:42] off glc	
s_waitcnt vmcnt(0)
	;;#ASMEND
	v_and_b32_e32 v8, 0xff, v7
	s_delay_alu instid0(VALU_DEP_1) | instskip(SKIP_1) | instid1(SALU_CYCLE_1)
	v_cmp_ne_u16_e32 vcc_lo, 0, v8
	s_or_b32 s28, vcc_lo, s28
	s_and_not1_b32 exec_lo, exec_lo, s28
	s_cbranch_execnz .LBB1028_103
; %bb.104:                              ;   in Loop: Header=BB1028_100 Depth=1
	s_or_b32 exec_lo, exec_lo, s28
	s_branch .LBB1028_99
.LBB1028_105:                           ;   in Loop: Header=BB1028_100 Depth=1
                                        ; implicit-def: $vgpr6
                                        ; implicit-def: $vgpr5
                                        ; implicit-def: $vgpr7
	s_cbranch_execz .LBB1028_100
; %bb.106:
	s_and_saveexec_b32 s14, s13
	s_cbranch_execz .LBB1028_108
; %bb.107:
	v_cmp_eq_u32_e32 vcc_lo, 0, v1
	s_mov_b32 s29, 0
	s_add_i32 s28, s15, 32
	v_add_nc_u32_e32 v5, v3, v1
	s_lshl_b64 s[28:29], s[28:29], 4
	v_cndmask_b32_e32 v2, 0, v4, vcc_lo
	s_add_u32 s28, s20, s28
	s_addc_u32 s29, s21, s29
	v_mov_b32_e32 v8, 0
	s_delay_alu instid0(VALU_DEP_2) | instskip(NEXT) | instid1(VALU_DEP_1)
	v_add_nc_u32_e32 v2, s23, v2
	v_and_b32_e32 v6, 0xff000000, v2
	v_and_b32_e32 v7, 0xff0000, v2
	s_delay_alu instid0(VALU_DEP_1) | instskip(SKIP_3) | instid1(VALU_DEP_1)
	v_or_b32_e32 v6, v7, v6
	v_mov_b32_e32 v7, 2
	v_and_b32_e32 v39, 0xff00, v2
	v_and_b32_e32 v2, 0xff, v2
	v_or3_b32 v6, v6, v39, v2
	v_mov_b32_e32 v2, s23
	v_dual_mov_b32 v40, s29 :: v_dual_mov_b32 v39, s28
	;;#ASMSTART
	global_store_dwordx4 v[39:40], v[5:8] off	
s_waitcnt vmcnt(0)
	;;#ASMEND
	ds_store_b128 v8, v[1:4] offset:2048
.LBB1028_108:
	s_or_b32 exec_lo, exec_lo, s14
	v_cmp_eq_u32_e32 vcc_lo, 0, v0
	s_and_b32 exec_lo, exec_lo, vcc_lo
	s_cbranch_execz .LBB1028_110
; %bb.109:
	v_mov_b32_e32 v1, 0
	ds_store_b64 v1, v[3:4] offset:2120
.LBB1028_110:
	s_or_b32 exec_lo, exec_lo, s22
	s_waitcnt lgkmcnt(1)
	v_cndmask_b32_e64 v4, v43, v37, s13
	s_waitcnt lgkmcnt(0)
	s_barrier
	buffer_gl0_inv
	v_cndmask_b32_e64 v5, v44, v38, s13
	v_cmp_eq_u32_e32 vcc_lo, 0, v4
	v_mov_b32_e32 v3, 0
	v_cmp_eq_u32_e64 s13, 0, v79
	ds_load_b64 v[1:2], v3 offset:2120
	s_waitcnt lgkmcnt(0)
	s_barrier
	buffer_gl0_inv
	v_cndmask_b32_e32 v6, 0, v2, vcc_lo
	v_cmp_eq_u32_e32 vcc_lo, 0, v0
	s_delay_alu instid0(VALU_DEP_2) | instskip(NEXT) | instid1(VALU_DEP_1)
	v_add_nc_u32_e32 v5, v6, v5
	v_cndmask_b32_e32 v54, v5, v2, vcc_lo
	s_delay_alu instid0(VALU_DEP_1) | instskip(NEXT) | instid1(VALU_DEP_1)
	v_cndmask_b32_e64 v2, 0, v54, s13
	v_add_nc_u32_e32 v60, v2, v35
	s_delay_alu instid0(VALU_DEP_1) | instskip(NEXT) | instid1(VALU_DEP_1)
	v_cndmask_b32_e64 v2, 0, v60, s12
	v_add_nc_u32_e32 v56, v2, v36
	;; [unrolled: 3-line block ×6, first 2 shown]
	v_cndmask_b32_e64 v2, v4, 0, vcc_lo
	s_delay_alu instid0(VALU_DEP_2) | instskip(NEXT) | instid1(VALU_DEP_2)
	v_cndmask_b32_e64 v4, 0, v40, s7
	v_add_nc_u32_e32 v53, v1, v2
	s_delay_alu instid0(VALU_DEP_2) | instskip(NEXT) | instid1(VALU_DEP_2)
	v_add_nc_u32_e32 v44, v4, v29
	v_add_nc_u32_e32 v59, v53, v79
	s_delay_alu instid0(VALU_DEP_2) | instskip(NEXT) | instid1(VALU_DEP_2)
	v_cndmask_b32_e64 v1, 0, v44, s6
	v_add_nc_u32_e32 v55, v59, v77
	s_delay_alu instid0(VALU_DEP_2) | instskip(NEXT) | instid1(VALU_DEP_2)
	v_add_nc_u32_e32 v48, v1, v30
	v_add_nc_u32_e32 v51, v55, v76
	;; [unrolled: 6-line block ×4, first 2 shown]
	s_delay_alu instid0(VALU_DEP_2) | instskip(NEXT) | instid1(VALU_DEP_2)
	v_cndmask_b32_e64 v1, 0, v8, s3
	v_add_nc_u32_e32 v47, v43, v71
	s_delay_alu instid0(VALU_DEP_2) | instskip(SKIP_3) | instid1(VALU_DEP_2)
	v_add_nc_u32_e32 v38, v1, v25
	ds_load_b128 v[1:4], v3 offset:2048
	v_add_nc_u32_e32 v5, v47, v70
	v_cndmask_b32_e64 v37, 0, v38, s2
	v_add_nc_u32_e32 v7, v5, v68
	s_delay_alu instid0(VALU_DEP_2) | instskip(NEXT) | instid1(VALU_DEP_2)
	v_add_nc_u32_e32 v62, v37, v26
	v_add_nc_u32_e32 v37, v7, v67
	s_delay_alu instid0(VALU_DEP_2) | instskip(NEXT) | instid1(VALU_DEP_2)
	v_cndmask_b32_e64 v49, 0, v62, s1
	v_add_nc_u32_e32 v61, v37, v66
	s_delay_alu instid0(VALU_DEP_2) | instskip(SKIP_2) | instid1(VALU_DEP_3)
	v_add_nc_u32_e32 v58, v49, v23
	s_waitcnt lgkmcnt(0)
	v_cmp_eq_u32_e32 vcc_lo, 0, v1
	v_add_nc_u32_e32 v57, v61, v65
	s_delay_alu instid0(VALU_DEP_3) | instskip(SKIP_1) | instid1(VALU_DEP_3)
	v_cndmask_b32_e64 v50, 0, v58, s0
	v_cndmask_b32_e32 v4, 0, v4, vcc_lo
	v_add_nc_u32_e32 v49, v57, v64
	s_delay_alu instid0(VALU_DEP_3) | instskip(NEXT) | instid1(VALU_DEP_3)
	v_add_nc_u32_e32 v50, v50, v24
	v_add_nc_u32_e32 v80, v4, v2
	s_branch .LBB1028_123
.LBB1028_111:
                                        ; implicit-def: $vgpr1
                                        ; implicit-def: $vgpr80
                                        ; implicit-def: $vgpr53_vgpr54
                                        ; implicit-def: $vgpr59_vgpr60
                                        ; implicit-def: $vgpr55_vgpr56
                                        ; implicit-def: $vgpr51_vgpr52
                                        ; implicit-def: $vgpr45_vgpr46
                                        ; implicit-def: $vgpr41_vgpr42
                                        ; implicit-def: $vgpr39_vgpr40
                                        ; implicit-def: $vgpr43_vgpr44
                                        ; implicit-def: $vgpr47_vgpr48
                                        ; implicit-def: $vgpr5_vgpr6
                                        ; implicit-def: $vgpr7_vgpr8
                                        ; implicit-def: $vgpr37_vgpr38
                                        ; implicit-def: $vgpr61_vgpr62
                                        ; implicit-def: $vgpr57_vgpr58
                                        ; implicit-def: $vgpr49_vgpr50
	s_cbranch_execz .LBB1028_123
; %bb.112:
	s_and_b32 s0, s16, exec_lo
	v_mov_b32_e32 v49, v35
	s_cselect_b32 s1, 0, s19
	s_cselect_b32 s0, 0, s18
	s_delay_alu instid0(SALU_CYCLE_1)
	s_cmp_eq_u64 s[0:1], 0
	s_cbranch_scc1 .LBB1028_114
; %bb.113:
	v_mov_b32_e32 v1, 0
	global_load_b32 v49, v1, s[0:1]
.LBB1028_114:
	v_cmp_eq_u32_e64 s6, 0, v77
	v_cmp_eq_u32_e64 s7, 0, v76
	;; [unrolled: 1-line block ×5, first 2 shown]
	v_cndmask_b32_e64 v1, 0, v35, s6
	v_cmp_eq_u32_e64 s11, 0, v72
	v_cmp_eq_u32_e64 s5, 0, v71
	;; [unrolled: 1-line block ×4, first 2 shown]
	v_add_nc_u32_e32 v1, v1, v36
	v_cmp_eq_u32_e64 s2, 0, v67
	v_add3_u32 v2, v84, v73, v72
	v_cmp_eq_u32_e64 s1, 0, v66
	v_cmp_eq_u32_e32 vcc_lo, 0, v65
	v_cndmask_b32_e64 v1, 0, v1, s7
	v_cmp_eq_u32_e64 s0, 0, v64
	v_add3_u32 v2, v2, v71, v70
	v_cmp_eq_u32_e64 s12, 0, v69
	v_and_b32_e32 v4, 15, v81
	v_add_nc_u32_e32 v1, v1, v33
	s_delay_alu instid0(VALU_DEP_4) | instskip(NEXT) | instid1(VALU_DEP_3)
	v_add3_u32 v2, v2, v68, v67
	v_cmp_lt_u32_e64 s13, 1, v4
	s_delay_alu instid0(VALU_DEP_3) | instskip(NEXT) | instid1(VALU_DEP_3)
	v_cndmask_b32_e64 v1, 0, v1, s8
	v_add3_u32 v2, v2, v66, v65
	s_delay_alu instid0(VALU_DEP_2) | instskip(NEXT) | instid1(VALU_DEP_2)
	v_add_nc_u32_e32 v1, v1, v34
	v_add3_u32 v2, v2, v64, v69
	s_delay_alu instid0(VALU_DEP_2) | instskip(NEXT) | instid1(VALU_DEP_2)
	v_cndmask_b32_e64 v1, 0, v1, s9
	v_mov_b32_dpp v5, v2 row_shr:1 row_mask:0xf bank_mask:0xf
	s_delay_alu instid0(VALU_DEP_2) | instskip(NEXT) | instid1(VALU_DEP_1)
	v_add_nc_u32_e32 v1, v1, v31
	v_cndmask_b32_e64 v1, 0, v1, s10
	s_delay_alu instid0(VALU_DEP_1) | instskip(NEXT) | instid1(VALU_DEP_1)
	v_add_nc_u32_e32 v1, v1, v32
	v_cndmask_b32_e64 v1, 0, v1, s11
	s_delay_alu instid0(VALU_DEP_1) | instskip(NEXT) | instid1(VALU_DEP_1)
	;; [unrolled: 3-line block ×7, first 2 shown]
	v_add_nc_u32_e32 v1, v1, v26
	v_cndmask_b32_e32 v1, 0, v1, vcc_lo
	s_delay_alu instid0(VALU_DEP_1) | instskip(NEXT) | instid1(VALU_DEP_1)
	v_add_nc_u32_e32 v1, v1, v23
	v_cndmask_b32_e64 v1, 0, v1, s0
	s_delay_alu instid0(VALU_DEP_1) | instskip(NEXT) | instid1(VALU_DEP_1)
	v_add_nc_u32_e32 v1, v1, v24
	v_cndmask_b32_e64 v1, 0, v1, s12
	v_cmp_eq_u32_e64 s12, 0, v2
	s_delay_alu instid0(VALU_DEP_2) | instskip(NEXT) | instid1(VALU_DEP_1)
	v_add_nc_u32_e32 v1, v1, v78
	v_mov_b32_dpp v3, v1 row_shr:1 row_mask:0xf bank_mask:0xf
	s_delay_alu instid0(VALU_DEP_1) | instskip(SKIP_1) | instid1(VALU_DEP_1)
	v_cndmask_b32_e64 v3, 0, v3, s12
	v_cmp_eq_u32_e64 s12, 0, v4
	v_cndmask_b32_e64 v5, v5, 0, s12
	s_delay_alu instid0(VALU_DEP_3) | instskip(NEXT) | instid1(VALU_DEP_2)
	v_cndmask_b32_e64 v3, v3, 0, s12
	v_add_nc_u32_e32 v2, v5, v2
	s_delay_alu instid0(VALU_DEP_2) | instskip(NEXT) | instid1(VALU_DEP_2)
	v_add_nc_u32_e32 v1, v3, v1
	v_mov_b32_dpp v3, v2 row_shr:2 row_mask:0xf bank_mask:0xf
	v_cmp_eq_u32_e64 s12, 0, v2
	s_delay_alu instid0(VALU_DEP_3) | instskip(NEXT) | instid1(VALU_DEP_3)
	v_mov_b32_dpp v5, v1 row_shr:2 row_mask:0xf bank_mask:0xf
	v_cndmask_b32_e64 v3, 0, v3, s13
	s_delay_alu instid0(VALU_DEP_3) | instskip(SKIP_1) | instid1(VALU_DEP_3)
	s_and_b32 s12, s13, s12
	v_cmp_lt_u32_e64 s13, 3, v4
	v_cndmask_b32_e64 v5, 0, v5, s12
	s_delay_alu instid0(VALU_DEP_3) | instskip(NEXT) | instid1(VALU_DEP_2)
	v_add_nc_u32_e32 v2, v2, v3
	v_add_nc_u32_e32 v1, v5, v1
	s_delay_alu instid0(VALU_DEP_2) | instskip(SKIP_1) | instid1(VALU_DEP_3)
	v_mov_b32_dpp v3, v2 row_shr:4 row_mask:0xf bank_mask:0xf
	v_cmp_eq_u32_e64 s12, 0, v2
	v_mov_b32_dpp v5, v1 row_shr:4 row_mask:0xf bank_mask:0xf
	s_delay_alu instid0(VALU_DEP_3) | instskip(NEXT) | instid1(VALU_DEP_3)
	v_cndmask_b32_e64 v3, 0, v3, s13
	s_and_b32 s12, s13, s12
	v_cmp_lt_u32_e64 s13, 7, v4
	s_delay_alu instid0(VALU_DEP_3) | instskip(NEXT) | instid1(VALU_DEP_3)
	v_cndmask_b32_e64 v5, 0, v5, s12
	v_add_nc_u32_e32 v2, v3, v2
	s_delay_alu instid0(VALU_DEP_2) | instskip(SKIP_1) | instid1(VALU_DEP_3)
	v_add_nc_u32_e32 v1, v1, v5
	v_bfe_i32 v5, v81, 4, 1
	v_cmp_eq_u32_e64 s12, 0, v2
	v_mov_b32_dpp v3, v2 row_shr:8 row_mask:0xf bank_mask:0xf
	s_delay_alu instid0(VALU_DEP_4) | instskip(NEXT) | instid1(VALU_DEP_3)
	v_mov_b32_dpp v4, v1 row_shr:8 row_mask:0xf bank_mask:0xf
	s_and_b32 s12, s13, s12
	s_delay_alu instid0(VALU_DEP_2) | instskip(SKIP_1) | instid1(VALU_DEP_2)
	v_cndmask_b32_e64 v3, 0, v3, s13
	s_mov_b32 s13, exec_lo
	v_cndmask_b32_e64 v4, 0, v4, s12
	s_delay_alu instid0(VALU_DEP_1) | instskip(NEXT) | instid1(VALU_DEP_3)
	v_add_nc_u32_e32 v4, v4, v1
	v_add_nc_u32_e32 v1, v3, v2
	ds_swizzle_b32 v2, v4 offset:swizzle(BROADCAST,32,15)
	ds_swizzle_b32 v3, v1 offset:swizzle(BROADCAST,32,15)
	v_cmp_eq_u32_e64 s12, 0, v1
	s_waitcnt lgkmcnt(1)
	s_delay_alu instid0(VALU_DEP_1) | instskip(SKIP_2) | instid1(VALU_DEP_2)
	v_cndmask_b32_e64 v2, 0, v2, s12
	s_waitcnt lgkmcnt(0)
	v_and_b32_e32 v3, v5, v3
	v_and_b32_e32 v2, v5, v2
	s_delay_alu instid0(VALU_DEP_2) | instskip(NEXT) | instid1(VALU_DEP_2)
	v_add_nc_u32_e32 v1, v3, v1
	v_add_nc_u32_e32 v2, v2, v4
	v_lshlrev_b32_e32 v4, 3, v82
	v_cmpx_eq_u32_e64 v83, v0
	s_cbranch_execz .LBB1028_116
; %bb.115:
	ds_store_b64 v4, v[1:2] offset:2064
.LBB1028_116:
	s_or_b32 exec_lo, exec_lo, s13
	s_delay_alu instid0(SALU_CYCLE_1)
	s_mov_b32 s14, exec_lo
	s_waitcnt vmcnt(0) lgkmcnt(0)
	s_barrier
	buffer_gl0_inv
	v_cmpx_gt_u32_e32 8, v0
	s_cbranch_execz .LBB1028_118
; %bb.117:
	v_lshlrev_b32_e32 v3, 3, v0
	v_and_b32_e32 v8, 7, v81
	ds_load_b64 v[5:6], v3 offset:2064
	v_cmp_lt_u32_e64 s13, 1, v8
	s_waitcnt lgkmcnt(0)
	v_mov_b32_dpp v7, v6 row_shr:1 row_mask:0xf bank_mask:0xf
	v_cmp_eq_u32_e64 s12, 0, v5
	v_mov_b32_dpp v37, v5 row_shr:1 row_mask:0xf bank_mask:0xf
	s_delay_alu instid0(VALU_DEP_2) | instskip(SKIP_1) | instid1(VALU_DEP_1)
	v_cndmask_b32_e64 v7, 0, v7, s12
	v_cmp_eq_u32_e64 s12, 0, v8
	v_cndmask_b32_e64 v37, v37, 0, s12
	s_delay_alu instid0(VALU_DEP_3) | instskip(NEXT) | instid1(VALU_DEP_2)
	v_cndmask_b32_e64 v7, v7, 0, s12
	v_add_nc_u32_e32 v5, v37, v5
	s_delay_alu instid0(VALU_DEP_2) | instskip(NEXT) | instid1(VALU_DEP_2)
	v_add_nc_u32_e32 v6, v7, v6
	v_mov_b32_dpp v7, v5 row_shr:2 row_mask:0xf bank_mask:0xf
	v_cmp_eq_u32_e64 s12, 0, v5
	s_delay_alu instid0(VALU_DEP_3) | instskip(NEXT) | instid1(VALU_DEP_3)
	v_mov_b32_dpp v37, v6 row_shr:2 row_mask:0xf bank_mask:0xf
	v_cndmask_b32_e64 v7, 0, v7, s13
	s_delay_alu instid0(VALU_DEP_3) | instskip(SKIP_1) | instid1(VALU_DEP_3)
	s_and_b32 s12, s13, s12
	v_cmp_lt_u32_e64 s13, 3, v8
	v_cndmask_b32_e64 v37, 0, v37, s12
	s_delay_alu instid0(VALU_DEP_3) | instskip(NEXT) | instid1(VALU_DEP_2)
	v_add_nc_u32_e32 v5, v7, v5
	v_add_nc_u32_e32 v6, v37, v6
	s_delay_alu instid0(VALU_DEP_2) | instskip(SKIP_1) | instid1(VALU_DEP_3)
	v_cmp_eq_u32_e64 s12, 0, v5
	v_mov_b32_dpp v7, v5 row_shr:4 row_mask:0xf bank_mask:0xf
	v_mov_b32_dpp v8, v6 row_shr:4 row_mask:0xf bank_mask:0xf
	s_delay_alu instid0(VALU_DEP_3) | instskip(NEXT) | instid1(VALU_DEP_2)
	s_and_b32 s12, s13, s12
	v_cndmask_b32_e64 v7, 0, v7, s13
	s_delay_alu instid0(VALU_DEP_2) | instskip(NEXT) | instid1(VALU_DEP_2)
	v_cndmask_b32_e64 v8, 0, v8, s12
	v_add_nc_u32_e32 v5, v7, v5
	s_delay_alu instid0(VALU_DEP_2)
	v_add_nc_u32_e32 v6, v8, v6
	ds_store_b64 v3, v[5:6] offset:2064
.LBB1028_118:
	s_or_b32 exec_lo, exec_lo, s14
	v_mov_b32_e32 v7, 0
	v_mov_b32_e32 v3, 0
	;; [unrolled: 1-line block ×3, first 2 shown]
	s_mov_b32 s13, exec_lo
	s_waitcnt lgkmcnt(0)
	s_barrier
	buffer_gl0_inv
	v_cmpx_lt_u32_e32 31, v0
	s_cbranch_execz .LBB1028_120
; %bb.119:
	ds_load_b64 v[3:4], v4 offset:2056
	s_waitcnt lgkmcnt(0)
	v_cmp_eq_u32_e64 s12, 0, v3
	s_delay_alu instid0(VALU_DEP_1) | instskip(NEXT) | instid1(VALU_DEP_1)
	v_cndmask_b32_e64 v5, 0, v49, s12
	v_add_nc_u32_e32 v5, v5, v4
.LBB1028_120:
	s_or_b32 exec_lo, exec_lo, s13
	v_add_nc_u32_e32 v4, -1, v81
	v_cmp_eq_u32_e64 s13, 0, v79
	s_delay_alu instid0(VALU_DEP_2) | instskip(NEXT) | instid1(VALU_DEP_1)
	v_cmp_gt_i32_e64 s12, 0, v4
	v_cndmask_b32_e64 v4, v4, v81, s12
	v_cmp_eq_u32_e64 s12, 0, v1
	v_add_nc_u32_e32 v1, v3, v1
	s_delay_alu instid0(VALU_DEP_3) | instskip(NEXT) | instid1(VALU_DEP_3)
	v_lshlrev_b32_e32 v4, 2, v4
	v_cndmask_b32_e64 v6, 0, v5, s12
	v_cmp_eq_u32_e64 s12, 0, v81
	ds_bpermute_b32 v1, v4, v1
	v_add_nc_u32_e32 v2, v6, v2
	ds_bpermute_b32 v2, v4, v2
	s_waitcnt lgkmcnt(1)
	v_cndmask_b32_e64 v1, v1, v3, s12
	s_waitcnt lgkmcnt(0)
	v_cndmask_b32_e64 v2, v2, v5, s12
	v_cmp_eq_u32_e64 s12, 0, v0
	s_delay_alu instid0(VALU_DEP_1) | instskip(SKIP_1) | instid1(VALU_DEP_2)
	v_cndmask_b32_e64 v54, v2, v49, s12
	v_cndmask_b32_e64 v53, v1, 0, s12
	;; [unrolled: 1-line block ×3, first 2 shown]
	s_delay_alu instid0(VALU_DEP_1) | instskip(NEXT) | instid1(VALU_DEP_1)
	v_add_nc_u32_e32 v60, v2, v35
	v_cndmask_b32_e64 v2, 0, v60, s6
	s_delay_alu instid0(VALU_DEP_1) | instskip(NEXT) | instid1(VALU_DEP_1)
	v_add_nc_u32_e32 v56, v2, v36
	v_cndmask_b32_e64 v2, 0, v56, s7
	;; [unrolled: 3-line block ×10, first 2 shown]
	s_delay_alu instid0(VALU_DEP_1) | instskip(SKIP_2) | instid1(VALU_DEP_1)
	v_add_nc_u32_e32 v38, v1, v25
	ds_load_b64 v[1:2], v7 offset:2120
	v_cndmask_b32_e64 v3, 0, v38, s1
	v_add_nc_u32_e32 v62, v3, v26
	s_delay_alu instid0(VALU_DEP_1) | instskip(NEXT) | instid1(VALU_DEP_1)
	v_cndmask_b32_e32 v3, 0, v62, vcc_lo
	v_add_nc_u32_e32 v58, v3, v23
	s_waitcnt lgkmcnt(0)
	v_cmp_eq_u32_e32 vcc_lo, 0, v1
	v_add_nc_u32_e32 v59, v53, v79
	s_delay_alu instid0(VALU_DEP_3) | instskip(SKIP_1) | instid1(VALU_DEP_3)
	v_cndmask_b32_e64 v3, 0, v58, s0
	v_cndmask_b32_e32 v4, 0, v49, vcc_lo
	v_add_nc_u32_e32 v55, v59, v77
	s_delay_alu instid0(VALU_DEP_3) | instskip(NEXT) | instid1(VALU_DEP_3)
	v_add_nc_u32_e32 v50, v3, v24
	v_add_nc_u32_e32 v80, v4, v2
	s_delay_alu instid0(VALU_DEP_3) | instskip(NEXT) | instid1(VALU_DEP_1)
	v_add_nc_u32_e32 v51, v55, v76
	v_add_nc_u32_e32 v45, v51, v75
	s_delay_alu instid0(VALU_DEP_1) | instskip(NEXT) | instid1(VALU_DEP_1)
	v_add_nc_u32_e32 v41, v45, v74
	v_add_nc_u32_e32 v39, v41, v73
	s_delay_alu instid0(VALU_DEP_1) | instskip(NEXT) | instid1(VALU_DEP_1)
	;; [unrolled: 3-line block ×5, first 2 shown]
	v_add_nc_u32_e32 v57, v61, v65
	v_add_nc_u32_e32 v49, v57, v64
	s_and_saveexec_b32 s0, s12
	s_cbranch_execz .LBB1028_122
; %bb.121:
	v_and_b32_e32 v2, 0xff000000, v80
	v_dual_mov_b32 v4, 0 :: v_dual_and_b32 v3, 0xff0000, v80
	s_add_u32 s2, s20, 0x200
	v_and_b32_e32 v23, 0xff00, v80
	s_addc_u32 s3, s21, 0
	v_and_b32_e32 v24, 0xff, v80
	v_or_b32_e32 v2, v3, v2
	v_mov_b32_e32 v3, 2
	s_delay_alu instid0(VALU_DEP_2)
	v_or3_b32 v2, v2, v23, v24
	v_dual_mov_b32 v24, s3 :: v_dual_mov_b32 v23, s2
	;;#ASMSTART
	global_store_dwordx4 v[23:24], v[1:4] off	
s_waitcnt vmcnt(0)
	;;#ASMEND
.LBB1028_122:
	s_or_b32 exec_lo, exec_lo, s0
	v_mov_b32_e32 v3, 0
.LBB1028_123:
	v_mov_b32_e32 v23, 0
	s_and_b32 s0, s16, exec_lo
	v_mov_b32_e32 v24, 0
	s_cselect_b32 s1, 0, s31
	s_cselect_b32 s0, 0, s30
	s_delay_alu instid0(SALU_CYCLE_1)
	s_cmp_eq_u64 s[0:1], 0
	s_barrier
	buffer_gl0_inv
	s_cbranch_scc1 .LBB1028_125
; %bb.124:
	v_mov_b32_e32 v2, 0
	global_load_b64 v[23:24], v2, s[0:1]
.LBB1028_125:
	v_cmp_gt_u32_e32 vcc_lo, 0x100, v1
	s_cbranch_vccnz .LBB1028_132
; %bb.126:
	v_cmp_eq_u32_e32 vcc_lo, 0, v77
	v_cmp_eq_u32_e64 s0, 0, v65
	v_cmp_eq_u32_e64 s1, 0, v64
	v_cmp_ne_u32_e64 s11, 0, v79
	v_cmp_ne_u32_e64 s2, 0, v66
	v_cndmask_b32_e64 v2, 1, 2, vcc_lo
	v_cmp_eq_u32_e32 vcc_lo, 0, v79
	v_cndmask_b32_e64 v26, 1, 2, s1
	v_cmp_ne_u32_e64 s1, 0, v65
	v_cmp_ne_u32_e64 s3, 0, v67
	;; [unrolled: 1-line block ×3, first 2 shown]
	v_cndmask_b32_e64 v4, 1, 2, vcc_lo
	v_cmp_eq_u32_e32 vcc_lo, 0, v76
	v_cmp_ne_u32_e64 s5, 0, v70
	v_cmp_ne_u32_e64 s6, 0, v71
	;; [unrolled: 1-line block ×3, first 2 shown]
	v_and_b32_e32 v2, v2, v4
	v_cndmask_b32_e64 v25, 1, 2, vcc_lo
	v_cmp_eq_u32_e32 vcc_lo, 0, v75
	v_cmp_ne_u32_e64 s8, 0, v73
	v_cmp_ne_u32_e64 s9, 0, v74
	;; [unrolled: 1-line block ×3, first 2 shown]
	v_and_b32_e32 v2, v2, v25
	v_cndmask_b32_e64 v4, 1, 2, vcc_lo
	v_cmp_eq_u32_e32 vcc_lo, 0, v74
	v_cmp_ne_u32_e64 s12, 0, v76
	v_cmp_ne_u32_e64 s13, 0, v77
	s_mov_b32 s16, 0
	v_and_b32_e32 v2, v2, v4
	v_cndmask_b32_e64 v25, 1, 2, vcc_lo
	v_cmp_eq_u32_e32 vcc_lo, 0, v73
	s_mov_b32 s15, exec_lo
	s_delay_alu instid0(VALU_DEP_2) | instskip(SKIP_2) | instid1(VALU_DEP_2)
	v_and_b32_e32 v2, v2, v25
	v_cndmask_b32_e64 v4, 1, 2, vcc_lo
	v_cmp_eq_u32_e32 vcc_lo, 0, v72
	v_and_b32_e32 v2, v2, v4
	v_cndmask_b32_e64 v25, 1, 2, vcc_lo
	v_cmp_eq_u32_e32 vcc_lo, 0, v71
	s_delay_alu instid0(VALU_DEP_2) | instskip(SKIP_2) | instid1(VALU_DEP_2)
	v_and_b32_e32 v2, v2, v25
	v_cndmask_b32_e64 v4, 1, 2, vcc_lo
	v_cmp_eq_u32_e32 vcc_lo, 0, v70
	v_and_b32_e32 v2, v2, v4
	v_cndmask_b32_e64 v25, 1, 2, vcc_lo
	v_cmp_eq_u32_e32 vcc_lo, 0, v68
	;; [unrolled: 7-line block ×3, first 2 shown]
	s_delay_alu instid0(VALU_DEP_2) | instskip(SKIP_4) | instid1(VALU_DEP_4)
	v_and_b32_e32 v2, v2, v25
	v_cndmask_b32_e64 v4, 1, 2, vcc_lo
	v_cndmask_b32_e64 v25, 1, 2, s0
	v_cmp_eq_u32_e64 s0, 0, v69
	v_cmp_ne_u32_e32 vcc_lo, 0, v69
	v_and_b32_e32 v2, v2, v4
	s_delay_alu instid0(VALU_DEP_3) | instskip(SKIP_1) | instid1(VALU_DEP_3)
	v_cndmask_b32_e64 v4, 1, 2, s0
	v_cmp_ne_u32_e64 s0, 0, v64
	v_and_b32_e32 v2, v2, v25
	s_delay_alu instid0(VALU_DEP_1) | instskip(NEXT) | instid1(VALU_DEP_1)
	v_and_b32_e32 v2, v2, v26
	v_and_b32_e32 v2, v2, v4
	s_delay_alu instid0(VALU_DEP_1)
	v_cmpx_gt_i16_e32 2, v2
	s_cbranch_execz .LBB1028_131
; %bb.127:
	v_cmp_ne_u16_e64 s14, 1, v2
	s_delay_alu instid0(VALU_DEP_1) | instskip(NEXT) | instid1(SALU_CYCLE_1)
	s_and_saveexec_b32 s18, s14
	s_xor_b32 s14, exec_lo, s18
	s_cbranch_execnz .LBB1028_154
; %bb.128:
	s_and_not1_saveexec_b32 s0, s14
	s_cbranch_execnz .LBB1028_170
.LBB1028_129:
	s_or_b32 exec_lo, exec_lo, s0
	s_delay_alu instid0(SALU_CYCLE_1)
	s_and_b32 exec_lo, exec_lo, s16
	s_cbranch_execz .LBB1028_131
.LBB1028_130:
	v_sub_nc_u32_e32 v2, v49, v3
	s_delay_alu instid0(VALU_DEP_1)
	v_lshlrev_b32_e32 v2, 2, v2
	ds_store_b32 v2, v63
.LBB1028_131:
	s_or_b32 exec_lo, exec_lo, s15
	s_waitcnt vmcnt(0) lgkmcnt(0)
	s_barrier
	buffer_gl0_inv
.LBB1028_132:
	s_cmpk_lg_i32 s33, 0xf00
	v_cmp_eq_u32_e32 vcc_lo, 0, v0
	s_cselect_b32 s0, -1, 0
	v_cndmask_b32_e64 v13, 0, 1, s36
	s_and_b32 s0, s17, s0
	v_mad_i32_i24 v10, v0, -15, s33
	v_cndmask_b32_e64 v9, 0, 1, s0
	s_mul_hi_u32 s0, s33, 0x88888889
	s_and_b32 s1, vcc_lo, s36
	s_lshr_b32 s0, s0, 3
	v_sub_nc_u32_e32 v2, v1, v13
	v_cndmask_b32_e64 v11, v79, 0, s1
	v_cmp_eq_u32_e32 vcc_lo, s0, v0
	v_cmp_ne_u32_e64 s0, 0, v10
	s_mov_b32 s16, -1
	s_waitcnt vmcnt(0)
	s_barrier
	s_and_b32 vcc_lo, s17, vcc_lo
	v_add_nc_u32_e32 v2, v2, v9
	v_cndmask_b32_e64 v9, 1, v11, s0
	v_cmp_ne_u32_e64 s0, 1, v10
	buffer_gl0_inv
	v_cndmask_b32_e32 v18, v11, v9, vcc_lo
	v_cndmask_b32_e64 v12, 1, v77, s0
	v_cmp_ne_u32_e64 s0, 2, v10
	s_delay_alu instid0(VALU_DEP_2) | instskip(NEXT) | instid1(VALU_DEP_2)
	v_cndmask_b32_e32 v19, v77, v12, vcc_lo
	v_cndmask_b32_e64 v14, 1, v76, s0
	v_cmp_ne_u32_e64 s0, 14, v10
	s_delay_alu instid0(VALU_DEP_3) | instskip(NEXT) | instid1(VALU_DEP_2)
	v_cmp_ne_u32_e64 s13, 0, v19
	v_cndmask_b32_e64 v15, 1, v69, s0
	v_cmp_ne_u32_e64 s0, 3, v10
	s_delay_alu instid0(VALU_DEP_2) | instskip(NEXT) | instid1(VALU_DEP_2)
	v_dual_mov_b32 v4, 0 :: v_dual_cndmask_b32 v15, v69, v15
	v_cndmask_b32_e64 v16, 1, v75, s0
	v_cmp_ne_u32_e64 s0, 4, v10
	s_delay_alu instid0(VALU_DEP_1) | instskip(SKIP_1) | instid1(VALU_DEP_2)
	v_cndmask_b32_e64 v17, 1, v74, s0
	v_cmp_ne_u32_e64 s0, 5, v10
	v_dual_cndmask_b32 v14, v76, v14 :: v_dual_cndmask_b32 v17, v74, v17
	s_delay_alu instid0(VALU_DEP_2) | instskip(SKIP_2) | instid1(VALU_DEP_4)
	v_cndmask_b32_e64 v9, 1, v73, s0
	v_cmp_ne_u32_e64 s0, 6, v10
	v_cndmask_b32_e32 v16, v75, v16, vcc_lo
	v_cmp_ne_u32_e64 s12, 0, v14
	v_cmp_ne_u32_e64 s10, 0, v17
	v_cndmask_b32_e32 v27, v73, v9, vcc_lo
	v_cndmask_b32_e64 v11, 1, v72, s0
	v_cmp_eq_u32_e64 s0, 0, v18
	v_cmp_ne_u32_e64 s11, 0, v16
	s_delay_alu instid0(VALU_DEP_4) | instskip(NEXT) | instid1(VALU_DEP_3)
	v_cmp_ne_u32_e64 s9, 0, v27
	v_cndmask_b32_e64 v12, 1, 2, s0
	v_cmp_eq_u32_e64 s0, 0, v19
	s_delay_alu instid0(VALU_DEP_1) | instskip(SKIP_1) | instid1(VALU_DEP_1)
	v_cndmask_b32_e64 v20, 1, 2, s0
	v_cmp_ne_u32_e64 s0, 7, v10
	v_cndmask_b32_e64 v21, 1, v71, s0
	v_cmp_eq_u32_e64 s0, 0, v14
	s_delay_alu instid0(VALU_DEP_2) | instskip(NEXT) | instid1(VALU_DEP_2)
	v_dual_cndmask_b32 v21, v71, v21 :: v_dual_and_b32 v12, v20, v12
	v_cndmask_b32_e64 v20, 1, 2, s0
	v_cmp_ne_u32_e64 s0, 8, v10
	s_delay_alu instid0(VALU_DEP_3) | instskip(NEXT) | instid1(VALU_DEP_3)
	v_cmp_ne_u32_e64 s7, 0, v21
	v_and_b32_e32 v12, v12, v20
	s_delay_alu instid0(VALU_DEP_3) | instskip(SKIP_1) | instid1(VALU_DEP_2)
	v_cndmask_b32_e64 v22, 1, v70, s0
	v_cmp_ne_u32_e64 s0, 9, v10
	v_cndmask_b32_e32 v22, v70, v22, vcc_lo
	s_delay_alu instid0(VALU_DEP_2) | instskip(SKIP_1) | instid1(VALU_DEP_3)
	v_cndmask_b32_e64 v25, 1, v68, s0
	v_cmp_eq_u32_e64 s0, 0, v16
	v_cmp_ne_u32_e64 s6, 0, v22
	s_delay_alu instid0(VALU_DEP_3) | instskip(NEXT) | instid1(VALU_DEP_3)
	v_cndmask_b32_e32 v25, v68, v25, vcc_lo
	v_cndmask_b32_e64 v20, 1, 2, s0
	v_cmp_ne_u32_e64 s0, 10, v10
	s_delay_alu instid0(VALU_DEP_3) | instskip(NEXT) | instid1(VALU_DEP_3)
	v_cmp_ne_u32_e64 s5, 0, v25
	v_and_b32_e32 v9, v12, v20
	s_delay_alu instid0(VALU_DEP_3) | instskip(SKIP_2) | instid1(VALU_DEP_3)
	v_cndmask_b32_e64 v26, 1, v67, s0
	v_cmp_eq_u32_e64 s0, 0, v17
	v_cmp_ne_u32_e64 s14, 0, v18
	v_cndmask_b32_e32 v26, v67, v26, vcc_lo
	s_delay_alu instid0(VALU_DEP_3) | instskip(SKIP_1) | instid1(VALU_DEP_3)
	v_cndmask_b32_e64 v12, 1, 2, s0
	v_cmp_ne_u32_e64 s0, 11, v10
	v_cmp_ne_u32_e64 s4, 0, v26
	s_delay_alu instid0(VALU_DEP_3) | instskip(NEXT) | instid1(VALU_DEP_3)
	v_and_b32_e32 v9, v9, v12
	v_cndmask_b32_e64 v20, 1, v66, s0
	v_cmp_ne_u32_e64 s0, 13, v10
	s_delay_alu instid0(VALU_DEP_2) | instskip(NEXT) | instid1(VALU_DEP_2)
	v_cndmask_b32_e32 v20, v66, v20, vcc_lo
	v_cndmask_b32_e64 v28, 1, v64, s0
	v_cmp_eq_u32_e64 s0, 0, v27
	s_delay_alu instid0(VALU_DEP_3) | instskip(NEXT) | instid1(VALU_DEP_2)
	v_cmp_ne_u32_e64 s3, 0, v20
	v_cndmask_b32_e64 v12, 1, 2, s0
	v_cmp_ne_u32_e64 s0, 12, v10
	s_delay_alu instid0(VALU_DEP_2) | instskip(NEXT) | instid1(VALU_DEP_2)
	v_and_b32_e32 v9, v9, v12
	v_cndmask_b32_e64 v10, 1, v65, s0
	s_delay_alu instid0(VALU_DEP_1) | instskip(NEXT) | instid1(VALU_DEP_1)
	v_dual_cndmask_b32 v29, v72, v11 :: v_dual_cndmask_b32 v30, v65, v10
	v_cmp_eq_u32_e64 s0, 0, v29
	v_cmp_ne_u32_e64 s8, 0, v29
	s_delay_alu instid0(VALU_DEP_3) | instskip(NEXT) | instid1(VALU_DEP_3)
	v_cmp_ne_u32_e64 s2, 0, v30
	v_cndmask_b32_e64 v11, 1, 2, s0
	v_cmp_eq_u32_e64 s0, 0, v21
	v_cndmask_b32_e32 v28, v64, v28, vcc_lo
	v_cmp_eq_u32_e32 vcc_lo, 0, v22
	s_delay_alu instid0(VALU_DEP_4)
	v_and_b32_e32 v31, v9, v11
	v_lshlrev_b64 v[9:10], 2, v[23:24]
	v_cndmask_b32_e64 v32, 1, 2, s0
	v_lshlrev_b64 v[11:12], 2, v[3:4]
	v_cmp_ne_u32_e64 s1, 0, v28
	v_cmp_ne_u32_e64 s0, 0, v15
	s_delay_alu instid0(VALU_DEP_4) | instskip(SKIP_4) | instid1(VALU_DEP_4)
	v_and_b32_e32 v4, v31, v32
	v_cndmask_b32_e64 v31, 1, 2, vcc_lo
	v_add_co_u32 v9, vcc_lo, s24, v9
	v_add_co_ci_u32_e32 v10, vcc_lo, s25, v10, vcc_lo
	v_cmp_eq_u32_e32 vcc_lo, 0, v25
	v_and_b32_e32 v4, v4, v31
	v_cndmask_b32_e64 v31, 1, 2, vcc_lo
	v_add_co_u32 v9, vcc_lo, v9, v11
	v_add_co_ci_u32_e32 v10, vcc_lo, v10, v12, vcc_lo
	v_lshlrev_b32_e32 v11, 2, v13
	v_cmp_eq_u32_e32 vcc_lo, 0, v26
	v_and_b32_e32 v4, v4, v31
	v_cndmask_b32_e64 v12, 1, 2, vcc_lo
	s_delay_alu instid0(VALU_DEP_4) | instskip(SKIP_2) | instid1(VALU_DEP_4)
	v_add_co_u32 v11, vcc_lo, v11, v9
	v_add_co_ci_u32_e32 v31, vcc_lo, 0, v10, vcc_lo
	v_cmp_eq_u32_e32 vcc_lo, 0, v20
	v_and_b32_e32 v32, v4, v12
	v_add_nc_u32_e32 v4, v3, v13
	v_cndmask_b32_e64 v33, 1, 2, vcc_lo
	v_add_co_u32 v11, vcc_lo, v11, -4
	v_add_co_ci_u32_e32 v12, vcc_lo, -1, v31, vcc_lo
	v_cmp_eq_u32_e32 vcc_lo, 0, v30
	s_delay_alu instid0(VALU_DEP_4) | instskip(SKIP_2) | instid1(VALU_DEP_2)
	v_and_b32_e32 v13, v32, v33
	v_cndmask_b32_e64 v31, 1, 2, vcc_lo
	v_cmp_eq_u32_e32 vcc_lo, 0, v28
	v_and_b32_e32 v13, v13, v31
	v_cndmask_b32_e64 v14, 1, 2, vcc_lo
	v_cmp_eq_u32_e32 vcc_lo, 0, v15
	s_delay_alu instid0(VALU_DEP_2) | instskip(SKIP_2) | instid1(VALU_DEP_2)
	v_and_b32_e32 v13, v13, v14
	v_cndmask_b32_e64 v14, 1, 2, vcc_lo
	v_cmp_gt_u32_e32 vcc_lo, 0x100, v2
	v_and_b32_e32 v13, v13, v14
	s_delay_alu instid0(VALU_DEP_1)
	v_cmp_gt_i16_e64 s15, 2, v13
	s_cbranch_vccnz .LBB1028_136
; %bb.133:
	s_and_b32 vcc_lo, exec_lo, s16
	s_cbranch_vccnz .LBB1028_142
.LBB1028_134:
	v_cmp_eq_u32_e32 vcc_lo, 0xff, v0
	s_and_b32 s0, vcc_lo, s17
	s_delay_alu instid0(SALU_CYCLE_1)
	s_and_saveexec_b32 s1, s0
	s_cbranch_execnz .LBB1028_151
.LBB1028_135:
	s_nop 0
	s_sendmsg sendmsg(MSG_DEALLOC_VGPRS)
	s_endpgm
.LBB1028_136:
	s_delay_alu instid0(VALU_DEP_1)
	s_and_saveexec_b32 s16, s15
	s_cbranch_execz .LBB1028_141
; %bb.137:
	s_mov_b32 s18, 0
	s_mov_b32 s15, exec_lo
	v_cmpx_ne_u16_e32 1, v13
	s_xor_b32 s15, exec_lo, s15
	s_cbranch_execnz .LBB1028_171
; %bb.138:
	s_and_not1_saveexec_b32 s15, s15
	s_cbranch_execnz .LBB1028_187
.LBB1028_139:
	s_or_b32 exec_lo, exec_lo, s15
	s_delay_alu instid0(SALU_CYCLE_1)
	s_and_b32 exec_lo, exec_lo, s18
	s_cbranch_execz .LBB1028_141
.LBB1028_140:
	v_sub_nc_u32_e32 v14, v49, v4
	v_mov_b32_e32 v15, 0
	s_delay_alu instid0(VALU_DEP_1) | instskip(NEXT) | instid1(VALU_DEP_1)
	v_lshlrev_b64 v[14:15], 2, v[14:15]
	v_add_co_u32 v14, vcc_lo, v11, v14
	s_delay_alu instid0(VALU_DEP_2)
	v_add_co_ci_u32_e32 v15, vcc_lo, v12, v15, vcc_lo
	global_store_b32 v[14:15], v50, off
.LBB1028_141:
	s_or_b32 exec_lo, exec_lo, s16
	s_branch .LBB1028_134
.LBB1028_142:
	s_mov_b32 s15, exec_lo
	v_cmpx_gt_i16_e32 2, v13
	s_cbranch_execz .LBB1028_147
; %bb.143:
	s_mov_b32 s18, 0
	s_mov_b32 s16, exec_lo
	v_cmpx_ne_u16_e32 1, v13
	s_xor_b32 s16, exec_lo, s16
	s_cbranch_execnz .LBB1028_188
; %bb.144:
	s_and_not1_saveexec_b32 s0, s16
	s_cbranch_execnz .LBB1028_204
.LBB1028_145:
	s_or_b32 exec_lo, exec_lo, s0
	s_delay_alu instid0(SALU_CYCLE_1)
	s_and_b32 exec_lo, exec_lo, s18
	s_cbranch_execz .LBB1028_147
.LBB1028_146:
	v_sub_nc_u32_e32 v4, v49, v4
	s_delay_alu instid0(VALU_DEP_1)
	v_lshlrev_b32_e32 v4, 2, v4
	ds_store_b32 v4, v50
.LBB1028_147:
	s_or_b32 exec_lo, exec_lo, s15
	s_delay_alu instid0(SALU_CYCLE_1)
	s_mov_b32 s1, exec_lo
	s_waitcnt lgkmcnt(0)
	s_waitcnt_vscnt null, 0x0
	s_barrier
	buffer_gl0_inv
	v_cmpx_lt_u32_e64 v0, v2
	s_cbranch_execz .LBB1028_150
; %bb.148:
	v_dual_mov_b32 v5, 0 :: v_dual_lshlrev_b32 v6, 2, v0
	v_mov_b32_e32 v4, v0
	s_mov_b32 s2, 0
	.p2align	6
.LBB1028_149:                           ; =>This Inner Loop Header: Depth=1
	ds_load_b32 v13, v6
	v_lshlrev_b64 v[7:8], 2, v[4:5]
	v_add_nc_u32_e32 v4, 0x100, v4
	v_add_nc_u32_e32 v6, 0x400, v6
	s_delay_alu instid0(VALU_DEP_2) | instskip(NEXT) | instid1(VALU_DEP_4)
	v_cmp_ge_u32_e32 vcc_lo, v4, v2
	v_add_co_u32 v7, s0, v11, v7
	s_delay_alu instid0(VALU_DEP_1)
	v_add_co_ci_u32_e64 v8, s0, v12, v8, s0
	s_or_b32 s2, vcc_lo, s2
	s_waitcnt lgkmcnt(0)
	global_store_b32 v[7:8], v13, off
	s_and_not1_b32 exec_lo, exec_lo, s2
	s_cbranch_execnz .LBB1028_149
.LBB1028_150:
	s_or_b32 exec_lo, exec_lo, s1
	v_cmp_eq_u32_e32 vcc_lo, 0xff, v0
	s_and_b32 s0, vcc_lo, s17
	s_delay_alu instid0(SALU_CYCLE_1)
	s_and_saveexec_b32 s1, s0
	s_cbranch_execz .LBB1028_135
.LBB1028_151:
	v_add_co_u32 v0, s0, v1, v3
	s_delay_alu instid0(VALU_DEP_1) | instskip(SKIP_1) | instid1(VALU_DEP_3)
	v_add_co_ci_u32_e64 v4, null, 0, 0, s0
	v_mov_b32_e32 v2, 0
	v_add_co_u32 v3, vcc_lo, v0, v23
	s_delay_alu instid0(VALU_DEP_3)
	v_add_co_ci_u32_e32 v4, vcc_lo, v4, v24, vcc_lo
	s_cmpk_lg_i32 s33, 0xf00
	global_store_b64 v2, v[3:4], s[26:27]
	s_cbranch_scc1 .LBB1028_135
; %bb.152:
	v_lshlrev_b64 v[0:1], 2, v[1:2]
	s_delay_alu instid0(VALU_DEP_1) | instskip(NEXT) | instid1(VALU_DEP_2)
	v_add_co_u32 v0, vcc_lo, v9, v0
	v_add_co_ci_u32_e32 v1, vcc_lo, v10, v1, vcc_lo
	global_store_b32 v[0:1], v80, off offset:-4
	s_nop 0
	s_sendmsg sendmsg(MSG_DEALLOC_VGPRS)
	s_endpgm
.LBB1028_153:
	s_or_b32 exec_lo, exec_lo, s2
	v_mov_b32_e32 v79, s1
	s_and_saveexec_b32 s1, s39
	s_cbranch_execnz .LBB1028_84
	s_branch .LBB1028_85
.LBB1028_154:
	s_and_saveexec_b32 s16, s11
	s_cbranch_execnz .LBB1028_205
; %bb.155:
	s_or_b32 exec_lo, exec_lo, s16
	s_and_saveexec_b32 s11, s13
	s_cbranch_execnz .LBB1028_206
.LBB1028_156:
	s_or_b32 exec_lo, exec_lo, s11
	s_and_saveexec_b32 s11, s12
	s_cbranch_execnz .LBB1028_207
.LBB1028_157:
	s_or_b32 exec_lo, exec_lo, s11
	s_and_saveexec_b32 s11, s10
	s_cbranch_execnz .LBB1028_208
.LBB1028_158:
	s_or_b32 exec_lo, exec_lo, s11
	s_and_saveexec_b32 s10, s9
	s_cbranch_execnz .LBB1028_209
.LBB1028_159:
	s_or_b32 exec_lo, exec_lo, s10
	s_and_saveexec_b32 s9, s8
	s_cbranch_execnz .LBB1028_210
.LBB1028_160:
	s_or_b32 exec_lo, exec_lo, s9
	s_and_saveexec_b32 s8, s7
	s_cbranch_execnz .LBB1028_211
.LBB1028_161:
	s_or_b32 exec_lo, exec_lo, s8
	s_and_saveexec_b32 s7, s6
	s_cbranch_execnz .LBB1028_212
.LBB1028_162:
	s_or_b32 exec_lo, exec_lo, s7
	s_and_saveexec_b32 s6, s5
	s_cbranch_execnz .LBB1028_213
.LBB1028_163:
	s_or_b32 exec_lo, exec_lo, s6
	s_and_saveexec_b32 s5, s4
	s_cbranch_execnz .LBB1028_214
.LBB1028_164:
	s_or_b32 exec_lo, exec_lo, s5
	s_and_saveexec_b32 s4, s3
	s_cbranch_execnz .LBB1028_215
.LBB1028_165:
	s_or_b32 exec_lo, exec_lo, s4
	s_and_saveexec_b32 s3, s2
	s_cbranch_execnz .LBB1028_216
.LBB1028_166:
	s_or_b32 exec_lo, exec_lo, s3
	s_and_saveexec_b32 s2, s1
	s_cbranch_execnz .LBB1028_217
.LBB1028_167:
	s_or_b32 exec_lo, exec_lo, s2
	s_and_saveexec_b32 s1, s0
	s_cbranch_execz .LBB1028_169
.LBB1028_168:
	v_sub_nc_u32_e32 v2, v57, v3
	s_delay_alu instid0(VALU_DEP_1)
	v_lshlrev_b32_e32 v2, 2, v2
	ds_store_b32 v2, v10
.LBB1028_169:
	s_or_b32 exec_lo, exec_lo, s1
	s_delay_alu instid0(SALU_CYCLE_1)
	s_and_b32 s16, vcc_lo, exec_lo
                                        ; implicit-def: $vgpr21
                                        ; implicit-def: $vgpr19
                                        ; implicit-def: $vgpr17
                                        ; implicit-def: $vgpr15
                                        ; implicit-def: $vgpr13
                                        ; implicit-def: $vgpr11
                                        ; implicit-def: $vgpr9
	s_and_not1_saveexec_b32 s0, s14
	s_cbranch_execz .LBB1028_129
.LBB1028_170:
	v_sub_nc_u32_e32 v2, v53, v3
	v_sub_nc_u32_e32 v4, v59, v3
	;; [unrolled: 1-line block ×4, first 2 shown]
	s_or_b32 s16, s16, exec_lo
	v_lshlrev_b32_e32 v2, 2, v2
	v_lshlrev_b32_e32 v4, 2, v4
	;; [unrolled: 1-line block ×4, first 2 shown]
	ds_store_b32 v2, v21
	ds_store_b32 v4, v22
	;; [unrolled: 1-line block ×3, first 2 shown]
	v_sub_nc_u32_e32 v2, v45, v3
	v_sub_nc_u32_e32 v4, v41, v3
	v_sub_nc_u32_e32 v19, v39, v3
	ds_store_b32 v26, v20
	v_sub_nc_u32_e32 v20, v43, v3
	v_lshlrev_b32_e32 v2, 2, v2
	v_sub_nc_u32_e32 v21, v47, v3
	v_lshlrev_b32_e32 v4, 2, v4
	v_lshlrev_b32_e32 v19, 2, v19
	;; [unrolled: 1-line block ×3, first 2 shown]
	ds_store_b32 v2, v17
	v_lshlrev_b32_e32 v2, 2, v21
	ds_store_b32 v4, v18
	ds_store_b32 v19, v15
	ds_store_b32 v20, v16
	v_sub_nc_u32_e32 v4, v5, v3
	v_sub_nc_u32_e32 v16, v57, v3
	;; [unrolled: 1-line block ×3, first 2 shown]
	ds_store_b32 v2, v13
	v_sub_nc_u32_e32 v2, v7, v3
	v_lshlrev_b32_e32 v4, 2, v4
	v_sub_nc_u32_e32 v13, v37, v3
	v_lshlrev_b32_e32 v15, 2, v15
	s_delay_alu instid0(VALU_DEP_4)
	v_lshlrev_b32_e32 v2, 2, v2
	ds_store_b32 v4, v14
	v_lshlrev_b32_e32 v4, 2, v16
	v_lshlrev_b32_e32 v13, 2, v13
	ds_store_b32 v2, v11
	ds_store_b32 v13, v12
	;; [unrolled: 1-line block ×4, first 2 shown]
	s_or_b32 exec_lo, exec_lo, s0
	s_delay_alu instid0(SALU_CYCLE_1)
	s_and_b32 exec_lo, exec_lo, s16
	s_cbranch_execnz .LBB1028_130
	s_branch .LBB1028_131
.LBB1028_171:
	s_and_saveexec_b32 s18, s14
	s_cbranch_execnz .LBB1028_218
; %bb.172:
	s_or_b32 exec_lo, exec_lo, s18
	s_and_saveexec_b32 s18, s13
	s_cbranch_execnz .LBB1028_219
.LBB1028_173:
	s_or_b32 exec_lo, exec_lo, s18
	s_and_saveexec_b32 s18, s12
	s_cbranch_execnz .LBB1028_220
.LBB1028_174:
	s_or_b32 exec_lo, exec_lo, s18
	s_and_saveexec_b32 s18, s11
	s_cbranch_execnz .LBB1028_221
.LBB1028_175:
	s_or_b32 exec_lo, exec_lo, s18
	s_and_saveexec_b32 s18, s10
	s_cbranch_execnz .LBB1028_222
.LBB1028_176:
	s_or_b32 exec_lo, exec_lo, s18
	s_and_saveexec_b32 s18, s9
	s_cbranch_execnz .LBB1028_223
.LBB1028_177:
	s_or_b32 exec_lo, exec_lo, s18
	s_and_saveexec_b32 s18, s8
	s_cbranch_execnz .LBB1028_224
.LBB1028_178:
	s_or_b32 exec_lo, exec_lo, s18
	s_and_saveexec_b32 s18, s7
	s_cbranch_execnz .LBB1028_225
.LBB1028_179:
	s_or_b32 exec_lo, exec_lo, s18
	s_and_saveexec_b32 s18, s6
	s_cbranch_execnz .LBB1028_226
.LBB1028_180:
	s_or_b32 exec_lo, exec_lo, s18
	s_and_saveexec_b32 s18, s5
	s_cbranch_execnz .LBB1028_227
.LBB1028_181:
	s_or_b32 exec_lo, exec_lo, s18
	s_and_saveexec_b32 s18, s4
	s_cbranch_execnz .LBB1028_228
.LBB1028_182:
	s_or_b32 exec_lo, exec_lo, s18
	s_and_saveexec_b32 s18, s3
	s_cbranch_execnz .LBB1028_229
.LBB1028_183:
	s_or_b32 exec_lo, exec_lo, s18
	s_and_saveexec_b32 s18, s2
	s_cbranch_execnz .LBB1028_230
.LBB1028_184:
	s_or_b32 exec_lo, exec_lo, s18
	s_and_saveexec_b32 s18, s1
	s_cbranch_execz .LBB1028_186
.LBB1028_185:
	v_sub_nc_u32_e32 v14, v57, v4
	v_mov_b32_e32 v15, 0
	s_delay_alu instid0(VALU_DEP_1) | instskip(NEXT) | instid1(VALU_DEP_1)
	v_lshlrev_b64 v[14:15], 2, v[14:15]
	v_add_co_u32 v14, vcc_lo, v11, v14
	s_delay_alu instid0(VALU_DEP_2)
	v_add_co_ci_u32_e32 v15, vcc_lo, v12, v15, vcc_lo
	global_store_b32 v[14:15], v58, off
.LBB1028_186:
	s_or_b32 exec_lo, exec_lo, s18
	s_delay_alu instid0(SALU_CYCLE_1)
	s_and_b32 s18, s0, exec_lo
	s_and_not1_saveexec_b32 s15, s15
	s_cbranch_execz .LBB1028_139
.LBB1028_187:
	v_sub_nc_u32_e32 v14, v53, v4
	v_mov_b32_e32 v15, 0
	s_or_b32 s18, s18, exec_lo
	s_delay_alu instid0(VALU_DEP_1) | instskip(SKIP_1) | instid1(VALU_DEP_1)
	v_lshlrev_b64 v[16:17], 2, v[14:15]
	v_sub_nc_u32_e32 v14, v59, v4
	v_lshlrev_b64 v[18:19], 2, v[14:15]
	v_sub_nc_u32_e32 v14, v55, v4
	s_delay_alu instid0(VALU_DEP_4) | instskip(SKIP_1) | instid1(VALU_DEP_3)
	v_add_co_u32 v16, vcc_lo, v11, v16
	v_add_co_ci_u32_e32 v17, vcc_lo, v12, v17, vcc_lo
	v_lshlrev_b64 v[20:21], 2, v[14:15]
	v_sub_nc_u32_e32 v14, v51, v4
	v_add_co_u32 v18, vcc_lo, v11, v18
	v_add_co_ci_u32_e32 v19, vcc_lo, v12, v19, vcc_lo
	global_store_b32 v[16:17], v54, off
	v_lshlrev_b64 v[16:17], 2, v[14:15]
	v_sub_nc_u32_e32 v14, v45, v4
	global_store_b32 v[18:19], v60, off
	v_add_co_u32 v18, vcc_lo, v11, v20
	v_add_co_ci_u32_e32 v19, vcc_lo, v12, v21, vcc_lo
	v_lshlrev_b64 v[20:21], 2, v[14:15]
	v_sub_nc_u32_e32 v14, v41, v4
	v_add_co_u32 v16, vcc_lo, v11, v16
	v_add_co_ci_u32_e32 v17, vcc_lo, v12, v17, vcc_lo
	s_delay_alu instid0(VALU_DEP_3) | instskip(SKIP_3) | instid1(VALU_DEP_3)
	v_lshlrev_b64 v[25:26], 2, v[14:15]
	v_sub_nc_u32_e32 v14, v39, v4
	v_add_co_u32 v20, vcc_lo, v11, v20
	v_add_co_ci_u32_e32 v21, vcc_lo, v12, v21, vcc_lo
	v_lshlrev_b64 v[27:28], 2, v[14:15]
	v_sub_nc_u32_e32 v14, v43, v4
	v_add_co_u32 v25, vcc_lo, v11, v25
	v_add_co_ci_u32_e32 v26, vcc_lo, v12, v26, vcc_lo
	s_clause 0x3
	global_store_b32 v[18:19], v56, off
	global_store_b32 v[16:17], v52, off
	;; [unrolled: 1-line block ×4, first 2 shown]
	v_lshlrev_b64 v[16:17], 2, v[14:15]
	v_sub_nc_u32_e32 v14, v47, v4
	v_add_co_u32 v18, vcc_lo, v11, v27
	v_add_co_ci_u32_e32 v19, vcc_lo, v12, v28, vcc_lo
	s_delay_alu instid0(VALU_DEP_3) | instskip(SKIP_3) | instid1(VALU_DEP_3)
	v_lshlrev_b64 v[20:21], 2, v[14:15]
	v_sub_nc_u32_e32 v14, v5, v4
	v_add_co_u32 v16, vcc_lo, v11, v16
	v_add_co_ci_u32_e32 v17, vcc_lo, v12, v17, vcc_lo
	v_lshlrev_b64 v[25:26], 2, v[14:15]
	v_sub_nc_u32_e32 v14, v7, v4
	v_add_co_u32 v20, vcc_lo, v11, v20
	v_add_co_ci_u32_e32 v21, vcc_lo, v12, v21, vcc_lo
	s_delay_alu instid0(VALU_DEP_3)
	v_lshlrev_b64 v[27:28], 2, v[14:15]
	v_sub_nc_u32_e32 v14, v37, v4
	v_add_co_u32 v25, vcc_lo, v11, v25
	v_add_co_ci_u32_e32 v26, vcc_lo, v12, v26, vcc_lo
	s_clause 0x3
	global_store_b32 v[18:19], v40, off
	global_store_b32 v[16:17], v44, off
	;; [unrolled: 1-line block ×4, first 2 shown]
	v_lshlrev_b64 v[16:17], 2, v[14:15]
	v_sub_nc_u32_e32 v14, v61, v4
	v_add_co_u32 v18, vcc_lo, v11, v27
	v_add_co_ci_u32_e32 v19, vcc_lo, v12, v28, vcc_lo
	s_delay_alu instid0(VALU_DEP_3) | instskip(SKIP_3) | instid1(VALU_DEP_3)
	v_lshlrev_b64 v[20:21], 2, v[14:15]
	v_sub_nc_u32_e32 v14, v57, v4
	v_add_co_u32 v16, vcc_lo, v11, v16
	v_add_co_ci_u32_e32 v17, vcc_lo, v12, v17, vcc_lo
	v_lshlrev_b64 v[14:15], 2, v[14:15]
	v_add_co_u32 v20, vcc_lo, v11, v20
	v_add_co_ci_u32_e32 v21, vcc_lo, v12, v21, vcc_lo
	s_clause 0x2
	global_store_b32 v[18:19], v8, off
	global_store_b32 v[16:17], v38, off
	;; [unrolled: 1-line block ×3, first 2 shown]
	v_add_co_u32 v14, vcc_lo, v11, v14
	v_add_co_ci_u32_e32 v15, vcc_lo, v12, v15, vcc_lo
	global_store_b32 v[14:15], v58, off
	s_or_b32 exec_lo, exec_lo, s15
	s_delay_alu instid0(SALU_CYCLE_1)
	s_and_b32 exec_lo, exec_lo, s18
	s_cbranch_execnz .LBB1028_140
	s_branch .LBB1028_141
.LBB1028_188:
	s_and_saveexec_b32 s18, s14
	s_cbranch_execnz .LBB1028_231
; %bb.189:
	s_or_b32 exec_lo, exec_lo, s18
	s_and_saveexec_b32 s14, s13
	s_cbranch_execnz .LBB1028_232
.LBB1028_190:
	s_or_b32 exec_lo, exec_lo, s14
	s_and_saveexec_b32 s13, s12
	s_cbranch_execnz .LBB1028_233
.LBB1028_191:
	s_or_b32 exec_lo, exec_lo, s13
	s_and_saveexec_b32 s12, s11
	s_cbranch_execnz .LBB1028_234
.LBB1028_192:
	s_or_b32 exec_lo, exec_lo, s12
	s_and_saveexec_b32 s11, s10
	s_cbranch_execnz .LBB1028_235
.LBB1028_193:
	s_or_b32 exec_lo, exec_lo, s11
	s_and_saveexec_b32 s10, s9
	s_cbranch_execnz .LBB1028_236
.LBB1028_194:
	s_or_b32 exec_lo, exec_lo, s10
	s_and_saveexec_b32 s9, s8
	s_cbranch_execnz .LBB1028_237
.LBB1028_195:
	s_or_b32 exec_lo, exec_lo, s9
	s_and_saveexec_b32 s8, s7
	s_cbranch_execnz .LBB1028_238
.LBB1028_196:
	s_or_b32 exec_lo, exec_lo, s8
	s_and_saveexec_b32 s7, s6
	s_cbranch_execnz .LBB1028_239
.LBB1028_197:
	s_or_b32 exec_lo, exec_lo, s7
	s_and_saveexec_b32 s6, s5
	s_cbranch_execnz .LBB1028_240
.LBB1028_198:
	s_or_b32 exec_lo, exec_lo, s6
	s_and_saveexec_b32 s5, s4
	s_cbranch_execnz .LBB1028_241
.LBB1028_199:
	s_or_b32 exec_lo, exec_lo, s5
	s_and_saveexec_b32 s4, s3
	s_cbranch_execnz .LBB1028_242
.LBB1028_200:
	s_or_b32 exec_lo, exec_lo, s4
	s_and_saveexec_b32 s3, s2
	s_cbranch_execnz .LBB1028_243
.LBB1028_201:
	s_or_b32 exec_lo, exec_lo, s3
	s_and_saveexec_b32 s2, s1
	s_cbranch_execz .LBB1028_203
.LBB1028_202:
	v_sub_nc_u32_e32 v5, v57, v4
	s_delay_alu instid0(VALU_DEP_1)
	v_lshlrev_b32_e32 v5, 2, v5
	ds_store_b32 v5, v58
.LBB1028_203:
	s_or_b32 exec_lo, exec_lo, s2
	s_delay_alu instid0(SALU_CYCLE_1)
	s_and_b32 s18, s0, exec_lo
                                        ; implicit-def: $vgpr53_vgpr54
                                        ; implicit-def: $vgpr59_vgpr60
                                        ; implicit-def: $vgpr55_vgpr56
                                        ; implicit-def: $vgpr51_vgpr52
                                        ; implicit-def: $vgpr45_vgpr46
                                        ; implicit-def: $vgpr41_vgpr42
                                        ; implicit-def: $vgpr39_vgpr40
                                        ; implicit-def: $vgpr43_vgpr44
                                        ; implicit-def: $vgpr47_vgpr48
                                        ; implicit-def: $vgpr5_vgpr6
                                        ; implicit-def: $vgpr7_vgpr8
                                        ; implicit-def: $vgpr37_vgpr38
                                        ; implicit-def: $vgpr61_vgpr62
                                        ; implicit-def: $vgpr57_vgpr58
	s_and_not1_saveexec_b32 s0, s16
	s_cbranch_execz .LBB1028_145
.LBB1028_204:
	v_sub_nc_u32_e32 v13, v53, v4
	v_sub_nc_u32_e32 v14, v59, v4
	v_sub_nc_u32_e32 v15, v55, v4
	v_sub_nc_u32_e32 v16, v51, v4
	v_sub_nc_u32_e32 v17, v47, v4
	v_lshlrev_b32_e32 v13, 2, v13
	v_lshlrev_b32_e32 v14, 2, v14
	;; [unrolled: 1-line block ×4, first 2 shown]
	v_sub_nc_u32_e32 v5, v5, v4
	ds_store_b32 v13, v54
	ds_store_b32 v14, v60
	;; [unrolled: 1-line block ×3, first 2 shown]
	v_sub_nc_u32_e32 v13, v45, v4
	v_sub_nc_u32_e32 v14, v41, v4
	;; [unrolled: 1-line block ×3, first 2 shown]
	ds_store_b32 v16, v52
	v_sub_nc_u32_e32 v16, v43, v4
	v_lshlrev_b32_e32 v13, 2, v13
	v_lshlrev_b32_e32 v14, 2, v14
	v_lshlrev_b32_e32 v15, 2, v15
	v_sub_nc_u32_e32 v7, v7, v4
	v_lshlrev_b32_e32 v16, 2, v16
	ds_store_b32 v13, v46
	v_lshlrev_b32_e32 v13, 2, v17
	ds_store_b32 v14, v42
	ds_store_b32 v15, v40
	;; [unrolled: 1-line block ×3, first 2 shown]
	v_lshlrev_b32_e32 v5, 2, v5
	v_sub_nc_u32_e32 v15, v57, v4
	v_sub_nc_u32_e32 v14, v61, v4
	ds_store_b32 v13, v48
	v_sub_nc_u32_e32 v13, v37, v4
	v_lshlrev_b32_e32 v7, 2, v7
	ds_store_b32 v5, v6
	v_lshlrev_b32_e32 v5, 2, v15
	v_lshlrev_b32_e32 v14, 2, v14
	;; [unrolled: 1-line block ×3, first 2 shown]
	s_or_b32 s18, s18, exec_lo
	ds_store_b32 v7, v8
	ds_store_b32 v13, v38
	;; [unrolled: 1-line block ×4, first 2 shown]
	s_or_b32 exec_lo, exec_lo, s0
	s_delay_alu instid0(SALU_CYCLE_1)
	s_and_b32 exec_lo, exec_lo, s18
	s_cbranch_execnz .LBB1028_146
	s_branch .LBB1028_147
.LBB1028_205:
	v_sub_nc_u32_e32 v2, v53, v3
	s_delay_alu instid0(VALU_DEP_1)
	v_lshlrev_b32_e32 v2, 2, v2
	ds_store_b32 v2, v21
	s_or_b32 exec_lo, exec_lo, s16
	s_and_saveexec_b32 s11, s13
	s_cbranch_execz .LBB1028_156
.LBB1028_206:
	v_sub_nc_u32_e32 v2, v59, v3
	s_delay_alu instid0(VALU_DEP_1)
	v_lshlrev_b32_e32 v2, 2, v2
	ds_store_b32 v2, v22
	s_or_b32 exec_lo, exec_lo, s11
	s_and_saveexec_b32 s11, s12
	s_cbranch_execz .LBB1028_157
.LBB1028_207:
	v_sub_nc_u32_e32 v2, v55, v3
	s_delay_alu instid0(VALU_DEP_1)
	v_lshlrev_b32_e32 v2, 2, v2
	ds_store_b32 v2, v19
	s_or_b32 exec_lo, exec_lo, s11
	s_and_saveexec_b32 s11, s10
	s_cbranch_execz .LBB1028_158
.LBB1028_208:
	v_sub_nc_u32_e32 v2, v51, v3
	s_delay_alu instid0(VALU_DEP_1)
	v_lshlrev_b32_e32 v2, 2, v2
	ds_store_b32 v2, v20
	s_or_b32 exec_lo, exec_lo, s11
	s_and_saveexec_b32 s10, s9
	s_cbranch_execz .LBB1028_159
.LBB1028_209:
	v_sub_nc_u32_e32 v2, v45, v3
	s_delay_alu instid0(VALU_DEP_1)
	v_lshlrev_b32_e32 v2, 2, v2
	ds_store_b32 v2, v17
	s_or_b32 exec_lo, exec_lo, s10
	s_and_saveexec_b32 s9, s8
	s_cbranch_execz .LBB1028_160
.LBB1028_210:
	v_sub_nc_u32_e32 v2, v41, v3
	s_delay_alu instid0(VALU_DEP_1)
	v_lshlrev_b32_e32 v2, 2, v2
	ds_store_b32 v2, v18
	s_or_b32 exec_lo, exec_lo, s9
	s_and_saveexec_b32 s8, s7
	s_cbranch_execz .LBB1028_161
.LBB1028_211:
	v_sub_nc_u32_e32 v2, v39, v3
	s_delay_alu instid0(VALU_DEP_1)
	v_lshlrev_b32_e32 v2, 2, v2
	ds_store_b32 v2, v15
	s_or_b32 exec_lo, exec_lo, s8
	s_and_saveexec_b32 s7, s6
	s_cbranch_execz .LBB1028_162
.LBB1028_212:
	v_sub_nc_u32_e32 v2, v43, v3
	s_delay_alu instid0(VALU_DEP_1)
	v_lshlrev_b32_e32 v2, 2, v2
	ds_store_b32 v2, v16
	s_or_b32 exec_lo, exec_lo, s7
	s_and_saveexec_b32 s6, s5
	s_cbranch_execz .LBB1028_163
.LBB1028_213:
	v_sub_nc_u32_e32 v2, v47, v3
	s_delay_alu instid0(VALU_DEP_1)
	v_lshlrev_b32_e32 v2, 2, v2
	ds_store_b32 v2, v13
	s_or_b32 exec_lo, exec_lo, s6
	s_and_saveexec_b32 s5, s4
	s_cbranch_execz .LBB1028_164
.LBB1028_214:
	v_sub_nc_u32_e32 v2, v5, v3
	s_delay_alu instid0(VALU_DEP_1)
	v_lshlrev_b32_e32 v2, 2, v2
	ds_store_b32 v2, v14
	s_or_b32 exec_lo, exec_lo, s5
	s_and_saveexec_b32 s4, s3
	s_cbranch_execz .LBB1028_165
.LBB1028_215:
	v_sub_nc_u32_e32 v2, v7, v3
	s_delay_alu instid0(VALU_DEP_1)
	v_lshlrev_b32_e32 v2, 2, v2
	ds_store_b32 v2, v11
	s_or_b32 exec_lo, exec_lo, s4
	s_and_saveexec_b32 s3, s2
	s_cbranch_execz .LBB1028_166
.LBB1028_216:
	v_sub_nc_u32_e32 v2, v37, v3
	s_delay_alu instid0(VALU_DEP_1)
	v_lshlrev_b32_e32 v2, 2, v2
	ds_store_b32 v2, v12
	s_or_b32 exec_lo, exec_lo, s3
	s_and_saveexec_b32 s2, s1
	s_cbranch_execz .LBB1028_167
.LBB1028_217:
	v_sub_nc_u32_e32 v2, v61, v3
	s_delay_alu instid0(VALU_DEP_1)
	v_lshlrev_b32_e32 v2, 2, v2
	ds_store_b32 v2, v9
	s_or_b32 exec_lo, exec_lo, s2
	s_and_saveexec_b32 s1, s0
	s_cbranch_execnz .LBB1028_168
	s_branch .LBB1028_169
.LBB1028_218:
	v_sub_nc_u32_e32 v14, v53, v4
	v_mov_b32_e32 v15, 0
	s_delay_alu instid0(VALU_DEP_1) | instskip(NEXT) | instid1(VALU_DEP_1)
	v_lshlrev_b64 v[14:15], 2, v[14:15]
	v_add_co_u32 v14, vcc_lo, v11, v14
	s_delay_alu instid0(VALU_DEP_2)
	v_add_co_ci_u32_e32 v15, vcc_lo, v12, v15, vcc_lo
	global_store_b32 v[14:15], v54, off
	s_or_b32 exec_lo, exec_lo, s18
	s_and_saveexec_b32 s18, s13
	s_cbranch_execz .LBB1028_173
.LBB1028_219:
	v_sub_nc_u32_e32 v14, v59, v4
	v_mov_b32_e32 v15, 0
	s_delay_alu instid0(VALU_DEP_1) | instskip(NEXT) | instid1(VALU_DEP_1)
	v_lshlrev_b64 v[14:15], 2, v[14:15]
	v_add_co_u32 v14, vcc_lo, v11, v14
	s_delay_alu instid0(VALU_DEP_2)
	v_add_co_ci_u32_e32 v15, vcc_lo, v12, v15, vcc_lo
	global_store_b32 v[14:15], v60, off
	s_or_b32 exec_lo, exec_lo, s18
	s_and_saveexec_b32 s18, s12
	s_cbranch_execz .LBB1028_174
.LBB1028_220:
	v_sub_nc_u32_e32 v14, v55, v4
	v_mov_b32_e32 v15, 0
	s_delay_alu instid0(VALU_DEP_1) | instskip(NEXT) | instid1(VALU_DEP_1)
	v_lshlrev_b64 v[14:15], 2, v[14:15]
	v_add_co_u32 v14, vcc_lo, v11, v14
	s_delay_alu instid0(VALU_DEP_2)
	v_add_co_ci_u32_e32 v15, vcc_lo, v12, v15, vcc_lo
	global_store_b32 v[14:15], v56, off
	s_or_b32 exec_lo, exec_lo, s18
	s_and_saveexec_b32 s18, s11
	s_cbranch_execz .LBB1028_175
.LBB1028_221:
	v_sub_nc_u32_e32 v14, v51, v4
	v_mov_b32_e32 v15, 0
	s_delay_alu instid0(VALU_DEP_1) | instskip(NEXT) | instid1(VALU_DEP_1)
	v_lshlrev_b64 v[14:15], 2, v[14:15]
	v_add_co_u32 v14, vcc_lo, v11, v14
	s_delay_alu instid0(VALU_DEP_2)
	v_add_co_ci_u32_e32 v15, vcc_lo, v12, v15, vcc_lo
	global_store_b32 v[14:15], v52, off
	s_or_b32 exec_lo, exec_lo, s18
	s_and_saveexec_b32 s18, s10
	s_cbranch_execz .LBB1028_176
.LBB1028_222:
	v_sub_nc_u32_e32 v14, v45, v4
	v_mov_b32_e32 v15, 0
	s_delay_alu instid0(VALU_DEP_1) | instskip(NEXT) | instid1(VALU_DEP_1)
	v_lshlrev_b64 v[14:15], 2, v[14:15]
	v_add_co_u32 v14, vcc_lo, v11, v14
	s_delay_alu instid0(VALU_DEP_2)
	v_add_co_ci_u32_e32 v15, vcc_lo, v12, v15, vcc_lo
	global_store_b32 v[14:15], v46, off
	s_or_b32 exec_lo, exec_lo, s18
	s_and_saveexec_b32 s18, s9
	s_cbranch_execz .LBB1028_177
.LBB1028_223:
	v_sub_nc_u32_e32 v14, v41, v4
	v_mov_b32_e32 v15, 0
	s_delay_alu instid0(VALU_DEP_1) | instskip(NEXT) | instid1(VALU_DEP_1)
	v_lshlrev_b64 v[14:15], 2, v[14:15]
	v_add_co_u32 v14, vcc_lo, v11, v14
	s_delay_alu instid0(VALU_DEP_2)
	v_add_co_ci_u32_e32 v15, vcc_lo, v12, v15, vcc_lo
	global_store_b32 v[14:15], v42, off
	s_or_b32 exec_lo, exec_lo, s18
	s_and_saveexec_b32 s18, s8
	s_cbranch_execz .LBB1028_178
.LBB1028_224:
	v_sub_nc_u32_e32 v14, v39, v4
	v_mov_b32_e32 v15, 0
	s_delay_alu instid0(VALU_DEP_1) | instskip(NEXT) | instid1(VALU_DEP_1)
	v_lshlrev_b64 v[14:15], 2, v[14:15]
	v_add_co_u32 v14, vcc_lo, v11, v14
	s_delay_alu instid0(VALU_DEP_2)
	v_add_co_ci_u32_e32 v15, vcc_lo, v12, v15, vcc_lo
	global_store_b32 v[14:15], v40, off
	s_or_b32 exec_lo, exec_lo, s18
	s_and_saveexec_b32 s18, s7
	s_cbranch_execz .LBB1028_179
.LBB1028_225:
	v_sub_nc_u32_e32 v14, v43, v4
	v_mov_b32_e32 v15, 0
	s_delay_alu instid0(VALU_DEP_1) | instskip(NEXT) | instid1(VALU_DEP_1)
	v_lshlrev_b64 v[14:15], 2, v[14:15]
	v_add_co_u32 v14, vcc_lo, v11, v14
	s_delay_alu instid0(VALU_DEP_2)
	v_add_co_ci_u32_e32 v15, vcc_lo, v12, v15, vcc_lo
	global_store_b32 v[14:15], v44, off
	s_or_b32 exec_lo, exec_lo, s18
	s_and_saveexec_b32 s18, s6
	s_cbranch_execz .LBB1028_180
.LBB1028_226:
	v_sub_nc_u32_e32 v14, v47, v4
	v_mov_b32_e32 v15, 0
	s_delay_alu instid0(VALU_DEP_1) | instskip(NEXT) | instid1(VALU_DEP_1)
	v_lshlrev_b64 v[14:15], 2, v[14:15]
	v_add_co_u32 v14, vcc_lo, v11, v14
	s_delay_alu instid0(VALU_DEP_2)
	v_add_co_ci_u32_e32 v15, vcc_lo, v12, v15, vcc_lo
	global_store_b32 v[14:15], v48, off
	s_or_b32 exec_lo, exec_lo, s18
	s_and_saveexec_b32 s18, s5
	s_cbranch_execz .LBB1028_181
.LBB1028_227:
	v_sub_nc_u32_e32 v14, v5, v4
	v_mov_b32_e32 v15, 0
	s_delay_alu instid0(VALU_DEP_1) | instskip(NEXT) | instid1(VALU_DEP_1)
	v_lshlrev_b64 v[14:15], 2, v[14:15]
	v_add_co_u32 v14, vcc_lo, v11, v14
	s_delay_alu instid0(VALU_DEP_2)
	v_add_co_ci_u32_e32 v15, vcc_lo, v12, v15, vcc_lo
	global_store_b32 v[14:15], v6, off
	s_or_b32 exec_lo, exec_lo, s18
	s_and_saveexec_b32 s18, s4
	s_cbranch_execz .LBB1028_182
.LBB1028_228:
	v_sub_nc_u32_e32 v14, v7, v4
	v_mov_b32_e32 v15, 0
	s_delay_alu instid0(VALU_DEP_1) | instskip(NEXT) | instid1(VALU_DEP_1)
	v_lshlrev_b64 v[14:15], 2, v[14:15]
	v_add_co_u32 v14, vcc_lo, v11, v14
	s_delay_alu instid0(VALU_DEP_2)
	v_add_co_ci_u32_e32 v15, vcc_lo, v12, v15, vcc_lo
	global_store_b32 v[14:15], v8, off
	s_or_b32 exec_lo, exec_lo, s18
	s_and_saveexec_b32 s18, s3
	s_cbranch_execz .LBB1028_183
.LBB1028_229:
	v_sub_nc_u32_e32 v14, v37, v4
	v_mov_b32_e32 v15, 0
	s_delay_alu instid0(VALU_DEP_1) | instskip(NEXT) | instid1(VALU_DEP_1)
	v_lshlrev_b64 v[14:15], 2, v[14:15]
	v_add_co_u32 v14, vcc_lo, v11, v14
	s_delay_alu instid0(VALU_DEP_2)
	v_add_co_ci_u32_e32 v15, vcc_lo, v12, v15, vcc_lo
	global_store_b32 v[14:15], v38, off
	s_or_b32 exec_lo, exec_lo, s18
	s_and_saveexec_b32 s18, s2
	s_cbranch_execz .LBB1028_184
.LBB1028_230:
	v_sub_nc_u32_e32 v14, v61, v4
	v_mov_b32_e32 v15, 0
	s_delay_alu instid0(VALU_DEP_1) | instskip(NEXT) | instid1(VALU_DEP_1)
	v_lshlrev_b64 v[14:15], 2, v[14:15]
	v_add_co_u32 v14, vcc_lo, v11, v14
	s_delay_alu instid0(VALU_DEP_2)
	v_add_co_ci_u32_e32 v15, vcc_lo, v12, v15, vcc_lo
	global_store_b32 v[14:15], v62, off
	s_or_b32 exec_lo, exec_lo, s18
	s_and_saveexec_b32 s18, s1
	s_cbranch_execnz .LBB1028_185
	s_branch .LBB1028_186
.LBB1028_231:
	v_sub_nc_u32_e32 v13, v53, v4
	s_delay_alu instid0(VALU_DEP_1)
	v_lshlrev_b32_e32 v13, 2, v13
	ds_store_b32 v13, v54
	s_or_b32 exec_lo, exec_lo, s18
	s_and_saveexec_b32 s14, s13
	s_cbranch_execz .LBB1028_190
.LBB1028_232:
	v_sub_nc_u32_e32 v13, v59, v4
	s_delay_alu instid0(VALU_DEP_1)
	v_lshlrev_b32_e32 v13, 2, v13
	ds_store_b32 v13, v60
	s_or_b32 exec_lo, exec_lo, s14
	s_and_saveexec_b32 s13, s12
	s_cbranch_execz .LBB1028_191
.LBB1028_233:
	v_sub_nc_u32_e32 v13, v55, v4
	s_delay_alu instid0(VALU_DEP_1)
	v_lshlrev_b32_e32 v13, 2, v13
	ds_store_b32 v13, v56
	s_or_b32 exec_lo, exec_lo, s13
	s_and_saveexec_b32 s12, s11
	s_cbranch_execz .LBB1028_192
.LBB1028_234:
	v_sub_nc_u32_e32 v13, v51, v4
	s_delay_alu instid0(VALU_DEP_1)
	v_lshlrev_b32_e32 v13, 2, v13
	ds_store_b32 v13, v52
	s_or_b32 exec_lo, exec_lo, s12
	s_and_saveexec_b32 s11, s10
	s_cbranch_execz .LBB1028_193
.LBB1028_235:
	v_sub_nc_u32_e32 v13, v45, v4
	s_delay_alu instid0(VALU_DEP_1)
	v_lshlrev_b32_e32 v13, 2, v13
	ds_store_b32 v13, v46
	s_or_b32 exec_lo, exec_lo, s11
	s_and_saveexec_b32 s10, s9
	s_cbranch_execz .LBB1028_194
.LBB1028_236:
	v_sub_nc_u32_e32 v13, v41, v4
	s_delay_alu instid0(VALU_DEP_1)
	v_lshlrev_b32_e32 v13, 2, v13
	ds_store_b32 v13, v42
	s_or_b32 exec_lo, exec_lo, s10
	s_and_saveexec_b32 s9, s8
	s_cbranch_execz .LBB1028_195
.LBB1028_237:
	v_sub_nc_u32_e32 v13, v39, v4
	s_delay_alu instid0(VALU_DEP_1)
	v_lshlrev_b32_e32 v13, 2, v13
	ds_store_b32 v13, v40
	s_or_b32 exec_lo, exec_lo, s9
	s_and_saveexec_b32 s8, s7
	s_cbranch_execz .LBB1028_196
.LBB1028_238:
	v_sub_nc_u32_e32 v13, v43, v4
	s_delay_alu instid0(VALU_DEP_1)
	v_lshlrev_b32_e32 v13, 2, v13
	ds_store_b32 v13, v44
	s_or_b32 exec_lo, exec_lo, s8
	s_and_saveexec_b32 s7, s6
	s_cbranch_execz .LBB1028_197
.LBB1028_239:
	v_sub_nc_u32_e32 v13, v47, v4
	s_delay_alu instid0(VALU_DEP_1)
	v_lshlrev_b32_e32 v13, 2, v13
	ds_store_b32 v13, v48
	s_or_b32 exec_lo, exec_lo, s7
	s_and_saveexec_b32 s6, s5
	s_cbranch_execz .LBB1028_198
.LBB1028_240:
	v_sub_nc_u32_e32 v5, v5, v4
	s_delay_alu instid0(VALU_DEP_1)
	v_lshlrev_b32_e32 v5, 2, v5
	ds_store_b32 v5, v6
	s_or_b32 exec_lo, exec_lo, s6
	s_and_saveexec_b32 s5, s4
	s_cbranch_execz .LBB1028_199
.LBB1028_241:
	v_sub_nc_u32_e32 v5, v7, v4
	s_delay_alu instid0(VALU_DEP_1)
	v_lshlrev_b32_e32 v5, 2, v5
	ds_store_b32 v5, v8
	s_or_b32 exec_lo, exec_lo, s5
	s_and_saveexec_b32 s4, s3
	s_cbranch_execz .LBB1028_200
.LBB1028_242:
	v_sub_nc_u32_e32 v5, v37, v4
	s_delay_alu instid0(VALU_DEP_1)
	v_lshlrev_b32_e32 v5, 2, v5
	ds_store_b32 v5, v38
	s_or_b32 exec_lo, exec_lo, s4
	s_and_saveexec_b32 s3, s2
	s_cbranch_execz .LBB1028_201
.LBB1028_243:
	v_sub_nc_u32_e32 v5, v61, v4
	s_delay_alu instid0(VALU_DEP_1)
	v_lshlrev_b32_e32 v5, 2, v5
	ds_store_b32 v5, v62
	s_or_b32 exec_lo, exec_lo, s3
	s_and_saveexec_b32 s2, s1
	s_cbranch_execnz .LBB1028_202
	s_branch .LBB1028_203
	.section	.rodata,"a",@progbits
	.p2align	6, 0x0
	.amdhsa_kernel _ZN7rocprim17ROCPRIM_400000_NS6detail17trampoline_kernelINS0_14default_configENS1_29reduce_by_key_config_selectorIjiN6thrust23THRUST_200600_302600_NS4plusIiEEEEZZNS1_33reduce_by_key_impl_wrapped_configILNS1_25lookback_scan_determinismE0ES3_S9_NS6_6detail15normal_iteratorINS6_10device_ptrIjEEEENSD_INSE_IiEEEENS6_16discard_iteratorINS6_11use_defaultEEESI_PmS8_NS6_8equal_toIjEEEE10hipError_tPvRmT2_T3_mT4_T5_T6_T7_T8_P12ihipStream_tbENKUlT_T0_E_clISt17integral_constantIbLb0EES16_EEDaS11_S12_EUlS11_E_NS1_11comp_targetILNS1_3genE9ELNS1_11target_archE1100ELNS1_3gpuE3ELNS1_3repE0EEENS1_30default_config_static_selectorELNS0_4arch9wavefront6targetE0EEEvT1_
		.amdhsa_group_segment_fixed_size 15360
		.amdhsa_private_segment_fixed_size 0
		.amdhsa_kernarg_size 128
		.amdhsa_user_sgpr_count 15
		.amdhsa_user_sgpr_dispatch_ptr 0
		.amdhsa_user_sgpr_queue_ptr 0
		.amdhsa_user_sgpr_kernarg_segment_ptr 1
		.amdhsa_user_sgpr_dispatch_id 0
		.amdhsa_user_sgpr_private_segment_size 0
		.amdhsa_wavefront_size32 1
		.amdhsa_uses_dynamic_stack 0
		.amdhsa_enable_private_segment 0
		.amdhsa_system_sgpr_workgroup_id_x 1
		.amdhsa_system_sgpr_workgroup_id_y 0
		.amdhsa_system_sgpr_workgroup_id_z 0
		.amdhsa_system_sgpr_workgroup_info 0
		.amdhsa_system_vgpr_workitem_id 0
		.amdhsa_next_free_vgpr 85
		.amdhsa_next_free_sgpr 42
		.amdhsa_reserve_vcc 1
		.amdhsa_float_round_mode_32 0
		.amdhsa_float_round_mode_16_64 0
		.amdhsa_float_denorm_mode_32 3
		.amdhsa_float_denorm_mode_16_64 3
		.amdhsa_dx10_clamp 1
		.amdhsa_ieee_mode 1
		.amdhsa_fp16_overflow 0
		.amdhsa_workgroup_processor_mode 1
		.amdhsa_memory_ordered 1
		.amdhsa_forward_progress 0
		.amdhsa_shared_vgpr_count 0
		.amdhsa_exception_fp_ieee_invalid_op 0
		.amdhsa_exception_fp_denorm_src 0
		.amdhsa_exception_fp_ieee_div_zero 0
		.amdhsa_exception_fp_ieee_overflow 0
		.amdhsa_exception_fp_ieee_underflow 0
		.amdhsa_exception_fp_ieee_inexact 0
		.amdhsa_exception_int_div_zero 0
	.end_amdhsa_kernel
	.section	.text._ZN7rocprim17ROCPRIM_400000_NS6detail17trampoline_kernelINS0_14default_configENS1_29reduce_by_key_config_selectorIjiN6thrust23THRUST_200600_302600_NS4plusIiEEEEZZNS1_33reduce_by_key_impl_wrapped_configILNS1_25lookback_scan_determinismE0ES3_S9_NS6_6detail15normal_iteratorINS6_10device_ptrIjEEEENSD_INSE_IiEEEENS6_16discard_iteratorINS6_11use_defaultEEESI_PmS8_NS6_8equal_toIjEEEE10hipError_tPvRmT2_T3_mT4_T5_T6_T7_T8_P12ihipStream_tbENKUlT_T0_E_clISt17integral_constantIbLb0EES16_EEDaS11_S12_EUlS11_E_NS1_11comp_targetILNS1_3genE9ELNS1_11target_archE1100ELNS1_3gpuE3ELNS1_3repE0EEENS1_30default_config_static_selectorELNS0_4arch9wavefront6targetE0EEEvT1_,"axG",@progbits,_ZN7rocprim17ROCPRIM_400000_NS6detail17trampoline_kernelINS0_14default_configENS1_29reduce_by_key_config_selectorIjiN6thrust23THRUST_200600_302600_NS4plusIiEEEEZZNS1_33reduce_by_key_impl_wrapped_configILNS1_25lookback_scan_determinismE0ES3_S9_NS6_6detail15normal_iteratorINS6_10device_ptrIjEEEENSD_INSE_IiEEEENS6_16discard_iteratorINS6_11use_defaultEEESI_PmS8_NS6_8equal_toIjEEEE10hipError_tPvRmT2_T3_mT4_T5_T6_T7_T8_P12ihipStream_tbENKUlT_T0_E_clISt17integral_constantIbLb0EES16_EEDaS11_S12_EUlS11_E_NS1_11comp_targetILNS1_3genE9ELNS1_11target_archE1100ELNS1_3gpuE3ELNS1_3repE0EEENS1_30default_config_static_selectorELNS0_4arch9wavefront6targetE0EEEvT1_,comdat
.Lfunc_end1028:
	.size	_ZN7rocprim17ROCPRIM_400000_NS6detail17trampoline_kernelINS0_14default_configENS1_29reduce_by_key_config_selectorIjiN6thrust23THRUST_200600_302600_NS4plusIiEEEEZZNS1_33reduce_by_key_impl_wrapped_configILNS1_25lookback_scan_determinismE0ES3_S9_NS6_6detail15normal_iteratorINS6_10device_ptrIjEEEENSD_INSE_IiEEEENS6_16discard_iteratorINS6_11use_defaultEEESI_PmS8_NS6_8equal_toIjEEEE10hipError_tPvRmT2_T3_mT4_T5_T6_T7_T8_P12ihipStream_tbENKUlT_T0_E_clISt17integral_constantIbLb0EES16_EEDaS11_S12_EUlS11_E_NS1_11comp_targetILNS1_3genE9ELNS1_11target_archE1100ELNS1_3gpuE3ELNS1_3repE0EEENS1_30default_config_static_selectorELNS0_4arch9wavefront6targetE0EEEvT1_, .Lfunc_end1028-_ZN7rocprim17ROCPRIM_400000_NS6detail17trampoline_kernelINS0_14default_configENS1_29reduce_by_key_config_selectorIjiN6thrust23THRUST_200600_302600_NS4plusIiEEEEZZNS1_33reduce_by_key_impl_wrapped_configILNS1_25lookback_scan_determinismE0ES3_S9_NS6_6detail15normal_iteratorINS6_10device_ptrIjEEEENSD_INSE_IiEEEENS6_16discard_iteratorINS6_11use_defaultEEESI_PmS8_NS6_8equal_toIjEEEE10hipError_tPvRmT2_T3_mT4_T5_T6_T7_T8_P12ihipStream_tbENKUlT_T0_E_clISt17integral_constantIbLb0EES16_EEDaS11_S12_EUlS11_E_NS1_11comp_targetILNS1_3genE9ELNS1_11target_archE1100ELNS1_3gpuE3ELNS1_3repE0EEENS1_30default_config_static_selectorELNS0_4arch9wavefront6targetE0EEEvT1_
                                        ; -- End function
	.section	.AMDGPU.csdata,"",@progbits
; Kernel info:
; codeLenInByte = 15392
; NumSgprs: 44
; NumVgprs: 85
; ScratchSize: 0
; MemoryBound: 0
; FloatMode: 240
; IeeeMode: 1
; LDSByteSize: 15360 bytes/workgroup (compile time only)
; SGPRBlocks: 5
; VGPRBlocks: 10
; NumSGPRsForWavesPerEU: 44
; NumVGPRsForWavesPerEU: 85
; Occupancy: 16
; WaveLimiterHint : 1
; COMPUTE_PGM_RSRC2:SCRATCH_EN: 0
; COMPUTE_PGM_RSRC2:USER_SGPR: 15
; COMPUTE_PGM_RSRC2:TRAP_HANDLER: 0
; COMPUTE_PGM_RSRC2:TGID_X_EN: 1
; COMPUTE_PGM_RSRC2:TGID_Y_EN: 0
; COMPUTE_PGM_RSRC2:TGID_Z_EN: 0
; COMPUTE_PGM_RSRC2:TIDIG_COMP_CNT: 0
	.section	.text._ZN7rocprim17ROCPRIM_400000_NS6detail17trampoline_kernelINS0_14default_configENS1_29reduce_by_key_config_selectorIjiN6thrust23THRUST_200600_302600_NS4plusIiEEEEZZNS1_33reduce_by_key_impl_wrapped_configILNS1_25lookback_scan_determinismE0ES3_S9_NS6_6detail15normal_iteratorINS6_10device_ptrIjEEEENSD_INSE_IiEEEENS6_16discard_iteratorINS6_11use_defaultEEESI_PmS8_NS6_8equal_toIjEEEE10hipError_tPvRmT2_T3_mT4_T5_T6_T7_T8_P12ihipStream_tbENKUlT_T0_E_clISt17integral_constantIbLb0EES16_EEDaS11_S12_EUlS11_E_NS1_11comp_targetILNS1_3genE8ELNS1_11target_archE1030ELNS1_3gpuE2ELNS1_3repE0EEENS1_30default_config_static_selectorELNS0_4arch9wavefront6targetE0EEEvT1_,"axG",@progbits,_ZN7rocprim17ROCPRIM_400000_NS6detail17trampoline_kernelINS0_14default_configENS1_29reduce_by_key_config_selectorIjiN6thrust23THRUST_200600_302600_NS4plusIiEEEEZZNS1_33reduce_by_key_impl_wrapped_configILNS1_25lookback_scan_determinismE0ES3_S9_NS6_6detail15normal_iteratorINS6_10device_ptrIjEEEENSD_INSE_IiEEEENS6_16discard_iteratorINS6_11use_defaultEEESI_PmS8_NS6_8equal_toIjEEEE10hipError_tPvRmT2_T3_mT4_T5_T6_T7_T8_P12ihipStream_tbENKUlT_T0_E_clISt17integral_constantIbLb0EES16_EEDaS11_S12_EUlS11_E_NS1_11comp_targetILNS1_3genE8ELNS1_11target_archE1030ELNS1_3gpuE2ELNS1_3repE0EEENS1_30default_config_static_selectorELNS0_4arch9wavefront6targetE0EEEvT1_,comdat
	.protected	_ZN7rocprim17ROCPRIM_400000_NS6detail17trampoline_kernelINS0_14default_configENS1_29reduce_by_key_config_selectorIjiN6thrust23THRUST_200600_302600_NS4plusIiEEEEZZNS1_33reduce_by_key_impl_wrapped_configILNS1_25lookback_scan_determinismE0ES3_S9_NS6_6detail15normal_iteratorINS6_10device_ptrIjEEEENSD_INSE_IiEEEENS6_16discard_iteratorINS6_11use_defaultEEESI_PmS8_NS6_8equal_toIjEEEE10hipError_tPvRmT2_T3_mT4_T5_T6_T7_T8_P12ihipStream_tbENKUlT_T0_E_clISt17integral_constantIbLb0EES16_EEDaS11_S12_EUlS11_E_NS1_11comp_targetILNS1_3genE8ELNS1_11target_archE1030ELNS1_3gpuE2ELNS1_3repE0EEENS1_30default_config_static_selectorELNS0_4arch9wavefront6targetE0EEEvT1_ ; -- Begin function _ZN7rocprim17ROCPRIM_400000_NS6detail17trampoline_kernelINS0_14default_configENS1_29reduce_by_key_config_selectorIjiN6thrust23THRUST_200600_302600_NS4plusIiEEEEZZNS1_33reduce_by_key_impl_wrapped_configILNS1_25lookback_scan_determinismE0ES3_S9_NS6_6detail15normal_iteratorINS6_10device_ptrIjEEEENSD_INSE_IiEEEENS6_16discard_iteratorINS6_11use_defaultEEESI_PmS8_NS6_8equal_toIjEEEE10hipError_tPvRmT2_T3_mT4_T5_T6_T7_T8_P12ihipStream_tbENKUlT_T0_E_clISt17integral_constantIbLb0EES16_EEDaS11_S12_EUlS11_E_NS1_11comp_targetILNS1_3genE8ELNS1_11target_archE1030ELNS1_3gpuE2ELNS1_3repE0EEENS1_30default_config_static_selectorELNS0_4arch9wavefront6targetE0EEEvT1_
	.globl	_ZN7rocprim17ROCPRIM_400000_NS6detail17trampoline_kernelINS0_14default_configENS1_29reduce_by_key_config_selectorIjiN6thrust23THRUST_200600_302600_NS4plusIiEEEEZZNS1_33reduce_by_key_impl_wrapped_configILNS1_25lookback_scan_determinismE0ES3_S9_NS6_6detail15normal_iteratorINS6_10device_ptrIjEEEENSD_INSE_IiEEEENS6_16discard_iteratorINS6_11use_defaultEEESI_PmS8_NS6_8equal_toIjEEEE10hipError_tPvRmT2_T3_mT4_T5_T6_T7_T8_P12ihipStream_tbENKUlT_T0_E_clISt17integral_constantIbLb0EES16_EEDaS11_S12_EUlS11_E_NS1_11comp_targetILNS1_3genE8ELNS1_11target_archE1030ELNS1_3gpuE2ELNS1_3repE0EEENS1_30default_config_static_selectorELNS0_4arch9wavefront6targetE0EEEvT1_
	.p2align	8
	.type	_ZN7rocprim17ROCPRIM_400000_NS6detail17trampoline_kernelINS0_14default_configENS1_29reduce_by_key_config_selectorIjiN6thrust23THRUST_200600_302600_NS4plusIiEEEEZZNS1_33reduce_by_key_impl_wrapped_configILNS1_25lookback_scan_determinismE0ES3_S9_NS6_6detail15normal_iteratorINS6_10device_ptrIjEEEENSD_INSE_IiEEEENS6_16discard_iteratorINS6_11use_defaultEEESI_PmS8_NS6_8equal_toIjEEEE10hipError_tPvRmT2_T3_mT4_T5_T6_T7_T8_P12ihipStream_tbENKUlT_T0_E_clISt17integral_constantIbLb0EES16_EEDaS11_S12_EUlS11_E_NS1_11comp_targetILNS1_3genE8ELNS1_11target_archE1030ELNS1_3gpuE2ELNS1_3repE0EEENS1_30default_config_static_selectorELNS0_4arch9wavefront6targetE0EEEvT1_,@function
_ZN7rocprim17ROCPRIM_400000_NS6detail17trampoline_kernelINS0_14default_configENS1_29reduce_by_key_config_selectorIjiN6thrust23THRUST_200600_302600_NS4plusIiEEEEZZNS1_33reduce_by_key_impl_wrapped_configILNS1_25lookback_scan_determinismE0ES3_S9_NS6_6detail15normal_iteratorINS6_10device_ptrIjEEEENSD_INSE_IiEEEENS6_16discard_iteratorINS6_11use_defaultEEESI_PmS8_NS6_8equal_toIjEEEE10hipError_tPvRmT2_T3_mT4_T5_T6_T7_T8_P12ihipStream_tbENKUlT_T0_E_clISt17integral_constantIbLb0EES16_EEDaS11_S12_EUlS11_E_NS1_11comp_targetILNS1_3genE8ELNS1_11target_archE1030ELNS1_3gpuE2ELNS1_3repE0EEENS1_30default_config_static_selectorELNS0_4arch9wavefront6targetE0EEEvT1_: ; @_ZN7rocprim17ROCPRIM_400000_NS6detail17trampoline_kernelINS0_14default_configENS1_29reduce_by_key_config_selectorIjiN6thrust23THRUST_200600_302600_NS4plusIiEEEEZZNS1_33reduce_by_key_impl_wrapped_configILNS1_25lookback_scan_determinismE0ES3_S9_NS6_6detail15normal_iteratorINS6_10device_ptrIjEEEENSD_INSE_IiEEEENS6_16discard_iteratorINS6_11use_defaultEEESI_PmS8_NS6_8equal_toIjEEEE10hipError_tPvRmT2_T3_mT4_T5_T6_T7_T8_P12ihipStream_tbENKUlT_T0_E_clISt17integral_constantIbLb0EES16_EEDaS11_S12_EUlS11_E_NS1_11comp_targetILNS1_3genE8ELNS1_11target_archE1030ELNS1_3gpuE2ELNS1_3repE0EEENS1_30default_config_static_selectorELNS0_4arch9wavefront6targetE0EEEvT1_
; %bb.0:
	.section	.rodata,"a",@progbits
	.p2align	6, 0x0
	.amdhsa_kernel _ZN7rocprim17ROCPRIM_400000_NS6detail17trampoline_kernelINS0_14default_configENS1_29reduce_by_key_config_selectorIjiN6thrust23THRUST_200600_302600_NS4plusIiEEEEZZNS1_33reduce_by_key_impl_wrapped_configILNS1_25lookback_scan_determinismE0ES3_S9_NS6_6detail15normal_iteratorINS6_10device_ptrIjEEEENSD_INSE_IiEEEENS6_16discard_iteratorINS6_11use_defaultEEESI_PmS8_NS6_8equal_toIjEEEE10hipError_tPvRmT2_T3_mT4_T5_T6_T7_T8_P12ihipStream_tbENKUlT_T0_E_clISt17integral_constantIbLb0EES16_EEDaS11_S12_EUlS11_E_NS1_11comp_targetILNS1_3genE8ELNS1_11target_archE1030ELNS1_3gpuE2ELNS1_3repE0EEENS1_30default_config_static_selectorELNS0_4arch9wavefront6targetE0EEEvT1_
		.amdhsa_group_segment_fixed_size 0
		.amdhsa_private_segment_fixed_size 0
		.amdhsa_kernarg_size 128
		.amdhsa_user_sgpr_count 15
		.amdhsa_user_sgpr_dispatch_ptr 0
		.amdhsa_user_sgpr_queue_ptr 0
		.amdhsa_user_sgpr_kernarg_segment_ptr 1
		.amdhsa_user_sgpr_dispatch_id 0
		.amdhsa_user_sgpr_private_segment_size 0
		.amdhsa_wavefront_size32 1
		.amdhsa_uses_dynamic_stack 0
		.amdhsa_enable_private_segment 0
		.amdhsa_system_sgpr_workgroup_id_x 1
		.amdhsa_system_sgpr_workgroup_id_y 0
		.amdhsa_system_sgpr_workgroup_id_z 0
		.amdhsa_system_sgpr_workgroup_info 0
		.amdhsa_system_vgpr_workitem_id 0
		.amdhsa_next_free_vgpr 1
		.amdhsa_next_free_sgpr 1
		.amdhsa_reserve_vcc 0
		.amdhsa_float_round_mode_32 0
		.amdhsa_float_round_mode_16_64 0
		.amdhsa_float_denorm_mode_32 3
		.amdhsa_float_denorm_mode_16_64 3
		.amdhsa_dx10_clamp 1
		.amdhsa_ieee_mode 1
		.amdhsa_fp16_overflow 0
		.amdhsa_workgroup_processor_mode 1
		.amdhsa_memory_ordered 1
		.amdhsa_forward_progress 0
		.amdhsa_shared_vgpr_count 0
		.amdhsa_exception_fp_ieee_invalid_op 0
		.amdhsa_exception_fp_denorm_src 0
		.amdhsa_exception_fp_ieee_div_zero 0
		.amdhsa_exception_fp_ieee_overflow 0
		.amdhsa_exception_fp_ieee_underflow 0
		.amdhsa_exception_fp_ieee_inexact 0
		.amdhsa_exception_int_div_zero 0
	.end_amdhsa_kernel
	.section	.text._ZN7rocprim17ROCPRIM_400000_NS6detail17trampoline_kernelINS0_14default_configENS1_29reduce_by_key_config_selectorIjiN6thrust23THRUST_200600_302600_NS4plusIiEEEEZZNS1_33reduce_by_key_impl_wrapped_configILNS1_25lookback_scan_determinismE0ES3_S9_NS6_6detail15normal_iteratorINS6_10device_ptrIjEEEENSD_INSE_IiEEEENS6_16discard_iteratorINS6_11use_defaultEEESI_PmS8_NS6_8equal_toIjEEEE10hipError_tPvRmT2_T3_mT4_T5_T6_T7_T8_P12ihipStream_tbENKUlT_T0_E_clISt17integral_constantIbLb0EES16_EEDaS11_S12_EUlS11_E_NS1_11comp_targetILNS1_3genE8ELNS1_11target_archE1030ELNS1_3gpuE2ELNS1_3repE0EEENS1_30default_config_static_selectorELNS0_4arch9wavefront6targetE0EEEvT1_,"axG",@progbits,_ZN7rocprim17ROCPRIM_400000_NS6detail17trampoline_kernelINS0_14default_configENS1_29reduce_by_key_config_selectorIjiN6thrust23THRUST_200600_302600_NS4plusIiEEEEZZNS1_33reduce_by_key_impl_wrapped_configILNS1_25lookback_scan_determinismE0ES3_S9_NS6_6detail15normal_iteratorINS6_10device_ptrIjEEEENSD_INSE_IiEEEENS6_16discard_iteratorINS6_11use_defaultEEESI_PmS8_NS6_8equal_toIjEEEE10hipError_tPvRmT2_T3_mT4_T5_T6_T7_T8_P12ihipStream_tbENKUlT_T0_E_clISt17integral_constantIbLb0EES16_EEDaS11_S12_EUlS11_E_NS1_11comp_targetILNS1_3genE8ELNS1_11target_archE1030ELNS1_3gpuE2ELNS1_3repE0EEENS1_30default_config_static_selectorELNS0_4arch9wavefront6targetE0EEEvT1_,comdat
.Lfunc_end1029:
	.size	_ZN7rocprim17ROCPRIM_400000_NS6detail17trampoline_kernelINS0_14default_configENS1_29reduce_by_key_config_selectorIjiN6thrust23THRUST_200600_302600_NS4plusIiEEEEZZNS1_33reduce_by_key_impl_wrapped_configILNS1_25lookback_scan_determinismE0ES3_S9_NS6_6detail15normal_iteratorINS6_10device_ptrIjEEEENSD_INSE_IiEEEENS6_16discard_iteratorINS6_11use_defaultEEESI_PmS8_NS6_8equal_toIjEEEE10hipError_tPvRmT2_T3_mT4_T5_T6_T7_T8_P12ihipStream_tbENKUlT_T0_E_clISt17integral_constantIbLb0EES16_EEDaS11_S12_EUlS11_E_NS1_11comp_targetILNS1_3genE8ELNS1_11target_archE1030ELNS1_3gpuE2ELNS1_3repE0EEENS1_30default_config_static_selectorELNS0_4arch9wavefront6targetE0EEEvT1_, .Lfunc_end1029-_ZN7rocprim17ROCPRIM_400000_NS6detail17trampoline_kernelINS0_14default_configENS1_29reduce_by_key_config_selectorIjiN6thrust23THRUST_200600_302600_NS4plusIiEEEEZZNS1_33reduce_by_key_impl_wrapped_configILNS1_25lookback_scan_determinismE0ES3_S9_NS6_6detail15normal_iteratorINS6_10device_ptrIjEEEENSD_INSE_IiEEEENS6_16discard_iteratorINS6_11use_defaultEEESI_PmS8_NS6_8equal_toIjEEEE10hipError_tPvRmT2_T3_mT4_T5_T6_T7_T8_P12ihipStream_tbENKUlT_T0_E_clISt17integral_constantIbLb0EES16_EEDaS11_S12_EUlS11_E_NS1_11comp_targetILNS1_3genE8ELNS1_11target_archE1030ELNS1_3gpuE2ELNS1_3repE0EEENS1_30default_config_static_selectorELNS0_4arch9wavefront6targetE0EEEvT1_
                                        ; -- End function
	.section	.AMDGPU.csdata,"",@progbits
; Kernel info:
; codeLenInByte = 0
; NumSgprs: 0
; NumVgprs: 0
; ScratchSize: 0
; MemoryBound: 0
; FloatMode: 240
; IeeeMode: 1
; LDSByteSize: 0 bytes/workgroup (compile time only)
; SGPRBlocks: 0
; VGPRBlocks: 0
; NumSGPRsForWavesPerEU: 1
; NumVGPRsForWavesPerEU: 1
; Occupancy: 16
; WaveLimiterHint : 0
; COMPUTE_PGM_RSRC2:SCRATCH_EN: 0
; COMPUTE_PGM_RSRC2:USER_SGPR: 15
; COMPUTE_PGM_RSRC2:TRAP_HANDLER: 0
; COMPUTE_PGM_RSRC2:TGID_X_EN: 1
; COMPUTE_PGM_RSRC2:TGID_Y_EN: 0
; COMPUTE_PGM_RSRC2:TGID_Z_EN: 0
; COMPUTE_PGM_RSRC2:TIDIG_COMP_CNT: 0
	.section	.text._ZN7rocprim17ROCPRIM_400000_NS6detail17trampoline_kernelINS0_14default_configENS1_29reduce_by_key_config_selectorIjiN6thrust23THRUST_200600_302600_NS4plusIiEEEEZZNS1_33reduce_by_key_impl_wrapped_configILNS1_25lookback_scan_determinismE0ES3_S9_NS6_6detail15normal_iteratorINS6_10device_ptrIjEEEENSD_INSE_IiEEEENS6_16discard_iteratorINS6_11use_defaultEEESI_PmS8_NS6_8equal_toIjEEEE10hipError_tPvRmT2_T3_mT4_T5_T6_T7_T8_P12ihipStream_tbENKUlT_T0_E_clISt17integral_constantIbLb1EES16_EEDaS11_S12_EUlS11_E_NS1_11comp_targetILNS1_3genE0ELNS1_11target_archE4294967295ELNS1_3gpuE0ELNS1_3repE0EEENS1_30default_config_static_selectorELNS0_4arch9wavefront6targetE0EEEvT1_,"axG",@progbits,_ZN7rocprim17ROCPRIM_400000_NS6detail17trampoline_kernelINS0_14default_configENS1_29reduce_by_key_config_selectorIjiN6thrust23THRUST_200600_302600_NS4plusIiEEEEZZNS1_33reduce_by_key_impl_wrapped_configILNS1_25lookback_scan_determinismE0ES3_S9_NS6_6detail15normal_iteratorINS6_10device_ptrIjEEEENSD_INSE_IiEEEENS6_16discard_iteratorINS6_11use_defaultEEESI_PmS8_NS6_8equal_toIjEEEE10hipError_tPvRmT2_T3_mT4_T5_T6_T7_T8_P12ihipStream_tbENKUlT_T0_E_clISt17integral_constantIbLb1EES16_EEDaS11_S12_EUlS11_E_NS1_11comp_targetILNS1_3genE0ELNS1_11target_archE4294967295ELNS1_3gpuE0ELNS1_3repE0EEENS1_30default_config_static_selectorELNS0_4arch9wavefront6targetE0EEEvT1_,comdat
	.protected	_ZN7rocprim17ROCPRIM_400000_NS6detail17trampoline_kernelINS0_14default_configENS1_29reduce_by_key_config_selectorIjiN6thrust23THRUST_200600_302600_NS4plusIiEEEEZZNS1_33reduce_by_key_impl_wrapped_configILNS1_25lookback_scan_determinismE0ES3_S9_NS6_6detail15normal_iteratorINS6_10device_ptrIjEEEENSD_INSE_IiEEEENS6_16discard_iteratorINS6_11use_defaultEEESI_PmS8_NS6_8equal_toIjEEEE10hipError_tPvRmT2_T3_mT4_T5_T6_T7_T8_P12ihipStream_tbENKUlT_T0_E_clISt17integral_constantIbLb1EES16_EEDaS11_S12_EUlS11_E_NS1_11comp_targetILNS1_3genE0ELNS1_11target_archE4294967295ELNS1_3gpuE0ELNS1_3repE0EEENS1_30default_config_static_selectorELNS0_4arch9wavefront6targetE0EEEvT1_ ; -- Begin function _ZN7rocprim17ROCPRIM_400000_NS6detail17trampoline_kernelINS0_14default_configENS1_29reduce_by_key_config_selectorIjiN6thrust23THRUST_200600_302600_NS4plusIiEEEEZZNS1_33reduce_by_key_impl_wrapped_configILNS1_25lookback_scan_determinismE0ES3_S9_NS6_6detail15normal_iteratorINS6_10device_ptrIjEEEENSD_INSE_IiEEEENS6_16discard_iteratorINS6_11use_defaultEEESI_PmS8_NS6_8equal_toIjEEEE10hipError_tPvRmT2_T3_mT4_T5_T6_T7_T8_P12ihipStream_tbENKUlT_T0_E_clISt17integral_constantIbLb1EES16_EEDaS11_S12_EUlS11_E_NS1_11comp_targetILNS1_3genE0ELNS1_11target_archE4294967295ELNS1_3gpuE0ELNS1_3repE0EEENS1_30default_config_static_selectorELNS0_4arch9wavefront6targetE0EEEvT1_
	.globl	_ZN7rocprim17ROCPRIM_400000_NS6detail17trampoline_kernelINS0_14default_configENS1_29reduce_by_key_config_selectorIjiN6thrust23THRUST_200600_302600_NS4plusIiEEEEZZNS1_33reduce_by_key_impl_wrapped_configILNS1_25lookback_scan_determinismE0ES3_S9_NS6_6detail15normal_iteratorINS6_10device_ptrIjEEEENSD_INSE_IiEEEENS6_16discard_iteratorINS6_11use_defaultEEESI_PmS8_NS6_8equal_toIjEEEE10hipError_tPvRmT2_T3_mT4_T5_T6_T7_T8_P12ihipStream_tbENKUlT_T0_E_clISt17integral_constantIbLb1EES16_EEDaS11_S12_EUlS11_E_NS1_11comp_targetILNS1_3genE0ELNS1_11target_archE4294967295ELNS1_3gpuE0ELNS1_3repE0EEENS1_30default_config_static_selectorELNS0_4arch9wavefront6targetE0EEEvT1_
	.p2align	8
	.type	_ZN7rocprim17ROCPRIM_400000_NS6detail17trampoline_kernelINS0_14default_configENS1_29reduce_by_key_config_selectorIjiN6thrust23THRUST_200600_302600_NS4plusIiEEEEZZNS1_33reduce_by_key_impl_wrapped_configILNS1_25lookback_scan_determinismE0ES3_S9_NS6_6detail15normal_iteratorINS6_10device_ptrIjEEEENSD_INSE_IiEEEENS6_16discard_iteratorINS6_11use_defaultEEESI_PmS8_NS6_8equal_toIjEEEE10hipError_tPvRmT2_T3_mT4_T5_T6_T7_T8_P12ihipStream_tbENKUlT_T0_E_clISt17integral_constantIbLb1EES16_EEDaS11_S12_EUlS11_E_NS1_11comp_targetILNS1_3genE0ELNS1_11target_archE4294967295ELNS1_3gpuE0ELNS1_3repE0EEENS1_30default_config_static_selectorELNS0_4arch9wavefront6targetE0EEEvT1_,@function
_ZN7rocprim17ROCPRIM_400000_NS6detail17trampoline_kernelINS0_14default_configENS1_29reduce_by_key_config_selectorIjiN6thrust23THRUST_200600_302600_NS4plusIiEEEEZZNS1_33reduce_by_key_impl_wrapped_configILNS1_25lookback_scan_determinismE0ES3_S9_NS6_6detail15normal_iteratorINS6_10device_ptrIjEEEENSD_INSE_IiEEEENS6_16discard_iteratorINS6_11use_defaultEEESI_PmS8_NS6_8equal_toIjEEEE10hipError_tPvRmT2_T3_mT4_T5_T6_T7_T8_P12ihipStream_tbENKUlT_T0_E_clISt17integral_constantIbLb1EES16_EEDaS11_S12_EUlS11_E_NS1_11comp_targetILNS1_3genE0ELNS1_11target_archE4294967295ELNS1_3gpuE0ELNS1_3repE0EEENS1_30default_config_static_selectorELNS0_4arch9wavefront6targetE0EEEvT1_: ; @_ZN7rocprim17ROCPRIM_400000_NS6detail17trampoline_kernelINS0_14default_configENS1_29reduce_by_key_config_selectorIjiN6thrust23THRUST_200600_302600_NS4plusIiEEEEZZNS1_33reduce_by_key_impl_wrapped_configILNS1_25lookback_scan_determinismE0ES3_S9_NS6_6detail15normal_iteratorINS6_10device_ptrIjEEEENSD_INSE_IiEEEENS6_16discard_iteratorINS6_11use_defaultEEESI_PmS8_NS6_8equal_toIjEEEE10hipError_tPvRmT2_T3_mT4_T5_T6_T7_T8_P12ihipStream_tbENKUlT_T0_E_clISt17integral_constantIbLb1EES16_EEDaS11_S12_EUlS11_E_NS1_11comp_targetILNS1_3genE0ELNS1_11target_archE4294967295ELNS1_3gpuE0ELNS1_3repE0EEENS1_30default_config_static_selectorELNS0_4arch9wavefront6targetE0EEEvT1_
; %bb.0:
	.section	.rodata,"a",@progbits
	.p2align	6, 0x0
	.amdhsa_kernel _ZN7rocprim17ROCPRIM_400000_NS6detail17trampoline_kernelINS0_14default_configENS1_29reduce_by_key_config_selectorIjiN6thrust23THRUST_200600_302600_NS4plusIiEEEEZZNS1_33reduce_by_key_impl_wrapped_configILNS1_25lookback_scan_determinismE0ES3_S9_NS6_6detail15normal_iteratorINS6_10device_ptrIjEEEENSD_INSE_IiEEEENS6_16discard_iteratorINS6_11use_defaultEEESI_PmS8_NS6_8equal_toIjEEEE10hipError_tPvRmT2_T3_mT4_T5_T6_T7_T8_P12ihipStream_tbENKUlT_T0_E_clISt17integral_constantIbLb1EES16_EEDaS11_S12_EUlS11_E_NS1_11comp_targetILNS1_3genE0ELNS1_11target_archE4294967295ELNS1_3gpuE0ELNS1_3repE0EEENS1_30default_config_static_selectorELNS0_4arch9wavefront6targetE0EEEvT1_
		.amdhsa_group_segment_fixed_size 0
		.amdhsa_private_segment_fixed_size 0
		.amdhsa_kernarg_size 128
		.amdhsa_user_sgpr_count 15
		.amdhsa_user_sgpr_dispatch_ptr 0
		.amdhsa_user_sgpr_queue_ptr 0
		.amdhsa_user_sgpr_kernarg_segment_ptr 1
		.amdhsa_user_sgpr_dispatch_id 0
		.amdhsa_user_sgpr_private_segment_size 0
		.amdhsa_wavefront_size32 1
		.amdhsa_uses_dynamic_stack 0
		.amdhsa_enable_private_segment 0
		.amdhsa_system_sgpr_workgroup_id_x 1
		.amdhsa_system_sgpr_workgroup_id_y 0
		.amdhsa_system_sgpr_workgroup_id_z 0
		.amdhsa_system_sgpr_workgroup_info 0
		.amdhsa_system_vgpr_workitem_id 0
		.amdhsa_next_free_vgpr 1
		.amdhsa_next_free_sgpr 1
		.amdhsa_reserve_vcc 0
		.amdhsa_float_round_mode_32 0
		.amdhsa_float_round_mode_16_64 0
		.amdhsa_float_denorm_mode_32 3
		.amdhsa_float_denorm_mode_16_64 3
		.amdhsa_dx10_clamp 1
		.amdhsa_ieee_mode 1
		.amdhsa_fp16_overflow 0
		.amdhsa_workgroup_processor_mode 1
		.amdhsa_memory_ordered 1
		.amdhsa_forward_progress 0
		.amdhsa_shared_vgpr_count 0
		.amdhsa_exception_fp_ieee_invalid_op 0
		.amdhsa_exception_fp_denorm_src 0
		.amdhsa_exception_fp_ieee_div_zero 0
		.amdhsa_exception_fp_ieee_overflow 0
		.amdhsa_exception_fp_ieee_underflow 0
		.amdhsa_exception_fp_ieee_inexact 0
		.amdhsa_exception_int_div_zero 0
	.end_amdhsa_kernel
	.section	.text._ZN7rocprim17ROCPRIM_400000_NS6detail17trampoline_kernelINS0_14default_configENS1_29reduce_by_key_config_selectorIjiN6thrust23THRUST_200600_302600_NS4plusIiEEEEZZNS1_33reduce_by_key_impl_wrapped_configILNS1_25lookback_scan_determinismE0ES3_S9_NS6_6detail15normal_iteratorINS6_10device_ptrIjEEEENSD_INSE_IiEEEENS6_16discard_iteratorINS6_11use_defaultEEESI_PmS8_NS6_8equal_toIjEEEE10hipError_tPvRmT2_T3_mT4_T5_T6_T7_T8_P12ihipStream_tbENKUlT_T0_E_clISt17integral_constantIbLb1EES16_EEDaS11_S12_EUlS11_E_NS1_11comp_targetILNS1_3genE0ELNS1_11target_archE4294967295ELNS1_3gpuE0ELNS1_3repE0EEENS1_30default_config_static_selectorELNS0_4arch9wavefront6targetE0EEEvT1_,"axG",@progbits,_ZN7rocprim17ROCPRIM_400000_NS6detail17trampoline_kernelINS0_14default_configENS1_29reduce_by_key_config_selectorIjiN6thrust23THRUST_200600_302600_NS4plusIiEEEEZZNS1_33reduce_by_key_impl_wrapped_configILNS1_25lookback_scan_determinismE0ES3_S9_NS6_6detail15normal_iteratorINS6_10device_ptrIjEEEENSD_INSE_IiEEEENS6_16discard_iteratorINS6_11use_defaultEEESI_PmS8_NS6_8equal_toIjEEEE10hipError_tPvRmT2_T3_mT4_T5_T6_T7_T8_P12ihipStream_tbENKUlT_T0_E_clISt17integral_constantIbLb1EES16_EEDaS11_S12_EUlS11_E_NS1_11comp_targetILNS1_3genE0ELNS1_11target_archE4294967295ELNS1_3gpuE0ELNS1_3repE0EEENS1_30default_config_static_selectorELNS0_4arch9wavefront6targetE0EEEvT1_,comdat
.Lfunc_end1030:
	.size	_ZN7rocprim17ROCPRIM_400000_NS6detail17trampoline_kernelINS0_14default_configENS1_29reduce_by_key_config_selectorIjiN6thrust23THRUST_200600_302600_NS4plusIiEEEEZZNS1_33reduce_by_key_impl_wrapped_configILNS1_25lookback_scan_determinismE0ES3_S9_NS6_6detail15normal_iteratorINS6_10device_ptrIjEEEENSD_INSE_IiEEEENS6_16discard_iteratorINS6_11use_defaultEEESI_PmS8_NS6_8equal_toIjEEEE10hipError_tPvRmT2_T3_mT4_T5_T6_T7_T8_P12ihipStream_tbENKUlT_T0_E_clISt17integral_constantIbLb1EES16_EEDaS11_S12_EUlS11_E_NS1_11comp_targetILNS1_3genE0ELNS1_11target_archE4294967295ELNS1_3gpuE0ELNS1_3repE0EEENS1_30default_config_static_selectorELNS0_4arch9wavefront6targetE0EEEvT1_, .Lfunc_end1030-_ZN7rocprim17ROCPRIM_400000_NS6detail17trampoline_kernelINS0_14default_configENS1_29reduce_by_key_config_selectorIjiN6thrust23THRUST_200600_302600_NS4plusIiEEEEZZNS1_33reduce_by_key_impl_wrapped_configILNS1_25lookback_scan_determinismE0ES3_S9_NS6_6detail15normal_iteratorINS6_10device_ptrIjEEEENSD_INSE_IiEEEENS6_16discard_iteratorINS6_11use_defaultEEESI_PmS8_NS6_8equal_toIjEEEE10hipError_tPvRmT2_T3_mT4_T5_T6_T7_T8_P12ihipStream_tbENKUlT_T0_E_clISt17integral_constantIbLb1EES16_EEDaS11_S12_EUlS11_E_NS1_11comp_targetILNS1_3genE0ELNS1_11target_archE4294967295ELNS1_3gpuE0ELNS1_3repE0EEENS1_30default_config_static_selectorELNS0_4arch9wavefront6targetE0EEEvT1_
                                        ; -- End function
	.section	.AMDGPU.csdata,"",@progbits
; Kernel info:
; codeLenInByte = 0
; NumSgprs: 0
; NumVgprs: 0
; ScratchSize: 0
; MemoryBound: 0
; FloatMode: 240
; IeeeMode: 1
; LDSByteSize: 0 bytes/workgroup (compile time only)
; SGPRBlocks: 0
; VGPRBlocks: 0
; NumSGPRsForWavesPerEU: 1
; NumVGPRsForWavesPerEU: 1
; Occupancy: 16
; WaveLimiterHint : 0
; COMPUTE_PGM_RSRC2:SCRATCH_EN: 0
; COMPUTE_PGM_RSRC2:USER_SGPR: 15
; COMPUTE_PGM_RSRC2:TRAP_HANDLER: 0
; COMPUTE_PGM_RSRC2:TGID_X_EN: 1
; COMPUTE_PGM_RSRC2:TGID_Y_EN: 0
; COMPUTE_PGM_RSRC2:TGID_Z_EN: 0
; COMPUTE_PGM_RSRC2:TIDIG_COMP_CNT: 0
	.section	.text._ZN7rocprim17ROCPRIM_400000_NS6detail17trampoline_kernelINS0_14default_configENS1_29reduce_by_key_config_selectorIjiN6thrust23THRUST_200600_302600_NS4plusIiEEEEZZNS1_33reduce_by_key_impl_wrapped_configILNS1_25lookback_scan_determinismE0ES3_S9_NS6_6detail15normal_iteratorINS6_10device_ptrIjEEEENSD_INSE_IiEEEENS6_16discard_iteratorINS6_11use_defaultEEESI_PmS8_NS6_8equal_toIjEEEE10hipError_tPvRmT2_T3_mT4_T5_T6_T7_T8_P12ihipStream_tbENKUlT_T0_E_clISt17integral_constantIbLb1EES16_EEDaS11_S12_EUlS11_E_NS1_11comp_targetILNS1_3genE5ELNS1_11target_archE942ELNS1_3gpuE9ELNS1_3repE0EEENS1_30default_config_static_selectorELNS0_4arch9wavefront6targetE0EEEvT1_,"axG",@progbits,_ZN7rocprim17ROCPRIM_400000_NS6detail17trampoline_kernelINS0_14default_configENS1_29reduce_by_key_config_selectorIjiN6thrust23THRUST_200600_302600_NS4plusIiEEEEZZNS1_33reduce_by_key_impl_wrapped_configILNS1_25lookback_scan_determinismE0ES3_S9_NS6_6detail15normal_iteratorINS6_10device_ptrIjEEEENSD_INSE_IiEEEENS6_16discard_iteratorINS6_11use_defaultEEESI_PmS8_NS6_8equal_toIjEEEE10hipError_tPvRmT2_T3_mT4_T5_T6_T7_T8_P12ihipStream_tbENKUlT_T0_E_clISt17integral_constantIbLb1EES16_EEDaS11_S12_EUlS11_E_NS1_11comp_targetILNS1_3genE5ELNS1_11target_archE942ELNS1_3gpuE9ELNS1_3repE0EEENS1_30default_config_static_selectorELNS0_4arch9wavefront6targetE0EEEvT1_,comdat
	.protected	_ZN7rocprim17ROCPRIM_400000_NS6detail17trampoline_kernelINS0_14default_configENS1_29reduce_by_key_config_selectorIjiN6thrust23THRUST_200600_302600_NS4plusIiEEEEZZNS1_33reduce_by_key_impl_wrapped_configILNS1_25lookback_scan_determinismE0ES3_S9_NS6_6detail15normal_iteratorINS6_10device_ptrIjEEEENSD_INSE_IiEEEENS6_16discard_iteratorINS6_11use_defaultEEESI_PmS8_NS6_8equal_toIjEEEE10hipError_tPvRmT2_T3_mT4_T5_T6_T7_T8_P12ihipStream_tbENKUlT_T0_E_clISt17integral_constantIbLb1EES16_EEDaS11_S12_EUlS11_E_NS1_11comp_targetILNS1_3genE5ELNS1_11target_archE942ELNS1_3gpuE9ELNS1_3repE0EEENS1_30default_config_static_selectorELNS0_4arch9wavefront6targetE0EEEvT1_ ; -- Begin function _ZN7rocprim17ROCPRIM_400000_NS6detail17trampoline_kernelINS0_14default_configENS1_29reduce_by_key_config_selectorIjiN6thrust23THRUST_200600_302600_NS4plusIiEEEEZZNS1_33reduce_by_key_impl_wrapped_configILNS1_25lookback_scan_determinismE0ES3_S9_NS6_6detail15normal_iteratorINS6_10device_ptrIjEEEENSD_INSE_IiEEEENS6_16discard_iteratorINS6_11use_defaultEEESI_PmS8_NS6_8equal_toIjEEEE10hipError_tPvRmT2_T3_mT4_T5_T6_T7_T8_P12ihipStream_tbENKUlT_T0_E_clISt17integral_constantIbLb1EES16_EEDaS11_S12_EUlS11_E_NS1_11comp_targetILNS1_3genE5ELNS1_11target_archE942ELNS1_3gpuE9ELNS1_3repE0EEENS1_30default_config_static_selectorELNS0_4arch9wavefront6targetE0EEEvT1_
	.globl	_ZN7rocprim17ROCPRIM_400000_NS6detail17trampoline_kernelINS0_14default_configENS1_29reduce_by_key_config_selectorIjiN6thrust23THRUST_200600_302600_NS4plusIiEEEEZZNS1_33reduce_by_key_impl_wrapped_configILNS1_25lookback_scan_determinismE0ES3_S9_NS6_6detail15normal_iteratorINS6_10device_ptrIjEEEENSD_INSE_IiEEEENS6_16discard_iteratorINS6_11use_defaultEEESI_PmS8_NS6_8equal_toIjEEEE10hipError_tPvRmT2_T3_mT4_T5_T6_T7_T8_P12ihipStream_tbENKUlT_T0_E_clISt17integral_constantIbLb1EES16_EEDaS11_S12_EUlS11_E_NS1_11comp_targetILNS1_3genE5ELNS1_11target_archE942ELNS1_3gpuE9ELNS1_3repE0EEENS1_30default_config_static_selectorELNS0_4arch9wavefront6targetE0EEEvT1_
	.p2align	8
	.type	_ZN7rocprim17ROCPRIM_400000_NS6detail17trampoline_kernelINS0_14default_configENS1_29reduce_by_key_config_selectorIjiN6thrust23THRUST_200600_302600_NS4plusIiEEEEZZNS1_33reduce_by_key_impl_wrapped_configILNS1_25lookback_scan_determinismE0ES3_S9_NS6_6detail15normal_iteratorINS6_10device_ptrIjEEEENSD_INSE_IiEEEENS6_16discard_iteratorINS6_11use_defaultEEESI_PmS8_NS6_8equal_toIjEEEE10hipError_tPvRmT2_T3_mT4_T5_T6_T7_T8_P12ihipStream_tbENKUlT_T0_E_clISt17integral_constantIbLb1EES16_EEDaS11_S12_EUlS11_E_NS1_11comp_targetILNS1_3genE5ELNS1_11target_archE942ELNS1_3gpuE9ELNS1_3repE0EEENS1_30default_config_static_selectorELNS0_4arch9wavefront6targetE0EEEvT1_,@function
_ZN7rocprim17ROCPRIM_400000_NS6detail17trampoline_kernelINS0_14default_configENS1_29reduce_by_key_config_selectorIjiN6thrust23THRUST_200600_302600_NS4plusIiEEEEZZNS1_33reduce_by_key_impl_wrapped_configILNS1_25lookback_scan_determinismE0ES3_S9_NS6_6detail15normal_iteratorINS6_10device_ptrIjEEEENSD_INSE_IiEEEENS6_16discard_iteratorINS6_11use_defaultEEESI_PmS8_NS6_8equal_toIjEEEE10hipError_tPvRmT2_T3_mT4_T5_T6_T7_T8_P12ihipStream_tbENKUlT_T0_E_clISt17integral_constantIbLb1EES16_EEDaS11_S12_EUlS11_E_NS1_11comp_targetILNS1_3genE5ELNS1_11target_archE942ELNS1_3gpuE9ELNS1_3repE0EEENS1_30default_config_static_selectorELNS0_4arch9wavefront6targetE0EEEvT1_: ; @_ZN7rocprim17ROCPRIM_400000_NS6detail17trampoline_kernelINS0_14default_configENS1_29reduce_by_key_config_selectorIjiN6thrust23THRUST_200600_302600_NS4plusIiEEEEZZNS1_33reduce_by_key_impl_wrapped_configILNS1_25lookback_scan_determinismE0ES3_S9_NS6_6detail15normal_iteratorINS6_10device_ptrIjEEEENSD_INSE_IiEEEENS6_16discard_iteratorINS6_11use_defaultEEESI_PmS8_NS6_8equal_toIjEEEE10hipError_tPvRmT2_T3_mT4_T5_T6_T7_T8_P12ihipStream_tbENKUlT_T0_E_clISt17integral_constantIbLb1EES16_EEDaS11_S12_EUlS11_E_NS1_11comp_targetILNS1_3genE5ELNS1_11target_archE942ELNS1_3gpuE9ELNS1_3repE0EEENS1_30default_config_static_selectorELNS0_4arch9wavefront6targetE0EEEvT1_
; %bb.0:
	.section	.rodata,"a",@progbits
	.p2align	6, 0x0
	.amdhsa_kernel _ZN7rocprim17ROCPRIM_400000_NS6detail17trampoline_kernelINS0_14default_configENS1_29reduce_by_key_config_selectorIjiN6thrust23THRUST_200600_302600_NS4plusIiEEEEZZNS1_33reduce_by_key_impl_wrapped_configILNS1_25lookback_scan_determinismE0ES3_S9_NS6_6detail15normal_iteratorINS6_10device_ptrIjEEEENSD_INSE_IiEEEENS6_16discard_iteratorINS6_11use_defaultEEESI_PmS8_NS6_8equal_toIjEEEE10hipError_tPvRmT2_T3_mT4_T5_T6_T7_T8_P12ihipStream_tbENKUlT_T0_E_clISt17integral_constantIbLb1EES16_EEDaS11_S12_EUlS11_E_NS1_11comp_targetILNS1_3genE5ELNS1_11target_archE942ELNS1_3gpuE9ELNS1_3repE0EEENS1_30default_config_static_selectorELNS0_4arch9wavefront6targetE0EEEvT1_
		.amdhsa_group_segment_fixed_size 0
		.amdhsa_private_segment_fixed_size 0
		.amdhsa_kernarg_size 128
		.amdhsa_user_sgpr_count 15
		.amdhsa_user_sgpr_dispatch_ptr 0
		.amdhsa_user_sgpr_queue_ptr 0
		.amdhsa_user_sgpr_kernarg_segment_ptr 1
		.amdhsa_user_sgpr_dispatch_id 0
		.amdhsa_user_sgpr_private_segment_size 0
		.amdhsa_wavefront_size32 1
		.amdhsa_uses_dynamic_stack 0
		.amdhsa_enable_private_segment 0
		.amdhsa_system_sgpr_workgroup_id_x 1
		.amdhsa_system_sgpr_workgroup_id_y 0
		.amdhsa_system_sgpr_workgroup_id_z 0
		.amdhsa_system_sgpr_workgroup_info 0
		.amdhsa_system_vgpr_workitem_id 0
		.amdhsa_next_free_vgpr 1
		.amdhsa_next_free_sgpr 1
		.amdhsa_reserve_vcc 0
		.amdhsa_float_round_mode_32 0
		.amdhsa_float_round_mode_16_64 0
		.amdhsa_float_denorm_mode_32 3
		.amdhsa_float_denorm_mode_16_64 3
		.amdhsa_dx10_clamp 1
		.amdhsa_ieee_mode 1
		.amdhsa_fp16_overflow 0
		.amdhsa_workgroup_processor_mode 1
		.amdhsa_memory_ordered 1
		.amdhsa_forward_progress 0
		.amdhsa_shared_vgpr_count 0
		.amdhsa_exception_fp_ieee_invalid_op 0
		.amdhsa_exception_fp_denorm_src 0
		.amdhsa_exception_fp_ieee_div_zero 0
		.amdhsa_exception_fp_ieee_overflow 0
		.amdhsa_exception_fp_ieee_underflow 0
		.amdhsa_exception_fp_ieee_inexact 0
		.amdhsa_exception_int_div_zero 0
	.end_amdhsa_kernel
	.section	.text._ZN7rocprim17ROCPRIM_400000_NS6detail17trampoline_kernelINS0_14default_configENS1_29reduce_by_key_config_selectorIjiN6thrust23THRUST_200600_302600_NS4plusIiEEEEZZNS1_33reduce_by_key_impl_wrapped_configILNS1_25lookback_scan_determinismE0ES3_S9_NS6_6detail15normal_iteratorINS6_10device_ptrIjEEEENSD_INSE_IiEEEENS6_16discard_iteratorINS6_11use_defaultEEESI_PmS8_NS6_8equal_toIjEEEE10hipError_tPvRmT2_T3_mT4_T5_T6_T7_T8_P12ihipStream_tbENKUlT_T0_E_clISt17integral_constantIbLb1EES16_EEDaS11_S12_EUlS11_E_NS1_11comp_targetILNS1_3genE5ELNS1_11target_archE942ELNS1_3gpuE9ELNS1_3repE0EEENS1_30default_config_static_selectorELNS0_4arch9wavefront6targetE0EEEvT1_,"axG",@progbits,_ZN7rocprim17ROCPRIM_400000_NS6detail17trampoline_kernelINS0_14default_configENS1_29reduce_by_key_config_selectorIjiN6thrust23THRUST_200600_302600_NS4plusIiEEEEZZNS1_33reduce_by_key_impl_wrapped_configILNS1_25lookback_scan_determinismE0ES3_S9_NS6_6detail15normal_iteratorINS6_10device_ptrIjEEEENSD_INSE_IiEEEENS6_16discard_iteratorINS6_11use_defaultEEESI_PmS8_NS6_8equal_toIjEEEE10hipError_tPvRmT2_T3_mT4_T5_T6_T7_T8_P12ihipStream_tbENKUlT_T0_E_clISt17integral_constantIbLb1EES16_EEDaS11_S12_EUlS11_E_NS1_11comp_targetILNS1_3genE5ELNS1_11target_archE942ELNS1_3gpuE9ELNS1_3repE0EEENS1_30default_config_static_selectorELNS0_4arch9wavefront6targetE0EEEvT1_,comdat
.Lfunc_end1031:
	.size	_ZN7rocprim17ROCPRIM_400000_NS6detail17trampoline_kernelINS0_14default_configENS1_29reduce_by_key_config_selectorIjiN6thrust23THRUST_200600_302600_NS4plusIiEEEEZZNS1_33reduce_by_key_impl_wrapped_configILNS1_25lookback_scan_determinismE0ES3_S9_NS6_6detail15normal_iteratorINS6_10device_ptrIjEEEENSD_INSE_IiEEEENS6_16discard_iteratorINS6_11use_defaultEEESI_PmS8_NS6_8equal_toIjEEEE10hipError_tPvRmT2_T3_mT4_T5_T6_T7_T8_P12ihipStream_tbENKUlT_T0_E_clISt17integral_constantIbLb1EES16_EEDaS11_S12_EUlS11_E_NS1_11comp_targetILNS1_3genE5ELNS1_11target_archE942ELNS1_3gpuE9ELNS1_3repE0EEENS1_30default_config_static_selectorELNS0_4arch9wavefront6targetE0EEEvT1_, .Lfunc_end1031-_ZN7rocprim17ROCPRIM_400000_NS6detail17trampoline_kernelINS0_14default_configENS1_29reduce_by_key_config_selectorIjiN6thrust23THRUST_200600_302600_NS4plusIiEEEEZZNS1_33reduce_by_key_impl_wrapped_configILNS1_25lookback_scan_determinismE0ES3_S9_NS6_6detail15normal_iteratorINS6_10device_ptrIjEEEENSD_INSE_IiEEEENS6_16discard_iteratorINS6_11use_defaultEEESI_PmS8_NS6_8equal_toIjEEEE10hipError_tPvRmT2_T3_mT4_T5_T6_T7_T8_P12ihipStream_tbENKUlT_T0_E_clISt17integral_constantIbLb1EES16_EEDaS11_S12_EUlS11_E_NS1_11comp_targetILNS1_3genE5ELNS1_11target_archE942ELNS1_3gpuE9ELNS1_3repE0EEENS1_30default_config_static_selectorELNS0_4arch9wavefront6targetE0EEEvT1_
                                        ; -- End function
	.section	.AMDGPU.csdata,"",@progbits
; Kernel info:
; codeLenInByte = 0
; NumSgprs: 0
; NumVgprs: 0
; ScratchSize: 0
; MemoryBound: 0
; FloatMode: 240
; IeeeMode: 1
; LDSByteSize: 0 bytes/workgroup (compile time only)
; SGPRBlocks: 0
; VGPRBlocks: 0
; NumSGPRsForWavesPerEU: 1
; NumVGPRsForWavesPerEU: 1
; Occupancy: 16
; WaveLimiterHint : 0
; COMPUTE_PGM_RSRC2:SCRATCH_EN: 0
; COMPUTE_PGM_RSRC2:USER_SGPR: 15
; COMPUTE_PGM_RSRC2:TRAP_HANDLER: 0
; COMPUTE_PGM_RSRC2:TGID_X_EN: 1
; COMPUTE_PGM_RSRC2:TGID_Y_EN: 0
; COMPUTE_PGM_RSRC2:TGID_Z_EN: 0
; COMPUTE_PGM_RSRC2:TIDIG_COMP_CNT: 0
	.section	.text._ZN7rocprim17ROCPRIM_400000_NS6detail17trampoline_kernelINS0_14default_configENS1_29reduce_by_key_config_selectorIjiN6thrust23THRUST_200600_302600_NS4plusIiEEEEZZNS1_33reduce_by_key_impl_wrapped_configILNS1_25lookback_scan_determinismE0ES3_S9_NS6_6detail15normal_iteratorINS6_10device_ptrIjEEEENSD_INSE_IiEEEENS6_16discard_iteratorINS6_11use_defaultEEESI_PmS8_NS6_8equal_toIjEEEE10hipError_tPvRmT2_T3_mT4_T5_T6_T7_T8_P12ihipStream_tbENKUlT_T0_E_clISt17integral_constantIbLb1EES16_EEDaS11_S12_EUlS11_E_NS1_11comp_targetILNS1_3genE4ELNS1_11target_archE910ELNS1_3gpuE8ELNS1_3repE0EEENS1_30default_config_static_selectorELNS0_4arch9wavefront6targetE0EEEvT1_,"axG",@progbits,_ZN7rocprim17ROCPRIM_400000_NS6detail17trampoline_kernelINS0_14default_configENS1_29reduce_by_key_config_selectorIjiN6thrust23THRUST_200600_302600_NS4plusIiEEEEZZNS1_33reduce_by_key_impl_wrapped_configILNS1_25lookback_scan_determinismE0ES3_S9_NS6_6detail15normal_iteratorINS6_10device_ptrIjEEEENSD_INSE_IiEEEENS6_16discard_iteratorINS6_11use_defaultEEESI_PmS8_NS6_8equal_toIjEEEE10hipError_tPvRmT2_T3_mT4_T5_T6_T7_T8_P12ihipStream_tbENKUlT_T0_E_clISt17integral_constantIbLb1EES16_EEDaS11_S12_EUlS11_E_NS1_11comp_targetILNS1_3genE4ELNS1_11target_archE910ELNS1_3gpuE8ELNS1_3repE0EEENS1_30default_config_static_selectorELNS0_4arch9wavefront6targetE0EEEvT1_,comdat
	.protected	_ZN7rocprim17ROCPRIM_400000_NS6detail17trampoline_kernelINS0_14default_configENS1_29reduce_by_key_config_selectorIjiN6thrust23THRUST_200600_302600_NS4plusIiEEEEZZNS1_33reduce_by_key_impl_wrapped_configILNS1_25lookback_scan_determinismE0ES3_S9_NS6_6detail15normal_iteratorINS6_10device_ptrIjEEEENSD_INSE_IiEEEENS6_16discard_iteratorINS6_11use_defaultEEESI_PmS8_NS6_8equal_toIjEEEE10hipError_tPvRmT2_T3_mT4_T5_T6_T7_T8_P12ihipStream_tbENKUlT_T0_E_clISt17integral_constantIbLb1EES16_EEDaS11_S12_EUlS11_E_NS1_11comp_targetILNS1_3genE4ELNS1_11target_archE910ELNS1_3gpuE8ELNS1_3repE0EEENS1_30default_config_static_selectorELNS0_4arch9wavefront6targetE0EEEvT1_ ; -- Begin function _ZN7rocprim17ROCPRIM_400000_NS6detail17trampoline_kernelINS0_14default_configENS1_29reduce_by_key_config_selectorIjiN6thrust23THRUST_200600_302600_NS4plusIiEEEEZZNS1_33reduce_by_key_impl_wrapped_configILNS1_25lookback_scan_determinismE0ES3_S9_NS6_6detail15normal_iteratorINS6_10device_ptrIjEEEENSD_INSE_IiEEEENS6_16discard_iteratorINS6_11use_defaultEEESI_PmS8_NS6_8equal_toIjEEEE10hipError_tPvRmT2_T3_mT4_T5_T6_T7_T8_P12ihipStream_tbENKUlT_T0_E_clISt17integral_constantIbLb1EES16_EEDaS11_S12_EUlS11_E_NS1_11comp_targetILNS1_3genE4ELNS1_11target_archE910ELNS1_3gpuE8ELNS1_3repE0EEENS1_30default_config_static_selectorELNS0_4arch9wavefront6targetE0EEEvT1_
	.globl	_ZN7rocprim17ROCPRIM_400000_NS6detail17trampoline_kernelINS0_14default_configENS1_29reduce_by_key_config_selectorIjiN6thrust23THRUST_200600_302600_NS4plusIiEEEEZZNS1_33reduce_by_key_impl_wrapped_configILNS1_25lookback_scan_determinismE0ES3_S9_NS6_6detail15normal_iteratorINS6_10device_ptrIjEEEENSD_INSE_IiEEEENS6_16discard_iteratorINS6_11use_defaultEEESI_PmS8_NS6_8equal_toIjEEEE10hipError_tPvRmT2_T3_mT4_T5_T6_T7_T8_P12ihipStream_tbENKUlT_T0_E_clISt17integral_constantIbLb1EES16_EEDaS11_S12_EUlS11_E_NS1_11comp_targetILNS1_3genE4ELNS1_11target_archE910ELNS1_3gpuE8ELNS1_3repE0EEENS1_30default_config_static_selectorELNS0_4arch9wavefront6targetE0EEEvT1_
	.p2align	8
	.type	_ZN7rocprim17ROCPRIM_400000_NS6detail17trampoline_kernelINS0_14default_configENS1_29reduce_by_key_config_selectorIjiN6thrust23THRUST_200600_302600_NS4plusIiEEEEZZNS1_33reduce_by_key_impl_wrapped_configILNS1_25lookback_scan_determinismE0ES3_S9_NS6_6detail15normal_iteratorINS6_10device_ptrIjEEEENSD_INSE_IiEEEENS6_16discard_iteratorINS6_11use_defaultEEESI_PmS8_NS6_8equal_toIjEEEE10hipError_tPvRmT2_T3_mT4_T5_T6_T7_T8_P12ihipStream_tbENKUlT_T0_E_clISt17integral_constantIbLb1EES16_EEDaS11_S12_EUlS11_E_NS1_11comp_targetILNS1_3genE4ELNS1_11target_archE910ELNS1_3gpuE8ELNS1_3repE0EEENS1_30default_config_static_selectorELNS0_4arch9wavefront6targetE0EEEvT1_,@function
_ZN7rocprim17ROCPRIM_400000_NS6detail17trampoline_kernelINS0_14default_configENS1_29reduce_by_key_config_selectorIjiN6thrust23THRUST_200600_302600_NS4plusIiEEEEZZNS1_33reduce_by_key_impl_wrapped_configILNS1_25lookback_scan_determinismE0ES3_S9_NS6_6detail15normal_iteratorINS6_10device_ptrIjEEEENSD_INSE_IiEEEENS6_16discard_iteratorINS6_11use_defaultEEESI_PmS8_NS6_8equal_toIjEEEE10hipError_tPvRmT2_T3_mT4_T5_T6_T7_T8_P12ihipStream_tbENKUlT_T0_E_clISt17integral_constantIbLb1EES16_EEDaS11_S12_EUlS11_E_NS1_11comp_targetILNS1_3genE4ELNS1_11target_archE910ELNS1_3gpuE8ELNS1_3repE0EEENS1_30default_config_static_selectorELNS0_4arch9wavefront6targetE0EEEvT1_: ; @_ZN7rocprim17ROCPRIM_400000_NS6detail17trampoline_kernelINS0_14default_configENS1_29reduce_by_key_config_selectorIjiN6thrust23THRUST_200600_302600_NS4plusIiEEEEZZNS1_33reduce_by_key_impl_wrapped_configILNS1_25lookback_scan_determinismE0ES3_S9_NS6_6detail15normal_iteratorINS6_10device_ptrIjEEEENSD_INSE_IiEEEENS6_16discard_iteratorINS6_11use_defaultEEESI_PmS8_NS6_8equal_toIjEEEE10hipError_tPvRmT2_T3_mT4_T5_T6_T7_T8_P12ihipStream_tbENKUlT_T0_E_clISt17integral_constantIbLb1EES16_EEDaS11_S12_EUlS11_E_NS1_11comp_targetILNS1_3genE4ELNS1_11target_archE910ELNS1_3gpuE8ELNS1_3repE0EEENS1_30default_config_static_selectorELNS0_4arch9wavefront6targetE0EEEvT1_
; %bb.0:
	.section	.rodata,"a",@progbits
	.p2align	6, 0x0
	.amdhsa_kernel _ZN7rocprim17ROCPRIM_400000_NS6detail17trampoline_kernelINS0_14default_configENS1_29reduce_by_key_config_selectorIjiN6thrust23THRUST_200600_302600_NS4plusIiEEEEZZNS1_33reduce_by_key_impl_wrapped_configILNS1_25lookback_scan_determinismE0ES3_S9_NS6_6detail15normal_iteratorINS6_10device_ptrIjEEEENSD_INSE_IiEEEENS6_16discard_iteratorINS6_11use_defaultEEESI_PmS8_NS6_8equal_toIjEEEE10hipError_tPvRmT2_T3_mT4_T5_T6_T7_T8_P12ihipStream_tbENKUlT_T0_E_clISt17integral_constantIbLb1EES16_EEDaS11_S12_EUlS11_E_NS1_11comp_targetILNS1_3genE4ELNS1_11target_archE910ELNS1_3gpuE8ELNS1_3repE0EEENS1_30default_config_static_selectorELNS0_4arch9wavefront6targetE0EEEvT1_
		.amdhsa_group_segment_fixed_size 0
		.amdhsa_private_segment_fixed_size 0
		.amdhsa_kernarg_size 128
		.amdhsa_user_sgpr_count 15
		.amdhsa_user_sgpr_dispatch_ptr 0
		.amdhsa_user_sgpr_queue_ptr 0
		.amdhsa_user_sgpr_kernarg_segment_ptr 1
		.amdhsa_user_sgpr_dispatch_id 0
		.amdhsa_user_sgpr_private_segment_size 0
		.amdhsa_wavefront_size32 1
		.amdhsa_uses_dynamic_stack 0
		.amdhsa_enable_private_segment 0
		.amdhsa_system_sgpr_workgroup_id_x 1
		.amdhsa_system_sgpr_workgroup_id_y 0
		.amdhsa_system_sgpr_workgroup_id_z 0
		.amdhsa_system_sgpr_workgroup_info 0
		.amdhsa_system_vgpr_workitem_id 0
		.amdhsa_next_free_vgpr 1
		.amdhsa_next_free_sgpr 1
		.amdhsa_reserve_vcc 0
		.amdhsa_float_round_mode_32 0
		.amdhsa_float_round_mode_16_64 0
		.amdhsa_float_denorm_mode_32 3
		.amdhsa_float_denorm_mode_16_64 3
		.amdhsa_dx10_clamp 1
		.amdhsa_ieee_mode 1
		.amdhsa_fp16_overflow 0
		.amdhsa_workgroup_processor_mode 1
		.amdhsa_memory_ordered 1
		.amdhsa_forward_progress 0
		.amdhsa_shared_vgpr_count 0
		.amdhsa_exception_fp_ieee_invalid_op 0
		.amdhsa_exception_fp_denorm_src 0
		.amdhsa_exception_fp_ieee_div_zero 0
		.amdhsa_exception_fp_ieee_overflow 0
		.amdhsa_exception_fp_ieee_underflow 0
		.amdhsa_exception_fp_ieee_inexact 0
		.amdhsa_exception_int_div_zero 0
	.end_amdhsa_kernel
	.section	.text._ZN7rocprim17ROCPRIM_400000_NS6detail17trampoline_kernelINS0_14default_configENS1_29reduce_by_key_config_selectorIjiN6thrust23THRUST_200600_302600_NS4plusIiEEEEZZNS1_33reduce_by_key_impl_wrapped_configILNS1_25lookback_scan_determinismE0ES3_S9_NS6_6detail15normal_iteratorINS6_10device_ptrIjEEEENSD_INSE_IiEEEENS6_16discard_iteratorINS6_11use_defaultEEESI_PmS8_NS6_8equal_toIjEEEE10hipError_tPvRmT2_T3_mT4_T5_T6_T7_T8_P12ihipStream_tbENKUlT_T0_E_clISt17integral_constantIbLb1EES16_EEDaS11_S12_EUlS11_E_NS1_11comp_targetILNS1_3genE4ELNS1_11target_archE910ELNS1_3gpuE8ELNS1_3repE0EEENS1_30default_config_static_selectorELNS0_4arch9wavefront6targetE0EEEvT1_,"axG",@progbits,_ZN7rocprim17ROCPRIM_400000_NS6detail17trampoline_kernelINS0_14default_configENS1_29reduce_by_key_config_selectorIjiN6thrust23THRUST_200600_302600_NS4plusIiEEEEZZNS1_33reduce_by_key_impl_wrapped_configILNS1_25lookback_scan_determinismE0ES3_S9_NS6_6detail15normal_iteratorINS6_10device_ptrIjEEEENSD_INSE_IiEEEENS6_16discard_iteratorINS6_11use_defaultEEESI_PmS8_NS6_8equal_toIjEEEE10hipError_tPvRmT2_T3_mT4_T5_T6_T7_T8_P12ihipStream_tbENKUlT_T0_E_clISt17integral_constantIbLb1EES16_EEDaS11_S12_EUlS11_E_NS1_11comp_targetILNS1_3genE4ELNS1_11target_archE910ELNS1_3gpuE8ELNS1_3repE0EEENS1_30default_config_static_selectorELNS0_4arch9wavefront6targetE0EEEvT1_,comdat
.Lfunc_end1032:
	.size	_ZN7rocprim17ROCPRIM_400000_NS6detail17trampoline_kernelINS0_14default_configENS1_29reduce_by_key_config_selectorIjiN6thrust23THRUST_200600_302600_NS4plusIiEEEEZZNS1_33reduce_by_key_impl_wrapped_configILNS1_25lookback_scan_determinismE0ES3_S9_NS6_6detail15normal_iteratorINS6_10device_ptrIjEEEENSD_INSE_IiEEEENS6_16discard_iteratorINS6_11use_defaultEEESI_PmS8_NS6_8equal_toIjEEEE10hipError_tPvRmT2_T3_mT4_T5_T6_T7_T8_P12ihipStream_tbENKUlT_T0_E_clISt17integral_constantIbLb1EES16_EEDaS11_S12_EUlS11_E_NS1_11comp_targetILNS1_3genE4ELNS1_11target_archE910ELNS1_3gpuE8ELNS1_3repE0EEENS1_30default_config_static_selectorELNS0_4arch9wavefront6targetE0EEEvT1_, .Lfunc_end1032-_ZN7rocprim17ROCPRIM_400000_NS6detail17trampoline_kernelINS0_14default_configENS1_29reduce_by_key_config_selectorIjiN6thrust23THRUST_200600_302600_NS4plusIiEEEEZZNS1_33reduce_by_key_impl_wrapped_configILNS1_25lookback_scan_determinismE0ES3_S9_NS6_6detail15normal_iteratorINS6_10device_ptrIjEEEENSD_INSE_IiEEEENS6_16discard_iteratorINS6_11use_defaultEEESI_PmS8_NS6_8equal_toIjEEEE10hipError_tPvRmT2_T3_mT4_T5_T6_T7_T8_P12ihipStream_tbENKUlT_T0_E_clISt17integral_constantIbLb1EES16_EEDaS11_S12_EUlS11_E_NS1_11comp_targetILNS1_3genE4ELNS1_11target_archE910ELNS1_3gpuE8ELNS1_3repE0EEENS1_30default_config_static_selectorELNS0_4arch9wavefront6targetE0EEEvT1_
                                        ; -- End function
	.section	.AMDGPU.csdata,"",@progbits
; Kernel info:
; codeLenInByte = 0
; NumSgprs: 0
; NumVgprs: 0
; ScratchSize: 0
; MemoryBound: 0
; FloatMode: 240
; IeeeMode: 1
; LDSByteSize: 0 bytes/workgroup (compile time only)
; SGPRBlocks: 0
; VGPRBlocks: 0
; NumSGPRsForWavesPerEU: 1
; NumVGPRsForWavesPerEU: 1
; Occupancy: 16
; WaveLimiterHint : 0
; COMPUTE_PGM_RSRC2:SCRATCH_EN: 0
; COMPUTE_PGM_RSRC2:USER_SGPR: 15
; COMPUTE_PGM_RSRC2:TRAP_HANDLER: 0
; COMPUTE_PGM_RSRC2:TGID_X_EN: 1
; COMPUTE_PGM_RSRC2:TGID_Y_EN: 0
; COMPUTE_PGM_RSRC2:TGID_Z_EN: 0
; COMPUTE_PGM_RSRC2:TIDIG_COMP_CNT: 0
	.section	.text._ZN7rocprim17ROCPRIM_400000_NS6detail17trampoline_kernelINS0_14default_configENS1_29reduce_by_key_config_selectorIjiN6thrust23THRUST_200600_302600_NS4plusIiEEEEZZNS1_33reduce_by_key_impl_wrapped_configILNS1_25lookback_scan_determinismE0ES3_S9_NS6_6detail15normal_iteratorINS6_10device_ptrIjEEEENSD_INSE_IiEEEENS6_16discard_iteratorINS6_11use_defaultEEESI_PmS8_NS6_8equal_toIjEEEE10hipError_tPvRmT2_T3_mT4_T5_T6_T7_T8_P12ihipStream_tbENKUlT_T0_E_clISt17integral_constantIbLb1EES16_EEDaS11_S12_EUlS11_E_NS1_11comp_targetILNS1_3genE3ELNS1_11target_archE908ELNS1_3gpuE7ELNS1_3repE0EEENS1_30default_config_static_selectorELNS0_4arch9wavefront6targetE0EEEvT1_,"axG",@progbits,_ZN7rocprim17ROCPRIM_400000_NS6detail17trampoline_kernelINS0_14default_configENS1_29reduce_by_key_config_selectorIjiN6thrust23THRUST_200600_302600_NS4plusIiEEEEZZNS1_33reduce_by_key_impl_wrapped_configILNS1_25lookback_scan_determinismE0ES3_S9_NS6_6detail15normal_iteratorINS6_10device_ptrIjEEEENSD_INSE_IiEEEENS6_16discard_iteratorINS6_11use_defaultEEESI_PmS8_NS6_8equal_toIjEEEE10hipError_tPvRmT2_T3_mT4_T5_T6_T7_T8_P12ihipStream_tbENKUlT_T0_E_clISt17integral_constantIbLb1EES16_EEDaS11_S12_EUlS11_E_NS1_11comp_targetILNS1_3genE3ELNS1_11target_archE908ELNS1_3gpuE7ELNS1_3repE0EEENS1_30default_config_static_selectorELNS0_4arch9wavefront6targetE0EEEvT1_,comdat
	.protected	_ZN7rocprim17ROCPRIM_400000_NS6detail17trampoline_kernelINS0_14default_configENS1_29reduce_by_key_config_selectorIjiN6thrust23THRUST_200600_302600_NS4plusIiEEEEZZNS1_33reduce_by_key_impl_wrapped_configILNS1_25lookback_scan_determinismE0ES3_S9_NS6_6detail15normal_iteratorINS6_10device_ptrIjEEEENSD_INSE_IiEEEENS6_16discard_iteratorINS6_11use_defaultEEESI_PmS8_NS6_8equal_toIjEEEE10hipError_tPvRmT2_T3_mT4_T5_T6_T7_T8_P12ihipStream_tbENKUlT_T0_E_clISt17integral_constantIbLb1EES16_EEDaS11_S12_EUlS11_E_NS1_11comp_targetILNS1_3genE3ELNS1_11target_archE908ELNS1_3gpuE7ELNS1_3repE0EEENS1_30default_config_static_selectorELNS0_4arch9wavefront6targetE0EEEvT1_ ; -- Begin function _ZN7rocprim17ROCPRIM_400000_NS6detail17trampoline_kernelINS0_14default_configENS1_29reduce_by_key_config_selectorIjiN6thrust23THRUST_200600_302600_NS4plusIiEEEEZZNS1_33reduce_by_key_impl_wrapped_configILNS1_25lookback_scan_determinismE0ES3_S9_NS6_6detail15normal_iteratorINS6_10device_ptrIjEEEENSD_INSE_IiEEEENS6_16discard_iteratorINS6_11use_defaultEEESI_PmS8_NS6_8equal_toIjEEEE10hipError_tPvRmT2_T3_mT4_T5_T6_T7_T8_P12ihipStream_tbENKUlT_T0_E_clISt17integral_constantIbLb1EES16_EEDaS11_S12_EUlS11_E_NS1_11comp_targetILNS1_3genE3ELNS1_11target_archE908ELNS1_3gpuE7ELNS1_3repE0EEENS1_30default_config_static_selectorELNS0_4arch9wavefront6targetE0EEEvT1_
	.globl	_ZN7rocprim17ROCPRIM_400000_NS6detail17trampoline_kernelINS0_14default_configENS1_29reduce_by_key_config_selectorIjiN6thrust23THRUST_200600_302600_NS4plusIiEEEEZZNS1_33reduce_by_key_impl_wrapped_configILNS1_25lookback_scan_determinismE0ES3_S9_NS6_6detail15normal_iteratorINS6_10device_ptrIjEEEENSD_INSE_IiEEEENS6_16discard_iteratorINS6_11use_defaultEEESI_PmS8_NS6_8equal_toIjEEEE10hipError_tPvRmT2_T3_mT4_T5_T6_T7_T8_P12ihipStream_tbENKUlT_T0_E_clISt17integral_constantIbLb1EES16_EEDaS11_S12_EUlS11_E_NS1_11comp_targetILNS1_3genE3ELNS1_11target_archE908ELNS1_3gpuE7ELNS1_3repE0EEENS1_30default_config_static_selectorELNS0_4arch9wavefront6targetE0EEEvT1_
	.p2align	8
	.type	_ZN7rocprim17ROCPRIM_400000_NS6detail17trampoline_kernelINS0_14default_configENS1_29reduce_by_key_config_selectorIjiN6thrust23THRUST_200600_302600_NS4plusIiEEEEZZNS1_33reduce_by_key_impl_wrapped_configILNS1_25lookback_scan_determinismE0ES3_S9_NS6_6detail15normal_iteratorINS6_10device_ptrIjEEEENSD_INSE_IiEEEENS6_16discard_iteratorINS6_11use_defaultEEESI_PmS8_NS6_8equal_toIjEEEE10hipError_tPvRmT2_T3_mT4_T5_T6_T7_T8_P12ihipStream_tbENKUlT_T0_E_clISt17integral_constantIbLb1EES16_EEDaS11_S12_EUlS11_E_NS1_11comp_targetILNS1_3genE3ELNS1_11target_archE908ELNS1_3gpuE7ELNS1_3repE0EEENS1_30default_config_static_selectorELNS0_4arch9wavefront6targetE0EEEvT1_,@function
_ZN7rocprim17ROCPRIM_400000_NS6detail17trampoline_kernelINS0_14default_configENS1_29reduce_by_key_config_selectorIjiN6thrust23THRUST_200600_302600_NS4plusIiEEEEZZNS1_33reduce_by_key_impl_wrapped_configILNS1_25lookback_scan_determinismE0ES3_S9_NS6_6detail15normal_iteratorINS6_10device_ptrIjEEEENSD_INSE_IiEEEENS6_16discard_iteratorINS6_11use_defaultEEESI_PmS8_NS6_8equal_toIjEEEE10hipError_tPvRmT2_T3_mT4_T5_T6_T7_T8_P12ihipStream_tbENKUlT_T0_E_clISt17integral_constantIbLb1EES16_EEDaS11_S12_EUlS11_E_NS1_11comp_targetILNS1_3genE3ELNS1_11target_archE908ELNS1_3gpuE7ELNS1_3repE0EEENS1_30default_config_static_selectorELNS0_4arch9wavefront6targetE0EEEvT1_: ; @_ZN7rocprim17ROCPRIM_400000_NS6detail17trampoline_kernelINS0_14default_configENS1_29reduce_by_key_config_selectorIjiN6thrust23THRUST_200600_302600_NS4plusIiEEEEZZNS1_33reduce_by_key_impl_wrapped_configILNS1_25lookback_scan_determinismE0ES3_S9_NS6_6detail15normal_iteratorINS6_10device_ptrIjEEEENSD_INSE_IiEEEENS6_16discard_iteratorINS6_11use_defaultEEESI_PmS8_NS6_8equal_toIjEEEE10hipError_tPvRmT2_T3_mT4_T5_T6_T7_T8_P12ihipStream_tbENKUlT_T0_E_clISt17integral_constantIbLb1EES16_EEDaS11_S12_EUlS11_E_NS1_11comp_targetILNS1_3genE3ELNS1_11target_archE908ELNS1_3gpuE7ELNS1_3repE0EEENS1_30default_config_static_selectorELNS0_4arch9wavefront6targetE0EEEvT1_
; %bb.0:
	.section	.rodata,"a",@progbits
	.p2align	6, 0x0
	.amdhsa_kernel _ZN7rocprim17ROCPRIM_400000_NS6detail17trampoline_kernelINS0_14default_configENS1_29reduce_by_key_config_selectorIjiN6thrust23THRUST_200600_302600_NS4plusIiEEEEZZNS1_33reduce_by_key_impl_wrapped_configILNS1_25lookback_scan_determinismE0ES3_S9_NS6_6detail15normal_iteratorINS6_10device_ptrIjEEEENSD_INSE_IiEEEENS6_16discard_iteratorINS6_11use_defaultEEESI_PmS8_NS6_8equal_toIjEEEE10hipError_tPvRmT2_T3_mT4_T5_T6_T7_T8_P12ihipStream_tbENKUlT_T0_E_clISt17integral_constantIbLb1EES16_EEDaS11_S12_EUlS11_E_NS1_11comp_targetILNS1_3genE3ELNS1_11target_archE908ELNS1_3gpuE7ELNS1_3repE0EEENS1_30default_config_static_selectorELNS0_4arch9wavefront6targetE0EEEvT1_
		.amdhsa_group_segment_fixed_size 0
		.amdhsa_private_segment_fixed_size 0
		.amdhsa_kernarg_size 128
		.amdhsa_user_sgpr_count 15
		.amdhsa_user_sgpr_dispatch_ptr 0
		.amdhsa_user_sgpr_queue_ptr 0
		.amdhsa_user_sgpr_kernarg_segment_ptr 1
		.amdhsa_user_sgpr_dispatch_id 0
		.amdhsa_user_sgpr_private_segment_size 0
		.amdhsa_wavefront_size32 1
		.amdhsa_uses_dynamic_stack 0
		.amdhsa_enable_private_segment 0
		.amdhsa_system_sgpr_workgroup_id_x 1
		.amdhsa_system_sgpr_workgroup_id_y 0
		.amdhsa_system_sgpr_workgroup_id_z 0
		.amdhsa_system_sgpr_workgroup_info 0
		.amdhsa_system_vgpr_workitem_id 0
		.amdhsa_next_free_vgpr 1
		.amdhsa_next_free_sgpr 1
		.amdhsa_reserve_vcc 0
		.amdhsa_float_round_mode_32 0
		.amdhsa_float_round_mode_16_64 0
		.amdhsa_float_denorm_mode_32 3
		.amdhsa_float_denorm_mode_16_64 3
		.amdhsa_dx10_clamp 1
		.amdhsa_ieee_mode 1
		.amdhsa_fp16_overflow 0
		.amdhsa_workgroup_processor_mode 1
		.amdhsa_memory_ordered 1
		.amdhsa_forward_progress 0
		.amdhsa_shared_vgpr_count 0
		.amdhsa_exception_fp_ieee_invalid_op 0
		.amdhsa_exception_fp_denorm_src 0
		.amdhsa_exception_fp_ieee_div_zero 0
		.amdhsa_exception_fp_ieee_overflow 0
		.amdhsa_exception_fp_ieee_underflow 0
		.amdhsa_exception_fp_ieee_inexact 0
		.amdhsa_exception_int_div_zero 0
	.end_amdhsa_kernel
	.section	.text._ZN7rocprim17ROCPRIM_400000_NS6detail17trampoline_kernelINS0_14default_configENS1_29reduce_by_key_config_selectorIjiN6thrust23THRUST_200600_302600_NS4plusIiEEEEZZNS1_33reduce_by_key_impl_wrapped_configILNS1_25lookback_scan_determinismE0ES3_S9_NS6_6detail15normal_iteratorINS6_10device_ptrIjEEEENSD_INSE_IiEEEENS6_16discard_iteratorINS6_11use_defaultEEESI_PmS8_NS6_8equal_toIjEEEE10hipError_tPvRmT2_T3_mT4_T5_T6_T7_T8_P12ihipStream_tbENKUlT_T0_E_clISt17integral_constantIbLb1EES16_EEDaS11_S12_EUlS11_E_NS1_11comp_targetILNS1_3genE3ELNS1_11target_archE908ELNS1_3gpuE7ELNS1_3repE0EEENS1_30default_config_static_selectorELNS0_4arch9wavefront6targetE0EEEvT1_,"axG",@progbits,_ZN7rocprim17ROCPRIM_400000_NS6detail17trampoline_kernelINS0_14default_configENS1_29reduce_by_key_config_selectorIjiN6thrust23THRUST_200600_302600_NS4plusIiEEEEZZNS1_33reduce_by_key_impl_wrapped_configILNS1_25lookback_scan_determinismE0ES3_S9_NS6_6detail15normal_iteratorINS6_10device_ptrIjEEEENSD_INSE_IiEEEENS6_16discard_iteratorINS6_11use_defaultEEESI_PmS8_NS6_8equal_toIjEEEE10hipError_tPvRmT2_T3_mT4_T5_T6_T7_T8_P12ihipStream_tbENKUlT_T0_E_clISt17integral_constantIbLb1EES16_EEDaS11_S12_EUlS11_E_NS1_11comp_targetILNS1_3genE3ELNS1_11target_archE908ELNS1_3gpuE7ELNS1_3repE0EEENS1_30default_config_static_selectorELNS0_4arch9wavefront6targetE0EEEvT1_,comdat
.Lfunc_end1033:
	.size	_ZN7rocprim17ROCPRIM_400000_NS6detail17trampoline_kernelINS0_14default_configENS1_29reduce_by_key_config_selectorIjiN6thrust23THRUST_200600_302600_NS4plusIiEEEEZZNS1_33reduce_by_key_impl_wrapped_configILNS1_25lookback_scan_determinismE0ES3_S9_NS6_6detail15normal_iteratorINS6_10device_ptrIjEEEENSD_INSE_IiEEEENS6_16discard_iteratorINS6_11use_defaultEEESI_PmS8_NS6_8equal_toIjEEEE10hipError_tPvRmT2_T3_mT4_T5_T6_T7_T8_P12ihipStream_tbENKUlT_T0_E_clISt17integral_constantIbLb1EES16_EEDaS11_S12_EUlS11_E_NS1_11comp_targetILNS1_3genE3ELNS1_11target_archE908ELNS1_3gpuE7ELNS1_3repE0EEENS1_30default_config_static_selectorELNS0_4arch9wavefront6targetE0EEEvT1_, .Lfunc_end1033-_ZN7rocprim17ROCPRIM_400000_NS6detail17trampoline_kernelINS0_14default_configENS1_29reduce_by_key_config_selectorIjiN6thrust23THRUST_200600_302600_NS4plusIiEEEEZZNS1_33reduce_by_key_impl_wrapped_configILNS1_25lookback_scan_determinismE0ES3_S9_NS6_6detail15normal_iteratorINS6_10device_ptrIjEEEENSD_INSE_IiEEEENS6_16discard_iteratorINS6_11use_defaultEEESI_PmS8_NS6_8equal_toIjEEEE10hipError_tPvRmT2_T3_mT4_T5_T6_T7_T8_P12ihipStream_tbENKUlT_T0_E_clISt17integral_constantIbLb1EES16_EEDaS11_S12_EUlS11_E_NS1_11comp_targetILNS1_3genE3ELNS1_11target_archE908ELNS1_3gpuE7ELNS1_3repE0EEENS1_30default_config_static_selectorELNS0_4arch9wavefront6targetE0EEEvT1_
                                        ; -- End function
	.section	.AMDGPU.csdata,"",@progbits
; Kernel info:
; codeLenInByte = 0
; NumSgprs: 0
; NumVgprs: 0
; ScratchSize: 0
; MemoryBound: 0
; FloatMode: 240
; IeeeMode: 1
; LDSByteSize: 0 bytes/workgroup (compile time only)
; SGPRBlocks: 0
; VGPRBlocks: 0
; NumSGPRsForWavesPerEU: 1
; NumVGPRsForWavesPerEU: 1
; Occupancy: 16
; WaveLimiterHint : 0
; COMPUTE_PGM_RSRC2:SCRATCH_EN: 0
; COMPUTE_PGM_RSRC2:USER_SGPR: 15
; COMPUTE_PGM_RSRC2:TRAP_HANDLER: 0
; COMPUTE_PGM_RSRC2:TGID_X_EN: 1
; COMPUTE_PGM_RSRC2:TGID_Y_EN: 0
; COMPUTE_PGM_RSRC2:TGID_Z_EN: 0
; COMPUTE_PGM_RSRC2:TIDIG_COMP_CNT: 0
	.section	.text._ZN7rocprim17ROCPRIM_400000_NS6detail17trampoline_kernelINS0_14default_configENS1_29reduce_by_key_config_selectorIjiN6thrust23THRUST_200600_302600_NS4plusIiEEEEZZNS1_33reduce_by_key_impl_wrapped_configILNS1_25lookback_scan_determinismE0ES3_S9_NS6_6detail15normal_iteratorINS6_10device_ptrIjEEEENSD_INSE_IiEEEENS6_16discard_iteratorINS6_11use_defaultEEESI_PmS8_NS6_8equal_toIjEEEE10hipError_tPvRmT2_T3_mT4_T5_T6_T7_T8_P12ihipStream_tbENKUlT_T0_E_clISt17integral_constantIbLb1EES16_EEDaS11_S12_EUlS11_E_NS1_11comp_targetILNS1_3genE2ELNS1_11target_archE906ELNS1_3gpuE6ELNS1_3repE0EEENS1_30default_config_static_selectorELNS0_4arch9wavefront6targetE0EEEvT1_,"axG",@progbits,_ZN7rocprim17ROCPRIM_400000_NS6detail17trampoline_kernelINS0_14default_configENS1_29reduce_by_key_config_selectorIjiN6thrust23THRUST_200600_302600_NS4plusIiEEEEZZNS1_33reduce_by_key_impl_wrapped_configILNS1_25lookback_scan_determinismE0ES3_S9_NS6_6detail15normal_iteratorINS6_10device_ptrIjEEEENSD_INSE_IiEEEENS6_16discard_iteratorINS6_11use_defaultEEESI_PmS8_NS6_8equal_toIjEEEE10hipError_tPvRmT2_T3_mT4_T5_T6_T7_T8_P12ihipStream_tbENKUlT_T0_E_clISt17integral_constantIbLb1EES16_EEDaS11_S12_EUlS11_E_NS1_11comp_targetILNS1_3genE2ELNS1_11target_archE906ELNS1_3gpuE6ELNS1_3repE0EEENS1_30default_config_static_selectorELNS0_4arch9wavefront6targetE0EEEvT1_,comdat
	.protected	_ZN7rocprim17ROCPRIM_400000_NS6detail17trampoline_kernelINS0_14default_configENS1_29reduce_by_key_config_selectorIjiN6thrust23THRUST_200600_302600_NS4plusIiEEEEZZNS1_33reduce_by_key_impl_wrapped_configILNS1_25lookback_scan_determinismE0ES3_S9_NS6_6detail15normal_iteratorINS6_10device_ptrIjEEEENSD_INSE_IiEEEENS6_16discard_iteratorINS6_11use_defaultEEESI_PmS8_NS6_8equal_toIjEEEE10hipError_tPvRmT2_T3_mT4_T5_T6_T7_T8_P12ihipStream_tbENKUlT_T0_E_clISt17integral_constantIbLb1EES16_EEDaS11_S12_EUlS11_E_NS1_11comp_targetILNS1_3genE2ELNS1_11target_archE906ELNS1_3gpuE6ELNS1_3repE0EEENS1_30default_config_static_selectorELNS0_4arch9wavefront6targetE0EEEvT1_ ; -- Begin function _ZN7rocprim17ROCPRIM_400000_NS6detail17trampoline_kernelINS0_14default_configENS1_29reduce_by_key_config_selectorIjiN6thrust23THRUST_200600_302600_NS4plusIiEEEEZZNS1_33reduce_by_key_impl_wrapped_configILNS1_25lookback_scan_determinismE0ES3_S9_NS6_6detail15normal_iteratorINS6_10device_ptrIjEEEENSD_INSE_IiEEEENS6_16discard_iteratorINS6_11use_defaultEEESI_PmS8_NS6_8equal_toIjEEEE10hipError_tPvRmT2_T3_mT4_T5_T6_T7_T8_P12ihipStream_tbENKUlT_T0_E_clISt17integral_constantIbLb1EES16_EEDaS11_S12_EUlS11_E_NS1_11comp_targetILNS1_3genE2ELNS1_11target_archE906ELNS1_3gpuE6ELNS1_3repE0EEENS1_30default_config_static_selectorELNS0_4arch9wavefront6targetE0EEEvT1_
	.globl	_ZN7rocprim17ROCPRIM_400000_NS6detail17trampoline_kernelINS0_14default_configENS1_29reduce_by_key_config_selectorIjiN6thrust23THRUST_200600_302600_NS4plusIiEEEEZZNS1_33reduce_by_key_impl_wrapped_configILNS1_25lookback_scan_determinismE0ES3_S9_NS6_6detail15normal_iteratorINS6_10device_ptrIjEEEENSD_INSE_IiEEEENS6_16discard_iteratorINS6_11use_defaultEEESI_PmS8_NS6_8equal_toIjEEEE10hipError_tPvRmT2_T3_mT4_T5_T6_T7_T8_P12ihipStream_tbENKUlT_T0_E_clISt17integral_constantIbLb1EES16_EEDaS11_S12_EUlS11_E_NS1_11comp_targetILNS1_3genE2ELNS1_11target_archE906ELNS1_3gpuE6ELNS1_3repE0EEENS1_30default_config_static_selectorELNS0_4arch9wavefront6targetE0EEEvT1_
	.p2align	8
	.type	_ZN7rocprim17ROCPRIM_400000_NS6detail17trampoline_kernelINS0_14default_configENS1_29reduce_by_key_config_selectorIjiN6thrust23THRUST_200600_302600_NS4plusIiEEEEZZNS1_33reduce_by_key_impl_wrapped_configILNS1_25lookback_scan_determinismE0ES3_S9_NS6_6detail15normal_iteratorINS6_10device_ptrIjEEEENSD_INSE_IiEEEENS6_16discard_iteratorINS6_11use_defaultEEESI_PmS8_NS6_8equal_toIjEEEE10hipError_tPvRmT2_T3_mT4_T5_T6_T7_T8_P12ihipStream_tbENKUlT_T0_E_clISt17integral_constantIbLb1EES16_EEDaS11_S12_EUlS11_E_NS1_11comp_targetILNS1_3genE2ELNS1_11target_archE906ELNS1_3gpuE6ELNS1_3repE0EEENS1_30default_config_static_selectorELNS0_4arch9wavefront6targetE0EEEvT1_,@function
_ZN7rocprim17ROCPRIM_400000_NS6detail17trampoline_kernelINS0_14default_configENS1_29reduce_by_key_config_selectorIjiN6thrust23THRUST_200600_302600_NS4plusIiEEEEZZNS1_33reduce_by_key_impl_wrapped_configILNS1_25lookback_scan_determinismE0ES3_S9_NS6_6detail15normal_iteratorINS6_10device_ptrIjEEEENSD_INSE_IiEEEENS6_16discard_iteratorINS6_11use_defaultEEESI_PmS8_NS6_8equal_toIjEEEE10hipError_tPvRmT2_T3_mT4_T5_T6_T7_T8_P12ihipStream_tbENKUlT_T0_E_clISt17integral_constantIbLb1EES16_EEDaS11_S12_EUlS11_E_NS1_11comp_targetILNS1_3genE2ELNS1_11target_archE906ELNS1_3gpuE6ELNS1_3repE0EEENS1_30default_config_static_selectorELNS0_4arch9wavefront6targetE0EEEvT1_: ; @_ZN7rocprim17ROCPRIM_400000_NS6detail17trampoline_kernelINS0_14default_configENS1_29reduce_by_key_config_selectorIjiN6thrust23THRUST_200600_302600_NS4plusIiEEEEZZNS1_33reduce_by_key_impl_wrapped_configILNS1_25lookback_scan_determinismE0ES3_S9_NS6_6detail15normal_iteratorINS6_10device_ptrIjEEEENSD_INSE_IiEEEENS6_16discard_iteratorINS6_11use_defaultEEESI_PmS8_NS6_8equal_toIjEEEE10hipError_tPvRmT2_T3_mT4_T5_T6_T7_T8_P12ihipStream_tbENKUlT_T0_E_clISt17integral_constantIbLb1EES16_EEDaS11_S12_EUlS11_E_NS1_11comp_targetILNS1_3genE2ELNS1_11target_archE906ELNS1_3gpuE6ELNS1_3repE0EEENS1_30default_config_static_selectorELNS0_4arch9wavefront6targetE0EEEvT1_
; %bb.0:
	.section	.rodata,"a",@progbits
	.p2align	6, 0x0
	.amdhsa_kernel _ZN7rocprim17ROCPRIM_400000_NS6detail17trampoline_kernelINS0_14default_configENS1_29reduce_by_key_config_selectorIjiN6thrust23THRUST_200600_302600_NS4plusIiEEEEZZNS1_33reduce_by_key_impl_wrapped_configILNS1_25lookback_scan_determinismE0ES3_S9_NS6_6detail15normal_iteratorINS6_10device_ptrIjEEEENSD_INSE_IiEEEENS6_16discard_iteratorINS6_11use_defaultEEESI_PmS8_NS6_8equal_toIjEEEE10hipError_tPvRmT2_T3_mT4_T5_T6_T7_T8_P12ihipStream_tbENKUlT_T0_E_clISt17integral_constantIbLb1EES16_EEDaS11_S12_EUlS11_E_NS1_11comp_targetILNS1_3genE2ELNS1_11target_archE906ELNS1_3gpuE6ELNS1_3repE0EEENS1_30default_config_static_selectorELNS0_4arch9wavefront6targetE0EEEvT1_
		.amdhsa_group_segment_fixed_size 0
		.amdhsa_private_segment_fixed_size 0
		.amdhsa_kernarg_size 128
		.amdhsa_user_sgpr_count 15
		.amdhsa_user_sgpr_dispatch_ptr 0
		.amdhsa_user_sgpr_queue_ptr 0
		.amdhsa_user_sgpr_kernarg_segment_ptr 1
		.amdhsa_user_sgpr_dispatch_id 0
		.amdhsa_user_sgpr_private_segment_size 0
		.amdhsa_wavefront_size32 1
		.amdhsa_uses_dynamic_stack 0
		.amdhsa_enable_private_segment 0
		.amdhsa_system_sgpr_workgroup_id_x 1
		.amdhsa_system_sgpr_workgroup_id_y 0
		.amdhsa_system_sgpr_workgroup_id_z 0
		.amdhsa_system_sgpr_workgroup_info 0
		.amdhsa_system_vgpr_workitem_id 0
		.amdhsa_next_free_vgpr 1
		.amdhsa_next_free_sgpr 1
		.amdhsa_reserve_vcc 0
		.amdhsa_float_round_mode_32 0
		.amdhsa_float_round_mode_16_64 0
		.amdhsa_float_denorm_mode_32 3
		.amdhsa_float_denorm_mode_16_64 3
		.amdhsa_dx10_clamp 1
		.amdhsa_ieee_mode 1
		.amdhsa_fp16_overflow 0
		.amdhsa_workgroup_processor_mode 1
		.amdhsa_memory_ordered 1
		.amdhsa_forward_progress 0
		.amdhsa_shared_vgpr_count 0
		.amdhsa_exception_fp_ieee_invalid_op 0
		.amdhsa_exception_fp_denorm_src 0
		.amdhsa_exception_fp_ieee_div_zero 0
		.amdhsa_exception_fp_ieee_overflow 0
		.amdhsa_exception_fp_ieee_underflow 0
		.amdhsa_exception_fp_ieee_inexact 0
		.amdhsa_exception_int_div_zero 0
	.end_amdhsa_kernel
	.section	.text._ZN7rocprim17ROCPRIM_400000_NS6detail17trampoline_kernelINS0_14default_configENS1_29reduce_by_key_config_selectorIjiN6thrust23THRUST_200600_302600_NS4plusIiEEEEZZNS1_33reduce_by_key_impl_wrapped_configILNS1_25lookback_scan_determinismE0ES3_S9_NS6_6detail15normal_iteratorINS6_10device_ptrIjEEEENSD_INSE_IiEEEENS6_16discard_iteratorINS6_11use_defaultEEESI_PmS8_NS6_8equal_toIjEEEE10hipError_tPvRmT2_T3_mT4_T5_T6_T7_T8_P12ihipStream_tbENKUlT_T0_E_clISt17integral_constantIbLb1EES16_EEDaS11_S12_EUlS11_E_NS1_11comp_targetILNS1_3genE2ELNS1_11target_archE906ELNS1_3gpuE6ELNS1_3repE0EEENS1_30default_config_static_selectorELNS0_4arch9wavefront6targetE0EEEvT1_,"axG",@progbits,_ZN7rocprim17ROCPRIM_400000_NS6detail17trampoline_kernelINS0_14default_configENS1_29reduce_by_key_config_selectorIjiN6thrust23THRUST_200600_302600_NS4plusIiEEEEZZNS1_33reduce_by_key_impl_wrapped_configILNS1_25lookback_scan_determinismE0ES3_S9_NS6_6detail15normal_iteratorINS6_10device_ptrIjEEEENSD_INSE_IiEEEENS6_16discard_iteratorINS6_11use_defaultEEESI_PmS8_NS6_8equal_toIjEEEE10hipError_tPvRmT2_T3_mT4_T5_T6_T7_T8_P12ihipStream_tbENKUlT_T0_E_clISt17integral_constantIbLb1EES16_EEDaS11_S12_EUlS11_E_NS1_11comp_targetILNS1_3genE2ELNS1_11target_archE906ELNS1_3gpuE6ELNS1_3repE0EEENS1_30default_config_static_selectorELNS0_4arch9wavefront6targetE0EEEvT1_,comdat
.Lfunc_end1034:
	.size	_ZN7rocprim17ROCPRIM_400000_NS6detail17trampoline_kernelINS0_14default_configENS1_29reduce_by_key_config_selectorIjiN6thrust23THRUST_200600_302600_NS4plusIiEEEEZZNS1_33reduce_by_key_impl_wrapped_configILNS1_25lookback_scan_determinismE0ES3_S9_NS6_6detail15normal_iteratorINS6_10device_ptrIjEEEENSD_INSE_IiEEEENS6_16discard_iteratorINS6_11use_defaultEEESI_PmS8_NS6_8equal_toIjEEEE10hipError_tPvRmT2_T3_mT4_T5_T6_T7_T8_P12ihipStream_tbENKUlT_T0_E_clISt17integral_constantIbLb1EES16_EEDaS11_S12_EUlS11_E_NS1_11comp_targetILNS1_3genE2ELNS1_11target_archE906ELNS1_3gpuE6ELNS1_3repE0EEENS1_30default_config_static_selectorELNS0_4arch9wavefront6targetE0EEEvT1_, .Lfunc_end1034-_ZN7rocprim17ROCPRIM_400000_NS6detail17trampoline_kernelINS0_14default_configENS1_29reduce_by_key_config_selectorIjiN6thrust23THRUST_200600_302600_NS4plusIiEEEEZZNS1_33reduce_by_key_impl_wrapped_configILNS1_25lookback_scan_determinismE0ES3_S9_NS6_6detail15normal_iteratorINS6_10device_ptrIjEEEENSD_INSE_IiEEEENS6_16discard_iteratorINS6_11use_defaultEEESI_PmS8_NS6_8equal_toIjEEEE10hipError_tPvRmT2_T3_mT4_T5_T6_T7_T8_P12ihipStream_tbENKUlT_T0_E_clISt17integral_constantIbLb1EES16_EEDaS11_S12_EUlS11_E_NS1_11comp_targetILNS1_3genE2ELNS1_11target_archE906ELNS1_3gpuE6ELNS1_3repE0EEENS1_30default_config_static_selectorELNS0_4arch9wavefront6targetE0EEEvT1_
                                        ; -- End function
	.section	.AMDGPU.csdata,"",@progbits
; Kernel info:
; codeLenInByte = 0
; NumSgprs: 0
; NumVgprs: 0
; ScratchSize: 0
; MemoryBound: 0
; FloatMode: 240
; IeeeMode: 1
; LDSByteSize: 0 bytes/workgroup (compile time only)
; SGPRBlocks: 0
; VGPRBlocks: 0
; NumSGPRsForWavesPerEU: 1
; NumVGPRsForWavesPerEU: 1
; Occupancy: 16
; WaveLimiterHint : 0
; COMPUTE_PGM_RSRC2:SCRATCH_EN: 0
; COMPUTE_PGM_RSRC2:USER_SGPR: 15
; COMPUTE_PGM_RSRC2:TRAP_HANDLER: 0
; COMPUTE_PGM_RSRC2:TGID_X_EN: 1
; COMPUTE_PGM_RSRC2:TGID_Y_EN: 0
; COMPUTE_PGM_RSRC2:TGID_Z_EN: 0
; COMPUTE_PGM_RSRC2:TIDIG_COMP_CNT: 0
	.section	.text._ZN7rocprim17ROCPRIM_400000_NS6detail17trampoline_kernelINS0_14default_configENS1_29reduce_by_key_config_selectorIjiN6thrust23THRUST_200600_302600_NS4plusIiEEEEZZNS1_33reduce_by_key_impl_wrapped_configILNS1_25lookback_scan_determinismE0ES3_S9_NS6_6detail15normal_iteratorINS6_10device_ptrIjEEEENSD_INSE_IiEEEENS6_16discard_iteratorINS6_11use_defaultEEESI_PmS8_NS6_8equal_toIjEEEE10hipError_tPvRmT2_T3_mT4_T5_T6_T7_T8_P12ihipStream_tbENKUlT_T0_E_clISt17integral_constantIbLb1EES16_EEDaS11_S12_EUlS11_E_NS1_11comp_targetILNS1_3genE10ELNS1_11target_archE1201ELNS1_3gpuE5ELNS1_3repE0EEENS1_30default_config_static_selectorELNS0_4arch9wavefront6targetE0EEEvT1_,"axG",@progbits,_ZN7rocprim17ROCPRIM_400000_NS6detail17trampoline_kernelINS0_14default_configENS1_29reduce_by_key_config_selectorIjiN6thrust23THRUST_200600_302600_NS4plusIiEEEEZZNS1_33reduce_by_key_impl_wrapped_configILNS1_25lookback_scan_determinismE0ES3_S9_NS6_6detail15normal_iteratorINS6_10device_ptrIjEEEENSD_INSE_IiEEEENS6_16discard_iteratorINS6_11use_defaultEEESI_PmS8_NS6_8equal_toIjEEEE10hipError_tPvRmT2_T3_mT4_T5_T6_T7_T8_P12ihipStream_tbENKUlT_T0_E_clISt17integral_constantIbLb1EES16_EEDaS11_S12_EUlS11_E_NS1_11comp_targetILNS1_3genE10ELNS1_11target_archE1201ELNS1_3gpuE5ELNS1_3repE0EEENS1_30default_config_static_selectorELNS0_4arch9wavefront6targetE0EEEvT1_,comdat
	.protected	_ZN7rocprim17ROCPRIM_400000_NS6detail17trampoline_kernelINS0_14default_configENS1_29reduce_by_key_config_selectorIjiN6thrust23THRUST_200600_302600_NS4plusIiEEEEZZNS1_33reduce_by_key_impl_wrapped_configILNS1_25lookback_scan_determinismE0ES3_S9_NS6_6detail15normal_iteratorINS6_10device_ptrIjEEEENSD_INSE_IiEEEENS6_16discard_iteratorINS6_11use_defaultEEESI_PmS8_NS6_8equal_toIjEEEE10hipError_tPvRmT2_T3_mT4_T5_T6_T7_T8_P12ihipStream_tbENKUlT_T0_E_clISt17integral_constantIbLb1EES16_EEDaS11_S12_EUlS11_E_NS1_11comp_targetILNS1_3genE10ELNS1_11target_archE1201ELNS1_3gpuE5ELNS1_3repE0EEENS1_30default_config_static_selectorELNS0_4arch9wavefront6targetE0EEEvT1_ ; -- Begin function _ZN7rocprim17ROCPRIM_400000_NS6detail17trampoline_kernelINS0_14default_configENS1_29reduce_by_key_config_selectorIjiN6thrust23THRUST_200600_302600_NS4plusIiEEEEZZNS1_33reduce_by_key_impl_wrapped_configILNS1_25lookback_scan_determinismE0ES3_S9_NS6_6detail15normal_iteratorINS6_10device_ptrIjEEEENSD_INSE_IiEEEENS6_16discard_iteratorINS6_11use_defaultEEESI_PmS8_NS6_8equal_toIjEEEE10hipError_tPvRmT2_T3_mT4_T5_T6_T7_T8_P12ihipStream_tbENKUlT_T0_E_clISt17integral_constantIbLb1EES16_EEDaS11_S12_EUlS11_E_NS1_11comp_targetILNS1_3genE10ELNS1_11target_archE1201ELNS1_3gpuE5ELNS1_3repE0EEENS1_30default_config_static_selectorELNS0_4arch9wavefront6targetE0EEEvT1_
	.globl	_ZN7rocprim17ROCPRIM_400000_NS6detail17trampoline_kernelINS0_14default_configENS1_29reduce_by_key_config_selectorIjiN6thrust23THRUST_200600_302600_NS4plusIiEEEEZZNS1_33reduce_by_key_impl_wrapped_configILNS1_25lookback_scan_determinismE0ES3_S9_NS6_6detail15normal_iteratorINS6_10device_ptrIjEEEENSD_INSE_IiEEEENS6_16discard_iteratorINS6_11use_defaultEEESI_PmS8_NS6_8equal_toIjEEEE10hipError_tPvRmT2_T3_mT4_T5_T6_T7_T8_P12ihipStream_tbENKUlT_T0_E_clISt17integral_constantIbLb1EES16_EEDaS11_S12_EUlS11_E_NS1_11comp_targetILNS1_3genE10ELNS1_11target_archE1201ELNS1_3gpuE5ELNS1_3repE0EEENS1_30default_config_static_selectorELNS0_4arch9wavefront6targetE0EEEvT1_
	.p2align	8
	.type	_ZN7rocprim17ROCPRIM_400000_NS6detail17trampoline_kernelINS0_14default_configENS1_29reduce_by_key_config_selectorIjiN6thrust23THRUST_200600_302600_NS4plusIiEEEEZZNS1_33reduce_by_key_impl_wrapped_configILNS1_25lookback_scan_determinismE0ES3_S9_NS6_6detail15normal_iteratorINS6_10device_ptrIjEEEENSD_INSE_IiEEEENS6_16discard_iteratorINS6_11use_defaultEEESI_PmS8_NS6_8equal_toIjEEEE10hipError_tPvRmT2_T3_mT4_T5_T6_T7_T8_P12ihipStream_tbENKUlT_T0_E_clISt17integral_constantIbLb1EES16_EEDaS11_S12_EUlS11_E_NS1_11comp_targetILNS1_3genE10ELNS1_11target_archE1201ELNS1_3gpuE5ELNS1_3repE0EEENS1_30default_config_static_selectorELNS0_4arch9wavefront6targetE0EEEvT1_,@function
_ZN7rocprim17ROCPRIM_400000_NS6detail17trampoline_kernelINS0_14default_configENS1_29reduce_by_key_config_selectorIjiN6thrust23THRUST_200600_302600_NS4plusIiEEEEZZNS1_33reduce_by_key_impl_wrapped_configILNS1_25lookback_scan_determinismE0ES3_S9_NS6_6detail15normal_iteratorINS6_10device_ptrIjEEEENSD_INSE_IiEEEENS6_16discard_iteratorINS6_11use_defaultEEESI_PmS8_NS6_8equal_toIjEEEE10hipError_tPvRmT2_T3_mT4_T5_T6_T7_T8_P12ihipStream_tbENKUlT_T0_E_clISt17integral_constantIbLb1EES16_EEDaS11_S12_EUlS11_E_NS1_11comp_targetILNS1_3genE10ELNS1_11target_archE1201ELNS1_3gpuE5ELNS1_3repE0EEENS1_30default_config_static_selectorELNS0_4arch9wavefront6targetE0EEEvT1_: ; @_ZN7rocprim17ROCPRIM_400000_NS6detail17trampoline_kernelINS0_14default_configENS1_29reduce_by_key_config_selectorIjiN6thrust23THRUST_200600_302600_NS4plusIiEEEEZZNS1_33reduce_by_key_impl_wrapped_configILNS1_25lookback_scan_determinismE0ES3_S9_NS6_6detail15normal_iteratorINS6_10device_ptrIjEEEENSD_INSE_IiEEEENS6_16discard_iteratorINS6_11use_defaultEEESI_PmS8_NS6_8equal_toIjEEEE10hipError_tPvRmT2_T3_mT4_T5_T6_T7_T8_P12ihipStream_tbENKUlT_T0_E_clISt17integral_constantIbLb1EES16_EEDaS11_S12_EUlS11_E_NS1_11comp_targetILNS1_3genE10ELNS1_11target_archE1201ELNS1_3gpuE5ELNS1_3repE0EEENS1_30default_config_static_selectorELNS0_4arch9wavefront6targetE0EEEvT1_
; %bb.0:
	.section	.rodata,"a",@progbits
	.p2align	6, 0x0
	.amdhsa_kernel _ZN7rocprim17ROCPRIM_400000_NS6detail17trampoline_kernelINS0_14default_configENS1_29reduce_by_key_config_selectorIjiN6thrust23THRUST_200600_302600_NS4plusIiEEEEZZNS1_33reduce_by_key_impl_wrapped_configILNS1_25lookback_scan_determinismE0ES3_S9_NS6_6detail15normal_iteratorINS6_10device_ptrIjEEEENSD_INSE_IiEEEENS6_16discard_iteratorINS6_11use_defaultEEESI_PmS8_NS6_8equal_toIjEEEE10hipError_tPvRmT2_T3_mT4_T5_T6_T7_T8_P12ihipStream_tbENKUlT_T0_E_clISt17integral_constantIbLb1EES16_EEDaS11_S12_EUlS11_E_NS1_11comp_targetILNS1_3genE10ELNS1_11target_archE1201ELNS1_3gpuE5ELNS1_3repE0EEENS1_30default_config_static_selectorELNS0_4arch9wavefront6targetE0EEEvT1_
		.amdhsa_group_segment_fixed_size 0
		.amdhsa_private_segment_fixed_size 0
		.amdhsa_kernarg_size 128
		.amdhsa_user_sgpr_count 15
		.amdhsa_user_sgpr_dispatch_ptr 0
		.amdhsa_user_sgpr_queue_ptr 0
		.amdhsa_user_sgpr_kernarg_segment_ptr 1
		.amdhsa_user_sgpr_dispatch_id 0
		.amdhsa_user_sgpr_private_segment_size 0
		.amdhsa_wavefront_size32 1
		.amdhsa_uses_dynamic_stack 0
		.amdhsa_enable_private_segment 0
		.amdhsa_system_sgpr_workgroup_id_x 1
		.amdhsa_system_sgpr_workgroup_id_y 0
		.amdhsa_system_sgpr_workgroup_id_z 0
		.amdhsa_system_sgpr_workgroup_info 0
		.amdhsa_system_vgpr_workitem_id 0
		.amdhsa_next_free_vgpr 1
		.amdhsa_next_free_sgpr 1
		.amdhsa_reserve_vcc 0
		.amdhsa_float_round_mode_32 0
		.amdhsa_float_round_mode_16_64 0
		.amdhsa_float_denorm_mode_32 3
		.amdhsa_float_denorm_mode_16_64 3
		.amdhsa_dx10_clamp 1
		.amdhsa_ieee_mode 1
		.amdhsa_fp16_overflow 0
		.amdhsa_workgroup_processor_mode 1
		.amdhsa_memory_ordered 1
		.amdhsa_forward_progress 0
		.amdhsa_shared_vgpr_count 0
		.amdhsa_exception_fp_ieee_invalid_op 0
		.amdhsa_exception_fp_denorm_src 0
		.amdhsa_exception_fp_ieee_div_zero 0
		.amdhsa_exception_fp_ieee_overflow 0
		.amdhsa_exception_fp_ieee_underflow 0
		.amdhsa_exception_fp_ieee_inexact 0
		.amdhsa_exception_int_div_zero 0
	.end_amdhsa_kernel
	.section	.text._ZN7rocprim17ROCPRIM_400000_NS6detail17trampoline_kernelINS0_14default_configENS1_29reduce_by_key_config_selectorIjiN6thrust23THRUST_200600_302600_NS4plusIiEEEEZZNS1_33reduce_by_key_impl_wrapped_configILNS1_25lookback_scan_determinismE0ES3_S9_NS6_6detail15normal_iteratorINS6_10device_ptrIjEEEENSD_INSE_IiEEEENS6_16discard_iteratorINS6_11use_defaultEEESI_PmS8_NS6_8equal_toIjEEEE10hipError_tPvRmT2_T3_mT4_T5_T6_T7_T8_P12ihipStream_tbENKUlT_T0_E_clISt17integral_constantIbLb1EES16_EEDaS11_S12_EUlS11_E_NS1_11comp_targetILNS1_3genE10ELNS1_11target_archE1201ELNS1_3gpuE5ELNS1_3repE0EEENS1_30default_config_static_selectorELNS0_4arch9wavefront6targetE0EEEvT1_,"axG",@progbits,_ZN7rocprim17ROCPRIM_400000_NS6detail17trampoline_kernelINS0_14default_configENS1_29reduce_by_key_config_selectorIjiN6thrust23THRUST_200600_302600_NS4plusIiEEEEZZNS1_33reduce_by_key_impl_wrapped_configILNS1_25lookback_scan_determinismE0ES3_S9_NS6_6detail15normal_iteratorINS6_10device_ptrIjEEEENSD_INSE_IiEEEENS6_16discard_iteratorINS6_11use_defaultEEESI_PmS8_NS6_8equal_toIjEEEE10hipError_tPvRmT2_T3_mT4_T5_T6_T7_T8_P12ihipStream_tbENKUlT_T0_E_clISt17integral_constantIbLb1EES16_EEDaS11_S12_EUlS11_E_NS1_11comp_targetILNS1_3genE10ELNS1_11target_archE1201ELNS1_3gpuE5ELNS1_3repE0EEENS1_30default_config_static_selectorELNS0_4arch9wavefront6targetE0EEEvT1_,comdat
.Lfunc_end1035:
	.size	_ZN7rocprim17ROCPRIM_400000_NS6detail17trampoline_kernelINS0_14default_configENS1_29reduce_by_key_config_selectorIjiN6thrust23THRUST_200600_302600_NS4plusIiEEEEZZNS1_33reduce_by_key_impl_wrapped_configILNS1_25lookback_scan_determinismE0ES3_S9_NS6_6detail15normal_iteratorINS6_10device_ptrIjEEEENSD_INSE_IiEEEENS6_16discard_iteratorINS6_11use_defaultEEESI_PmS8_NS6_8equal_toIjEEEE10hipError_tPvRmT2_T3_mT4_T5_T6_T7_T8_P12ihipStream_tbENKUlT_T0_E_clISt17integral_constantIbLb1EES16_EEDaS11_S12_EUlS11_E_NS1_11comp_targetILNS1_3genE10ELNS1_11target_archE1201ELNS1_3gpuE5ELNS1_3repE0EEENS1_30default_config_static_selectorELNS0_4arch9wavefront6targetE0EEEvT1_, .Lfunc_end1035-_ZN7rocprim17ROCPRIM_400000_NS6detail17trampoline_kernelINS0_14default_configENS1_29reduce_by_key_config_selectorIjiN6thrust23THRUST_200600_302600_NS4plusIiEEEEZZNS1_33reduce_by_key_impl_wrapped_configILNS1_25lookback_scan_determinismE0ES3_S9_NS6_6detail15normal_iteratorINS6_10device_ptrIjEEEENSD_INSE_IiEEEENS6_16discard_iteratorINS6_11use_defaultEEESI_PmS8_NS6_8equal_toIjEEEE10hipError_tPvRmT2_T3_mT4_T5_T6_T7_T8_P12ihipStream_tbENKUlT_T0_E_clISt17integral_constantIbLb1EES16_EEDaS11_S12_EUlS11_E_NS1_11comp_targetILNS1_3genE10ELNS1_11target_archE1201ELNS1_3gpuE5ELNS1_3repE0EEENS1_30default_config_static_selectorELNS0_4arch9wavefront6targetE0EEEvT1_
                                        ; -- End function
	.section	.AMDGPU.csdata,"",@progbits
; Kernel info:
; codeLenInByte = 0
; NumSgprs: 0
; NumVgprs: 0
; ScratchSize: 0
; MemoryBound: 0
; FloatMode: 240
; IeeeMode: 1
; LDSByteSize: 0 bytes/workgroup (compile time only)
; SGPRBlocks: 0
; VGPRBlocks: 0
; NumSGPRsForWavesPerEU: 1
; NumVGPRsForWavesPerEU: 1
; Occupancy: 16
; WaveLimiterHint : 0
; COMPUTE_PGM_RSRC2:SCRATCH_EN: 0
; COMPUTE_PGM_RSRC2:USER_SGPR: 15
; COMPUTE_PGM_RSRC2:TRAP_HANDLER: 0
; COMPUTE_PGM_RSRC2:TGID_X_EN: 1
; COMPUTE_PGM_RSRC2:TGID_Y_EN: 0
; COMPUTE_PGM_RSRC2:TGID_Z_EN: 0
; COMPUTE_PGM_RSRC2:TIDIG_COMP_CNT: 0
	.section	.text._ZN7rocprim17ROCPRIM_400000_NS6detail17trampoline_kernelINS0_14default_configENS1_29reduce_by_key_config_selectorIjiN6thrust23THRUST_200600_302600_NS4plusIiEEEEZZNS1_33reduce_by_key_impl_wrapped_configILNS1_25lookback_scan_determinismE0ES3_S9_NS6_6detail15normal_iteratorINS6_10device_ptrIjEEEENSD_INSE_IiEEEENS6_16discard_iteratorINS6_11use_defaultEEESI_PmS8_NS6_8equal_toIjEEEE10hipError_tPvRmT2_T3_mT4_T5_T6_T7_T8_P12ihipStream_tbENKUlT_T0_E_clISt17integral_constantIbLb1EES16_EEDaS11_S12_EUlS11_E_NS1_11comp_targetILNS1_3genE10ELNS1_11target_archE1200ELNS1_3gpuE4ELNS1_3repE0EEENS1_30default_config_static_selectorELNS0_4arch9wavefront6targetE0EEEvT1_,"axG",@progbits,_ZN7rocprim17ROCPRIM_400000_NS6detail17trampoline_kernelINS0_14default_configENS1_29reduce_by_key_config_selectorIjiN6thrust23THRUST_200600_302600_NS4plusIiEEEEZZNS1_33reduce_by_key_impl_wrapped_configILNS1_25lookback_scan_determinismE0ES3_S9_NS6_6detail15normal_iteratorINS6_10device_ptrIjEEEENSD_INSE_IiEEEENS6_16discard_iteratorINS6_11use_defaultEEESI_PmS8_NS6_8equal_toIjEEEE10hipError_tPvRmT2_T3_mT4_T5_T6_T7_T8_P12ihipStream_tbENKUlT_T0_E_clISt17integral_constantIbLb1EES16_EEDaS11_S12_EUlS11_E_NS1_11comp_targetILNS1_3genE10ELNS1_11target_archE1200ELNS1_3gpuE4ELNS1_3repE0EEENS1_30default_config_static_selectorELNS0_4arch9wavefront6targetE0EEEvT1_,comdat
	.protected	_ZN7rocprim17ROCPRIM_400000_NS6detail17trampoline_kernelINS0_14default_configENS1_29reduce_by_key_config_selectorIjiN6thrust23THRUST_200600_302600_NS4plusIiEEEEZZNS1_33reduce_by_key_impl_wrapped_configILNS1_25lookback_scan_determinismE0ES3_S9_NS6_6detail15normal_iteratorINS6_10device_ptrIjEEEENSD_INSE_IiEEEENS6_16discard_iteratorINS6_11use_defaultEEESI_PmS8_NS6_8equal_toIjEEEE10hipError_tPvRmT2_T3_mT4_T5_T6_T7_T8_P12ihipStream_tbENKUlT_T0_E_clISt17integral_constantIbLb1EES16_EEDaS11_S12_EUlS11_E_NS1_11comp_targetILNS1_3genE10ELNS1_11target_archE1200ELNS1_3gpuE4ELNS1_3repE0EEENS1_30default_config_static_selectorELNS0_4arch9wavefront6targetE0EEEvT1_ ; -- Begin function _ZN7rocprim17ROCPRIM_400000_NS6detail17trampoline_kernelINS0_14default_configENS1_29reduce_by_key_config_selectorIjiN6thrust23THRUST_200600_302600_NS4plusIiEEEEZZNS1_33reduce_by_key_impl_wrapped_configILNS1_25lookback_scan_determinismE0ES3_S9_NS6_6detail15normal_iteratorINS6_10device_ptrIjEEEENSD_INSE_IiEEEENS6_16discard_iteratorINS6_11use_defaultEEESI_PmS8_NS6_8equal_toIjEEEE10hipError_tPvRmT2_T3_mT4_T5_T6_T7_T8_P12ihipStream_tbENKUlT_T0_E_clISt17integral_constantIbLb1EES16_EEDaS11_S12_EUlS11_E_NS1_11comp_targetILNS1_3genE10ELNS1_11target_archE1200ELNS1_3gpuE4ELNS1_3repE0EEENS1_30default_config_static_selectorELNS0_4arch9wavefront6targetE0EEEvT1_
	.globl	_ZN7rocprim17ROCPRIM_400000_NS6detail17trampoline_kernelINS0_14default_configENS1_29reduce_by_key_config_selectorIjiN6thrust23THRUST_200600_302600_NS4plusIiEEEEZZNS1_33reduce_by_key_impl_wrapped_configILNS1_25lookback_scan_determinismE0ES3_S9_NS6_6detail15normal_iteratorINS6_10device_ptrIjEEEENSD_INSE_IiEEEENS6_16discard_iteratorINS6_11use_defaultEEESI_PmS8_NS6_8equal_toIjEEEE10hipError_tPvRmT2_T3_mT4_T5_T6_T7_T8_P12ihipStream_tbENKUlT_T0_E_clISt17integral_constantIbLb1EES16_EEDaS11_S12_EUlS11_E_NS1_11comp_targetILNS1_3genE10ELNS1_11target_archE1200ELNS1_3gpuE4ELNS1_3repE0EEENS1_30default_config_static_selectorELNS0_4arch9wavefront6targetE0EEEvT1_
	.p2align	8
	.type	_ZN7rocprim17ROCPRIM_400000_NS6detail17trampoline_kernelINS0_14default_configENS1_29reduce_by_key_config_selectorIjiN6thrust23THRUST_200600_302600_NS4plusIiEEEEZZNS1_33reduce_by_key_impl_wrapped_configILNS1_25lookback_scan_determinismE0ES3_S9_NS6_6detail15normal_iteratorINS6_10device_ptrIjEEEENSD_INSE_IiEEEENS6_16discard_iteratorINS6_11use_defaultEEESI_PmS8_NS6_8equal_toIjEEEE10hipError_tPvRmT2_T3_mT4_T5_T6_T7_T8_P12ihipStream_tbENKUlT_T0_E_clISt17integral_constantIbLb1EES16_EEDaS11_S12_EUlS11_E_NS1_11comp_targetILNS1_3genE10ELNS1_11target_archE1200ELNS1_3gpuE4ELNS1_3repE0EEENS1_30default_config_static_selectorELNS0_4arch9wavefront6targetE0EEEvT1_,@function
_ZN7rocprim17ROCPRIM_400000_NS6detail17trampoline_kernelINS0_14default_configENS1_29reduce_by_key_config_selectorIjiN6thrust23THRUST_200600_302600_NS4plusIiEEEEZZNS1_33reduce_by_key_impl_wrapped_configILNS1_25lookback_scan_determinismE0ES3_S9_NS6_6detail15normal_iteratorINS6_10device_ptrIjEEEENSD_INSE_IiEEEENS6_16discard_iteratorINS6_11use_defaultEEESI_PmS8_NS6_8equal_toIjEEEE10hipError_tPvRmT2_T3_mT4_T5_T6_T7_T8_P12ihipStream_tbENKUlT_T0_E_clISt17integral_constantIbLb1EES16_EEDaS11_S12_EUlS11_E_NS1_11comp_targetILNS1_3genE10ELNS1_11target_archE1200ELNS1_3gpuE4ELNS1_3repE0EEENS1_30default_config_static_selectorELNS0_4arch9wavefront6targetE0EEEvT1_: ; @_ZN7rocprim17ROCPRIM_400000_NS6detail17trampoline_kernelINS0_14default_configENS1_29reduce_by_key_config_selectorIjiN6thrust23THRUST_200600_302600_NS4plusIiEEEEZZNS1_33reduce_by_key_impl_wrapped_configILNS1_25lookback_scan_determinismE0ES3_S9_NS6_6detail15normal_iteratorINS6_10device_ptrIjEEEENSD_INSE_IiEEEENS6_16discard_iteratorINS6_11use_defaultEEESI_PmS8_NS6_8equal_toIjEEEE10hipError_tPvRmT2_T3_mT4_T5_T6_T7_T8_P12ihipStream_tbENKUlT_T0_E_clISt17integral_constantIbLb1EES16_EEDaS11_S12_EUlS11_E_NS1_11comp_targetILNS1_3genE10ELNS1_11target_archE1200ELNS1_3gpuE4ELNS1_3repE0EEENS1_30default_config_static_selectorELNS0_4arch9wavefront6targetE0EEEvT1_
; %bb.0:
	.section	.rodata,"a",@progbits
	.p2align	6, 0x0
	.amdhsa_kernel _ZN7rocprim17ROCPRIM_400000_NS6detail17trampoline_kernelINS0_14default_configENS1_29reduce_by_key_config_selectorIjiN6thrust23THRUST_200600_302600_NS4plusIiEEEEZZNS1_33reduce_by_key_impl_wrapped_configILNS1_25lookback_scan_determinismE0ES3_S9_NS6_6detail15normal_iteratorINS6_10device_ptrIjEEEENSD_INSE_IiEEEENS6_16discard_iteratorINS6_11use_defaultEEESI_PmS8_NS6_8equal_toIjEEEE10hipError_tPvRmT2_T3_mT4_T5_T6_T7_T8_P12ihipStream_tbENKUlT_T0_E_clISt17integral_constantIbLb1EES16_EEDaS11_S12_EUlS11_E_NS1_11comp_targetILNS1_3genE10ELNS1_11target_archE1200ELNS1_3gpuE4ELNS1_3repE0EEENS1_30default_config_static_selectorELNS0_4arch9wavefront6targetE0EEEvT1_
		.amdhsa_group_segment_fixed_size 0
		.amdhsa_private_segment_fixed_size 0
		.amdhsa_kernarg_size 128
		.amdhsa_user_sgpr_count 15
		.amdhsa_user_sgpr_dispatch_ptr 0
		.amdhsa_user_sgpr_queue_ptr 0
		.amdhsa_user_sgpr_kernarg_segment_ptr 1
		.amdhsa_user_sgpr_dispatch_id 0
		.amdhsa_user_sgpr_private_segment_size 0
		.amdhsa_wavefront_size32 1
		.amdhsa_uses_dynamic_stack 0
		.amdhsa_enable_private_segment 0
		.amdhsa_system_sgpr_workgroup_id_x 1
		.amdhsa_system_sgpr_workgroup_id_y 0
		.amdhsa_system_sgpr_workgroup_id_z 0
		.amdhsa_system_sgpr_workgroup_info 0
		.amdhsa_system_vgpr_workitem_id 0
		.amdhsa_next_free_vgpr 1
		.amdhsa_next_free_sgpr 1
		.amdhsa_reserve_vcc 0
		.amdhsa_float_round_mode_32 0
		.amdhsa_float_round_mode_16_64 0
		.amdhsa_float_denorm_mode_32 3
		.amdhsa_float_denorm_mode_16_64 3
		.amdhsa_dx10_clamp 1
		.amdhsa_ieee_mode 1
		.amdhsa_fp16_overflow 0
		.amdhsa_workgroup_processor_mode 1
		.amdhsa_memory_ordered 1
		.amdhsa_forward_progress 0
		.amdhsa_shared_vgpr_count 0
		.amdhsa_exception_fp_ieee_invalid_op 0
		.amdhsa_exception_fp_denorm_src 0
		.amdhsa_exception_fp_ieee_div_zero 0
		.amdhsa_exception_fp_ieee_overflow 0
		.amdhsa_exception_fp_ieee_underflow 0
		.amdhsa_exception_fp_ieee_inexact 0
		.amdhsa_exception_int_div_zero 0
	.end_amdhsa_kernel
	.section	.text._ZN7rocprim17ROCPRIM_400000_NS6detail17trampoline_kernelINS0_14default_configENS1_29reduce_by_key_config_selectorIjiN6thrust23THRUST_200600_302600_NS4plusIiEEEEZZNS1_33reduce_by_key_impl_wrapped_configILNS1_25lookback_scan_determinismE0ES3_S9_NS6_6detail15normal_iteratorINS6_10device_ptrIjEEEENSD_INSE_IiEEEENS6_16discard_iteratorINS6_11use_defaultEEESI_PmS8_NS6_8equal_toIjEEEE10hipError_tPvRmT2_T3_mT4_T5_T6_T7_T8_P12ihipStream_tbENKUlT_T0_E_clISt17integral_constantIbLb1EES16_EEDaS11_S12_EUlS11_E_NS1_11comp_targetILNS1_3genE10ELNS1_11target_archE1200ELNS1_3gpuE4ELNS1_3repE0EEENS1_30default_config_static_selectorELNS0_4arch9wavefront6targetE0EEEvT1_,"axG",@progbits,_ZN7rocprim17ROCPRIM_400000_NS6detail17trampoline_kernelINS0_14default_configENS1_29reduce_by_key_config_selectorIjiN6thrust23THRUST_200600_302600_NS4plusIiEEEEZZNS1_33reduce_by_key_impl_wrapped_configILNS1_25lookback_scan_determinismE0ES3_S9_NS6_6detail15normal_iteratorINS6_10device_ptrIjEEEENSD_INSE_IiEEEENS6_16discard_iteratorINS6_11use_defaultEEESI_PmS8_NS6_8equal_toIjEEEE10hipError_tPvRmT2_T3_mT4_T5_T6_T7_T8_P12ihipStream_tbENKUlT_T0_E_clISt17integral_constantIbLb1EES16_EEDaS11_S12_EUlS11_E_NS1_11comp_targetILNS1_3genE10ELNS1_11target_archE1200ELNS1_3gpuE4ELNS1_3repE0EEENS1_30default_config_static_selectorELNS0_4arch9wavefront6targetE0EEEvT1_,comdat
.Lfunc_end1036:
	.size	_ZN7rocprim17ROCPRIM_400000_NS6detail17trampoline_kernelINS0_14default_configENS1_29reduce_by_key_config_selectorIjiN6thrust23THRUST_200600_302600_NS4plusIiEEEEZZNS1_33reduce_by_key_impl_wrapped_configILNS1_25lookback_scan_determinismE0ES3_S9_NS6_6detail15normal_iteratorINS6_10device_ptrIjEEEENSD_INSE_IiEEEENS6_16discard_iteratorINS6_11use_defaultEEESI_PmS8_NS6_8equal_toIjEEEE10hipError_tPvRmT2_T3_mT4_T5_T6_T7_T8_P12ihipStream_tbENKUlT_T0_E_clISt17integral_constantIbLb1EES16_EEDaS11_S12_EUlS11_E_NS1_11comp_targetILNS1_3genE10ELNS1_11target_archE1200ELNS1_3gpuE4ELNS1_3repE0EEENS1_30default_config_static_selectorELNS0_4arch9wavefront6targetE0EEEvT1_, .Lfunc_end1036-_ZN7rocprim17ROCPRIM_400000_NS6detail17trampoline_kernelINS0_14default_configENS1_29reduce_by_key_config_selectorIjiN6thrust23THRUST_200600_302600_NS4plusIiEEEEZZNS1_33reduce_by_key_impl_wrapped_configILNS1_25lookback_scan_determinismE0ES3_S9_NS6_6detail15normal_iteratorINS6_10device_ptrIjEEEENSD_INSE_IiEEEENS6_16discard_iteratorINS6_11use_defaultEEESI_PmS8_NS6_8equal_toIjEEEE10hipError_tPvRmT2_T3_mT4_T5_T6_T7_T8_P12ihipStream_tbENKUlT_T0_E_clISt17integral_constantIbLb1EES16_EEDaS11_S12_EUlS11_E_NS1_11comp_targetILNS1_3genE10ELNS1_11target_archE1200ELNS1_3gpuE4ELNS1_3repE0EEENS1_30default_config_static_selectorELNS0_4arch9wavefront6targetE0EEEvT1_
                                        ; -- End function
	.section	.AMDGPU.csdata,"",@progbits
; Kernel info:
; codeLenInByte = 0
; NumSgprs: 0
; NumVgprs: 0
; ScratchSize: 0
; MemoryBound: 0
; FloatMode: 240
; IeeeMode: 1
; LDSByteSize: 0 bytes/workgroup (compile time only)
; SGPRBlocks: 0
; VGPRBlocks: 0
; NumSGPRsForWavesPerEU: 1
; NumVGPRsForWavesPerEU: 1
; Occupancy: 16
; WaveLimiterHint : 0
; COMPUTE_PGM_RSRC2:SCRATCH_EN: 0
; COMPUTE_PGM_RSRC2:USER_SGPR: 15
; COMPUTE_PGM_RSRC2:TRAP_HANDLER: 0
; COMPUTE_PGM_RSRC2:TGID_X_EN: 1
; COMPUTE_PGM_RSRC2:TGID_Y_EN: 0
; COMPUTE_PGM_RSRC2:TGID_Z_EN: 0
; COMPUTE_PGM_RSRC2:TIDIG_COMP_CNT: 0
	.section	.text._ZN7rocprim17ROCPRIM_400000_NS6detail17trampoline_kernelINS0_14default_configENS1_29reduce_by_key_config_selectorIjiN6thrust23THRUST_200600_302600_NS4plusIiEEEEZZNS1_33reduce_by_key_impl_wrapped_configILNS1_25lookback_scan_determinismE0ES3_S9_NS6_6detail15normal_iteratorINS6_10device_ptrIjEEEENSD_INSE_IiEEEENS6_16discard_iteratorINS6_11use_defaultEEESI_PmS8_NS6_8equal_toIjEEEE10hipError_tPvRmT2_T3_mT4_T5_T6_T7_T8_P12ihipStream_tbENKUlT_T0_E_clISt17integral_constantIbLb1EES16_EEDaS11_S12_EUlS11_E_NS1_11comp_targetILNS1_3genE9ELNS1_11target_archE1100ELNS1_3gpuE3ELNS1_3repE0EEENS1_30default_config_static_selectorELNS0_4arch9wavefront6targetE0EEEvT1_,"axG",@progbits,_ZN7rocprim17ROCPRIM_400000_NS6detail17trampoline_kernelINS0_14default_configENS1_29reduce_by_key_config_selectorIjiN6thrust23THRUST_200600_302600_NS4plusIiEEEEZZNS1_33reduce_by_key_impl_wrapped_configILNS1_25lookback_scan_determinismE0ES3_S9_NS6_6detail15normal_iteratorINS6_10device_ptrIjEEEENSD_INSE_IiEEEENS6_16discard_iteratorINS6_11use_defaultEEESI_PmS8_NS6_8equal_toIjEEEE10hipError_tPvRmT2_T3_mT4_T5_T6_T7_T8_P12ihipStream_tbENKUlT_T0_E_clISt17integral_constantIbLb1EES16_EEDaS11_S12_EUlS11_E_NS1_11comp_targetILNS1_3genE9ELNS1_11target_archE1100ELNS1_3gpuE3ELNS1_3repE0EEENS1_30default_config_static_selectorELNS0_4arch9wavefront6targetE0EEEvT1_,comdat
	.protected	_ZN7rocprim17ROCPRIM_400000_NS6detail17trampoline_kernelINS0_14default_configENS1_29reduce_by_key_config_selectorIjiN6thrust23THRUST_200600_302600_NS4plusIiEEEEZZNS1_33reduce_by_key_impl_wrapped_configILNS1_25lookback_scan_determinismE0ES3_S9_NS6_6detail15normal_iteratorINS6_10device_ptrIjEEEENSD_INSE_IiEEEENS6_16discard_iteratorINS6_11use_defaultEEESI_PmS8_NS6_8equal_toIjEEEE10hipError_tPvRmT2_T3_mT4_T5_T6_T7_T8_P12ihipStream_tbENKUlT_T0_E_clISt17integral_constantIbLb1EES16_EEDaS11_S12_EUlS11_E_NS1_11comp_targetILNS1_3genE9ELNS1_11target_archE1100ELNS1_3gpuE3ELNS1_3repE0EEENS1_30default_config_static_selectorELNS0_4arch9wavefront6targetE0EEEvT1_ ; -- Begin function _ZN7rocprim17ROCPRIM_400000_NS6detail17trampoline_kernelINS0_14default_configENS1_29reduce_by_key_config_selectorIjiN6thrust23THRUST_200600_302600_NS4plusIiEEEEZZNS1_33reduce_by_key_impl_wrapped_configILNS1_25lookback_scan_determinismE0ES3_S9_NS6_6detail15normal_iteratorINS6_10device_ptrIjEEEENSD_INSE_IiEEEENS6_16discard_iteratorINS6_11use_defaultEEESI_PmS8_NS6_8equal_toIjEEEE10hipError_tPvRmT2_T3_mT4_T5_T6_T7_T8_P12ihipStream_tbENKUlT_T0_E_clISt17integral_constantIbLb1EES16_EEDaS11_S12_EUlS11_E_NS1_11comp_targetILNS1_3genE9ELNS1_11target_archE1100ELNS1_3gpuE3ELNS1_3repE0EEENS1_30default_config_static_selectorELNS0_4arch9wavefront6targetE0EEEvT1_
	.globl	_ZN7rocprim17ROCPRIM_400000_NS6detail17trampoline_kernelINS0_14default_configENS1_29reduce_by_key_config_selectorIjiN6thrust23THRUST_200600_302600_NS4plusIiEEEEZZNS1_33reduce_by_key_impl_wrapped_configILNS1_25lookback_scan_determinismE0ES3_S9_NS6_6detail15normal_iteratorINS6_10device_ptrIjEEEENSD_INSE_IiEEEENS6_16discard_iteratorINS6_11use_defaultEEESI_PmS8_NS6_8equal_toIjEEEE10hipError_tPvRmT2_T3_mT4_T5_T6_T7_T8_P12ihipStream_tbENKUlT_T0_E_clISt17integral_constantIbLb1EES16_EEDaS11_S12_EUlS11_E_NS1_11comp_targetILNS1_3genE9ELNS1_11target_archE1100ELNS1_3gpuE3ELNS1_3repE0EEENS1_30default_config_static_selectorELNS0_4arch9wavefront6targetE0EEEvT1_
	.p2align	8
	.type	_ZN7rocprim17ROCPRIM_400000_NS6detail17trampoline_kernelINS0_14default_configENS1_29reduce_by_key_config_selectorIjiN6thrust23THRUST_200600_302600_NS4plusIiEEEEZZNS1_33reduce_by_key_impl_wrapped_configILNS1_25lookback_scan_determinismE0ES3_S9_NS6_6detail15normal_iteratorINS6_10device_ptrIjEEEENSD_INSE_IiEEEENS6_16discard_iteratorINS6_11use_defaultEEESI_PmS8_NS6_8equal_toIjEEEE10hipError_tPvRmT2_T3_mT4_T5_T6_T7_T8_P12ihipStream_tbENKUlT_T0_E_clISt17integral_constantIbLb1EES16_EEDaS11_S12_EUlS11_E_NS1_11comp_targetILNS1_3genE9ELNS1_11target_archE1100ELNS1_3gpuE3ELNS1_3repE0EEENS1_30default_config_static_selectorELNS0_4arch9wavefront6targetE0EEEvT1_,@function
_ZN7rocprim17ROCPRIM_400000_NS6detail17trampoline_kernelINS0_14default_configENS1_29reduce_by_key_config_selectorIjiN6thrust23THRUST_200600_302600_NS4plusIiEEEEZZNS1_33reduce_by_key_impl_wrapped_configILNS1_25lookback_scan_determinismE0ES3_S9_NS6_6detail15normal_iteratorINS6_10device_ptrIjEEEENSD_INSE_IiEEEENS6_16discard_iteratorINS6_11use_defaultEEESI_PmS8_NS6_8equal_toIjEEEE10hipError_tPvRmT2_T3_mT4_T5_T6_T7_T8_P12ihipStream_tbENKUlT_T0_E_clISt17integral_constantIbLb1EES16_EEDaS11_S12_EUlS11_E_NS1_11comp_targetILNS1_3genE9ELNS1_11target_archE1100ELNS1_3gpuE3ELNS1_3repE0EEENS1_30default_config_static_selectorELNS0_4arch9wavefront6targetE0EEEvT1_: ; @_ZN7rocprim17ROCPRIM_400000_NS6detail17trampoline_kernelINS0_14default_configENS1_29reduce_by_key_config_selectorIjiN6thrust23THRUST_200600_302600_NS4plusIiEEEEZZNS1_33reduce_by_key_impl_wrapped_configILNS1_25lookback_scan_determinismE0ES3_S9_NS6_6detail15normal_iteratorINS6_10device_ptrIjEEEENSD_INSE_IiEEEENS6_16discard_iteratorINS6_11use_defaultEEESI_PmS8_NS6_8equal_toIjEEEE10hipError_tPvRmT2_T3_mT4_T5_T6_T7_T8_P12ihipStream_tbENKUlT_T0_E_clISt17integral_constantIbLb1EES16_EEDaS11_S12_EUlS11_E_NS1_11comp_targetILNS1_3genE9ELNS1_11target_archE1100ELNS1_3gpuE3ELNS1_3repE0EEENS1_30default_config_static_selectorELNS0_4arch9wavefront6targetE0EEEvT1_
; %bb.0:
	s_clause 0x4
	s_load_b128 s[4:7], s[0:1], 0x0
	s_load_b64 s[8:9], s[0:1], 0x10
	s_load_b64 s[34:35], s[0:1], 0x70
	s_load_b128 s[40:43], s[0:1], 0x60
	s_load_b256 s[24:31], s[0:1], 0x40
	v_cmp_ne_u32_e64 s3, 0, v0
	v_cmp_eq_u32_e64 s2, 0, v0
	s_delay_alu instid0(VALU_DEP_1)
	s_and_saveexec_b32 s10, s2
	s_cbranch_execz .LBB1037_4
; %bb.1:
	s_mov_b32 s12, exec_lo
	s_mov_b32 s11, exec_lo
	v_mbcnt_lo_u32_b32 v1, s12, 0
                                        ; implicit-def: $vgpr2
	s_delay_alu instid0(VALU_DEP_1)
	v_cmpx_eq_u32_e32 0, v1
	s_cbranch_execz .LBB1037_3
; %bb.2:
	s_load_b64 s[14:15], s[0:1], 0x78
	s_bcnt1_i32_b32 s12, s12
	s_delay_alu instid0(SALU_CYCLE_1)
	v_dual_mov_b32 v2, 0 :: v_dual_mov_b32 v3, s12
	s_waitcnt lgkmcnt(0)
	global_atomic_add_u32 v2, v2, v3, s[14:15] glc
.LBB1037_3:
	s_or_b32 exec_lo, exec_lo, s11
	s_waitcnt vmcnt(0)
	v_readfirstlane_b32 s11, v2
	s_delay_alu instid0(VALU_DEP_1)
	v_dual_mov_b32 v2, 0 :: v_dual_add_nc_u32 v1, s11, v1
	ds_store_b32 v2, v1
.LBB1037_4:
	s_or_b32 exec_lo, exec_lo, s10
	v_mov_b32_e32 v2, 0
	s_waitcnt lgkmcnt(0)
	s_barrier
	buffer_gl0_inv
	s_load_b128 s[36:39], s[0:1], 0x28
	ds_load_b32 v1, v2
	s_lshl_b64 s[6:7], s[6:7], 2
	s_mul_i32 s1, s28, s27
	s_add_u32 s13, s4, s6
	s_mul_hi_u32 s10, s28, s26
	s_addc_u32 s14, s5, s7
	s_add_u32 s6, s8, s6
	s_mul_i32 s11, s29, s26
	s_addc_u32 s7, s9, s7
	s_add_i32 s1, s10, s1
	s_mul_i32 s12, s28, s26
	s_add_i32 s1, s1, s11
	s_mov_b32 s0, 0
	s_waitcnt lgkmcnt(0)
	s_barrier
	buffer_gl0_inv
	v_readfirstlane_b32 s44, v1
	v_mul_lo_u32 v1, 0xf00, v1
	s_delay_alu instid0(VALU_DEP_2) | instskip(SKIP_3) | instid1(VALU_DEP_1)
	s_add_u32 s18, s12, s44
	s_addc_u32 s19, s1, 0
	s_add_u32 s4, s30, -1
	s_addc_u32 s5, s31, -1
	v_lshlrev_b64 v[3:4], 2, v[1:2]
	s_cmp_eq_u64 s[18:19], s[4:5]
	s_mul_i32 s31, s4, 0xfffff100
	s_cselect_b32 s30, -1, 0
	s_cmp_lg_u64 s[18:19], s[4:5]
	s_delay_alu instid0(VALU_DEP_1)
	v_add_co_u32 v2, vcc_lo, s13, v3
	v_add_co_ci_u32_e32 v1, vcc_lo, s14, v4, vcc_lo
	v_add_co_u32 v3, vcc_lo, s6, v3
	v_add_co_ci_u32_e32 v4, vcc_lo, s7, v4, vcc_lo
	s_cselect_b32 s17, -1, 0
	s_and_b32 vcc_lo, exec_lo, s30
	s_cbranch_vccnz .LBB1037_6
; %bb.5:
	v_lshlrev_b32_e32 v29, 2, v0
	s_delay_alu instid0(VALU_DEP_1) | instskip(SKIP_1) | instid1(VALU_DEP_2)
	v_add_co_u32 v5, vcc_lo, v2, v29
	v_add_co_ci_u32_e32 v6, vcc_lo, 0, v1, vcc_lo
	v_add_co_u32 v7, vcc_lo, 0x1000, v5
	s_delay_alu instid0(VALU_DEP_2)
	v_add_co_ci_u32_e32 v8, vcc_lo, 0, v6, vcc_lo
	s_clause 0x7
	flat_load_b32 v9, v[5:6]
	flat_load_b32 v10, v[5:6] offset:1024
	flat_load_b32 v11, v[5:6] offset:2048
	flat_load_b32 v12, v[5:6] offset:3072
	flat_load_b32 v13, v[7:8]
	flat_load_b32 v14, v[7:8] offset:1024
	flat_load_b32 v15, v[7:8] offset:2048
	;; [unrolled: 1-line block ×3, first 2 shown]
	v_add_co_u32 v7, vcc_lo, 0x2000, v5
	v_add_co_ci_u32_e32 v8, vcc_lo, 0, v6, vcc_lo
	v_add_co_u32 v5, vcc_lo, 0x3000, v5
	v_add_co_ci_u32_e32 v6, vcc_lo, 0, v6, vcc_lo
	s_clause 0x6
	flat_load_b32 v17, v[7:8]
	flat_load_b32 v18, v[7:8] offset:1024
	flat_load_b32 v19, v[7:8] offset:2048
	flat_load_b32 v8, v[7:8] offset:3072
	flat_load_b32 v20, v[5:6]
	flat_load_b32 v21, v[5:6] offset:1024
	flat_load_b32 v22, v[5:6] offset:2048
	v_add_co_u32 v6, vcc_lo, v3, v29
	v_add_co_ci_u32_e32 v7, vcc_lo, 0, v4, vcc_lo
	v_mad_u32_u24 v5, v0, 56, v29
	s_delay_alu instid0(VALU_DEP_3) | instskip(NEXT) | instid1(VALU_DEP_3)
	v_add_co_u32 v23, vcc_lo, 0x1000, v6
	v_add_co_ci_u32_e32 v24, vcc_lo, 0, v7, vcc_lo
	v_add_co_u32 v25, vcc_lo, 0x2000, v6
	v_add_co_ci_u32_e32 v26, vcc_lo, 0, v7, vcc_lo
	;; [unrolled: 2-line block ×3, first 2 shown]
	s_waitcnt vmcnt(13) lgkmcnt(13)
	ds_store_2addr_stride64_b32 v29, v9, v10 offset1:4
	s_waitcnt vmcnt(11) lgkmcnt(12)
	ds_store_2addr_stride64_b32 v29, v11, v12 offset0:8 offset1:12
	s_waitcnt vmcnt(9) lgkmcnt(11)
	ds_store_2addr_stride64_b32 v29, v13, v14 offset0:16 offset1:20
	;; [unrolled: 2-line block ×6, first 2 shown]
	s_waitcnt vmcnt(0) lgkmcnt(7)
	ds_store_b32 v29, v22 offset:14336
	s_waitcnt lgkmcnt(0)
	s_barrier
	buffer_gl0_inv
	ds_load_2addr_b32 v[21:22], v5 offset1:1
	ds_load_2addr_b32 v[19:20], v5 offset0:2 offset1:3
	ds_load_2addr_b32 v[17:18], v5 offset0:4 offset1:5
	;; [unrolled: 1-line block ×6, first 2 shown]
	ds_load_b32 v63, v5 offset:56
	s_waitcnt lgkmcnt(0)
	s_barrier
	buffer_gl0_inv
	s_clause 0xe
	flat_load_b32 v8, v[6:7]
	flat_load_b32 v30, v[6:7] offset:1024
	flat_load_b32 v31, v[6:7] offset:2048
	flat_load_b32 v6, v[6:7] offset:3072
	flat_load_b32 v7, v[23:24]
	flat_load_b32 v32, v[23:24] offset:1024
	flat_load_b32 v33, v[23:24] offset:2048
	flat_load_b32 v23, v[23:24] offset:3072
	;; [unrolled: 4-line block ×3, first 2 shown]
	flat_load_b32 v26, v[27:28]
	flat_load_b32 v36, v[27:28] offset:1024
	flat_load_b32 v27, v[27:28] offset:2048
	s_waitcnt vmcnt(13) lgkmcnt(13)
	ds_store_2addr_stride64_b32 v29, v8, v30 offset1:4
	s_waitcnt vmcnt(11) lgkmcnt(12)
	ds_store_2addr_stride64_b32 v29, v31, v6 offset0:8 offset1:12
	s_waitcnt vmcnt(9) lgkmcnt(11)
	ds_store_2addr_stride64_b32 v29, v7, v32 offset0:16 offset1:20
	;; [unrolled: 2-line block ×6, first 2 shown]
	s_waitcnt vmcnt(0) lgkmcnt(7)
	ds_store_b32 v29, v27 offset:14336
	s_waitcnt lgkmcnt(0)
	s_barrier
	s_and_not1_b32 vcc_lo, exec_lo, s0
	s_add_i32 s31, s31, s40
	s_cbranch_vccz .LBB1037_7
	s_branch .LBB1037_54
.LBB1037_6:
                                        ; implicit-def: $vgpr5
                                        ; implicit-def: $vgpr21
                                        ; implicit-def: $vgpr19
                                        ; implicit-def: $vgpr17
                                        ; implicit-def: $vgpr15
                                        ; implicit-def: $vgpr13
                                        ; implicit-def: $vgpr11
                                        ; implicit-def: $vgpr9
                                        ; implicit-def: $vgpr63
	s_add_i32 s31, s31, s40
.LBB1037_7:
	s_delay_alu instid0(SALU_CYCLE_1)
	v_cmp_gt_u32_e32 vcc_lo, s31, v0
                                        ; implicit-def: $vgpr5
	s_and_saveexec_b32 s1, vcc_lo
	s_cbranch_execz .LBB1037_9
; %bb.8:
	v_lshlrev_b32_e32 v5, 2, v0
	s_delay_alu instid0(VALU_DEP_1) | instskip(NEXT) | instid1(VALU_DEP_1)
	v_add_co_u32 v5, s0, v2, v5
	v_add_co_ci_u32_e64 v6, s0, 0, v1, s0
	flat_load_b32 v5, v[5:6]
.LBB1037_9:
	s_or_b32 exec_lo, exec_lo, s1
	v_or_b32_e32 v6, 0x100, v0
                                        ; implicit-def: $vgpr9
	s_delay_alu instid0(VALU_DEP_1) | instskip(NEXT) | instid1(VALU_DEP_1)
	v_cmp_gt_u32_e64 s0, s31, v6
	s_and_saveexec_b32 s4, s0
	s_cbranch_execz .LBB1037_11
; %bb.10:
	v_lshlrev_b32_e32 v6, 2, v0
	s_delay_alu instid0(VALU_DEP_1) | instskip(NEXT) | instid1(VALU_DEP_1)
	v_add_co_u32 v6, s1, v2, v6
	v_add_co_ci_u32_e64 v7, s1, 0, v1, s1
	flat_load_b32 v9, v[6:7] offset:1024
.LBB1037_11:
	s_or_b32 exec_lo, exec_lo, s4
	v_or_b32_e32 v6, 0x200, v0
                                        ; implicit-def: $vgpr10
	s_delay_alu instid0(VALU_DEP_1) | instskip(NEXT) | instid1(VALU_DEP_1)
	v_cmp_gt_u32_e64 s1, s31, v6
	s_and_saveexec_b32 s5, s1
	s_cbranch_execz .LBB1037_13
; %bb.12:
	v_lshlrev_b32_e32 v6, 2, v0
	s_delay_alu instid0(VALU_DEP_1) | instskip(NEXT) | instid1(VALU_DEP_1)
	v_add_co_u32 v6, s4, v2, v6
	v_add_co_ci_u32_e64 v7, s4, 0, v1, s4
	flat_load_b32 v10, v[6:7] offset:2048
.LBB1037_13:
	s_or_b32 exec_lo, exec_lo, s5
	v_or_b32_e32 v6, 0x300, v0
                                        ; implicit-def: $vgpr11
	s_delay_alu instid0(VALU_DEP_1) | instskip(NEXT) | instid1(VALU_DEP_1)
	v_cmp_gt_u32_e64 s4, s31, v6
	s_and_saveexec_b32 s6, s4
	s_cbranch_execz .LBB1037_15
; %bb.14:
	v_lshlrev_b32_e32 v6, 2, v0
	s_delay_alu instid0(VALU_DEP_1) | instskip(NEXT) | instid1(VALU_DEP_1)
	v_add_co_u32 v6, s5, v2, v6
	v_add_co_ci_u32_e64 v7, s5, 0, v1, s5
	flat_load_b32 v11, v[6:7] offset:3072
.LBB1037_15:
	s_or_b32 exec_lo, exec_lo, s6
	v_or_b32_e32 v6, 0x400, v0
                                        ; implicit-def: $vgpr12
	s_delay_alu instid0(VALU_DEP_1) | instskip(NEXT) | instid1(VALU_DEP_1)
	v_cmp_gt_u32_e64 s5, s31, v6
	s_and_saveexec_b32 s7, s5
	s_cbranch_execz .LBB1037_17
; %bb.16:
	v_lshlrev_b32_e32 v7, 2, v6
	s_delay_alu instid0(VALU_DEP_1) | instskip(NEXT) | instid1(VALU_DEP_1)
	v_add_co_u32 v7, s6, v2, v7
	v_add_co_ci_u32_e64 v8, s6, 0, v1, s6
	flat_load_b32 v12, v[7:8]
.LBB1037_17:
	s_or_b32 exec_lo, exec_lo, s7
	v_or_b32_e32 v7, 0x500, v0
                                        ; implicit-def: $vgpr13
	s_delay_alu instid0(VALU_DEP_1) | instskip(NEXT) | instid1(VALU_DEP_1)
	v_cmp_gt_u32_e64 s6, s31, v7
	s_and_saveexec_b32 s8, s6
	s_cbranch_execz .LBB1037_19
; %bb.18:
	v_lshlrev_b32_e32 v8, 2, v7
	s_delay_alu instid0(VALU_DEP_1) | instskip(NEXT) | instid1(VALU_DEP_1)
	v_add_co_u32 v13, s7, v2, v8
	v_add_co_ci_u32_e64 v14, s7, 0, v1, s7
	flat_load_b32 v13, v[13:14]
.LBB1037_19:
	s_or_b32 exec_lo, exec_lo, s8
	v_or_b32_e32 v8, 0x600, v0
                                        ; implicit-def: $vgpr14
	s_delay_alu instid0(VALU_DEP_1) | instskip(NEXT) | instid1(VALU_DEP_1)
	v_cmp_gt_u32_e64 s7, s31, v8
	s_and_saveexec_b32 s9, s7
	s_cbranch_execz .LBB1037_21
; %bb.20:
	v_lshlrev_b32_e32 v14, 2, v8
	s_delay_alu instid0(VALU_DEP_1) | instskip(NEXT) | instid1(VALU_DEP_1)
	v_add_co_u32 v14, s8, v2, v14
	v_add_co_ci_u32_e64 v15, s8, 0, v1, s8
	flat_load_b32 v14, v[14:15]
.LBB1037_21:
	s_or_b32 exec_lo, exec_lo, s9
	v_or_b32_e32 v23, 0x700, v0
                                        ; implicit-def: $vgpr15
	s_delay_alu instid0(VALU_DEP_1) | instskip(NEXT) | instid1(VALU_DEP_1)
	v_cmp_gt_u32_e64 s8, s31, v23
	s_and_saveexec_b32 s10, s8
	s_cbranch_execz .LBB1037_23
; %bb.22:
	v_lshlrev_b32_e32 v15, 2, v23
	s_delay_alu instid0(VALU_DEP_1) | instskip(NEXT) | instid1(VALU_DEP_1)
	v_add_co_u32 v15, s9, v2, v15
	v_add_co_ci_u32_e64 v16, s9, 0, v1, s9
	flat_load_b32 v15, v[15:16]
.LBB1037_23:
	s_or_b32 exec_lo, exec_lo, s10
	v_or_b32_e32 v24, 0x800, v0
                                        ; implicit-def: $vgpr16
	s_delay_alu instid0(VALU_DEP_1) | instskip(NEXT) | instid1(VALU_DEP_1)
	v_cmp_gt_u32_e64 s9, s31, v24
	s_and_saveexec_b32 s11, s9
	s_cbranch_execz .LBB1037_25
; %bb.24:
	v_lshlrev_b32_e32 v16, 2, v24
	s_delay_alu instid0(VALU_DEP_1) | instskip(NEXT) | instid1(VALU_DEP_1)
	v_add_co_u32 v16, s10, v2, v16
	v_add_co_ci_u32_e64 v17, s10, 0, v1, s10
	flat_load_b32 v16, v[16:17]
.LBB1037_25:
	s_or_b32 exec_lo, exec_lo, s11
	v_or_b32_e32 v26, 0x900, v0
                                        ; implicit-def: $vgpr17
	s_delay_alu instid0(VALU_DEP_1) | instskip(NEXT) | instid1(VALU_DEP_1)
	v_cmp_gt_u32_e64 s10, s31, v26
	s_and_saveexec_b32 s12, s10
	s_cbranch_execz .LBB1037_27
; %bb.26:
	v_lshlrev_b32_e32 v17, 2, v26
	s_delay_alu instid0(VALU_DEP_1) | instskip(NEXT) | instid1(VALU_DEP_1)
	v_add_co_u32 v17, s11, v2, v17
	v_add_co_ci_u32_e64 v18, s11, 0, v1, s11
	flat_load_b32 v17, v[17:18]
.LBB1037_27:
	s_or_b32 exec_lo, exec_lo, s12
	v_or_b32_e32 v27, 0xa00, v0
                                        ; implicit-def: $vgpr18
	s_delay_alu instid0(VALU_DEP_1) | instskip(NEXT) | instid1(VALU_DEP_1)
	v_cmp_gt_u32_e64 s11, s31, v27
	s_and_saveexec_b32 s13, s11
	s_cbranch_execz .LBB1037_29
; %bb.28:
	v_lshlrev_b32_e32 v18, 2, v27
	s_delay_alu instid0(VALU_DEP_1) | instskip(NEXT) | instid1(VALU_DEP_1)
	v_add_co_u32 v18, s12, v2, v18
	v_add_co_ci_u32_e64 v19, s12, 0, v1, s12
	flat_load_b32 v18, v[18:19]
.LBB1037_29:
	s_or_b32 exec_lo, exec_lo, s13
	v_or_b32_e32 v28, 0xb00, v0
                                        ; implicit-def: $vgpr19
	s_delay_alu instid0(VALU_DEP_1) | instskip(NEXT) | instid1(VALU_DEP_1)
	v_cmp_gt_u32_e64 s12, s31, v28
	s_and_saveexec_b32 s14, s12
	s_cbranch_execz .LBB1037_31
; %bb.30:
	v_lshlrev_b32_e32 v19, 2, v28
	s_delay_alu instid0(VALU_DEP_1) | instskip(NEXT) | instid1(VALU_DEP_1)
	v_add_co_u32 v19, s13, v2, v19
	v_add_co_ci_u32_e64 v20, s13, 0, v1, s13
	flat_load_b32 v19, v[19:20]
.LBB1037_31:
	s_or_b32 exec_lo, exec_lo, s14
	v_or_b32_e32 v29, 0xc00, v0
                                        ; implicit-def: $vgpr20
	s_delay_alu instid0(VALU_DEP_1) | instskip(NEXT) | instid1(VALU_DEP_1)
	v_cmp_gt_u32_e64 s13, s31, v29
	s_and_saveexec_b32 s15, s13
	s_cbranch_execz .LBB1037_33
; %bb.32:
	v_lshlrev_b32_e32 v20, 2, v29
	s_delay_alu instid0(VALU_DEP_1) | instskip(NEXT) | instid1(VALU_DEP_1)
	v_add_co_u32 v20, s14, v2, v20
	v_add_co_ci_u32_e64 v21, s14, 0, v1, s14
	flat_load_b32 v20, v[20:21]
.LBB1037_33:
	s_or_b32 exec_lo, exec_lo, s15
	v_or_b32_e32 v30, 0xd00, v0
                                        ; implicit-def: $vgpr21
	s_delay_alu instid0(VALU_DEP_1) | instskip(NEXT) | instid1(VALU_DEP_1)
	v_cmp_gt_u32_e64 s14, s31, v30
	s_and_saveexec_b32 s16, s14
	s_cbranch_execz .LBB1037_35
; %bb.34:
	v_lshlrev_b32_e32 v21, 2, v30
	s_delay_alu instid0(VALU_DEP_1) | instskip(NEXT) | instid1(VALU_DEP_1)
	v_add_co_u32 v21, s15, v2, v21
	v_add_co_ci_u32_e64 v22, s15, 0, v1, s15
	flat_load_b32 v21, v[21:22]
.LBB1037_35:
	s_or_b32 exec_lo, exec_lo, s16
	v_or_b32_e32 v31, 0xe00, v0
                                        ; implicit-def: $vgpr22
	s_delay_alu instid0(VALU_DEP_1) | instskip(NEXT) | instid1(VALU_DEP_1)
	v_cmp_gt_u32_e64 s15, s31, v31
	s_and_saveexec_b32 s20, s15
	s_cbranch_execz .LBB1037_37
; %bb.36:
	v_lshlrev_b32_e32 v22, 2, v31
	s_delay_alu instid0(VALU_DEP_1) | instskip(NEXT) | instid1(VALU_DEP_1)
	v_add_co_u32 v32, s16, v2, v22
	v_add_co_ci_u32_e64 v33, s16, 0, v1, s16
	flat_load_b32 v22, v[32:33]
.LBB1037_37:
	s_or_b32 exec_lo, exec_lo, s20
	v_lshlrev_b32_e32 v25, 2, v0
                                        ; implicit-def: $vgpr32
	s_waitcnt vmcnt(0) lgkmcnt(0)
	ds_store_2addr_stride64_b32 v25, v5, v9 offset1:4
	ds_store_2addr_stride64_b32 v25, v10, v11 offset0:8 offset1:12
	ds_store_2addr_stride64_b32 v25, v12, v13 offset0:16 offset1:20
	;; [unrolled: 1-line block ×6, first 2 shown]
	v_mad_u32_u24 v5, v0, 56, v25
	ds_store_b32 v25, v22 offset:14336
	s_waitcnt lgkmcnt(0)
	s_barrier
	buffer_gl0_inv
	ds_load_2addr_b32 v[21:22], v5 offset1:1
	ds_load_2addr_b32 v[19:20], v5 offset0:2 offset1:3
	ds_load_2addr_b32 v[17:18], v5 offset0:4 offset1:5
	;; [unrolled: 1-line block ×6, first 2 shown]
	ds_load_b32 v63, v5 offset:56
	s_waitcnt lgkmcnt(0)
	s_barrier
	buffer_gl0_inv
	s_and_saveexec_b32 s16, vcc_lo
	s_cbranch_execnz .LBB1037_61
; %bb.38:
	s_or_b32 exec_lo, exec_lo, s16
                                        ; implicit-def: $vgpr33
	s_and_saveexec_b32 s16, s0
	s_cbranch_execnz .LBB1037_62
.LBB1037_39:
	s_or_b32 exec_lo, exec_lo, s16
                                        ; implicit-def: $vgpr34
	s_and_saveexec_b32 s0, s1
	s_cbranch_execnz .LBB1037_63
.LBB1037_40:
	s_or_b32 exec_lo, exec_lo, s0
                                        ; implicit-def: $vgpr35
	s_and_saveexec_b32 s0, s4
	s_cbranch_execnz .LBB1037_64
.LBB1037_41:
	s_or_b32 exec_lo, exec_lo, s0
                                        ; implicit-def: $vgpr36
	s_and_saveexec_b32 s0, s5
	s_cbranch_execnz .LBB1037_65
.LBB1037_42:
	s_or_b32 exec_lo, exec_lo, s0
                                        ; implicit-def: $vgpr6
	s_and_saveexec_b32 s0, s6
	s_cbranch_execnz .LBB1037_66
.LBB1037_43:
	s_or_b32 exec_lo, exec_lo, s0
                                        ; implicit-def: $vgpr7
	s_and_saveexec_b32 s0, s7
	s_cbranch_execnz .LBB1037_67
.LBB1037_44:
	s_or_b32 exec_lo, exec_lo, s0
                                        ; implicit-def: $vgpr8
	s_and_saveexec_b32 s0, s8
	s_cbranch_execnz .LBB1037_68
.LBB1037_45:
	s_or_b32 exec_lo, exec_lo, s0
                                        ; implicit-def: $vgpr23
	s_and_saveexec_b32 s0, s9
	s_cbranch_execnz .LBB1037_69
.LBB1037_46:
	s_or_b32 exec_lo, exec_lo, s0
                                        ; implicit-def: $vgpr24
	s_and_saveexec_b32 s0, s10
	s_cbranch_execnz .LBB1037_70
.LBB1037_47:
	s_or_b32 exec_lo, exec_lo, s0
                                        ; implicit-def: $vgpr26
	s_and_saveexec_b32 s0, s11
	s_cbranch_execnz .LBB1037_71
.LBB1037_48:
	s_or_b32 exec_lo, exec_lo, s0
                                        ; implicit-def: $vgpr27
	s_and_saveexec_b32 s0, s12
	s_cbranch_execnz .LBB1037_72
.LBB1037_49:
	s_or_b32 exec_lo, exec_lo, s0
                                        ; implicit-def: $vgpr28
	s_and_saveexec_b32 s0, s13
	s_cbranch_execnz .LBB1037_73
.LBB1037_50:
	s_or_b32 exec_lo, exec_lo, s0
                                        ; implicit-def: $vgpr29
	s_and_saveexec_b32 s0, s14
	s_cbranch_execnz .LBB1037_74
.LBB1037_51:
	s_or_b32 exec_lo, exec_lo, s0
                                        ; implicit-def: $vgpr30
	s_and_saveexec_b32 s0, s15
	s_cbranch_execz .LBB1037_53
.LBB1037_52:
	v_lshlrev_b32_e32 v30, 2, v31
	s_delay_alu instid0(VALU_DEP_1)
	v_add_co_u32 v3, vcc_lo, v3, v30
	v_add_co_ci_u32_e32 v4, vcc_lo, 0, v4, vcc_lo
	flat_load_b32 v30, v[3:4]
.LBB1037_53:
	s_or_b32 exec_lo, exec_lo, s0
	s_waitcnt vmcnt(0) lgkmcnt(0)
	ds_store_2addr_stride64_b32 v25, v32, v33 offset1:4
	ds_store_2addr_stride64_b32 v25, v34, v35 offset0:8 offset1:12
	ds_store_2addr_stride64_b32 v25, v36, v6 offset0:16 offset1:20
	;; [unrolled: 1-line block ×6, first 2 shown]
	ds_store_b32 v25, v30 offset:14336
	s_waitcnt lgkmcnt(0)
	s_barrier
.LBB1037_54:
	buffer_gl0_inv
	ds_load_2addr_b32 v[35:36], v5 offset1:1
	ds_load_2addr_b32 v[33:34], v5 offset0:2 offset1:3
	ds_load_2addr_b32 v[31:32], v5 offset0:4 offset1:5
	;; [unrolled: 1-line block ×6, first 2 shown]
	ds_load_b32 v78, v5 offset:56
	s_cmp_eq_u64 s[18:19], 0
	s_waitcnt lgkmcnt(0)
	s_cselect_b32 s33, -1, 0
	s_cmp_lg_u64 s[18:19], 0
	s_barrier
	s_cselect_b32 s15, -1, 0
	s_and_b32 vcc_lo, exec_lo, s17
	buffer_gl0_inv
	s_cbranch_vccz .LBB1037_60
; %bb.55:
	s_and_b32 vcc_lo, exec_lo, s15
	s_cbranch_vccz .LBB1037_75
; %bb.56:
	v_add_co_u32 v3, vcc_lo, -4, v2
	v_add_co_ci_u32_e32 v4, vcc_lo, -1, v1, vcc_lo
	v_cmp_ne_u32_e32 vcc_lo, v10, v63
	v_cmp_ne_u32_e64 s0, v9, v10
	v_cmp_ne_u32_e64 s1, v12, v9
	flat_load_b32 v3, v[3:4]
	v_lshlrev_b32_e32 v4, 2, v0
	v_cmp_ne_u32_e64 s4, v11, v12
	v_cmp_ne_u32_e64 s5, v14, v11
	;; [unrolled: 1-line block ×11, first 2 shown]
	s_mov_b32 s45, -1
	ds_store_b32 v4, v63
	s_waitcnt vmcnt(0) lgkmcnt(0)
	s_barrier
	buffer_gl0_inv
	s_and_saveexec_b32 s16, s3
	s_cbranch_execz .LBB1037_58
; %bb.57:
	v_add_nc_u32_e32 v3, -4, v4
	ds_load_b32 v3, v3
.LBB1037_58:
	s_or_b32 exec_lo, exec_lo, s16
	v_cndmask_b32_e64 v71, 0, 1, vcc_lo
	v_cndmask_b32_e64 v64, 0, 1, s0
	v_cndmask_b32_e64 v65, 0, 1, s1
	;; [unrolled: 1-line block ×13, first 2 shown]
	s_waitcnt lgkmcnt(0)
	v_cmp_ne_u32_e64 s0, v3, v21
.LBB1037_59:
                                        ; implicit-def: $sgpr1
	s_branch .LBB1037_87
.LBB1037_60:
	s_mov_b32 s45, 0
                                        ; implicit-def: $sgpr0
                                        ; implicit-def: $vgpr71
                                        ; implicit-def: $vgpr64
                                        ; implicit-def: $vgpr65
                                        ; implicit-def: $vgpr66
                                        ; implicit-def: $vgpr67
                                        ; implicit-def: $vgpr68
                                        ; implicit-def: $vgpr69
                                        ; implicit-def: $vgpr70
                                        ; implicit-def: $vgpr72
                                        ; implicit-def: $vgpr73
                                        ; implicit-def: $vgpr74
                                        ; implicit-def: $vgpr75
                                        ; implicit-def: $vgpr76
                                        ; implicit-def: $vgpr77
                                        ; implicit-def: $sgpr1
	s_cbranch_execnz .LBB1037_79
	s_branch .LBB1037_87
.LBB1037_61:
	v_add_co_u32 v32, vcc_lo, v3, v25
	v_add_co_ci_u32_e32 v33, vcc_lo, 0, v4, vcc_lo
	flat_load_b32 v32, v[32:33]
	s_or_b32 exec_lo, exec_lo, s16
                                        ; implicit-def: $vgpr33
	s_and_saveexec_b32 s16, s0
	s_cbranch_execz .LBB1037_39
.LBB1037_62:
	v_add_co_u32 v33, vcc_lo, v3, v25
	v_add_co_ci_u32_e32 v34, vcc_lo, 0, v4, vcc_lo
	flat_load_b32 v33, v[33:34] offset:1024
	s_or_b32 exec_lo, exec_lo, s16
                                        ; implicit-def: $vgpr34
	s_and_saveexec_b32 s0, s1
	s_cbranch_execz .LBB1037_40
.LBB1037_63:
	v_add_co_u32 v34, vcc_lo, v3, v25
	v_add_co_ci_u32_e32 v35, vcc_lo, 0, v4, vcc_lo
	flat_load_b32 v34, v[34:35] offset:2048
	s_or_b32 exec_lo, exec_lo, s0
                                        ; implicit-def: $vgpr35
	s_and_saveexec_b32 s0, s4
	s_cbranch_execz .LBB1037_41
.LBB1037_64:
	v_add_co_u32 v35, vcc_lo, v3, v25
	v_add_co_ci_u32_e32 v36, vcc_lo, 0, v4, vcc_lo
	flat_load_b32 v35, v[35:36] offset:3072
	s_or_b32 exec_lo, exec_lo, s0
                                        ; implicit-def: $vgpr36
	s_and_saveexec_b32 s0, s5
	s_cbranch_execz .LBB1037_42
.LBB1037_65:
	v_lshlrev_b32_e32 v6, 2, v6
	s_delay_alu instid0(VALU_DEP_1)
	v_add_co_u32 v36, vcc_lo, v3, v6
	v_add_co_ci_u32_e32 v37, vcc_lo, 0, v4, vcc_lo
	flat_load_b32 v36, v[36:37]
	s_or_b32 exec_lo, exec_lo, s0
                                        ; implicit-def: $vgpr6
	s_and_saveexec_b32 s0, s6
	s_cbranch_execz .LBB1037_43
.LBB1037_66:
	v_lshlrev_b32_e32 v6, 2, v7
	s_delay_alu instid0(VALU_DEP_1)
	v_add_co_u32 v6, vcc_lo, v3, v6
	v_add_co_ci_u32_e32 v7, vcc_lo, 0, v4, vcc_lo
	flat_load_b32 v6, v[6:7]
	s_or_b32 exec_lo, exec_lo, s0
                                        ; implicit-def: $vgpr7
	s_and_saveexec_b32 s0, s7
	s_cbranch_execz .LBB1037_44
.LBB1037_67:
	v_lshlrev_b32_e32 v7, 2, v8
	s_delay_alu instid0(VALU_DEP_1)
	v_add_co_u32 v7, vcc_lo, v3, v7
	v_add_co_ci_u32_e32 v8, vcc_lo, 0, v4, vcc_lo
	flat_load_b32 v7, v[7:8]
	s_or_b32 exec_lo, exec_lo, s0
                                        ; implicit-def: $vgpr8
	s_and_saveexec_b32 s0, s8
	s_cbranch_execz .LBB1037_45
.LBB1037_68:
	v_lshlrev_b32_e32 v8, 2, v23
	s_delay_alu instid0(VALU_DEP_1)
	v_add_co_u32 v37, vcc_lo, v3, v8
	v_add_co_ci_u32_e32 v38, vcc_lo, 0, v4, vcc_lo
	flat_load_b32 v8, v[37:38]
	s_or_b32 exec_lo, exec_lo, s0
                                        ; implicit-def: $vgpr23
	s_and_saveexec_b32 s0, s9
	s_cbranch_execz .LBB1037_46
.LBB1037_69:
	v_lshlrev_b32_e32 v23, 2, v24
	s_delay_alu instid0(VALU_DEP_1)
	v_add_co_u32 v23, vcc_lo, v3, v23
	v_add_co_ci_u32_e32 v24, vcc_lo, 0, v4, vcc_lo
	flat_load_b32 v23, v[23:24]
	s_or_b32 exec_lo, exec_lo, s0
                                        ; implicit-def: $vgpr24
	s_and_saveexec_b32 s0, s10
	s_cbranch_execz .LBB1037_47
.LBB1037_70:
	v_lshlrev_b32_e32 v24, 2, v26
	s_delay_alu instid0(VALU_DEP_1)
	v_add_co_u32 v37, vcc_lo, v3, v24
	v_add_co_ci_u32_e32 v38, vcc_lo, 0, v4, vcc_lo
	flat_load_b32 v24, v[37:38]
	s_or_b32 exec_lo, exec_lo, s0
                                        ; implicit-def: $vgpr26
	s_and_saveexec_b32 s0, s11
	s_cbranch_execz .LBB1037_48
.LBB1037_71:
	v_lshlrev_b32_e32 v26, 2, v27
	s_delay_alu instid0(VALU_DEP_1)
	v_add_co_u32 v26, vcc_lo, v3, v26
	v_add_co_ci_u32_e32 v27, vcc_lo, 0, v4, vcc_lo
	flat_load_b32 v26, v[26:27]
	s_or_b32 exec_lo, exec_lo, s0
                                        ; implicit-def: $vgpr27
	s_and_saveexec_b32 s0, s12
	s_cbranch_execz .LBB1037_49
.LBB1037_72:
	v_lshlrev_b32_e32 v27, 2, v28
	s_delay_alu instid0(VALU_DEP_1)
	v_add_co_u32 v27, vcc_lo, v3, v27
	v_add_co_ci_u32_e32 v28, vcc_lo, 0, v4, vcc_lo
	flat_load_b32 v27, v[27:28]
	s_or_b32 exec_lo, exec_lo, s0
                                        ; implicit-def: $vgpr28
	s_and_saveexec_b32 s0, s13
	s_cbranch_execz .LBB1037_50
.LBB1037_73:
	v_lshlrev_b32_e32 v28, 2, v29
	s_delay_alu instid0(VALU_DEP_1)
	v_add_co_u32 v28, vcc_lo, v3, v28
	v_add_co_ci_u32_e32 v29, vcc_lo, 0, v4, vcc_lo
	flat_load_b32 v28, v[28:29]
	s_or_b32 exec_lo, exec_lo, s0
                                        ; implicit-def: $vgpr29
	s_and_saveexec_b32 s0, s14
	s_cbranch_execz .LBB1037_51
.LBB1037_74:
	v_lshlrev_b32_e32 v29, 2, v30
	s_delay_alu instid0(VALU_DEP_1)
	v_add_co_u32 v29, vcc_lo, v3, v29
	v_add_co_ci_u32_e32 v30, vcc_lo, 0, v4, vcc_lo
	flat_load_b32 v29, v[29:30]
	s_or_b32 exec_lo, exec_lo, s0
                                        ; implicit-def: $vgpr30
	s_and_saveexec_b32 s0, s15
	s_cbranch_execnz .LBB1037_52
	s_branch .LBB1037_53
.LBB1037_75:
	s_mov_b32 s45, 0
                                        ; implicit-def: $sgpr0
                                        ; implicit-def: $vgpr71
                                        ; implicit-def: $vgpr64
                                        ; implicit-def: $vgpr65
                                        ; implicit-def: $vgpr66
                                        ; implicit-def: $vgpr67
                                        ; implicit-def: $vgpr68
                                        ; implicit-def: $vgpr69
                                        ; implicit-def: $vgpr70
                                        ; implicit-def: $vgpr72
                                        ; implicit-def: $vgpr73
                                        ; implicit-def: $vgpr74
                                        ; implicit-def: $vgpr75
                                        ; implicit-def: $vgpr76
                                        ; implicit-def: $vgpr77
	s_cbranch_execz .LBB1037_59
; %bb.76:
	v_cmp_ne_u32_e32 vcc_lo, v10, v63
	v_lshlrev_b32_e32 v3, 2, v0
                                        ; implicit-def: $sgpr0
	v_cndmask_b32_e64 v71, 0, 1, vcc_lo
	v_cmp_ne_u32_e32 vcc_lo, v9, v10
	ds_store_b32 v3, v63
	s_waitcnt lgkmcnt(0)
	s_barrier
	buffer_gl0_inv
	v_cndmask_b32_e64 v64, 0, 1, vcc_lo
	v_cmp_ne_u32_e32 vcc_lo, v12, v9
	v_cndmask_b32_e64 v65, 0, 1, vcc_lo
	v_cmp_ne_u32_e32 vcc_lo, v11, v12
	v_cndmask_b32_e64 v66, 0, 1, vcc_lo
	v_cmp_ne_u32_e32 vcc_lo, v14, v11
	v_cndmask_b32_e64 v67, 0, 1, vcc_lo
	v_cmp_ne_u32_e32 vcc_lo, v13, v14
	v_cndmask_b32_e64 v68, 0, 1, vcc_lo
	v_cmp_ne_u32_e32 vcc_lo, v16, v13
	v_cndmask_b32_e64 v69, 0, 1, vcc_lo
	v_cmp_ne_u32_e32 vcc_lo, v15, v16
	v_cndmask_b32_e64 v70, 0, 1, vcc_lo
	v_cmp_ne_u32_e32 vcc_lo, v18, v15
	v_cndmask_b32_e64 v72, 0, 1, vcc_lo
	v_cmp_ne_u32_e32 vcc_lo, v17, v18
	v_cndmask_b32_e64 v73, 0, 1, vcc_lo
	v_cmp_ne_u32_e32 vcc_lo, v20, v17
	v_cndmask_b32_e64 v74, 0, 1, vcc_lo
	v_cmp_ne_u32_e32 vcc_lo, v19, v20
	v_cndmask_b32_e64 v75, 0, 1, vcc_lo
	v_cmp_ne_u32_e32 vcc_lo, v22, v19
	v_cndmask_b32_e64 v76, 0, 1, vcc_lo
	v_cmp_ne_u32_e32 vcc_lo, v21, v22
	v_cndmask_b32_e64 v77, 0, 1, vcc_lo
	s_and_saveexec_b32 s1, s3
	s_delay_alu instid0(SALU_CYCLE_1)
	s_xor_b32 s1, exec_lo, s1
	s_cbranch_execz .LBB1037_78
; %bb.77:
	v_add_nc_u32_e32 v3, -4, v3
	s_or_b32 s45, s45, exec_lo
	ds_load_b32 v3, v3
	s_waitcnt lgkmcnt(0)
	v_cmp_ne_u32_e32 vcc_lo, v3, v21
	s_and_b32 s0, vcc_lo, exec_lo
.LBB1037_78:
	s_or_b32 exec_lo, exec_lo, s1
	s_mov_b32 s1, 1
	s_branch .LBB1037_87
.LBB1037_79:
	s_mul_hi_u32 s0, s18, 0xfffff100
	s_mul_i32 s1, s19, 0xfffff100
	s_sub_i32 s0, s0, s18
	s_mul_i32 s4, s18, 0xfffff100
	s_add_i32 s0, s0, s1
	s_add_u32 s28, s4, s40
	s_addc_u32 s29, s0, s41
	s_and_b32 vcc_lo, exec_lo, s15
	s_cbranch_vccz .LBB1037_84
; %bb.80:
	v_add_co_u32 v2, vcc_lo, -4, v2
	v_add_co_ci_u32_e32 v3, vcc_lo, -1, v1, vcc_lo
	v_mad_u32_u24 v1, v0, 15, 14
	v_cmp_ne_u32_e64 s8, v10, v63
	v_cmp_ne_u32_e64 s10, v12, v9
	flat_load_b32 v5, v[2:3]
	v_mov_b32_e32 v2, 0
	v_cmp_ne_u32_e64 s12, v14, v11
	v_cmp_ne_u32_e64 s11, v11, v12
	v_lshlrev_b32_e32 v4, 2, v0
	v_mul_u32_u24_e32 v3, 15, v0
	v_cmp_gt_u64_e32 vcc_lo, s[28:29], v[1:2]
	v_mad_u32_u24 v1, v0, 15, 13
	s_mov_b32 s45, -1
	s_mov_b32 s14, 0
	ds_store_b32 v4, v63
	s_waitcnt vmcnt(0) lgkmcnt(0)
	v_cmp_gt_u64_e64 s0, s[28:29], v[1:2]
	v_mad_u32_u24 v1, v0, 15, 12
	s_and_b32 s15, vcc_lo, s8
	v_cmp_ne_u32_e64 s8, v9, v10
	s_barrier
	buffer_gl0_inv
	v_cmp_gt_u64_e64 s1, s[28:29], v[1:2]
	v_mad_u32_u24 v1, v0, 15, 11
	s_and_b32 s16, s0, s8
	v_cmp_ne_u32_e64 s8, v18, v15
	s_delay_alu instid0(VALU_DEP_2) | instskip(SKIP_3) | instid1(VALU_DEP_2)
	v_cmp_gt_u64_e64 s4, s[28:29], v[1:2]
	v_mad_u32_u24 v1, v0, 15, 10
	s_and_b32 s17, s1, s10
	v_cmp_ne_u32_e64 s1, v13, v14
	v_cmp_gt_u64_e64 s5, s[28:29], v[1:2]
	v_mad_u32_u24 v1, v0, 15, 9
	s_and_b32 s11, s4, s11
	v_cmp_ne_u32_e64 s4, v16, v13
	s_delay_alu instid0(VALU_DEP_2) | instskip(SKIP_3) | instid1(VALU_DEP_2)
	v_cmp_gt_u64_e64 s6, s[28:29], v[1:2]
	v_mad_u32_u24 v1, v0, 15, 8
	s_and_b32 s12, s5, s12
	v_cmp_ne_u32_e64 s5, v15, v16
	v_cmp_gt_u64_e64 s7, s[28:29], v[1:2]
	v_mad_u32_u24 v1, v0, 15, 7
	s_and_b32 s18, s6, s1
	v_cmp_ne_u32_e64 s1, v17, v18
	v_cmp_ne_u32_e64 s6, v22, v19
	s_delay_alu instid0(VALU_DEP_3) | instskip(SKIP_3) | instid1(VALU_DEP_2)
	v_cmp_gt_u64_e64 s9, s[28:29], v[1:2]
	v_mad_u32_u24 v1, v0, 15, 6
	s_and_b32 s19, s7, s4
	v_cmp_ne_u32_e64 s4, v20, v17
	v_cmp_gt_u64_e32 vcc_lo, s[28:29], v[1:2]
	v_mad_u32_u24 v1, v0, 15, 5
	s_and_b32 s20, s9, s5
	v_cmp_ne_u32_e64 s5, v19, v20
	s_delay_alu instid0(VALU_DEP_2) | instskip(SKIP_3) | instid1(VALU_DEP_2)
	v_cmp_gt_u64_e64 s13, s[28:29], v[1:2]
	v_mad_u32_u24 v1, v0, 15, 4
	s_and_b32 s9, vcc_lo, s8
	v_cmp_ne_u32_e64 s8, v21, v22
	v_cmp_gt_u64_e64 s0, s[28:29], v[1:2]
	v_mad_u32_u24 v1, v0, 15, 3
	s_and_b32 s13, s13, s1
	s_delay_alu instid0(VALU_DEP_1) | instskip(SKIP_1) | instid1(VALU_DEP_4)
	v_cmp_gt_u64_e64 s10, s[28:29], v[1:2]
	v_mad_u32_u24 v1, v0, 15, 2
	s_and_b32 s0, s0, s4
	s_delay_alu instid0(VALU_DEP_1) | instskip(SKIP_1) | instid1(VALU_DEP_4)
	v_cmp_gt_u64_e32 vcc_lo, s[28:29], v[1:2]
	v_mad_u32_u24 v1, v0, 15, 1
	s_and_b32 s5, s10, s5
	s_delay_alu instid0(VALU_DEP_1) | instskip(SKIP_1) | instid1(VALU_DEP_1)
	v_cmp_gt_u64_e64 s7, s[28:29], v[1:2]
	s_and_b32 s1, vcc_lo, s6
	s_and_b32 s4, s7, s8
	s_and_saveexec_b32 s6, s3
	s_cbranch_execz .LBB1037_82
; %bb.81:
	v_add_nc_u32_e32 v1, -4, v4
	ds_load_b32 v5, v1
.LBB1037_82:
	s_or_b32 exec_lo, exec_lo, s6
	v_mov_b32_e32 v4, v2
	v_cndmask_b32_e64 v74, 0, 1, s0
	s_waitcnt lgkmcnt(0)
	v_cmp_ne_u32_e64 s0, v5, v21
	v_cndmask_b32_e64 v71, 0, 1, s15
	v_cndmask_b32_e64 v64, 0, 1, s16
	v_cmp_gt_u64_e32 vcc_lo, s[28:29], v[3:4]
	v_cndmask_b32_e64 v65, 0, 1, s17
	v_cndmask_b32_e64 v66, 0, 1, s11
	v_cndmask_b32_e64 v67, 0, 1, s12
	v_cndmask_b32_e64 v68, 0, 1, s18
	v_cndmask_b32_e64 v69, 0, 1, s19
	v_cndmask_b32_e64 v70, 0, 1, s20
	v_cndmask_b32_e64 v72, 0, 1, s9
	v_cndmask_b32_e64 v73, 0, 1, s13
	v_cndmask_b32_e64 v75, 0, 1, s5
	v_cndmask_b32_e64 v76, 0, 1, s1
	v_cndmask_b32_e64 v77, 0, 1, s4
	s_and_b32 s0, vcc_lo, s0
	s_and_b32 vcc_lo, exec_lo, s14
	s_cbranch_vccnz .LBB1037_85
.LBB1037_83:
                                        ; implicit-def: $sgpr1
	v_mov_b32_e32 v79, s1
	s_and_saveexec_b32 s1, s45
	s_cbranch_execnz .LBB1037_88
	s_branch .LBB1037_89
.LBB1037_84:
                                        ; implicit-def: $sgpr0
                                        ; implicit-def: $vgpr71
                                        ; implicit-def: $vgpr64
                                        ; implicit-def: $vgpr65
                                        ; implicit-def: $vgpr66
                                        ; implicit-def: $vgpr67
                                        ; implicit-def: $vgpr68
                                        ; implicit-def: $vgpr69
                                        ; implicit-def: $vgpr70
                                        ; implicit-def: $vgpr72
                                        ; implicit-def: $vgpr73
                                        ; implicit-def: $vgpr74
                                        ; implicit-def: $vgpr75
                                        ; implicit-def: $vgpr76
                                        ; implicit-def: $vgpr77
	s_cbranch_execz .LBB1037_83
.LBB1037_85:
	v_mad_u32_u24 v1, v0, 15, 14
	v_dual_mov_b32 v2, 0 :: v_dual_lshlrev_b32 v3, 2, v0
	v_cmp_ne_u32_e64 s7, v9, v10
	v_cmp_ne_u32_e64 s6, v10, v63
	;; [unrolled: 1-line block ×3, first 2 shown]
	s_delay_alu instid0(VALU_DEP_4)
	v_cmp_gt_u64_e32 vcc_lo, s[28:29], v[1:2]
	v_mad_u32_u24 v1, v0, 15, 13
	v_cmp_ne_u32_e64 s10, v11, v12
	v_cmp_ne_u32_e64 s11, v14, v11
	;; [unrolled: 1-line block ×4, first 2 shown]
	v_cmp_gt_u64_e64 s0, s[28:29], v[1:2]
	v_mad_u32_u24 v1, v0, 15, 12
	s_and_b32 s6, vcc_lo, s6
	v_cmp_ne_u32_e64 s15, v15, v16
	v_cmp_ne_u32_e64 s16, v18, v15
	;; [unrolled: 1-line block ×3, first 2 shown]
	v_cmp_gt_u64_e64 s1, s[28:29], v[1:2]
	v_mad_u32_u24 v1, v0, 15, 11
	s_and_b32 s0, s0, s7
	v_cmp_ne_u32_e64 s18, v20, v17
	v_cndmask_b32_e64 v64, 0, 1, s0
	v_cmp_ne_u32_e64 s20, v19, v20
	v_cmp_gt_u64_e64 s4, s[28:29], v[1:2]
	v_mad_u32_u24 v1, v0, 15, 10
	s_and_b32 s0, s1, s8
	v_cmp_ne_u32_e64 s21, v22, v19
	v_cndmask_b32_e64 v65, 0, 1, s0
	v_cmp_ne_u32_e64 s22, v21, v22
	v_cmp_gt_u64_e64 s5, s[28:29], v[1:2]
	v_mad_u32_u24 v1, v0, 15, 9
	s_and_b32 s0, s4, s10
	v_cndmask_b32_e64 v71, 0, 1, s6
	v_cndmask_b32_e64 v66, 0, 1, s0
	ds_store_b32 v3, v63
	v_cmp_gt_u64_e64 s9, s[28:29], v[1:2]
	v_mad_u32_u24 v1, v0, 15, 8
	s_and_b32 s1, s5, s11
	s_waitcnt lgkmcnt(0)
	v_cndmask_b32_e64 v67, 0, 1, s1
	s_barrier
	v_cmp_gt_u64_e64 s14, s[28:29], v[1:2]
	v_mad_u32_u24 v1, v0, 15, 7
	s_and_b32 s1, s9, s12
	buffer_gl0_inv
	v_cndmask_b32_e64 v68, 0, 1, s1
	v_cmp_gt_u64_e64 s19, s[28:29], v[1:2]
	v_mad_u32_u24 v1, v0, 15, 6
	s_and_b32 s4, s14, s13
	s_delay_alu instid0(SALU_CYCLE_1) | instskip(NEXT) | instid1(VALU_DEP_2)
	v_cndmask_b32_e64 v69, 0, 1, s4
	v_cmp_gt_u64_e64 s23, s[28:29], v[1:2]
	v_mad_u32_u24 v1, v0, 15, 5
	s_and_b32 s4, s19, s15
	s_delay_alu instid0(SALU_CYCLE_1) | instskip(NEXT) | instid1(VALU_DEP_2)
	v_cndmask_b32_e64 v70, 0, 1, s4
	v_cmp_gt_u64_e32 vcc_lo, s[28:29], v[1:2]
	v_mad_u32_u24 v1, v0, 15, 4
	s_and_b32 s5, s23, s16
	s_delay_alu instid0(SALU_CYCLE_1) | instskip(NEXT) | instid1(VALU_DEP_2)
	v_cndmask_b32_e64 v72, 0, 1, s5
	v_cmp_gt_u64_e64 s0, s[28:29], v[1:2]
	v_mad_u32_u24 v1, v0, 15, 3
	s_and_b32 s5, vcc_lo, s17
	s_delay_alu instid0(SALU_CYCLE_1) | instskip(NEXT) | instid1(VALU_DEP_2)
	v_cndmask_b32_e64 v73, 0, 1, s5
	v_cmp_gt_u64_e64 s1, s[28:29], v[1:2]
	v_mad_u32_u24 v1, v0, 15, 2
	s_and_b32 s0, s0, s18
	s_delay_alu instid0(SALU_CYCLE_1) | instskip(NEXT) | instid1(VALU_DEP_2)
	v_cndmask_b32_e64 v74, 0, 1, s0
	v_cmp_gt_u64_e64 s4, s[28:29], v[1:2]
	v_mad_u32_u24 v1, v0, 15, 1
	s_and_b32 s0, s1, s20
	s_mov_b32 s1, 1
	v_cndmask_b32_e64 v75, 0, 1, s0
	s_delay_alu instid0(VALU_DEP_2) | instskip(SKIP_1) | instid1(SALU_CYCLE_1)
	v_cmp_gt_u64_e32 vcc_lo, s[28:29], v[1:2]
	s_and_b32 s0, s4, s21
	v_cndmask_b32_e64 v76, 0, 1, s0
	s_and_b32 s0, vcc_lo, s22
	s_delay_alu instid0(SALU_CYCLE_1)
	v_cndmask_b32_e64 v77, 0, 1, s0
                                        ; implicit-def: $sgpr0
	s_and_saveexec_b32 s4, s3
	s_cbranch_execz .LBB1037_162
; %bb.86:
	v_add_nc_u32_e32 v1, -4, v3
	s_or_b32 s45, s45, exec_lo
	ds_load_b32 v3, v1
	v_mul_u32_u24_e32 v1, 15, v0
	s_delay_alu instid0(VALU_DEP_1) | instskip(SKIP_2) | instid1(VALU_DEP_1)
	v_cmp_gt_u64_e32 vcc_lo, s[28:29], v[1:2]
	s_waitcnt lgkmcnt(0)
	v_cmp_ne_u32_e64 s0, v3, v21
	s_and_b32 s0, vcc_lo, s0
	s_delay_alu instid0(SALU_CYCLE_1)
	s_and_b32 s0, s0, exec_lo
	s_or_b32 exec_lo, exec_lo, s4
.LBB1037_87:
	v_mov_b32_e32 v79, s1
	s_and_saveexec_b32 s1, s45
.LBB1037_88:
	s_delay_alu instid0(VALU_DEP_2)
	v_cndmask_b32_e64 v79, 0, 1, s0
.LBB1037_89:
	s_or_b32 exec_lo, exec_lo, s1
	s_delay_alu instid0(VALU_DEP_1)
	v_add3_u32 v1, v77, v79, v76
	v_cmp_eq_u32_e64 s13, 0, v77
	v_cmp_eq_u32_e64 s12, 0, v76
	;; [unrolled: 1-line block ×4, first 2 shown]
	v_add3_u32 v84, v1, v75, v74
	v_cmp_eq_u32_e64 s9, 0, v73
	v_cmp_eq_u32_e64 s8, 0, v72
	;; [unrolled: 1-line block ×9, first 2 shown]
	v_cmp_eq_u32_e32 vcc_lo, 0, v71
	v_mbcnt_lo_u32_b32 v81, -1, 0
	v_lshrrev_b32_e32 v82, 5, v0
	v_or_b32_e32 v83, 31, v0
	s_cmp_eq_u64 s[26:27], 0
	s_cselect_b32 s16, -1, 0
	s_cmp_lg_u32 s44, 0
	s_cbranch_scc0 .LBB1037_120
; %bb.90:
	v_cndmask_b32_e64 v1, 0, v35, s13
	v_add3_u32 v2, v84, v73, v72
	s_delay_alu instid0(VALU_DEP_2) | instskip(NEXT) | instid1(VALU_DEP_2)
	v_add_nc_u32_e32 v1, v1, v36
	v_add3_u32 v2, v2, v70, v69
	s_delay_alu instid0(VALU_DEP_2) | instskip(NEXT) | instid1(VALU_DEP_2)
	v_cndmask_b32_e64 v1, 0, v1, s12
	v_add3_u32 v2, v2, v68, v67
	s_delay_alu instid0(VALU_DEP_2) | instskip(NEXT) | instid1(VALU_DEP_2)
	v_add_nc_u32_e32 v1, v1, v33
	v_add3_u32 v2, v2, v66, v65
	s_delay_alu instid0(VALU_DEP_2) | instskip(NEXT) | instid1(VALU_DEP_2)
	v_cndmask_b32_e64 v1, 0, v1, s11
	v_add3_u32 v2, v2, v64, v71
	s_delay_alu instid0(VALU_DEP_2) | instskip(NEXT) | instid1(VALU_DEP_2)
	v_add_nc_u32_e32 v1, v1, v34
	v_mov_b32_dpp v5, v2 row_shr:1 row_mask:0xf bank_mask:0xf
	s_delay_alu instid0(VALU_DEP_2) | instskip(NEXT) | instid1(VALU_DEP_1)
	v_cndmask_b32_e64 v1, 0, v1, s10
	v_add_nc_u32_e32 v1, v1, v31
	s_delay_alu instid0(VALU_DEP_1) | instskip(NEXT) | instid1(VALU_DEP_1)
	v_cndmask_b32_e64 v1, 0, v1, s9
	v_add_nc_u32_e32 v1, v1, v32
	s_delay_alu instid0(VALU_DEP_1) | instskip(NEXT) | instid1(VALU_DEP_1)
	;; [unrolled: 3-line block ×9, first 2 shown]
	v_cndmask_b32_e64 v1, 0, v1, s0
	v_add_nc_u32_e32 v1, v1, v24
	s_delay_alu instid0(VALU_DEP_1) | instskip(SKIP_1) | instid1(VALU_DEP_2)
	v_cndmask_b32_e32 v1, 0, v1, vcc_lo
	v_cmp_eq_u32_e32 vcc_lo, 0, v2
	v_add_nc_u32_e32 v1, v1, v78
	s_delay_alu instid0(VALU_DEP_1) | instskip(NEXT) | instid1(VALU_DEP_1)
	v_mov_b32_dpp v3, v1 row_shr:1 row_mask:0xf bank_mask:0xf
	v_dual_cndmask_b32 v3, 0, v3 :: v_dual_and_b32 v4, 15, v81
	s_delay_alu instid0(VALU_DEP_1) | instskip(SKIP_2) | instid1(VALU_DEP_4)
	v_cmp_eq_u32_e32 vcc_lo, 0, v4
	v_cmp_lt_u32_e64 s14, 1, v4
	v_cndmask_b32_e64 v5, v5, 0, vcc_lo
	v_cndmask_b32_e64 v3, v3, 0, vcc_lo
	s_delay_alu instid0(VALU_DEP_2) | instskip(NEXT) | instid1(VALU_DEP_2)
	v_add_nc_u32_e32 v2, v5, v2
	v_add_nc_u32_e32 v1, v3, v1
	s_delay_alu instid0(VALU_DEP_2) | instskip(SKIP_1) | instid1(VALU_DEP_3)
	v_mov_b32_dpp v3, v2 row_shr:2 row_mask:0xf bank_mask:0xf
	v_cmp_eq_u32_e32 vcc_lo, 0, v2
	v_mov_b32_dpp v5, v1 row_shr:2 row_mask:0xf bank_mask:0xf
	s_delay_alu instid0(VALU_DEP_3) | instskip(SKIP_2) | instid1(VALU_DEP_2)
	v_cndmask_b32_e64 v3, 0, v3, s14
	s_and_b32 vcc_lo, s14, vcc_lo
	v_cmp_lt_u32_e64 s14, 3, v4
	v_dual_cndmask_b32 v5, 0, v5 :: v_dual_add_nc_u32 v2, v2, v3
	s_delay_alu instid0(VALU_DEP_1) | instskip(NEXT) | instid1(VALU_DEP_2)
	v_add_nc_u32_e32 v1, v5, v1
	v_mov_b32_dpp v3, v2 row_shr:4 row_mask:0xf bank_mask:0xf
	v_cmp_eq_u32_e32 vcc_lo, 0, v2
	s_delay_alu instid0(VALU_DEP_3) | instskip(NEXT) | instid1(VALU_DEP_3)
	v_mov_b32_dpp v5, v1 row_shr:4 row_mask:0xf bank_mask:0xf
	v_cndmask_b32_e64 v3, 0, v3, s14
	s_and_b32 vcc_lo, s14, vcc_lo
	v_cmp_lt_u32_e64 s14, 7, v4
	s_delay_alu instid0(VALU_DEP_2) | instskip(NEXT) | instid1(VALU_DEP_1)
	v_dual_cndmask_b32 v5, 0, v5 :: v_dual_add_nc_u32 v2, v3, v2
	v_add_nc_u32_e32 v1, v1, v5
	v_bfe_i32 v5, v81, 4, 1
	s_delay_alu instid0(VALU_DEP_3) | instskip(SKIP_1) | instid1(VALU_DEP_4)
	v_cmp_eq_u32_e32 vcc_lo, 0, v2
	v_mov_b32_dpp v3, v2 row_shr:8 row_mask:0xf bank_mask:0xf
	v_mov_b32_dpp v4, v1 row_shr:8 row_mask:0xf bank_mask:0xf
	s_and_b32 vcc_lo, s14, vcc_lo
	s_delay_alu instid0(VALU_DEP_2) | instskip(SKIP_1) | instid1(VALU_DEP_2)
	v_cndmask_b32_e64 v3, 0, v3, s14
	s_mov_b32 s14, exec_lo
	v_cndmask_b32_e32 v4, 0, v4, vcc_lo
	s_delay_alu instid0(VALU_DEP_1) | instskip(NEXT) | instid1(VALU_DEP_3)
	v_add_nc_u32_e32 v4, v4, v1
	v_add_nc_u32_e32 v1, v3, v2
	ds_swizzle_b32 v2, v4 offset:swizzle(BROADCAST,32,15)
	ds_swizzle_b32 v3, v1 offset:swizzle(BROADCAST,32,15)
	v_cmp_eq_u32_e32 vcc_lo, 0, v1
	s_waitcnt lgkmcnt(0)
	v_dual_cndmask_b32 v2, 0, v2 :: v_dual_and_b32 v3, v5, v3
	s_delay_alu instid0(VALU_DEP_1) | instskip(NEXT) | instid1(VALU_DEP_2)
	v_and_b32_e32 v2, v5, v2
	v_add_nc_u32_e32 v1, v3, v1
	v_lshlrev_b32_e32 v3, 3, v82
	s_delay_alu instid0(VALU_DEP_3)
	v_add_nc_u32_e32 v2, v2, v4
	v_cmpx_eq_u32_e64 v83, v0
	s_cbranch_execz .LBB1037_92
; %bb.91:
	ds_store_b64 v3, v[1:2] offset:2064
.LBB1037_92:
	s_or_b32 exec_lo, exec_lo, s14
	s_delay_alu instid0(SALU_CYCLE_1)
	s_mov_b32 s15, exec_lo
	s_waitcnt lgkmcnt(0)
	s_barrier
	buffer_gl0_inv
	v_cmpx_gt_u32_e32 8, v0
	s_cbranch_execz .LBB1037_94
; %bb.93:
	v_lshlrev_b32_e32 v6, 3, v0
	v_and_b32_e32 v8, 7, v81
	ds_load_b64 v[4:5], v6 offset:2064
	v_cmp_lt_u32_e64 s14, 1, v8
	s_waitcnt lgkmcnt(0)
	v_mov_b32_dpp v7, v5 row_shr:1 row_mask:0xf bank_mask:0xf
	v_cmp_eq_u32_e32 vcc_lo, 0, v4
	v_mov_b32_dpp v37, v4 row_shr:1 row_mask:0xf bank_mask:0xf
	s_delay_alu instid0(VALU_DEP_3) | instskip(SKIP_1) | instid1(VALU_DEP_3)
	v_cndmask_b32_e32 v7, 0, v7, vcc_lo
	v_cmp_eq_u32_e32 vcc_lo, 0, v8
	v_cndmask_b32_e64 v37, v37, 0, vcc_lo
	s_delay_alu instid0(VALU_DEP_3) | instskip(NEXT) | instid1(VALU_DEP_2)
	v_cndmask_b32_e64 v7, v7, 0, vcc_lo
	v_add_nc_u32_e32 v4, v37, v4
	s_delay_alu instid0(VALU_DEP_2) | instskip(NEXT) | instid1(VALU_DEP_2)
	v_add_nc_u32_e32 v5, v7, v5
	v_cmp_eq_u32_e32 vcc_lo, 0, v4
	s_delay_alu instid0(VALU_DEP_2) | instskip(SKIP_1) | instid1(VALU_DEP_1)
	v_mov_b32_dpp v37, v5 row_shr:2 row_mask:0xf bank_mask:0xf
	s_and_b32 vcc_lo, s14, vcc_lo
	v_cndmask_b32_e32 v37, 0, v37, vcc_lo
	v_mov_b32_dpp v7, v4 row_shr:2 row_mask:0xf bank_mask:0xf
	s_delay_alu instid0(VALU_DEP_2) | instskip(NEXT) | instid1(VALU_DEP_2)
	v_add_nc_u32_e32 v5, v37, v5
	v_cndmask_b32_e64 v7, 0, v7, s14
	v_cmp_lt_u32_e64 s14, 3, v8
	s_delay_alu instid0(VALU_DEP_3) | instskip(NEXT) | instid1(VALU_DEP_3)
	v_mov_b32_dpp v8, v5 row_shr:4 row_mask:0xf bank_mask:0xf
	v_add_nc_u32_e32 v4, v7, v4
	s_delay_alu instid0(VALU_DEP_1) | instskip(SKIP_2) | instid1(VALU_DEP_1)
	v_cmp_eq_u32_e32 vcc_lo, 0, v4
	v_mov_b32_dpp v7, v4 row_shr:4 row_mask:0xf bank_mask:0xf
	s_and_b32 vcc_lo, s14, vcc_lo
	v_cndmask_b32_e64 v7, 0, v7, s14
	v_cndmask_b32_e32 v8, 0, v8, vcc_lo
	s_delay_alu instid0(VALU_DEP_2) | instskip(NEXT) | instid1(VALU_DEP_2)
	v_add_nc_u32_e32 v4, v7, v4
	v_add_nc_u32_e32 v5, v8, v5
	ds_store_b64 v6, v[4:5] offset:2064
.LBB1037_94:
	s_or_b32 exec_lo, exec_lo, s15
	v_cmp_gt_u32_e32 vcc_lo, 32, v0
	v_dual_mov_b32 v37, 0 :: v_dual_mov_b32 v38, 0
	s_mov_b32 s15, exec_lo
	s_waitcnt lgkmcnt(0)
	s_barrier
	buffer_gl0_inv
	v_cmpx_lt_u32_e32 31, v0
	s_cbranch_execz .LBB1037_96
; %bb.95:
	ds_load_b64 v[37:38], v3 offset:2056
	v_cmp_eq_u32_e64 s14, 0, v1
	s_waitcnt lgkmcnt(0)
	s_delay_alu instid0(VALU_DEP_1) | instskip(SKIP_1) | instid1(VALU_DEP_2)
	v_cndmask_b32_e64 v3, 0, v38, s14
	v_add_nc_u32_e32 v1, v37, v1
	v_add_nc_u32_e32 v2, v3, v2
.LBB1037_96:
	s_or_b32 exec_lo, exec_lo, s15
	v_add_nc_u32_e32 v3, -1, v81
	s_delay_alu instid0(VALU_DEP_1) | instskip(NEXT) | instid1(VALU_DEP_1)
	v_cmp_gt_i32_e64 s14, 0, v3
	v_cndmask_b32_e64 v3, v3, v81, s14
	v_cmp_eq_u32_e64 s14, 0, v81
	s_delay_alu instid0(VALU_DEP_2)
	v_lshlrev_b32_e32 v3, 2, v3
	ds_bpermute_b32 v43, v3, v1
	ds_bpermute_b32 v44, v3, v2
	s_and_saveexec_b32 s17, vcc_lo
	s_cbranch_execz .LBB1037_119
; %bb.97:
	v_mov_b32_e32 v4, 0
	ds_load_b64 v[1:2], v4 offset:2120
	s_waitcnt lgkmcnt(0)
	v_readfirstlane_b32 s18, v2
	s_and_saveexec_b32 s15, s14
	s_cbranch_execz .LBB1037_99
; %bb.98:
	s_add_i32 s20, s44, 32
	s_mov_b32 s21, 0
	v_mov_b32_e32 v3, 1
	s_lshl_b64 s[22:23], s[20:21], 4
	s_mov_b32 s26, s21
	s_add_u32 s22, s24, s22
	s_addc_u32 s23, s25, s23
	s_and_b32 s27, s18, 0xff000000
	s_and_b32 s29, s18, 0xff0000
	s_mov_b32 s28, s21
	v_dual_mov_b32 v5, s22 :: v_dual_mov_b32 v6, s23
	s_or_b64 s[26:27], s[28:29], s[26:27]
	s_and_b32 s29, s18, 0xff00
	s_delay_alu instid0(SALU_CYCLE_1) | instskip(SKIP_1) | instid1(SALU_CYCLE_1)
	s_or_b64 s[26:27], s[26:27], s[28:29]
	s_and_b32 s29, s18, 0xff
	s_or_b64 s[20:21], s[26:27], s[28:29]
	s_delay_alu instid0(SALU_CYCLE_1)
	v_mov_b32_e32 v2, s21
	;;#ASMSTART
	global_store_dwordx4 v[5:6], v[1:4] off	
s_waitcnt vmcnt(0)
	;;#ASMEND
.LBB1037_99:
	s_or_b32 exec_lo, exec_lo, s15
	v_xad_u32 v39, v81, -1, s44
	s_mov_b32 s19, 0
	s_mov_b32 s15, exec_lo
	s_delay_alu instid0(VALU_DEP_1) | instskip(NEXT) | instid1(VALU_DEP_1)
	v_add_nc_u32_e32 v3, 32, v39
	v_lshlrev_b64 v[2:3], 4, v[3:4]
	s_delay_alu instid0(VALU_DEP_1) | instskip(NEXT) | instid1(VALU_DEP_2)
	v_add_co_u32 v2, vcc_lo, s24, v2
	v_add_co_ci_u32_e32 v3, vcc_lo, s25, v3, vcc_lo
	;;#ASMSTART
	global_load_dwordx4 v[5:8], v[2:3] off glc	
s_waitcnt vmcnt(0)
	;;#ASMEND
	v_and_b32_e32 v4, 0xff, v6
	v_and_b32_e32 v8, 0xff00, v6
	;; [unrolled: 1-line block ×3, first 2 shown]
	v_or3_b32 v5, v5, 0, 0
	v_and_b32_e32 v6, 0xff000000, v6
	s_delay_alu instid0(VALU_DEP_4) | instskip(SKIP_1) | instid1(VALU_DEP_4)
	v_or3_b32 v4, 0, v4, v8
	v_and_b32_e32 v8, 0xff, v7
	v_or3_b32 v5, v5, 0, 0
	s_delay_alu instid0(VALU_DEP_3) | instskip(NEXT) | instid1(VALU_DEP_3)
	v_or3_b32 v6, v4, v40, v6
	v_cmpx_eq_u16_e32 0, v8
	s_cbranch_execz .LBB1037_105
; %bb.100:
	s_mov_b32 s20, 1
	.p2align	6
.LBB1037_101:                           ; =>This Loop Header: Depth=1
                                        ;     Child Loop BB1037_102 Depth 2
	s_delay_alu instid0(SALU_CYCLE_1)
	s_max_u32 s21, s20, 1
.LBB1037_102:                           ;   Parent Loop BB1037_101 Depth=1
                                        ; =>  This Inner Loop Header: Depth=2
	s_delay_alu instid0(SALU_CYCLE_1)
	s_add_i32 s21, s21, -1
	s_sleep 1
	s_cmp_eq_u32 s21, 0
	s_cbranch_scc0 .LBB1037_102
; %bb.103:                              ;   in Loop: Header=BB1037_101 Depth=1
	;;#ASMSTART
	global_load_dwordx4 v[5:8], v[2:3] off glc	
s_waitcnt vmcnt(0)
	;;#ASMEND
	v_and_b32_e32 v4, 0xff, v7
	s_cmp_lt_u32 s20, 32
	s_cselect_b32 s21, -1, 0
	s_delay_alu instid0(VALU_DEP_1) | instskip(SKIP_3) | instid1(SALU_CYCLE_1)
	v_cmp_ne_u16_e32 vcc_lo, 0, v4
	s_cmp_lg_u32 s21, 0
	s_addc_u32 s20, s20, 0
	s_or_b32 s19, vcc_lo, s19
	s_and_not1_b32 exec_lo, exec_lo, s19
	s_cbranch_execnz .LBB1037_101
; %bb.104:
	s_or_b32 exec_lo, exec_lo, s19
.LBB1037_105:
	s_delay_alu instid0(SALU_CYCLE_1)
	s_or_b32 exec_lo, exec_lo, s15
	v_cmp_ne_u32_e32 vcc_lo, 31, v81
	v_and_b32_e32 v3, 0xff, v7
	v_lshlrev_b32_e64 v45, v81, -1
	v_add_nc_u32_e32 v47, 2, v81
	v_add_nc_u32_e32 v49, 4, v81
	v_add_co_ci_u32_e32 v2, vcc_lo, 0, v81, vcc_lo
	v_cmp_eq_u16_e32 vcc_lo, 2, v3
	v_add_nc_u32_e32 v51, 8, v81
	v_add_nc_u32_e32 v53, 16, v81
	v_and_or_b32 v8, vcc_lo, v45, 0x80000000
	v_cmp_gt_u32_e32 vcc_lo, 30, v81
	s_delay_alu instid0(VALU_DEP_2) | instskip(SKIP_2) | instid1(VALU_DEP_3)
	v_ctz_i32_b32_e32 v8, v8
	v_cndmask_b32_e64 v40, 0, 1, vcc_lo
	v_cmp_eq_u32_e32 vcc_lo, 0, v5
	v_cmp_lt_u32_e64 s15, v81, v8
	s_delay_alu instid0(VALU_DEP_3) | instskip(NEXT) | instid1(VALU_DEP_2)
	v_lshlrev_b32_e32 v40, 1, v40
	s_and_b32 vcc_lo, s15, vcc_lo
	v_lshlrev_b32_e32 v2, 2, v2
	s_delay_alu instid0(VALU_DEP_2)
	v_add_lshl_u32 v46, v40, v81, 2
	ds_bpermute_b32 v3, v2, v6
	s_waitcnt lgkmcnt(0)
	v_cndmask_b32_e32 v3, 0, v3, vcc_lo
	ds_bpermute_b32 v4, v2, v5
	v_cmp_gt_u32_e32 vcc_lo, 28, v81
	v_add_nc_u32_e32 v3, v3, v6
	ds_bpermute_b32 v6, v46, v3
	s_waitcnt lgkmcnt(1)
	v_cndmask_b32_e64 v4, 0, v4, s15
	s_delay_alu instid0(VALU_DEP_1) | instskip(SKIP_1) | instid1(VALU_DEP_2)
	v_add_nc_u32_e32 v4, v4, v5
	v_cndmask_b32_e64 v5, 0, 1, vcc_lo
	v_cmp_eq_u32_e32 vcc_lo, 0, v4
	ds_bpermute_b32 v40, v46, v4
	s_waitcnt lgkmcnt(1)
	v_dual_cndmask_b32 v6, 0, v6 :: v_dual_lshlrev_b32 v5, 2, v5
	v_cmp_gt_u32_e32 vcc_lo, v47, v8
	s_delay_alu instid0(VALU_DEP_2) | instskip(NEXT) | instid1(VALU_DEP_3)
	v_add_lshl_u32 v48, v5, v81, 2
	v_cndmask_b32_e64 v6, v6, 0, vcc_lo
	s_delay_alu instid0(VALU_DEP_1) | instskip(SKIP_4) | instid1(VALU_DEP_2)
	v_add_nc_u32_e32 v3, v6, v3
	ds_bpermute_b32 v5, v48, v3
	s_waitcnt lgkmcnt(1)
	v_cndmask_b32_e64 v6, v40, 0, vcc_lo
	v_cmp_gt_u32_e32 vcc_lo, 24, v81
	v_add_nc_u32_e32 v4, v4, v6
	v_cndmask_b32_e64 v40, 0, 1, vcc_lo
	ds_bpermute_b32 v6, v48, v4
	v_cmp_eq_u32_e32 vcc_lo, 0, v4
	v_lshlrev_b32_e32 v40, 3, v40
	s_delay_alu instid0(VALU_DEP_1) | instskip(SKIP_3) | instid1(VALU_DEP_2)
	v_add_lshl_u32 v50, v40, v81, 2
	s_waitcnt lgkmcnt(1)
	v_cndmask_b32_e32 v5, 0, v5, vcc_lo
	v_cmp_gt_u32_e32 vcc_lo, v49, v8
	v_cndmask_b32_e64 v5, v5, 0, vcc_lo
	s_delay_alu instid0(VALU_DEP_1)
	v_add_nc_u32_e32 v3, v3, v5
	s_waitcnt lgkmcnt(0)
	v_cndmask_b32_e64 v6, v6, 0, vcc_lo
	v_cmp_gt_u32_e32 vcc_lo, 16, v81
	ds_bpermute_b32 v5, v50, v3
	v_add_nc_u32_e32 v4, v4, v6
	v_cndmask_b32_e64 v40, 0, 1, vcc_lo
	ds_bpermute_b32 v6, v50, v4
	v_cmp_eq_u32_e32 vcc_lo, 0, v4
	v_lshlrev_b32_e32 v40, 4, v40
	s_delay_alu instid0(VALU_DEP_1) | instskip(SKIP_3) | instid1(VALU_DEP_2)
	v_add_lshl_u32 v52, v40, v81, 2
	s_waitcnt lgkmcnt(1)
	v_dual_mov_b32 v40, 0 :: v_dual_cndmask_b32 v5, 0, v5
	v_cmp_gt_u32_e32 vcc_lo, v51, v8
	v_cndmask_b32_e64 v5, v5, 0, vcc_lo
	s_delay_alu instid0(VALU_DEP_1)
	v_add_nc_u32_e32 v3, v3, v5
	s_waitcnt lgkmcnt(0)
	v_cndmask_b32_e64 v5, v6, 0, vcc_lo
	ds_bpermute_b32 v6, v52, v3
	v_add_nc_u32_e32 v4, v4, v5
	ds_bpermute_b32 v5, v52, v4
	v_cmp_eq_u32_e32 vcc_lo, 0, v4
	s_waitcnt lgkmcnt(1)
	v_cndmask_b32_e32 v6, 0, v6, vcc_lo
	v_cmp_gt_u32_e32 vcc_lo, v53, v8
	s_delay_alu instid0(VALU_DEP_2) | instskip(SKIP_2) | instid1(VALU_DEP_2)
	v_cndmask_b32_e64 v6, v6, 0, vcc_lo
	s_waitcnt lgkmcnt(0)
	v_cndmask_b32_e64 v5, v5, 0, vcc_lo
	v_add_nc_u32_e32 v6, v6, v3
	s_delay_alu instid0(VALU_DEP_2)
	v_add_nc_u32_e32 v5, v5, v4
	s_branch .LBB1037_107
.LBB1037_106:                           ;   in Loop: Header=BB1037_107 Depth=1
	s_or_b32 exec_lo, exec_lo, s15
	v_and_b32_e32 v8, 0xff, v7
	ds_bpermute_b32 v41, v2, v5
	v_subrev_nc_u32_e32 v39, 32, v39
	v_cmp_eq_u16_e32 vcc_lo, 2, v8
	ds_bpermute_b32 v8, v2, v6
	v_and_or_b32 v42, vcc_lo, v45, 0x80000000
	v_cmp_eq_u32_e32 vcc_lo, 0, v5
	s_delay_alu instid0(VALU_DEP_2) | instskip(NEXT) | instid1(VALU_DEP_1)
	v_ctz_i32_b32_e32 v42, v42
	v_cmp_lt_u32_e64 s15, v81, v42
	s_delay_alu instid0(VALU_DEP_1) | instskip(SKIP_4) | instid1(VALU_DEP_2)
	s_and_b32 vcc_lo, s15, vcc_lo
	s_waitcnt lgkmcnt(1)
	v_cndmask_b32_e64 v41, 0, v41, s15
	s_waitcnt lgkmcnt(0)
	v_cndmask_b32_e32 v8, 0, v8, vcc_lo
	v_add_nc_u32_e32 v5, v41, v5
	s_delay_alu instid0(VALU_DEP_2)
	v_add_nc_u32_e32 v6, v8, v6
	ds_bpermute_b32 v41, v46, v5
	ds_bpermute_b32 v8, v46, v6
	v_cmp_eq_u32_e32 vcc_lo, 0, v5
	s_waitcnt lgkmcnt(0)
	v_cndmask_b32_e32 v8, 0, v8, vcc_lo
	v_cmp_gt_u32_e32 vcc_lo, v47, v42
	v_cndmask_b32_e64 v41, v41, 0, vcc_lo
	s_delay_alu instid0(VALU_DEP_1) | instskip(NEXT) | instid1(VALU_DEP_4)
	v_add_nc_u32_e32 v5, v5, v41
	v_cndmask_b32_e64 v8, v8, 0, vcc_lo
	ds_bpermute_b32 v41, v48, v5
	v_add_nc_u32_e32 v6, v8, v6
	v_cmp_eq_u32_e32 vcc_lo, 0, v5
	ds_bpermute_b32 v8, v48, v6
	s_waitcnt lgkmcnt(0)
	v_cndmask_b32_e32 v8, 0, v8, vcc_lo
	v_cmp_gt_u32_e32 vcc_lo, v49, v42
	v_cndmask_b32_e64 v41, v41, 0, vcc_lo
	s_delay_alu instid0(VALU_DEP_1) | instskip(NEXT) | instid1(VALU_DEP_4)
	v_add_nc_u32_e32 v5, v5, v41
	v_cndmask_b32_e64 v8, v8, 0, vcc_lo
	ds_bpermute_b32 v41, v50, v5
	v_add_nc_u32_e32 v6, v6, v8
	v_cmp_eq_u32_e32 vcc_lo, 0, v5
	ds_bpermute_b32 v8, v50, v6
	s_waitcnt lgkmcnt(0)
	v_cndmask_b32_e32 v8, 0, v8, vcc_lo
	v_cmp_gt_u32_e32 vcc_lo, v51, v42
	v_cndmask_b32_e64 v41, v41, 0, vcc_lo
	s_delay_alu instid0(VALU_DEP_1) | instskip(NEXT) | instid1(VALU_DEP_4)
	v_add_nc_u32_e32 v5, v5, v41
	v_cndmask_b32_e64 v8, v8, 0, vcc_lo
	ds_bpermute_b32 v41, v52, v5
	v_add_nc_u32_e32 v6, v6, v8
	v_cmp_eq_u32_e32 vcc_lo, 0, v5
	ds_bpermute_b32 v8, v52, v6
	s_waitcnt lgkmcnt(0)
	v_cndmask_b32_e32 v8, 0, v8, vcc_lo
	v_cmp_gt_u32_e32 vcc_lo, v53, v42
	s_delay_alu instid0(VALU_DEP_2) | instskip(NEXT) | instid1(VALU_DEP_1)
	v_cndmask_b32_e64 v8, v8, 0, vcc_lo
	v_add_nc_u32_e32 v6, v8, v6
	v_cndmask_b32_e64 v8, v41, 0, vcc_lo
	v_cmp_eq_u32_e32 vcc_lo, 0, v3
	s_delay_alu instid0(VALU_DEP_2) | instskip(NEXT) | instid1(VALU_DEP_4)
	v_add3_u32 v5, v5, v3, v8
	v_cndmask_b32_e32 v6, 0, v6, vcc_lo
	s_delay_alu instid0(VALU_DEP_1)
	v_add_nc_u32_e32 v6, v6, v4
.LBB1037_107:                           ; =>This Loop Header: Depth=1
                                        ;     Child Loop BB1037_110 Depth 2
                                        ;       Child Loop BB1037_111 Depth 3
	s_delay_alu instid0(VALU_DEP_1) | instskip(NEXT) | instid1(VALU_DEP_1)
	v_dual_mov_b32 v4, v6 :: v_dual_and_b32 v3, 0xff, v7
	v_cmp_ne_u16_e32 vcc_lo, 2, v3
	v_cndmask_b32_e64 v3, 0, 1, vcc_lo
	;;#ASMSTART
	;;#ASMEND
	s_delay_alu instid0(VALU_DEP_1)
	v_cmp_ne_u32_e32 vcc_lo, 0, v3
	v_mov_b32_e32 v3, v5
	s_cmp_lg_u32 vcc_lo, exec_lo
	s_cbranch_scc1 .LBB1037_114
; %bb.108:                              ;   in Loop: Header=BB1037_107 Depth=1
	v_lshlrev_b64 v[5:6], 4, v[39:40]
	s_mov_b32 s15, exec_lo
	s_delay_alu instid0(VALU_DEP_1) | instskip(NEXT) | instid1(VALU_DEP_2)
	v_add_co_u32 v41, vcc_lo, s24, v5
	v_add_co_ci_u32_e32 v42, vcc_lo, s25, v6, vcc_lo
	;;#ASMSTART
	global_load_dwordx4 v[5:8], v[41:42] off glc	
s_waitcnt vmcnt(0)
	;;#ASMEND
	v_and_b32_e32 v8, 0xff, v6
	v_and_b32_e32 v54, 0xff00, v6
	;; [unrolled: 1-line block ×3, first 2 shown]
	v_or3_b32 v5, v5, 0, 0
	v_and_b32_e32 v6, 0xff000000, v6
	s_delay_alu instid0(VALU_DEP_4) | instskip(SKIP_1) | instid1(VALU_DEP_4)
	v_or3_b32 v8, 0, v8, v54
	v_and_b32_e32 v54, 0xff, v7
	v_or3_b32 v5, v5, 0, 0
	s_delay_alu instid0(VALU_DEP_3) | instskip(NEXT) | instid1(VALU_DEP_3)
	v_or3_b32 v6, v8, v55, v6
	v_cmpx_eq_u16_e32 0, v54
	s_cbranch_execz .LBB1037_106
; %bb.109:                              ;   in Loop: Header=BB1037_107 Depth=1
	s_mov_b32 s20, 1
	s_mov_b32 s19, 0
	.p2align	6
.LBB1037_110:                           ;   Parent Loop BB1037_107 Depth=1
                                        ; =>  This Loop Header: Depth=2
                                        ;       Child Loop BB1037_111 Depth 3
	s_max_u32 s21, s20, 1
.LBB1037_111:                           ;   Parent Loop BB1037_107 Depth=1
                                        ;     Parent Loop BB1037_110 Depth=2
                                        ; =>    This Inner Loop Header: Depth=3
	s_delay_alu instid0(SALU_CYCLE_1)
	s_add_i32 s21, s21, -1
	s_sleep 1
	s_cmp_eq_u32 s21, 0
	s_cbranch_scc0 .LBB1037_111
; %bb.112:                              ;   in Loop: Header=BB1037_110 Depth=2
	;;#ASMSTART
	global_load_dwordx4 v[5:8], v[41:42] off glc	
s_waitcnt vmcnt(0)
	;;#ASMEND
	v_and_b32_e32 v8, 0xff, v7
	s_cmp_lt_u32 s20, 32
	s_cselect_b32 s21, -1, 0
	s_delay_alu instid0(SALU_CYCLE_1) | instskip(NEXT) | instid1(VALU_DEP_1)
	s_cmp_lg_u32 s21, 0
	v_cmp_ne_u16_e32 vcc_lo, 0, v8
	s_addc_u32 s20, s20, 0
	s_or_b32 s19, vcc_lo, s19
	s_delay_alu instid0(SALU_CYCLE_1)
	s_and_not1_b32 exec_lo, exec_lo, s19
	s_cbranch_execnz .LBB1037_110
; %bb.113:                              ;   in Loop: Header=BB1037_107 Depth=1
	s_or_b32 exec_lo, exec_lo, s19
	s_branch .LBB1037_106
.LBB1037_114:                           ;   in Loop: Header=BB1037_107 Depth=1
                                        ; implicit-def: $vgpr6
                                        ; implicit-def: $vgpr5
                                        ; implicit-def: $vgpr7
	s_cbranch_execz .LBB1037_107
; %bb.115:
	s_and_saveexec_b32 s15, s14
	s_cbranch_execz .LBB1037_117
; %bb.116:
	v_cmp_eq_u32_e32 vcc_lo, 0, v1
	s_mov_b32 s21, 0
	s_add_i32 s20, s44, 32
	v_add_nc_u32_e32 v5, v3, v1
	s_lshl_b64 s[20:21], s[20:21], 4
	v_cndmask_b32_e32 v2, 0, v4, vcc_lo
	s_add_u32 s20, s24, s20
	s_addc_u32 s21, s25, s21
	v_mov_b32_e32 v8, 0
	s_delay_alu instid0(VALU_DEP_2) | instskip(NEXT) | instid1(VALU_DEP_1)
	v_add_nc_u32_e32 v2, s18, v2
	v_and_b32_e32 v6, 0xff000000, v2
	v_and_b32_e32 v7, 0xff0000, v2
	s_delay_alu instid0(VALU_DEP_1) | instskip(SKIP_3) | instid1(VALU_DEP_1)
	v_or_b32_e32 v6, v7, v6
	v_mov_b32_e32 v7, 2
	v_and_b32_e32 v39, 0xff00, v2
	v_and_b32_e32 v2, 0xff, v2
	v_or3_b32 v6, v6, v39, v2
	v_mov_b32_e32 v2, s18
	v_dual_mov_b32 v40, s21 :: v_dual_mov_b32 v39, s20
	;;#ASMSTART
	global_store_dwordx4 v[39:40], v[5:8] off	
s_waitcnt vmcnt(0)
	;;#ASMEND
	ds_store_b128 v8, v[1:4] offset:2048
.LBB1037_117:
	s_or_b32 exec_lo, exec_lo, s15
	s_delay_alu instid0(SALU_CYCLE_1)
	s_and_b32 exec_lo, exec_lo, s2
	s_cbranch_execz .LBB1037_119
; %bb.118:
	v_mov_b32_e32 v1, 0
	ds_store_b64 v1, v[3:4] offset:2120
.LBB1037_119:
	s_or_b32 exec_lo, exec_lo, s17
	s_waitcnt lgkmcnt(1)
	v_cndmask_b32_e64 v4, v43, v37, s14
	s_waitcnt lgkmcnt(0)
	s_barrier
	buffer_gl0_inv
	v_cndmask_b32_e64 v5, v44, v38, s14
	v_cmp_eq_u32_e32 vcc_lo, 0, v4
	v_mov_b32_e32 v3, 0
	ds_load_b64 v[1:2], v3 offset:2120
	s_waitcnt lgkmcnt(0)
	s_barrier
	buffer_gl0_inv
	v_cndmask_b32_e32 v6, 0, v2, vcc_lo
	v_cmp_eq_u32_e32 vcc_lo, 0, v79
	s_delay_alu instid0(VALU_DEP_2) | instskip(NEXT) | instid1(VALU_DEP_1)
	v_add_nc_u32_e32 v5, v6, v5
	v_cndmask_b32_e64 v54, v5, v2, s2
	s_delay_alu instid0(VALU_DEP_1) | instskip(NEXT) | instid1(VALU_DEP_1)
	v_cndmask_b32_e32 v2, 0, v54, vcc_lo
	v_add_nc_u32_e32 v60, v2, v35
	s_delay_alu instid0(VALU_DEP_1) | instskip(NEXT) | instid1(VALU_DEP_1)
	v_cndmask_b32_e64 v2, 0, v60, s13
	v_add_nc_u32_e32 v56, v2, v36
	s_delay_alu instid0(VALU_DEP_1) | instskip(NEXT) | instid1(VALU_DEP_1)
	v_cndmask_b32_e64 v2, 0, v56, s12
	;; [unrolled: 3-line block ×5, first 2 shown]
	v_add_nc_u32_e32 v40, v2, v32
	v_cndmask_b32_e64 v2, v4, 0, s2
	s_delay_alu instid0(VALU_DEP_2) | instskip(NEXT) | instid1(VALU_DEP_2)
	v_cndmask_b32_e64 v4, 0, v40, s8
	v_add_nc_u32_e32 v53, v1, v2
	s_delay_alu instid0(VALU_DEP_2) | instskip(NEXT) | instid1(VALU_DEP_1)
	v_add_nc_u32_e32 v44, v4, v29
	v_cndmask_b32_e64 v1, 0, v44, s7
	s_delay_alu instid0(VALU_DEP_1) | instskip(NEXT) | instid1(VALU_DEP_1)
	v_add_nc_u32_e32 v48, v1, v30
	v_cndmask_b32_e64 v1, 0, v48, s6
	s_delay_alu instid0(VALU_DEP_1) | instskip(NEXT) | instid1(VALU_DEP_1)
	v_add_nc_u32_e32 v6, v1, v27
	v_cndmask_b32_e64 v1, 0, v6, s5
	s_delay_alu instid0(VALU_DEP_1) | instskip(NEXT) | instid1(VALU_DEP_1)
	v_add_nc_u32_e32 v8, v1, v28
	v_cndmask_b32_e64 v1, 0, v8, s4
	s_delay_alu instid0(VALU_DEP_1) | instskip(SKIP_2) | instid1(VALU_DEP_1)
	v_add_nc_u32_e32 v38, v1, v25
	ds_load_b128 v[1:4], v3 offset:2048
	v_cndmask_b32_e64 v37, 0, v38, s3
	v_add_nc_u32_e32 v62, v37, v26
	s_delay_alu instid0(VALU_DEP_1) | instskip(NEXT) | instid1(VALU_DEP_1)
	v_cndmask_b32_e64 v49, 0, v62, s1
	v_add_nc_u32_e32 v58, v49, v23
	s_waitcnt lgkmcnt(0)
	v_cmp_eq_u32_e32 vcc_lo, 0, v1
	s_delay_alu instid0(VALU_DEP_2) | instskip(SKIP_1) | instid1(VALU_DEP_2)
	v_cndmask_b32_e64 v50, 0, v58, s0
	v_dual_cndmask_b32 v4, 0, v4 :: v_dual_add_nc_u32 v59, v53, v79
	v_add_nc_u32_e32 v50, v50, v24
	s_delay_alu instid0(VALU_DEP_2) | instskip(NEXT) | instid1(VALU_DEP_3)
	v_add_nc_u32_e32 v80, v4, v2
	v_add_nc_u32_e32 v55, v59, v77
	s_delay_alu instid0(VALU_DEP_1) | instskip(NEXT) | instid1(VALU_DEP_1)
	v_add_nc_u32_e32 v51, v55, v76
	v_add_nc_u32_e32 v45, v51, v75
	s_delay_alu instid0(VALU_DEP_1) | instskip(NEXT) | instid1(VALU_DEP_1)
	;; [unrolled: 3-line block ×6, first 2 shown]
	v_add_nc_u32_e32 v57, v61, v65
	v_add_nc_u32_e32 v49, v57, v64
	s_branch .LBB1037_132
.LBB1037_120:
                                        ; implicit-def: $vgpr1
                                        ; implicit-def: $vgpr80
                                        ; implicit-def: $vgpr53_vgpr54
                                        ; implicit-def: $vgpr59_vgpr60
                                        ; implicit-def: $vgpr55_vgpr56
                                        ; implicit-def: $vgpr51_vgpr52
                                        ; implicit-def: $vgpr45_vgpr46
                                        ; implicit-def: $vgpr41_vgpr42
                                        ; implicit-def: $vgpr39_vgpr40
                                        ; implicit-def: $vgpr43_vgpr44
                                        ; implicit-def: $vgpr47_vgpr48
                                        ; implicit-def: $vgpr5_vgpr6
                                        ; implicit-def: $vgpr7_vgpr8
                                        ; implicit-def: $vgpr37_vgpr38
                                        ; implicit-def: $vgpr61_vgpr62
                                        ; implicit-def: $vgpr57_vgpr58
                                        ; implicit-def: $vgpr49_vgpr50
	s_cbranch_execz .LBB1037_132
; %bb.121:
	s_and_b32 s0, s16, exec_lo
	v_mov_b32_e32 v49, v35
	s_cselect_b32 s1, 0, s35
	s_cselect_b32 s0, 0, s34
	s_delay_alu instid0(SALU_CYCLE_1)
	s_cmp_eq_u64 s[0:1], 0
	s_cbranch_scc1 .LBB1037_123
; %bb.122:
	v_mov_b32_e32 v1, 0
	global_load_b32 v49, v1, s[0:1]
.LBB1037_123:
	v_cmp_eq_u32_e64 s7, 0, v77
	v_cmp_eq_u32_e64 s8, 0, v76
	;; [unrolled: 1-line block ×5, first 2 shown]
	v_cndmask_b32_e64 v1, 0, v35, s7
	v_cmp_eq_u32_e64 s12, 0, v72
	v_cmp_eq_u32_e64 s6, 0, v70
	;; [unrolled: 1-line block ×4, first 2 shown]
	v_add_nc_u32_e32 v1, v1, v36
	v_cmp_eq_u32_e64 s3, 0, v67
	v_add3_u32 v2, v84, v73, v72
	v_cmp_eq_u32_e64 s1, 0, v66
	v_cmp_eq_u32_e32 vcc_lo, 0, v65
	v_cndmask_b32_e64 v1, 0, v1, s8
	v_cmp_eq_u32_e64 s0, 0, v64
	v_add3_u32 v2, v2, v70, v69
	v_cmp_eq_u32_e64 s13, 0, v71
	v_and_b32_e32 v4, 15, v81
	v_add_nc_u32_e32 v1, v1, v33
	s_delay_alu instid0(VALU_DEP_4) | instskip(NEXT) | instid1(VALU_DEP_3)
	v_add3_u32 v2, v2, v68, v67
	v_cmp_lt_u32_e64 s14, 1, v4
	s_delay_alu instid0(VALU_DEP_3) | instskip(NEXT) | instid1(VALU_DEP_3)
	v_cndmask_b32_e64 v1, 0, v1, s9
	v_add3_u32 v2, v2, v66, v65
	s_delay_alu instid0(VALU_DEP_2) | instskip(NEXT) | instid1(VALU_DEP_2)
	v_add_nc_u32_e32 v1, v1, v34
	v_add3_u32 v2, v2, v64, v71
	s_delay_alu instid0(VALU_DEP_2) | instskip(NEXT) | instid1(VALU_DEP_2)
	v_cndmask_b32_e64 v1, 0, v1, s10
	v_mov_b32_dpp v5, v2 row_shr:1 row_mask:0xf bank_mask:0xf
	s_delay_alu instid0(VALU_DEP_2) | instskip(NEXT) | instid1(VALU_DEP_1)
	v_add_nc_u32_e32 v1, v1, v31
	v_cndmask_b32_e64 v1, 0, v1, s11
	s_delay_alu instid0(VALU_DEP_1) | instskip(NEXT) | instid1(VALU_DEP_1)
	v_add_nc_u32_e32 v1, v1, v32
	v_cndmask_b32_e64 v1, 0, v1, s12
	s_delay_alu instid0(VALU_DEP_1) | instskip(NEXT) | instid1(VALU_DEP_1)
	;; [unrolled: 3-line block ×7, first 2 shown]
	v_add_nc_u32_e32 v1, v1, v26
	v_cndmask_b32_e32 v1, 0, v1, vcc_lo
	s_delay_alu instid0(VALU_DEP_1) | instskip(NEXT) | instid1(VALU_DEP_1)
	v_add_nc_u32_e32 v1, v1, v23
	v_cndmask_b32_e64 v1, 0, v1, s0
	s_delay_alu instid0(VALU_DEP_1) | instskip(NEXT) | instid1(VALU_DEP_1)
	v_add_nc_u32_e32 v1, v1, v24
	v_cndmask_b32_e64 v1, 0, v1, s13
	v_cmp_eq_u32_e64 s13, 0, v2
	s_delay_alu instid0(VALU_DEP_2) | instskip(NEXT) | instid1(VALU_DEP_1)
	v_add_nc_u32_e32 v1, v1, v78
	v_mov_b32_dpp v3, v1 row_shr:1 row_mask:0xf bank_mask:0xf
	s_delay_alu instid0(VALU_DEP_1) | instskip(SKIP_1) | instid1(VALU_DEP_1)
	v_cndmask_b32_e64 v3, 0, v3, s13
	v_cmp_eq_u32_e64 s13, 0, v4
	v_cndmask_b32_e64 v5, v5, 0, s13
	s_delay_alu instid0(VALU_DEP_3) | instskip(NEXT) | instid1(VALU_DEP_2)
	v_cndmask_b32_e64 v3, v3, 0, s13
	v_add_nc_u32_e32 v2, v5, v2
	s_delay_alu instid0(VALU_DEP_2) | instskip(NEXT) | instid1(VALU_DEP_2)
	v_add_nc_u32_e32 v1, v3, v1
	v_mov_b32_dpp v3, v2 row_shr:2 row_mask:0xf bank_mask:0xf
	v_cmp_eq_u32_e64 s13, 0, v2
	s_delay_alu instid0(VALU_DEP_3) | instskip(NEXT) | instid1(VALU_DEP_3)
	v_mov_b32_dpp v5, v1 row_shr:2 row_mask:0xf bank_mask:0xf
	v_cndmask_b32_e64 v3, 0, v3, s14
	s_delay_alu instid0(VALU_DEP_3) | instskip(SKIP_1) | instid1(VALU_DEP_3)
	s_and_b32 s13, s14, s13
	v_cmp_lt_u32_e64 s14, 3, v4
	v_cndmask_b32_e64 v5, 0, v5, s13
	s_delay_alu instid0(VALU_DEP_3) | instskip(NEXT) | instid1(VALU_DEP_2)
	v_add_nc_u32_e32 v2, v2, v3
	v_add_nc_u32_e32 v1, v5, v1
	s_delay_alu instid0(VALU_DEP_2) | instskip(SKIP_1) | instid1(VALU_DEP_3)
	v_mov_b32_dpp v3, v2 row_shr:4 row_mask:0xf bank_mask:0xf
	v_cmp_eq_u32_e64 s13, 0, v2
	v_mov_b32_dpp v5, v1 row_shr:4 row_mask:0xf bank_mask:0xf
	s_delay_alu instid0(VALU_DEP_3) | instskip(NEXT) | instid1(VALU_DEP_3)
	v_cndmask_b32_e64 v3, 0, v3, s14
	s_and_b32 s13, s14, s13
	v_cmp_lt_u32_e64 s14, 7, v4
	s_delay_alu instid0(VALU_DEP_3) | instskip(NEXT) | instid1(VALU_DEP_3)
	v_cndmask_b32_e64 v5, 0, v5, s13
	v_add_nc_u32_e32 v2, v3, v2
	s_delay_alu instid0(VALU_DEP_2) | instskip(SKIP_1) | instid1(VALU_DEP_3)
	v_add_nc_u32_e32 v1, v1, v5
	v_bfe_i32 v5, v81, 4, 1
	v_cmp_eq_u32_e64 s13, 0, v2
	v_mov_b32_dpp v3, v2 row_shr:8 row_mask:0xf bank_mask:0xf
	s_delay_alu instid0(VALU_DEP_4) | instskip(NEXT) | instid1(VALU_DEP_3)
	v_mov_b32_dpp v4, v1 row_shr:8 row_mask:0xf bank_mask:0xf
	s_and_b32 s13, s14, s13
	s_delay_alu instid0(VALU_DEP_2) | instskip(SKIP_1) | instid1(VALU_DEP_2)
	v_cndmask_b32_e64 v3, 0, v3, s14
	s_mov_b32 s14, exec_lo
	v_cndmask_b32_e64 v4, 0, v4, s13
	s_delay_alu instid0(VALU_DEP_1) | instskip(NEXT) | instid1(VALU_DEP_3)
	v_add_nc_u32_e32 v4, v4, v1
	v_add_nc_u32_e32 v1, v3, v2
	ds_swizzle_b32 v2, v4 offset:swizzle(BROADCAST,32,15)
	ds_swizzle_b32 v3, v1 offset:swizzle(BROADCAST,32,15)
	v_cmp_eq_u32_e64 s13, 0, v1
	s_waitcnt lgkmcnt(1)
	s_delay_alu instid0(VALU_DEP_1) | instskip(SKIP_2) | instid1(VALU_DEP_2)
	v_cndmask_b32_e64 v2, 0, v2, s13
	s_waitcnt lgkmcnt(0)
	v_and_b32_e32 v3, v5, v3
	v_and_b32_e32 v2, v5, v2
	s_delay_alu instid0(VALU_DEP_2) | instskip(NEXT) | instid1(VALU_DEP_2)
	v_add_nc_u32_e32 v1, v3, v1
	v_add_nc_u32_e32 v2, v2, v4
	v_cmpx_eq_u32_e64 v83, v0
	s_cbranch_execz .LBB1037_125
; %bb.124:
	v_lshlrev_b32_e32 v3, 3, v82
	ds_store_b64 v3, v[1:2] offset:2064
.LBB1037_125:
	s_or_b32 exec_lo, exec_lo, s14
	s_delay_alu instid0(SALU_CYCLE_1)
	s_mov_b32 s15, exec_lo
	s_waitcnt vmcnt(0) lgkmcnt(0)
	s_barrier
	buffer_gl0_inv
	v_cmpx_gt_u32_e32 8, v0
	s_cbranch_execz .LBB1037_127
; %bb.126:
	v_lshlrev_b32_e32 v5, 3, v0
	v_and_b32_e32 v7, 7, v81
	ds_load_b64 v[3:4], v5 offset:2064
	v_cmp_lt_u32_e64 s14, 1, v7
	s_waitcnt lgkmcnt(0)
	v_mov_b32_dpp v6, v4 row_shr:1 row_mask:0xf bank_mask:0xf
	v_cmp_eq_u32_e64 s13, 0, v3
	v_mov_b32_dpp v8, v3 row_shr:1 row_mask:0xf bank_mask:0xf
	s_delay_alu instid0(VALU_DEP_2) | instskip(SKIP_1) | instid1(VALU_DEP_1)
	v_cndmask_b32_e64 v6, 0, v6, s13
	v_cmp_eq_u32_e64 s13, 0, v7
	v_cndmask_b32_e64 v8, v8, 0, s13
	s_delay_alu instid0(VALU_DEP_3) | instskip(NEXT) | instid1(VALU_DEP_2)
	v_cndmask_b32_e64 v6, v6, 0, s13
	v_add_nc_u32_e32 v3, v8, v3
	s_delay_alu instid0(VALU_DEP_2) | instskip(NEXT) | instid1(VALU_DEP_2)
	v_add_nc_u32_e32 v4, v6, v4
	v_mov_b32_dpp v6, v3 row_shr:2 row_mask:0xf bank_mask:0xf
	v_cmp_eq_u32_e64 s13, 0, v3
	s_delay_alu instid0(VALU_DEP_3) | instskip(NEXT) | instid1(VALU_DEP_3)
	v_mov_b32_dpp v8, v4 row_shr:2 row_mask:0xf bank_mask:0xf
	v_cndmask_b32_e64 v6, 0, v6, s14
	s_delay_alu instid0(VALU_DEP_3) | instskip(SKIP_1) | instid1(VALU_DEP_3)
	s_and_b32 s13, s14, s13
	v_cmp_lt_u32_e64 s14, 3, v7
	v_cndmask_b32_e64 v8, 0, v8, s13
	s_delay_alu instid0(VALU_DEP_3) | instskip(NEXT) | instid1(VALU_DEP_2)
	v_add_nc_u32_e32 v3, v6, v3
	v_add_nc_u32_e32 v4, v8, v4
	s_delay_alu instid0(VALU_DEP_2) | instskip(SKIP_1) | instid1(VALU_DEP_3)
	v_cmp_eq_u32_e64 s13, 0, v3
	v_mov_b32_dpp v6, v3 row_shr:4 row_mask:0xf bank_mask:0xf
	v_mov_b32_dpp v7, v4 row_shr:4 row_mask:0xf bank_mask:0xf
	s_delay_alu instid0(VALU_DEP_3) | instskip(NEXT) | instid1(VALU_DEP_2)
	s_and_b32 s13, s14, s13
	v_cndmask_b32_e64 v6, 0, v6, s14
	s_delay_alu instid0(VALU_DEP_2) | instskip(NEXT) | instid1(VALU_DEP_2)
	v_cndmask_b32_e64 v7, 0, v7, s13
	v_add_nc_u32_e32 v3, v6, v3
	s_delay_alu instid0(VALU_DEP_2)
	v_add_nc_u32_e32 v4, v7, v4
	ds_store_b64 v5, v[3:4] offset:2064
.LBB1037_127:
	s_or_b32 exec_lo, exec_lo, s15
	v_dual_mov_b32 v7, 0 :: v_dual_mov_b32 v4, v49
	v_mov_b32_e32 v3, 0
	s_mov_b32 s14, exec_lo
	s_waitcnt lgkmcnt(0)
	s_barrier
	buffer_gl0_inv
	v_cmpx_lt_u32_e32 31, v0
	s_cbranch_execz .LBB1037_129
; %bb.128:
	v_lshlrev_b32_e32 v3, 3, v82
	ds_load_b64 v[3:4], v3 offset:2056
	s_waitcnt lgkmcnt(0)
	v_cmp_eq_u32_e64 s13, 0, v3
	s_delay_alu instid0(VALU_DEP_1) | instskip(NEXT) | instid1(VALU_DEP_1)
	v_cndmask_b32_e64 v5, 0, v49, s13
	v_add_nc_u32_e32 v4, v5, v4
.LBB1037_129:
	s_or_b32 exec_lo, exec_lo, s14
	v_add_nc_u32_e32 v5, -1, v81
	s_delay_alu instid0(VALU_DEP_1) | instskip(NEXT) | instid1(VALU_DEP_1)
	v_cmp_gt_i32_e64 s13, 0, v5
	v_cndmask_b32_e64 v5, v5, v81, s13
	v_cmp_eq_u32_e64 s13, 0, v1
	v_add_nc_u32_e32 v1, v3, v1
	s_delay_alu instid0(VALU_DEP_3) | instskip(NEXT) | instid1(VALU_DEP_3)
	v_lshlrev_b32_e32 v5, 2, v5
	v_cndmask_b32_e64 v6, 0, v4, s13
	v_cmp_eq_u32_e64 s13, 0, v81
	ds_bpermute_b32 v1, v5, v1
	v_add_nc_u32_e32 v2, v6, v2
	ds_bpermute_b32 v2, v5, v2
	s_waitcnt lgkmcnt(1)
	v_cndmask_b32_e64 v1, v1, v3, s13
	s_delay_alu instid0(VALU_DEP_1) | instskip(SKIP_3) | instid1(VALU_DEP_2)
	v_cndmask_b32_e64 v53, v1, 0, s2
	s_waitcnt lgkmcnt(0)
	v_cndmask_b32_e64 v2, v2, v4, s13
	v_cmp_eq_u32_e64 s13, 0, v79
	v_cndmask_b32_e64 v54, v2, v49, s2
	s_delay_alu instid0(VALU_DEP_1) | instskip(NEXT) | instid1(VALU_DEP_1)
	v_cndmask_b32_e64 v2, 0, v54, s13
	v_add_nc_u32_e32 v60, v2, v35
	s_delay_alu instid0(VALU_DEP_1) | instskip(NEXT) | instid1(VALU_DEP_1)
	v_cndmask_b32_e64 v2, 0, v60, s7
	v_add_nc_u32_e32 v56, v2, v36
	;; [unrolled: 3-line block ×11, first 2 shown]
	ds_load_b64 v[1:2], v7 offset:2120
	v_cndmask_b32_e64 v3, 0, v38, s1
	s_delay_alu instid0(VALU_DEP_1) | instskip(NEXT) | instid1(VALU_DEP_1)
	v_add_nc_u32_e32 v62, v3, v26
	v_cndmask_b32_e32 v3, 0, v62, vcc_lo
	s_delay_alu instid0(VALU_DEP_1) | instskip(SKIP_3) | instid1(VALU_DEP_3)
	v_add_nc_u32_e32 v58, v3, v23
	s_waitcnt lgkmcnt(0)
	v_cmp_eq_u32_e32 vcc_lo, 0, v1
	v_add_nc_u32_e32 v59, v53, v79
	v_cndmask_b32_e64 v3, 0, v58, s0
	v_cndmask_b32_e32 v4, 0, v49, vcc_lo
	s_delay_alu instid0(VALU_DEP_3) | instskip(NEXT) | instid1(VALU_DEP_3)
	v_add_nc_u32_e32 v55, v59, v77
	v_add_nc_u32_e32 v50, v3, v24
	s_delay_alu instid0(VALU_DEP_3) | instskip(NEXT) | instid1(VALU_DEP_3)
	v_add_nc_u32_e32 v80, v4, v2
	v_add_nc_u32_e32 v51, v55, v76
	s_delay_alu instid0(VALU_DEP_1) | instskip(NEXT) | instid1(VALU_DEP_1)
	v_add_nc_u32_e32 v45, v51, v75
	v_add_nc_u32_e32 v41, v45, v74
	s_delay_alu instid0(VALU_DEP_1) | instskip(NEXT) | instid1(VALU_DEP_1)
	;; [unrolled: 3-line block ×5, first 2 shown]
	v_add_nc_u32_e32 v61, v37, v66
	v_add_nc_u32_e32 v57, v61, v65
	s_delay_alu instid0(VALU_DEP_1)
	v_add_nc_u32_e32 v49, v57, v64
	s_and_saveexec_b32 s0, s2
	s_cbranch_execz .LBB1037_131
; %bb.130:
	v_and_b32_e32 v2, 0xff000000, v80
	v_dual_mov_b32 v4, 0 :: v_dual_and_b32 v3, 0xff0000, v80
	s_add_u32 s4, s24, 0x200
	v_and_b32_e32 v23, 0xff00, v80
	s_addc_u32 s5, s25, 0
	v_and_b32_e32 v24, 0xff, v80
	v_or_b32_e32 v2, v3, v2
	v_mov_b32_e32 v3, 2
	s_delay_alu instid0(VALU_DEP_2)
	v_or3_b32 v2, v2, v23, v24
	v_dual_mov_b32 v24, s5 :: v_dual_mov_b32 v23, s4
	;;#ASMSTART
	global_store_dwordx4 v[23:24], v[1:4] off	
s_waitcnt vmcnt(0)
	;;#ASMEND
.LBB1037_131:
	s_or_b32 exec_lo, exec_lo, s0
	v_mov_b32_e32 v3, 0
.LBB1037_132:
	v_mov_b32_e32 v23, 0
	s_and_b32 s0, s16, exec_lo
	v_mov_b32_e32 v24, 0
	s_cselect_b32 s1, 0, s43
	s_cselect_b32 s0, 0, s42
	s_delay_alu instid0(SALU_CYCLE_1)
	s_cmp_eq_u64 s[0:1], 0
	s_barrier
	buffer_gl0_inv
	s_cbranch_scc1 .LBB1037_134
; %bb.133:
	v_mov_b32_e32 v2, 0
	global_load_b64 v[23:24], v2, s[0:1]
.LBB1037_134:
	v_cmp_gt_u32_e32 vcc_lo, 0x100, v1
	s_cbranch_vccnz .LBB1037_141
; %bb.135:
	v_cmp_eq_u32_e32 vcc_lo, 0, v77
	v_cmp_eq_u32_e64 s0, 0, v65
	v_cmp_eq_u32_e64 s1, 0, v64
	v_cmp_ne_u32_e64 s12, 0, v79
	v_cmp_ne_u32_e64 s3, 0, v66
	v_cndmask_b32_e64 v2, 1, 2, vcc_lo
	v_cmp_eq_u32_e32 vcc_lo, 0, v79
	v_cndmask_b32_e64 v26, 1, 2, s1
	v_cmp_ne_u32_e64 s1, 0, v65
	v_cmp_ne_u32_e64 s4, 0, v67
	;; [unrolled: 1-line block ×3, first 2 shown]
	v_cndmask_b32_e64 v4, 1, 2, vcc_lo
	v_cmp_eq_u32_e32 vcc_lo, 0, v76
	v_cmp_ne_u32_e64 s6, 0, v69
	v_cmp_ne_u32_e64 s7, 0, v70
	;; [unrolled: 1-line block ×3, first 2 shown]
	v_and_b32_e32 v2, v2, v4
	v_cndmask_b32_e64 v25, 1, 2, vcc_lo
	v_cmp_eq_u32_e32 vcc_lo, 0, v75
	v_cmp_ne_u32_e64 s9, 0, v73
	v_cmp_ne_u32_e64 s10, 0, v74
	;; [unrolled: 1-line block ×3, first 2 shown]
	v_and_b32_e32 v2, v2, v25
	v_cndmask_b32_e64 v4, 1, 2, vcc_lo
	v_cmp_eq_u32_e32 vcc_lo, 0, v74
	v_cmp_ne_u32_e64 s13, 0, v76
	v_cmp_ne_u32_e64 s14, 0, v77
	s_mov_b32 s17, 0
	v_and_b32_e32 v2, v2, v4
	v_cndmask_b32_e64 v25, 1, 2, vcc_lo
	v_cmp_eq_u32_e32 vcc_lo, 0, v73
	s_mov_b32 s16, exec_lo
	s_delay_alu instid0(VALU_DEP_2) | instskip(SKIP_2) | instid1(VALU_DEP_2)
	v_and_b32_e32 v2, v2, v25
	v_cndmask_b32_e64 v4, 1, 2, vcc_lo
	v_cmp_eq_u32_e32 vcc_lo, 0, v72
	v_and_b32_e32 v2, v2, v4
	v_cndmask_b32_e64 v25, 1, 2, vcc_lo
	v_cmp_eq_u32_e32 vcc_lo, 0, v70
	s_delay_alu instid0(VALU_DEP_2) | instskip(SKIP_2) | instid1(VALU_DEP_2)
	v_and_b32_e32 v2, v2, v25
	v_cndmask_b32_e64 v4, 1, 2, vcc_lo
	v_cmp_eq_u32_e32 vcc_lo, 0, v69
	v_and_b32_e32 v2, v2, v4
	v_cndmask_b32_e64 v25, 1, 2, vcc_lo
	v_cmp_eq_u32_e32 vcc_lo, 0, v68
	;; [unrolled: 7-line block ×3, first 2 shown]
	s_delay_alu instid0(VALU_DEP_2) | instskip(SKIP_4) | instid1(VALU_DEP_4)
	v_and_b32_e32 v2, v2, v25
	v_cndmask_b32_e64 v4, 1, 2, vcc_lo
	v_cndmask_b32_e64 v25, 1, 2, s0
	v_cmp_eq_u32_e64 s0, 0, v71
	v_cmp_ne_u32_e32 vcc_lo, 0, v71
	v_and_b32_e32 v2, v2, v4
	s_delay_alu instid0(VALU_DEP_3) | instskip(SKIP_1) | instid1(VALU_DEP_3)
	v_cndmask_b32_e64 v4, 1, 2, s0
	v_cmp_ne_u32_e64 s0, 0, v64
	v_and_b32_e32 v2, v2, v25
	s_delay_alu instid0(VALU_DEP_1) | instskip(NEXT) | instid1(VALU_DEP_1)
	v_and_b32_e32 v2, v2, v26
	v_and_b32_e32 v2, v2, v4
	s_delay_alu instid0(VALU_DEP_1)
	v_cmpx_gt_i16_e32 2, v2
	s_cbranch_execz .LBB1037_140
; %bb.136:
	v_cmp_ne_u16_e64 s15, 1, v2
	s_delay_alu instid0(VALU_DEP_1) | instskip(NEXT) | instid1(SALU_CYCLE_1)
	s_and_saveexec_b32 s18, s15
	s_xor_b32 s15, exec_lo, s18
	s_cbranch_execnz .LBB1037_163
; %bb.137:
	s_and_not1_saveexec_b32 s0, s15
	s_cbranch_execnz .LBB1037_179
.LBB1037_138:
	s_or_b32 exec_lo, exec_lo, s0
	s_delay_alu instid0(SALU_CYCLE_1)
	s_and_b32 exec_lo, exec_lo, s17
	s_cbranch_execz .LBB1037_140
.LBB1037_139:
	v_sub_nc_u32_e32 v2, v49, v3
	s_delay_alu instid0(VALU_DEP_1)
	v_lshlrev_b32_e32 v2, 2, v2
	ds_store_b32 v2, v63
.LBB1037_140:
	s_or_b32 exec_lo, exec_lo, s16
	s_waitcnt vmcnt(0) lgkmcnt(0)
	s_barrier
	buffer_gl0_inv
.LBB1037_141:
	s_cmpk_lg_i32 s31, 0xf00
	v_cndmask_b32_e64 v13, 0, 1, s33
	s_cselect_b32 s0, -1, 0
	v_mad_i32_i24 v10, v0, -15, s31
	s_and_b32 s0, s0, s30
	s_and_b32 s1, s2, s33
	v_cndmask_b32_e64 v9, 0, 1, s0
	s_mul_hi_u32 s0, s31, 0x88888889
	v_sub_nc_u32_e32 v2, v1, v13
	s_lshr_b32 s0, s0, 3
	v_cndmask_b32_e64 v11, v79, 0, s1
	v_cmp_eq_u32_e32 vcc_lo, s0, v0
	v_cmp_ne_u32_e64 s0, 0, v10
	s_mov_b32 s16, -1
	s_waitcnt vmcnt(0)
	s_barrier
	s_and_b32 vcc_lo, vcc_lo, s30
	v_add_nc_u32_e32 v2, v2, v9
	v_cndmask_b32_e64 v9, 1, v11, s0
	v_cmp_ne_u32_e64 s0, 1, v10
	buffer_gl0_inv
	v_cndmask_b32_e32 v18, v11, v9, vcc_lo
	v_cndmask_b32_e64 v12, 1, v77, s0
	v_cmp_ne_u32_e64 s0, 2, v10
	s_delay_alu instid0(VALU_DEP_2) | instskip(NEXT) | instid1(VALU_DEP_2)
	v_cndmask_b32_e32 v19, v77, v12, vcc_lo
	v_cndmask_b32_e64 v14, 1, v76, s0
	v_cmp_ne_u32_e64 s0, 14, v10
	s_delay_alu instid0(VALU_DEP_3) | instskip(NEXT) | instid1(VALU_DEP_2)
	v_cmp_ne_u32_e64 s13, 0, v19
	v_cndmask_b32_e64 v15, 1, v71, s0
	v_cmp_ne_u32_e64 s0, 3, v10
	s_delay_alu instid0(VALU_DEP_2) | instskip(NEXT) | instid1(VALU_DEP_2)
	v_dual_mov_b32 v4, 0 :: v_dual_cndmask_b32 v15, v71, v15
	v_cndmask_b32_e64 v16, 1, v75, s0
	v_cmp_ne_u32_e64 s0, 4, v10
	s_delay_alu instid0(VALU_DEP_1) | instskip(SKIP_1) | instid1(VALU_DEP_2)
	v_cndmask_b32_e64 v17, 1, v74, s0
	v_cmp_ne_u32_e64 s0, 5, v10
	v_dual_cndmask_b32 v14, v76, v14 :: v_dual_cndmask_b32 v17, v74, v17
	s_delay_alu instid0(VALU_DEP_2) | instskip(SKIP_2) | instid1(VALU_DEP_4)
	v_cndmask_b32_e64 v9, 1, v73, s0
	v_cmp_ne_u32_e64 s0, 6, v10
	v_cndmask_b32_e32 v16, v75, v16, vcc_lo
	v_cmp_ne_u32_e64 s12, 0, v14
	v_cmp_ne_u32_e64 s10, 0, v17
	v_cndmask_b32_e32 v27, v73, v9, vcc_lo
	v_cndmask_b32_e64 v11, 1, v72, s0
	v_cmp_eq_u32_e64 s0, 0, v18
	v_cmp_ne_u32_e64 s11, 0, v16
	s_delay_alu instid0(VALU_DEP_4) | instskip(NEXT) | instid1(VALU_DEP_3)
	v_cmp_ne_u32_e64 s9, 0, v27
	v_cndmask_b32_e64 v12, 1, 2, s0
	v_cmp_eq_u32_e64 s0, 0, v19
	s_delay_alu instid0(VALU_DEP_1) | instskip(SKIP_1) | instid1(VALU_DEP_1)
	v_cndmask_b32_e64 v20, 1, 2, s0
	v_cmp_ne_u32_e64 s0, 7, v10
	v_cndmask_b32_e64 v21, 1, v70, s0
	v_cmp_eq_u32_e64 s0, 0, v14
	s_delay_alu instid0(VALU_DEP_2) | instskip(NEXT) | instid1(VALU_DEP_2)
	v_dual_cndmask_b32 v21, v70, v21 :: v_dual_and_b32 v12, v20, v12
	v_cndmask_b32_e64 v20, 1, 2, s0
	v_cmp_ne_u32_e64 s0, 8, v10
	s_delay_alu instid0(VALU_DEP_3) | instskip(NEXT) | instid1(VALU_DEP_3)
	v_cmp_ne_u32_e64 s7, 0, v21
	v_and_b32_e32 v12, v12, v20
	s_delay_alu instid0(VALU_DEP_3) | instskip(SKIP_1) | instid1(VALU_DEP_2)
	v_cndmask_b32_e64 v22, 1, v69, s0
	v_cmp_ne_u32_e64 s0, 9, v10
	v_cndmask_b32_e32 v22, v69, v22, vcc_lo
	s_delay_alu instid0(VALU_DEP_2) | instskip(SKIP_1) | instid1(VALU_DEP_2)
	v_cndmask_b32_e64 v25, 1, v68, s0
	v_cmp_eq_u32_e64 s0, 0, v16
	v_cndmask_b32_e32 v25, v68, v25, vcc_lo
	s_delay_alu instid0(VALU_DEP_2) | instskip(SKIP_1) | instid1(VALU_DEP_3)
	v_cndmask_b32_e64 v20, 1, 2, s0
	v_cmp_ne_u32_e64 s0, 10, v10
	v_cmp_ne_u32_e64 s5, 0, v25
	s_delay_alu instid0(VALU_DEP_3) | instskip(NEXT) | instid1(VALU_DEP_3)
	v_and_b32_e32 v9, v12, v20
	v_cndmask_b32_e64 v26, 1, v67, s0
	v_cmp_eq_u32_e64 s0, 0, v17
	v_cmp_ne_u32_e64 s14, 0, v18
	s_delay_alu instid0(VALU_DEP_3) | instskip(NEXT) | instid1(VALU_DEP_3)
	v_cndmask_b32_e32 v26, v67, v26, vcc_lo
	v_cndmask_b32_e64 v12, 1, 2, s0
	v_cmp_ne_u32_e64 s0, 11, v10
	s_delay_alu instid0(VALU_DEP_3) | instskip(NEXT) | instid1(VALU_DEP_3)
	v_cmp_ne_u32_e64 s4, 0, v26
	v_and_b32_e32 v9, v9, v12
	s_delay_alu instid0(VALU_DEP_3) | instskip(SKIP_1) | instid1(VALU_DEP_2)
	v_cndmask_b32_e64 v20, 1, v66, s0
	v_cmp_ne_u32_e64 s0, 13, v10
	v_cndmask_b32_e32 v20, v66, v20, vcc_lo
	s_delay_alu instid0(VALU_DEP_2) | instskip(SKIP_1) | instid1(VALU_DEP_3)
	v_cndmask_b32_e64 v28, 1, v64, s0
	v_cmp_eq_u32_e64 s0, 0, v27
	v_cmp_ne_u32_e64 s3, 0, v20
	s_delay_alu instid0(VALU_DEP_2) | instskip(SKIP_1) | instid1(VALU_DEP_2)
	v_cndmask_b32_e64 v12, 1, 2, s0
	v_cmp_ne_u32_e64 s0, 12, v10
	v_and_b32_e32 v9, v9, v12
	s_delay_alu instid0(VALU_DEP_2) | instskip(NEXT) | instid1(VALU_DEP_1)
	v_cndmask_b32_e64 v10, 1, v65, s0
	v_dual_cndmask_b32 v29, v72, v11 :: v_dual_cndmask_b32 v30, v65, v10
	s_delay_alu instid0(VALU_DEP_1) | instskip(SKIP_1) | instid1(VALU_DEP_3)
	v_cmp_eq_u32_e64 s0, 0, v29
	v_cmp_ne_u32_e64 s8, 0, v29
	v_cmp_ne_u32_e64 s2, 0, v30
	s_delay_alu instid0(VALU_DEP_3) | instskip(SKIP_3) | instid1(VALU_DEP_4)
	v_cndmask_b32_e64 v11, 1, 2, s0
	v_cmp_eq_u32_e64 s0, 0, v21
	v_cndmask_b32_e32 v28, v64, v28, vcc_lo
	v_cmp_eq_u32_e32 vcc_lo, 0, v22
	v_and_b32_e32 v31, v9, v11
	v_lshlrev_b64 v[9:10], 2, v[23:24]
	v_cndmask_b32_e64 v32, 1, 2, s0
	v_lshlrev_b64 v[11:12], 2, v[3:4]
	v_cmp_ne_u32_e64 s1, 0, v28
	v_cmp_ne_u32_e64 s0, 0, v15
	s_delay_alu instid0(VALU_DEP_4) | instskip(SKIP_4) | instid1(VALU_DEP_4)
	v_and_b32_e32 v4, v31, v32
	v_cndmask_b32_e64 v31, 1, 2, vcc_lo
	v_add_co_u32 v9, vcc_lo, s36, v9
	v_add_co_ci_u32_e32 v10, vcc_lo, s37, v10, vcc_lo
	v_cmp_eq_u32_e32 vcc_lo, 0, v25
	v_and_b32_e32 v4, v4, v31
	v_cndmask_b32_e64 v31, 1, 2, vcc_lo
	v_add_co_u32 v9, vcc_lo, v9, v11
	v_add_co_ci_u32_e32 v10, vcc_lo, v10, v12, vcc_lo
	v_lshlrev_b32_e32 v11, 2, v13
	v_cmp_eq_u32_e32 vcc_lo, 0, v26
	v_and_b32_e32 v4, v4, v31
	v_cmp_ne_u32_e64 s6, 0, v22
	v_cndmask_b32_e64 v12, 1, 2, vcc_lo
	v_add_co_u32 v11, vcc_lo, v11, v9
	v_add_co_ci_u32_e32 v31, vcc_lo, 0, v10, vcc_lo
	v_cmp_eq_u32_e32 vcc_lo, 0, v20
	s_delay_alu instid0(VALU_DEP_4)
	v_and_b32_e32 v32, v4, v12
	v_add_nc_u32_e32 v4, v3, v13
	v_cndmask_b32_e64 v33, 1, 2, vcc_lo
	v_add_co_u32 v11, vcc_lo, v11, -4
	v_add_co_ci_u32_e32 v12, vcc_lo, -1, v31, vcc_lo
	v_cmp_eq_u32_e32 vcc_lo, 0, v30
	s_delay_alu instid0(VALU_DEP_4) | instskip(SKIP_2) | instid1(VALU_DEP_2)
	v_and_b32_e32 v13, v32, v33
	v_cndmask_b32_e64 v31, 1, 2, vcc_lo
	v_cmp_eq_u32_e32 vcc_lo, 0, v28
	v_and_b32_e32 v13, v13, v31
	v_cndmask_b32_e64 v14, 1, 2, vcc_lo
	v_cmp_eq_u32_e32 vcc_lo, 0, v15
	s_delay_alu instid0(VALU_DEP_2) | instskip(SKIP_2) | instid1(VALU_DEP_2)
	v_and_b32_e32 v13, v13, v14
	v_cndmask_b32_e64 v14, 1, 2, vcc_lo
	v_cmp_gt_u32_e32 vcc_lo, 0x100, v2
	v_and_b32_e32 v13, v13, v14
	s_delay_alu instid0(VALU_DEP_1)
	v_cmp_gt_i16_e64 s15, 2, v13
	s_cbranch_vccnz .LBB1037_145
; %bb.142:
	s_and_b32 vcc_lo, exec_lo, s16
	s_cbranch_vccnz .LBB1037_151
.LBB1037_143:
	v_cmp_eq_u32_e32 vcc_lo, 0xff, v0
	s_and_b32 s0, vcc_lo, s30
	s_delay_alu instid0(SALU_CYCLE_1)
	s_and_saveexec_b32 s1, s0
	s_cbranch_execnz .LBB1037_160
.LBB1037_144:
	s_nop 0
	s_sendmsg sendmsg(MSG_DEALLOC_VGPRS)
	s_endpgm
.LBB1037_145:
	s_delay_alu instid0(VALU_DEP_1)
	s_and_saveexec_b32 s16, s15
	s_cbranch_execz .LBB1037_150
; %bb.146:
	s_mov_b32 s17, 0
	s_mov_b32 s15, exec_lo
	v_cmpx_ne_u16_e32 1, v13
	s_xor_b32 s15, exec_lo, s15
	s_cbranch_execnz .LBB1037_180
; %bb.147:
	s_and_not1_saveexec_b32 s15, s15
	s_cbranch_execnz .LBB1037_196
.LBB1037_148:
	s_or_b32 exec_lo, exec_lo, s15
	s_delay_alu instid0(SALU_CYCLE_1)
	s_and_b32 exec_lo, exec_lo, s17
	s_cbranch_execz .LBB1037_150
.LBB1037_149:
	v_sub_nc_u32_e32 v14, v49, v4
	v_mov_b32_e32 v15, 0
	s_delay_alu instid0(VALU_DEP_1) | instskip(NEXT) | instid1(VALU_DEP_1)
	v_lshlrev_b64 v[14:15], 2, v[14:15]
	v_add_co_u32 v14, vcc_lo, v11, v14
	s_delay_alu instid0(VALU_DEP_2)
	v_add_co_ci_u32_e32 v15, vcc_lo, v12, v15, vcc_lo
	global_store_b32 v[14:15], v50, off
.LBB1037_150:
	s_or_b32 exec_lo, exec_lo, s16
	s_branch .LBB1037_143
.LBB1037_151:
	s_mov_b32 s15, exec_lo
	v_cmpx_gt_i16_e32 2, v13
	s_cbranch_execz .LBB1037_156
; %bb.152:
	s_mov_b32 s17, 0
	s_mov_b32 s16, exec_lo
	v_cmpx_ne_u16_e32 1, v13
	s_xor_b32 s16, exec_lo, s16
	s_cbranch_execnz .LBB1037_197
; %bb.153:
	s_and_not1_saveexec_b32 s0, s16
	s_cbranch_execnz .LBB1037_213
.LBB1037_154:
	s_or_b32 exec_lo, exec_lo, s0
	s_delay_alu instid0(SALU_CYCLE_1)
	s_and_b32 exec_lo, exec_lo, s17
	s_cbranch_execz .LBB1037_156
.LBB1037_155:
	v_sub_nc_u32_e32 v4, v49, v4
	s_delay_alu instid0(VALU_DEP_1)
	v_lshlrev_b32_e32 v4, 2, v4
	ds_store_b32 v4, v50
.LBB1037_156:
	s_or_b32 exec_lo, exec_lo, s15
	s_delay_alu instid0(SALU_CYCLE_1)
	s_mov_b32 s1, exec_lo
	s_waitcnt lgkmcnt(0)
	s_waitcnt_vscnt null, 0x0
	s_barrier
	buffer_gl0_inv
	v_cmpx_lt_u32_e64 v0, v2
	s_cbranch_execz .LBB1037_159
; %bb.157:
	v_dual_mov_b32 v5, 0 :: v_dual_lshlrev_b32 v6, 2, v0
	v_mov_b32_e32 v4, v0
	s_mov_b32 s2, 0
	.p2align	6
.LBB1037_158:                           ; =>This Inner Loop Header: Depth=1
	ds_load_b32 v13, v6
	v_lshlrev_b64 v[7:8], 2, v[4:5]
	v_add_nc_u32_e32 v4, 0x100, v4
	v_add_nc_u32_e32 v6, 0x400, v6
	s_delay_alu instid0(VALU_DEP_2) | instskip(NEXT) | instid1(VALU_DEP_4)
	v_cmp_ge_u32_e32 vcc_lo, v4, v2
	v_add_co_u32 v7, s0, v11, v7
	s_delay_alu instid0(VALU_DEP_1)
	v_add_co_ci_u32_e64 v8, s0, v12, v8, s0
	s_or_b32 s2, vcc_lo, s2
	s_waitcnt lgkmcnt(0)
	global_store_b32 v[7:8], v13, off
	s_and_not1_b32 exec_lo, exec_lo, s2
	s_cbranch_execnz .LBB1037_158
.LBB1037_159:
	s_or_b32 exec_lo, exec_lo, s1
	v_cmp_eq_u32_e32 vcc_lo, 0xff, v0
	s_and_b32 s0, vcc_lo, s30
	s_delay_alu instid0(SALU_CYCLE_1)
	s_and_saveexec_b32 s1, s0
	s_cbranch_execz .LBB1037_144
.LBB1037_160:
	v_add_co_u32 v0, s0, v1, v3
	s_delay_alu instid0(VALU_DEP_1) | instskip(SKIP_1) | instid1(VALU_DEP_3)
	v_add_co_ci_u32_e64 v4, null, 0, 0, s0
	v_mov_b32_e32 v2, 0
	v_add_co_u32 v3, vcc_lo, v0, v23
	s_delay_alu instid0(VALU_DEP_3)
	v_add_co_ci_u32_e32 v4, vcc_lo, v4, v24, vcc_lo
	s_cmpk_lg_i32 s31, 0xf00
	global_store_b64 v2, v[3:4], s[38:39]
	s_cbranch_scc1 .LBB1037_144
; %bb.161:
	v_lshlrev_b64 v[0:1], 2, v[1:2]
	s_delay_alu instid0(VALU_DEP_1) | instskip(NEXT) | instid1(VALU_DEP_2)
	v_add_co_u32 v0, vcc_lo, v9, v0
	v_add_co_ci_u32_e32 v1, vcc_lo, v10, v1, vcc_lo
	global_store_b32 v[0:1], v80, off offset:-4
	s_nop 0
	s_sendmsg sendmsg(MSG_DEALLOC_VGPRS)
	s_endpgm
.LBB1037_162:
	s_or_b32 exec_lo, exec_lo, s4
	v_mov_b32_e32 v79, s1
	s_and_saveexec_b32 s1, s45
	s_cbranch_execnz .LBB1037_88
	s_branch .LBB1037_89
.LBB1037_163:
	s_and_saveexec_b32 s17, s12
	s_cbranch_execnz .LBB1037_214
; %bb.164:
	s_or_b32 exec_lo, exec_lo, s17
	s_and_saveexec_b32 s12, s14
	s_cbranch_execnz .LBB1037_215
.LBB1037_165:
	s_or_b32 exec_lo, exec_lo, s12
	s_and_saveexec_b32 s12, s13
	s_cbranch_execnz .LBB1037_216
.LBB1037_166:
	s_or_b32 exec_lo, exec_lo, s12
	s_and_saveexec_b32 s12, s11
	s_cbranch_execnz .LBB1037_217
.LBB1037_167:
	s_or_b32 exec_lo, exec_lo, s12
	s_and_saveexec_b32 s11, s10
	s_cbranch_execnz .LBB1037_218
.LBB1037_168:
	s_or_b32 exec_lo, exec_lo, s11
	s_and_saveexec_b32 s10, s9
	s_cbranch_execnz .LBB1037_219
.LBB1037_169:
	s_or_b32 exec_lo, exec_lo, s10
	s_and_saveexec_b32 s9, s8
	s_cbranch_execnz .LBB1037_220
.LBB1037_170:
	s_or_b32 exec_lo, exec_lo, s9
	s_and_saveexec_b32 s8, s7
	s_cbranch_execnz .LBB1037_221
.LBB1037_171:
	s_or_b32 exec_lo, exec_lo, s8
	s_and_saveexec_b32 s7, s6
	s_cbranch_execnz .LBB1037_222
.LBB1037_172:
	s_or_b32 exec_lo, exec_lo, s7
	s_and_saveexec_b32 s6, s5
	s_cbranch_execnz .LBB1037_223
.LBB1037_173:
	s_or_b32 exec_lo, exec_lo, s6
	s_and_saveexec_b32 s5, s4
	s_cbranch_execnz .LBB1037_224
.LBB1037_174:
	s_or_b32 exec_lo, exec_lo, s5
	s_and_saveexec_b32 s4, s3
	s_cbranch_execnz .LBB1037_225
.LBB1037_175:
	s_or_b32 exec_lo, exec_lo, s4
	s_and_saveexec_b32 s3, s1
	s_cbranch_execnz .LBB1037_226
.LBB1037_176:
	s_or_b32 exec_lo, exec_lo, s3
	s_and_saveexec_b32 s1, s0
	s_cbranch_execz .LBB1037_178
.LBB1037_177:
	v_sub_nc_u32_e32 v2, v57, v3
	s_delay_alu instid0(VALU_DEP_1)
	v_lshlrev_b32_e32 v2, 2, v2
	ds_store_b32 v2, v10
.LBB1037_178:
	s_or_b32 exec_lo, exec_lo, s1
	s_delay_alu instid0(SALU_CYCLE_1)
	s_and_b32 s17, vcc_lo, exec_lo
                                        ; implicit-def: $vgpr21
                                        ; implicit-def: $vgpr19
                                        ; implicit-def: $vgpr17
                                        ; implicit-def: $vgpr15
                                        ; implicit-def: $vgpr13
                                        ; implicit-def: $vgpr11
                                        ; implicit-def: $vgpr9
	s_and_not1_saveexec_b32 s0, s15
	s_cbranch_execz .LBB1037_138
.LBB1037_179:
	v_sub_nc_u32_e32 v2, v53, v3
	v_sub_nc_u32_e32 v4, v59, v3
	;; [unrolled: 1-line block ×4, first 2 shown]
	s_or_b32 s17, s17, exec_lo
	v_lshlrev_b32_e32 v2, 2, v2
	v_lshlrev_b32_e32 v4, 2, v4
	;; [unrolled: 1-line block ×4, first 2 shown]
	ds_store_b32 v2, v21
	ds_store_b32 v4, v22
	;; [unrolled: 1-line block ×3, first 2 shown]
	v_sub_nc_u32_e32 v2, v45, v3
	v_sub_nc_u32_e32 v4, v41, v3
	;; [unrolled: 1-line block ×3, first 2 shown]
	ds_store_b32 v26, v20
	v_sub_nc_u32_e32 v20, v43, v3
	v_lshlrev_b32_e32 v2, 2, v2
	v_sub_nc_u32_e32 v21, v47, v3
	v_lshlrev_b32_e32 v4, 2, v4
	v_lshlrev_b32_e32 v19, 2, v19
	;; [unrolled: 1-line block ×3, first 2 shown]
	ds_store_b32 v2, v17
	v_lshlrev_b32_e32 v2, 2, v21
	ds_store_b32 v4, v18
	ds_store_b32 v19, v15
	;; [unrolled: 1-line block ×3, first 2 shown]
	v_sub_nc_u32_e32 v4, v5, v3
	v_sub_nc_u32_e32 v16, v57, v3
	;; [unrolled: 1-line block ×3, first 2 shown]
	ds_store_b32 v2, v13
	v_sub_nc_u32_e32 v2, v7, v3
	v_lshlrev_b32_e32 v4, 2, v4
	v_sub_nc_u32_e32 v13, v37, v3
	v_lshlrev_b32_e32 v15, 2, v15
	s_delay_alu instid0(VALU_DEP_4)
	v_lshlrev_b32_e32 v2, 2, v2
	ds_store_b32 v4, v14
	v_lshlrev_b32_e32 v4, 2, v16
	v_lshlrev_b32_e32 v13, 2, v13
	ds_store_b32 v2, v11
	ds_store_b32 v13, v12
	;; [unrolled: 1-line block ×4, first 2 shown]
	s_or_b32 exec_lo, exec_lo, s0
	s_delay_alu instid0(SALU_CYCLE_1)
	s_and_b32 exec_lo, exec_lo, s17
	s_cbranch_execnz .LBB1037_139
	s_branch .LBB1037_140
.LBB1037_180:
	s_and_saveexec_b32 s17, s14
	s_cbranch_execnz .LBB1037_227
; %bb.181:
	s_or_b32 exec_lo, exec_lo, s17
	s_and_saveexec_b32 s17, s13
	s_cbranch_execnz .LBB1037_228
.LBB1037_182:
	s_or_b32 exec_lo, exec_lo, s17
	s_and_saveexec_b32 s17, s12
	s_cbranch_execnz .LBB1037_229
.LBB1037_183:
	s_or_b32 exec_lo, exec_lo, s17
	s_and_saveexec_b32 s17, s11
	s_cbranch_execnz .LBB1037_230
.LBB1037_184:
	s_or_b32 exec_lo, exec_lo, s17
	s_and_saveexec_b32 s17, s10
	s_cbranch_execnz .LBB1037_231
.LBB1037_185:
	s_or_b32 exec_lo, exec_lo, s17
	s_and_saveexec_b32 s17, s9
	s_cbranch_execnz .LBB1037_232
.LBB1037_186:
	s_or_b32 exec_lo, exec_lo, s17
	s_and_saveexec_b32 s17, s8
	s_cbranch_execnz .LBB1037_233
.LBB1037_187:
	s_or_b32 exec_lo, exec_lo, s17
	s_and_saveexec_b32 s17, s7
	s_cbranch_execnz .LBB1037_234
.LBB1037_188:
	s_or_b32 exec_lo, exec_lo, s17
	s_and_saveexec_b32 s17, s6
	s_cbranch_execnz .LBB1037_235
.LBB1037_189:
	s_or_b32 exec_lo, exec_lo, s17
	s_and_saveexec_b32 s17, s5
	s_cbranch_execnz .LBB1037_236
.LBB1037_190:
	s_or_b32 exec_lo, exec_lo, s17
	s_and_saveexec_b32 s17, s4
	s_cbranch_execnz .LBB1037_237
.LBB1037_191:
	s_or_b32 exec_lo, exec_lo, s17
	s_and_saveexec_b32 s17, s3
	s_cbranch_execnz .LBB1037_238
.LBB1037_192:
	s_or_b32 exec_lo, exec_lo, s17
	s_and_saveexec_b32 s17, s2
	s_cbranch_execnz .LBB1037_239
.LBB1037_193:
	s_or_b32 exec_lo, exec_lo, s17
	s_and_saveexec_b32 s17, s1
	s_cbranch_execz .LBB1037_195
.LBB1037_194:
	v_sub_nc_u32_e32 v14, v57, v4
	v_mov_b32_e32 v15, 0
	s_delay_alu instid0(VALU_DEP_1) | instskip(NEXT) | instid1(VALU_DEP_1)
	v_lshlrev_b64 v[14:15], 2, v[14:15]
	v_add_co_u32 v14, vcc_lo, v11, v14
	s_delay_alu instid0(VALU_DEP_2)
	v_add_co_ci_u32_e32 v15, vcc_lo, v12, v15, vcc_lo
	global_store_b32 v[14:15], v58, off
.LBB1037_195:
	s_or_b32 exec_lo, exec_lo, s17
	s_delay_alu instid0(SALU_CYCLE_1)
	s_and_b32 s17, s0, exec_lo
	s_and_not1_saveexec_b32 s15, s15
	s_cbranch_execz .LBB1037_148
.LBB1037_196:
	v_sub_nc_u32_e32 v14, v53, v4
	v_mov_b32_e32 v15, 0
	s_or_b32 s17, s17, exec_lo
	s_delay_alu instid0(VALU_DEP_1) | instskip(SKIP_1) | instid1(VALU_DEP_1)
	v_lshlrev_b64 v[16:17], 2, v[14:15]
	v_sub_nc_u32_e32 v14, v59, v4
	v_lshlrev_b64 v[18:19], 2, v[14:15]
	v_sub_nc_u32_e32 v14, v55, v4
	s_delay_alu instid0(VALU_DEP_4) | instskip(SKIP_1) | instid1(VALU_DEP_3)
	v_add_co_u32 v16, vcc_lo, v11, v16
	v_add_co_ci_u32_e32 v17, vcc_lo, v12, v17, vcc_lo
	v_lshlrev_b64 v[20:21], 2, v[14:15]
	v_sub_nc_u32_e32 v14, v51, v4
	v_add_co_u32 v18, vcc_lo, v11, v18
	v_add_co_ci_u32_e32 v19, vcc_lo, v12, v19, vcc_lo
	global_store_b32 v[16:17], v54, off
	v_lshlrev_b64 v[16:17], 2, v[14:15]
	v_sub_nc_u32_e32 v14, v45, v4
	global_store_b32 v[18:19], v60, off
	v_add_co_u32 v18, vcc_lo, v11, v20
	v_add_co_ci_u32_e32 v19, vcc_lo, v12, v21, vcc_lo
	v_lshlrev_b64 v[20:21], 2, v[14:15]
	v_sub_nc_u32_e32 v14, v41, v4
	v_add_co_u32 v16, vcc_lo, v11, v16
	v_add_co_ci_u32_e32 v17, vcc_lo, v12, v17, vcc_lo
	s_delay_alu instid0(VALU_DEP_3) | instskip(SKIP_3) | instid1(VALU_DEP_3)
	v_lshlrev_b64 v[25:26], 2, v[14:15]
	v_sub_nc_u32_e32 v14, v39, v4
	v_add_co_u32 v20, vcc_lo, v11, v20
	v_add_co_ci_u32_e32 v21, vcc_lo, v12, v21, vcc_lo
	v_lshlrev_b64 v[27:28], 2, v[14:15]
	v_sub_nc_u32_e32 v14, v43, v4
	v_add_co_u32 v25, vcc_lo, v11, v25
	v_add_co_ci_u32_e32 v26, vcc_lo, v12, v26, vcc_lo
	s_clause 0x3
	global_store_b32 v[18:19], v56, off
	global_store_b32 v[16:17], v52, off
	;; [unrolled: 1-line block ×4, first 2 shown]
	v_lshlrev_b64 v[16:17], 2, v[14:15]
	v_sub_nc_u32_e32 v14, v47, v4
	v_add_co_u32 v18, vcc_lo, v11, v27
	v_add_co_ci_u32_e32 v19, vcc_lo, v12, v28, vcc_lo
	s_delay_alu instid0(VALU_DEP_3) | instskip(SKIP_3) | instid1(VALU_DEP_3)
	v_lshlrev_b64 v[20:21], 2, v[14:15]
	v_sub_nc_u32_e32 v14, v5, v4
	v_add_co_u32 v16, vcc_lo, v11, v16
	v_add_co_ci_u32_e32 v17, vcc_lo, v12, v17, vcc_lo
	v_lshlrev_b64 v[25:26], 2, v[14:15]
	v_sub_nc_u32_e32 v14, v7, v4
	v_add_co_u32 v20, vcc_lo, v11, v20
	v_add_co_ci_u32_e32 v21, vcc_lo, v12, v21, vcc_lo
	s_delay_alu instid0(VALU_DEP_3)
	v_lshlrev_b64 v[27:28], 2, v[14:15]
	v_sub_nc_u32_e32 v14, v37, v4
	v_add_co_u32 v25, vcc_lo, v11, v25
	v_add_co_ci_u32_e32 v26, vcc_lo, v12, v26, vcc_lo
	s_clause 0x3
	global_store_b32 v[18:19], v40, off
	global_store_b32 v[16:17], v44, off
	global_store_b32 v[20:21], v48, off
	global_store_b32 v[25:26], v6, off
	v_lshlrev_b64 v[16:17], 2, v[14:15]
	v_sub_nc_u32_e32 v14, v61, v4
	v_add_co_u32 v18, vcc_lo, v11, v27
	v_add_co_ci_u32_e32 v19, vcc_lo, v12, v28, vcc_lo
	s_delay_alu instid0(VALU_DEP_3) | instskip(SKIP_3) | instid1(VALU_DEP_3)
	v_lshlrev_b64 v[20:21], 2, v[14:15]
	v_sub_nc_u32_e32 v14, v57, v4
	v_add_co_u32 v16, vcc_lo, v11, v16
	v_add_co_ci_u32_e32 v17, vcc_lo, v12, v17, vcc_lo
	v_lshlrev_b64 v[14:15], 2, v[14:15]
	v_add_co_u32 v20, vcc_lo, v11, v20
	v_add_co_ci_u32_e32 v21, vcc_lo, v12, v21, vcc_lo
	s_clause 0x2
	global_store_b32 v[18:19], v8, off
	global_store_b32 v[16:17], v38, off
	;; [unrolled: 1-line block ×3, first 2 shown]
	v_add_co_u32 v14, vcc_lo, v11, v14
	v_add_co_ci_u32_e32 v15, vcc_lo, v12, v15, vcc_lo
	global_store_b32 v[14:15], v58, off
	s_or_b32 exec_lo, exec_lo, s15
	s_delay_alu instid0(SALU_CYCLE_1)
	s_and_b32 exec_lo, exec_lo, s17
	s_cbranch_execnz .LBB1037_149
	s_branch .LBB1037_150
.LBB1037_197:
	s_and_saveexec_b32 s17, s14
	s_cbranch_execnz .LBB1037_240
; %bb.198:
	s_or_b32 exec_lo, exec_lo, s17
	s_and_saveexec_b32 s14, s13
	s_cbranch_execnz .LBB1037_241
.LBB1037_199:
	s_or_b32 exec_lo, exec_lo, s14
	s_and_saveexec_b32 s13, s12
	s_cbranch_execnz .LBB1037_242
.LBB1037_200:
	s_or_b32 exec_lo, exec_lo, s13
	s_and_saveexec_b32 s12, s11
	s_cbranch_execnz .LBB1037_243
.LBB1037_201:
	s_or_b32 exec_lo, exec_lo, s12
	s_and_saveexec_b32 s11, s10
	s_cbranch_execnz .LBB1037_244
.LBB1037_202:
	s_or_b32 exec_lo, exec_lo, s11
	s_and_saveexec_b32 s10, s9
	s_cbranch_execnz .LBB1037_245
.LBB1037_203:
	s_or_b32 exec_lo, exec_lo, s10
	s_and_saveexec_b32 s9, s8
	s_cbranch_execnz .LBB1037_246
.LBB1037_204:
	s_or_b32 exec_lo, exec_lo, s9
	s_and_saveexec_b32 s8, s7
	s_cbranch_execnz .LBB1037_247
.LBB1037_205:
	s_or_b32 exec_lo, exec_lo, s8
	s_and_saveexec_b32 s7, s6
	s_cbranch_execnz .LBB1037_248
.LBB1037_206:
	s_or_b32 exec_lo, exec_lo, s7
	s_and_saveexec_b32 s6, s5
	s_cbranch_execnz .LBB1037_249
.LBB1037_207:
	s_or_b32 exec_lo, exec_lo, s6
	s_and_saveexec_b32 s5, s4
	s_cbranch_execnz .LBB1037_250
.LBB1037_208:
	s_or_b32 exec_lo, exec_lo, s5
	s_and_saveexec_b32 s4, s3
	s_cbranch_execnz .LBB1037_251
.LBB1037_209:
	s_or_b32 exec_lo, exec_lo, s4
	s_and_saveexec_b32 s3, s2
	s_cbranch_execnz .LBB1037_252
.LBB1037_210:
	s_or_b32 exec_lo, exec_lo, s3
	s_and_saveexec_b32 s2, s1
	s_cbranch_execz .LBB1037_212
.LBB1037_211:
	v_sub_nc_u32_e32 v5, v57, v4
	s_delay_alu instid0(VALU_DEP_1)
	v_lshlrev_b32_e32 v5, 2, v5
	ds_store_b32 v5, v58
.LBB1037_212:
	s_or_b32 exec_lo, exec_lo, s2
	s_delay_alu instid0(SALU_CYCLE_1)
	s_and_b32 s17, s0, exec_lo
                                        ; implicit-def: $vgpr53_vgpr54
                                        ; implicit-def: $vgpr59_vgpr60
                                        ; implicit-def: $vgpr55_vgpr56
                                        ; implicit-def: $vgpr51_vgpr52
                                        ; implicit-def: $vgpr45_vgpr46
                                        ; implicit-def: $vgpr41_vgpr42
                                        ; implicit-def: $vgpr39_vgpr40
                                        ; implicit-def: $vgpr43_vgpr44
                                        ; implicit-def: $vgpr47_vgpr48
                                        ; implicit-def: $vgpr5_vgpr6
                                        ; implicit-def: $vgpr7_vgpr8
                                        ; implicit-def: $vgpr37_vgpr38
                                        ; implicit-def: $vgpr61_vgpr62
                                        ; implicit-def: $vgpr57_vgpr58
	s_and_not1_saveexec_b32 s0, s16
	s_cbranch_execz .LBB1037_154
.LBB1037_213:
	v_sub_nc_u32_e32 v13, v53, v4
	v_sub_nc_u32_e32 v14, v59, v4
	;; [unrolled: 1-line block ×5, first 2 shown]
	v_lshlrev_b32_e32 v13, 2, v13
	v_lshlrev_b32_e32 v14, 2, v14
	;; [unrolled: 1-line block ×4, first 2 shown]
	v_sub_nc_u32_e32 v5, v5, v4
	ds_store_b32 v13, v54
	ds_store_b32 v14, v60
	;; [unrolled: 1-line block ×3, first 2 shown]
	v_sub_nc_u32_e32 v13, v45, v4
	v_sub_nc_u32_e32 v14, v41, v4
	;; [unrolled: 1-line block ×3, first 2 shown]
	ds_store_b32 v16, v52
	v_sub_nc_u32_e32 v16, v43, v4
	v_lshlrev_b32_e32 v13, 2, v13
	v_lshlrev_b32_e32 v14, 2, v14
	;; [unrolled: 1-line block ×3, first 2 shown]
	v_sub_nc_u32_e32 v7, v7, v4
	v_lshlrev_b32_e32 v16, 2, v16
	ds_store_b32 v13, v46
	v_lshlrev_b32_e32 v13, 2, v17
	ds_store_b32 v14, v42
	ds_store_b32 v15, v40
	;; [unrolled: 1-line block ×3, first 2 shown]
	v_lshlrev_b32_e32 v5, 2, v5
	v_sub_nc_u32_e32 v15, v57, v4
	v_sub_nc_u32_e32 v14, v61, v4
	ds_store_b32 v13, v48
	v_sub_nc_u32_e32 v13, v37, v4
	v_lshlrev_b32_e32 v7, 2, v7
	ds_store_b32 v5, v6
	v_lshlrev_b32_e32 v5, 2, v15
	v_lshlrev_b32_e32 v14, 2, v14
	;; [unrolled: 1-line block ×3, first 2 shown]
	s_or_b32 s17, s17, exec_lo
	ds_store_b32 v7, v8
	ds_store_b32 v13, v38
	;; [unrolled: 1-line block ×4, first 2 shown]
	s_or_b32 exec_lo, exec_lo, s0
	s_delay_alu instid0(SALU_CYCLE_1)
	s_and_b32 exec_lo, exec_lo, s17
	s_cbranch_execnz .LBB1037_155
	s_branch .LBB1037_156
.LBB1037_214:
	v_sub_nc_u32_e32 v2, v53, v3
	s_delay_alu instid0(VALU_DEP_1)
	v_lshlrev_b32_e32 v2, 2, v2
	ds_store_b32 v2, v21
	s_or_b32 exec_lo, exec_lo, s17
	s_and_saveexec_b32 s12, s14
	s_cbranch_execz .LBB1037_165
.LBB1037_215:
	v_sub_nc_u32_e32 v2, v59, v3
	s_delay_alu instid0(VALU_DEP_1)
	v_lshlrev_b32_e32 v2, 2, v2
	ds_store_b32 v2, v22
	s_or_b32 exec_lo, exec_lo, s12
	s_and_saveexec_b32 s12, s13
	s_cbranch_execz .LBB1037_166
.LBB1037_216:
	v_sub_nc_u32_e32 v2, v55, v3
	s_delay_alu instid0(VALU_DEP_1)
	v_lshlrev_b32_e32 v2, 2, v2
	ds_store_b32 v2, v19
	s_or_b32 exec_lo, exec_lo, s12
	s_and_saveexec_b32 s12, s11
	s_cbranch_execz .LBB1037_167
.LBB1037_217:
	v_sub_nc_u32_e32 v2, v51, v3
	s_delay_alu instid0(VALU_DEP_1)
	v_lshlrev_b32_e32 v2, 2, v2
	ds_store_b32 v2, v20
	s_or_b32 exec_lo, exec_lo, s12
	s_and_saveexec_b32 s11, s10
	s_cbranch_execz .LBB1037_168
.LBB1037_218:
	v_sub_nc_u32_e32 v2, v45, v3
	s_delay_alu instid0(VALU_DEP_1)
	v_lshlrev_b32_e32 v2, 2, v2
	ds_store_b32 v2, v17
	s_or_b32 exec_lo, exec_lo, s11
	s_and_saveexec_b32 s10, s9
	s_cbranch_execz .LBB1037_169
.LBB1037_219:
	v_sub_nc_u32_e32 v2, v41, v3
	s_delay_alu instid0(VALU_DEP_1)
	v_lshlrev_b32_e32 v2, 2, v2
	ds_store_b32 v2, v18
	s_or_b32 exec_lo, exec_lo, s10
	s_and_saveexec_b32 s9, s8
	s_cbranch_execz .LBB1037_170
.LBB1037_220:
	v_sub_nc_u32_e32 v2, v39, v3
	s_delay_alu instid0(VALU_DEP_1)
	v_lshlrev_b32_e32 v2, 2, v2
	ds_store_b32 v2, v15
	s_or_b32 exec_lo, exec_lo, s9
	s_and_saveexec_b32 s8, s7
	s_cbranch_execz .LBB1037_171
.LBB1037_221:
	v_sub_nc_u32_e32 v2, v43, v3
	s_delay_alu instid0(VALU_DEP_1)
	v_lshlrev_b32_e32 v2, 2, v2
	ds_store_b32 v2, v16
	s_or_b32 exec_lo, exec_lo, s8
	s_and_saveexec_b32 s7, s6
	s_cbranch_execz .LBB1037_172
.LBB1037_222:
	v_sub_nc_u32_e32 v2, v47, v3
	s_delay_alu instid0(VALU_DEP_1)
	v_lshlrev_b32_e32 v2, 2, v2
	ds_store_b32 v2, v13
	s_or_b32 exec_lo, exec_lo, s7
	s_and_saveexec_b32 s6, s5
	s_cbranch_execz .LBB1037_173
.LBB1037_223:
	v_sub_nc_u32_e32 v2, v5, v3
	s_delay_alu instid0(VALU_DEP_1)
	v_lshlrev_b32_e32 v2, 2, v2
	ds_store_b32 v2, v14
	s_or_b32 exec_lo, exec_lo, s6
	s_and_saveexec_b32 s5, s4
	s_cbranch_execz .LBB1037_174
.LBB1037_224:
	v_sub_nc_u32_e32 v2, v7, v3
	s_delay_alu instid0(VALU_DEP_1)
	v_lshlrev_b32_e32 v2, 2, v2
	ds_store_b32 v2, v11
	s_or_b32 exec_lo, exec_lo, s5
	s_and_saveexec_b32 s4, s3
	s_cbranch_execz .LBB1037_175
.LBB1037_225:
	v_sub_nc_u32_e32 v2, v37, v3
	s_delay_alu instid0(VALU_DEP_1)
	v_lshlrev_b32_e32 v2, 2, v2
	ds_store_b32 v2, v12
	s_or_b32 exec_lo, exec_lo, s4
	s_and_saveexec_b32 s3, s1
	s_cbranch_execz .LBB1037_176
.LBB1037_226:
	v_sub_nc_u32_e32 v2, v61, v3
	s_delay_alu instid0(VALU_DEP_1)
	v_lshlrev_b32_e32 v2, 2, v2
	ds_store_b32 v2, v9
	s_or_b32 exec_lo, exec_lo, s3
	s_and_saveexec_b32 s1, s0
	s_cbranch_execnz .LBB1037_177
	s_branch .LBB1037_178
.LBB1037_227:
	v_sub_nc_u32_e32 v14, v53, v4
	v_mov_b32_e32 v15, 0
	s_delay_alu instid0(VALU_DEP_1) | instskip(NEXT) | instid1(VALU_DEP_1)
	v_lshlrev_b64 v[14:15], 2, v[14:15]
	v_add_co_u32 v14, vcc_lo, v11, v14
	s_delay_alu instid0(VALU_DEP_2)
	v_add_co_ci_u32_e32 v15, vcc_lo, v12, v15, vcc_lo
	global_store_b32 v[14:15], v54, off
	s_or_b32 exec_lo, exec_lo, s17
	s_and_saveexec_b32 s17, s13
	s_cbranch_execz .LBB1037_182
.LBB1037_228:
	v_sub_nc_u32_e32 v14, v59, v4
	v_mov_b32_e32 v15, 0
	s_delay_alu instid0(VALU_DEP_1) | instskip(NEXT) | instid1(VALU_DEP_1)
	v_lshlrev_b64 v[14:15], 2, v[14:15]
	v_add_co_u32 v14, vcc_lo, v11, v14
	s_delay_alu instid0(VALU_DEP_2)
	v_add_co_ci_u32_e32 v15, vcc_lo, v12, v15, vcc_lo
	global_store_b32 v[14:15], v60, off
	s_or_b32 exec_lo, exec_lo, s17
	s_and_saveexec_b32 s17, s12
	s_cbranch_execz .LBB1037_183
.LBB1037_229:
	v_sub_nc_u32_e32 v14, v55, v4
	v_mov_b32_e32 v15, 0
	s_delay_alu instid0(VALU_DEP_1) | instskip(NEXT) | instid1(VALU_DEP_1)
	v_lshlrev_b64 v[14:15], 2, v[14:15]
	v_add_co_u32 v14, vcc_lo, v11, v14
	s_delay_alu instid0(VALU_DEP_2)
	v_add_co_ci_u32_e32 v15, vcc_lo, v12, v15, vcc_lo
	global_store_b32 v[14:15], v56, off
	s_or_b32 exec_lo, exec_lo, s17
	s_and_saveexec_b32 s17, s11
	s_cbranch_execz .LBB1037_184
.LBB1037_230:
	v_sub_nc_u32_e32 v14, v51, v4
	v_mov_b32_e32 v15, 0
	s_delay_alu instid0(VALU_DEP_1) | instskip(NEXT) | instid1(VALU_DEP_1)
	v_lshlrev_b64 v[14:15], 2, v[14:15]
	v_add_co_u32 v14, vcc_lo, v11, v14
	s_delay_alu instid0(VALU_DEP_2)
	v_add_co_ci_u32_e32 v15, vcc_lo, v12, v15, vcc_lo
	global_store_b32 v[14:15], v52, off
	s_or_b32 exec_lo, exec_lo, s17
	s_and_saveexec_b32 s17, s10
	s_cbranch_execz .LBB1037_185
.LBB1037_231:
	v_sub_nc_u32_e32 v14, v45, v4
	v_mov_b32_e32 v15, 0
	s_delay_alu instid0(VALU_DEP_1) | instskip(NEXT) | instid1(VALU_DEP_1)
	v_lshlrev_b64 v[14:15], 2, v[14:15]
	v_add_co_u32 v14, vcc_lo, v11, v14
	s_delay_alu instid0(VALU_DEP_2)
	v_add_co_ci_u32_e32 v15, vcc_lo, v12, v15, vcc_lo
	global_store_b32 v[14:15], v46, off
	s_or_b32 exec_lo, exec_lo, s17
	s_and_saveexec_b32 s17, s9
	s_cbranch_execz .LBB1037_186
.LBB1037_232:
	v_sub_nc_u32_e32 v14, v41, v4
	v_mov_b32_e32 v15, 0
	s_delay_alu instid0(VALU_DEP_1) | instskip(NEXT) | instid1(VALU_DEP_1)
	v_lshlrev_b64 v[14:15], 2, v[14:15]
	v_add_co_u32 v14, vcc_lo, v11, v14
	s_delay_alu instid0(VALU_DEP_2)
	v_add_co_ci_u32_e32 v15, vcc_lo, v12, v15, vcc_lo
	global_store_b32 v[14:15], v42, off
	s_or_b32 exec_lo, exec_lo, s17
	s_and_saveexec_b32 s17, s8
	s_cbranch_execz .LBB1037_187
.LBB1037_233:
	v_sub_nc_u32_e32 v14, v39, v4
	v_mov_b32_e32 v15, 0
	s_delay_alu instid0(VALU_DEP_1) | instskip(NEXT) | instid1(VALU_DEP_1)
	v_lshlrev_b64 v[14:15], 2, v[14:15]
	v_add_co_u32 v14, vcc_lo, v11, v14
	s_delay_alu instid0(VALU_DEP_2)
	v_add_co_ci_u32_e32 v15, vcc_lo, v12, v15, vcc_lo
	global_store_b32 v[14:15], v40, off
	s_or_b32 exec_lo, exec_lo, s17
	s_and_saveexec_b32 s17, s7
	s_cbranch_execz .LBB1037_188
.LBB1037_234:
	v_sub_nc_u32_e32 v14, v43, v4
	v_mov_b32_e32 v15, 0
	s_delay_alu instid0(VALU_DEP_1) | instskip(NEXT) | instid1(VALU_DEP_1)
	v_lshlrev_b64 v[14:15], 2, v[14:15]
	v_add_co_u32 v14, vcc_lo, v11, v14
	s_delay_alu instid0(VALU_DEP_2)
	v_add_co_ci_u32_e32 v15, vcc_lo, v12, v15, vcc_lo
	global_store_b32 v[14:15], v44, off
	s_or_b32 exec_lo, exec_lo, s17
	s_and_saveexec_b32 s17, s6
	s_cbranch_execz .LBB1037_189
.LBB1037_235:
	v_sub_nc_u32_e32 v14, v47, v4
	v_mov_b32_e32 v15, 0
	s_delay_alu instid0(VALU_DEP_1) | instskip(NEXT) | instid1(VALU_DEP_1)
	v_lshlrev_b64 v[14:15], 2, v[14:15]
	v_add_co_u32 v14, vcc_lo, v11, v14
	s_delay_alu instid0(VALU_DEP_2)
	v_add_co_ci_u32_e32 v15, vcc_lo, v12, v15, vcc_lo
	global_store_b32 v[14:15], v48, off
	s_or_b32 exec_lo, exec_lo, s17
	s_and_saveexec_b32 s17, s5
	s_cbranch_execz .LBB1037_190
.LBB1037_236:
	v_sub_nc_u32_e32 v14, v5, v4
	v_mov_b32_e32 v15, 0
	s_delay_alu instid0(VALU_DEP_1) | instskip(NEXT) | instid1(VALU_DEP_1)
	v_lshlrev_b64 v[14:15], 2, v[14:15]
	v_add_co_u32 v14, vcc_lo, v11, v14
	s_delay_alu instid0(VALU_DEP_2)
	v_add_co_ci_u32_e32 v15, vcc_lo, v12, v15, vcc_lo
	global_store_b32 v[14:15], v6, off
	s_or_b32 exec_lo, exec_lo, s17
	s_and_saveexec_b32 s17, s4
	s_cbranch_execz .LBB1037_191
.LBB1037_237:
	v_sub_nc_u32_e32 v14, v7, v4
	v_mov_b32_e32 v15, 0
	s_delay_alu instid0(VALU_DEP_1) | instskip(NEXT) | instid1(VALU_DEP_1)
	v_lshlrev_b64 v[14:15], 2, v[14:15]
	v_add_co_u32 v14, vcc_lo, v11, v14
	s_delay_alu instid0(VALU_DEP_2)
	v_add_co_ci_u32_e32 v15, vcc_lo, v12, v15, vcc_lo
	global_store_b32 v[14:15], v8, off
	s_or_b32 exec_lo, exec_lo, s17
	s_and_saveexec_b32 s17, s3
	s_cbranch_execz .LBB1037_192
.LBB1037_238:
	v_sub_nc_u32_e32 v14, v37, v4
	v_mov_b32_e32 v15, 0
	s_delay_alu instid0(VALU_DEP_1) | instskip(NEXT) | instid1(VALU_DEP_1)
	v_lshlrev_b64 v[14:15], 2, v[14:15]
	v_add_co_u32 v14, vcc_lo, v11, v14
	s_delay_alu instid0(VALU_DEP_2)
	v_add_co_ci_u32_e32 v15, vcc_lo, v12, v15, vcc_lo
	global_store_b32 v[14:15], v38, off
	s_or_b32 exec_lo, exec_lo, s17
	s_and_saveexec_b32 s17, s2
	s_cbranch_execz .LBB1037_193
.LBB1037_239:
	v_sub_nc_u32_e32 v14, v61, v4
	v_mov_b32_e32 v15, 0
	s_delay_alu instid0(VALU_DEP_1) | instskip(NEXT) | instid1(VALU_DEP_1)
	v_lshlrev_b64 v[14:15], 2, v[14:15]
	v_add_co_u32 v14, vcc_lo, v11, v14
	s_delay_alu instid0(VALU_DEP_2)
	v_add_co_ci_u32_e32 v15, vcc_lo, v12, v15, vcc_lo
	global_store_b32 v[14:15], v62, off
	s_or_b32 exec_lo, exec_lo, s17
	s_and_saveexec_b32 s17, s1
	s_cbranch_execnz .LBB1037_194
	s_branch .LBB1037_195
.LBB1037_240:
	v_sub_nc_u32_e32 v13, v53, v4
	s_delay_alu instid0(VALU_DEP_1)
	v_lshlrev_b32_e32 v13, 2, v13
	ds_store_b32 v13, v54
	s_or_b32 exec_lo, exec_lo, s17
	s_and_saveexec_b32 s14, s13
	s_cbranch_execz .LBB1037_199
.LBB1037_241:
	v_sub_nc_u32_e32 v13, v59, v4
	s_delay_alu instid0(VALU_DEP_1)
	v_lshlrev_b32_e32 v13, 2, v13
	ds_store_b32 v13, v60
	s_or_b32 exec_lo, exec_lo, s14
	s_and_saveexec_b32 s13, s12
	s_cbranch_execz .LBB1037_200
.LBB1037_242:
	v_sub_nc_u32_e32 v13, v55, v4
	s_delay_alu instid0(VALU_DEP_1)
	v_lshlrev_b32_e32 v13, 2, v13
	ds_store_b32 v13, v56
	s_or_b32 exec_lo, exec_lo, s13
	s_and_saveexec_b32 s12, s11
	s_cbranch_execz .LBB1037_201
.LBB1037_243:
	v_sub_nc_u32_e32 v13, v51, v4
	s_delay_alu instid0(VALU_DEP_1)
	v_lshlrev_b32_e32 v13, 2, v13
	ds_store_b32 v13, v52
	s_or_b32 exec_lo, exec_lo, s12
	s_and_saveexec_b32 s11, s10
	s_cbranch_execz .LBB1037_202
.LBB1037_244:
	v_sub_nc_u32_e32 v13, v45, v4
	s_delay_alu instid0(VALU_DEP_1)
	v_lshlrev_b32_e32 v13, 2, v13
	ds_store_b32 v13, v46
	s_or_b32 exec_lo, exec_lo, s11
	s_and_saveexec_b32 s10, s9
	s_cbranch_execz .LBB1037_203
.LBB1037_245:
	v_sub_nc_u32_e32 v13, v41, v4
	s_delay_alu instid0(VALU_DEP_1)
	v_lshlrev_b32_e32 v13, 2, v13
	ds_store_b32 v13, v42
	s_or_b32 exec_lo, exec_lo, s10
	s_and_saveexec_b32 s9, s8
	s_cbranch_execz .LBB1037_204
.LBB1037_246:
	v_sub_nc_u32_e32 v13, v39, v4
	s_delay_alu instid0(VALU_DEP_1)
	v_lshlrev_b32_e32 v13, 2, v13
	ds_store_b32 v13, v40
	s_or_b32 exec_lo, exec_lo, s9
	s_and_saveexec_b32 s8, s7
	s_cbranch_execz .LBB1037_205
.LBB1037_247:
	v_sub_nc_u32_e32 v13, v43, v4
	s_delay_alu instid0(VALU_DEP_1)
	v_lshlrev_b32_e32 v13, 2, v13
	ds_store_b32 v13, v44
	s_or_b32 exec_lo, exec_lo, s8
	s_and_saveexec_b32 s7, s6
	s_cbranch_execz .LBB1037_206
.LBB1037_248:
	v_sub_nc_u32_e32 v13, v47, v4
	s_delay_alu instid0(VALU_DEP_1)
	v_lshlrev_b32_e32 v13, 2, v13
	ds_store_b32 v13, v48
	s_or_b32 exec_lo, exec_lo, s7
	s_and_saveexec_b32 s6, s5
	s_cbranch_execz .LBB1037_207
.LBB1037_249:
	v_sub_nc_u32_e32 v5, v5, v4
	s_delay_alu instid0(VALU_DEP_1)
	v_lshlrev_b32_e32 v5, 2, v5
	ds_store_b32 v5, v6
	s_or_b32 exec_lo, exec_lo, s6
	s_and_saveexec_b32 s5, s4
	s_cbranch_execz .LBB1037_208
.LBB1037_250:
	v_sub_nc_u32_e32 v5, v7, v4
	s_delay_alu instid0(VALU_DEP_1)
	v_lshlrev_b32_e32 v5, 2, v5
	ds_store_b32 v5, v8
	s_or_b32 exec_lo, exec_lo, s5
	s_and_saveexec_b32 s4, s3
	s_cbranch_execz .LBB1037_209
.LBB1037_251:
	v_sub_nc_u32_e32 v5, v37, v4
	s_delay_alu instid0(VALU_DEP_1)
	v_lshlrev_b32_e32 v5, 2, v5
	ds_store_b32 v5, v38
	s_or_b32 exec_lo, exec_lo, s4
	s_and_saveexec_b32 s3, s2
	s_cbranch_execz .LBB1037_210
.LBB1037_252:
	v_sub_nc_u32_e32 v5, v61, v4
	s_delay_alu instid0(VALU_DEP_1)
	v_lshlrev_b32_e32 v5, 2, v5
	ds_store_b32 v5, v62
	s_or_b32 exec_lo, exec_lo, s3
	s_and_saveexec_b32 s2, s1
	s_cbranch_execnz .LBB1037_211
	s_branch .LBB1037_212
	.section	.rodata,"a",@progbits
	.p2align	6, 0x0
	.amdhsa_kernel _ZN7rocprim17ROCPRIM_400000_NS6detail17trampoline_kernelINS0_14default_configENS1_29reduce_by_key_config_selectorIjiN6thrust23THRUST_200600_302600_NS4plusIiEEEEZZNS1_33reduce_by_key_impl_wrapped_configILNS1_25lookback_scan_determinismE0ES3_S9_NS6_6detail15normal_iteratorINS6_10device_ptrIjEEEENSD_INSE_IiEEEENS6_16discard_iteratorINS6_11use_defaultEEESI_PmS8_NS6_8equal_toIjEEEE10hipError_tPvRmT2_T3_mT4_T5_T6_T7_T8_P12ihipStream_tbENKUlT_T0_E_clISt17integral_constantIbLb1EES16_EEDaS11_S12_EUlS11_E_NS1_11comp_targetILNS1_3genE9ELNS1_11target_archE1100ELNS1_3gpuE3ELNS1_3repE0EEENS1_30default_config_static_selectorELNS0_4arch9wavefront6targetE0EEEvT1_
		.amdhsa_group_segment_fixed_size 15360
		.amdhsa_private_segment_fixed_size 0
		.amdhsa_kernarg_size 128
		.amdhsa_user_sgpr_count 15
		.amdhsa_user_sgpr_dispatch_ptr 0
		.amdhsa_user_sgpr_queue_ptr 0
		.amdhsa_user_sgpr_kernarg_segment_ptr 1
		.amdhsa_user_sgpr_dispatch_id 0
		.amdhsa_user_sgpr_private_segment_size 0
		.amdhsa_wavefront_size32 1
		.amdhsa_uses_dynamic_stack 0
		.amdhsa_enable_private_segment 0
		.amdhsa_system_sgpr_workgroup_id_x 1
		.amdhsa_system_sgpr_workgroup_id_y 0
		.amdhsa_system_sgpr_workgroup_id_z 0
		.amdhsa_system_sgpr_workgroup_info 0
		.amdhsa_system_vgpr_workitem_id 0
		.amdhsa_next_free_vgpr 85
		.amdhsa_next_free_sgpr 46
		.amdhsa_reserve_vcc 1
		.amdhsa_float_round_mode_32 0
		.amdhsa_float_round_mode_16_64 0
		.amdhsa_float_denorm_mode_32 3
		.amdhsa_float_denorm_mode_16_64 3
		.amdhsa_dx10_clamp 1
		.amdhsa_ieee_mode 1
		.amdhsa_fp16_overflow 0
		.amdhsa_workgroup_processor_mode 1
		.amdhsa_memory_ordered 1
		.amdhsa_forward_progress 0
		.amdhsa_shared_vgpr_count 0
		.amdhsa_exception_fp_ieee_invalid_op 0
		.amdhsa_exception_fp_denorm_src 0
		.amdhsa_exception_fp_ieee_div_zero 0
		.amdhsa_exception_fp_ieee_overflow 0
		.amdhsa_exception_fp_ieee_underflow 0
		.amdhsa_exception_fp_ieee_inexact 0
		.amdhsa_exception_int_div_zero 0
	.end_amdhsa_kernel
	.section	.text._ZN7rocprim17ROCPRIM_400000_NS6detail17trampoline_kernelINS0_14default_configENS1_29reduce_by_key_config_selectorIjiN6thrust23THRUST_200600_302600_NS4plusIiEEEEZZNS1_33reduce_by_key_impl_wrapped_configILNS1_25lookback_scan_determinismE0ES3_S9_NS6_6detail15normal_iteratorINS6_10device_ptrIjEEEENSD_INSE_IiEEEENS6_16discard_iteratorINS6_11use_defaultEEESI_PmS8_NS6_8equal_toIjEEEE10hipError_tPvRmT2_T3_mT4_T5_T6_T7_T8_P12ihipStream_tbENKUlT_T0_E_clISt17integral_constantIbLb1EES16_EEDaS11_S12_EUlS11_E_NS1_11comp_targetILNS1_3genE9ELNS1_11target_archE1100ELNS1_3gpuE3ELNS1_3repE0EEENS1_30default_config_static_selectorELNS0_4arch9wavefront6targetE0EEEvT1_,"axG",@progbits,_ZN7rocprim17ROCPRIM_400000_NS6detail17trampoline_kernelINS0_14default_configENS1_29reduce_by_key_config_selectorIjiN6thrust23THRUST_200600_302600_NS4plusIiEEEEZZNS1_33reduce_by_key_impl_wrapped_configILNS1_25lookback_scan_determinismE0ES3_S9_NS6_6detail15normal_iteratorINS6_10device_ptrIjEEEENSD_INSE_IiEEEENS6_16discard_iteratorINS6_11use_defaultEEESI_PmS8_NS6_8equal_toIjEEEE10hipError_tPvRmT2_T3_mT4_T5_T6_T7_T8_P12ihipStream_tbENKUlT_T0_E_clISt17integral_constantIbLb1EES16_EEDaS11_S12_EUlS11_E_NS1_11comp_targetILNS1_3genE9ELNS1_11target_archE1100ELNS1_3gpuE3ELNS1_3repE0EEENS1_30default_config_static_selectorELNS0_4arch9wavefront6targetE0EEEvT1_,comdat
.Lfunc_end1037:
	.size	_ZN7rocprim17ROCPRIM_400000_NS6detail17trampoline_kernelINS0_14default_configENS1_29reduce_by_key_config_selectorIjiN6thrust23THRUST_200600_302600_NS4plusIiEEEEZZNS1_33reduce_by_key_impl_wrapped_configILNS1_25lookback_scan_determinismE0ES3_S9_NS6_6detail15normal_iteratorINS6_10device_ptrIjEEEENSD_INSE_IiEEEENS6_16discard_iteratorINS6_11use_defaultEEESI_PmS8_NS6_8equal_toIjEEEE10hipError_tPvRmT2_T3_mT4_T5_T6_T7_T8_P12ihipStream_tbENKUlT_T0_E_clISt17integral_constantIbLb1EES16_EEDaS11_S12_EUlS11_E_NS1_11comp_targetILNS1_3genE9ELNS1_11target_archE1100ELNS1_3gpuE3ELNS1_3repE0EEENS1_30default_config_static_selectorELNS0_4arch9wavefront6targetE0EEEvT1_, .Lfunc_end1037-_ZN7rocprim17ROCPRIM_400000_NS6detail17trampoline_kernelINS0_14default_configENS1_29reduce_by_key_config_selectorIjiN6thrust23THRUST_200600_302600_NS4plusIiEEEEZZNS1_33reduce_by_key_impl_wrapped_configILNS1_25lookback_scan_determinismE0ES3_S9_NS6_6detail15normal_iteratorINS6_10device_ptrIjEEEENSD_INSE_IiEEEENS6_16discard_iteratorINS6_11use_defaultEEESI_PmS8_NS6_8equal_toIjEEEE10hipError_tPvRmT2_T3_mT4_T5_T6_T7_T8_P12ihipStream_tbENKUlT_T0_E_clISt17integral_constantIbLb1EES16_EEDaS11_S12_EUlS11_E_NS1_11comp_targetILNS1_3genE9ELNS1_11target_archE1100ELNS1_3gpuE3ELNS1_3repE0EEENS1_30default_config_static_selectorELNS0_4arch9wavefront6targetE0EEEvT1_
                                        ; -- End function
	.section	.AMDGPU.csdata,"",@progbits
; Kernel info:
; codeLenInByte = 15664
; NumSgprs: 48
; NumVgprs: 85
; ScratchSize: 0
; MemoryBound: 0
; FloatMode: 240
; IeeeMode: 1
; LDSByteSize: 15360 bytes/workgroup (compile time only)
; SGPRBlocks: 5
; VGPRBlocks: 10
; NumSGPRsForWavesPerEU: 48
; NumVGPRsForWavesPerEU: 85
; Occupancy: 16
; WaveLimiterHint : 1
; COMPUTE_PGM_RSRC2:SCRATCH_EN: 0
; COMPUTE_PGM_RSRC2:USER_SGPR: 15
; COMPUTE_PGM_RSRC2:TRAP_HANDLER: 0
; COMPUTE_PGM_RSRC2:TGID_X_EN: 1
; COMPUTE_PGM_RSRC2:TGID_Y_EN: 0
; COMPUTE_PGM_RSRC2:TGID_Z_EN: 0
; COMPUTE_PGM_RSRC2:TIDIG_COMP_CNT: 0
	.section	.text._ZN7rocprim17ROCPRIM_400000_NS6detail17trampoline_kernelINS0_14default_configENS1_29reduce_by_key_config_selectorIjiN6thrust23THRUST_200600_302600_NS4plusIiEEEEZZNS1_33reduce_by_key_impl_wrapped_configILNS1_25lookback_scan_determinismE0ES3_S9_NS6_6detail15normal_iteratorINS6_10device_ptrIjEEEENSD_INSE_IiEEEENS6_16discard_iteratorINS6_11use_defaultEEESI_PmS8_NS6_8equal_toIjEEEE10hipError_tPvRmT2_T3_mT4_T5_T6_T7_T8_P12ihipStream_tbENKUlT_T0_E_clISt17integral_constantIbLb1EES16_EEDaS11_S12_EUlS11_E_NS1_11comp_targetILNS1_3genE8ELNS1_11target_archE1030ELNS1_3gpuE2ELNS1_3repE0EEENS1_30default_config_static_selectorELNS0_4arch9wavefront6targetE0EEEvT1_,"axG",@progbits,_ZN7rocprim17ROCPRIM_400000_NS6detail17trampoline_kernelINS0_14default_configENS1_29reduce_by_key_config_selectorIjiN6thrust23THRUST_200600_302600_NS4plusIiEEEEZZNS1_33reduce_by_key_impl_wrapped_configILNS1_25lookback_scan_determinismE0ES3_S9_NS6_6detail15normal_iteratorINS6_10device_ptrIjEEEENSD_INSE_IiEEEENS6_16discard_iteratorINS6_11use_defaultEEESI_PmS8_NS6_8equal_toIjEEEE10hipError_tPvRmT2_T3_mT4_T5_T6_T7_T8_P12ihipStream_tbENKUlT_T0_E_clISt17integral_constantIbLb1EES16_EEDaS11_S12_EUlS11_E_NS1_11comp_targetILNS1_3genE8ELNS1_11target_archE1030ELNS1_3gpuE2ELNS1_3repE0EEENS1_30default_config_static_selectorELNS0_4arch9wavefront6targetE0EEEvT1_,comdat
	.protected	_ZN7rocprim17ROCPRIM_400000_NS6detail17trampoline_kernelINS0_14default_configENS1_29reduce_by_key_config_selectorIjiN6thrust23THRUST_200600_302600_NS4plusIiEEEEZZNS1_33reduce_by_key_impl_wrapped_configILNS1_25lookback_scan_determinismE0ES3_S9_NS6_6detail15normal_iteratorINS6_10device_ptrIjEEEENSD_INSE_IiEEEENS6_16discard_iteratorINS6_11use_defaultEEESI_PmS8_NS6_8equal_toIjEEEE10hipError_tPvRmT2_T3_mT4_T5_T6_T7_T8_P12ihipStream_tbENKUlT_T0_E_clISt17integral_constantIbLb1EES16_EEDaS11_S12_EUlS11_E_NS1_11comp_targetILNS1_3genE8ELNS1_11target_archE1030ELNS1_3gpuE2ELNS1_3repE0EEENS1_30default_config_static_selectorELNS0_4arch9wavefront6targetE0EEEvT1_ ; -- Begin function _ZN7rocprim17ROCPRIM_400000_NS6detail17trampoline_kernelINS0_14default_configENS1_29reduce_by_key_config_selectorIjiN6thrust23THRUST_200600_302600_NS4plusIiEEEEZZNS1_33reduce_by_key_impl_wrapped_configILNS1_25lookback_scan_determinismE0ES3_S9_NS6_6detail15normal_iteratorINS6_10device_ptrIjEEEENSD_INSE_IiEEEENS6_16discard_iteratorINS6_11use_defaultEEESI_PmS8_NS6_8equal_toIjEEEE10hipError_tPvRmT2_T3_mT4_T5_T6_T7_T8_P12ihipStream_tbENKUlT_T0_E_clISt17integral_constantIbLb1EES16_EEDaS11_S12_EUlS11_E_NS1_11comp_targetILNS1_3genE8ELNS1_11target_archE1030ELNS1_3gpuE2ELNS1_3repE0EEENS1_30default_config_static_selectorELNS0_4arch9wavefront6targetE0EEEvT1_
	.globl	_ZN7rocprim17ROCPRIM_400000_NS6detail17trampoline_kernelINS0_14default_configENS1_29reduce_by_key_config_selectorIjiN6thrust23THRUST_200600_302600_NS4plusIiEEEEZZNS1_33reduce_by_key_impl_wrapped_configILNS1_25lookback_scan_determinismE0ES3_S9_NS6_6detail15normal_iteratorINS6_10device_ptrIjEEEENSD_INSE_IiEEEENS6_16discard_iteratorINS6_11use_defaultEEESI_PmS8_NS6_8equal_toIjEEEE10hipError_tPvRmT2_T3_mT4_T5_T6_T7_T8_P12ihipStream_tbENKUlT_T0_E_clISt17integral_constantIbLb1EES16_EEDaS11_S12_EUlS11_E_NS1_11comp_targetILNS1_3genE8ELNS1_11target_archE1030ELNS1_3gpuE2ELNS1_3repE0EEENS1_30default_config_static_selectorELNS0_4arch9wavefront6targetE0EEEvT1_
	.p2align	8
	.type	_ZN7rocprim17ROCPRIM_400000_NS6detail17trampoline_kernelINS0_14default_configENS1_29reduce_by_key_config_selectorIjiN6thrust23THRUST_200600_302600_NS4plusIiEEEEZZNS1_33reduce_by_key_impl_wrapped_configILNS1_25lookback_scan_determinismE0ES3_S9_NS6_6detail15normal_iteratorINS6_10device_ptrIjEEEENSD_INSE_IiEEEENS6_16discard_iteratorINS6_11use_defaultEEESI_PmS8_NS6_8equal_toIjEEEE10hipError_tPvRmT2_T3_mT4_T5_T6_T7_T8_P12ihipStream_tbENKUlT_T0_E_clISt17integral_constantIbLb1EES16_EEDaS11_S12_EUlS11_E_NS1_11comp_targetILNS1_3genE8ELNS1_11target_archE1030ELNS1_3gpuE2ELNS1_3repE0EEENS1_30default_config_static_selectorELNS0_4arch9wavefront6targetE0EEEvT1_,@function
_ZN7rocprim17ROCPRIM_400000_NS6detail17trampoline_kernelINS0_14default_configENS1_29reduce_by_key_config_selectorIjiN6thrust23THRUST_200600_302600_NS4plusIiEEEEZZNS1_33reduce_by_key_impl_wrapped_configILNS1_25lookback_scan_determinismE0ES3_S9_NS6_6detail15normal_iteratorINS6_10device_ptrIjEEEENSD_INSE_IiEEEENS6_16discard_iteratorINS6_11use_defaultEEESI_PmS8_NS6_8equal_toIjEEEE10hipError_tPvRmT2_T3_mT4_T5_T6_T7_T8_P12ihipStream_tbENKUlT_T0_E_clISt17integral_constantIbLb1EES16_EEDaS11_S12_EUlS11_E_NS1_11comp_targetILNS1_3genE8ELNS1_11target_archE1030ELNS1_3gpuE2ELNS1_3repE0EEENS1_30default_config_static_selectorELNS0_4arch9wavefront6targetE0EEEvT1_: ; @_ZN7rocprim17ROCPRIM_400000_NS6detail17trampoline_kernelINS0_14default_configENS1_29reduce_by_key_config_selectorIjiN6thrust23THRUST_200600_302600_NS4plusIiEEEEZZNS1_33reduce_by_key_impl_wrapped_configILNS1_25lookback_scan_determinismE0ES3_S9_NS6_6detail15normal_iteratorINS6_10device_ptrIjEEEENSD_INSE_IiEEEENS6_16discard_iteratorINS6_11use_defaultEEESI_PmS8_NS6_8equal_toIjEEEE10hipError_tPvRmT2_T3_mT4_T5_T6_T7_T8_P12ihipStream_tbENKUlT_T0_E_clISt17integral_constantIbLb1EES16_EEDaS11_S12_EUlS11_E_NS1_11comp_targetILNS1_3genE8ELNS1_11target_archE1030ELNS1_3gpuE2ELNS1_3repE0EEENS1_30default_config_static_selectorELNS0_4arch9wavefront6targetE0EEEvT1_
; %bb.0:
	.section	.rodata,"a",@progbits
	.p2align	6, 0x0
	.amdhsa_kernel _ZN7rocprim17ROCPRIM_400000_NS6detail17trampoline_kernelINS0_14default_configENS1_29reduce_by_key_config_selectorIjiN6thrust23THRUST_200600_302600_NS4plusIiEEEEZZNS1_33reduce_by_key_impl_wrapped_configILNS1_25lookback_scan_determinismE0ES3_S9_NS6_6detail15normal_iteratorINS6_10device_ptrIjEEEENSD_INSE_IiEEEENS6_16discard_iteratorINS6_11use_defaultEEESI_PmS8_NS6_8equal_toIjEEEE10hipError_tPvRmT2_T3_mT4_T5_T6_T7_T8_P12ihipStream_tbENKUlT_T0_E_clISt17integral_constantIbLb1EES16_EEDaS11_S12_EUlS11_E_NS1_11comp_targetILNS1_3genE8ELNS1_11target_archE1030ELNS1_3gpuE2ELNS1_3repE0EEENS1_30default_config_static_selectorELNS0_4arch9wavefront6targetE0EEEvT1_
		.amdhsa_group_segment_fixed_size 0
		.amdhsa_private_segment_fixed_size 0
		.amdhsa_kernarg_size 128
		.amdhsa_user_sgpr_count 15
		.amdhsa_user_sgpr_dispatch_ptr 0
		.amdhsa_user_sgpr_queue_ptr 0
		.amdhsa_user_sgpr_kernarg_segment_ptr 1
		.amdhsa_user_sgpr_dispatch_id 0
		.amdhsa_user_sgpr_private_segment_size 0
		.amdhsa_wavefront_size32 1
		.amdhsa_uses_dynamic_stack 0
		.amdhsa_enable_private_segment 0
		.amdhsa_system_sgpr_workgroup_id_x 1
		.amdhsa_system_sgpr_workgroup_id_y 0
		.amdhsa_system_sgpr_workgroup_id_z 0
		.amdhsa_system_sgpr_workgroup_info 0
		.amdhsa_system_vgpr_workitem_id 0
		.amdhsa_next_free_vgpr 1
		.amdhsa_next_free_sgpr 1
		.amdhsa_reserve_vcc 0
		.amdhsa_float_round_mode_32 0
		.amdhsa_float_round_mode_16_64 0
		.amdhsa_float_denorm_mode_32 3
		.amdhsa_float_denorm_mode_16_64 3
		.amdhsa_dx10_clamp 1
		.amdhsa_ieee_mode 1
		.amdhsa_fp16_overflow 0
		.amdhsa_workgroup_processor_mode 1
		.amdhsa_memory_ordered 1
		.amdhsa_forward_progress 0
		.amdhsa_shared_vgpr_count 0
		.amdhsa_exception_fp_ieee_invalid_op 0
		.amdhsa_exception_fp_denorm_src 0
		.amdhsa_exception_fp_ieee_div_zero 0
		.amdhsa_exception_fp_ieee_overflow 0
		.amdhsa_exception_fp_ieee_underflow 0
		.amdhsa_exception_fp_ieee_inexact 0
		.amdhsa_exception_int_div_zero 0
	.end_amdhsa_kernel
	.section	.text._ZN7rocprim17ROCPRIM_400000_NS6detail17trampoline_kernelINS0_14default_configENS1_29reduce_by_key_config_selectorIjiN6thrust23THRUST_200600_302600_NS4plusIiEEEEZZNS1_33reduce_by_key_impl_wrapped_configILNS1_25lookback_scan_determinismE0ES3_S9_NS6_6detail15normal_iteratorINS6_10device_ptrIjEEEENSD_INSE_IiEEEENS6_16discard_iteratorINS6_11use_defaultEEESI_PmS8_NS6_8equal_toIjEEEE10hipError_tPvRmT2_T3_mT4_T5_T6_T7_T8_P12ihipStream_tbENKUlT_T0_E_clISt17integral_constantIbLb1EES16_EEDaS11_S12_EUlS11_E_NS1_11comp_targetILNS1_3genE8ELNS1_11target_archE1030ELNS1_3gpuE2ELNS1_3repE0EEENS1_30default_config_static_selectorELNS0_4arch9wavefront6targetE0EEEvT1_,"axG",@progbits,_ZN7rocprim17ROCPRIM_400000_NS6detail17trampoline_kernelINS0_14default_configENS1_29reduce_by_key_config_selectorIjiN6thrust23THRUST_200600_302600_NS4plusIiEEEEZZNS1_33reduce_by_key_impl_wrapped_configILNS1_25lookback_scan_determinismE0ES3_S9_NS6_6detail15normal_iteratorINS6_10device_ptrIjEEEENSD_INSE_IiEEEENS6_16discard_iteratorINS6_11use_defaultEEESI_PmS8_NS6_8equal_toIjEEEE10hipError_tPvRmT2_T3_mT4_T5_T6_T7_T8_P12ihipStream_tbENKUlT_T0_E_clISt17integral_constantIbLb1EES16_EEDaS11_S12_EUlS11_E_NS1_11comp_targetILNS1_3genE8ELNS1_11target_archE1030ELNS1_3gpuE2ELNS1_3repE0EEENS1_30default_config_static_selectorELNS0_4arch9wavefront6targetE0EEEvT1_,comdat
.Lfunc_end1038:
	.size	_ZN7rocprim17ROCPRIM_400000_NS6detail17trampoline_kernelINS0_14default_configENS1_29reduce_by_key_config_selectorIjiN6thrust23THRUST_200600_302600_NS4plusIiEEEEZZNS1_33reduce_by_key_impl_wrapped_configILNS1_25lookback_scan_determinismE0ES3_S9_NS6_6detail15normal_iteratorINS6_10device_ptrIjEEEENSD_INSE_IiEEEENS6_16discard_iteratorINS6_11use_defaultEEESI_PmS8_NS6_8equal_toIjEEEE10hipError_tPvRmT2_T3_mT4_T5_T6_T7_T8_P12ihipStream_tbENKUlT_T0_E_clISt17integral_constantIbLb1EES16_EEDaS11_S12_EUlS11_E_NS1_11comp_targetILNS1_3genE8ELNS1_11target_archE1030ELNS1_3gpuE2ELNS1_3repE0EEENS1_30default_config_static_selectorELNS0_4arch9wavefront6targetE0EEEvT1_, .Lfunc_end1038-_ZN7rocprim17ROCPRIM_400000_NS6detail17trampoline_kernelINS0_14default_configENS1_29reduce_by_key_config_selectorIjiN6thrust23THRUST_200600_302600_NS4plusIiEEEEZZNS1_33reduce_by_key_impl_wrapped_configILNS1_25lookback_scan_determinismE0ES3_S9_NS6_6detail15normal_iteratorINS6_10device_ptrIjEEEENSD_INSE_IiEEEENS6_16discard_iteratorINS6_11use_defaultEEESI_PmS8_NS6_8equal_toIjEEEE10hipError_tPvRmT2_T3_mT4_T5_T6_T7_T8_P12ihipStream_tbENKUlT_T0_E_clISt17integral_constantIbLb1EES16_EEDaS11_S12_EUlS11_E_NS1_11comp_targetILNS1_3genE8ELNS1_11target_archE1030ELNS1_3gpuE2ELNS1_3repE0EEENS1_30default_config_static_selectorELNS0_4arch9wavefront6targetE0EEEvT1_
                                        ; -- End function
	.section	.AMDGPU.csdata,"",@progbits
; Kernel info:
; codeLenInByte = 0
; NumSgprs: 0
; NumVgprs: 0
; ScratchSize: 0
; MemoryBound: 0
; FloatMode: 240
; IeeeMode: 1
; LDSByteSize: 0 bytes/workgroup (compile time only)
; SGPRBlocks: 0
; VGPRBlocks: 0
; NumSGPRsForWavesPerEU: 1
; NumVGPRsForWavesPerEU: 1
; Occupancy: 16
; WaveLimiterHint : 0
; COMPUTE_PGM_RSRC2:SCRATCH_EN: 0
; COMPUTE_PGM_RSRC2:USER_SGPR: 15
; COMPUTE_PGM_RSRC2:TRAP_HANDLER: 0
; COMPUTE_PGM_RSRC2:TGID_X_EN: 1
; COMPUTE_PGM_RSRC2:TGID_Y_EN: 0
; COMPUTE_PGM_RSRC2:TGID_Z_EN: 0
; COMPUTE_PGM_RSRC2:TIDIG_COMP_CNT: 0
	.section	.text._ZN7rocprim17ROCPRIM_400000_NS6detail17trampoline_kernelINS0_14default_configENS1_29reduce_by_key_config_selectorIjiN6thrust23THRUST_200600_302600_NS4plusIiEEEEZZNS1_33reduce_by_key_impl_wrapped_configILNS1_25lookback_scan_determinismE0ES3_S9_NS6_6detail15normal_iteratorINS6_10device_ptrIjEEEENSD_INSE_IiEEEENS6_16discard_iteratorINS6_11use_defaultEEESI_PmS8_NS6_8equal_toIjEEEE10hipError_tPvRmT2_T3_mT4_T5_T6_T7_T8_P12ihipStream_tbENKUlT_T0_E_clISt17integral_constantIbLb1EES15_IbLb0EEEEDaS11_S12_EUlS11_E_NS1_11comp_targetILNS1_3genE0ELNS1_11target_archE4294967295ELNS1_3gpuE0ELNS1_3repE0EEENS1_30default_config_static_selectorELNS0_4arch9wavefront6targetE0EEEvT1_,"axG",@progbits,_ZN7rocprim17ROCPRIM_400000_NS6detail17trampoline_kernelINS0_14default_configENS1_29reduce_by_key_config_selectorIjiN6thrust23THRUST_200600_302600_NS4plusIiEEEEZZNS1_33reduce_by_key_impl_wrapped_configILNS1_25lookback_scan_determinismE0ES3_S9_NS6_6detail15normal_iteratorINS6_10device_ptrIjEEEENSD_INSE_IiEEEENS6_16discard_iteratorINS6_11use_defaultEEESI_PmS8_NS6_8equal_toIjEEEE10hipError_tPvRmT2_T3_mT4_T5_T6_T7_T8_P12ihipStream_tbENKUlT_T0_E_clISt17integral_constantIbLb1EES15_IbLb0EEEEDaS11_S12_EUlS11_E_NS1_11comp_targetILNS1_3genE0ELNS1_11target_archE4294967295ELNS1_3gpuE0ELNS1_3repE0EEENS1_30default_config_static_selectorELNS0_4arch9wavefront6targetE0EEEvT1_,comdat
	.protected	_ZN7rocprim17ROCPRIM_400000_NS6detail17trampoline_kernelINS0_14default_configENS1_29reduce_by_key_config_selectorIjiN6thrust23THRUST_200600_302600_NS4plusIiEEEEZZNS1_33reduce_by_key_impl_wrapped_configILNS1_25lookback_scan_determinismE0ES3_S9_NS6_6detail15normal_iteratorINS6_10device_ptrIjEEEENSD_INSE_IiEEEENS6_16discard_iteratorINS6_11use_defaultEEESI_PmS8_NS6_8equal_toIjEEEE10hipError_tPvRmT2_T3_mT4_T5_T6_T7_T8_P12ihipStream_tbENKUlT_T0_E_clISt17integral_constantIbLb1EES15_IbLb0EEEEDaS11_S12_EUlS11_E_NS1_11comp_targetILNS1_3genE0ELNS1_11target_archE4294967295ELNS1_3gpuE0ELNS1_3repE0EEENS1_30default_config_static_selectorELNS0_4arch9wavefront6targetE0EEEvT1_ ; -- Begin function _ZN7rocprim17ROCPRIM_400000_NS6detail17trampoline_kernelINS0_14default_configENS1_29reduce_by_key_config_selectorIjiN6thrust23THRUST_200600_302600_NS4plusIiEEEEZZNS1_33reduce_by_key_impl_wrapped_configILNS1_25lookback_scan_determinismE0ES3_S9_NS6_6detail15normal_iteratorINS6_10device_ptrIjEEEENSD_INSE_IiEEEENS6_16discard_iteratorINS6_11use_defaultEEESI_PmS8_NS6_8equal_toIjEEEE10hipError_tPvRmT2_T3_mT4_T5_T6_T7_T8_P12ihipStream_tbENKUlT_T0_E_clISt17integral_constantIbLb1EES15_IbLb0EEEEDaS11_S12_EUlS11_E_NS1_11comp_targetILNS1_3genE0ELNS1_11target_archE4294967295ELNS1_3gpuE0ELNS1_3repE0EEENS1_30default_config_static_selectorELNS0_4arch9wavefront6targetE0EEEvT1_
	.globl	_ZN7rocprim17ROCPRIM_400000_NS6detail17trampoline_kernelINS0_14default_configENS1_29reduce_by_key_config_selectorIjiN6thrust23THRUST_200600_302600_NS4plusIiEEEEZZNS1_33reduce_by_key_impl_wrapped_configILNS1_25lookback_scan_determinismE0ES3_S9_NS6_6detail15normal_iteratorINS6_10device_ptrIjEEEENSD_INSE_IiEEEENS6_16discard_iteratorINS6_11use_defaultEEESI_PmS8_NS6_8equal_toIjEEEE10hipError_tPvRmT2_T3_mT4_T5_T6_T7_T8_P12ihipStream_tbENKUlT_T0_E_clISt17integral_constantIbLb1EES15_IbLb0EEEEDaS11_S12_EUlS11_E_NS1_11comp_targetILNS1_3genE0ELNS1_11target_archE4294967295ELNS1_3gpuE0ELNS1_3repE0EEENS1_30default_config_static_selectorELNS0_4arch9wavefront6targetE0EEEvT1_
	.p2align	8
	.type	_ZN7rocprim17ROCPRIM_400000_NS6detail17trampoline_kernelINS0_14default_configENS1_29reduce_by_key_config_selectorIjiN6thrust23THRUST_200600_302600_NS4plusIiEEEEZZNS1_33reduce_by_key_impl_wrapped_configILNS1_25lookback_scan_determinismE0ES3_S9_NS6_6detail15normal_iteratorINS6_10device_ptrIjEEEENSD_INSE_IiEEEENS6_16discard_iteratorINS6_11use_defaultEEESI_PmS8_NS6_8equal_toIjEEEE10hipError_tPvRmT2_T3_mT4_T5_T6_T7_T8_P12ihipStream_tbENKUlT_T0_E_clISt17integral_constantIbLb1EES15_IbLb0EEEEDaS11_S12_EUlS11_E_NS1_11comp_targetILNS1_3genE0ELNS1_11target_archE4294967295ELNS1_3gpuE0ELNS1_3repE0EEENS1_30default_config_static_selectorELNS0_4arch9wavefront6targetE0EEEvT1_,@function
_ZN7rocprim17ROCPRIM_400000_NS6detail17trampoline_kernelINS0_14default_configENS1_29reduce_by_key_config_selectorIjiN6thrust23THRUST_200600_302600_NS4plusIiEEEEZZNS1_33reduce_by_key_impl_wrapped_configILNS1_25lookback_scan_determinismE0ES3_S9_NS6_6detail15normal_iteratorINS6_10device_ptrIjEEEENSD_INSE_IiEEEENS6_16discard_iteratorINS6_11use_defaultEEESI_PmS8_NS6_8equal_toIjEEEE10hipError_tPvRmT2_T3_mT4_T5_T6_T7_T8_P12ihipStream_tbENKUlT_T0_E_clISt17integral_constantIbLb1EES15_IbLb0EEEEDaS11_S12_EUlS11_E_NS1_11comp_targetILNS1_3genE0ELNS1_11target_archE4294967295ELNS1_3gpuE0ELNS1_3repE0EEENS1_30default_config_static_selectorELNS0_4arch9wavefront6targetE0EEEvT1_: ; @_ZN7rocprim17ROCPRIM_400000_NS6detail17trampoline_kernelINS0_14default_configENS1_29reduce_by_key_config_selectorIjiN6thrust23THRUST_200600_302600_NS4plusIiEEEEZZNS1_33reduce_by_key_impl_wrapped_configILNS1_25lookback_scan_determinismE0ES3_S9_NS6_6detail15normal_iteratorINS6_10device_ptrIjEEEENSD_INSE_IiEEEENS6_16discard_iteratorINS6_11use_defaultEEESI_PmS8_NS6_8equal_toIjEEEE10hipError_tPvRmT2_T3_mT4_T5_T6_T7_T8_P12ihipStream_tbENKUlT_T0_E_clISt17integral_constantIbLb1EES15_IbLb0EEEEDaS11_S12_EUlS11_E_NS1_11comp_targetILNS1_3genE0ELNS1_11target_archE4294967295ELNS1_3gpuE0ELNS1_3repE0EEENS1_30default_config_static_selectorELNS0_4arch9wavefront6targetE0EEEvT1_
; %bb.0:
	.section	.rodata,"a",@progbits
	.p2align	6, 0x0
	.amdhsa_kernel _ZN7rocprim17ROCPRIM_400000_NS6detail17trampoline_kernelINS0_14default_configENS1_29reduce_by_key_config_selectorIjiN6thrust23THRUST_200600_302600_NS4plusIiEEEEZZNS1_33reduce_by_key_impl_wrapped_configILNS1_25lookback_scan_determinismE0ES3_S9_NS6_6detail15normal_iteratorINS6_10device_ptrIjEEEENSD_INSE_IiEEEENS6_16discard_iteratorINS6_11use_defaultEEESI_PmS8_NS6_8equal_toIjEEEE10hipError_tPvRmT2_T3_mT4_T5_T6_T7_T8_P12ihipStream_tbENKUlT_T0_E_clISt17integral_constantIbLb1EES15_IbLb0EEEEDaS11_S12_EUlS11_E_NS1_11comp_targetILNS1_3genE0ELNS1_11target_archE4294967295ELNS1_3gpuE0ELNS1_3repE0EEENS1_30default_config_static_selectorELNS0_4arch9wavefront6targetE0EEEvT1_
		.amdhsa_group_segment_fixed_size 0
		.amdhsa_private_segment_fixed_size 0
		.amdhsa_kernarg_size 128
		.amdhsa_user_sgpr_count 15
		.amdhsa_user_sgpr_dispatch_ptr 0
		.amdhsa_user_sgpr_queue_ptr 0
		.amdhsa_user_sgpr_kernarg_segment_ptr 1
		.amdhsa_user_sgpr_dispatch_id 0
		.amdhsa_user_sgpr_private_segment_size 0
		.amdhsa_wavefront_size32 1
		.amdhsa_uses_dynamic_stack 0
		.amdhsa_enable_private_segment 0
		.amdhsa_system_sgpr_workgroup_id_x 1
		.amdhsa_system_sgpr_workgroup_id_y 0
		.amdhsa_system_sgpr_workgroup_id_z 0
		.amdhsa_system_sgpr_workgroup_info 0
		.amdhsa_system_vgpr_workitem_id 0
		.amdhsa_next_free_vgpr 1
		.amdhsa_next_free_sgpr 1
		.amdhsa_reserve_vcc 0
		.amdhsa_float_round_mode_32 0
		.amdhsa_float_round_mode_16_64 0
		.amdhsa_float_denorm_mode_32 3
		.amdhsa_float_denorm_mode_16_64 3
		.amdhsa_dx10_clamp 1
		.amdhsa_ieee_mode 1
		.amdhsa_fp16_overflow 0
		.amdhsa_workgroup_processor_mode 1
		.amdhsa_memory_ordered 1
		.amdhsa_forward_progress 0
		.amdhsa_shared_vgpr_count 0
		.amdhsa_exception_fp_ieee_invalid_op 0
		.amdhsa_exception_fp_denorm_src 0
		.amdhsa_exception_fp_ieee_div_zero 0
		.amdhsa_exception_fp_ieee_overflow 0
		.amdhsa_exception_fp_ieee_underflow 0
		.amdhsa_exception_fp_ieee_inexact 0
		.amdhsa_exception_int_div_zero 0
	.end_amdhsa_kernel
	.section	.text._ZN7rocprim17ROCPRIM_400000_NS6detail17trampoline_kernelINS0_14default_configENS1_29reduce_by_key_config_selectorIjiN6thrust23THRUST_200600_302600_NS4plusIiEEEEZZNS1_33reduce_by_key_impl_wrapped_configILNS1_25lookback_scan_determinismE0ES3_S9_NS6_6detail15normal_iteratorINS6_10device_ptrIjEEEENSD_INSE_IiEEEENS6_16discard_iteratorINS6_11use_defaultEEESI_PmS8_NS6_8equal_toIjEEEE10hipError_tPvRmT2_T3_mT4_T5_T6_T7_T8_P12ihipStream_tbENKUlT_T0_E_clISt17integral_constantIbLb1EES15_IbLb0EEEEDaS11_S12_EUlS11_E_NS1_11comp_targetILNS1_3genE0ELNS1_11target_archE4294967295ELNS1_3gpuE0ELNS1_3repE0EEENS1_30default_config_static_selectorELNS0_4arch9wavefront6targetE0EEEvT1_,"axG",@progbits,_ZN7rocprim17ROCPRIM_400000_NS6detail17trampoline_kernelINS0_14default_configENS1_29reduce_by_key_config_selectorIjiN6thrust23THRUST_200600_302600_NS4plusIiEEEEZZNS1_33reduce_by_key_impl_wrapped_configILNS1_25lookback_scan_determinismE0ES3_S9_NS6_6detail15normal_iteratorINS6_10device_ptrIjEEEENSD_INSE_IiEEEENS6_16discard_iteratorINS6_11use_defaultEEESI_PmS8_NS6_8equal_toIjEEEE10hipError_tPvRmT2_T3_mT4_T5_T6_T7_T8_P12ihipStream_tbENKUlT_T0_E_clISt17integral_constantIbLb1EES15_IbLb0EEEEDaS11_S12_EUlS11_E_NS1_11comp_targetILNS1_3genE0ELNS1_11target_archE4294967295ELNS1_3gpuE0ELNS1_3repE0EEENS1_30default_config_static_selectorELNS0_4arch9wavefront6targetE0EEEvT1_,comdat
.Lfunc_end1039:
	.size	_ZN7rocprim17ROCPRIM_400000_NS6detail17trampoline_kernelINS0_14default_configENS1_29reduce_by_key_config_selectorIjiN6thrust23THRUST_200600_302600_NS4plusIiEEEEZZNS1_33reduce_by_key_impl_wrapped_configILNS1_25lookback_scan_determinismE0ES3_S9_NS6_6detail15normal_iteratorINS6_10device_ptrIjEEEENSD_INSE_IiEEEENS6_16discard_iteratorINS6_11use_defaultEEESI_PmS8_NS6_8equal_toIjEEEE10hipError_tPvRmT2_T3_mT4_T5_T6_T7_T8_P12ihipStream_tbENKUlT_T0_E_clISt17integral_constantIbLb1EES15_IbLb0EEEEDaS11_S12_EUlS11_E_NS1_11comp_targetILNS1_3genE0ELNS1_11target_archE4294967295ELNS1_3gpuE0ELNS1_3repE0EEENS1_30default_config_static_selectorELNS0_4arch9wavefront6targetE0EEEvT1_, .Lfunc_end1039-_ZN7rocprim17ROCPRIM_400000_NS6detail17trampoline_kernelINS0_14default_configENS1_29reduce_by_key_config_selectorIjiN6thrust23THRUST_200600_302600_NS4plusIiEEEEZZNS1_33reduce_by_key_impl_wrapped_configILNS1_25lookback_scan_determinismE0ES3_S9_NS6_6detail15normal_iteratorINS6_10device_ptrIjEEEENSD_INSE_IiEEEENS6_16discard_iteratorINS6_11use_defaultEEESI_PmS8_NS6_8equal_toIjEEEE10hipError_tPvRmT2_T3_mT4_T5_T6_T7_T8_P12ihipStream_tbENKUlT_T0_E_clISt17integral_constantIbLb1EES15_IbLb0EEEEDaS11_S12_EUlS11_E_NS1_11comp_targetILNS1_3genE0ELNS1_11target_archE4294967295ELNS1_3gpuE0ELNS1_3repE0EEENS1_30default_config_static_selectorELNS0_4arch9wavefront6targetE0EEEvT1_
                                        ; -- End function
	.section	.AMDGPU.csdata,"",@progbits
; Kernel info:
; codeLenInByte = 0
; NumSgprs: 0
; NumVgprs: 0
; ScratchSize: 0
; MemoryBound: 0
; FloatMode: 240
; IeeeMode: 1
; LDSByteSize: 0 bytes/workgroup (compile time only)
; SGPRBlocks: 0
; VGPRBlocks: 0
; NumSGPRsForWavesPerEU: 1
; NumVGPRsForWavesPerEU: 1
; Occupancy: 16
; WaveLimiterHint : 0
; COMPUTE_PGM_RSRC2:SCRATCH_EN: 0
; COMPUTE_PGM_RSRC2:USER_SGPR: 15
; COMPUTE_PGM_RSRC2:TRAP_HANDLER: 0
; COMPUTE_PGM_RSRC2:TGID_X_EN: 1
; COMPUTE_PGM_RSRC2:TGID_Y_EN: 0
; COMPUTE_PGM_RSRC2:TGID_Z_EN: 0
; COMPUTE_PGM_RSRC2:TIDIG_COMP_CNT: 0
	.section	.text._ZN7rocprim17ROCPRIM_400000_NS6detail17trampoline_kernelINS0_14default_configENS1_29reduce_by_key_config_selectorIjiN6thrust23THRUST_200600_302600_NS4plusIiEEEEZZNS1_33reduce_by_key_impl_wrapped_configILNS1_25lookback_scan_determinismE0ES3_S9_NS6_6detail15normal_iteratorINS6_10device_ptrIjEEEENSD_INSE_IiEEEENS6_16discard_iteratorINS6_11use_defaultEEESI_PmS8_NS6_8equal_toIjEEEE10hipError_tPvRmT2_T3_mT4_T5_T6_T7_T8_P12ihipStream_tbENKUlT_T0_E_clISt17integral_constantIbLb1EES15_IbLb0EEEEDaS11_S12_EUlS11_E_NS1_11comp_targetILNS1_3genE5ELNS1_11target_archE942ELNS1_3gpuE9ELNS1_3repE0EEENS1_30default_config_static_selectorELNS0_4arch9wavefront6targetE0EEEvT1_,"axG",@progbits,_ZN7rocprim17ROCPRIM_400000_NS6detail17trampoline_kernelINS0_14default_configENS1_29reduce_by_key_config_selectorIjiN6thrust23THRUST_200600_302600_NS4plusIiEEEEZZNS1_33reduce_by_key_impl_wrapped_configILNS1_25lookback_scan_determinismE0ES3_S9_NS6_6detail15normal_iteratorINS6_10device_ptrIjEEEENSD_INSE_IiEEEENS6_16discard_iteratorINS6_11use_defaultEEESI_PmS8_NS6_8equal_toIjEEEE10hipError_tPvRmT2_T3_mT4_T5_T6_T7_T8_P12ihipStream_tbENKUlT_T0_E_clISt17integral_constantIbLb1EES15_IbLb0EEEEDaS11_S12_EUlS11_E_NS1_11comp_targetILNS1_3genE5ELNS1_11target_archE942ELNS1_3gpuE9ELNS1_3repE0EEENS1_30default_config_static_selectorELNS0_4arch9wavefront6targetE0EEEvT1_,comdat
	.protected	_ZN7rocprim17ROCPRIM_400000_NS6detail17trampoline_kernelINS0_14default_configENS1_29reduce_by_key_config_selectorIjiN6thrust23THRUST_200600_302600_NS4plusIiEEEEZZNS1_33reduce_by_key_impl_wrapped_configILNS1_25lookback_scan_determinismE0ES3_S9_NS6_6detail15normal_iteratorINS6_10device_ptrIjEEEENSD_INSE_IiEEEENS6_16discard_iteratorINS6_11use_defaultEEESI_PmS8_NS6_8equal_toIjEEEE10hipError_tPvRmT2_T3_mT4_T5_T6_T7_T8_P12ihipStream_tbENKUlT_T0_E_clISt17integral_constantIbLb1EES15_IbLb0EEEEDaS11_S12_EUlS11_E_NS1_11comp_targetILNS1_3genE5ELNS1_11target_archE942ELNS1_3gpuE9ELNS1_3repE0EEENS1_30default_config_static_selectorELNS0_4arch9wavefront6targetE0EEEvT1_ ; -- Begin function _ZN7rocprim17ROCPRIM_400000_NS6detail17trampoline_kernelINS0_14default_configENS1_29reduce_by_key_config_selectorIjiN6thrust23THRUST_200600_302600_NS4plusIiEEEEZZNS1_33reduce_by_key_impl_wrapped_configILNS1_25lookback_scan_determinismE0ES3_S9_NS6_6detail15normal_iteratorINS6_10device_ptrIjEEEENSD_INSE_IiEEEENS6_16discard_iteratorINS6_11use_defaultEEESI_PmS8_NS6_8equal_toIjEEEE10hipError_tPvRmT2_T3_mT4_T5_T6_T7_T8_P12ihipStream_tbENKUlT_T0_E_clISt17integral_constantIbLb1EES15_IbLb0EEEEDaS11_S12_EUlS11_E_NS1_11comp_targetILNS1_3genE5ELNS1_11target_archE942ELNS1_3gpuE9ELNS1_3repE0EEENS1_30default_config_static_selectorELNS0_4arch9wavefront6targetE0EEEvT1_
	.globl	_ZN7rocprim17ROCPRIM_400000_NS6detail17trampoline_kernelINS0_14default_configENS1_29reduce_by_key_config_selectorIjiN6thrust23THRUST_200600_302600_NS4plusIiEEEEZZNS1_33reduce_by_key_impl_wrapped_configILNS1_25lookback_scan_determinismE0ES3_S9_NS6_6detail15normal_iteratorINS6_10device_ptrIjEEEENSD_INSE_IiEEEENS6_16discard_iteratorINS6_11use_defaultEEESI_PmS8_NS6_8equal_toIjEEEE10hipError_tPvRmT2_T3_mT4_T5_T6_T7_T8_P12ihipStream_tbENKUlT_T0_E_clISt17integral_constantIbLb1EES15_IbLb0EEEEDaS11_S12_EUlS11_E_NS1_11comp_targetILNS1_3genE5ELNS1_11target_archE942ELNS1_3gpuE9ELNS1_3repE0EEENS1_30default_config_static_selectorELNS0_4arch9wavefront6targetE0EEEvT1_
	.p2align	8
	.type	_ZN7rocprim17ROCPRIM_400000_NS6detail17trampoline_kernelINS0_14default_configENS1_29reduce_by_key_config_selectorIjiN6thrust23THRUST_200600_302600_NS4plusIiEEEEZZNS1_33reduce_by_key_impl_wrapped_configILNS1_25lookback_scan_determinismE0ES3_S9_NS6_6detail15normal_iteratorINS6_10device_ptrIjEEEENSD_INSE_IiEEEENS6_16discard_iteratorINS6_11use_defaultEEESI_PmS8_NS6_8equal_toIjEEEE10hipError_tPvRmT2_T3_mT4_T5_T6_T7_T8_P12ihipStream_tbENKUlT_T0_E_clISt17integral_constantIbLb1EES15_IbLb0EEEEDaS11_S12_EUlS11_E_NS1_11comp_targetILNS1_3genE5ELNS1_11target_archE942ELNS1_3gpuE9ELNS1_3repE0EEENS1_30default_config_static_selectorELNS0_4arch9wavefront6targetE0EEEvT1_,@function
_ZN7rocprim17ROCPRIM_400000_NS6detail17trampoline_kernelINS0_14default_configENS1_29reduce_by_key_config_selectorIjiN6thrust23THRUST_200600_302600_NS4plusIiEEEEZZNS1_33reduce_by_key_impl_wrapped_configILNS1_25lookback_scan_determinismE0ES3_S9_NS6_6detail15normal_iteratorINS6_10device_ptrIjEEEENSD_INSE_IiEEEENS6_16discard_iteratorINS6_11use_defaultEEESI_PmS8_NS6_8equal_toIjEEEE10hipError_tPvRmT2_T3_mT4_T5_T6_T7_T8_P12ihipStream_tbENKUlT_T0_E_clISt17integral_constantIbLb1EES15_IbLb0EEEEDaS11_S12_EUlS11_E_NS1_11comp_targetILNS1_3genE5ELNS1_11target_archE942ELNS1_3gpuE9ELNS1_3repE0EEENS1_30default_config_static_selectorELNS0_4arch9wavefront6targetE0EEEvT1_: ; @_ZN7rocprim17ROCPRIM_400000_NS6detail17trampoline_kernelINS0_14default_configENS1_29reduce_by_key_config_selectorIjiN6thrust23THRUST_200600_302600_NS4plusIiEEEEZZNS1_33reduce_by_key_impl_wrapped_configILNS1_25lookback_scan_determinismE0ES3_S9_NS6_6detail15normal_iteratorINS6_10device_ptrIjEEEENSD_INSE_IiEEEENS6_16discard_iteratorINS6_11use_defaultEEESI_PmS8_NS6_8equal_toIjEEEE10hipError_tPvRmT2_T3_mT4_T5_T6_T7_T8_P12ihipStream_tbENKUlT_T0_E_clISt17integral_constantIbLb1EES15_IbLb0EEEEDaS11_S12_EUlS11_E_NS1_11comp_targetILNS1_3genE5ELNS1_11target_archE942ELNS1_3gpuE9ELNS1_3repE0EEENS1_30default_config_static_selectorELNS0_4arch9wavefront6targetE0EEEvT1_
; %bb.0:
	.section	.rodata,"a",@progbits
	.p2align	6, 0x0
	.amdhsa_kernel _ZN7rocprim17ROCPRIM_400000_NS6detail17trampoline_kernelINS0_14default_configENS1_29reduce_by_key_config_selectorIjiN6thrust23THRUST_200600_302600_NS4plusIiEEEEZZNS1_33reduce_by_key_impl_wrapped_configILNS1_25lookback_scan_determinismE0ES3_S9_NS6_6detail15normal_iteratorINS6_10device_ptrIjEEEENSD_INSE_IiEEEENS6_16discard_iteratorINS6_11use_defaultEEESI_PmS8_NS6_8equal_toIjEEEE10hipError_tPvRmT2_T3_mT4_T5_T6_T7_T8_P12ihipStream_tbENKUlT_T0_E_clISt17integral_constantIbLb1EES15_IbLb0EEEEDaS11_S12_EUlS11_E_NS1_11comp_targetILNS1_3genE5ELNS1_11target_archE942ELNS1_3gpuE9ELNS1_3repE0EEENS1_30default_config_static_selectorELNS0_4arch9wavefront6targetE0EEEvT1_
		.amdhsa_group_segment_fixed_size 0
		.amdhsa_private_segment_fixed_size 0
		.amdhsa_kernarg_size 128
		.amdhsa_user_sgpr_count 15
		.amdhsa_user_sgpr_dispatch_ptr 0
		.amdhsa_user_sgpr_queue_ptr 0
		.amdhsa_user_sgpr_kernarg_segment_ptr 1
		.amdhsa_user_sgpr_dispatch_id 0
		.amdhsa_user_sgpr_private_segment_size 0
		.amdhsa_wavefront_size32 1
		.amdhsa_uses_dynamic_stack 0
		.amdhsa_enable_private_segment 0
		.amdhsa_system_sgpr_workgroup_id_x 1
		.amdhsa_system_sgpr_workgroup_id_y 0
		.amdhsa_system_sgpr_workgroup_id_z 0
		.amdhsa_system_sgpr_workgroup_info 0
		.amdhsa_system_vgpr_workitem_id 0
		.amdhsa_next_free_vgpr 1
		.amdhsa_next_free_sgpr 1
		.amdhsa_reserve_vcc 0
		.amdhsa_float_round_mode_32 0
		.amdhsa_float_round_mode_16_64 0
		.amdhsa_float_denorm_mode_32 3
		.amdhsa_float_denorm_mode_16_64 3
		.amdhsa_dx10_clamp 1
		.amdhsa_ieee_mode 1
		.amdhsa_fp16_overflow 0
		.amdhsa_workgroup_processor_mode 1
		.amdhsa_memory_ordered 1
		.amdhsa_forward_progress 0
		.amdhsa_shared_vgpr_count 0
		.amdhsa_exception_fp_ieee_invalid_op 0
		.amdhsa_exception_fp_denorm_src 0
		.amdhsa_exception_fp_ieee_div_zero 0
		.amdhsa_exception_fp_ieee_overflow 0
		.amdhsa_exception_fp_ieee_underflow 0
		.amdhsa_exception_fp_ieee_inexact 0
		.amdhsa_exception_int_div_zero 0
	.end_amdhsa_kernel
	.section	.text._ZN7rocprim17ROCPRIM_400000_NS6detail17trampoline_kernelINS0_14default_configENS1_29reduce_by_key_config_selectorIjiN6thrust23THRUST_200600_302600_NS4plusIiEEEEZZNS1_33reduce_by_key_impl_wrapped_configILNS1_25lookback_scan_determinismE0ES3_S9_NS6_6detail15normal_iteratorINS6_10device_ptrIjEEEENSD_INSE_IiEEEENS6_16discard_iteratorINS6_11use_defaultEEESI_PmS8_NS6_8equal_toIjEEEE10hipError_tPvRmT2_T3_mT4_T5_T6_T7_T8_P12ihipStream_tbENKUlT_T0_E_clISt17integral_constantIbLb1EES15_IbLb0EEEEDaS11_S12_EUlS11_E_NS1_11comp_targetILNS1_3genE5ELNS1_11target_archE942ELNS1_3gpuE9ELNS1_3repE0EEENS1_30default_config_static_selectorELNS0_4arch9wavefront6targetE0EEEvT1_,"axG",@progbits,_ZN7rocprim17ROCPRIM_400000_NS6detail17trampoline_kernelINS0_14default_configENS1_29reduce_by_key_config_selectorIjiN6thrust23THRUST_200600_302600_NS4plusIiEEEEZZNS1_33reduce_by_key_impl_wrapped_configILNS1_25lookback_scan_determinismE0ES3_S9_NS6_6detail15normal_iteratorINS6_10device_ptrIjEEEENSD_INSE_IiEEEENS6_16discard_iteratorINS6_11use_defaultEEESI_PmS8_NS6_8equal_toIjEEEE10hipError_tPvRmT2_T3_mT4_T5_T6_T7_T8_P12ihipStream_tbENKUlT_T0_E_clISt17integral_constantIbLb1EES15_IbLb0EEEEDaS11_S12_EUlS11_E_NS1_11comp_targetILNS1_3genE5ELNS1_11target_archE942ELNS1_3gpuE9ELNS1_3repE0EEENS1_30default_config_static_selectorELNS0_4arch9wavefront6targetE0EEEvT1_,comdat
.Lfunc_end1040:
	.size	_ZN7rocprim17ROCPRIM_400000_NS6detail17trampoline_kernelINS0_14default_configENS1_29reduce_by_key_config_selectorIjiN6thrust23THRUST_200600_302600_NS4plusIiEEEEZZNS1_33reduce_by_key_impl_wrapped_configILNS1_25lookback_scan_determinismE0ES3_S9_NS6_6detail15normal_iteratorINS6_10device_ptrIjEEEENSD_INSE_IiEEEENS6_16discard_iteratorINS6_11use_defaultEEESI_PmS8_NS6_8equal_toIjEEEE10hipError_tPvRmT2_T3_mT4_T5_T6_T7_T8_P12ihipStream_tbENKUlT_T0_E_clISt17integral_constantIbLb1EES15_IbLb0EEEEDaS11_S12_EUlS11_E_NS1_11comp_targetILNS1_3genE5ELNS1_11target_archE942ELNS1_3gpuE9ELNS1_3repE0EEENS1_30default_config_static_selectorELNS0_4arch9wavefront6targetE0EEEvT1_, .Lfunc_end1040-_ZN7rocprim17ROCPRIM_400000_NS6detail17trampoline_kernelINS0_14default_configENS1_29reduce_by_key_config_selectorIjiN6thrust23THRUST_200600_302600_NS4plusIiEEEEZZNS1_33reduce_by_key_impl_wrapped_configILNS1_25lookback_scan_determinismE0ES3_S9_NS6_6detail15normal_iteratorINS6_10device_ptrIjEEEENSD_INSE_IiEEEENS6_16discard_iteratorINS6_11use_defaultEEESI_PmS8_NS6_8equal_toIjEEEE10hipError_tPvRmT2_T3_mT4_T5_T6_T7_T8_P12ihipStream_tbENKUlT_T0_E_clISt17integral_constantIbLb1EES15_IbLb0EEEEDaS11_S12_EUlS11_E_NS1_11comp_targetILNS1_3genE5ELNS1_11target_archE942ELNS1_3gpuE9ELNS1_3repE0EEENS1_30default_config_static_selectorELNS0_4arch9wavefront6targetE0EEEvT1_
                                        ; -- End function
	.section	.AMDGPU.csdata,"",@progbits
; Kernel info:
; codeLenInByte = 0
; NumSgprs: 0
; NumVgprs: 0
; ScratchSize: 0
; MemoryBound: 0
; FloatMode: 240
; IeeeMode: 1
; LDSByteSize: 0 bytes/workgroup (compile time only)
; SGPRBlocks: 0
; VGPRBlocks: 0
; NumSGPRsForWavesPerEU: 1
; NumVGPRsForWavesPerEU: 1
; Occupancy: 16
; WaveLimiterHint : 0
; COMPUTE_PGM_RSRC2:SCRATCH_EN: 0
; COMPUTE_PGM_RSRC2:USER_SGPR: 15
; COMPUTE_PGM_RSRC2:TRAP_HANDLER: 0
; COMPUTE_PGM_RSRC2:TGID_X_EN: 1
; COMPUTE_PGM_RSRC2:TGID_Y_EN: 0
; COMPUTE_PGM_RSRC2:TGID_Z_EN: 0
; COMPUTE_PGM_RSRC2:TIDIG_COMP_CNT: 0
	.section	.text._ZN7rocprim17ROCPRIM_400000_NS6detail17trampoline_kernelINS0_14default_configENS1_29reduce_by_key_config_selectorIjiN6thrust23THRUST_200600_302600_NS4plusIiEEEEZZNS1_33reduce_by_key_impl_wrapped_configILNS1_25lookback_scan_determinismE0ES3_S9_NS6_6detail15normal_iteratorINS6_10device_ptrIjEEEENSD_INSE_IiEEEENS6_16discard_iteratorINS6_11use_defaultEEESI_PmS8_NS6_8equal_toIjEEEE10hipError_tPvRmT2_T3_mT4_T5_T6_T7_T8_P12ihipStream_tbENKUlT_T0_E_clISt17integral_constantIbLb1EES15_IbLb0EEEEDaS11_S12_EUlS11_E_NS1_11comp_targetILNS1_3genE4ELNS1_11target_archE910ELNS1_3gpuE8ELNS1_3repE0EEENS1_30default_config_static_selectorELNS0_4arch9wavefront6targetE0EEEvT1_,"axG",@progbits,_ZN7rocprim17ROCPRIM_400000_NS6detail17trampoline_kernelINS0_14default_configENS1_29reduce_by_key_config_selectorIjiN6thrust23THRUST_200600_302600_NS4plusIiEEEEZZNS1_33reduce_by_key_impl_wrapped_configILNS1_25lookback_scan_determinismE0ES3_S9_NS6_6detail15normal_iteratorINS6_10device_ptrIjEEEENSD_INSE_IiEEEENS6_16discard_iteratorINS6_11use_defaultEEESI_PmS8_NS6_8equal_toIjEEEE10hipError_tPvRmT2_T3_mT4_T5_T6_T7_T8_P12ihipStream_tbENKUlT_T0_E_clISt17integral_constantIbLb1EES15_IbLb0EEEEDaS11_S12_EUlS11_E_NS1_11comp_targetILNS1_3genE4ELNS1_11target_archE910ELNS1_3gpuE8ELNS1_3repE0EEENS1_30default_config_static_selectorELNS0_4arch9wavefront6targetE0EEEvT1_,comdat
	.protected	_ZN7rocprim17ROCPRIM_400000_NS6detail17trampoline_kernelINS0_14default_configENS1_29reduce_by_key_config_selectorIjiN6thrust23THRUST_200600_302600_NS4plusIiEEEEZZNS1_33reduce_by_key_impl_wrapped_configILNS1_25lookback_scan_determinismE0ES3_S9_NS6_6detail15normal_iteratorINS6_10device_ptrIjEEEENSD_INSE_IiEEEENS6_16discard_iteratorINS6_11use_defaultEEESI_PmS8_NS6_8equal_toIjEEEE10hipError_tPvRmT2_T3_mT4_T5_T6_T7_T8_P12ihipStream_tbENKUlT_T0_E_clISt17integral_constantIbLb1EES15_IbLb0EEEEDaS11_S12_EUlS11_E_NS1_11comp_targetILNS1_3genE4ELNS1_11target_archE910ELNS1_3gpuE8ELNS1_3repE0EEENS1_30default_config_static_selectorELNS0_4arch9wavefront6targetE0EEEvT1_ ; -- Begin function _ZN7rocprim17ROCPRIM_400000_NS6detail17trampoline_kernelINS0_14default_configENS1_29reduce_by_key_config_selectorIjiN6thrust23THRUST_200600_302600_NS4plusIiEEEEZZNS1_33reduce_by_key_impl_wrapped_configILNS1_25lookback_scan_determinismE0ES3_S9_NS6_6detail15normal_iteratorINS6_10device_ptrIjEEEENSD_INSE_IiEEEENS6_16discard_iteratorINS6_11use_defaultEEESI_PmS8_NS6_8equal_toIjEEEE10hipError_tPvRmT2_T3_mT4_T5_T6_T7_T8_P12ihipStream_tbENKUlT_T0_E_clISt17integral_constantIbLb1EES15_IbLb0EEEEDaS11_S12_EUlS11_E_NS1_11comp_targetILNS1_3genE4ELNS1_11target_archE910ELNS1_3gpuE8ELNS1_3repE0EEENS1_30default_config_static_selectorELNS0_4arch9wavefront6targetE0EEEvT1_
	.globl	_ZN7rocprim17ROCPRIM_400000_NS6detail17trampoline_kernelINS0_14default_configENS1_29reduce_by_key_config_selectorIjiN6thrust23THRUST_200600_302600_NS4plusIiEEEEZZNS1_33reduce_by_key_impl_wrapped_configILNS1_25lookback_scan_determinismE0ES3_S9_NS6_6detail15normal_iteratorINS6_10device_ptrIjEEEENSD_INSE_IiEEEENS6_16discard_iteratorINS6_11use_defaultEEESI_PmS8_NS6_8equal_toIjEEEE10hipError_tPvRmT2_T3_mT4_T5_T6_T7_T8_P12ihipStream_tbENKUlT_T0_E_clISt17integral_constantIbLb1EES15_IbLb0EEEEDaS11_S12_EUlS11_E_NS1_11comp_targetILNS1_3genE4ELNS1_11target_archE910ELNS1_3gpuE8ELNS1_3repE0EEENS1_30default_config_static_selectorELNS0_4arch9wavefront6targetE0EEEvT1_
	.p2align	8
	.type	_ZN7rocprim17ROCPRIM_400000_NS6detail17trampoline_kernelINS0_14default_configENS1_29reduce_by_key_config_selectorIjiN6thrust23THRUST_200600_302600_NS4plusIiEEEEZZNS1_33reduce_by_key_impl_wrapped_configILNS1_25lookback_scan_determinismE0ES3_S9_NS6_6detail15normal_iteratorINS6_10device_ptrIjEEEENSD_INSE_IiEEEENS6_16discard_iteratorINS6_11use_defaultEEESI_PmS8_NS6_8equal_toIjEEEE10hipError_tPvRmT2_T3_mT4_T5_T6_T7_T8_P12ihipStream_tbENKUlT_T0_E_clISt17integral_constantIbLb1EES15_IbLb0EEEEDaS11_S12_EUlS11_E_NS1_11comp_targetILNS1_3genE4ELNS1_11target_archE910ELNS1_3gpuE8ELNS1_3repE0EEENS1_30default_config_static_selectorELNS0_4arch9wavefront6targetE0EEEvT1_,@function
_ZN7rocprim17ROCPRIM_400000_NS6detail17trampoline_kernelINS0_14default_configENS1_29reduce_by_key_config_selectorIjiN6thrust23THRUST_200600_302600_NS4plusIiEEEEZZNS1_33reduce_by_key_impl_wrapped_configILNS1_25lookback_scan_determinismE0ES3_S9_NS6_6detail15normal_iteratorINS6_10device_ptrIjEEEENSD_INSE_IiEEEENS6_16discard_iteratorINS6_11use_defaultEEESI_PmS8_NS6_8equal_toIjEEEE10hipError_tPvRmT2_T3_mT4_T5_T6_T7_T8_P12ihipStream_tbENKUlT_T0_E_clISt17integral_constantIbLb1EES15_IbLb0EEEEDaS11_S12_EUlS11_E_NS1_11comp_targetILNS1_3genE4ELNS1_11target_archE910ELNS1_3gpuE8ELNS1_3repE0EEENS1_30default_config_static_selectorELNS0_4arch9wavefront6targetE0EEEvT1_: ; @_ZN7rocprim17ROCPRIM_400000_NS6detail17trampoline_kernelINS0_14default_configENS1_29reduce_by_key_config_selectorIjiN6thrust23THRUST_200600_302600_NS4plusIiEEEEZZNS1_33reduce_by_key_impl_wrapped_configILNS1_25lookback_scan_determinismE0ES3_S9_NS6_6detail15normal_iteratorINS6_10device_ptrIjEEEENSD_INSE_IiEEEENS6_16discard_iteratorINS6_11use_defaultEEESI_PmS8_NS6_8equal_toIjEEEE10hipError_tPvRmT2_T3_mT4_T5_T6_T7_T8_P12ihipStream_tbENKUlT_T0_E_clISt17integral_constantIbLb1EES15_IbLb0EEEEDaS11_S12_EUlS11_E_NS1_11comp_targetILNS1_3genE4ELNS1_11target_archE910ELNS1_3gpuE8ELNS1_3repE0EEENS1_30default_config_static_selectorELNS0_4arch9wavefront6targetE0EEEvT1_
; %bb.0:
	.section	.rodata,"a",@progbits
	.p2align	6, 0x0
	.amdhsa_kernel _ZN7rocprim17ROCPRIM_400000_NS6detail17trampoline_kernelINS0_14default_configENS1_29reduce_by_key_config_selectorIjiN6thrust23THRUST_200600_302600_NS4plusIiEEEEZZNS1_33reduce_by_key_impl_wrapped_configILNS1_25lookback_scan_determinismE0ES3_S9_NS6_6detail15normal_iteratorINS6_10device_ptrIjEEEENSD_INSE_IiEEEENS6_16discard_iteratorINS6_11use_defaultEEESI_PmS8_NS6_8equal_toIjEEEE10hipError_tPvRmT2_T3_mT4_T5_T6_T7_T8_P12ihipStream_tbENKUlT_T0_E_clISt17integral_constantIbLb1EES15_IbLb0EEEEDaS11_S12_EUlS11_E_NS1_11comp_targetILNS1_3genE4ELNS1_11target_archE910ELNS1_3gpuE8ELNS1_3repE0EEENS1_30default_config_static_selectorELNS0_4arch9wavefront6targetE0EEEvT1_
		.amdhsa_group_segment_fixed_size 0
		.amdhsa_private_segment_fixed_size 0
		.amdhsa_kernarg_size 128
		.amdhsa_user_sgpr_count 15
		.amdhsa_user_sgpr_dispatch_ptr 0
		.amdhsa_user_sgpr_queue_ptr 0
		.amdhsa_user_sgpr_kernarg_segment_ptr 1
		.amdhsa_user_sgpr_dispatch_id 0
		.amdhsa_user_sgpr_private_segment_size 0
		.amdhsa_wavefront_size32 1
		.amdhsa_uses_dynamic_stack 0
		.amdhsa_enable_private_segment 0
		.amdhsa_system_sgpr_workgroup_id_x 1
		.amdhsa_system_sgpr_workgroup_id_y 0
		.amdhsa_system_sgpr_workgroup_id_z 0
		.amdhsa_system_sgpr_workgroup_info 0
		.amdhsa_system_vgpr_workitem_id 0
		.amdhsa_next_free_vgpr 1
		.amdhsa_next_free_sgpr 1
		.amdhsa_reserve_vcc 0
		.amdhsa_float_round_mode_32 0
		.amdhsa_float_round_mode_16_64 0
		.amdhsa_float_denorm_mode_32 3
		.amdhsa_float_denorm_mode_16_64 3
		.amdhsa_dx10_clamp 1
		.amdhsa_ieee_mode 1
		.amdhsa_fp16_overflow 0
		.amdhsa_workgroup_processor_mode 1
		.amdhsa_memory_ordered 1
		.amdhsa_forward_progress 0
		.amdhsa_shared_vgpr_count 0
		.amdhsa_exception_fp_ieee_invalid_op 0
		.amdhsa_exception_fp_denorm_src 0
		.amdhsa_exception_fp_ieee_div_zero 0
		.amdhsa_exception_fp_ieee_overflow 0
		.amdhsa_exception_fp_ieee_underflow 0
		.amdhsa_exception_fp_ieee_inexact 0
		.amdhsa_exception_int_div_zero 0
	.end_amdhsa_kernel
	.section	.text._ZN7rocprim17ROCPRIM_400000_NS6detail17trampoline_kernelINS0_14default_configENS1_29reduce_by_key_config_selectorIjiN6thrust23THRUST_200600_302600_NS4plusIiEEEEZZNS1_33reduce_by_key_impl_wrapped_configILNS1_25lookback_scan_determinismE0ES3_S9_NS6_6detail15normal_iteratorINS6_10device_ptrIjEEEENSD_INSE_IiEEEENS6_16discard_iteratorINS6_11use_defaultEEESI_PmS8_NS6_8equal_toIjEEEE10hipError_tPvRmT2_T3_mT4_T5_T6_T7_T8_P12ihipStream_tbENKUlT_T0_E_clISt17integral_constantIbLb1EES15_IbLb0EEEEDaS11_S12_EUlS11_E_NS1_11comp_targetILNS1_3genE4ELNS1_11target_archE910ELNS1_3gpuE8ELNS1_3repE0EEENS1_30default_config_static_selectorELNS0_4arch9wavefront6targetE0EEEvT1_,"axG",@progbits,_ZN7rocprim17ROCPRIM_400000_NS6detail17trampoline_kernelINS0_14default_configENS1_29reduce_by_key_config_selectorIjiN6thrust23THRUST_200600_302600_NS4plusIiEEEEZZNS1_33reduce_by_key_impl_wrapped_configILNS1_25lookback_scan_determinismE0ES3_S9_NS6_6detail15normal_iteratorINS6_10device_ptrIjEEEENSD_INSE_IiEEEENS6_16discard_iteratorINS6_11use_defaultEEESI_PmS8_NS6_8equal_toIjEEEE10hipError_tPvRmT2_T3_mT4_T5_T6_T7_T8_P12ihipStream_tbENKUlT_T0_E_clISt17integral_constantIbLb1EES15_IbLb0EEEEDaS11_S12_EUlS11_E_NS1_11comp_targetILNS1_3genE4ELNS1_11target_archE910ELNS1_3gpuE8ELNS1_3repE0EEENS1_30default_config_static_selectorELNS0_4arch9wavefront6targetE0EEEvT1_,comdat
.Lfunc_end1041:
	.size	_ZN7rocprim17ROCPRIM_400000_NS6detail17trampoline_kernelINS0_14default_configENS1_29reduce_by_key_config_selectorIjiN6thrust23THRUST_200600_302600_NS4plusIiEEEEZZNS1_33reduce_by_key_impl_wrapped_configILNS1_25lookback_scan_determinismE0ES3_S9_NS6_6detail15normal_iteratorINS6_10device_ptrIjEEEENSD_INSE_IiEEEENS6_16discard_iteratorINS6_11use_defaultEEESI_PmS8_NS6_8equal_toIjEEEE10hipError_tPvRmT2_T3_mT4_T5_T6_T7_T8_P12ihipStream_tbENKUlT_T0_E_clISt17integral_constantIbLb1EES15_IbLb0EEEEDaS11_S12_EUlS11_E_NS1_11comp_targetILNS1_3genE4ELNS1_11target_archE910ELNS1_3gpuE8ELNS1_3repE0EEENS1_30default_config_static_selectorELNS0_4arch9wavefront6targetE0EEEvT1_, .Lfunc_end1041-_ZN7rocprim17ROCPRIM_400000_NS6detail17trampoline_kernelINS0_14default_configENS1_29reduce_by_key_config_selectorIjiN6thrust23THRUST_200600_302600_NS4plusIiEEEEZZNS1_33reduce_by_key_impl_wrapped_configILNS1_25lookback_scan_determinismE0ES3_S9_NS6_6detail15normal_iteratorINS6_10device_ptrIjEEEENSD_INSE_IiEEEENS6_16discard_iteratorINS6_11use_defaultEEESI_PmS8_NS6_8equal_toIjEEEE10hipError_tPvRmT2_T3_mT4_T5_T6_T7_T8_P12ihipStream_tbENKUlT_T0_E_clISt17integral_constantIbLb1EES15_IbLb0EEEEDaS11_S12_EUlS11_E_NS1_11comp_targetILNS1_3genE4ELNS1_11target_archE910ELNS1_3gpuE8ELNS1_3repE0EEENS1_30default_config_static_selectorELNS0_4arch9wavefront6targetE0EEEvT1_
                                        ; -- End function
	.section	.AMDGPU.csdata,"",@progbits
; Kernel info:
; codeLenInByte = 0
; NumSgprs: 0
; NumVgprs: 0
; ScratchSize: 0
; MemoryBound: 0
; FloatMode: 240
; IeeeMode: 1
; LDSByteSize: 0 bytes/workgroup (compile time only)
; SGPRBlocks: 0
; VGPRBlocks: 0
; NumSGPRsForWavesPerEU: 1
; NumVGPRsForWavesPerEU: 1
; Occupancy: 16
; WaveLimiterHint : 0
; COMPUTE_PGM_RSRC2:SCRATCH_EN: 0
; COMPUTE_PGM_RSRC2:USER_SGPR: 15
; COMPUTE_PGM_RSRC2:TRAP_HANDLER: 0
; COMPUTE_PGM_RSRC2:TGID_X_EN: 1
; COMPUTE_PGM_RSRC2:TGID_Y_EN: 0
; COMPUTE_PGM_RSRC2:TGID_Z_EN: 0
; COMPUTE_PGM_RSRC2:TIDIG_COMP_CNT: 0
	.section	.text._ZN7rocprim17ROCPRIM_400000_NS6detail17trampoline_kernelINS0_14default_configENS1_29reduce_by_key_config_selectorIjiN6thrust23THRUST_200600_302600_NS4plusIiEEEEZZNS1_33reduce_by_key_impl_wrapped_configILNS1_25lookback_scan_determinismE0ES3_S9_NS6_6detail15normal_iteratorINS6_10device_ptrIjEEEENSD_INSE_IiEEEENS6_16discard_iteratorINS6_11use_defaultEEESI_PmS8_NS6_8equal_toIjEEEE10hipError_tPvRmT2_T3_mT4_T5_T6_T7_T8_P12ihipStream_tbENKUlT_T0_E_clISt17integral_constantIbLb1EES15_IbLb0EEEEDaS11_S12_EUlS11_E_NS1_11comp_targetILNS1_3genE3ELNS1_11target_archE908ELNS1_3gpuE7ELNS1_3repE0EEENS1_30default_config_static_selectorELNS0_4arch9wavefront6targetE0EEEvT1_,"axG",@progbits,_ZN7rocprim17ROCPRIM_400000_NS6detail17trampoline_kernelINS0_14default_configENS1_29reduce_by_key_config_selectorIjiN6thrust23THRUST_200600_302600_NS4plusIiEEEEZZNS1_33reduce_by_key_impl_wrapped_configILNS1_25lookback_scan_determinismE0ES3_S9_NS6_6detail15normal_iteratorINS6_10device_ptrIjEEEENSD_INSE_IiEEEENS6_16discard_iteratorINS6_11use_defaultEEESI_PmS8_NS6_8equal_toIjEEEE10hipError_tPvRmT2_T3_mT4_T5_T6_T7_T8_P12ihipStream_tbENKUlT_T0_E_clISt17integral_constantIbLb1EES15_IbLb0EEEEDaS11_S12_EUlS11_E_NS1_11comp_targetILNS1_3genE3ELNS1_11target_archE908ELNS1_3gpuE7ELNS1_3repE0EEENS1_30default_config_static_selectorELNS0_4arch9wavefront6targetE0EEEvT1_,comdat
	.protected	_ZN7rocprim17ROCPRIM_400000_NS6detail17trampoline_kernelINS0_14default_configENS1_29reduce_by_key_config_selectorIjiN6thrust23THRUST_200600_302600_NS4plusIiEEEEZZNS1_33reduce_by_key_impl_wrapped_configILNS1_25lookback_scan_determinismE0ES3_S9_NS6_6detail15normal_iteratorINS6_10device_ptrIjEEEENSD_INSE_IiEEEENS6_16discard_iteratorINS6_11use_defaultEEESI_PmS8_NS6_8equal_toIjEEEE10hipError_tPvRmT2_T3_mT4_T5_T6_T7_T8_P12ihipStream_tbENKUlT_T0_E_clISt17integral_constantIbLb1EES15_IbLb0EEEEDaS11_S12_EUlS11_E_NS1_11comp_targetILNS1_3genE3ELNS1_11target_archE908ELNS1_3gpuE7ELNS1_3repE0EEENS1_30default_config_static_selectorELNS0_4arch9wavefront6targetE0EEEvT1_ ; -- Begin function _ZN7rocprim17ROCPRIM_400000_NS6detail17trampoline_kernelINS0_14default_configENS1_29reduce_by_key_config_selectorIjiN6thrust23THRUST_200600_302600_NS4plusIiEEEEZZNS1_33reduce_by_key_impl_wrapped_configILNS1_25lookback_scan_determinismE0ES3_S9_NS6_6detail15normal_iteratorINS6_10device_ptrIjEEEENSD_INSE_IiEEEENS6_16discard_iteratorINS6_11use_defaultEEESI_PmS8_NS6_8equal_toIjEEEE10hipError_tPvRmT2_T3_mT4_T5_T6_T7_T8_P12ihipStream_tbENKUlT_T0_E_clISt17integral_constantIbLb1EES15_IbLb0EEEEDaS11_S12_EUlS11_E_NS1_11comp_targetILNS1_3genE3ELNS1_11target_archE908ELNS1_3gpuE7ELNS1_3repE0EEENS1_30default_config_static_selectorELNS0_4arch9wavefront6targetE0EEEvT1_
	.globl	_ZN7rocprim17ROCPRIM_400000_NS6detail17trampoline_kernelINS0_14default_configENS1_29reduce_by_key_config_selectorIjiN6thrust23THRUST_200600_302600_NS4plusIiEEEEZZNS1_33reduce_by_key_impl_wrapped_configILNS1_25lookback_scan_determinismE0ES3_S9_NS6_6detail15normal_iteratorINS6_10device_ptrIjEEEENSD_INSE_IiEEEENS6_16discard_iteratorINS6_11use_defaultEEESI_PmS8_NS6_8equal_toIjEEEE10hipError_tPvRmT2_T3_mT4_T5_T6_T7_T8_P12ihipStream_tbENKUlT_T0_E_clISt17integral_constantIbLb1EES15_IbLb0EEEEDaS11_S12_EUlS11_E_NS1_11comp_targetILNS1_3genE3ELNS1_11target_archE908ELNS1_3gpuE7ELNS1_3repE0EEENS1_30default_config_static_selectorELNS0_4arch9wavefront6targetE0EEEvT1_
	.p2align	8
	.type	_ZN7rocprim17ROCPRIM_400000_NS6detail17trampoline_kernelINS0_14default_configENS1_29reduce_by_key_config_selectorIjiN6thrust23THRUST_200600_302600_NS4plusIiEEEEZZNS1_33reduce_by_key_impl_wrapped_configILNS1_25lookback_scan_determinismE0ES3_S9_NS6_6detail15normal_iteratorINS6_10device_ptrIjEEEENSD_INSE_IiEEEENS6_16discard_iteratorINS6_11use_defaultEEESI_PmS8_NS6_8equal_toIjEEEE10hipError_tPvRmT2_T3_mT4_T5_T6_T7_T8_P12ihipStream_tbENKUlT_T0_E_clISt17integral_constantIbLb1EES15_IbLb0EEEEDaS11_S12_EUlS11_E_NS1_11comp_targetILNS1_3genE3ELNS1_11target_archE908ELNS1_3gpuE7ELNS1_3repE0EEENS1_30default_config_static_selectorELNS0_4arch9wavefront6targetE0EEEvT1_,@function
_ZN7rocprim17ROCPRIM_400000_NS6detail17trampoline_kernelINS0_14default_configENS1_29reduce_by_key_config_selectorIjiN6thrust23THRUST_200600_302600_NS4plusIiEEEEZZNS1_33reduce_by_key_impl_wrapped_configILNS1_25lookback_scan_determinismE0ES3_S9_NS6_6detail15normal_iteratorINS6_10device_ptrIjEEEENSD_INSE_IiEEEENS6_16discard_iteratorINS6_11use_defaultEEESI_PmS8_NS6_8equal_toIjEEEE10hipError_tPvRmT2_T3_mT4_T5_T6_T7_T8_P12ihipStream_tbENKUlT_T0_E_clISt17integral_constantIbLb1EES15_IbLb0EEEEDaS11_S12_EUlS11_E_NS1_11comp_targetILNS1_3genE3ELNS1_11target_archE908ELNS1_3gpuE7ELNS1_3repE0EEENS1_30default_config_static_selectorELNS0_4arch9wavefront6targetE0EEEvT1_: ; @_ZN7rocprim17ROCPRIM_400000_NS6detail17trampoline_kernelINS0_14default_configENS1_29reduce_by_key_config_selectorIjiN6thrust23THRUST_200600_302600_NS4plusIiEEEEZZNS1_33reduce_by_key_impl_wrapped_configILNS1_25lookback_scan_determinismE0ES3_S9_NS6_6detail15normal_iteratorINS6_10device_ptrIjEEEENSD_INSE_IiEEEENS6_16discard_iteratorINS6_11use_defaultEEESI_PmS8_NS6_8equal_toIjEEEE10hipError_tPvRmT2_T3_mT4_T5_T6_T7_T8_P12ihipStream_tbENKUlT_T0_E_clISt17integral_constantIbLb1EES15_IbLb0EEEEDaS11_S12_EUlS11_E_NS1_11comp_targetILNS1_3genE3ELNS1_11target_archE908ELNS1_3gpuE7ELNS1_3repE0EEENS1_30default_config_static_selectorELNS0_4arch9wavefront6targetE0EEEvT1_
; %bb.0:
	.section	.rodata,"a",@progbits
	.p2align	6, 0x0
	.amdhsa_kernel _ZN7rocprim17ROCPRIM_400000_NS6detail17trampoline_kernelINS0_14default_configENS1_29reduce_by_key_config_selectorIjiN6thrust23THRUST_200600_302600_NS4plusIiEEEEZZNS1_33reduce_by_key_impl_wrapped_configILNS1_25lookback_scan_determinismE0ES3_S9_NS6_6detail15normal_iteratorINS6_10device_ptrIjEEEENSD_INSE_IiEEEENS6_16discard_iteratorINS6_11use_defaultEEESI_PmS8_NS6_8equal_toIjEEEE10hipError_tPvRmT2_T3_mT4_T5_T6_T7_T8_P12ihipStream_tbENKUlT_T0_E_clISt17integral_constantIbLb1EES15_IbLb0EEEEDaS11_S12_EUlS11_E_NS1_11comp_targetILNS1_3genE3ELNS1_11target_archE908ELNS1_3gpuE7ELNS1_3repE0EEENS1_30default_config_static_selectorELNS0_4arch9wavefront6targetE0EEEvT1_
		.amdhsa_group_segment_fixed_size 0
		.amdhsa_private_segment_fixed_size 0
		.amdhsa_kernarg_size 128
		.amdhsa_user_sgpr_count 15
		.amdhsa_user_sgpr_dispatch_ptr 0
		.amdhsa_user_sgpr_queue_ptr 0
		.amdhsa_user_sgpr_kernarg_segment_ptr 1
		.amdhsa_user_sgpr_dispatch_id 0
		.amdhsa_user_sgpr_private_segment_size 0
		.amdhsa_wavefront_size32 1
		.amdhsa_uses_dynamic_stack 0
		.amdhsa_enable_private_segment 0
		.amdhsa_system_sgpr_workgroup_id_x 1
		.amdhsa_system_sgpr_workgroup_id_y 0
		.amdhsa_system_sgpr_workgroup_id_z 0
		.amdhsa_system_sgpr_workgroup_info 0
		.amdhsa_system_vgpr_workitem_id 0
		.amdhsa_next_free_vgpr 1
		.amdhsa_next_free_sgpr 1
		.amdhsa_reserve_vcc 0
		.amdhsa_float_round_mode_32 0
		.amdhsa_float_round_mode_16_64 0
		.amdhsa_float_denorm_mode_32 3
		.amdhsa_float_denorm_mode_16_64 3
		.amdhsa_dx10_clamp 1
		.amdhsa_ieee_mode 1
		.amdhsa_fp16_overflow 0
		.amdhsa_workgroup_processor_mode 1
		.amdhsa_memory_ordered 1
		.amdhsa_forward_progress 0
		.amdhsa_shared_vgpr_count 0
		.amdhsa_exception_fp_ieee_invalid_op 0
		.amdhsa_exception_fp_denorm_src 0
		.amdhsa_exception_fp_ieee_div_zero 0
		.amdhsa_exception_fp_ieee_overflow 0
		.amdhsa_exception_fp_ieee_underflow 0
		.amdhsa_exception_fp_ieee_inexact 0
		.amdhsa_exception_int_div_zero 0
	.end_amdhsa_kernel
	.section	.text._ZN7rocprim17ROCPRIM_400000_NS6detail17trampoline_kernelINS0_14default_configENS1_29reduce_by_key_config_selectorIjiN6thrust23THRUST_200600_302600_NS4plusIiEEEEZZNS1_33reduce_by_key_impl_wrapped_configILNS1_25lookback_scan_determinismE0ES3_S9_NS6_6detail15normal_iteratorINS6_10device_ptrIjEEEENSD_INSE_IiEEEENS6_16discard_iteratorINS6_11use_defaultEEESI_PmS8_NS6_8equal_toIjEEEE10hipError_tPvRmT2_T3_mT4_T5_T6_T7_T8_P12ihipStream_tbENKUlT_T0_E_clISt17integral_constantIbLb1EES15_IbLb0EEEEDaS11_S12_EUlS11_E_NS1_11comp_targetILNS1_3genE3ELNS1_11target_archE908ELNS1_3gpuE7ELNS1_3repE0EEENS1_30default_config_static_selectorELNS0_4arch9wavefront6targetE0EEEvT1_,"axG",@progbits,_ZN7rocprim17ROCPRIM_400000_NS6detail17trampoline_kernelINS0_14default_configENS1_29reduce_by_key_config_selectorIjiN6thrust23THRUST_200600_302600_NS4plusIiEEEEZZNS1_33reduce_by_key_impl_wrapped_configILNS1_25lookback_scan_determinismE0ES3_S9_NS6_6detail15normal_iteratorINS6_10device_ptrIjEEEENSD_INSE_IiEEEENS6_16discard_iteratorINS6_11use_defaultEEESI_PmS8_NS6_8equal_toIjEEEE10hipError_tPvRmT2_T3_mT4_T5_T6_T7_T8_P12ihipStream_tbENKUlT_T0_E_clISt17integral_constantIbLb1EES15_IbLb0EEEEDaS11_S12_EUlS11_E_NS1_11comp_targetILNS1_3genE3ELNS1_11target_archE908ELNS1_3gpuE7ELNS1_3repE0EEENS1_30default_config_static_selectorELNS0_4arch9wavefront6targetE0EEEvT1_,comdat
.Lfunc_end1042:
	.size	_ZN7rocprim17ROCPRIM_400000_NS6detail17trampoline_kernelINS0_14default_configENS1_29reduce_by_key_config_selectorIjiN6thrust23THRUST_200600_302600_NS4plusIiEEEEZZNS1_33reduce_by_key_impl_wrapped_configILNS1_25lookback_scan_determinismE0ES3_S9_NS6_6detail15normal_iteratorINS6_10device_ptrIjEEEENSD_INSE_IiEEEENS6_16discard_iteratorINS6_11use_defaultEEESI_PmS8_NS6_8equal_toIjEEEE10hipError_tPvRmT2_T3_mT4_T5_T6_T7_T8_P12ihipStream_tbENKUlT_T0_E_clISt17integral_constantIbLb1EES15_IbLb0EEEEDaS11_S12_EUlS11_E_NS1_11comp_targetILNS1_3genE3ELNS1_11target_archE908ELNS1_3gpuE7ELNS1_3repE0EEENS1_30default_config_static_selectorELNS0_4arch9wavefront6targetE0EEEvT1_, .Lfunc_end1042-_ZN7rocprim17ROCPRIM_400000_NS6detail17trampoline_kernelINS0_14default_configENS1_29reduce_by_key_config_selectorIjiN6thrust23THRUST_200600_302600_NS4plusIiEEEEZZNS1_33reduce_by_key_impl_wrapped_configILNS1_25lookback_scan_determinismE0ES3_S9_NS6_6detail15normal_iteratorINS6_10device_ptrIjEEEENSD_INSE_IiEEEENS6_16discard_iteratorINS6_11use_defaultEEESI_PmS8_NS6_8equal_toIjEEEE10hipError_tPvRmT2_T3_mT4_T5_T6_T7_T8_P12ihipStream_tbENKUlT_T0_E_clISt17integral_constantIbLb1EES15_IbLb0EEEEDaS11_S12_EUlS11_E_NS1_11comp_targetILNS1_3genE3ELNS1_11target_archE908ELNS1_3gpuE7ELNS1_3repE0EEENS1_30default_config_static_selectorELNS0_4arch9wavefront6targetE0EEEvT1_
                                        ; -- End function
	.section	.AMDGPU.csdata,"",@progbits
; Kernel info:
; codeLenInByte = 0
; NumSgprs: 0
; NumVgprs: 0
; ScratchSize: 0
; MemoryBound: 0
; FloatMode: 240
; IeeeMode: 1
; LDSByteSize: 0 bytes/workgroup (compile time only)
; SGPRBlocks: 0
; VGPRBlocks: 0
; NumSGPRsForWavesPerEU: 1
; NumVGPRsForWavesPerEU: 1
; Occupancy: 16
; WaveLimiterHint : 0
; COMPUTE_PGM_RSRC2:SCRATCH_EN: 0
; COMPUTE_PGM_RSRC2:USER_SGPR: 15
; COMPUTE_PGM_RSRC2:TRAP_HANDLER: 0
; COMPUTE_PGM_RSRC2:TGID_X_EN: 1
; COMPUTE_PGM_RSRC2:TGID_Y_EN: 0
; COMPUTE_PGM_RSRC2:TGID_Z_EN: 0
; COMPUTE_PGM_RSRC2:TIDIG_COMP_CNT: 0
	.section	.text._ZN7rocprim17ROCPRIM_400000_NS6detail17trampoline_kernelINS0_14default_configENS1_29reduce_by_key_config_selectorIjiN6thrust23THRUST_200600_302600_NS4plusIiEEEEZZNS1_33reduce_by_key_impl_wrapped_configILNS1_25lookback_scan_determinismE0ES3_S9_NS6_6detail15normal_iteratorINS6_10device_ptrIjEEEENSD_INSE_IiEEEENS6_16discard_iteratorINS6_11use_defaultEEESI_PmS8_NS6_8equal_toIjEEEE10hipError_tPvRmT2_T3_mT4_T5_T6_T7_T8_P12ihipStream_tbENKUlT_T0_E_clISt17integral_constantIbLb1EES15_IbLb0EEEEDaS11_S12_EUlS11_E_NS1_11comp_targetILNS1_3genE2ELNS1_11target_archE906ELNS1_3gpuE6ELNS1_3repE0EEENS1_30default_config_static_selectorELNS0_4arch9wavefront6targetE0EEEvT1_,"axG",@progbits,_ZN7rocprim17ROCPRIM_400000_NS6detail17trampoline_kernelINS0_14default_configENS1_29reduce_by_key_config_selectorIjiN6thrust23THRUST_200600_302600_NS4plusIiEEEEZZNS1_33reduce_by_key_impl_wrapped_configILNS1_25lookback_scan_determinismE0ES3_S9_NS6_6detail15normal_iteratorINS6_10device_ptrIjEEEENSD_INSE_IiEEEENS6_16discard_iteratorINS6_11use_defaultEEESI_PmS8_NS6_8equal_toIjEEEE10hipError_tPvRmT2_T3_mT4_T5_T6_T7_T8_P12ihipStream_tbENKUlT_T0_E_clISt17integral_constantIbLb1EES15_IbLb0EEEEDaS11_S12_EUlS11_E_NS1_11comp_targetILNS1_3genE2ELNS1_11target_archE906ELNS1_3gpuE6ELNS1_3repE0EEENS1_30default_config_static_selectorELNS0_4arch9wavefront6targetE0EEEvT1_,comdat
	.protected	_ZN7rocprim17ROCPRIM_400000_NS6detail17trampoline_kernelINS0_14default_configENS1_29reduce_by_key_config_selectorIjiN6thrust23THRUST_200600_302600_NS4plusIiEEEEZZNS1_33reduce_by_key_impl_wrapped_configILNS1_25lookback_scan_determinismE0ES3_S9_NS6_6detail15normal_iteratorINS6_10device_ptrIjEEEENSD_INSE_IiEEEENS6_16discard_iteratorINS6_11use_defaultEEESI_PmS8_NS6_8equal_toIjEEEE10hipError_tPvRmT2_T3_mT4_T5_T6_T7_T8_P12ihipStream_tbENKUlT_T0_E_clISt17integral_constantIbLb1EES15_IbLb0EEEEDaS11_S12_EUlS11_E_NS1_11comp_targetILNS1_3genE2ELNS1_11target_archE906ELNS1_3gpuE6ELNS1_3repE0EEENS1_30default_config_static_selectorELNS0_4arch9wavefront6targetE0EEEvT1_ ; -- Begin function _ZN7rocprim17ROCPRIM_400000_NS6detail17trampoline_kernelINS0_14default_configENS1_29reduce_by_key_config_selectorIjiN6thrust23THRUST_200600_302600_NS4plusIiEEEEZZNS1_33reduce_by_key_impl_wrapped_configILNS1_25lookback_scan_determinismE0ES3_S9_NS6_6detail15normal_iteratorINS6_10device_ptrIjEEEENSD_INSE_IiEEEENS6_16discard_iteratorINS6_11use_defaultEEESI_PmS8_NS6_8equal_toIjEEEE10hipError_tPvRmT2_T3_mT4_T5_T6_T7_T8_P12ihipStream_tbENKUlT_T0_E_clISt17integral_constantIbLb1EES15_IbLb0EEEEDaS11_S12_EUlS11_E_NS1_11comp_targetILNS1_3genE2ELNS1_11target_archE906ELNS1_3gpuE6ELNS1_3repE0EEENS1_30default_config_static_selectorELNS0_4arch9wavefront6targetE0EEEvT1_
	.globl	_ZN7rocprim17ROCPRIM_400000_NS6detail17trampoline_kernelINS0_14default_configENS1_29reduce_by_key_config_selectorIjiN6thrust23THRUST_200600_302600_NS4plusIiEEEEZZNS1_33reduce_by_key_impl_wrapped_configILNS1_25lookback_scan_determinismE0ES3_S9_NS6_6detail15normal_iteratorINS6_10device_ptrIjEEEENSD_INSE_IiEEEENS6_16discard_iteratorINS6_11use_defaultEEESI_PmS8_NS6_8equal_toIjEEEE10hipError_tPvRmT2_T3_mT4_T5_T6_T7_T8_P12ihipStream_tbENKUlT_T0_E_clISt17integral_constantIbLb1EES15_IbLb0EEEEDaS11_S12_EUlS11_E_NS1_11comp_targetILNS1_3genE2ELNS1_11target_archE906ELNS1_3gpuE6ELNS1_3repE0EEENS1_30default_config_static_selectorELNS0_4arch9wavefront6targetE0EEEvT1_
	.p2align	8
	.type	_ZN7rocprim17ROCPRIM_400000_NS6detail17trampoline_kernelINS0_14default_configENS1_29reduce_by_key_config_selectorIjiN6thrust23THRUST_200600_302600_NS4plusIiEEEEZZNS1_33reduce_by_key_impl_wrapped_configILNS1_25lookback_scan_determinismE0ES3_S9_NS6_6detail15normal_iteratorINS6_10device_ptrIjEEEENSD_INSE_IiEEEENS6_16discard_iteratorINS6_11use_defaultEEESI_PmS8_NS6_8equal_toIjEEEE10hipError_tPvRmT2_T3_mT4_T5_T6_T7_T8_P12ihipStream_tbENKUlT_T0_E_clISt17integral_constantIbLb1EES15_IbLb0EEEEDaS11_S12_EUlS11_E_NS1_11comp_targetILNS1_3genE2ELNS1_11target_archE906ELNS1_3gpuE6ELNS1_3repE0EEENS1_30default_config_static_selectorELNS0_4arch9wavefront6targetE0EEEvT1_,@function
_ZN7rocprim17ROCPRIM_400000_NS6detail17trampoline_kernelINS0_14default_configENS1_29reduce_by_key_config_selectorIjiN6thrust23THRUST_200600_302600_NS4plusIiEEEEZZNS1_33reduce_by_key_impl_wrapped_configILNS1_25lookback_scan_determinismE0ES3_S9_NS6_6detail15normal_iteratorINS6_10device_ptrIjEEEENSD_INSE_IiEEEENS6_16discard_iteratorINS6_11use_defaultEEESI_PmS8_NS6_8equal_toIjEEEE10hipError_tPvRmT2_T3_mT4_T5_T6_T7_T8_P12ihipStream_tbENKUlT_T0_E_clISt17integral_constantIbLb1EES15_IbLb0EEEEDaS11_S12_EUlS11_E_NS1_11comp_targetILNS1_3genE2ELNS1_11target_archE906ELNS1_3gpuE6ELNS1_3repE0EEENS1_30default_config_static_selectorELNS0_4arch9wavefront6targetE0EEEvT1_: ; @_ZN7rocprim17ROCPRIM_400000_NS6detail17trampoline_kernelINS0_14default_configENS1_29reduce_by_key_config_selectorIjiN6thrust23THRUST_200600_302600_NS4plusIiEEEEZZNS1_33reduce_by_key_impl_wrapped_configILNS1_25lookback_scan_determinismE0ES3_S9_NS6_6detail15normal_iteratorINS6_10device_ptrIjEEEENSD_INSE_IiEEEENS6_16discard_iteratorINS6_11use_defaultEEESI_PmS8_NS6_8equal_toIjEEEE10hipError_tPvRmT2_T3_mT4_T5_T6_T7_T8_P12ihipStream_tbENKUlT_T0_E_clISt17integral_constantIbLb1EES15_IbLb0EEEEDaS11_S12_EUlS11_E_NS1_11comp_targetILNS1_3genE2ELNS1_11target_archE906ELNS1_3gpuE6ELNS1_3repE0EEENS1_30default_config_static_selectorELNS0_4arch9wavefront6targetE0EEEvT1_
; %bb.0:
	.section	.rodata,"a",@progbits
	.p2align	6, 0x0
	.amdhsa_kernel _ZN7rocprim17ROCPRIM_400000_NS6detail17trampoline_kernelINS0_14default_configENS1_29reduce_by_key_config_selectorIjiN6thrust23THRUST_200600_302600_NS4plusIiEEEEZZNS1_33reduce_by_key_impl_wrapped_configILNS1_25lookback_scan_determinismE0ES3_S9_NS6_6detail15normal_iteratorINS6_10device_ptrIjEEEENSD_INSE_IiEEEENS6_16discard_iteratorINS6_11use_defaultEEESI_PmS8_NS6_8equal_toIjEEEE10hipError_tPvRmT2_T3_mT4_T5_T6_T7_T8_P12ihipStream_tbENKUlT_T0_E_clISt17integral_constantIbLb1EES15_IbLb0EEEEDaS11_S12_EUlS11_E_NS1_11comp_targetILNS1_3genE2ELNS1_11target_archE906ELNS1_3gpuE6ELNS1_3repE0EEENS1_30default_config_static_selectorELNS0_4arch9wavefront6targetE0EEEvT1_
		.amdhsa_group_segment_fixed_size 0
		.amdhsa_private_segment_fixed_size 0
		.amdhsa_kernarg_size 128
		.amdhsa_user_sgpr_count 15
		.amdhsa_user_sgpr_dispatch_ptr 0
		.amdhsa_user_sgpr_queue_ptr 0
		.amdhsa_user_sgpr_kernarg_segment_ptr 1
		.amdhsa_user_sgpr_dispatch_id 0
		.amdhsa_user_sgpr_private_segment_size 0
		.amdhsa_wavefront_size32 1
		.amdhsa_uses_dynamic_stack 0
		.amdhsa_enable_private_segment 0
		.amdhsa_system_sgpr_workgroup_id_x 1
		.amdhsa_system_sgpr_workgroup_id_y 0
		.amdhsa_system_sgpr_workgroup_id_z 0
		.amdhsa_system_sgpr_workgroup_info 0
		.amdhsa_system_vgpr_workitem_id 0
		.amdhsa_next_free_vgpr 1
		.amdhsa_next_free_sgpr 1
		.amdhsa_reserve_vcc 0
		.amdhsa_float_round_mode_32 0
		.amdhsa_float_round_mode_16_64 0
		.amdhsa_float_denorm_mode_32 3
		.amdhsa_float_denorm_mode_16_64 3
		.amdhsa_dx10_clamp 1
		.amdhsa_ieee_mode 1
		.amdhsa_fp16_overflow 0
		.amdhsa_workgroup_processor_mode 1
		.amdhsa_memory_ordered 1
		.amdhsa_forward_progress 0
		.amdhsa_shared_vgpr_count 0
		.amdhsa_exception_fp_ieee_invalid_op 0
		.amdhsa_exception_fp_denorm_src 0
		.amdhsa_exception_fp_ieee_div_zero 0
		.amdhsa_exception_fp_ieee_overflow 0
		.amdhsa_exception_fp_ieee_underflow 0
		.amdhsa_exception_fp_ieee_inexact 0
		.amdhsa_exception_int_div_zero 0
	.end_amdhsa_kernel
	.section	.text._ZN7rocprim17ROCPRIM_400000_NS6detail17trampoline_kernelINS0_14default_configENS1_29reduce_by_key_config_selectorIjiN6thrust23THRUST_200600_302600_NS4plusIiEEEEZZNS1_33reduce_by_key_impl_wrapped_configILNS1_25lookback_scan_determinismE0ES3_S9_NS6_6detail15normal_iteratorINS6_10device_ptrIjEEEENSD_INSE_IiEEEENS6_16discard_iteratorINS6_11use_defaultEEESI_PmS8_NS6_8equal_toIjEEEE10hipError_tPvRmT2_T3_mT4_T5_T6_T7_T8_P12ihipStream_tbENKUlT_T0_E_clISt17integral_constantIbLb1EES15_IbLb0EEEEDaS11_S12_EUlS11_E_NS1_11comp_targetILNS1_3genE2ELNS1_11target_archE906ELNS1_3gpuE6ELNS1_3repE0EEENS1_30default_config_static_selectorELNS0_4arch9wavefront6targetE0EEEvT1_,"axG",@progbits,_ZN7rocprim17ROCPRIM_400000_NS6detail17trampoline_kernelINS0_14default_configENS1_29reduce_by_key_config_selectorIjiN6thrust23THRUST_200600_302600_NS4plusIiEEEEZZNS1_33reduce_by_key_impl_wrapped_configILNS1_25lookback_scan_determinismE0ES3_S9_NS6_6detail15normal_iteratorINS6_10device_ptrIjEEEENSD_INSE_IiEEEENS6_16discard_iteratorINS6_11use_defaultEEESI_PmS8_NS6_8equal_toIjEEEE10hipError_tPvRmT2_T3_mT4_T5_T6_T7_T8_P12ihipStream_tbENKUlT_T0_E_clISt17integral_constantIbLb1EES15_IbLb0EEEEDaS11_S12_EUlS11_E_NS1_11comp_targetILNS1_3genE2ELNS1_11target_archE906ELNS1_3gpuE6ELNS1_3repE0EEENS1_30default_config_static_selectorELNS0_4arch9wavefront6targetE0EEEvT1_,comdat
.Lfunc_end1043:
	.size	_ZN7rocprim17ROCPRIM_400000_NS6detail17trampoline_kernelINS0_14default_configENS1_29reduce_by_key_config_selectorIjiN6thrust23THRUST_200600_302600_NS4plusIiEEEEZZNS1_33reduce_by_key_impl_wrapped_configILNS1_25lookback_scan_determinismE0ES3_S9_NS6_6detail15normal_iteratorINS6_10device_ptrIjEEEENSD_INSE_IiEEEENS6_16discard_iteratorINS6_11use_defaultEEESI_PmS8_NS6_8equal_toIjEEEE10hipError_tPvRmT2_T3_mT4_T5_T6_T7_T8_P12ihipStream_tbENKUlT_T0_E_clISt17integral_constantIbLb1EES15_IbLb0EEEEDaS11_S12_EUlS11_E_NS1_11comp_targetILNS1_3genE2ELNS1_11target_archE906ELNS1_3gpuE6ELNS1_3repE0EEENS1_30default_config_static_selectorELNS0_4arch9wavefront6targetE0EEEvT1_, .Lfunc_end1043-_ZN7rocprim17ROCPRIM_400000_NS6detail17trampoline_kernelINS0_14default_configENS1_29reduce_by_key_config_selectorIjiN6thrust23THRUST_200600_302600_NS4plusIiEEEEZZNS1_33reduce_by_key_impl_wrapped_configILNS1_25lookback_scan_determinismE0ES3_S9_NS6_6detail15normal_iteratorINS6_10device_ptrIjEEEENSD_INSE_IiEEEENS6_16discard_iteratorINS6_11use_defaultEEESI_PmS8_NS6_8equal_toIjEEEE10hipError_tPvRmT2_T3_mT4_T5_T6_T7_T8_P12ihipStream_tbENKUlT_T0_E_clISt17integral_constantIbLb1EES15_IbLb0EEEEDaS11_S12_EUlS11_E_NS1_11comp_targetILNS1_3genE2ELNS1_11target_archE906ELNS1_3gpuE6ELNS1_3repE0EEENS1_30default_config_static_selectorELNS0_4arch9wavefront6targetE0EEEvT1_
                                        ; -- End function
	.section	.AMDGPU.csdata,"",@progbits
; Kernel info:
; codeLenInByte = 0
; NumSgprs: 0
; NumVgprs: 0
; ScratchSize: 0
; MemoryBound: 0
; FloatMode: 240
; IeeeMode: 1
; LDSByteSize: 0 bytes/workgroup (compile time only)
; SGPRBlocks: 0
; VGPRBlocks: 0
; NumSGPRsForWavesPerEU: 1
; NumVGPRsForWavesPerEU: 1
; Occupancy: 16
; WaveLimiterHint : 0
; COMPUTE_PGM_RSRC2:SCRATCH_EN: 0
; COMPUTE_PGM_RSRC2:USER_SGPR: 15
; COMPUTE_PGM_RSRC2:TRAP_HANDLER: 0
; COMPUTE_PGM_RSRC2:TGID_X_EN: 1
; COMPUTE_PGM_RSRC2:TGID_Y_EN: 0
; COMPUTE_PGM_RSRC2:TGID_Z_EN: 0
; COMPUTE_PGM_RSRC2:TIDIG_COMP_CNT: 0
	.section	.text._ZN7rocprim17ROCPRIM_400000_NS6detail17trampoline_kernelINS0_14default_configENS1_29reduce_by_key_config_selectorIjiN6thrust23THRUST_200600_302600_NS4plusIiEEEEZZNS1_33reduce_by_key_impl_wrapped_configILNS1_25lookback_scan_determinismE0ES3_S9_NS6_6detail15normal_iteratorINS6_10device_ptrIjEEEENSD_INSE_IiEEEENS6_16discard_iteratorINS6_11use_defaultEEESI_PmS8_NS6_8equal_toIjEEEE10hipError_tPvRmT2_T3_mT4_T5_T6_T7_T8_P12ihipStream_tbENKUlT_T0_E_clISt17integral_constantIbLb1EES15_IbLb0EEEEDaS11_S12_EUlS11_E_NS1_11comp_targetILNS1_3genE10ELNS1_11target_archE1201ELNS1_3gpuE5ELNS1_3repE0EEENS1_30default_config_static_selectorELNS0_4arch9wavefront6targetE0EEEvT1_,"axG",@progbits,_ZN7rocprim17ROCPRIM_400000_NS6detail17trampoline_kernelINS0_14default_configENS1_29reduce_by_key_config_selectorIjiN6thrust23THRUST_200600_302600_NS4plusIiEEEEZZNS1_33reduce_by_key_impl_wrapped_configILNS1_25lookback_scan_determinismE0ES3_S9_NS6_6detail15normal_iteratorINS6_10device_ptrIjEEEENSD_INSE_IiEEEENS6_16discard_iteratorINS6_11use_defaultEEESI_PmS8_NS6_8equal_toIjEEEE10hipError_tPvRmT2_T3_mT4_T5_T6_T7_T8_P12ihipStream_tbENKUlT_T0_E_clISt17integral_constantIbLb1EES15_IbLb0EEEEDaS11_S12_EUlS11_E_NS1_11comp_targetILNS1_3genE10ELNS1_11target_archE1201ELNS1_3gpuE5ELNS1_3repE0EEENS1_30default_config_static_selectorELNS0_4arch9wavefront6targetE0EEEvT1_,comdat
	.protected	_ZN7rocprim17ROCPRIM_400000_NS6detail17trampoline_kernelINS0_14default_configENS1_29reduce_by_key_config_selectorIjiN6thrust23THRUST_200600_302600_NS4plusIiEEEEZZNS1_33reduce_by_key_impl_wrapped_configILNS1_25lookback_scan_determinismE0ES3_S9_NS6_6detail15normal_iteratorINS6_10device_ptrIjEEEENSD_INSE_IiEEEENS6_16discard_iteratorINS6_11use_defaultEEESI_PmS8_NS6_8equal_toIjEEEE10hipError_tPvRmT2_T3_mT4_T5_T6_T7_T8_P12ihipStream_tbENKUlT_T0_E_clISt17integral_constantIbLb1EES15_IbLb0EEEEDaS11_S12_EUlS11_E_NS1_11comp_targetILNS1_3genE10ELNS1_11target_archE1201ELNS1_3gpuE5ELNS1_3repE0EEENS1_30default_config_static_selectorELNS0_4arch9wavefront6targetE0EEEvT1_ ; -- Begin function _ZN7rocprim17ROCPRIM_400000_NS6detail17trampoline_kernelINS0_14default_configENS1_29reduce_by_key_config_selectorIjiN6thrust23THRUST_200600_302600_NS4plusIiEEEEZZNS1_33reduce_by_key_impl_wrapped_configILNS1_25lookback_scan_determinismE0ES3_S9_NS6_6detail15normal_iteratorINS6_10device_ptrIjEEEENSD_INSE_IiEEEENS6_16discard_iteratorINS6_11use_defaultEEESI_PmS8_NS6_8equal_toIjEEEE10hipError_tPvRmT2_T3_mT4_T5_T6_T7_T8_P12ihipStream_tbENKUlT_T0_E_clISt17integral_constantIbLb1EES15_IbLb0EEEEDaS11_S12_EUlS11_E_NS1_11comp_targetILNS1_3genE10ELNS1_11target_archE1201ELNS1_3gpuE5ELNS1_3repE0EEENS1_30default_config_static_selectorELNS0_4arch9wavefront6targetE0EEEvT1_
	.globl	_ZN7rocprim17ROCPRIM_400000_NS6detail17trampoline_kernelINS0_14default_configENS1_29reduce_by_key_config_selectorIjiN6thrust23THRUST_200600_302600_NS4plusIiEEEEZZNS1_33reduce_by_key_impl_wrapped_configILNS1_25lookback_scan_determinismE0ES3_S9_NS6_6detail15normal_iteratorINS6_10device_ptrIjEEEENSD_INSE_IiEEEENS6_16discard_iteratorINS6_11use_defaultEEESI_PmS8_NS6_8equal_toIjEEEE10hipError_tPvRmT2_T3_mT4_T5_T6_T7_T8_P12ihipStream_tbENKUlT_T0_E_clISt17integral_constantIbLb1EES15_IbLb0EEEEDaS11_S12_EUlS11_E_NS1_11comp_targetILNS1_3genE10ELNS1_11target_archE1201ELNS1_3gpuE5ELNS1_3repE0EEENS1_30default_config_static_selectorELNS0_4arch9wavefront6targetE0EEEvT1_
	.p2align	8
	.type	_ZN7rocprim17ROCPRIM_400000_NS6detail17trampoline_kernelINS0_14default_configENS1_29reduce_by_key_config_selectorIjiN6thrust23THRUST_200600_302600_NS4plusIiEEEEZZNS1_33reduce_by_key_impl_wrapped_configILNS1_25lookback_scan_determinismE0ES3_S9_NS6_6detail15normal_iteratorINS6_10device_ptrIjEEEENSD_INSE_IiEEEENS6_16discard_iteratorINS6_11use_defaultEEESI_PmS8_NS6_8equal_toIjEEEE10hipError_tPvRmT2_T3_mT4_T5_T6_T7_T8_P12ihipStream_tbENKUlT_T0_E_clISt17integral_constantIbLb1EES15_IbLb0EEEEDaS11_S12_EUlS11_E_NS1_11comp_targetILNS1_3genE10ELNS1_11target_archE1201ELNS1_3gpuE5ELNS1_3repE0EEENS1_30default_config_static_selectorELNS0_4arch9wavefront6targetE0EEEvT1_,@function
_ZN7rocprim17ROCPRIM_400000_NS6detail17trampoline_kernelINS0_14default_configENS1_29reduce_by_key_config_selectorIjiN6thrust23THRUST_200600_302600_NS4plusIiEEEEZZNS1_33reduce_by_key_impl_wrapped_configILNS1_25lookback_scan_determinismE0ES3_S9_NS6_6detail15normal_iteratorINS6_10device_ptrIjEEEENSD_INSE_IiEEEENS6_16discard_iteratorINS6_11use_defaultEEESI_PmS8_NS6_8equal_toIjEEEE10hipError_tPvRmT2_T3_mT4_T5_T6_T7_T8_P12ihipStream_tbENKUlT_T0_E_clISt17integral_constantIbLb1EES15_IbLb0EEEEDaS11_S12_EUlS11_E_NS1_11comp_targetILNS1_3genE10ELNS1_11target_archE1201ELNS1_3gpuE5ELNS1_3repE0EEENS1_30default_config_static_selectorELNS0_4arch9wavefront6targetE0EEEvT1_: ; @_ZN7rocprim17ROCPRIM_400000_NS6detail17trampoline_kernelINS0_14default_configENS1_29reduce_by_key_config_selectorIjiN6thrust23THRUST_200600_302600_NS4plusIiEEEEZZNS1_33reduce_by_key_impl_wrapped_configILNS1_25lookback_scan_determinismE0ES3_S9_NS6_6detail15normal_iteratorINS6_10device_ptrIjEEEENSD_INSE_IiEEEENS6_16discard_iteratorINS6_11use_defaultEEESI_PmS8_NS6_8equal_toIjEEEE10hipError_tPvRmT2_T3_mT4_T5_T6_T7_T8_P12ihipStream_tbENKUlT_T0_E_clISt17integral_constantIbLb1EES15_IbLb0EEEEDaS11_S12_EUlS11_E_NS1_11comp_targetILNS1_3genE10ELNS1_11target_archE1201ELNS1_3gpuE5ELNS1_3repE0EEENS1_30default_config_static_selectorELNS0_4arch9wavefront6targetE0EEEvT1_
; %bb.0:
	.section	.rodata,"a",@progbits
	.p2align	6, 0x0
	.amdhsa_kernel _ZN7rocprim17ROCPRIM_400000_NS6detail17trampoline_kernelINS0_14default_configENS1_29reduce_by_key_config_selectorIjiN6thrust23THRUST_200600_302600_NS4plusIiEEEEZZNS1_33reduce_by_key_impl_wrapped_configILNS1_25lookback_scan_determinismE0ES3_S9_NS6_6detail15normal_iteratorINS6_10device_ptrIjEEEENSD_INSE_IiEEEENS6_16discard_iteratorINS6_11use_defaultEEESI_PmS8_NS6_8equal_toIjEEEE10hipError_tPvRmT2_T3_mT4_T5_T6_T7_T8_P12ihipStream_tbENKUlT_T0_E_clISt17integral_constantIbLb1EES15_IbLb0EEEEDaS11_S12_EUlS11_E_NS1_11comp_targetILNS1_3genE10ELNS1_11target_archE1201ELNS1_3gpuE5ELNS1_3repE0EEENS1_30default_config_static_selectorELNS0_4arch9wavefront6targetE0EEEvT1_
		.amdhsa_group_segment_fixed_size 0
		.amdhsa_private_segment_fixed_size 0
		.amdhsa_kernarg_size 128
		.amdhsa_user_sgpr_count 15
		.amdhsa_user_sgpr_dispatch_ptr 0
		.amdhsa_user_sgpr_queue_ptr 0
		.amdhsa_user_sgpr_kernarg_segment_ptr 1
		.amdhsa_user_sgpr_dispatch_id 0
		.amdhsa_user_sgpr_private_segment_size 0
		.amdhsa_wavefront_size32 1
		.amdhsa_uses_dynamic_stack 0
		.amdhsa_enable_private_segment 0
		.amdhsa_system_sgpr_workgroup_id_x 1
		.amdhsa_system_sgpr_workgroup_id_y 0
		.amdhsa_system_sgpr_workgroup_id_z 0
		.amdhsa_system_sgpr_workgroup_info 0
		.amdhsa_system_vgpr_workitem_id 0
		.amdhsa_next_free_vgpr 1
		.amdhsa_next_free_sgpr 1
		.amdhsa_reserve_vcc 0
		.amdhsa_float_round_mode_32 0
		.amdhsa_float_round_mode_16_64 0
		.amdhsa_float_denorm_mode_32 3
		.amdhsa_float_denorm_mode_16_64 3
		.amdhsa_dx10_clamp 1
		.amdhsa_ieee_mode 1
		.amdhsa_fp16_overflow 0
		.amdhsa_workgroup_processor_mode 1
		.amdhsa_memory_ordered 1
		.amdhsa_forward_progress 0
		.amdhsa_shared_vgpr_count 0
		.amdhsa_exception_fp_ieee_invalid_op 0
		.amdhsa_exception_fp_denorm_src 0
		.amdhsa_exception_fp_ieee_div_zero 0
		.amdhsa_exception_fp_ieee_overflow 0
		.amdhsa_exception_fp_ieee_underflow 0
		.amdhsa_exception_fp_ieee_inexact 0
		.amdhsa_exception_int_div_zero 0
	.end_amdhsa_kernel
	.section	.text._ZN7rocprim17ROCPRIM_400000_NS6detail17trampoline_kernelINS0_14default_configENS1_29reduce_by_key_config_selectorIjiN6thrust23THRUST_200600_302600_NS4plusIiEEEEZZNS1_33reduce_by_key_impl_wrapped_configILNS1_25lookback_scan_determinismE0ES3_S9_NS6_6detail15normal_iteratorINS6_10device_ptrIjEEEENSD_INSE_IiEEEENS6_16discard_iteratorINS6_11use_defaultEEESI_PmS8_NS6_8equal_toIjEEEE10hipError_tPvRmT2_T3_mT4_T5_T6_T7_T8_P12ihipStream_tbENKUlT_T0_E_clISt17integral_constantIbLb1EES15_IbLb0EEEEDaS11_S12_EUlS11_E_NS1_11comp_targetILNS1_3genE10ELNS1_11target_archE1201ELNS1_3gpuE5ELNS1_3repE0EEENS1_30default_config_static_selectorELNS0_4arch9wavefront6targetE0EEEvT1_,"axG",@progbits,_ZN7rocprim17ROCPRIM_400000_NS6detail17trampoline_kernelINS0_14default_configENS1_29reduce_by_key_config_selectorIjiN6thrust23THRUST_200600_302600_NS4plusIiEEEEZZNS1_33reduce_by_key_impl_wrapped_configILNS1_25lookback_scan_determinismE0ES3_S9_NS6_6detail15normal_iteratorINS6_10device_ptrIjEEEENSD_INSE_IiEEEENS6_16discard_iteratorINS6_11use_defaultEEESI_PmS8_NS6_8equal_toIjEEEE10hipError_tPvRmT2_T3_mT4_T5_T6_T7_T8_P12ihipStream_tbENKUlT_T0_E_clISt17integral_constantIbLb1EES15_IbLb0EEEEDaS11_S12_EUlS11_E_NS1_11comp_targetILNS1_3genE10ELNS1_11target_archE1201ELNS1_3gpuE5ELNS1_3repE0EEENS1_30default_config_static_selectorELNS0_4arch9wavefront6targetE0EEEvT1_,comdat
.Lfunc_end1044:
	.size	_ZN7rocprim17ROCPRIM_400000_NS6detail17trampoline_kernelINS0_14default_configENS1_29reduce_by_key_config_selectorIjiN6thrust23THRUST_200600_302600_NS4plusIiEEEEZZNS1_33reduce_by_key_impl_wrapped_configILNS1_25lookback_scan_determinismE0ES3_S9_NS6_6detail15normal_iteratorINS6_10device_ptrIjEEEENSD_INSE_IiEEEENS6_16discard_iteratorINS6_11use_defaultEEESI_PmS8_NS6_8equal_toIjEEEE10hipError_tPvRmT2_T3_mT4_T5_T6_T7_T8_P12ihipStream_tbENKUlT_T0_E_clISt17integral_constantIbLb1EES15_IbLb0EEEEDaS11_S12_EUlS11_E_NS1_11comp_targetILNS1_3genE10ELNS1_11target_archE1201ELNS1_3gpuE5ELNS1_3repE0EEENS1_30default_config_static_selectorELNS0_4arch9wavefront6targetE0EEEvT1_, .Lfunc_end1044-_ZN7rocprim17ROCPRIM_400000_NS6detail17trampoline_kernelINS0_14default_configENS1_29reduce_by_key_config_selectorIjiN6thrust23THRUST_200600_302600_NS4plusIiEEEEZZNS1_33reduce_by_key_impl_wrapped_configILNS1_25lookback_scan_determinismE0ES3_S9_NS6_6detail15normal_iteratorINS6_10device_ptrIjEEEENSD_INSE_IiEEEENS6_16discard_iteratorINS6_11use_defaultEEESI_PmS8_NS6_8equal_toIjEEEE10hipError_tPvRmT2_T3_mT4_T5_T6_T7_T8_P12ihipStream_tbENKUlT_T0_E_clISt17integral_constantIbLb1EES15_IbLb0EEEEDaS11_S12_EUlS11_E_NS1_11comp_targetILNS1_3genE10ELNS1_11target_archE1201ELNS1_3gpuE5ELNS1_3repE0EEENS1_30default_config_static_selectorELNS0_4arch9wavefront6targetE0EEEvT1_
                                        ; -- End function
	.section	.AMDGPU.csdata,"",@progbits
; Kernel info:
; codeLenInByte = 0
; NumSgprs: 0
; NumVgprs: 0
; ScratchSize: 0
; MemoryBound: 0
; FloatMode: 240
; IeeeMode: 1
; LDSByteSize: 0 bytes/workgroup (compile time only)
; SGPRBlocks: 0
; VGPRBlocks: 0
; NumSGPRsForWavesPerEU: 1
; NumVGPRsForWavesPerEU: 1
; Occupancy: 16
; WaveLimiterHint : 0
; COMPUTE_PGM_RSRC2:SCRATCH_EN: 0
; COMPUTE_PGM_RSRC2:USER_SGPR: 15
; COMPUTE_PGM_RSRC2:TRAP_HANDLER: 0
; COMPUTE_PGM_RSRC2:TGID_X_EN: 1
; COMPUTE_PGM_RSRC2:TGID_Y_EN: 0
; COMPUTE_PGM_RSRC2:TGID_Z_EN: 0
; COMPUTE_PGM_RSRC2:TIDIG_COMP_CNT: 0
	.section	.text._ZN7rocprim17ROCPRIM_400000_NS6detail17trampoline_kernelINS0_14default_configENS1_29reduce_by_key_config_selectorIjiN6thrust23THRUST_200600_302600_NS4plusIiEEEEZZNS1_33reduce_by_key_impl_wrapped_configILNS1_25lookback_scan_determinismE0ES3_S9_NS6_6detail15normal_iteratorINS6_10device_ptrIjEEEENSD_INSE_IiEEEENS6_16discard_iteratorINS6_11use_defaultEEESI_PmS8_NS6_8equal_toIjEEEE10hipError_tPvRmT2_T3_mT4_T5_T6_T7_T8_P12ihipStream_tbENKUlT_T0_E_clISt17integral_constantIbLb1EES15_IbLb0EEEEDaS11_S12_EUlS11_E_NS1_11comp_targetILNS1_3genE10ELNS1_11target_archE1200ELNS1_3gpuE4ELNS1_3repE0EEENS1_30default_config_static_selectorELNS0_4arch9wavefront6targetE0EEEvT1_,"axG",@progbits,_ZN7rocprim17ROCPRIM_400000_NS6detail17trampoline_kernelINS0_14default_configENS1_29reduce_by_key_config_selectorIjiN6thrust23THRUST_200600_302600_NS4plusIiEEEEZZNS1_33reduce_by_key_impl_wrapped_configILNS1_25lookback_scan_determinismE0ES3_S9_NS6_6detail15normal_iteratorINS6_10device_ptrIjEEEENSD_INSE_IiEEEENS6_16discard_iteratorINS6_11use_defaultEEESI_PmS8_NS6_8equal_toIjEEEE10hipError_tPvRmT2_T3_mT4_T5_T6_T7_T8_P12ihipStream_tbENKUlT_T0_E_clISt17integral_constantIbLb1EES15_IbLb0EEEEDaS11_S12_EUlS11_E_NS1_11comp_targetILNS1_3genE10ELNS1_11target_archE1200ELNS1_3gpuE4ELNS1_3repE0EEENS1_30default_config_static_selectorELNS0_4arch9wavefront6targetE0EEEvT1_,comdat
	.protected	_ZN7rocprim17ROCPRIM_400000_NS6detail17trampoline_kernelINS0_14default_configENS1_29reduce_by_key_config_selectorIjiN6thrust23THRUST_200600_302600_NS4plusIiEEEEZZNS1_33reduce_by_key_impl_wrapped_configILNS1_25lookback_scan_determinismE0ES3_S9_NS6_6detail15normal_iteratorINS6_10device_ptrIjEEEENSD_INSE_IiEEEENS6_16discard_iteratorINS6_11use_defaultEEESI_PmS8_NS6_8equal_toIjEEEE10hipError_tPvRmT2_T3_mT4_T5_T6_T7_T8_P12ihipStream_tbENKUlT_T0_E_clISt17integral_constantIbLb1EES15_IbLb0EEEEDaS11_S12_EUlS11_E_NS1_11comp_targetILNS1_3genE10ELNS1_11target_archE1200ELNS1_3gpuE4ELNS1_3repE0EEENS1_30default_config_static_selectorELNS0_4arch9wavefront6targetE0EEEvT1_ ; -- Begin function _ZN7rocprim17ROCPRIM_400000_NS6detail17trampoline_kernelINS0_14default_configENS1_29reduce_by_key_config_selectorIjiN6thrust23THRUST_200600_302600_NS4plusIiEEEEZZNS1_33reduce_by_key_impl_wrapped_configILNS1_25lookback_scan_determinismE0ES3_S9_NS6_6detail15normal_iteratorINS6_10device_ptrIjEEEENSD_INSE_IiEEEENS6_16discard_iteratorINS6_11use_defaultEEESI_PmS8_NS6_8equal_toIjEEEE10hipError_tPvRmT2_T3_mT4_T5_T6_T7_T8_P12ihipStream_tbENKUlT_T0_E_clISt17integral_constantIbLb1EES15_IbLb0EEEEDaS11_S12_EUlS11_E_NS1_11comp_targetILNS1_3genE10ELNS1_11target_archE1200ELNS1_3gpuE4ELNS1_3repE0EEENS1_30default_config_static_selectorELNS0_4arch9wavefront6targetE0EEEvT1_
	.globl	_ZN7rocprim17ROCPRIM_400000_NS6detail17trampoline_kernelINS0_14default_configENS1_29reduce_by_key_config_selectorIjiN6thrust23THRUST_200600_302600_NS4plusIiEEEEZZNS1_33reduce_by_key_impl_wrapped_configILNS1_25lookback_scan_determinismE0ES3_S9_NS6_6detail15normal_iteratorINS6_10device_ptrIjEEEENSD_INSE_IiEEEENS6_16discard_iteratorINS6_11use_defaultEEESI_PmS8_NS6_8equal_toIjEEEE10hipError_tPvRmT2_T3_mT4_T5_T6_T7_T8_P12ihipStream_tbENKUlT_T0_E_clISt17integral_constantIbLb1EES15_IbLb0EEEEDaS11_S12_EUlS11_E_NS1_11comp_targetILNS1_3genE10ELNS1_11target_archE1200ELNS1_3gpuE4ELNS1_3repE0EEENS1_30default_config_static_selectorELNS0_4arch9wavefront6targetE0EEEvT1_
	.p2align	8
	.type	_ZN7rocprim17ROCPRIM_400000_NS6detail17trampoline_kernelINS0_14default_configENS1_29reduce_by_key_config_selectorIjiN6thrust23THRUST_200600_302600_NS4plusIiEEEEZZNS1_33reduce_by_key_impl_wrapped_configILNS1_25lookback_scan_determinismE0ES3_S9_NS6_6detail15normal_iteratorINS6_10device_ptrIjEEEENSD_INSE_IiEEEENS6_16discard_iteratorINS6_11use_defaultEEESI_PmS8_NS6_8equal_toIjEEEE10hipError_tPvRmT2_T3_mT4_T5_T6_T7_T8_P12ihipStream_tbENKUlT_T0_E_clISt17integral_constantIbLb1EES15_IbLb0EEEEDaS11_S12_EUlS11_E_NS1_11comp_targetILNS1_3genE10ELNS1_11target_archE1200ELNS1_3gpuE4ELNS1_3repE0EEENS1_30default_config_static_selectorELNS0_4arch9wavefront6targetE0EEEvT1_,@function
_ZN7rocprim17ROCPRIM_400000_NS6detail17trampoline_kernelINS0_14default_configENS1_29reduce_by_key_config_selectorIjiN6thrust23THRUST_200600_302600_NS4plusIiEEEEZZNS1_33reduce_by_key_impl_wrapped_configILNS1_25lookback_scan_determinismE0ES3_S9_NS6_6detail15normal_iteratorINS6_10device_ptrIjEEEENSD_INSE_IiEEEENS6_16discard_iteratorINS6_11use_defaultEEESI_PmS8_NS6_8equal_toIjEEEE10hipError_tPvRmT2_T3_mT4_T5_T6_T7_T8_P12ihipStream_tbENKUlT_T0_E_clISt17integral_constantIbLb1EES15_IbLb0EEEEDaS11_S12_EUlS11_E_NS1_11comp_targetILNS1_3genE10ELNS1_11target_archE1200ELNS1_3gpuE4ELNS1_3repE0EEENS1_30default_config_static_selectorELNS0_4arch9wavefront6targetE0EEEvT1_: ; @_ZN7rocprim17ROCPRIM_400000_NS6detail17trampoline_kernelINS0_14default_configENS1_29reduce_by_key_config_selectorIjiN6thrust23THRUST_200600_302600_NS4plusIiEEEEZZNS1_33reduce_by_key_impl_wrapped_configILNS1_25lookback_scan_determinismE0ES3_S9_NS6_6detail15normal_iteratorINS6_10device_ptrIjEEEENSD_INSE_IiEEEENS6_16discard_iteratorINS6_11use_defaultEEESI_PmS8_NS6_8equal_toIjEEEE10hipError_tPvRmT2_T3_mT4_T5_T6_T7_T8_P12ihipStream_tbENKUlT_T0_E_clISt17integral_constantIbLb1EES15_IbLb0EEEEDaS11_S12_EUlS11_E_NS1_11comp_targetILNS1_3genE10ELNS1_11target_archE1200ELNS1_3gpuE4ELNS1_3repE0EEENS1_30default_config_static_selectorELNS0_4arch9wavefront6targetE0EEEvT1_
; %bb.0:
	.section	.rodata,"a",@progbits
	.p2align	6, 0x0
	.amdhsa_kernel _ZN7rocprim17ROCPRIM_400000_NS6detail17trampoline_kernelINS0_14default_configENS1_29reduce_by_key_config_selectorIjiN6thrust23THRUST_200600_302600_NS4plusIiEEEEZZNS1_33reduce_by_key_impl_wrapped_configILNS1_25lookback_scan_determinismE0ES3_S9_NS6_6detail15normal_iteratorINS6_10device_ptrIjEEEENSD_INSE_IiEEEENS6_16discard_iteratorINS6_11use_defaultEEESI_PmS8_NS6_8equal_toIjEEEE10hipError_tPvRmT2_T3_mT4_T5_T6_T7_T8_P12ihipStream_tbENKUlT_T0_E_clISt17integral_constantIbLb1EES15_IbLb0EEEEDaS11_S12_EUlS11_E_NS1_11comp_targetILNS1_3genE10ELNS1_11target_archE1200ELNS1_3gpuE4ELNS1_3repE0EEENS1_30default_config_static_selectorELNS0_4arch9wavefront6targetE0EEEvT1_
		.amdhsa_group_segment_fixed_size 0
		.amdhsa_private_segment_fixed_size 0
		.amdhsa_kernarg_size 128
		.amdhsa_user_sgpr_count 15
		.amdhsa_user_sgpr_dispatch_ptr 0
		.amdhsa_user_sgpr_queue_ptr 0
		.amdhsa_user_sgpr_kernarg_segment_ptr 1
		.amdhsa_user_sgpr_dispatch_id 0
		.amdhsa_user_sgpr_private_segment_size 0
		.amdhsa_wavefront_size32 1
		.amdhsa_uses_dynamic_stack 0
		.amdhsa_enable_private_segment 0
		.amdhsa_system_sgpr_workgroup_id_x 1
		.amdhsa_system_sgpr_workgroup_id_y 0
		.amdhsa_system_sgpr_workgroup_id_z 0
		.amdhsa_system_sgpr_workgroup_info 0
		.amdhsa_system_vgpr_workitem_id 0
		.amdhsa_next_free_vgpr 1
		.amdhsa_next_free_sgpr 1
		.amdhsa_reserve_vcc 0
		.amdhsa_float_round_mode_32 0
		.amdhsa_float_round_mode_16_64 0
		.amdhsa_float_denorm_mode_32 3
		.amdhsa_float_denorm_mode_16_64 3
		.amdhsa_dx10_clamp 1
		.amdhsa_ieee_mode 1
		.amdhsa_fp16_overflow 0
		.amdhsa_workgroup_processor_mode 1
		.amdhsa_memory_ordered 1
		.amdhsa_forward_progress 0
		.amdhsa_shared_vgpr_count 0
		.amdhsa_exception_fp_ieee_invalid_op 0
		.amdhsa_exception_fp_denorm_src 0
		.amdhsa_exception_fp_ieee_div_zero 0
		.amdhsa_exception_fp_ieee_overflow 0
		.amdhsa_exception_fp_ieee_underflow 0
		.amdhsa_exception_fp_ieee_inexact 0
		.amdhsa_exception_int_div_zero 0
	.end_amdhsa_kernel
	.section	.text._ZN7rocprim17ROCPRIM_400000_NS6detail17trampoline_kernelINS0_14default_configENS1_29reduce_by_key_config_selectorIjiN6thrust23THRUST_200600_302600_NS4plusIiEEEEZZNS1_33reduce_by_key_impl_wrapped_configILNS1_25lookback_scan_determinismE0ES3_S9_NS6_6detail15normal_iteratorINS6_10device_ptrIjEEEENSD_INSE_IiEEEENS6_16discard_iteratorINS6_11use_defaultEEESI_PmS8_NS6_8equal_toIjEEEE10hipError_tPvRmT2_T3_mT4_T5_T6_T7_T8_P12ihipStream_tbENKUlT_T0_E_clISt17integral_constantIbLb1EES15_IbLb0EEEEDaS11_S12_EUlS11_E_NS1_11comp_targetILNS1_3genE10ELNS1_11target_archE1200ELNS1_3gpuE4ELNS1_3repE0EEENS1_30default_config_static_selectorELNS0_4arch9wavefront6targetE0EEEvT1_,"axG",@progbits,_ZN7rocprim17ROCPRIM_400000_NS6detail17trampoline_kernelINS0_14default_configENS1_29reduce_by_key_config_selectorIjiN6thrust23THRUST_200600_302600_NS4plusIiEEEEZZNS1_33reduce_by_key_impl_wrapped_configILNS1_25lookback_scan_determinismE0ES3_S9_NS6_6detail15normal_iteratorINS6_10device_ptrIjEEEENSD_INSE_IiEEEENS6_16discard_iteratorINS6_11use_defaultEEESI_PmS8_NS6_8equal_toIjEEEE10hipError_tPvRmT2_T3_mT4_T5_T6_T7_T8_P12ihipStream_tbENKUlT_T0_E_clISt17integral_constantIbLb1EES15_IbLb0EEEEDaS11_S12_EUlS11_E_NS1_11comp_targetILNS1_3genE10ELNS1_11target_archE1200ELNS1_3gpuE4ELNS1_3repE0EEENS1_30default_config_static_selectorELNS0_4arch9wavefront6targetE0EEEvT1_,comdat
.Lfunc_end1045:
	.size	_ZN7rocprim17ROCPRIM_400000_NS6detail17trampoline_kernelINS0_14default_configENS1_29reduce_by_key_config_selectorIjiN6thrust23THRUST_200600_302600_NS4plusIiEEEEZZNS1_33reduce_by_key_impl_wrapped_configILNS1_25lookback_scan_determinismE0ES3_S9_NS6_6detail15normal_iteratorINS6_10device_ptrIjEEEENSD_INSE_IiEEEENS6_16discard_iteratorINS6_11use_defaultEEESI_PmS8_NS6_8equal_toIjEEEE10hipError_tPvRmT2_T3_mT4_T5_T6_T7_T8_P12ihipStream_tbENKUlT_T0_E_clISt17integral_constantIbLb1EES15_IbLb0EEEEDaS11_S12_EUlS11_E_NS1_11comp_targetILNS1_3genE10ELNS1_11target_archE1200ELNS1_3gpuE4ELNS1_3repE0EEENS1_30default_config_static_selectorELNS0_4arch9wavefront6targetE0EEEvT1_, .Lfunc_end1045-_ZN7rocprim17ROCPRIM_400000_NS6detail17trampoline_kernelINS0_14default_configENS1_29reduce_by_key_config_selectorIjiN6thrust23THRUST_200600_302600_NS4plusIiEEEEZZNS1_33reduce_by_key_impl_wrapped_configILNS1_25lookback_scan_determinismE0ES3_S9_NS6_6detail15normal_iteratorINS6_10device_ptrIjEEEENSD_INSE_IiEEEENS6_16discard_iteratorINS6_11use_defaultEEESI_PmS8_NS6_8equal_toIjEEEE10hipError_tPvRmT2_T3_mT4_T5_T6_T7_T8_P12ihipStream_tbENKUlT_T0_E_clISt17integral_constantIbLb1EES15_IbLb0EEEEDaS11_S12_EUlS11_E_NS1_11comp_targetILNS1_3genE10ELNS1_11target_archE1200ELNS1_3gpuE4ELNS1_3repE0EEENS1_30default_config_static_selectorELNS0_4arch9wavefront6targetE0EEEvT1_
                                        ; -- End function
	.section	.AMDGPU.csdata,"",@progbits
; Kernel info:
; codeLenInByte = 0
; NumSgprs: 0
; NumVgprs: 0
; ScratchSize: 0
; MemoryBound: 0
; FloatMode: 240
; IeeeMode: 1
; LDSByteSize: 0 bytes/workgroup (compile time only)
; SGPRBlocks: 0
; VGPRBlocks: 0
; NumSGPRsForWavesPerEU: 1
; NumVGPRsForWavesPerEU: 1
; Occupancy: 16
; WaveLimiterHint : 0
; COMPUTE_PGM_RSRC2:SCRATCH_EN: 0
; COMPUTE_PGM_RSRC2:USER_SGPR: 15
; COMPUTE_PGM_RSRC2:TRAP_HANDLER: 0
; COMPUTE_PGM_RSRC2:TGID_X_EN: 1
; COMPUTE_PGM_RSRC2:TGID_Y_EN: 0
; COMPUTE_PGM_RSRC2:TGID_Z_EN: 0
; COMPUTE_PGM_RSRC2:TIDIG_COMP_CNT: 0
	.section	.text._ZN7rocprim17ROCPRIM_400000_NS6detail17trampoline_kernelINS0_14default_configENS1_29reduce_by_key_config_selectorIjiN6thrust23THRUST_200600_302600_NS4plusIiEEEEZZNS1_33reduce_by_key_impl_wrapped_configILNS1_25lookback_scan_determinismE0ES3_S9_NS6_6detail15normal_iteratorINS6_10device_ptrIjEEEENSD_INSE_IiEEEENS6_16discard_iteratorINS6_11use_defaultEEESI_PmS8_NS6_8equal_toIjEEEE10hipError_tPvRmT2_T3_mT4_T5_T6_T7_T8_P12ihipStream_tbENKUlT_T0_E_clISt17integral_constantIbLb1EES15_IbLb0EEEEDaS11_S12_EUlS11_E_NS1_11comp_targetILNS1_3genE9ELNS1_11target_archE1100ELNS1_3gpuE3ELNS1_3repE0EEENS1_30default_config_static_selectorELNS0_4arch9wavefront6targetE0EEEvT1_,"axG",@progbits,_ZN7rocprim17ROCPRIM_400000_NS6detail17trampoline_kernelINS0_14default_configENS1_29reduce_by_key_config_selectorIjiN6thrust23THRUST_200600_302600_NS4plusIiEEEEZZNS1_33reduce_by_key_impl_wrapped_configILNS1_25lookback_scan_determinismE0ES3_S9_NS6_6detail15normal_iteratorINS6_10device_ptrIjEEEENSD_INSE_IiEEEENS6_16discard_iteratorINS6_11use_defaultEEESI_PmS8_NS6_8equal_toIjEEEE10hipError_tPvRmT2_T3_mT4_T5_T6_T7_T8_P12ihipStream_tbENKUlT_T0_E_clISt17integral_constantIbLb1EES15_IbLb0EEEEDaS11_S12_EUlS11_E_NS1_11comp_targetILNS1_3genE9ELNS1_11target_archE1100ELNS1_3gpuE3ELNS1_3repE0EEENS1_30default_config_static_selectorELNS0_4arch9wavefront6targetE0EEEvT1_,comdat
	.protected	_ZN7rocprim17ROCPRIM_400000_NS6detail17trampoline_kernelINS0_14default_configENS1_29reduce_by_key_config_selectorIjiN6thrust23THRUST_200600_302600_NS4plusIiEEEEZZNS1_33reduce_by_key_impl_wrapped_configILNS1_25lookback_scan_determinismE0ES3_S9_NS6_6detail15normal_iteratorINS6_10device_ptrIjEEEENSD_INSE_IiEEEENS6_16discard_iteratorINS6_11use_defaultEEESI_PmS8_NS6_8equal_toIjEEEE10hipError_tPvRmT2_T3_mT4_T5_T6_T7_T8_P12ihipStream_tbENKUlT_T0_E_clISt17integral_constantIbLb1EES15_IbLb0EEEEDaS11_S12_EUlS11_E_NS1_11comp_targetILNS1_3genE9ELNS1_11target_archE1100ELNS1_3gpuE3ELNS1_3repE0EEENS1_30default_config_static_selectorELNS0_4arch9wavefront6targetE0EEEvT1_ ; -- Begin function _ZN7rocprim17ROCPRIM_400000_NS6detail17trampoline_kernelINS0_14default_configENS1_29reduce_by_key_config_selectorIjiN6thrust23THRUST_200600_302600_NS4plusIiEEEEZZNS1_33reduce_by_key_impl_wrapped_configILNS1_25lookback_scan_determinismE0ES3_S9_NS6_6detail15normal_iteratorINS6_10device_ptrIjEEEENSD_INSE_IiEEEENS6_16discard_iteratorINS6_11use_defaultEEESI_PmS8_NS6_8equal_toIjEEEE10hipError_tPvRmT2_T3_mT4_T5_T6_T7_T8_P12ihipStream_tbENKUlT_T0_E_clISt17integral_constantIbLb1EES15_IbLb0EEEEDaS11_S12_EUlS11_E_NS1_11comp_targetILNS1_3genE9ELNS1_11target_archE1100ELNS1_3gpuE3ELNS1_3repE0EEENS1_30default_config_static_selectorELNS0_4arch9wavefront6targetE0EEEvT1_
	.globl	_ZN7rocprim17ROCPRIM_400000_NS6detail17trampoline_kernelINS0_14default_configENS1_29reduce_by_key_config_selectorIjiN6thrust23THRUST_200600_302600_NS4plusIiEEEEZZNS1_33reduce_by_key_impl_wrapped_configILNS1_25lookback_scan_determinismE0ES3_S9_NS6_6detail15normal_iteratorINS6_10device_ptrIjEEEENSD_INSE_IiEEEENS6_16discard_iteratorINS6_11use_defaultEEESI_PmS8_NS6_8equal_toIjEEEE10hipError_tPvRmT2_T3_mT4_T5_T6_T7_T8_P12ihipStream_tbENKUlT_T0_E_clISt17integral_constantIbLb1EES15_IbLb0EEEEDaS11_S12_EUlS11_E_NS1_11comp_targetILNS1_3genE9ELNS1_11target_archE1100ELNS1_3gpuE3ELNS1_3repE0EEENS1_30default_config_static_selectorELNS0_4arch9wavefront6targetE0EEEvT1_
	.p2align	8
	.type	_ZN7rocprim17ROCPRIM_400000_NS6detail17trampoline_kernelINS0_14default_configENS1_29reduce_by_key_config_selectorIjiN6thrust23THRUST_200600_302600_NS4plusIiEEEEZZNS1_33reduce_by_key_impl_wrapped_configILNS1_25lookback_scan_determinismE0ES3_S9_NS6_6detail15normal_iteratorINS6_10device_ptrIjEEEENSD_INSE_IiEEEENS6_16discard_iteratorINS6_11use_defaultEEESI_PmS8_NS6_8equal_toIjEEEE10hipError_tPvRmT2_T3_mT4_T5_T6_T7_T8_P12ihipStream_tbENKUlT_T0_E_clISt17integral_constantIbLb1EES15_IbLb0EEEEDaS11_S12_EUlS11_E_NS1_11comp_targetILNS1_3genE9ELNS1_11target_archE1100ELNS1_3gpuE3ELNS1_3repE0EEENS1_30default_config_static_selectorELNS0_4arch9wavefront6targetE0EEEvT1_,@function
_ZN7rocprim17ROCPRIM_400000_NS6detail17trampoline_kernelINS0_14default_configENS1_29reduce_by_key_config_selectorIjiN6thrust23THRUST_200600_302600_NS4plusIiEEEEZZNS1_33reduce_by_key_impl_wrapped_configILNS1_25lookback_scan_determinismE0ES3_S9_NS6_6detail15normal_iteratorINS6_10device_ptrIjEEEENSD_INSE_IiEEEENS6_16discard_iteratorINS6_11use_defaultEEESI_PmS8_NS6_8equal_toIjEEEE10hipError_tPvRmT2_T3_mT4_T5_T6_T7_T8_P12ihipStream_tbENKUlT_T0_E_clISt17integral_constantIbLb1EES15_IbLb0EEEEDaS11_S12_EUlS11_E_NS1_11comp_targetILNS1_3genE9ELNS1_11target_archE1100ELNS1_3gpuE3ELNS1_3repE0EEENS1_30default_config_static_selectorELNS0_4arch9wavefront6targetE0EEEvT1_: ; @_ZN7rocprim17ROCPRIM_400000_NS6detail17trampoline_kernelINS0_14default_configENS1_29reduce_by_key_config_selectorIjiN6thrust23THRUST_200600_302600_NS4plusIiEEEEZZNS1_33reduce_by_key_impl_wrapped_configILNS1_25lookback_scan_determinismE0ES3_S9_NS6_6detail15normal_iteratorINS6_10device_ptrIjEEEENSD_INSE_IiEEEENS6_16discard_iteratorINS6_11use_defaultEEESI_PmS8_NS6_8equal_toIjEEEE10hipError_tPvRmT2_T3_mT4_T5_T6_T7_T8_P12ihipStream_tbENKUlT_T0_E_clISt17integral_constantIbLb1EES15_IbLb0EEEEDaS11_S12_EUlS11_E_NS1_11comp_targetILNS1_3genE9ELNS1_11target_archE1100ELNS1_3gpuE3ELNS1_3repE0EEENS1_30default_config_static_selectorELNS0_4arch9wavefront6targetE0EEEvT1_
; %bb.0:
	s_clause 0x4
	s_load_b128 s[4:7], s[0:1], 0x0
	s_load_b256 s[24:31], s[0:1], 0x40
	s_load_b64 s[8:9], s[0:1], 0x10
	s_load_b64 s[34:35], s[0:1], 0x70
	s_load_b128 s[36:39], s[0:1], 0x60
	s_mov_b32 s3, 0
	s_mul_i32 s2, s15, 0xf00
	s_waitcnt lgkmcnt(0)
	s_lshl_b64 s[6:7], s[6:7], 2
	s_mul_i32 s10, s28, s27
	s_add_u32 s14, s4, s6
	s_mul_hi_u32 s11, s28, s26
	s_addc_u32 s16, s5, s7
	s_add_u32 s6, s8, s6
	s_mul_i32 s12, s29, s26
	s_addc_u32 s7, s9, s7
	s_add_i32 s8, s11, s10
	s_lshl_b64 s[4:5], s[2:3], 2
	s_add_i32 s8, s8, s12
	s_add_u32 s20, s14, s4
	s_addc_u32 s17, s16, s5
	s_mul_i32 s13, s28, s26
	s_add_u32 s22, s6, s4
	s_addc_u32 s28, s7, s5
	s_add_u32 s18, s13, s15
	s_addc_u32 s19, s8, 0
	s_add_u32 s4, s30, -1
	s_addc_u32 s5, s31, -1
	s_mul_i32 s33, s4, 0xfffff100
	s_cmp_eq_u64 s[18:19], s[4:5]
	s_cselect_b32 s23, -1, 0
	s_cmp_lg_u64 s[18:19], s[4:5]
	s_cselect_b32 s21, -1, 0
	s_and_b32 vcc_lo, exec_lo, s23
	s_cbranch_vccnz .LBB1046_2
; %bb.1:
	v_lshlrev_b32_e32 v8, 2, v0
	s_delay_alu instid0(VALU_DEP_1) | instskip(NEXT) | instid1(VALU_DEP_1)
	v_add_co_u32 v1, s2, s20, v8
	v_add_co_ci_u32_e64 v2, null, s17, 0, s2
	s_delay_alu instid0(VALU_DEP_2) | instskip(NEXT) | instid1(VALU_DEP_2)
	v_add_co_u32 v3, vcc_lo, 0x1000, v1
	v_add_co_ci_u32_e32 v4, vcc_lo, 0, v2, vcc_lo
	s_clause 0x7
	flat_load_b32 v9, v[1:2]
	flat_load_b32 v10, v[1:2] offset:1024
	flat_load_b32 v11, v[1:2] offset:2048
	;; [unrolled: 1-line block ×3, first 2 shown]
	flat_load_b32 v13, v[3:4]
	flat_load_b32 v14, v[3:4] offset:1024
	flat_load_b32 v15, v[3:4] offset:2048
	;; [unrolled: 1-line block ×3, first 2 shown]
	v_add_co_u32 v3, vcc_lo, 0x2000, v1
	v_add_co_ci_u32_e32 v4, vcc_lo, 0, v2, vcc_lo
	v_add_co_u32 v1, vcc_lo, 0x3000, v1
	v_add_co_ci_u32_e32 v2, vcc_lo, 0, v2, vcc_lo
	s_clause 0x6
	flat_load_b32 v17, v[3:4]
	flat_load_b32 v18, v[3:4] offset:1024
	flat_load_b32 v19, v[3:4] offset:2048
	;; [unrolled: 1-line block ×3, first 2 shown]
	flat_load_b32 v21, v[1:2]
	flat_load_b32 v22, v[1:2] offset:1024
	flat_load_b32 v25, v[1:2] offset:2048
	v_add_co_u32 v2, s2, s22, v8
	s_delay_alu instid0(VALU_DEP_1) | instskip(SKIP_1) | instid1(VALU_DEP_3)
	v_add_co_ci_u32_e64 v3, null, s28, 0, s2
	v_mad_u32_u24 v1, v0, 56, v8
	v_add_co_u32 v4, vcc_lo, 0x1000, v2
	s_delay_alu instid0(VALU_DEP_3)
	v_add_co_ci_u32_e32 v5, vcc_lo, 0, v3, vcc_lo
	v_add_co_u32 v6, vcc_lo, 0x2000, v2
	v_add_co_ci_u32_e32 v7, vcc_lo, 0, v3, vcc_lo
	v_add_co_u32 v23, vcc_lo, 0x3000, v2
	v_add_co_ci_u32_e32 v24, vcc_lo, 0, v3, vcc_lo
	s_waitcnt vmcnt(13) lgkmcnt(13)
	ds_store_2addr_stride64_b32 v8, v9, v10 offset1:4
	s_waitcnt vmcnt(11) lgkmcnt(12)
	ds_store_2addr_stride64_b32 v8, v11, v12 offset0:8 offset1:12
	s_waitcnt vmcnt(9) lgkmcnt(11)
	ds_store_2addr_stride64_b32 v8, v13, v14 offset0:16 offset1:20
	;; [unrolled: 2-line block ×6, first 2 shown]
	s_waitcnt vmcnt(0) lgkmcnt(7)
	ds_store_b32 v8, v25 offset:14336
	s_waitcnt lgkmcnt(0)
	s_barrier
	buffer_gl0_inv
	ds_load_2addr_b32 v[21:22], v1 offset1:1
	ds_load_2addr_b32 v[19:20], v1 offset0:2 offset1:3
	ds_load_2addr_b32 v[17:18], v1 offset0:4 offset1:5
	;; [unrolled: 1-line block ×6, first 2 shown]
	ds_load_b32 v63, v1 offset:56
	s_waitcnt lgkmcnt(0)
	s_barrier
	buffer_gl0_inv
	s_clause 0xe
	flat_load_b32 v25, v[2:3]
	flat_load_b32 v26, v[2:3] offset:1024
	flat_load_b32 v27, v[2:3] offset:2048
	flat_load_b32 v2, v[2:3] offset:3072
	flat_load_b32 v3, v[4:5]
	flat_load_b32 v28, v[4:5] offset:1024
	flat_load_b32 v29, v[4:5] offset:2048
	flat_load_b32 v4, v[4:5] offset:3072
	;; [unrolled: 4-line block ×3, first 2 shown]
	flat_load_b32 v7, v[23:24]
	flat_load_b32 v32, v[23:24] offset:1024
	flat_load_b32 v23, v[23:24] offset:2048
	s_waitcnt vmcnt(13) lgkmcnt(13)
	ds_store_2addr_stride64_b32 v8, v25, v26 offset1:4
	s_waitcnt vmcnt(11) lgkmcnt(12)
	ds_store_2addr_stride64_b32 v8, v27, v2 offset0:8 offset1:12
	s_waitcnt vmcnt(9) lgkmcnt(11)
	ds_store_2addr_stride64_b32 v8, v3, v28 offset0:16 offset1:20
	;; [unrolled: 2-line block ×6, first 2 shown]
	s_waitcnt vmcnt(0) lgkmcnt(7)
	ds_store_b32 v8, v23 offset:14336
	s_waitcnt lgkmcnt(0)
	s_barrier
	s_and_not1_b32 vcc_lo, exec_lo, s3
	s_add_i32 s33, s33, s36
	s_cbranch_vccz .LBB1046_3
	s_branch .LBB1046_50
.LBB1046_2:
                                        ; implicit-def: $vgpr1
                                        ; implicit-def: $vgpr21
                                        ; implicit-def: $vgpr19
                                        ; implicit-def: $vgpr17
                                        ; implicit-def: $vgpr15
                                        ; implicit-def: $vgpr13
                                        ; implicit-def: $vgpr11
                                        ; implicit-def: $vgpr9
                                        ; implicit-def: $vgpr63
	s_add_i32 s33, s33, s36
.LBB1046_3:
	s_delay_alu instid0(SALU_CYCLE_1)
	v_cmp_gt_u32_e32 vcc_lo, s33, v0
                                        ; implicit-def: $vgpr1
	s_and_saveexec_b32 s2, vcc_lo
	s_cbranch_execz .LBB1046_5
; %bb.4:
	v_lshlrev_b32_e32 v1, 2, v0
	s_delay_alu instid0(VALU_DEP_1) | instskip(NEXT) | instid1(VALU_DEP_1)
	v_add_co_u32 v1, s3, s20, v1
	v_add_co_ci_u32_e64 v2, null, s17, 0, s3
	flat_load_b32 v1, v[1:2]
.LBB1046_5:
	s_or_b32 exec_lo, exec_lo, s2
	v_or_b32_e32 v2, 0x100, v0
                                        ; implicit-def: $vgpr9
	s_delay_alu instid0(VALU_DEP_1) | instskip(NEXT) | instid1(VALU_DEP_1)
	v_cmp_gt_u32_e64 s2, s33, v2
	s_and_saveexec_b32 s3, s2
	s_cbranch_execz .LBB1046_7
; %bb.6:
	v_lshlrev_b32_e32 v2, 2, v0
	s_delay_alu instid0(VALU_DEP_1) | instskip(NEXT) | instid1(VALU_DEP_1)
	v_add_co_u32 v2, s4, s20, v2
	v_add_co_ci_u32_e64 v3, null, s17, 0, s4
	flat_load_b32 v9, v[2:3] offset:1024
.LBB1046_7:
	s_or_b32 exec_lo, exec_lo, s3
	v_or_b32_e32 v2, 0x200, v0
                                        ; implicit-def: $vgpr10
	s_delay_alu instid0(VALU_DEP_1) | instskip(NEXT) | instid1(VALU_DEP_1)
	v_cmp_gt_u32_e64 s3, s33, v2
	s_and_saveexec_b32 s4, s3
	s_cbranch_execz .LBB1046_9
; %bb.8:
	v_lshlrev_b32_e32 v2, 2, v0
	s_delay_alu instid0(VALU_DEP_1) | instskip(NEXT) | instid1(VALU_DEP_1)
	v_add_co_u32 v2, s5, s20, v2
	v_add_co_ci_u32_e64 v3, null, s17, 0, s5
	flat_load_b32 v10, v[2:3] offset:2048
.LBB1046_9:
	s_or_b32 exec_lo, exec_lo, s4
	v_or_b32_e32 v2, 0x300, v0
                                        ; implicit-def: $vgpr11
	s_delay_alu instid0(VALU_DEP_1) | instskip(NEXT) | instid1(VALU_DEP_1)
	v_cmp_gt_u32_e64 s4, s33, v2
	s_and_saveexec_b32 s5, s4
	s_cbranch_execz .LBB1046_11
; %bb.10:
	v_lshlrev_b32_e32 v2, 2, v0
	s_delay_alu instid0(VALU_DEP_1) | instskip(NEXT) | instid1(VALU_DEP_1)
	v_add_co_u32 v2, s6, s20, v2
	v_add_co_ci_u32_e64 v3, null, s17, 0, s6
	flat_load_b32 v11, v[2:3] offset:3072
.LBB1046_11:
	s_or_b32 exec_lo, exec_lo, s5
	v_or_b32_e32 v2, 0x400, v0
                                        ; implicit-def: $vgpr12
	s_delay_alu instid0(VALU_DEP_1) | instskip(NEXT) | instid1(VALU_DEP_1)
	v_cmp_gt_u32_e64 s5, s33, v2
	s_and_saveexec_b32 s6, s5
	s_cbranch_execz .LBB1046_13
; %bb.12:
	v_lshlrev_b32_e32 v3, 2, v2
	s_delay_alu instid0(VALU_DEP_1) | instskip(NEXT) | instid1(VALU_DEP_1)
	v_add_co_u32 v3, s7, s20, v3
	v_add_co_ci_u32_e64 v4, null, s17, 0, s7
	flat_load_b32 v12, v[3:4]
.LBB1046_13:
	s_or_b32 exec_lo, exec_lo, s6
	v_or_b32_e32 v3, 0x500, v0
                                        ; implicit-def: $vgpr13
	s_delay_alu instid0(VALU_DEP_1) | instskip(NEXT) | instid1(VALU_DEP_1)
	v_cmp_gt_u32_e64 s6, s33, v3
	s_and_saveexec_b32 s7, s6
	s_cbranch_execz .LBB1046_15
; %bb.14:
	v_lshlrev_b32_e32 v4, 2, v3
	s_delay_alu instid0(VALU_DEP_1) | instskip(NEXT) | instid1(VALU_DEP_1)
	v_add_co_u32 v4, s8, s20, v4
	v_add_co_ci_u32_e64 v5, null, s17, 0, s8
	flat_load_b32 v13, v[4:5]
.LBB1046_15:
	s_or_b32 exec_lo, exec_lo, s7
	v_or_b32_e32 v4, 0x600, v0
                                        ; implicit-def: $vgpr14
	s_delay_alu instid0(VALU_DEP_1) | instskip(NEXT) | instid1(VALU_DEP_1)
	v_cmp_gt_u32_e64 s7, s33, v4
	s_and_saveexec_b32 s8, s7
	s_cbranch_execz .LBB1046_17
; %bb.16:
	v_lshlrev_b32_e32 v5, 2, v4
	s_delay_alu instid0(VALU_DEP_1) | instskip(NEXT) | instid1(VALU_DEP_1)
	v_add_co_u32 v5, s9, s20, v5
	v_add_co_ci_u32_e64 v6, null, s17, 0, s9
	flat_load_b32 v14, v[5:6]
.LBB1046_17:
	s_or_b32 exec_lo, exec_lo, s8
	v_or_b32_e32 v5, 0x700, v0
                                        ; implicit-def: $vgpr15
	s_delay_alu instid0(VALU_DEP_1) | instskip(NEXT) | instid1(VALU_DEP_1)
	v_cmp_gt_u32_e64 s8, s33, v5
	s_and_saveexec_b32 s9, s8
	s_cbranch_execz .LBB1046_19
; %bb.18:
	v_lshlrev_b32_e32 v6, 2, v5
	s_delay_alu instid0(VALU_DEP_1) | instskip(NEXT) | instid1(VALU_DEP_1)
	v_add_co_u32 v6, s10, s20, v6
	v_add_co_ci_u32_e64 v7, null, s17, 0, s10
	flat_load_b32 v15, v[6:7]
.LBB1046_19:
	s_or_b32 exec_lo, exec_lo, s9
	v_or_b32_e32 v6, 0x800, v0
                                        ; implicit-def: $vgpr16
	s_delay_alu instid0(VALU_DEP_1) | instskip(NEXT) | instid1(VALU_DEP_1)
	v_cmp_gt_u32_e64 s9, s33, v6
	s_and_saveexec_b32 s10, s9
	s_cbranch_execz .LBB1046_21
; %bb.20:
	v_lshlrev_b32_e32 v7, 2, v6
	s_delay_alu instid0(VALU_DEP_1) | instskip(NEXT) | instid1(VALU_DEP_1)
	v_add_co_u32 v7, s11, s20, v7
	v_add_co_ci_u32_e64 v8, null, s17, 0, s11
	flat_load_b32 v16, v[7:8]
.LBB1046_21:
	s_or_b32 exec_lo, exec_lo, s10
	v_or_b32_e32 v8, 0x900, v0
                                        ; implicit-def: $vgpr17
	s_delay_alu instid0(VALU_DEP_1) | instskip(NEXT) | instid1(VALU_DEP_1)
	v_cmp_gt_u32_e64 s10, s33, v8
	s_and_saveexec_b32 s11, s10
	s_cbranch_execz .LBB1046_23
; %bb.22:
	v_lshlrev_b32_e32 v7, 2, v8
	s_delay_alu instid0(VALU_DEP_1) | instskip(NEXT) | instid1(VALU_DEP_1)
	v_add_co_u32 v17, s12, s20, v7
	v_add_co_ci_u32_e64 v18, null, s17, 0, s12
	flat_load_b32 v17, v[17:18]
.LBB1046_23:
	s_or_b32 exec_lo, exec_lo, s11
	v_or_b32_e32 v23, 0xa00, v0
                                        ; implicit-def: $vgpr18
	s_delay_alu instid0(VALU_DEP_1) | instskip(NEXT) | instid1(VALU_DEP_1)
	v_cmp_gt_u32_e64 s11, s33, v23
	s_and_saveexec_b32 s12, s11
	s_cbranch_execz .LBB1046_25
; %bb.24:
	v_lshlrev_b32_e32 v7, 2, v23
	s_delay_alu instid0(VALU_DEP_1) | instskip(NEXT) | instid1(VALU_DEP_1)
	v_add_co_u32 v18, s13, s20, v7
	v_add_co_ci_u32_e64 v19, null, s17, 0, s13
	flat_load_b32 v18, v[18:19]
.LBB1046_25:
	s_or_b32 exec_lo, exec_lo, s12
	v_or_b32_e32 v24, 0xb00, v0
                                        ; implicit-def: $vgpr19
	s_delay_alu instid0(VALU_DEP_1) | instskip(NEXT) | instid1(VALU_DEP_1)
	v_cmp_gt_u32_e64 s12, s33, v24
	s_and_saveexec_b32 s13, s12
	s_cbranch_execz .LBB1046_27
; %bb.26:
	v_lshlrev_b32_e32 v7, 2, v24
	s_delay_alu instid0(VALU_DEP_1) | instskip(NEXT) | instid1(VALU_DEP_1)
	v_add_co_u32 v19, s14, s20, v7
	v_add_co_ci_u32_e64 v20, null, s17, 0, s14
	flat_load_b32 v19, v[19:20]
.LBB1046_27:
	s_or_b32 exec_lo, exec_lo, s13
	v_or_b32_e32 v25, 0xc00, v0
                                        ; implicit-def: $vgpr20
	s_delay_alu instid0(VALU_DEP_1) | instskip(NEXT) | instid1(VALU_DEP_1)
	v_cmp_gt_u32_e64 s13, s33, v25
	s_and_saveexec_b32 s14, s13
	s_cbranch_execz .LBB1046_29
; %bb.28:
	v_lshlrev_b32_e32 v7, 2, v25
	s_delay_alu instid0(VALU_DEP_1) | instskip(NEXT) | instid1(VALU_DEP_1)
	v_add_co_u32 v20, s16, s20, v7
	v_add_co_ci_u32_e64 v21, null, s17, 0, s16
	flat_load_b32 v20, v[20:21]
.LBB1046_29:
	s_or_b32 exec_lo, exec_lo, s14
	v_or_b32_e32 v26, 0xd00, v0
                                        ; implicit-def: $vgpr21
	s_delay_alu instid0(VALU_DEP_1) | instskip(NEXT) | instid1(VALU_DEP_1)
	v_cmp_gt_u32_e64 s14, s33, v26
	s_and_saveexec_b32 s16, s14
	s_cbranch_execz .LBB1046_31
; %bb.30:
	v_lshlrev_b32_e32 v7, 2, v26
	s_delay_alu instid0(VALU_DEP_1) | instskip(NEXT) | instid1(VALU_DEP_1)
	v_add_co_u32 v21, s29, s20, v7
	v_add_co_ci_u32_e64 v22, null, s17, 0, s29
	flat_load_b32 v21, v[21:22]
.LBB1046_31:
	s_or_b32 exec_lo, exec_lo, s16
	v_or_b32_e32 v27, 0xe00, v0
                                        ; implicit-def: $vgpr22
	s_delay_alu instid0(VALU_DEP_1) | instskip(NEXT) | instid1(VALU_DEP_1)
	v_cmp_gt_u32_e64 s16, s33, v27
	s_and_saveexec_b32 s29, s16
	s_cbranch_execz .LBB1046_33
; %bb.32:
	v_lshlrev_b32_e32 v7, 2, v27
	s_delay_alu instid0(VALU_DEP_1) | instskip(NEXT) | instid1(VALU_DEP_1)
	v_add_co_u32 v28, s30, s20, v7
	v_add_co_ci_u32_e64 v29, null, s17, 0, s30
	flat_load_b32 v22, v[28:29]
.LBB1046_33:
	s_or_b32 exec_lo, exec_lo, s29
	v_lshlrev_b32_e32 v7, 2, v0
                                        ; implicit-def: $vgpr28
	s_waitcnt vmcnt(0) lgkmcnt(0)
	ds_store_2addr_stride64_b32 v7, v1, v9 offset1:4
	ds_store_2addr_stride64_b32 v7, v10, v11 offset0:8 offset1:12
	ds_store_2addr_stride64_b32 v7, v12, v13 offset0:16 offset1:20
	ds_store_2addr_stride64_b32 v7, v14, v15 offset0:24 offset1:28
	ds_store_2addr_stride64_b32 v7, v16, v17 offset0:32 offset1:36
	ds_store_2addr_stride64_b32 v7, v18, v19 offset0:40 offset1:44
	ds_store_2addr_stride64_b32 v7, v20, v21 offset0:48 offset1:52
	v_mad_u32_u24 v1, v0, 56, v7
	ds_store_b32 v7, v22 offset:14336
	s_waitcnt lgkmcnt(0)
	s_barrier
	buffer_gl0_inv
	ds_load_2addr_b32 v[21:22], v1 offset1:1
	ds_load_2addr_b32 v[19:20], v1 offset0:2 offset1:3
	ds_load_2addr_b32 v[17:18], v1 offset0:4 offset1:5
	;; [unrolled: 1-line block ×6, first 2 shown]
	ds_load_b32 v63, v1 offset:56
	s_waitcnt lgkmcnt(0)
	s_barrier
	buffer_gl0_inv
	s_and_saveexec_b32 s29, vcc_lo
	s_cbranch_execnz .LBB1046_57
; %bb.34:
	s_or_b32 exec_lo, exec_lo, s29
                                        ; implicit-def: $vgpr29
	s_and_saveexec_b32 s29, s2
	s_cbranch_execnz .LBB1046_58
.LBB1046_35:
	s_or_b32 exec_lo, exec_lo, s29
                                        ; implicit-def: $vgpr30
	s_and_saveexec_b32 s2, s3
	s_cbranch_execnz .LBB1046_59
.LBB1046_36:
	s_or_b32 exec_lo, exec_lo, s2
                                        ; implicit-def: $vgpr31
	s_and_saveexec_b32 s2, s4
	s_cbranch_execnz .LBB1046_60
.LBB1046_37:
	s_or_b32 exec_lo, exec_lo, s2
                                        ; implicit-def: $vgpr32
	s_and_saveexec_b32 s2, s5
	s_cbranch_execnz .LBB1046_61
.LBB1046_38:
	s_or_b32 exec_lo, exec_lo, s2
                                        ; implicit-def: $vgpr2
	s_and_saveexec_b32 s2, s6
	s_cbranch_execnz .LBB1046_62
.LBB1046_39:
	s_or_b32 exec_lo, exec_lo, s2
                                        ; implicit-def: $vgpr3
	s_and_saveexec_b32 s2, s7
	s_cbranch_execnz .LBB1046_63
.LBB1046_40:
	s_or_b32 exec_lo, exec_lo, s2
                                        ; implicit-def: $vgpr4
	s_and_saveexec_b32 s2, s8
	s_cbranch_execnz .LBB1046_64
.LBB1046_41:
	s_or_b32 exec_lo, exec_lo, s2
                                        ; implicit-def: $vgpr5
	s_and_saveexec_b32 s2, s9
	s_cbranch_execnz .LBB1046_65
.LBB1046_42:
	s_or_b32 exec_lo, exec_lo, s2
                                        ; implicit-def: $vgpr6
	s_and_saveexec_b32 s2, s10
	s_cbranch_execnz .LBB1046_66
.LBB1046_43:
	s_or_b32 exec_lo, exec_lo, s2
                                        ; implicit-def: $vgpr8
	s_and_saveexec_b32 s2, s11
	s_cbranch_execnz .LBB1046_67
.LBB1046_44:
	s_or_b32 exec_lo, exec_lo, s2
                                        ; implicit-def: $vgpr23
	s_and_saveexec_b32 s2, s12
	s_cbranch_execnz .LBB1046_68
.LBB1046_45:
	s_or_b32 exec_lo, exec_lo, s2
                                        ; implicit-def: $vgpr24
	s_and_saveexec_b32 s2, s13
	s_cbranch_execnz .LBB1046_69
.LBB1046_46:
	s_or_b32 exec_lo, exec_lo, s2
                                        ; implicit-def: $vgpr25
	s_and_saveexec_b32 s2, s14
	s_cbranch_execnz .LBB1046_70
.LBB1046_47:
	s_or_b32 exec_lo, exec_lo, s2
                                        ; implicit-def: $vgpr26
	s_and_saveexec_b32 s2, s16
	s_cbranch_execz .LBB1046_49
.LBB1046_48:
	v_lshlrev_b32_e32 v26, 2, v27
	s_delay_alu instid0(VALU_DEP_1) | instskip(NEXT) | instid1(VALU_DEP_1)
	v_add_co_u32 v26, s3, s22, v26
	v_add_co_ci_u32_e64 v27, null, s28, 0, s3
	flat_load_b32 v26, v[26:27]
.LBB1046_49:
	s_or_b32 exec_lo, exec_lo, s2
	s_waitcnt vmcnt(0) lgkmcnt(0)
	ds_store_2addr_stride64_b32 v7, v28, v29 offset1:4
	ds_store_2addr_stride64_b32 v7, v30, v31 offset0:8 offset1:12
	ds_store_2addr_stride64_b32 v7, v32, v2 offset0:16 offset1:20
	ds_store_2addr_stride64_b32 v7, v3, v4 offset0:24 offset1:28
	ds_store_2addr_stride64_b32 v7, v5, v6 offset0:32 offset1:36
	ds_store_2addr_stride64_b32 v7, v8, v23 offset0:40 offset1:44
	ds_store_2addr_stride64_b32 v7, v24, v25 offset0:48 offset1:52
	ds_store_b32 v7, v26 offset:14336
	s_waitcnt lgkmcnt(0)
	s_barrier
.LBB1046_50:
	buffer_gl0_inv
	ds_load_2addr_b32 v[35:36], v1 offset1:1
	ds_load_2addr_b32 v[33:34], v1 offset0:2 offset1:3
	ds_load_2addr_b32 v[31:32], v1 offset0:4 offset1:5
	;; [unrolled: 1-line block ×6, first 2 shown]
	ds_load_b32 v78, v1 offset:56
	s_load_b128 s[28:31], s[0:1], 0x28
	s_cmp_eq_u64 s[18:19], 0
	s_waitcnt lgkmcnt(0)
	s_cselect_b32 s40, -1, 0
	s_cmp_lg_u64 s[18:19], 0
	s_barrier
	s_cselect_b32 s14, -1, 0
	s_and_b32 vcc_lo, exec_lo, s21
	buffer_gl0_inv
	s_cbranch_vccz .LBB1046_56
; %bb.51:
	s_and_b32 vcc_lo, exec_lo, s14
	s_cbranch_vccz .LBB1046_71
; %bb.52:
	v_add_co_u32 v1, s0, -4, s20
	s_delay_alu instid0(VALU_DEP_1)
	v_add_co_ci_u32_e64 v2, null, -1, s17, s0
	v_cmp_ne_u32_e32 vcc_lo, v10, v63
	v_cmp_ne_u32_e64 s0, v9, v10
	v_cmp_ne_u32_e64 s1, v12, v9
	flat_load_b32 v1, v[1:2]
	v_lshlrev_b32_e32 v2, 2, v0
	v_cmp_ne_u32_e64 s2, v11, v12
	v_cmp_ne_u32_e64 s3, v14, v11
	;; [unrolled: 1-line block ×11, first 2 shown]
	s_mov_b32 s41, -1
	s_mov_b32 s16, 0
	s_mov_b32 s21, exec_lo
	ds_store_b32 v2, v63
	s_waitcnt vmcnt(0) lgkmcnt(0)
	s_barrier
	buffer_gl0_inv
	v_cmpx_ne_u32_e32 0, v0
	s_cbranch_execz .LBB1046_54
; %bb.53:
	v_add_nc_u32_e32 v1, -4, v2
	ds_load_b32 v1, v1
.LBB1046_54:
	s_or_b32 exec_lo, exec_lo, s21
	v_cndmask_b32_e64 v71, 0, 1, vcc_lo
	v_cndmask_b32_e64 v64, 0, 1, s0
	v_cndmask_b32_e64 v65, 0, 1, s1
	;; [unrolled: 1-line block ×13, first 2 shown]
	s_waitcnt lgkmcnt(0)
	v_cmp_ne_u32_e64 s0, v1, v21
	s_and_b32 vcc_lo, exec_lo, s16
	s_cbranch_vccnz .LBB1046_72
.LBB1046_55:
                                        ; implicit-def: $sgpr1
	s_branch .LBB1046_83
.LBB1046_56:
	s_mov_b32 s41, 0
                                        ; implicit-def: $sgpr0
                                        ; implicit-def: $vgpr71
                                        ; implicit-def: $vgpr64
                                        ; implicit-def: $vgpr65
                                        ; implicit-def: $vgpr66
                                        ; implicit-def: $vgpr67
                                        ; implicit-def: $vgpr68
                                        ; implicit-def: $vgpr69
                                        ; implicit-def: $vgpr70
                                        ; implicit-def: $vgpr72
                                        ; implicit-def: $vgpr73
                                        ; implicit-def: $vgpr74
                                        ; implicit-def: $vgpr75
                                        ; implicit-def: $vgpr76
                                        ; implicit-def: $vgpr77
                                        ; implicit-def: $sgpr1
	s_cbranch_execnz .LBB1046_75
	s_branch .LBB1046_83
.LBB1046_57:
	v_add_co_u32 v28, s30, s22, v7
	s_delay_alu instid0(VALU_DEP_1)
	v_add_co_ci_u32_e64 v29, null, s28, 0, s30
	flat_load_b32 v28, v[28:29]
	s_or_b32 exec_lo, exec_lo, s29
                                        ; implicit-def: $vgpr29
	s_and_saveexec_b32 s29, s2
	s_cbranch_execz .LBB1046_35
.LBB1046_58:
	v_add_co_u32 v29, s2, s22, v7
	s_delay_alu instid0(VALU_DEP_1)
	v_add_co_ci_u32_e64 v30, null, s28, 0, s2
	flat_load_b32 v29, v[29:30] offset:1024
	s_or_b32 exec_lo, exec_lo, s29
                                        ; implicit-def: $vgpr30
	s_and_saveexec_b32 s2, s3
	s_cbranch_execz .LBB1046_36
.LBB1046_59:
	v_add_co_u32 v30, s3, s22, v7
	s_delay_alu instid0(VALU_DEP_1)
	v_add_co_ci_u32_e64 v31, null, s28, 0, s3
	flat_load_b32 v30, v[30:31] offset:2048
	s_or_b32 exec_lo, exec_lo, s2
                                        ; implicit-def: $vgpr31
	s_and_saveexec_b32 s2, s4
	s_cbranch_execz .LBB1046_37
.LBB1046_60:
	v_add_co_u32 v31, s3, s22, v7
	s_delay_alu instid0(VALU_DEP_1)
	v_add_co_ci_u32_e64 v32, null, s28, 0, s3
	flat_load_b32 v31, v[31:32] offset:3072
	s_or_b32 exec_lo, exec_lo, s2
                                        ; implicit-def: $vgpr32
	s_and_saveexec_b32 s2, s5
	s_cbranch_execz .LBB1046_38
.LBB1046_61:
	v_lshlrev_b32_e32 v2, 2, v2
	s_delay_alu instid0(VALU_DEP_1) | instskip(NEXT) | instid1(VALU_DEP_1)
	v_add_co_u32 v32, s3, s22, v2
	v_add_co_ci_u32_e64 v33, null, s28, 0, s3
	flat_load_b32 v32, v[32:33]
	s_or_b32 exec_lo, exec_lo, s2
                                        ; implicit-def: $vgpr2
	s_and_saveexec_b32 s2, s6
	s_cbranch_execz .LBB1046_39
.LBB1046_62:
	v_lshlrev_b32_e32 v2, 2, v3
	s_delay_alu instid0(VALU_DEP_1) | instskip(NEXT) | instid1(VALU_DEP_1)
	v_add_co_u32 v2, s3, s22, v2
	v_add_co_ci_u32_e64 v3, null, s28, 0, s3
	flat_load_b32 v2, v[2:3]
	s_or_b32 exec_lo, exec_lo, s2
                                        ; implicit-def: $vgpr3
	s_and_saveexec_b32 s2, s7
	s_cbranch_execz .LBB1046_40
.LBB1046_63:
	v_lshlrev_b32_e32 v3, 2, v4
	s_delay_alu instid0(VALU_DEP_1) | instskip(NEXT) | instid1(VALU_DEP_1)
	v_add_co_u32 v3, s3, s22, v3
	v_add_co_ci_u32_e64 v4, null, s28, 0, s3
	flat_load_b32 v3, v[3:4]
	s_or_b32 exec_lo, exec_lo, s2
                                        ; implicit-def: $vgpr4
	s_and_saveexec_b32 s2, s8
	s_cbranch_execz .LBB1046_41
.LBB1046_64:
	v_lshlrev_b32_e32 v4, 2, v5
	s_delay_alu instid0(VALU_DEP_1) | instskip(NEXT) | instid1(VALU_DEP_1)
	v_add_co_u32 v4, s3, s22, v4
	v_add_co_ci_u32_e64 v5, null, s28, 0, s3
	flat_load_b32 v4, v[4:5]
	s_or_b32 exec_lo, exec_lo, s2
                                        ; implicit-def: $vgpr5
	s_and_saveexec_b32 s2, s9
	s_cbranch_execz .LBB1046_42
.LBB1046_65:
	v_lshlrev_b32_e32 v5, 2, v6
	s_delay_alu instid0(VALU_DEP_1) | instskip(NEXT) | instid1(VALU_DEP_1)
	v_add_co_u32 v5, s3, s22, v5
	v_add_co_ci_u32_e64 v6, null, s28, 0, s3
	flat_load_b32 v5, v[5:6]
	s_or_b32 exec_lo, exec_lo, s2
                                        ; implicit-def: $vgpr6
	s_and_saveexec_b32 s2, s10
	s_cbranch_execz .LBB1046_43
.LBB1046_66:
	v_lshlrev_b32_e32 v6, 2, v8
	s_delay_alu instid0(VALU_DEP_1) | instskip(NEXT) | instid1(VALU_DEP_1)
	v_add_co_u32 v33, s3, s22, v6
	v_add_co_ci_u32_e64 v34, null, s28, 0, s3
	flat_load_b32 v6, v[33:34]
	s_or_b32 exec_lo, exec_lo, s2
                                        ; implicit-def: $vgpr8
	s_and_saveexec_b32 s2, s11
	s_cbranch_execz .LBB1046_44
.LBB1046_67:
	v_lshlrev_b32_e32 v8, 2, v23
	s_delay_alu instid0(VALU_DEP_1) | instskip(NEXT) | instid1(VALU_DEP_1)
	v_add_co_u32 v33, s3, s22, v8
	v_add_co_ci_u32_e64 v34, null, s28, 0, s3
	flat_load_b32 v8, v[33:34]
	s_or_b32 exec_lo, exec_lo, s2
                                        ; implicit-def: $vgpr23
	s_and_saveexec_b32 s2, s12
	s_cbranch_execz .LBB1046_45
.LBB1046_68:
	v_lshlrev_b32_e32 v23, 2, v24
	s_delay_alu instid0(VALU_DEP_1) | instskip(NEXT) | instid1(VALU_DEP_1)
	v_add_co_u32 v23, s3, s22, v23
	v_add_co_ci_u32_e64 v24, null, s28, 0, s3
	flat_load_b32 v23, v[23:24]
	s_or_b32 exec_lo, exec_lo, s2
                                        ; implicit-def: $vgpr24
	s_and_saveexec_b32 s2, s13
	s_cbranch_execz .LBB1046_46
.LBB1046_69:
	v_lshlrev_b32_e32 v24, 2, v25
	s_delay_alu instid0(VALU_DEP_1) | instskip(NEXT) | instid1(VALU_DEP_1)
	v_add_co_u32 v24, s3, s22, v24
	v_add_co_ci_u32_e64 v25, null, s28, 0, s3
	flat_load_b32 v24, v[24:25]
	s_or_b32 exec_lo, exec_lo, s2
                                        ; implicit-def: $vgpr25
	s_and_saveexec_b32 s2, s14
	s_cbranch_execz .LBB1046_47
.LBB1046_70:
	v_lshlrev_b32_e32 v25, 2, v26
	s_delay_alu instid0(VALU_DEP_1) | instskip(NEXT) | instid1(VALU_DEP_1)
	v_add_co_u32 v25, s3, s22, v25
	v_add_co_ci_u32_e64 v26, null, s28, 0, s3
	flat_load_b32 v25, v[25:26]
	s_or_b32 exec_lo, exec_lo, s2
                                        ; implicit-def: $vgpr26
	s_and_saveexec_b32 s2, s16
	s_cbranch_execnz .LBB1046_48
	s_branch .LBB1046_49
.LBB1046_71:
	s_mov_b32 s41, 0
                                        ; implicit-def: $sgpr0
                                        ; implicit-def: $vgpr71
                                        ; implicit-def: $vgpr64
                                        ; implicit-def: $vgpr65
                                        ; implicit-def: $vgpr66
                                        ; implicit-def: $vgpr67
                                        ; implicit-def: $vgpr68
                                        ; implicit-def: $vgpr69
                                        ; implicit-def: $vgpr70
                                        ; implicit-def: $vgpr72
                                        ; implicit-def: $vgpr73
                                        ; implicit-def: $vgpr74
                                        ; implicit-def: $vgpr75
                                        ; implicit-def: $vgpr76
                                        ; implicit-def: $vgpr77
	s_cbranch_execz .LBB1046_55
.LBB1046_72:
	v_cmp_ne_u32_e32 vcc_lo, v10, v63
	v_lshlrev_b32_e32 v1, 2, v0
	s_mov_b32 s1, exec_lo
                                        ; implicit-def: $sgpr0
	v_cndmask_b32_e64 v71, 0, 1, vcc_lo
	v_cmp_ne_u32_e32 vcc_lo, v9, v10
	ds_store_b32 v1, v63
	s_waitcnt lgkmcnt(0)
	s_barrier
	buffer_gl0_inv
	v_cndmask_b32_e64 v64, 0, 1, vcc_lo
	v_cmp_ne_u32_e32 vcc_lo, v12, v9
	v_cndmask_b32_e64 v65, 0, 1, vcc_lo
	v_cmp_ne_u32_e32 vcc_lo, v11, v12
	v_cndmask_b32_e64 v66, 0, 1, vcc_lo
	v_cmp_ne_u32_e32 vcc_lo, v14, v11
	v_cndmask_b32_e64 v67, 0, 1, vcc_lo
	v_cmp_ne_u32_e32 vcc_lo, v13, v14
	v_cndmask_b32_e64 v68, 0, 1, vcc_lo
	v_cmp_ne_u32_e32 vcc_lo, v16, v13
	v_cndmask_b32_e64 v69, 0, 1, vcc_lo
	v_cmp_ne_u32_e32 vcc_lo, v15, v16
	v_cndmask_b32_e64 v70, 0, 1, vcc_lo
	v_cmp_ne_u32_e32 vcc_lo, v18, v15
	v_cndmask_b32_e64 v72, 0, 1, vcc_lo
	v_cmp_ne_u32_e32 vcc_lo, v17, v18
	v_cndmask_b32_e64 v73, 0, 1, vcc_lo
	v_cmp_ne_u32_e32 vcc_lo, v20, v17
	v_cndmask_b32_e64 v74, 0, 1, vcc_lo
	v_cmp_ne_u32_e32 vcc_lo, v19, v20
	v_cndmask_b32_e64 v75, 0, 1, vcc_lo
	v_cmp_ne_u32_e32 vcc_lo, v22, v19
	v_cndmask_b32_e64 v76, 0, 1, vcc_lo
	v_cmp_ne_u32_e32 vcc_lo, v21, v22
	v_cndmask_b32_e64 v77, 0, 1, vcc_lo
	v_cmpx_ne_u32_e32 0, v0
	s_xor_b32 s1, exec_lo, s1
	s_cbranch_execz .LBB1046_74
; %bb.73:
	v_add_nc_u32_e32 v1, -4, v1
	s_or_b32 s41, s41, exec_lo
	ds_load_b32 v1, v1
	s_waitcnt lgkmcnt(0)
	v_cmp_ne_u32_e32 vcc_lo, v1, v21
	s_and_b32 s0, vcc_lo, exec_lo
.LBB1046_74:
	s_or_b32 exec_lo, exec_lo, s1
	s_mov_b32 s1, 1
	s_branch .LBB1046_83
.LBB1046_75:
	s_mul_hi_u32 s0, s18, 0xfffff100
	s_mul_i32 s1, s19, 0xfffff100
	s_sub_i32 s0, s0, s18
	s_mul_i32 s2, s18, 0xfffff100
	s_add_i32 s0, s0, s1
	s_add_u32 s36, s2, s36
	s_addc_u32 s37, s0, s37
	s_and_b32 vcc_lo, exec_lo, s14
	s_cbranch_vccz .LBB1046_80
; %bb.76:
	v_add_co_u32 v1, s0, -4, s20
	s_delay_alu instid0(VALU_DEP_1)
	v_add_co_ci_u32_e64 v2, null, -1, s17, s0
	v_cmp_ne_u32_e64 s6, v10, v63
	v_cmp_ne_u32_e64 s8, v9, v10
	v_lshlrev_b32_e32 v4, 2, v0
	flat_load_b32 v5, v[1:2]
	v_mad_u32_u24 v1, v0, 15, 14
	v_mov_b32_e32 v2, 0
	v_mul_u32_u24_e32 v3, 15, v0
	s_mov_b32 s41, -1
	s_mov_b32 s10, 0
	ds_store_b32 v4, v63
	v_cmp_gt_u64_e32 vcc_lo, s[36:37], v[1:2]
	v_mad_u32_u24 v1, v0, 15, 13
	s_waitcnt vmcnt(0) lgkmcnt(0)
	s_barrier
	buffer_gl0_inv
	v_cmp_gt_u64_e64 s0, s[36:37], v[1:2]
	v_mad_u32_u24 v1, v0, 15, 12
	s_and_b32 s11, vcc_lo, s6
	v_cmp_ne_u32_e64 s6, v11, v12
	s_delay_alu instid0(VALU_DEP_2) | instskip(SKIP_4) | instid1(VALU_DEP_3)
	v_cmp_gt_u64_e64 s1, s[36:37], v[1:2]
	v_mad_u32_u24 v1, v0, 15, 11
	s_and_b32 s12, s0, s8
	v_cmp_ne_u32_e64 s0, v12, v9
	v_cmp_ne_u32_e64 s8, v14, v11
	v_cmp_gt_u64_e64 s2, s[36:37], v[1:2]
	v_mad_u32_u24 v1, v0, 15, 10
	s_delay_alu instid0(VALU_DEP_4) | instskip(SKIP_1) | instid1(VALU_DEP_2)
	s_and_b32 s13, s1, s0
	v_cmp_ne_u32_e64 s0, v13, v14
	v_cmp_gt_u64_e64 s3, s[36:37], v[1:2]
	v_mad_u32_u24 v1, v0, 15, 9
	s_and_b32 s14, s2, s6
	v_cmp_ne_u32_e64 s2, v15, v16
	v_cmp_ne_u32_e64 s6, v21, v22
	s_delay_alu instid0(VALU_DEP_3) | instskip(SKIP_3) | instid1(VALU_DEP_2)
	v_cmp_gt_u64_e64 s4, s[36:37], v[1:2]
	v_mad_u32_u24 v1, v0, 15, 8
	s_and_b32 s8, s3, s8
	v_cmp_ne_u32_e64 s3, v18, v15
	v_cmp_gt_u64_e64 s5, s[36:37], v[1:2]
	v_mad_u32_u24 v1, v0, 15, 7
	s_and_b32 s16, s4, s0
	v_cmp_ne_u32_e64 s0, v16, v13
	s_delay_alu instid0(VALU_DEP_2) | instskip(SKIP_1) | instid1(VALU_DEP_3)
	v_cmp_gt_u64_e64 s7, s[36:37], v[1:2]
	v_mad_u32_u24 v1, v0, 15, 6
	s_and_b32 s17, s5, s0
	v_cmp_ne_u32_e64 s0, v17, v18
	s_delay_alu instid0(VALU_DEP_2) | instskip(SKIP_3) | instid1(VALU_DEP_2)
	v_cmp_gt_u64_e32 vcc_lo, s[36:37], v[1:2]
	v_mad_u32_u24 v1, v0, 15, 5
	s_and_b32 s18, s7, s2
	v_cmp_ne_u32_e64 s2, v19, v20
	v_cmp_gt_u64_e64 s9, s[36:37], v[1:2]
	v_mad_u32_u24 v1, v0, 15, 4
	s_and_b32 s7, vcc_lo, s3
	v_cmp_ne_u32_e64 s3, v22, v19
	s_delay_alu instid0(VALU_DEP_2) | instskip(SKIP_3) | instid1(VALU_DEP_2)
	v_cmp_gt_u64_e64 s1, s[36:37], v[1:2]
	v_mad_u32_u24 v1, v0, 15, 3
	s_and_b32 s9, s9, s0
	v_cmp_ne_u32_e64 s0, v20, v17
	v_cmp_gt_u64_e64 s4, s[36:37], v[1:2]
	v_mad_u32_u24 v1, v0, 15, 2
	s_delay_alu instid0(VALU_DEP_3) | instskip(NEXT) | instid1(VALU_DEP_1)
	s_and_b32 s0, s1, s0
	v_cmp_gt_u64_e32 vcc_lo, s[36:37], v[1:2]
	v_mad_u32_u24 v1, v0, 15, 1
	s_delay_alu instid0(VALU_DEP_4) | instskip(SKIP_1) | instid1(VALU_DEP_1)
	s_and_b32 s2, s4, s2
	s_mov_b32 s4, exec_lo
	v_cmp_gt_u64_e64 s5, s[36:37], v[1:2]
	s_and_b32 s1, vcc_lo, s3
	s_delay_alu instid0(VALU_DEP_1)
	s_and_b32 s3, s5, s6
	v_cmpx_ne_u32_e32 0, v0
	s_cbranch_execz .LBB1046_78
; %bb.77:
	v_add_nc_u32_e32 v1, -4, v4
	ds_load_b32 v5, v1
.LBB1046_78:
	s_or_b32 exec_lo, exec_lo, s4
	v_mov_b32_e32 v4, v2
	v_cndmask_b32_e64 v74, 0, 1, s0
	s_waitcnt lgkmcnt(0)
	v_cmp_ne_u32_e64 s0, v5, v21
	v_cndmask_b32_e64 v71, 0, 1, s11
	v_cndmask_b32_e64 v64, 0, 1, s12
	v_cmp_gt_u64_e32 vcc_lo, s[36:37], v[3:4]
	v_cndmask_b32_e64 v65, 0, 1, s13
	v_cndmask_b32_e64 v66, 0, 1, s14
	;; [unrolled: 1-line block ×11, first 2 shown]
	s_and_b32 s0, vcc_lo, s0
	s_and_b32 vcc_lo, exec_lo, s10
	s_cbranch_vccnz .LBB1046_81
.LBB1046_79:
                                        ; implicit-def: $sgpr1
	v_mov_b32_e32 v79, s1
	s_and_saveexec_b32 s1, s41
	s_cbranch_execnz .LBB1046_84
	s_branch .LBB1046_85
.LBB1046_80:
                                        ; implicit-def: $sgpr0
                                        ; implicit-def: $vgpr71
                                        ; implicit-def: $vgpr64
                                        ; implicit-def: $vgpr65
                                        ; implicit-def: $vgpr66
                                        ; implicit-def: $vgpr67
                                        ; implicit-def: $vgpr68
                                        ; implicit-def: $vgpr69
                                        ; implicit-def: $vgpr70
                                        ; implicit-def: $vgpr72
                                        ; implicit-def: $vgpr73
                                        ; implicit-def: $vgpr74
                                        ; implicit-def: $vgpr75
                                        ; implicit-def: $vgpr76
                                        ; implicit-def: $vgpr77
	s_cbranch_execz .LBB1046_79
.LBB1046_81:
	v_mad_u32_u24 v1, v0, 15, 14
	v_dual_mov_b32 v2, 0 :: v_dual_lshlrev_b32 v3, 2, v0
	v_cmp_ne_u32_e64 s5, v9, v10
	v_cmp_ne_u32_e64 s4, v10, v63
	;; [unrolled: 1-line block ×3, first 2 shown]
	s_delay_alu instid0(VALU_DEP_4)
	v_cmp_gt_u64_e32 vcc_lo, s[36:37], v[1:2]
	v_mad_u32_u24 v1, v0, 15, 13
	v_cmp_ne_u32_e64 s8, v11, v12
	v_cmp_ne_u32_e64 s9, v14, v11
	;; [unrolled: 1-line block ×4, first 2 shown]
	v_cmp_gt_u64_e64 s0, s[36:37], v[1:2]
	v_mad_u32_u24 v1, v0, 15, 12
	s_and_b32 s4, vcc_lo, s4
	v_cmp_ne_u32_e64 s13, v15, v16
	v_cmp_ne_u32_e64 s14, v18, v15
	;; [unrolled: 1-line block ×3, first 2 shown]
	v_cmp_gt_u64_e64 s1, s[36:37], v[1:2]
	v_mad_u32_u24 v1, v0, 15, 11
	s_and_b32 s0, s0, s5
	v_cmp_ne_u32_e64 s17, v20, v17
	v_cndmask_b32_e64 v64, 0, 1, s0
	v_cmp_ne_u32_e64 s19, v19, v20
	v_cmp_gt_u64_e64 s2, s[36:37], v[1:2]
	v_mad_u32_u24 v1, v0, 15, 10
	s_and_b32 s0, s1, s6
	v_cmp_ne_u32_e64 s20, v22, v19
	v_cndmask_b32_e64 v65, 0, 1, s0
	v_cmp_ne_u32_e64 s21, v21, v22
	v_cmp_gt_u64_e64 s3, s[36:37], v[1:2]
	v_mad_u32_u24 v1, v0, 15, 9
	s_and_b32 s0, s2, s8
	v_cndmask_b32_e64 v71, 0, 1, s4
	v_cndmask_b32_e64 v66, 0, 1, s0
	ds_store_b32 v3, v63
	v_cmp_gt_u64_e64 s7, s[36:37], v[1:2]
	v_mad_u32_u24 v1, v0, 15, 8
	s_and_b32 s1, s3, s9
	s_waitcnt lgkmcnt(0)
	v_cndmask_b32_e64 v67, 0, 1, s1
	s_barrier
	v_cmp_gt_u64_e64 s12, s[36:37], v[1:2]
	v_mad_u32_u24 v1, v0, 15, 7
	s_and_b32 s1, s7, s10
	buffer_gl0_inv
	v_cndmask_b32_e64 v68, 0, 1, s1
	v_cmp_gt_u64_e64 s18, s[36:37], v[1:2]
	v_mad_u32_u24 v1, v0, 15, 6
	s_and_b32 s2, s12, s11
	s_delay_alu instid0(SALU_CYCLE_1) | instskip(NEXT) | instid1(VALU_DEP_2)
	v_cndmask_b32_e64 v69, 0, 1, s2
	v_cmp_gt_u64_e64 s22, s[36:37], v[1:2]
	v_mad_u32_u24 v1, v0, 15, 5
	s_and_b32 s2, s18, s13
	s_delay_alu instid0(SALU_CYCLE_1) | instskip(NEXT) | instid1(VALU_DEP_2)
	v_cndmask_b32_e64 v70, 0, 1, s2
	v_cmp_gt_u64_e32 vcc_lo, s[36:37], v[1:2]
	v_mad_u32_u24 v1, v0, 15, 4
	s_and_b32 s3, s22, s14
	s_delay_alu instid0(SALU_CYCLE_1) | instskip(NEXT) | instid1(VALU_DEP_2)
	v_cndmask_b32_e64 v72, 0, 1, s3
	v_cmp_gt_u64_e64 s0, s[36:37], v[1:2]
	v_mad_u32_u24 v1, v0, 15, 3
	s_and_b32 s3, vcc_lo, s16
	s_delay_alu instid0(SALU_CYCLE_1) | instskip(NEXT) | instid1(VALU_DEP_2)
	v_cndmask_b32_e64 v73, 0, 1, s3
	v_cmp_gt_u64_e64 s1, s[36:37], v[1:2]
	v_mad_u32_u24 v1, v0, 15, 2
	s_and_b32 s0, s0, s17
	s_delay_alu instid0(SALU_CYCLE_1) | instskip(NEXT) | instid1(VALU_DEP_2)
	v_cndmask_b32_e64 v74, 0, 1, s0
	v_cmp_gt_u64_e64 s2, s[36:37], v[1:2]
	v_mad_u32_u24 v1, v0, 15, 1
	s_and_b32 s0, s1, s19
	s_mov_b32 s1, 1
	v_cndmask_b32_e64 v75, 0, 1, s0
	s_delay_alu instid0(VALU_DEP_2) | instskip(SKIP_4) | instid1(SALU_CYCLE_1)
	v_cmp_gt_u64_e32 vcc_lo, s[36:37], v[1:2]
	s_and_b32 s0, s2, s20
	s_mov_b32 s2, exec_lo
	v_cndmask_b32_e64 v76, 0, 1, s0
	s_and_b32 s0, vcc_lo, s21
	v_cndmask_b32_e64 v77, 0, 1, s0
                                        ; implicit-def: $sgpr0
	v_cmpx_ne_u32_e32 0, v0
	s_cbranch_execz .LBB1046_158
; %bb.82:
	v_add_nc_u32_e32 v1, -4, v3
	s_or_b32 s41, s41, exec_lo
	ds_load_b32 v3, v1
	v_mul_u32_u24_e32 v1, 15, v0
	s_delay_alu instid0(VALU_DEP_1) | instskip(SKIP_2) | instid1(VALU_DEP_1)
	v_cmp_gt_u64_e32 vcc_lo, s[36:37], v[1:2]
	s_waitcnt lgkmcnt(0)
	v_cmp_ne_u32_e64 s0, v3, v21
	s_and_b32 s0, vcc_lo, s0
	s_delay_alu instid0(SALU_CYCLE_1)
	s_and_b32 s0, s0, exec_lo
	s_or_b32 exec_lo, exec_lo, s2
.LBB1046_83:
	v_mov_b32_e32 v79, s1
	s_and_saveexec_b32 s1, s41
.LBB1046_84:
	v_cndmask_b32_e64 v79, 0, 1, s0
.LBB1046_85:
	s_or_b32 exec_lo, exec_lo, s1
	s_delay_alu instid0(VALU_DEP_1)
	v_add3_u32 v1, v77, v79, v76
	v_cmp_eq_u32_e64 s12, 0, v77
	v_cmp_eq_u32_e64 s11, 0, v76
	;; [unrolled: 1-line block ×4, first 2 shown]
	v_add3_u32 v84, v1, v75, v74
	v_cmp_eq_u32_e64 s8, 0, v73
	v_cmp_eq_u32_e64 s7, 0, v72
	;; [unrolled: 1-line block ×9, first 2 shown]
	v_cmp_eq_u32_e32 vcc_lo, 0, v71
	v_mbcnt_lo_u32_b32 v81, -1, 0
	v_lshrrev_b32_e32 v82, 5, v0
	v_or_b32_e32 v83, 31, v0
	s_cmp_eq_u64 s[26:27], 0
	s_cselect_b32 s16, -1, 0
	s_cmp_lg_u32 s15, 0
	s_cbranch_scc0 .LBB1046_116
; %bb.86:
	v_cndmask_b32_e64 v1, 0, v35, s12
	v_add3_u32 v2, v84, v73, v72
	s_delay_alu instid0(VALU_DEP_2) | instskip(NEXT) | instid1(VALU_DEP_2)
	v_add_nc_u32_e32 v1, v1, v36
	v_add3_u32 v2, v2, v70, v69
	s_delay_alu instid0(VALU_DEP_2) | instskip(NEXT) | instid1(VALU_DEP_2)
	v_cndmask_b32_e64 v1, 0, v1, s11
	v_add3_u32 v2, v2, v68, v67
	s_delay_alu instid0(VALU_DEP_2) | instskip(NEXT) | instid1(VALU_DEP_2)
	v_add_nc_u32_e32 v1, v1, v33
	v_add3_u32 v2, v2, v66, v65
	s_delay_alu instid0(VALU_DEP_2) | instskip(NEXT) | instid1(VALU_DEP_2)
	v_cndmask_b32_e64 v1, 0, v1, s10
	v_add3_u32 v2, v2, v64, v71
	s_delay_alu instid0(VALU_DEP_2) | instskip(NEXT) | instid1(VALU_DEP_2)
	v_add_nc_u32_e32 v1, v1, v34
	v_mov_b32_dpp v5, v2 row_shr:1 row_mask:0xf bank_mask:0xf
	s_delay_alu instid0(VALU_DEP_2) | instskip(NEXT) | instid1(VALU_DEP_1)
	v_cndmask_b32_e64 v1, 0, v1, s9
	v_add_nc_u32_e32 v1, v1, v31
	s_delay_alu instid0(VALU_DEP_1) | instskip(NEXT) | instid1(VALU_DEP_1)
	v_cndmask_b32_e64 v1, 0, v1, s8
	v_add_nc_u32_e32 v1, v1, v32
	s_delay_alu instid0(VALU_DEP_1) | instskip(NEXT) | instid1(VALU_DEP_1)
	;; [unrolled: 3-line block ×9, first 2 shown]
	v_cndmask_b32_e64 v1, 0, v1, s0
	v_add_nc_u32_e32 v1, v1, v24
	s_delay_alu instid0(VALU_DEP_1) | instskip(SKIP_1) | instid1(VALU_DEP_2)
	v_cndmask_b32_e32 v1, 0, v1, vcc_lo
	v_cmp_eq_u32_e32 vcc_lo, 0, v2
	v_add_nc_u32_e32 v1, v1, v78
	s_delay_alu instid0(VALU_DEP_1) | instskip(NEXT) | instid1(VALU_DEP_1)
	v_mov_b32_dpp v3, v1 row_shr:1 row_mask:0xf bank_mask:0xf
	v_dual_cndmask_b32 v3, 0, v3 :: v_dual_and_b32 v4, 15, v81
	s_delay_alu instid0(VALU_DEP_1) | instskip(SKIP_2) | instid1(VALU_DEP_4)
	v_cmp_eq_u32_e32 vcc_lo, 0, v4
	v_cmp_lt_u32_e64 s13, 1, v4
	v_cndmask_b32_e64 v5, v5, 0, vcc_lo
	v_cndmask_b32_e64 v3, v3, 0, vcc_lo
	s_delay_alu instid0(VALU_DEP_2) | instskip(NEXT) | instid1(VALU_DEP_2)
	v_add_nc_u32_e32 v2, v5, v2
	v_add_nc_u32_e32 v1, v3, v1
	s_delay_alu instid0(VALU_DEP_2) | instskip(SKIP_1) | instid1(VALU_DEP_3)
	v_mov_b32_dpp v3, v2 row_shr:2 row_mask:0xf bank_mask:0xf
	v_cmp_eq_u32_e32 vcc_lo, 0, v2
	v_mov_b32_dpp v5, v1 row_shr:2 row_mask:0xf bank_mask:0xf
	s_delay_alu instid0(VALU_DEP_3) | instskip(SKIP_2) | instid1(VALU_DEP_2)
	v_cndmask_b32_e64 v3, 0, v3, s13
	s_and_b32 vcc_lo, s13, vcc_lo
	v_cmp_lt_u32_e64 s13, 3, v4
	v_dual_cndmask_b32 v5, 0, v5 :: v_dual_add_nc_u32 v2, v2, v3
	s_delay_alu instid0(VALU_DEP_1) | instskip(NEXT) | instid1(VALU_DEP_2)
	v_add_nc_u32_e32 v1, v5, v1
	v_mov_b32_dpp v3, v2 row_shr:4 row_mask:0xf bank_mask:0xf
	v_cmp_eq_u32_e32 vcc_lo, 0, v2
	s_delay_alu instid0(VALU_DEP_3) | instskip(NEXT) | instid1(VALU_DEP_3)
	v_mov_b32_dpp v5, v1 row_shr:4 row_mask:0xf bank_mask:0xf
	v_cndmask_b32_e64 v3, 0, v3, s13
	s_and_b32 vcc_lo, s13, vcc_lo
	v_cmp_lt_u32_e64 s13, 7, v4
	s_delay_alu instid0(VALU_DEP_2) | instskip(NEXT) | instid1(VALU_DEP_1)
	v_dual_cndmask_b32 v5, 0, v5 :: v_dual_add_nc_u32 v2, v3, v2
	v_add_nc_u32_e32 v1, v1, v5
	v_bfe_i32 v5, v81, 4, 1
	s_delay_alu instid0(VALU_DEP_3) | instskip(SKIP_1) | instid1(VALU_DEP_4)
	v_cmp_eq_u32_e32 vcc_lo, 0, v2
	v_mov_b32_dpp v3, v2 row_shr:8 row_mask:0xf bank_mask:0xf
	v_mov_b32_dpp v4, v1 row_shr:8 row_mask:0xf bank_mask:0xf
	s_and_b32 vcc_lo, s13, vcc_lo
	s_delay_alu instid0(VALU_DEP_2) | instskip(SKIP_1) | instid1(VALU_DEP_2)
	v_cndmask_b32_e64 v3, 0, v3, s13
	s_mov_b32 s13, exec_lo
	v_cndmask_b32_e32 v4, 0, v4, vcc_lo
	s_delay_alu instid0(VALU_DEP_1) | instskip(NEXT) | instid1(VALU_DEP_3)
	v_add_nc_u32_e32 v4, v4, v1
	v_add_nc_u32_e32 v1, v3, v2
	ds_swizzle_b32 v2, v4 offset:swizzle(BROADCAST,32,15)
	ds_swizzle_b32 v3, v1 offset:swizzle(BROADCAST,32,15)
	v_cmp_eq_u32_e32 vcc_lo, 0, v1
	s_waitcnt lgkmcnt(0)
	v_dual_cndmask_b32 v2, 0, v2 :: v_dual_and_b32 v3, v5, v3
	s_delay_alu instid0(VALU_DEP_1) | instskip(NEXT) | instid1(VALU_DEP_2)
	v_and_b32_e32 v2, v5, v2
	v_add_nc_u32_e32 v1, v3, v1
	v_lshlrev_b32_e32 v3, 3, v82
	s_delay_alu instid0(VALU_DEP_3)
	v_add_nc_u32_e32 v2, v2, v4
	v_cmpx_eq_u32_e64 v83, v0
	s_cbranch_execz .LBB1046_88
; %bb.87:
	ds_store_b64 v3, v[1:2] offset:2064
.LBB1046_88:
	s_or_b32 exec_lo, exec_lo, s13
	s_delay_alu instid0(SALU_CYCLE_1)
	s_mov_b32 s14, exec_lo
	s_waitcnt lgkmcnt(0)
	s_barrier
	buffer_gl0_inv
	v_cmpx_gt_u32_e32 8, v0
	s_cbranch_execz .LBB1046_90
; %bb.89:
	v_lshlrev_b32_e32 v6, 3, v0
	v_and_b32_e32 v8, 7, v81
	ds_load_b64 v[4:5], v6 offset:2064
	v_cmp_lt_u32_e64 s13, 1, v8
	s_waitcnt lgkmcnt(0)
	v_mov_b32_dpp v7, v5 row_shr:1 row_mask:0xf bank_mask:0xf
	v_cmp_eq_u32_e32 vcc_lo, 0, v4
	v_mov_b32_dpp v37, v4 row_shr:1 row_mask:0xf bank_mask:0xf
	s_delay_alu instid0(VALU_DEP_3) | instskip(SKIP_1) | instid1(VALU_DEP_3)
	v_cndmask_b32_e32 v7, 0, v7, vcc_lo
	v_cmp_eq_u32_e32 vcc_lo, 0, v8
	v_cndmask_b32_e64 v37, v37, 0, vcc_lo
	s_delay_alu instid0(VALU_DEP_3) | instskip(NEXT) | instid1(VALU_DEP_2)
	v_cndmask_b32_e64 v7, v7, 0, vcc_lo
	v_add_nc_u32_e32 v4, v37, v4
	s_delay_alu instid0(VALU_DEP_2) | instskip(NEXT) | instid1(VALU_DEP_2)
	v_add_nc_u32_e32 v5, v7, v5
	v_cmp_eq_u32_e32 vcc_lo, 0, v4
	s_delay_alu instid0(VALU_DEP_2) | instskip(SKIP_1) | instid1(VALU_DEP_1)
	v_mov_b32_dpp v37, v5 row_shr:2 row_mask:0xf bank_mask:0xf
	s_and_b32 vcc_lo, s13, vcc_lo
	v_cndmask_b32_e32 v37, 0, v37, vcc_lo
	v_mov_b32_dpp v7, v4 row_shr:2 row_mask:0xf bank_mask:0xf
	s_delay_alu instid0(VALU_DEP_2) | instskip(NEXT) | instid1(VALU_DEP_2)
	v_add_nc_u32_e32 v5, v37, v5
	v_cndmask_b32_e64 v7, 0, v7, s13
	v_cmp_lt_u32_e64 s13, 3, v8
	s_delay_alu instid0(VALU_DEP_3) | instskip(NEXT) | instid1(VALU_DEP_3)
	v_mov_b32_dpp v8, v5 row_shr:4 row_mask:0xf bank_mask:0xf
	v_add_nc_u32_e32 v4, v7, v4
	s_delay_alu instid0(VALU_DEP_1) | instskip(SKIP_2) | instid1(VALU_DEP_1)
	v_cmp_eq_u32_e32 vcc_lo, 0, v4
	v_mov_b32_dpp v7, v4 row_shr:4 row_mask:0xf bank_mask:0xf
	s_and_b32 vcc_lo, s13, vcc_lo
	v_cndmask_b32_e64 v7, 0, v7, s13
	v_cndmask_b32_e32 v8, 0, v8, vcc_lo
	s_delay_alu instid0(VALU_DEP_2) | instskip(NEXT) | instid1(VALU_DEP_2)
	v_add_nc_u32_e32 v4, v7, v4
	v_add_nc_u32_e32 v5, v8, v5
	ds_store_b64 v6, v[4:5] offset:2064
.LBB1046_90:
	s_or_b32 exec_lo, exec_lo, s14
	v_cmp_gt_u32_e32 vcc_lo, 32, v0
	v_dual_mov_b32 v37, 0 :: v_dual_mov_b32 v38, 0
	s_mov_b32 s14, exec_lo
	s_waitcnt lgkmcnt(0)
	s_barrier
	buffer_gl0_inv
	v_cmpx_lt_u32_e32 31, v0
	s_cbranch_execz .LBB1046_92
; %bb.91:
	ds_load_b64 v[37:38], v3 offset:2056
	v_cmp_eq_u32_e64 s13, 0, v1
	s_waitcnt lgkmcnt(0)
	s_delay_alu instid0(VALU_DEP_1) | instskip(SKIP_1) | instid1(VALU_DEP_2)
	v_cndmask_b32_e64 v3, 0, v38, s13
	v_add_nc_u32_e32 v1, v37, v1
	v_add_nc_u32_e32 v2, v3, v2
.LBB1046_92:
	s_or_b32 exec_lo, exec_lo, s14
	v_add_nc_u32_e32 v3, -1, v81
	s_delay_alu instid0(VALU_DEP_1) | instskip(NEXT) | instid1(VALU_DEP_1)
	v_cmp_gt_i32_e64 s13, 0, v3
	v_cndmask_b32_e64 v3, v3, v81, s13
	v_cmp_eq_u32_e64 s13, 0, v81
	s_delay_alu instid0(VALU_DEP_2)
	v_lshlrev_b32_e32 v3, 2, v3
	ds_bpermute_b32 v43, v3, v1
	ds_bpermute_b32 v44, v3, v2
	s_and_saveexec_b32 s17, vcc_lo
	s_cbranch_execz .LBB1046_115
; %bb.93:
	v_mov_b32_e32 v4, 0
	ds_load_b64 v[1:2], v4 offset:2120
	s_waitcnt lgkmcnt(0)
	v_readfirstlane_b32 s18, v2
	s_and_saveexec_b32 s14, s13
	s_cbranch_execz .LBB1046_95
; %bb.94:
	s_add_i32 s20, s15, 32
	s_mov_b32 s21, 0
	v_mov_b32_e32 v3, 1
	s_lshl_b64 s[26:27], s[20:21], 4
	s_mov_b32 s36, s21
	s_add_u32 s26, s24, s26
	s_addc_u32 s27, s25, s27
	s_and_b32 s37, s18, 0xff000000
	s_and_b32 s43, s18, 0xff0000
	s_mov_b32 s42, s21
	v_dual_mov_b32 v5, s26 :: v_dual_mov_b32 v6, s27
	s_or_b64 s[36:37], s[42:43], s[36:37]
	s_and_b32 s43, s18, 0xff00
	s_delay_alu instid0(SALU_CYCLE_1) | instskip(SKIP_1) | instid1(SALU_CYCLE_1)
	s_or_b64 s[36:37], s[36:37], s[42:43]
	s_and_b32 s43, s18, 0xff
	s_or_b64 s[20:21], s[36:37], s[42:43]
	s_delay_alu instid0(SALU_CYCLE_1)
	v_mov_b32_e32 v2, s21
	;;#ASMSTART
	global_store_dwordx4 v[5:6], v[1:4] off	
s_waitcnt vmcnt(0)
	;;#ASMEND
.LBB1046_95:
	s_or_b32 exec_lo, exec_lo, s14
	v_xad_u32 v39, v81, -1, s15
	s_mov_b32 s19, 0
	s_mov_b32 s14, exec_lo
	s_delay_alu instid0(VALU_DEP_1) | instskip(NEXT) | instid1(VALU_DEP_1)
	v_add_nc_u32_e32 v3, 32, v39
	v_lshlrev_b64 v[2:3], 4, v[3:4]
	s_delay_alu instid0(VALU_DEP_1) | instskip(NEXT) | instid1(VALU_DEP_2)
	v_add_co_u32 v2, vcc_lo, s24, v2
	v_add_co_ci_u32_e32 v3, vcc_lo, s25, v3, vcc_lo
	;;#ASMSTART
	global_load_dwordx4 v[5:8], v[2:3] off glc	
s_waitcnt vmcnt(0)
	;;#ASMEND
	v_and_b32_e32 v4, 0xff, v6
	v_and_b32_e32 v8, 0xff00, v6
	;; [unrolled: 1-line block ×3, first 2 shown]
	v_or3_b32 v5, v5, 0, 0
	v_and_b32_e32 v6, 0xff000000, v6
	s_delay_alu instid0(VALU_DEP_4) | instskip(SKIP_1) | instid1(VALU_DEP_4)
	v_or3_b32 v4, 0, v4, v8
	v_and_b32_e32 v8, 0xff, v7
	v_or3_b32 v5, v5, 0, 0
	s_delay_alu instid0(VALU_DEP_3) | instskip(NEXT) | instid1(VALU_DEP_3)
	v_or3_b32 v6, v4, v40, v6
	v_cmpx_eq_u16_e32 0, v8
	s_cbranch_execz .LBB1046_101
; %bb.96:
	s_mov_b32 s20, 1
	.p2align	6
.LBB1046_97:                            ; =>This Loop Header: Depth=1
                                        ;     Child Loop BB1046_98 Depth 2
	s_delay_alu instid0(SALU_CYCLE_1)
	s_max_u32 s21, s20, 1
.LBB1046_98:                            ;   Parent Loop BB1046_97 Depth=1
                                        ; =>  This Inner Loop Header: Depth=2
	s_delay_alu instid0(SALU_CYCLE_1)
	s_add_i32 s21, s21, -1
	s_sleep 1
	s_cmp_eq_u32 s21, 0
	s_cbranch_scc0 .LBB1046_98
; %bb.99:                               ;   in Loop: Header=BB1046_97 Depth=1
	;;#ASMSTART
	global_load_dwordx4 v[5:8], v[2:3] off glc	
s_waitcnt vmcnt(0)
	;;#ASMEND
	v_and_b32_e32 v4, 0xff, v7
	s_cmp_lt_u32 s20, 32
	s_cselect_b32 s21, -1, 0
	s_delay_alu instid0(VALU_DEP_1) | instskip(SKIP_3) | instid1(SALU_CYCLE_1)
	v_cmp_ne_u16_e32 vcc_lo, 0, v4
	s_cmp_lg_u32 s21, 0
	s_addc_u32 s20, s20, 0
	s_or_b32 s19, vcc_lo, s19
	s_and_not1_b32 exec_lo, exec_lo, s19
	s_cbranch_execnz .LBB1046_97
; %bb.100:
	s_or_b32 exec_lo, exec_lo, s19
.LBB1046_101:
	s_delay_alu instid0(SALU_CYCLE_1)
	s_or_b32 exec_lo, exec_lo, s14
	v_cmp_ne_u32_e32 vcc_lo, 31, v81
	v_and_b32_e32 v3, 0xff, v7
	v_lshlrev_b32_e64 v45, v81, -1
	v_add_nc_u32_e32 v47, 2, v81
	v_add_nc_u32_e32 v49, 4, v81
	v_add_co_ci_u32_e32 v2, vcc_lo, 0, v81, vcc_lo
	v_cmp_eq_u16_e32 vcc_lo, 2, v3
	v_add_nc_u32_e32 v51, 8, v81
	v_add_nc_u32_e32 v53, 16, v81
	v_and_or_b32 v8, vcc_lo, v45, 0x80000000
	v_cmp_gt_u32_e32 vcc_lo, 30, v81
	s_delay_alu instid0(VALU_DEP_2) | instskip(SKIP_2) | instid1(VALU_DEP_3)
	v_ctz_i32_b32_e32 v8, v8
	v_cndmask_b32_e64 v40, 0, 1, vcc_lo
	v_cmp_eq_u32_e32 vcc_lo, 0, v5
	v_cmp_lt_u32_e64 s14, v81, v8
	s_delay_alu instid0(VALU_DEP_3) | instskip(NEXT) | instid1(VALU_DEP_2)
	v_lshlrev_b32_e32 v40, 1, v40
	s_and_b32 vcc_lo, s14, vcc_lo
	v_lshlrev_b32_e32 v2, 2, v2
	s_delay_alu instid0(VALU_DEP_2)
	v_add_lshl_u32 v46, v40, v81, 2
	ds_bpermute_b32 v3, v2, v6
	s_waitcnt lgkmcnt(0)
	v_cndmask_b32_e32 v3, 0, v3, vcc_lo
	ds_bpermute_b32 v4, v2, v5
	v_cmp_gt_u32_e32 vcc_lo, 28, v81
	v_add_nc_u32_e32 v3, v3, v6
	ds_bpermute_b32 v6, v46, v3
	s_waitcnt lgkmcnt(1)
	v_cndmask_b32_e64 v4, 0, v4, s14
	s_delay_alu instid0(VALU_DEP_1) | instskip(SKIP_1) | instid1(VALU_DEP_2)
	v_add_nc_u32_e32 v4, v4, v5
	v_cndmask_b32_e64 v5, 0, 1, vcc_lo
	v_cmp_eq_u32_e32 vcc_lo, 0, v4
	ds_bpermute_b32 v40, v46, v4
	s_waitcnt lgkmcnt(1)
	v_dual_cndmask_b32 v6, 0, v6 :: v_dual_lshlrev_b32 v5, 2, v5
	v_cmp_gt_u32_e32 vcc_lo, v47, v8
	s_delay_alu instid0(VALU_DEP_2) | instskip(NEXT) | instid1(VALU_DEP_3)
	v_add_lshl_u32 v48, v5, v81, 2
	v_cndmask_b32_e64 v6, v6, 0, vcc_lo
	s_delay_alu instid0(VALU_DEP_1) | instskip(SKIP_4) | instid1(VALU_DEP_2)
	v_add_nc_u32_e32 v3, v6, v3
	ds_bpermute_b32 v5, v48, v3
	s_waitcnt lgkmcnt(1)
	v_cndmask_b32_e64 v6, v40, 0, vcc_lo
	v_cmp_gt_u32_e32 vcc_lo, 24, v81
	v_add_nc_u32_e32 v4, v4, v6
	v_cndmask_b32_e64 v40, 0, 1, vcc_lo
	ds_bpermute_b32 v6, v48, v4
	v_cmp_eq_u32_e32 vcc_lo, 0, v4
	v_lshlrev_b32_e32 v40, 3, v40
	s_delay_alu instid0(VALU_DEP_1) | instskip(SKIP_3) | instid1(VALU_DEP_2)
	v_add_lshl_u32 v50, v40, v81, 2
	s_waitcnt lgkmcnt(1)
	v_cndmask_b32_e32 v5, 0, v5, vcc_lo
	v_cmp_gt_u32_e32 vcc_lo, v49, v8
	v_cndmask_b32_e64 v5, v5, 0, vcc_lo
	s_delay_alu instid0(VALU_DEP_1)
	v_add_nc_u32_e32 v3, v3, v5
	s_waitcnt lgkmcnt(0)
	v_cndmask_b32_e64 v6, v6, 0, vcc_lo
	v_cmp_gt_u32_e32 vcc_lo, 16, v81
	ds_bpermute_b32 v5, v50, v3
	v_add_nc_u32_e32 v4, v4, v6
	v_cndmask_b32_e64 v40, 0, 1, vcc_lo
	ds_bpermute_b32 v6, v50, v4
	v_cmp_eq_u32_e32 vcc_lo, 0, v4
	v_lshlrev_b32_e32 v40, 4, v40
	s_delay_alu instid0(VALU_DEP_1) | instskip(SKIP_3) | instid1(VALU_DEP_2)
	v_add_lshl_u32 v52, v40, v81, 2
	s_waitcnt lgkmcnt(1)
	v_dual_mov_b32 v40, 0 :: v_dual_cndmask_b32 v5, 0, v5
	v_cmp_gt_u32_e32 vcc_lo, v51, v8
	v_cndmask_b32_e64 v5, v5, 0, vcc_lo
	s_delay_alu instid0(VALU_DEP_1)
	v_add_nc_u32_e32 v3, v3, v5
	s_waitcnt lgkmcnt(0)
	v_cndmask_b32_e64 v5, v6, 0, vcc_lo
	ds_bpermute_b32 v6, v52, v3
	v_add_nc_u32_e32 v4, v4, v5
	ds_bpermute_b32 v5, v52, v4
	v_cmp_eq_u32_e32 vcc_lo, 0, v4
	s_waitcnt lgkmcnt(1)
	v_cndmask_b32_e32 v6, 0, v6, vcc_lo
	v_cmp_gt_u32_e32 vcc_lo, v53, v8
	s_delay_alu instid0(VALU_DEP_2) | instskip(SKIP_2) | instid1(VALU_DEP_2)
	v_cndmask_b32_e64 v6, v6, 0, vcc_lo
	s_waitcnt lgkmcnt(0)
	v_cndmask_b32_e64 v5, v5, 0, vcc_lo
	v_add_nc_u32_e32 v6, v6, v3
	s_delay_alu instid0(VALU_DEP_2)
	v_add_nc_u32_e32 v5, v5, v4
	s_branch .LBB1046_103
.LBB1046_102:                           ;   in Loop: Header=BB1046_103 Depth=1
	s_or_b32 exec_lo, exec_lo, s14
	v_and_b32_e32 v8, 0xff, v7
	ds_bpermute_b32 v41, v2, v5
	v_subrev_nc_u32_e32 v39, 32, v39
	v_cmp_eq_u16_e32 vcc_lo, 2, v8
	ds_bpermute_b32 v8, v2, v6
	v_and_or_b32 v42, vcc_lo, v45, 0x80000000
	v_cmp_eq_u32_e32 vcc_lo, 0, v5
	s_delay_alu instid0(VALU_DEP_2) | instskip(NEXT) | instid1(VALU_DEP_1)
	v_ctz_i32_b32_e32 v42, v42
	v_cmp_lt_u32_e64 s14, v81, v42
	s_delay_alu instid0(VALU_DEP_1) | instskip(SKIP_4) | instid1(VALU_DEP_2)
	s_and_b32 vcc_lo, s14, vcc_lo
	s_waitcnt lgkmcnt(1)
	v_cndmask_b32_e64 v41, 0, v41, s14
	s_waitcnt lgkmcnt(0)
	v_cndmask_b32_e32 v8, 0, v8, vcc_lo
	v_add_nc_u32_e32 v5, v41, v5
	s_delay_alu instid0(VALU_DEP_2)
	v_add_nc_u32_e32 v6, v8, v6
	ds_bpermute_b32 v41, v46, v5
	ds_bpermute_b32 v8, v46, v6
	v_cmp_eq_u32_e32 vcc_lo, 0, v5
	s_waitcnt lgkmcnt(0)
	v_cndmask_b32_e32 v8, 0, v8, vcc_lo
	v_cmp_gt_u32_e32 vcc_lo, v47, v42
	v_cndmask_b32_e64 v41, v41, 0, vcc_lo
	s_delay_alu instid0(VALU_DEP_1) | instskip(NEXT) | instid1(VALU_DEP_4)
	v_add_nc_u32_e32 v5, v5, v41
	v_cndmask_b32_e64 v8, v8, 0, vcc_lo
	ds_bpermute_b32 v41, v48, v5
	v_add_nc_u32_e32 v6, v8, v6
	v_cmp_eq_u32_e32 vcc_lo, 0, v5
	ds_bpermute_b32 v8, v48, v6
	s_waitcnt lgkmcnt(0)
	v_cndmask_b32_e32 v8, 0, v8, vcc_lo
	v_cmp_gt_u32_e32 vcc_lo, v49, v42
	v_cndmask_b32_e64 v41, v41, 0, vcc_lo
	s_delay_alu instid0(VALU_DEP_1) | instskip(NEXT) | instid1(VALU_DEP_4)
	v_add_nc_u32_e32 v5, v5, v41
	v_cndmask_b32_e64 v8, v8, 0, vcc_lo
	ds_bpermute_b32 v41, v50, v5
	v_add_nc_u32_e32 v6, v6, v8
	v_cmp_eq_u32_e32 vcc_lo, 0, v5
	ds_bpermute_b32 v8, v50, v6
	;; [unrolled: 11-line block ×3, first 2 shown]
	s_waitcnt lgkmcnt(0)
	v_cndmask_b32_e32 v8, 0, v8, vcc_lo
	v_cmp_gt_u32_e32 vcc_lo, v53, v42
	s_delay_alu instid0(VALU_DEP_2) | instskip(NEXT) | instid1(VALU_DEP_1)
	v_cndmask_b32_e64 v8, v8, 0, vcc_lo
	v_add_nc_u32_e32 v6, v8, v6
	v_cndmask_b32_e64 v8, v41, 0, vcc_lo
	v_cmp_eq_u32_e32 vcc_lo, 0, v3
	s_delay_alu instid0(VALU_DEP_2) | instskip(NEXT) | instid1(VALU_DEP_4)
	v_add3_u32 v5, v5, v3, v8
	v_cndmask_b32_e32 v6, 0, v6, vcc_lo
	s_delay_alu instid0(VALU_DEP_1)
	v_add_nc_u32_e32 v6, v6, v4
.LBB1046_103:                           ; =>This Loop Header: Depth=1
                                        ;     Child Loop BB1046_106 Depth 2
                                        ;       Child Loop BB1046_107 Depth 3
	s_delay_alu instid0(VALU_DEP_1) | instskip(NEXT) | instid1(VALU_DEP_1)
	v_dual_mov_b32 v4, v6 :: v_dual_and_b32 v3, 0xff, v7
	v_cmp_ne_u16_e32 vcc_lo, 2, v3
	v_cndmask_b32_e64 v3, 0, 1, vcc_lo
	;;#ASMSTART
	;;#ASMEND
	s_delay_alu instid0(VALU_DEP_1)
	v_cmp_ne_u32_e32 vcc_lo, 0, v3
	v_mov_b32_e32 v3, v5
	s_cmp_lg_u32 vcc_lo, exec_lo
	s_cbranch_scc1 .LBB1046_110
; %bb.104:                              ;   in Loop: Header=BB1046_103 Depth=1
	v_lshlrev_b64 v[5:6], 4, v[39:40]
	s_mov_b32 s14, exec_lo
	s_delay_alu instid0(VALU_DEP_1) | instskip(NEXT) | instid1(VALU_DEP_2)
	v_add_co_u32 v41, vcc_lo, s24, v5
	v_add_co_ci_u32_e32 v42, vcc_lo, s25, v6, vcc_lo
	;;#ASMSTART
	global_load_dwordx4 v[5:8], v[41:42] off glc	
s_waitcnt vmcnt(0)
	;;#ASMEND
	v_and_b32_e32 v8, 0xff, v6
	v_and_b32_e32 v54, 0xff00, v6
	;; [unrolled: 1-line block ×3, first 2 shown]
	v_or3_b32 v5, v5, 0, 0
	v_and_b32_e32 v6, 0xff000000, v6
	s_delay_alu instid0(VALU_DEP_4) | instskip(SKIP_1) | instid1(VALU_DEP_4)
	v_or3_b32 v8, 0, v8, v54
	v_and_b32_e32 v54, 0xff, v7
	v_or3_b32 v5, v5, 0, 0
	s_delay_alu instid0(VALU_DEP_3) | instskip(NEXT) | instid1(VALU_DEP_3)
	v_or3_b32 v6, v8, v55, v6
	v_cmpx_eq_u16_e32 0, v54
	s_cbranch_execz .LBB1046_102
; %bb.105:                              ;   in Loop: Header=BB1046_103 Depth=1
	s_mov_b32 s20, 1
	s_mov_b32 s19, 0
	.p2align	6
.LBB1046_106:                           ;   Parent Loop BB1046_103 Depth=1
                                        ; =>  This Loop Header: Depth=2
                                        ;       Child Loop BB1046_107 Depth 3
	s_max_u32 s21, s20, 1
.LBB1046_107:                           ;   Parent Loop BB1046_103 Depth=1
                                        ;     Parent Loop BB1046_106 Depth=2
                                        ; =>    This Inner Loop Header: Depth=3
	s_delay_alu instid0(SALU_CYCLE_1)
	s_add_i32 s21, s21, -1
	s_sleep 1
	s_cmp_eq_u32 s21, 0
	s_cbranch_scc0 .LBB1046_107
; %bb.108:                              ;   in Loop: Header=BB1046_106 Depth=2
	;;#ASMSTART
	global_load_dwordx4 v[5:8], v[41:42] off glc	
s_waitcnt vmcnt(0)
	;;#ASMEND
	v_and_b32_e32 v8, 0xff, v7
	s_cmp_lt_u32 s20, 32
	s_cselect_b32 s21, -1, 0
	s_delay_alu instid0(SALU_CYCLE_1) | instskip(NEXT) | instid1(VALU_DEP_1)
	s_cmp_lg_u32 s21, 0
	v_cmp_ne_u16_e32 vcc_lo, 0, v8
	s_addc_u32 s20, s20, 0
	s_or_b32 s19, vcc_lo, s19
	s_delay_alu instid0(SALU_CYCLE_1)
	s_and_not1_b32 exec_lo, exec_lo, s19
	s_cbranch_execnz .LBB1046_106
; %bb.109:                              ;   in Loop: Header=BB1046_103 Depth=1
	s_or_b32 exec_lo, exec_lo, s19
	s_branch .LBB1046_102
.LBB1046_110:                           ;   in Loop: Header=BB1046_103 Depth=1
                                        ; implicit-def: $vgpr6
                                        ; implicit-def: $vgpr5
                                        ; implicit-def: $vgpr7
	s_cbranch_execz .LBB1046_103
; %bb.111:
	s_and_saveexec_b32 s14, s13
	s_cbranch_execz .LBB1046_113
; %bb.112:
	v_cmp_eq_u32_e32 vcc_lo, 0, v1
	s_mov_b32 s21, 0
	s_add_i32 s20, s15, 32
	v_add_nc_u32_e32 v5, v3, v1
	s_lshl_b64 s[20:21], s[20:21], 4
	v_cndmask_b32_e32 v2, 0, v4, vcc_lo
	s_add_u32 s20, s24, s20
	s_addc_u32 s21, s25, s21
	v_mov_b32_e32 v8, 0
	s_delay_alu instid0(VALU_DEP_2) | instskip(NEXT) | instid1(VALU_DEP_1)
	v_add_nc_u32_e32 v2, s18, v2
	v_and_b32_e32 v6, 0xff000000, v2
	v_and_b32_e32 v7, 0xff0000, v2
	s_delay_alu instid0(VALU_DEP_1) | instskip(SKIP_3) | instid1(VALU_DEP_1)
	v_or_b32_e32 v6, v7, v6
	v_mov_b32_e32 v7, 2
	v_and_b32_e32 v39, 0xff00, v2
	v_and_b32_e32 v2, 0xff, v2
	v_or3_b32 v6, v6, v39, v2
	v_mov_b32_e32 v2, s18
	v_dual_mov_b32 v40, s21 :: v_dual_mov_b32 v39, s20
	;;#ASMSTART
	global_store_dwordx4 v[39:40], v[5:8] off	
s_waitcnt vmcnt(0)
	;;#ASMEND
	ds_store_b128 v8, v[1:4] offset:2048
.LBB1046_113:
	s_or_b32 exec_lo, exec_lo, s14
	v_cmp_eq_u32_e32 vcc_lo, 0, v0
	s_and_b32 exec_lo, exec_lo, vcc_lo
	s_cbranch_execz .LBB1046_115
; %bb.114:
	v_mov_b32_e32 v1, 0
	ds_store_b64 v1, v[3:4] offset:2120
.LBB1046_115:
	s_or_b32 exec_lo, exec_lo, s17
	s_waitcnt lgkmcnt(1)
	v_cndmask_b32_e64 v4, v43, v37, s13
	s_waitcnt lgkmcnt(0)
	s_barrier
	buffer_gl0_inv
	v_cndmask_b32_e64 v5, v44, v38, s13
	v_cmp_eq_u32_e32 vcc_lo, 0, v4
	v_mov_b32_e32 v3, 0
	v_cmp_eq_u32_e64 s13, 0, v79
	ds_load_b64 v[1:2], v3 offset:2120
	s_waitcnt lgkmcnt(0)
	s_barrier
	buffer_gl0_inv
	v_cndmask_b32_e32 v6, 0, v2, vcc_lo
	v_cmp_eq_u32_e32 vcc_lo, 0, v0
	s_delay_alu instid0(VALU_DEP_2) | instskip(NEXT) | instid1(VALU_DEP_1)
	v_add_nc_u32_e32 v5, v6, v5
	v_cndmask_b32_e32 v54, v5, v2, vcc_lo
	s_delay_alu instid0(VALU_DEP_1) | instskip(NEXT) | instid1(VALU_DEP_1)
	v_cndmask_b32_e64 v2, 0, v54, s13
	v_add_nc_u32_e32 v60, v2, v35
	s_delay_alu instid0(VALU_DEP_1) | instskip(NEXT) | instid1(VALU_DEP_1)
	v_cndmask_b32_e64 v2, 0, v60, s12
	v_add_nc_u32_e32 v56, v2, v36
	;; [unrolled: 3-line block ×6, first 2 shown]
	v_cndmask_b32_e64 v2, v4, 0, vcc_lo
	s_delay_alu instid0(VALU_DEP_2) | instskip(NEXT) | instid1(VALU_DEP_2)
	v_cndmask_b32_e64 v4, 0, v40, s7
	v_add_nc_u32_e32 v53, v1, v2
	s_delay_alu instid0(VALU_DEP_2) | instskip(NEXT) | instid1(VALU_DEP_2)
	v_add_nc_u32_e32 v44, v4, v29
	v_add_nc_u32_e32 v59, v53, v79
	s_delay_alu instid0(VALU_DEP_2) | instskip(NEXT) | instid1(VALU_DEP_2)
	v_cndmask_b32_e64 v1, 0, v44, s6
	v_add_nc_u32_e32 v55, v59, v77
	s_delay_alu instid0(VALU_DEP_2) | instskip(NEXT) | instid1(VALU_DEP_2)
	v_add_nc_u32_e32 v48, v1, v30
	v_add_nc_u32_e32 v51, v55, v76
	s_delay_alu instid0(VALU_DEP_2) | instskip(NEXT) | instid1(VALU_DEP_2)
	v_cndmask_b32_e64 v1, 0, v48, s5
	v_add_nc_u32_e32 v45, v51, v75
	s_delay_alu instid0(VALU_DEP_2) | instskip(NEXT) | instid1(VALU_DEP_2)
	v_add_nc_u32_e32 v6, v1, v27
	v_add_nc_u32_e32 v41, v45, v74
	s_delay_alu instid0(VALU_DEP_2) | instskip(NEXT) | instid1(VALU_DEP_2)
	v_cndmask_b32_e64 v1, 0, v6, s4
	v_add_nc_u32_e32 v39, v41, v73
	s_delay_alu instid0(VALU_DEP_2) | instskip(NEXT) | instid1(VALU_DEP_2)
	v_add_nc_u32_e32 v8, v1, v28
	v_add_nc_u32_e32 v43, v39, v72
	s_delay_alu instid0(VALU_DEP_2) | instskip(NEXT) | instid1(VALU_DEP_2)
	v_cndmask_b32_e64 v1, 0, v8, s3
	v_add_nc_u32_e32 v47, v43, v70
	s_delay_alu instid0(VALU_DEP_2) | instskip(SKIP_3) | instid1(VALU_DEP_2)
	v_add_nc_u32_e32 v38, v1, v25
	ds_load_b128 v[1:4], v3 offset:2048
	v_add_nc_u32_e32 v5, v47, v69
	v_cndmask_b32_e64 v37, 0, v38, s2
	v_add_nc_u32_e32 v7, v5, v68
	s_delay_alu instid0(VALU_DEP_2) | instskip(NEXT) | instid1(VALU_DEP_2)
	v_add_nc_u32_e32 v62, v37, v26
	v_add_nc_u32_e32 v37, v7, v67
	s_delay_alu instid0(VALU_DEP_2) | instskip(NEXT) | instid1(VALU_DEP_2)
	v_cndmask_b32_e64 v49, 0, v62, s1
	v_add_nc_u32_e32 v61, v37, v66
	s_delay_alu instid0(VALU_DEP_2) | instskip(SKIP_2) | instid1(VALU_DEP_3)
	v_add_nc_u32_e32 v58, v49, v23
	s_waitcnt lgkmcnt(0)
	v_cmp_eq_u32_e32 vcc_lo, 0, v1
	v_add_nc_u32_e32 v57, v61, v65
	s_delay_alu instid0(VALU_DEP_3) | instskip(SKIP_1) | instid1(VALU_DEP_3)
	v_cndmask_b32_e64 v50, 0, v58, s0
	v_cndmask_b32_e32 v4, 0, v4, vcc_lo
	v_add_nc_u32_e32 v49, v57, v64
	s_delay_alu instid0(VALU_DEP_3) | instskip(NEXT) | instid1(VALU_DEP_3)
	v_add_nc_u32_e32 v50, v50, v24
	v_add_nc_u32_e32 v80, v4, v2
	s_branch .LBB1046_128
.LBB1046_116:
                                        ; implicit-def: $vgpr1
                                        ; implicit-def: $vgpr80
                                        ; implicit-def: $vgpr53_vgpr54
                                        ; implicit-def: $vgpr59_vgpr60
                                        ; implicit-def: $vgpr55_vgpr56
                                        ; implicit-def: $vgpr51_vgpr52
                                        ; implicit-def: $vgpr45_vgpr46
                                        ; implicit-def: $vgpr41_vgpr42
                                        ; implicit-def: $vgpr39_vgpr40
                                        ; implicit-def: $vgpr43_vgpr44
                                        ; implicit-def: $vgpr47_vgpr48
                                        ; implicit-def: $vgpr5_vgpr6
                                        ; implicit-def: $vgpr7_vgpr8
                                        ; implicit-def: $vgpr37_vgpr38
                                        ; implicit-def: $vgpr61_vgpr62
                                        ; implicit-def: $vgpr57_vgpr58
                                        ; implicit-def: $vgpr49_vgpr50
	s_cbranch_execz .LBB1046_128
; %bb.117:
	s_and_b32 s0, s16, exec_lo
	v_mov_b32_e32 v49, v35
	s_cselect_b32 s1, 0, s35
	s_cselect_b32 s0, 0, s34
	s_delay_alu instid0(SALU_CYCLE_1)
	s_cmp_eq_u64 s[0:1], 0
	s_cbranch_scc1 .LBB1046_119
; %bb.118:
	v_mov_b32_e32 v1, 0
	global_load_b32 v49, v1, s[0:1]
.LBB1046_119:
	v_cmp_eq_u32_e64 s6, 0, v77
	v_cmp_eq_u32_e64 s7, 0, v76
	v_cmp_eq_u32_e64 s8, 0, v75
	v_cmp_eq_u32_e64 s9, 0, v74
	v_cmp_eq_u32_e64 s10, 0, v73
	v_cndmask_b32_e64 v1, 0, v35, s6
	v_cmp_eq_u32_e64 s11, 0, v72
	v_cmp_eq_u32_e64 s5, 0, v70
	v_cmp_eq_u32_e64 s4, 0, v69
	v_cmp_eq_u32_e64 s3, 0, v68
	v_add_nc_u32_e32 v1, v1, v36
	v_cmp_eq_u32_e64 s2, 0, v67
	v_add3_u32 v2, v84, v73, v72
	v_cmp_eq_u32_e64 s1, 0, v66
	v_cmp_eq_u32_e32 vcc_lo, 0, v65
	v_cndmask_b32_e64 v1, 0, v1, s7
	v_cmp_eq_u32_e64 s0, 0, v64
	v_add3_u32 v2, v2, v70, v69
	v_cmp_eq_u32_e64 s12, 0, v71
	v_and_b32_e32 v4, 15, v81
	v_add_nc_u32_e32 v1, v1, v33
	s_delay_alu instid0(VALU_DEP_4) | instskip(NEXT) | instid1(VALU_DEP_3)
	v_add3_u32 v2, v2, v68, v67
	v_cmp_lt_u32_e64 s13, 1, v4
	s_delay_alu instid0(VALU_DEP_3) | instskip(NEXT) | instid1(VALU_DEP_3)
	v_cndmask_b32_e64 v1, 0, v1, s8
	v_add3_u32 v2, v2, v66, v65
	s_delay_alu instid0(VALU_DEP_2) | instskip(NEXT) | instid1(VALU_DEP_2)
	v_add_nc_u32_e32 v1, v1, v34
	v_add3_u32 v2, v2, v64, v71
	s_delay_alu instid0(VALU_DEP_2) | instskip(NEXT) | instid1(VALU_DEP_2)
	v_cndmask_b32_e64 v1, 0, v1, s9
	v_mov_b32_dpp v5, v2 row_shr:1 row_mask:0xf bank_mask:0xf
	s_delay_alu instid0(VALU_DEP_2) | instskip(NEXT) | instid1(VALU_DEP_1)
	v_add_nc_u32_e32 v1, v1, v31
	v_cndmask_b32_e64 v1, 0, v1, s10
	s_delay_alu instid0(VALU_DEP_1) | instskip(NEXT) | instid1(VALU_DEP_1)
	v_add_nc_u32_e32 v1, v1, v32
	v_cndmask_b32_e64 v1, 0, v1, s11
	s_delay_alu instid0(VALU_DEP_1) | instskip(NEXT) | instid1(VALU_DEP_1)
	;; [unrolled: 3-line block ×7, first 2 shown]
	v_add_nc_u32_e32 v1, v1, v26
	v_cndmask_b32_e32 v1, 0, v1, vcc_lo
	s_delay_alu instid0(VALU_DEP_1) | instskip(NEXT) | instid1(VALU_DEP_1)
	v_add_nc_u32_e32 v1, v1, v23
	v_cndmask_b32_e64 v1, 0, v1, s0
	s_delay_alu instid0(VALU_DEP_1) | instskip(NEXT) | instid1(VALU_DEP_1)
	v_add_nc_u32_e32 v1, v1, v24
	v_cndmask_b32_e64 v1, 0, v1, s12
	v_cmp_eq_u32_e64 s12, 0, v2
	s_delay_alu instid0(VALU_DEP_2) | instskip(NEXT) | instid1(VALU_DEP_1)
	v_add_nc_u32_e32 v1, v1, v78
	v_mov_b32_dpp v3, v1 row_shr:1 row_mask:0xf bank_mask:0xf
	s_delay_alu instid0(VALU_DEP_1) | instskip(SKIP_1) | instid1(VALU_DEP_1)
	v_cndmask_b32_e64 v3, 0, v3, s12
	v_cmp_eq_u32_e64 s12, 0, v4
	v_cndmask_b32_e64 v5, v5, 0, s12
	s_delay_alu instid0(VALU_DEP_3) | instskip(NEXT) | instid1(VALU_DEP_2)
	v_cndmask_b32_e64 v3, v3, 0, s12
	v_add_nc_u32_e32 v2, v5, v2
	s_delay_alu instid0(VALU_DEP_2) | instskip(NEXT) | instid1(VALU_DEP_2)
	v_add_nc_u32_e32 v1, v3, v1
	v_mov_b32_dpp v3, v2 row_shr:2 row_mask:0xf bank_mask:0xf
	v_cmp_eq_u32_e64 s12, 0, v2
	s_delay_alu instid0(VALU_DEP_3) | instskip(NEXT) | instid1(VALU_DEP_3)
	v_mov_b32_dpp v5, v1 row_shr:2 row_mask:0xf bank_mask:0xf
	v_cndmask_b32_e64 v3, 0, v3, s13
	s_delay_alu instid0(VALU_DEP_3) | instskip(SKIP_1) | instid1(VALU_DEP_3)
	s_and_b32 s12, s13, s12
	v_cmp_lt_u32_e64 s13, 3, v4
	v_cndmask_b32_e64 v5, 0, v5, s12
	s_delay_alu instid0(VALU_DEP_3) | instskip(NEXT) | instid1(VALU_DEP_2)
	v_add_nc_u32_e32 v2, v2, v3
	v_add_nc_u32_e32 v1, v5, v1
	s_delay_alu instid0(VALU_DEP_2) | instskip(SKIP_1) | instid1(VALU_DEP_3)
	v_mov_b32_dpp v3, v2 row_shr:4 row_mask:0xf bank_mask:0xf
	v_cmp_eq_u32_e64 s12, 0, v2
	v_mov_b32_dpp v5, v1 row_shr:4 row_mask:0xf bank_mask:0xf
	s_delay_alu instid0(VALU_DEP_3) | instskip(NEXT) | instid1(VALU_DEP_3)
	v_cndmask_b32_e64 v3, 0, v3, s13
	s_and_b32 s12, s13, s12
	v_cmp_lt_u32_e64 s13, 7, v4
	s_delay_alu instid0(VALU_DEP_3) | instskip(NEXT) | instid1(VALU_DEP_3)
	v_cndmask_b32_e64 v5, 0, v5, s12
	v_add_nc_u32_e32 v2, v3, v2
	s_delay_alu instid0(VALU_DEP_2) | instskip(SKIP_1) | instid1(VALU_DEP_3)
	v_add_nc_u32_e32 v1, v1, v5
	v_bfe_i32 v5, v81, 4, 1
	v_cmp_eq_u32_e64 s12, 0, v2
	v_mov_b32_dpp v3, v2 row_shr:8 row_mask:0xf bank_mask:0xf
	s_delay_alu instid0(VALU_DEP_4) | instskip(NEXT) | instid1(VALU_DEP_3)
	v_mov_b32_dpp v4, v1 row_shr:8 row_mask:0xf bank_mask:0xf
	s_and_b32 s12, s13, s12
	s_delay_alu instid0(VALU_DEP_2) | instskip(SKIP_1) | instid1(VALU_DEP_2)
	v_cndmask_b32_e64 v3, 0, v3, s13
	s_mov_b32 s13, exec_lo
	v_cndmask_b32_e64 v4, 0, v4, s12
	s_delay_alu instid0(VALU_DEP_1) | instskip(NEXT) | instid1(VALU_DEP_3)
	v_add_nc_u32_e32 v4, v4, v1
	v_add_nc_u32_e32 v1, v3, v2
	ds_swizzle_b32 v2, v4 offset:swizzle(BROADCAST,32,15)
	ds_swizzle_b32 v3, v1 offset:swizzle(BROADCAST,32,15)
	v_cmp_eq_u32_e64 s12, 0, v1
	s_waitcnt lgkmcnt(1)
	s_delay_alu instid0(VALU_DEP_1) | instskip(SKIP_2) | instid1(VALU_DEP_2)
	v_cndmask_b32_e64 v2, 0, v2, s12
	s_waitcnt lgkmcnt(0)
	v_and_b32_e32 v3, v5, v3
	v_and_b32_e32 v2, v5, v2
	s_delay_alu instid0(VALU_DEP_2) | instskip(NEXT) | instid1(VALU_DEP_2)
	v_add_nc_u32_e32 v1, v3, v1
	v_add_nc_u32_e32 v2, v2, v4
	v_cmpx_eq_u32_e64 v83, v0
	s_cbranch_execz .LBB1046_121
; %bb.120:
	v_lshlrev_b32_e32 v3, 3, v82
	ds_store_b64 v3, v[1:2] offset:2064
.LBB1046_121:
	s_or_b32 exec_lo, exec_lo, s13
	s_delay_alu instid0(SALU_CYCLE_1)
	s_mov_b32 s14, exec_lo
	s_waitcnt vmcnt(0) lgkmcnt(0)
	s_barrier
	buffer_gl0_inv
	v_cmpx_gt_u32_e32 8, v0
	s_cbranch_execz .LBB1046_123
; %bb.122:
	v_lshlrev_b32_e32 v5, 3, v0
	v_and_b32_e32 v7, 7, v81
	ds_load_b64 v[3:4], v5 offset:2064
	v_cmp_lt_u32_e64 s13, 1, v7
	s_waitcnt lgkmcnt(0)
	v_mov_b32_dpp v6, v4 row_shr:1 row_mask:0xf bank_mask:0xf
	v_cmp_eq_u32_e64 s12, 0, v3
	v_mov_b32_dpp v8, v3 row_shr:1 row_mask:0xf bank_mask:0xf
	s_delay_alu instid0(VALU_DEP_2) | instskip(SKIP_1) | instid1(VALU_DEP_1)
	v_cndmask_b32_e64 v6, 0, v6, s12
	v_cmp_eq_u32_e64 s12, 0, v7
	v_cndmask_b32_e64 v8, v8, 0, s12
	s_delay_alu instid0(VALU_DEP_3) | instskip(NEXT) | instid1(VALU_DEP_2)
	v_cndmask_b32_e64 v6, v6, 0, s12
	v_add_nc_u32_e32 v3, v8, v3
	s_delay_alu instid0(VALU_DEP_2) | instskip(NEXT) | instid1(VALU_DEP_2)
	v_add_nc_u32_e32 v4, v6, v4
	v_mov_b32_dpp v6, v3 row_shr:2 row_mask:0xf bank_mask:0xf
	v_cmp_eq_u32_e64 s12, 0, v3
	s_delay_alu instid0(VALU_DEP_3) | instskip(NEXT) | instid1(VALU_DEP_3)
	v_mov_b32_dpp v8, v4 row_shr:2 row_mask:0xf bank_mask:0xf
	v_cndmask_b32_e64 v6, 0, v6, s13
	s_delay_alu instid0(VALU_DEP_3) | instskip(SKIP_1) | instid1(VALU_DEP_3)
	s_and_b32 s12, s13, s12
	v_cmp_lt_u32_e64 s13, 3, v7
	v_cndmask_b32_e64 v8, 0, v8, s12
	s_delay_alu instid0(VALU_DEP_3) | instskip(NEXT) | instid1(VALU_DEP_2)
	v_add_nc_u32_e32 v3, v6, v3
	v_add_nc_u32_e32 v4, v8, v4
	s_delay_alu instid0(VALU_DEP_2) | instskip(SKIP_1) | instid1(VALU_DEP_3)
	v_cmp_eq_u32_e64 s12, 0, v3
	v_mov_b32_dpp v6, v3 row_shr:4 row_mask:0xf bank_mask:0xf
	v_mov_b32_dpp v7, v4 row_shr:4 row_mask:0xf bank_mask:0xf
	s_delay_alu instid0(VALU_DEP_3) | instskip(NEXT) | instid1(VALU_DEP_2)
	s_and_b32 s12, s13, s12
	v_cndmask_b32_e64 v6, 0, v6, s13
	s_delay_alu instid0(VALU_DEP_2) | instskip(NEXT) | instid1(VALU_DEP_2)
	v_cndmask_b32_e64 v7, 0, v7, s12
	v_add_nc_u32_e32 v3, v6, v3
	s_delay_alu instid0(VALU_DEP_2)
	v_add_nc_u32_e32 v4, v7, v4
	ds_store_b64 v5, v[3:4] offset:2064
.LBB1046_123:
	s_or_b32 exec_lo, exec_lo, s14
	v_dual_mov_b32 v7, 0 :: v_dual_mov_b32 v4, v49
	v_mov_b32_e32 v3, 0
	s_mov_b32 s13, exec_lo
	s_waitcnt lgkmcnt(0)
	s_barrier
	buffer_gl0_inv
	v_cmpx_lt_u32_e32 31, v0
	s_cbranch_execz .LBB1046_125
; %bb.124:
	v_lshlrev_b32_e32 v3, 3, v82
	ds_load_b64 v[3:4], v3 offset:2056
	s_waitcnt lgkmcnt(0)
	v_cmp_eq_u32_e64 s12, 0, v3
	s_delay_alu instid0(VALU_DEP_1) | instskip(NEXT) | instid1(VALU_DEP_1)
	v_cndmask_b32_e64 v5, 0, v49, s12
	v_add_nc_u32_e32 v4, v5, v4
.LBB1046_125:
	s_or_b32 exec_lo, exec_lo, s13
	v_add_nc_u32_e32 v5, -1, v81
	v_cmp_eq_u32_e64 s13, 0, v79
	s_delay_alu instid0(VALU_DEP_2) | instskip(NEXT) | instid1(VALU_DEP_1)
	v_cmp_gt_i32_e64 s12, 0, v5
	v_cndmask_b32_e64 v5, v5, v81, s12
	v_cmp_eq_u32_e64 s12, 0, v1
	v_add_nc_u32_e32 v1, v3, v1
	s_delay_alu instid0(VALU_DEP_3) | instskip(NEXT) | instid1(VALU_DEP_3)
	v_lshlrev_b32_e32 v5, 2, v5
	v_cndmask_b32_e64 v6, 0, v4, s12
	v_cmp_eq_u32_e64 s12, 0, v81
	ds_bpermute_b32 v1, v5, v1
	v_add_nc_u32_e32 v2, v6, v2
	ds_bpermute_b32 v2, v5, v2
	s_waitcnt lgkmcnt(1)
	v_cndmask_b32_e64 v1, v1, v3, s12
	s_waitcnt lgkmcnt(0)
	v_cndmask_b32_e64 v2, v2, v4, s12
	v_cmp_eq_u32_e64 s12, 0, v0
	s_delay_alu instid0(VALU_DEP_1) | instskip(SKIP_1) | instid1(VALU_DEP_2)
	v_cndmask_b32_e64 v54, v2, v49, s12
	v_cndmask_b32_e64 v53, v1, 0, s12
	;; [unrolled: 1-line block ×3, first 2 shown]
	s_delay_alu instid0(VALU_DEP_1) | instskip(NEXT) | instid1(VALU_DEP_1)
	v_add_nc_u32_e32 v60, v2, v35
	v_cndmask_b32_e64 v2, 0, v60, s6
	s_delay_alu instid0(VALU_DEP_1) | instskip(NEXT) | instid1(VALU_DEP_1)
	v_add_nc_u32_e32 v56, v2, v36
	v_cndmask_b32_e64 v2, 0, v56, s7
	;; [unrolled: 3-line block ×10, first 2 shown]
	s_delay_alu instid0(VALU_DEP_1) | instskip(SKIP_2) | instid1(VALU_DEP_1)
	v_add_nc_u32_e32 v38, v1, v25
	ds_load_b64 v[1:2], v7 offset:2120
	v_cndmask_b32_e64 v3, 0, v38, s1
	v_add_nc_u32_e32 v62, v3, v26
	s_delay_alu instid0(VALU_DEP_1) | instskip(NEXT) | instid1(VALU_DEP_1)
	v_cndmask_b32_e32 v3, 0, v62, vcc_lo
	v_add_nc_u32_e32 v58, v3, v23
	s_waitcnt lgkmcnt(0)
	v_cmp_eq_u32_e32 vcc_lo, 0, v1
	v_add_nc_u32_e32 v59, v53, v79
	s_delay_alu instid0(VALU_DEP_3) | instskip(SKIP_1) | instid1(VALU_DEP_3)
	v_cndmask_b32_e64 v3, 0, v58, s0
	v_cndmask_b32_e32 v4, 0, v49, vcc_lo
	v_add_nc_u32_e32 v55, v59, v77
	s_delay_alu instid0(VALU_DEP_3) | instskip(NEXT) | instid1(VALU_DEP_3)
	v_add_nc_u32_e32 v50, v3, v24
	v_add_nc_u32_e32 v80, v4, v2
	s_delay_alu instid0(VALU_DEP_3) | instskip(NEXT) | instid1(VALU_DEP_1)
	v_add_nc_u32_e32 v51, v55, v76
	v_add_nc_u32_e32 v45, v51, v75
	s_delay_alu instid0(VALU_DEP_1) | instskip(NEXT) | instid1(VALU_DEP_1)
	v_add_nc_u32_e32 v41, v45, v74
	v_add_nc_u32_e32 v39, v41, v73
	s_delay_alu instid0(VALU_DEP_1) | instskip(NEXT) | instid1(VALU_DEP_1)
	;; [unrolled: 3-line block ×5, first 2 shown]
	v_add_nc_u32_e32 v57, v61, v65
	v_add_nc_u32_e32 v49, v57, v64
	s_and_saveexec_b32 s0, s12
	s_cbranch_execz .LBB1046_127
; %bb.126:
	v_and_b32_e32 v2, 0xff000000, v80
	v_dual_mov_b32 v4, 0 :: v_dual_and_b32 v3, 0xff0000, v80
	s_add_u32 s2, s24, 0x200
	v_and_b32_e32 v23, 0xff00, v80
	s_addc_u32 s3, s25, 0
	v_and_b32_e32 v24, 0xff, v80
	v_or_b32_e32 v2, v3, v2
	v_mov_b32_e32 v3, 2
	s_delay_alu instid0(VALU_DEP_2)
	v_or3_b32 v2, v2, v23, v24
	v_dual_mov_b32 v24, s3 :: v_dual_mov_b32 v23, s2
	;;#ASMSTART
	global_store_dwordx4 v[23:24], v[1:4] off	
s_waitcnt vmcnt(0)
	;;#ASMEND
.LBB1046_127:
	s_or_b32 exec_lo, exec_lo, s0
	v_mov_b32_e32 v3, 0
.LBB1046_128:
	v_mov_b32_e32 v23, 0
	s_and_b32 s0, s16, exec_lo
	v_mov_b32_e32 v24, 0
	s_cselect_b32 s1, 0, s39
	s_cselect_b32 s0, 0, s38
	s_delay_alu instid0(SALU_CYCLE_1)
	s_cmp_eq_u64 s[0:1], 0
	s_barrier
	buffer_gl0_inv
	s_cbranch_scc1 .LBB1046_130
; %bb.129:
	v_mov_b32_e32 v2, 0
	global_load_b64 v[23:24], v2, s[0:1]
.LBB1046_130:
	v_cmp_gt_u32_e32 vcc_lo, 0x100, v1
	s_cbranch_vccnz .LBB1046_137
; %bb.131:
	v_cmp_eq_u32_e32 vcc_lo, 0, v77
	v_cmp_eq_u32_e64 s0, 0, v65
	v_cmp_eq_u32_e64 s1, 0, v64
	v_cmp_ne_u32_e64 s11, 0, v79
	v_cmp_ne_u32_e64 s2, 0, v66
	v_cndmask_b32_e64 v2, 1, 2, vcc_lo
	v_cmp_eq_u32_e32 vcc_lo, 0, v79
	v_cndmask_b32_e64 v26, 1, 2, s1
	v_cmp_ne_u32_e64 s1, 0, v65
	v_cmp_ne_u32_e64 s3, 0, v67
	;; [unrolled: 1-line block ×3, first 2 shown]
	v_cndmask_b32_e64 v4, 1, 2, vcc_lo
	v_cmp_eq_u32_e32 vcc_lo, 0, v76
	v_cmp_ne_u32_e64 s5, 0, v69
	v_cmp_ne_u32_e64 s6, 0, v70
	;; [unrolled: 1-line block ×3, first 2 shown]
	v_and_b32_e32 v2, v2, v4
	v_cndmask_b32_e64 v25, 1, 2, vcc_lo
	v_cmp_eq_u32_e32 vcc_lo, 0, v75
	v_cmp_ne_u32_e64 s8, 0, v73
	v_cmp_ne_u32_e64 s9, 0, v74
	;; [unrolled: 1-line block ×3, first 2 shown]
	v_and_b32_e32 v2, v2, v25
	v_cndmask_b32_e64 v4, 1, 2, vcc_lo
	v_cmp_eq_u32_e32 vcc_lo, 0, v74
	v_cmp_ne_u32_e64 s12, 0, v76
	v_cmp_ne_u32_e64 s13, 0, v77
	s_mov_b32 s16, 0
	v_and_b32_e32 v2, v2, v4
	v_cndmask_b32_e64 v25, 1, 2, vcc_lo
	v_cmp_eq_u32_e32 vcc_lo, 0, v73
	s_mov_b32 s15, exec_lo
	s_delay_alu instid0(VALU_DEP_2) | instskip(SKIP_2) | instid1(VALU_DEP_2)
	v_and_b32_e32 v2, v2, v25
	v_cndmask_b32_e64 v4, 1, 2, vcc_lo
	v_cmp_eq_u32_e32 vcc_lo, 0, v72
	v_and_b32_e32 v2, v2, v4
	v_cndmask_b32_e64 v25, 1, 2, vcc_lo
	v_cmp_eq_u32_e32 vcc_lo, 0, v70
	s_delay_alu instid0(VALU_DEP_2) | instskip(SKIP_2) | instid1(VALU_DEP_2)
	v_and_b32_e32 v2, v2, v25
	v_cndmask_b32_e64 v4, 1, 2, vcc_lo
	v_cmp_eq_u32_e32 vcc_lo, 0, v69
	v_and_b32_e32 v2, v2, v4
	v_cndmask_b32_e64 v25, 1, 2, vcc_lo
	v_cmp_eq_u32_e32 vcc_lo, 0, v68
	s_delay_alu instid0(VALU_DEP_2) | instskip(SKIP_2) | instid1(VALU_DEP_2)
	v_and_b32_e32 v2, v2, v25
	v_cndmask_b32_e64 v4, 1, 2, vcc_lo
	v_cmp_eq_u32_e32 vcc_lo, 0, v67
	v_and_b32_e32 v2, v2, v4
	v_cndmask_b32_e64 v25, 1, 2, vcc_lo
	v_cmp_eq_u32_e32 vcc_lo, 0, v66
	s_delay_alu instid0(VALU_DEP_2) | instskip(SKIP_4) | instid1(VALU_DEP_4)
	v_and_b32_e32 v2, v2, v25
	v_cndmask_b32_e64 v4, 1, 2, vcc_lo
	v_cndmask_b32_e64 v25, 1, 2, s0
	v_cmp_eq_u32_e64 s0, 0, v71
	v_cmp_ne_u32_e32 vcc_lo, 0, v71
	v_and_b32_e32 v2, v2, v4
	s_delay_alu instid0(VALU_DEP_3) | instskip(SKIP_1) | instid1(VALU_DEP_3)
	v_cndmask_b32_e64 v4, 1, 2, s0
	v_cmp_ne_u32_e64 s0, 0, v64
	v_and_b32_e32 v2, v2, v25
	s_delay_alu instid0(VALU_DEP_1) | instskip(NEXT) | instid1(VALU_DEP_1)
	v_and_b32_e32 v2, v2, v26
	v_and_b32_e32 v2, v2, v4
	s_delay_alu instid0(VALU_DEP_1)
	v_cmpx_gt_i16_e32 2, v2
	s_cbranch_execz .LBB1046_136
; %bb.132:
	v_cmp_ne_u16_e64 s14, 1, v2
	s_delay_alu instid0(VALU_DEP_1) | instskip(NEXT) | instid1(SALU_CYCLE_1)
	s_and_saveexec_b32 s17, s14
	s_xor_b32 s14, exec_lo, s17
	s_cbranch_execnz .LBB1046_159
; %bb.133:
	s_and_not1_saveexec_b32 s0, s14
	s_cbranch_execnz .LBB1046_175
.LBB1046_134:
	s_or_b32 exec_lo, exec_lo, s0
	s_delay_alu instid0(SALU_CYCLE_1)
	s_and_b32 exec_lo, exec_lo, s16
	s_cbranch_execz .LBB1046_136
.LBB1046_135:
	v_sub_nc_u32_e32 v2, v49, v3
	s_delay_alu instid0(VALU_DEP_1)
	v_lshlrev_b32_e32 v2, 2, v2
	ds_store_b32 v2, v63
.LBB1046_136:
	s_or_b32 exec_lo, exec_lo, s15
	s_waitcnt vmcnt(0) lgkmcnt(0)
	s_barrier
	buffer_gl0_inv
.LBB1046_137:
	s_cmpk_lg_i32 s33, 0xf00
	v_cmp_eq_u32_e32 vcc_lo, 0, v0
	s_cselect_b32 s0, -1, 0
	v_cndmask_b32_e64 v13, 0, 1, s40
	s_and_b32 s0, s23, s0
	v_mad_i32_i24 v10, v0, -15, s33
	v_cndmask_b32_e64 v9, 0, 1, s0
	s_mul_hi_u32 s0, s33, 0x88888889
	s_and_b32 s1, vcc_lo, s40
	s_lshr_b32 s0, s0, 3
	v_sub_nc_u32_e32 v2, v1, v13
	v_cndmask_b32_e64 v11, v79, 0, s1
	v_cmp_eq_u32_e32 vcc_lo, s0, v0
	v_cmp_ne_u32_e64 s0, 0, v10
	s_mov_b32 s16, -1
	s_waitcnt vmcnt(0)
	s_barrier
	s_and_b32 vcc_lo, s23, vcc_lo
	v_add_nc_u32_e32 v2, v2, v9
	v_cndmask_b32_e64 v9, 1, v11, s0
	v_cmp_ne_u32_e64 s0, 1, v10
	buffer_gl0_inv
	v_cndmask_b32_e32 v18, v11, v9, vcc_lo
	v_cndmask_b32_e64 v12, 1, v77, s0
	v_cmp_ne_u32_e64 s0, 2, v10
	s_delay_alu instid0(VALU_DEP_2) | instskip(NEXT) | instid1(VALU_DEP_2)
	v_cndmask_b32_e32 v19, v77, v12, vcc_lo
	v_cndmask_b32_e64 v14, 1, v76, s0
	v_cmp_ne_u32_e64 s0, 14, v10
	s_delay_alu instid0(VALU_DEP_3) | instskip(NEXT) | instid1(VALU_DEP_2)
	v_cmp_ne_u32_e64 s13, 0, v19
	v_cndmask_b32_e64 v15, 1, v71, s0
	v_cmp_ne_u32_e64 s0, 3, v10
	s_delay_alu instid0(VALU_DEP_2) | instskip(NEXT) | instid1(VALU_DEP_2)
	v_dual_mov_b32 v4, 0 :: v_dual_cndmask_b32 v15, v71, v15
	v_cndmask_b32_e64 v16, 1, v75, s0
	v_cmp_ne_u32_e64 s0, 4, v10
	s_delay_alu instid0(VALU_DEP_1) | instskip(SKIP_1) | instid1(VALU_DEP_2)
	v_cndmask_b32_e64 v17, 1, v74, s0
	v_cmp_ne_u32_e64 s0, 5, v10
	v_dual_cndmask_b32 v14, v76, v14 :: v_dual_cndmask_b32 v17, v74, v17
	s_delay_alu instid0(VALU_DEP_2) | instskip(SKIP_2) | instid1(VALU_DEP_4)
	v_cndmask_b32_e64 v9, 1, v73, s0
	v_cmp_ne_u32_e64 s0, 6, v10
	v_cndmask_b32_e32 v16, v75, v16, vcc_lo
	v_cmp_ne_u32_e64 s12, 0, v14
	v_cmp_ne_u32_e64 s10, 0, v17
	v_cndmask_b32_e32 v27, v73, v9, vcc_lo
	v_cndmask_b32_e64 v11, 1, v72, s0
	v_cmp_eq_u32_e64 s0, 0, v18
	v_cmp_ne_u32_e64 s11, 0, v16
	s_delay_alu instid0(VALU_DEP_4) | instskip(NEXT) | instid1(VALU_DEP_3)
	v_cmp_ne_u32_e64 s9, 0, v27
	v_cndmask_b32_e64 v12, 1, 2, s0
	v_cmp_eq_u32_e64 s0, 0, v19
	s_delay_alu instid0(VALU_DEP_1) | instskip(SKIP_1) | instid1(VALU_DEP_1)
	v_cndmask_b32_e64 v20, 1, 2, s0
	v_cmp_ne_u32_e64 s0, 7, v10
	v_cndmask_b32_e64 v21, 1, v70, s0
	v_cmp_eq_u32_e64 s0, 0, v14
	s_delay_alu instid0(VALU_DEP_2) | instskip(NEXT) | instid1(VALU_DEP_2)
	v_dual_cndmask_b32 v21, v70, v21 :: v_dual_and_b32 v12, v20, v12
	v_cndmask_b32_e64 v20, 1, 2, s0
	v_cmp_ne_u32_e64 s0, 8, v10
	s_delay_alu instid0(VALU_DEP_3) | instskip(NEXT) | instid1(VALU_DEP_3)
	v_cmp_ne_u32_e64 s7, 0, v21
	v_and_b32_e32 v12, v12, v20
	s_delay_alu instid0(VALU_DEP_3) | instskip(SKIP_1) | instid1(VALU_DEP_2)
	v_cndmask_b32_e64 v22, 1, v69, s0
	v_cmp_ne_u32_e64 s0, 9, v10
	v_cndmask_b32_e32 v22, v69, v22, vcc_lo
	s_delay_alu instid0(VALU_DEP_2) | instskip(SKIP_1) | instid1(VALU_DEP_2)
	v_cndmask_b32_e64 v25, 1, v68, s0
	v_cmp_eq_u32_e64 s0, 0, v16
	v_cndmask_b32_e32 v25, v68, v25, vcc_lo
	s_delay_alu instid0(VALU_DEP_2) | instskip(SKIP_1) | instid1(VALU_DEP_3)
	v_cndmask_b32_e64 v20, 1, 2, s0
	v_cmp_ne_u32_e64 s0, 10, v10
	v_cmp_ne_u32_e64 s5, 0, v25
	s_delay_alu instid0(VALU_DEP_3) | instskip(NEXT) | instid1(VALU_DEP_3)
	v_and_b32_e32 v9, v12, v20
	v_cndmask_b32_e64 v26, 1, v67, s0
	v_cmp_eq_u32_e64 s0, 0, v17
	v_cmp_ne_u32_e64 s14, 0, v18
	s_delay_alu instid0(VALU_DEP_3) | instskip(NEXT) | instid1(VALU_DEP_3)
	v_cndmask_b32_e32 v26, v67, v26, vcc_lo
	v_cndmask_b32_e64 v12, 1, 2, s0
	v_cmp_ne_u32_e64 s0, 11, v10
	s_delay_alu instid0(VALU_DEP_3) | instskip(NEXT) | instid1(VALU_DEP_3)
	v_cmp_ne_u32_e64 s4, 0, v26
	v_and_b32_e32 v9, v9, v12
	s_delay_alu instid0(VALU_DEP_3) | instskip(SKIP_1) | instid1(VALU_DEP_2)
	v_cndmask_b32_e64 v20, 1, v66, s0
	v_cmp_ne_u32_e64 s0, 13, v10
	v_cndmask_b32_e32 v20, v66, v20, vcc_lo
	s_delay_alu instid0(VALU_DEP_2) | instskip(SKIP_1) | instid1(VALU_DEP_3)
	v_cndmask_b32_e64 v28, 1, v64, s0
	v_cmp_eq_u32_e64 s0, 0, v27
	v_cmp_ne_u32_e64 s3, 0, v20
	s_delay_alu instid0(VALU_DEP_2) | instskip(SKIP_1) | instid1(VALU_DEP_2)
	v_cndmask_b32_e64 v12, 1, 2, s0
	v_cmp_ne_u32_e64 s0, 12, v10
	v_and_b32_e32 v9, v9, v12
	s_delay_alu instid0(VALU_DEP_2) | instskip(NEXT) | instid1(VALU_DEP_1)
	v_cndmask_b32_e64 v10, 1, v65, s0
	v_dual_cndmask_b32 v29, v72, v11 :: v_dual_cndmask_b32 v30, v65, v10
	s_delay_alu instid0(VALU_DEP_1) | instskip(SKIP_1) | instid1(VALU_DEP_3)
	v_cmp_eq_u32_e64 s0, 0, v29
	v_cmp_ne_u32_e64 s8, 0, v29
	v_cmp_ne_u32_e64 s2, 0, v30
	s_delay_alu instid0(VALU_DEP_3) | instskip(SKIP_3) | instid1(VALU_DEP_4)
	v_cndmask_b32_e64 v11, 1, 2, s0
	v_cmp_eq_u32_e64 s0, 0, v21
	v_cndmask_b32_e32 v28, v64, v28, vcc_lo
	v_cmp_eq_u32_e32 vcc_lo, 0, v22
	v_and_b32_e32 v31, v9, v11
	v_lshlrev_b64 v[9:10], 2, v[23:24]
	v_cndmask_b32_e64 v32, 1, 2, s0
	v_lshlrev_b64 v[11:12], 2, v[3:4]
	v_cmp_ne_u32_e64 s1, 0, v28
	v_cmp_ne_u32_e64 s0, 0, v15
	s_delay_alu instid0(VALU_DEP_4) | instskip(SKIP_4) | instid1(VALU_DEP_4)
	v_and_b32_e32 v4, v31, v32
	v_cndmask_b32_e64 v31, 1, 2, vcc_lo
	v_add_co_u32 v9, vcc_lo, s28, v9
	v_add_co_ci_u32_e32 v10, vcc_lo, s29, v10, vcc_lo
	v_cmp_eq_u32_e32 vcc_lo, 0, v25
	v_and_b32_e32 v4, v4, v31
	v_cndmask_b32_e64 v31, 1, 2, vcc_lo
	v_add_co_u32 v9, vcc_lo, v9, v11
	v_add_co_ci_u32_e32 v10, vcc_lo, v10, v12, vcc_lo
	v_lshlrev_b32_e32 v11, 2, v13
	v_cmp_eq_u32_e32 vcc_lo, 0, v26
	v_and_b32_e32 v4, v4, v31
	v_cmp_ne_u32_e64 s6, 0, v22
	v_cndmask_b32_e64 v12, 1, 2, vcc_lo
	v_add_co_u32 v11, vcc_lo, v11, v9
	v_add_co_ci_u32_e32 v31, vcc_lo, 0, v10, vcc_lo
	v_cmp_eq_u32_e32 vcc_lo, 0, v20
	s_delay_alu instid0(VALU_DEP_4)
	v_and_b32_e32 v32, v4, v12
	v_add_nc_u32_e32 v4, v3, v13
	v_cndmask_b32_e64 v33, 1, 2, vcc_lo
	v_add_co_u32 v11, vcc_lo, v11, -4
	v_add_co_ci_u32_e32 v12, vcc_lo, -1, v31, vcc_lo
	v_cmp_eq_u32_e32 vcc_lo, 0, v30
	s_delay_alu instid0(VALU_DEP_4) | instskip(SKIP_2) | instid1(VALU_DEP_2)
	v_and_b32_e32 v13, v32, v33
	v_cndmask_b32_e64 v31, 1, 2, vcc_lo
	v_cmp_eq_u32_e32 vcc_lo, 0, v28
	v_and_b32_e32 v13, v13, v31
	v_cndmask_b32_e64 v14, 1, 2, vcc_lo
	v_cmp_eq_u32_e32 vcc_lo, 0, v15
	s_delay_alu instid0(VALU_DEP_2) | instskip(SKIP_2) | instid1(VALU_DEP_2)
	v_and_b32_e32 v13, v13, v14
	v_cndmask_b32_e64 v14, 1, 2, vcc_lo
	v_cmp_gt_u32_e32 vcc_lo, 0x100, v2
	v_and_b32_e32 v13, v13, v14
	s_delay_alu instid0(VALU_DEP_1)
	v_cmp_gt_i16_e64 s15, 2, v13
	s_cbranch_vccnz .LBB1046_141
; %bb.138:
	s_and_b32 vcc_lo, exec_lo, s16
	s_cbranch_vccnz .LBB1046_147
.LBB1046_139:
	v_cmp_eq_u32_e32 vcc_lo, 0xff, v0
	s_and_b32 s0, vcc_lo, s23
	s_delay_alu instid0(SALU_CYCLE_1)
	s_and_saveexec_b32 s1, s0
	s_cbranch_execnz .LBB1046_156
.LBB1046_140:
	s_nop 0
	s_sendmsg sendmsg(MSG_DEALLOC_VGPRS)
	s_endpgm
.LBB1046_141:
	s_delay_alu instid0(VALU_DEP_1)
	s_and_saveexec_b32 s16, s15
	s_cbranch_execz .LBB1046_146
; %bb.142:
	s_mov_b32 s17, 0
	s_mov_b32 s15, exec_lo
	v_cmpx_ne_u16_e32 1, v13
	s_xor_b32 s15, exec_lo, s15
	s_cbranch_execnz .LBB1046_176
; %bb.143:
	s_and_not1_saveexec_b32 s15, s15
	s_cbranch_execnz .LBB1046_192
.LBB1046_144:
	s_or_b32 exec_lo, exec_lo, s15
	s_delay_alu instid0(SALU_CYCLE_1)
	s_and_b32 exec_lo, exec_lo, s17
	s_cbranch_execz .LBB1046_146
.LBB1046_145:
	v_sub_nc_u32_e32 v14, v49, v4
	v_mov_b32_e32 v15, 0
	s_delay_alu instid0(VALU_DEP_1) | instskip(NEXT) | instid1(VALU_DEP_1)
	v_lshlrev_b64 v[14:15], 2, v[14:15]
	v_add_co_u32 v14, vcc_lo, v11, v14
	s_delay_alu instid0(VALU_DEP_2)
	v_add_co_ci_u32_e32 v15, vcc_lo, v12, v15, vcc_lo
	global_store_b32 v[14:15], v50, off
.LBB1046_146:
	s_or_b32 exec_lo, exec_lo, s16
	s_branch .LBB1046_139
.LBB1046_147:
	s_mov_b32 s15, exec_lo
	v_cmpx_gt_i16_e32 2, v13
	s_cbranch_execz .LBB1046_152
; %bb.148:
	s_mov_b32 s17, 0
	s_mov_b32 s16, exec_lo
	v_cmpx_ne_u16_e32 1, v13
	s_xor_b32 s16, exec_lo, s16
	s_cbranch_execnz .LBB1046_193
; %bb.149:
	s_and_not1_saveexec_b32 s0, s16
	s_cbranch_execnz .LBB1046_209
.LBB1046_150:
	s_or_b32 exec_lo, exec_lo, s0
	s_delay_alu instid0(SALU_CYCLE_1)
	s_and_b32 exec_lo, exec_lo, s17
	s_cbranch_execz .LBB1046_152
.LBB1046_151:
	v_sub_nc_u32_e32 v4, v49, v4
	s_delay_alu instid0(VALU_DEP_1)
	v_lshlrev_b32_e32 v4, 2, v4
	ds_store_b32 v4, v50
.LBB1046_152:
	s_or_b32 exec_lo, exec_lo, s15
	s_delay_alu instid0(SALU_CYCLE_1)
	s_mov_b32 s1, exec_lo
	s_waitcnt lgkmcnt(0)
	s_waitcnt_vscnt null, 0x0
	s_barrier
	buffer_gl0_inv
	v_cmpx_lt_u32_e64 v0, v2
	s_cbranch_execz .LBB1046_155
; %bb.153:
	v_dual_mov_b32 v5, 0 :: v_dual_lshlrev_b32 v6, 2, v0
	v_mov_b32_e32 v4, v0
	s_mov_b32 s2, 0
	.p2align	6
.LBB1046_154:                           ; =>This Inner Loop Header: Depth=1
	ds_load_b32 v13, v6
	v_lshlrev_b64 v[7:8], 2, v[4:5]
	v_add_nc_u32_e32 v4, 0x100, v4
	v_add_nc_u32_e32 v6, 0x400, v6
	s_delay_alu instid0(VALU_DEP_2) | instskip(NEXT) | instid1(VALU_DEP_4)
	v_cmp_ge_u32_e32 vcc_lo, v4, v2
	v_add_co_u32 v7, s0, v11, v7
	s_delay_alu instid0(VALU_DEP_1)
	v_add_co_ci_u32_e64 v8, s0, v12, v8, s0
	s_or_b32 s2, vcc_lo, s2
	s_waitcnt lgkmcnt(0)
	global_store_b32 v[7:8], v13, off
	s_and_not1_b32 exec_lo, exec_lo, s2
	s_cbranch_execnz .LBB1046_154
.LBB1046_155:
	s_or_b32 exec_lo, exec_lo, s1
	v_cmp_eq_u32_e32 vcc_lo, 0xff, v0
	s_and_b32 s0, vcc_lo, s23
	s_delay_alu instid0(SALU_CYCLE_1)
	s_and_saveexec_b32 s1, s0
	s_cbranch_execz .LBB1046_140
.LBB1046_156:
	v_add_co_u32 v0, s0, v1, v3
	s_delay_alu instid0(VALU_DEP_1) | instskip(SKIP_1) | instid1(VALU_DEP_3)
	v_add_co_ci_u32_e64 v4, null, 0, 0, s0
	v_mov_b32_e32 v2, 0
	v_add_co_u32 v3, vcc_lo, v0, v23
	s_delay_alu instid0(VALU_DEP_3)
	v_add_co_ci_u32_e32 v4, vcc_lo, v4, v24, vcc_lo
	s_cmpk_lg_i32 s33, 0xf00
	global_store_b64 v2, v[3:4], s[30:31]
	s_cbranch_scc1 .LBB1046_140
; %bb.157:
	v_lshlrev_b64 v[0:1], 2, v[1:2]
	s_delay_alu instid0(VALU_DEP_1) | instskip(NEXT) | instid1(VALU_DEP_2)
	v_add_co_u32 v0, vcc_lo, v9, v0
	v_add_co_ci_u32_e32 v1, vcc_lo, v10, v1, vcc_lo
	global_store_b32 v[0:1], v80, off offset:-4
	s_nop 0
	s_sendmsg sendmsg(MSG_DEALLOC_VGPRS)
	s_endpgm
.LBB1046_158:
	s_or_b32 exec_lo, exec_lo, s2
	v_mov_b32_e32 v79, s1
	s_and_saveexec_b32 s1, s41
	s_cbranch_execnz .LBB1046_84
	s_branch .LBB1046_85
.LBB1046_159:
	s_and_saveexec_b32 s16, s11
	s_cbranch_execnz .LBB1046_210
; %bb.160:
	s_or_b32 exec_lo, exec_lo, s16
	s_and_saveexec_b32 s11, s13
	s_cbranch_execnz .LBB1046_211
.LBB1046_161:
	s_or_b32 exec_lo, exec_lo, s11
	s_and_saveexec_b32 s11, s12
	s_cbranch_execnz .LBB1046_212
.LBB1046_162:
	s_or_b32 exec_lo, exec_lo, s11
	s_and_saveexec_b32 s11, s10
	s_cbranch_execnz .LBB1046_213
.LBB1046_163:
	s_or_b32 exec_lo, exec_lo, s11
	s_and_saveexec_b32 s10, s9
	s_cbranch_execnz .LBB1046_214
.LBB1046_164:
	s_or_b32 exec_lo, exec_lo, s10
	s_and_saveexec_b32 s9, s8
	s_cbranch_execnz .LBB1046_215
.LBB1046_165:
	s_or_b32 exec_lo, exec_lo, s9
	s_and_saveexec_b32 s8, s7
	s_cbranch_execnz .LBB1046_216
.LBB1046_166:
	s_or_b32 exec_lo, exec_lo, s8
	s_and_saveexec_b32 s7, s6
	s_cbranch_execnz .LBB1046_217
.LBB1046_167:
	s_or_b32 exec_lo, exec_lo, s7
	s_and_saveexec_b32 s6, s5
	s_cbranch_execnz .LBB1046_218
.LBB1046_168:
	s_or_b32 exec_lo, exec_lo, s6
	s_and_saveexec_b32 s5, s4
	s_cbranch_execnz .LBB1046_219
.LBB1046_169:
	s_or_b32 exec_lo, exec_lo, s5
	s_and_saveexec_b32 s4, s3
	s_cbranch_execnz .LBB1046_220
.LBB1046_170:
	s_or_b32 exec_lo, exec_lo, s4
	s_and_saveexec_b32 s3, s2
	s_cbranch_execnz .LBB1046_221
.LBB1046_171:
	s_or_b32 exec_lo, exec_lo, s3
	s_and_saveexec_b32 s2, s1
	s_cbranch_execnz .LBB1046_222
.LBB1046_172:
	s_or_b32 exec_lo, exec_lo, s2
	s_and_saveexec_b32 s1, s0
	s_cbranch_execz .LBB1046_174
.LBB1046_173:
	v_sub_nc_u32_e32 v2, v57, v3
	s_delay_alu instid0(VALU_DEP_1)
	v_lshlrev_b32_e32 v2, 2, v2
	ds_store_b32 v2, v10
.LBB1046_174:
	s_or_b32 exec_lo, exec_lo, s1
	s_delay_alu instid0(SALU_CYCLE_1)
	s_and_b32 s16, vcc_lo, exec_lo
                                        ; implicit-def: $vgpr21
                                        ; implicit-def: $vgpr19
                                        ; implicit-def: $vgpr17
                                        ; implicit-def: $vgpr15
                                        ; implicit-def: $vgpr13
                                        ; implicit-def: $vgpr11
                                        ; implicit-def: $vgpr9
	s_and_not1_saveexec_b32 s0, s14
	s_cbranch_execz .LBB1046_134
.LBB1046_175:
	v_sub_nc_u32_e32 v2, v53, v3
	v_sub_nc_u32_e32 v4, v59, v3
	;; [unrolled: 1-line block ×4, first 2 shown]
	s_or_b32 s16, s16, exec_lo
	v_lshlrev_b32_e32 v2, 2, v2
	v_lshlrev_b32_e32 v4, 2, v4
	;; [unrolled: 1-line block ×4, first 2 shown]
	ds_store_b32 v2, v21
	ds_store_b32 v4, v22
	;; [unrolled: 1-line block ×3, first 2 shown]
	v_sub_nc_u32_e32 v2, v45, v3
	v_sub_nc_u32_e32 v4, v41, v3
	;; [unrolled: 1-line block ×3, first 2 shown]
	ds_store_b32 v26, v20
	v_sub_nc_u32_e32 v20, v43, v3
	v_lshlrev_b32_e32 v2, 2, v2
	v_sub_nc_u32_e32 v21, v47, v3
	v_lshlrev_b32_e32 v4, 2, v4
	v_lshlrev_b32_e32 v19, 2, v19
	;; [unrolled: 1-line block ×3, first 2 shown]
	ds_store_b32 v2, v17
	v_lshlrev_b32_e32 v2, 2, v21
	ds_store_b32 v4, v18
	ds_store_b32 v19, v15
	;; [unrolled: 1-line block ×3, first 2 shown]
	v_sub_nc_u32_e32 v4, v5, v3
	v_sub_nc_u32_e32 v16, v57, v3
	;; [unrolled: 1-line block ×3, first 2 shown]
	ds_store_b32 v2, v13
	v_sub_nc_u32_e32 v2, v7, v3
	v_lshlrev_b32_e32 v4, 2, v4
	v_sub_nc_u32_e32 v13, v37, v3
	v_lshlrev_b32_e32 v15, 2, v15
	s_delay_alu instid0(VALU_DEP_4)
	v_lshlrev_b32_e32 v2, 2, v2
	ds_store_b32 v4, v14
	v_lshlrev_b32_e32 v4, 2, v16
	v_lshlrev_b32_e32 v13, 2, v13
	ds_store_b32 v2, v11
	ds_store_b32 v13, v12
	ds_store_b32 v15, v9
	ds_store_b32 v4, v10
	s_or_b32 exec_lo, exec_lo, s0
	s_delay_alu instid0(SALU_CYCLE_1)
	s_and_b32 exec_lo, exec_lo, s16
	s_cbranch_execnz .LBB1046_135
	s_branch .LBB1046_136
.LBB1046_176:
	s_and_saveexec_b32 s17, s14
	s_cbranch_execnz .LBB1046_223
; %bb.177:
	s_or_b32 exec_lo, exec_lo, s17
	s_and_saveexec_b32 s17, s13
	s_cbranch_execnz .LBB1046_224
.LBB1046_178:
	s_or_b32 exec_lo, exec_lo, s17
	s_and_saveexec_b32 s17, s12
	s_cbranch_execnz .LBB1046_225
.LBB1046_179:
	s_or_b32 exec_lo, exec_lo, s17
	s_and_saveexec_b32 s17, s11
	s_cbranch_execnz .LBB1046_226
.LBB1046_180:
	s_or_b32 exec_lo, exec_lo, s17
	s_and_saveexec_b32 s17, s10
	s_cbranch_execnz .LBB1046_227
.LBB1046_181:
	s_or_b32 exec_lo, exec_lo, s17
	s_and_saveexec_b32 s17, s9
	s_cbranch_execnz .LBB1046_228
.LBB1046_182:
	s_or_b32 exec_lo, exec_lo, s17
	s_and_saveexec_b32 s17, s8
	s_cbranch_execnz .LBB1046_229
.LBB1046_183:
	s_or_b32 exec_lo, exec_lo, s17
	s_and_saveexec_b32 s17, s7
	s_cbranch_execnz .LBB1046_230
.LBB1046_184:
	s_or_b32 exec_lo, exec_lo, s17
	s_and_saveexec_b32 s17, s6
	s_cbranch_execnz .LBB1046_231
.LBB1046_185:
	s_or_b32 exec_lo, exec_lo, s17
	s_and_saveexec_b32 s17, s5
	s_cbranch_execnz .LBB1046_232
.LBB1046_186:
	s_or_b32 exec_lo, exec_lo, s17
	s_and_saveexec_b32 s17, s4
	s_cbranch_execnz .LBB1046_233
.LBB1046_187:
	s_or_b32 exec_lo, exec_lo, s17
	s_and_saveexec_b32 s17, s3
	s_cbranch_execnz .LBB1046_234
.LBB1046_188:
	s_or_b32 exec_lo, exec_lo, s17
	s_and_saveexec_b32 s17, s2
	s_cbranch_execnz .LBB1046_235
.LBB1046_189:
	s_or_b32 exec_lo, exec_lo, s17
	s_and_saveexec_b32 s17, s1
	s_cbranch_execz .LBB1046_191
.LBB1046_190:
	v_sub_nc_u32_e32 v14, v57, v4
	v_mov_b32_e32 v15, 0
	s_delay_alu instid0(VALU_DEP_1) | instskip(NEXT) | instid1(VALU_DEP_1)
	v_lshlrev_b64 v[14:15], 2, v[14:15]
	v_add_co_u32 v14, vcc_lo, v11, v14
	s_delay_alu instid0(VALU_DEP_2)
	v_add_co_ci_u32_e32 v15, vcc_lo, v12, v15, vcc_lo
	global_store_b32 v[14:15], v58, off
.LBB1046_191:
	s_or_b32 exec_lo, exec_lo, s17
	s_delay_alu instid0(SALU_CYCLE_1)
	s_and_b32 s17, s0, exec_lo
	s_and_not1_saveexec_b32 s15, s15
	s_cbranch_execz .LBB1046_144
.LBB1046_192:
	v_sub_nc_u32_e32 v14, v53, v4
	v_mov_b32_e32 v15, 0
	s_or_b32 s17, s17, exec_lo
	s_delay_alu instid0(VALU_DEP_1) | instskip(SKIP_1) | instid1(VALU_DEP_1)
	v_lshlrev_b64 v[16:17], 2, v[14:15]
	v_sub_nc_u32_e32 v14, v59, v4
	v_lshlrev_b64 v[18:19], 2, v[14:15]
	v_sub_nc_u32_e32 v14, v55, v4
	s_delay_alu instid0(VALU_DEP_4) | instskip(SKIP_1) | instid1(VALU_DEP_3)
	v_add_co_u32 v16, vcc_lo, v11, v16
	v_add_co_ci_u32_e32 v17, vcc_lo, v12, v17, vcc_lo
	v_lshlrev_b64 v[20:21], 2, v[14:15]
	v_sub_nc_u32_e32 v14, v51, v4
	v_add_co_u32 v18, vcc_lo, v11, v18
	v_add_co_ci_u32_e32 v19, vcc_lo, v12, v19, vcc_lo
	global_store_b32 v[16:17], v54, off
	v_lshlrev_b64 v[16:17], 2, v[14:15]
	v_sub_nc_u32_e32 v14, v45, v4
	global_store_b32 v[18:19], v60, off
	v_add_co_u32 v18, vcc_lo, v11, v20
	v_add_co_ci_u32_e32 v19, vcc_lo, v12, v21, vcc_lo
	v_lshlrev_b64 v[20:21], 2, v[14:15]
	v_sub_nc_u32_e32 v14, v41, v4
	v_add_co_u32 v16, vcc_lo, v11, v16
	v_add_co_ci_u32_e32 v17, vcc_lo, v12, v17, vcc_lo
	s_delay_alu instid0(VALU_DEP_3) | instskip(SKIP_3) | instid1(VALU_DEP_3)
	v_lshlrev_b64 v[25:26], 2, v[14:15]
	v_sub_nc_u32_e32 v14, v39, v4
	v_add_co_u32 v20, vcc_lo, v11, v20
	v_add_co_ci_u32_e32 v21, vcc_lo, v12, v21, vcc_lo
	v_lshlrev_b64 v[27:28], 2, v[14:15]
	v_sub_nc_u32_e32 v14, v43, v4
	v_add_co_u32 v25, vcc_lo, v11, v25
	v_add_co_ci_u32_e32 v26, vcc_lo, v12, v26, vcc_lo
	s_clause 0x3
	global_store_b32 v[18:19], v56, off
	global_store_b32 v[16:17], v52, off
	;; [unrolled: 1-line block ×4, first 2 shown]
	v_lshlrev_b64 v[16:17], 2, v[14:15]
	v_sub_nc_u32_e32 v14, v47, v4
	v_add_co_u32 v18, vcc_lo, v11, v27
	v_add_co_ci_u32_e32 v19, vcc_lo, v12, v28, vcc_lo
	s_delay_alu instid0(VALU_DEP_3) | instskip(SKIP_3) | instid1(VALU_DEP_3)
	v_lshlrev_b64 v[20:21], 2, v[14:15]
	v_sub_nc_u32_e32 v14, v5, v4
	v_add_co_u32 v16, vcc_lo, v11, v16
	v_add_co_ci_u32_e32 v17, vcc_lo, v12, v17, vcc_lo
	v_lshlrev_b64 v[25:26], 2, v[14:15]
	v_sub_nc_u32_e32 v14, v7, v4
	v_add_co_u32 v20, vcc_lo, v11, v20
	v_add_co_ci_u32_e32 v21, vcc_lo, v12, v21, vcc_lo
	s_delay_alu instid0(VALU_DEP_3)
	v_lshlrev_b64 v[27:28], 2, v[14:15]
	v_sub_nc_u32_e32 v14, v37, v4
	v_add_co_u32 v25, vcc_lo, v11, v25
	v_add_co_ci_u32_e32 v26, vcc_lo, v12, v26, vcc_lo
	s_clause 0x3
	global_store_b32 v[18:19], v40, off
	global_store_b32 v[16:17], v44, off
	;; [unrolled: 1-line block ×4, first 2 shown]
	v_lshlrev_b64 v[16:17], 2, v[14:15]
	v_sub_nc_u32_e32 v14, v61, v4
	v_add_co_u32 v18, vcc_lo, v11, v27
	v_add_co_ci_u32_e32 v19, vcc_lo, v12, v28, vcc_lo
	s_delay_alu instid0(VALU_DEP_3) | instskip(SKIP_3) | instid1(VALU_DEP_3)
	v_lshlrev_b64 v[20:21], 2, v[14:15]
	v_sub_nc_u32_e32 v14, v57, v4
	v_add_co_u32 v16, vcc_lo, v11, v16
	v_add_co_ci_u32_e32 v17, vcc_lo, v12, v17, vcc_lo
	v_lshlrev_b64 v[14:15], 2, v[14:15]
	v_add_co_u32 v20, vcc_lo, v11, v20
	v_add_co_ci_u32_e32 v21, vcc_lo, v12, v21, vcc_lo
	s_clause 0x2
	global_store_b32 v[18:19], v8, off
	global_store_b32 v[16:17], v38, off
	;; [unrolled: 1-line block ×3, first 2 shown]
	v_add_co_u32 v14, vcc_lo, v11, v14
	v_add_co_ci_u32_e32 v15, vcc_lo, v12, v15, vcc_lo
	global_store_b32 v[14:15], v58, off
	s_or_b32 exec_lo, exec_lo, s15
	s_delay_alu instid0(SALU_CYCLE_1)
	s_and_b32 exec_lo, exec_lo, s17
	s_cbranch_execnz .LBB1046_145
	s_branch .LBB1046_146
.LBB1046_193:
	s_and_saveexec_b32 s17, s14
	s_cbranch_execnz .LBB1046_236
; %bb.194:
	s_or_b32 exec_lo, exec_lo, s17
	s_and_saveexec_b32 s14, s13
	s_cbranch_execnz .LBB1046_237
.LBB1046_195:
	s_or_b32 exec_lo, exec_lo, s14
	s_and_saveexec_b32 s13, s12
	s_cbranch_execnz .LBB1046_238
.LBB1046_196:
	s_or_b32 exec_lo, exec_lo, s13
	s_and_saveexec_b32 s12, s11
	s_cbranch_execnz .LBB1046_239
.LBB1046_197:
	s_or_b32 exec_lo, exec_lo, s12
	s_and_saveexec_b32 s11, s10
	s_cbranch_execnz .LBB1046_240
.LBB1046_198:
	s_or_b32 exec_lo, exec_lo, s11
	s_and_saveexec_b32 s10, s9
	s_cbranch_execnz .LBB1046_241
.LBB1046_199:
	s_or_b32 exec_lo, exec_lo, s10
	s_and_saveexec_b32 s9, s8
	s_cbranch_execnz .LBB1046_242
.LBB1046_200:
	s_or_b32 exec_lo, exec_lo, s9
	s_and_saveexec_b32 s8, s7
	s_cbranch_execnz .LBB1046_243
.LBB1046_201:
	s_or_b32 exec_lo, exec_lo, s8
	s_and_saveexec_b32 s7, s6
	s_cbranch_execnz .LBB1046_244
.LBB1046_202:
	s_or_b32 exec_lo, exec_lo, s7
	s_and_saveexec_b32 s6, s5
	s_cbranch_execnz .LBB1046_245
.LBB1046_203:
	s_or_b32 exec_lo, exec_lo, s6
	s_and_saveexec_b32 s5, s4
	s_cbranch_execnz .LBB1046_246
.LBB1046_204:
	s_or_b32 exec_lo, exec_lo, s5
	s_and_saveexec_b32 s4, s3
	s_cbranch_execnz .LBB1046_247
.LBB1046_205:
	s_or_b32 exec_lo, exec_lo, s4
	s_and_saveexec_b32 s3, s2
	s_cbranch_execnz .LBB1046_248
.LBB1046_206:
	s_or_b32 exec_lo, exec_lo, s3
	s_and_saveexec_b32 s2, s1
	s_cbranch_execz .LBB1046_208
.LBB1046_207:
	v_sub_nc_u32_e32 v5, v57, v4
	s_delay_alu instid0(VALU_DEP_1)
	v_lshlrev_b32_e32 v5, 2, v5
	ds_store_b32 v5, v58
.LBB1046_208:
	s_or_b32 exec_lo, exec_lo, s2
	s_delay_alu instid0(SALU_CYCLE_1)
	s_and_b32 s17, s0, exec_lo
                                        ; implicit-def: $vgpr53_vgpr54
                                        ; implicit-def: $vgpr59_vgpr60
                                        ; implicit-def: $vgpr55_vgpr56
                                        ; implicit-def: $vgpr51_vgpr52
                                        ; implicit-def: $vgpr45_vgpr46
                                        ; implicit-def: $vgpr41_vgpr42
                                        ; implicit-def: $vgpr39_vgpr40
                                        ; implicit-def: $vgpr43_vgpr44
                                        ; implicit-def: $vgpr47_vgpr48
                                        ; implicit-def: $vgpr5_vgpr6
                                        ; implicit-def: $vgpr7_vgpr8
                                        ; implicit-def: $vgpr37_vgpr38
                                        ; implicit-def: $vgpr61_vgpr62
                                        ; implicit-def: $vgpr57_vgpr58
	s_and_not1_saveexec_b32 s0, s16
	s_cbranch_execz .LBB1046_150
.LBB1046_209:
	v_sub_nc_u32_e32 v13, v53, v4
	v_sub_nc_u32_e32 v14, v59, v4
	;; [unrolled: 1-line block ×5, first 2 shown]
	v_lshlrev_b32_e32 v13, 2, v13
	v_lshlrev_b32_e32 v14, 2, v14
	;; [unrolled: 1-line block ×4, first 2 shown]
	v_sub_nc_u32_e32 v5, v5, v4
	ds_store_b32 v13, v54
	ds_store_b32 v14, v60
	;; [unrolled: 1-line block ×3, first 2 shown]
	v_sub_nc_u32_e32 v13, v45, v4
	v_sub_nc_u32_e32 v14, v41, v4
	;; [unrolled: 1-line block ×3, first 2 shown]
	ds_store_b32 v16, v52
	v_sub_nc_u32_e32 v16, v43, v4
	v_lshlrev_b32_e32 v13, 2, v13
	v_lshlrev_b32_e32 v14, 2, v14
	;; [unrolled: 1-line block ×3, first 2 shown]
	v_sub_nc_u32_e32 v7, v7, v4
	v_lshlrev_b32_e32 v16, 2, v16
	ds_store_b32 v13, v46
	v_lshlrev_b32_e32 v13, 2, v17
	ds_store_b32 v14, v42
	ds_store_b32 v15, v40
	;; [unrolled: 1-line block ×3, first 2 shown]
	v_lshlrev_b32_e32 v5, 2, v5
	v_sub_nc_u32_e32 v15, v57, v4
	v_sub_nc_u32_e32 v14, v61, v4
	ds_store_b32 v13, v48
	v_sub_nc_u32_e32 v13, v37, v4
	v_lshlrev_b32_e32 v7, 2, v7
	ds_store_b32 v5, v6
	v_lshlrev_b32_e32 v5, 2, v15
	v_lshlrev_b32_e32 v14, 2, v14
	;; [unrolled: 1-line block ×3, first 2 shown]
	s_or_b32 s17, s17, exec_lo
	ds_store_b32 v7, v8
	ds_store_b32 v13, v38
	;; [unrolled: 1-line block ×4, first 2 shown]
	s_or_b32 exec_lo, exec_lo, s0
	s_delay_alu instid0(SALU_CYCLE_1)
	s_and_b32 exec_lo, exec_lo, s17
	s_cbranch_execnz .LBB1046_151
	s_branch .LBB1046_152
.LBB1046_210:
	v_sub_nc_u32_e32 v2, v53, v3
	s_delay_alu instid0(VALU_DEP_1)
	v_lshlrev_b32_e32 v2, 2, v2
	ds_store_b32 v2, v21
	s_or_b32 exec_lo, exec_lo, s16
	s_and_saveexec_b32 s11, s13
	s_cbranch_execz .LBB1046_161
.LBB1046_211:
	v_sub_nc_u32_e32 v2, v59, v3
	s_delay_alu instid0(VALU_DEP_1)
	v_lshlrev_b32_e32 v2, 2, v2
	ds_store_b32 v2, v22
	s_or_b32 exec_lo, exec_lo, s11
	s_and_saveexec_b32 s11, s12
	s_cbranch_execz .LBB1046_162
.LBB1046_212:
	v_sub_nc_u32_e32 v2, v55, v3
	s_delay_alu instid0(VALU_DEP_1)
	v_lshlrev_b32_e32 v2, 2, v2
	ds_store_b32 v2, v19
	s_or_b32 exec_lo, exec_lo, s11
	s_and_saveexec_b32 s11, s10
	s_cbranch_execz .LBB1046_163
.LBB1046_213:
	v_sub_nc_u32_e32 v2, v51, v3
	s_delay_alu instid0(VALU_DEP_1)
	v_lshlrev_b32_e32 v2, 2, v2
	ds_store_b32 v2, v20
	s_or_b32 exec_lo, exec_lo, s11
	s_and_saveexec_b32 s10, s9
	s_cbranch_execz .LBB1046_164
.LBB1046_214:
	v_sub_nc_u32_e32 v2, v45, v3
	s_delay_alu instid0(VALU_DEP_1)
	v_lshlrev_b32_e32 v2, 2, v2
	ds_store_b32 v2, v17
	s_or_b32 exec_lo, exec_lo, s10
	s_and_saveexec_b32 s9, s8
	s_cbranch_execz .LBB1046_165
.LBB1046_215:
	v_sub_nc_u32_e32 v2, v41, v3
	s_delay_alu instid0(VALU_DEP_1)
	v_lshlrev_b32_e32 v2, 2, v2
	ds_store_b32 v2, v18
	s_or_b32 exec_lo, exec_lo, s9
	s_and_saveexec_b32 s8, s7
	s_cbranch_execz .LBB1046_166
.LBB1046_216:
	v_sub_nc_u32_e32 v2, v39, v3
	s_delay_alu instid0(VALU_DEP_1)
	v_lshlrev_b32_e32 v2, 2, v2
	ds_store_b32 v2, v15
	s_or_b32 exec_lo, exec_lo, s8
	s_and_saveexec_b32 s7, s6
	s_cbranch_execz .LBB1046_167
.LBB1046_217:
	v_sub_nc_u32_e32 v2, v43, v3
	s_delay_alu instid0(VALU_DEP_1)
	v_lshlrev_b32_e32 v2, 2, v2
	ds_store_b32 v2, v16
	s_or_b32 exec_lo, exec_lo, s7
	s_and_saveexec_b32 s6, s5
	s_cbranch_execz .LBB1046_168
.LBB1046_218:
	v_sub_nc_u32_e32 v2, v47, v3
	s_delay_alu instid0(VALU_DEP_1)
	v_lshlrev_b32_e32 v2, 2, v2
	ds_store_b32 v2, v13
	s_or_b32 exec_lo, exec_lo, s6
	s_and_saveexec_b32 s5, s4
	s_cbranch_execz .LBB1046_169
.LBB1046_219:
	v_sub_nc_u32_e32 v2, v5, v3
	s_delay_alu instid0(VALU_DEP_1)
	v_lshlrev_b32_e32 v2, 2, v2
	ds_store_b32 v2, v14
	s_or_b32 exec_lo, exec_lo, s5
	s_and_saveexec_b32 s4, s3
	s_cbranch_execz .LBB1046_170
.LBB1046_220:
	v_sub_nc_u32_e32 v2, v7, v3
	s_delay_alu instid0(VALU_DEP_1)
	v_lshlrev_b32_e32 v2, 2, v2
	ds_store_b32 v2, v11
	s_or_b32 exec_lo, exec_lo, s4
	s_and_saveexec_b32 s3, s2
	s_cbranch_execz .LBB1046_171
.LBB1046_221:
	v_sub_nc_u32_e32 v2, v37, v3
	s_delay_alu instid0(VALU_DEP_1)
	v_lshlrev_b32_e32 v2, 2, v2
	ds_store_b32 v2, v12
	s_or_b32 exec_lo, exec_lo, s3
	s_and_saveexec_b32 s2, s1
	s_cbranch_execz .LBB1046_172
.LBB1046_222:
	v_sub_nc_u32_e32 v2, v61, v3
	s_delay_alu instid0(VALU_DEP_1)
	v_lshlrev_b32_e32 v2, 2, v2
	ds_store_b32 v2, v9
	s_or_b32 exec_lo, exec_lo, s2
	s_and_saveexec_b32 s1, s0
	s_cbranch_execnz .LBB1046_173
	s_branch .LBB1046_174
.LBB1046_223:
	v_sub_nc_u32_e32 v14, v53, v4
	v_mov_b32_e32 v15, 0
	s_delay_alu instid0(VALU_DEP_1) | instskip(NEXT) | instid1(VALU_DEP_1)
	v_lshlrev_b64 v[14:15], 2, v[14:15]
	v_add_co_u32 v14, vcc_lo, v11, v14
	s_delay_alu instid0(VALU_DEP_2)
	v_add_co_ci_u32_e32 v15, vcc_lo, v12, v15, vcc_lo
	global_store_b32 v[14:15], v54, off
	s_or_b32 exec_lo, exec_lo, s17
	s_and_saveexec_b32 s17, s13
	s_cbranch_execz .LBB1046_178
.LBB1046_224:
	v_sub_nc_u32_e32 v14, v59, v4
	v_mov_b32_e32 v15, 0
	s_delay_alu instid0(VALU_DEP_1) | instskip(NEXT) | instid1(VALU_DEP_1)
	v_lshlrev_b64 v[14:15], 2, v[14:15]
	v_add_co_u32 v14, vcc_lo, v11, v14
	s_delay_alu instid0(VALU_DEP_2)
	v_add_co_ci_u32_e32 v15, vcc_lo, v12, v15, vcc_lo
	global_store_b32 v[14:15], v60, off
	s_or_b32 exec_lo, exec_lo, s17
	s_and_saveexec_b32 s17, s12
	s_cbranch_execz .LBB1046_179
.LBB1046_225:
	v_sub_nc_u32_e32 v14, v55, v4
	v_mov_b32_e32 v15, 0
	s_delay_alu instid0(VALU_DEP_1) | instskip(NEXT) | instid1(VALU_DEP_1)
	v_lshlrev_b64 v[14:15], 2, v[14:15]
	v_add_co_u32 v14, vcc_lo, v11, v14
	s_delay_alu instid0(VALU_DEP_2)
	v_add_co_ci_u32_e32 v15, vcc_lo, v12, v15, vcc_lo
	global_store_b32 v[14:15], v56, off
	s_or_b32 exec_lo, exec_lo, s17
	s_and_saveexec_b32 s17, s11
	s_cbranch_execz .LBB1046_180
.LBB1046_226:
	v_sub_nc_u32_e32 v14, v51, v4
	v_mov_b32_e32 v15, 0
	s_delay_alu instid0(VALU_DEP_1) | instskip(NEXT) | instid1(VALU_DEP_1)
	v_lshlrev_b64 v[14:15], 2, v[14:15]
	v_add_co_u32 v14, vcc_lo, v11, v14
	s_delay_alu instid0(VALU_DEP_2)
	v_add_co_ci_u32_e32 v15, vcc_lo, v12, v15, vcc_lo
	global_store_b32 v[14:15], v52, off
	s_or_b32 exec_lo, exec_lo, s17
	s_and_saveexec_b32 s17, s10
	s_cbranch_execz .LBB1046_181
.LBB1046_227:
	v_sub_nc_u32_e32 v14, v45, v4
	v_mov_b32_e32 v15, 0
	s_delay_alu instid0(VALU_DEP_1) | instskip(NEXT) | instid1(VALU_DEP_1)
	v_lshlrev_b64 v[14:15], 2, v[14:15]
	v_add_co_u32 v14, vcc_lo, v11, v14
	s_delay_alu instid0(VALU_DEP_2)
	v_add_co_ci_u32_e32 v15, vcc_lo, v12, v15, vcc_lo
	global_store_b32 v[14:15], v46, off
	s_or_b32 exec_lo, exec_lo, s17
	s_and_saveexec_b32 s17, s9
	s_cbranch_execz .LBB1046_182
.LBB1046_228:
	v_sub_nc_u32_e32 v14, v41, v4
	v_mov_b32_e32 v15, 0
	s_delay_alu instid0(VALU_DEP_1) | instskip(NEXT) | instid1(VALU_DEP_1)
	v_lshlrev_b64 v[14:15], 2, v[14:15]
	v_add_co_u32 v14, vcc_lo, v11, v14
	s_delay_alu instid0(VALU_DEP_2)
	v_add_co_ci_u32_e32 v15, vcc_lo, v12, v15, vcc_lo
	global_store_b32 v[14:15], v42, off
	s_or_b32 exec_lo, exec_lo, s17
	s_and_saveexec_b32 s17, s8
	s_cbranch_execz .LBB1046_183
.LBB1046_229:
	v_sub_nc_u32_e32 v14, v39, v4
	v_mov_b32_e32 v15, 0
	s_delay_alu instid0(VALU_DEP_1) | instskip(NEXT) | instid1(VALU_DEP_1)
	v_lshlrev_b64 v[14:15], 2, v[14:15]
	v_add_co_u32 v14, vcc_lo, v11, v14
	s_delay_alu instid0(VALU_DEP_2)
	v_add_co_ci_u32_e32 v15, vcc_lo, v12, v15, vcc_lo
	global_store_b32 v[14:15], v40, off
	s_or_b32 exec_lo, exec_lo, s17
	s_and_saveexec_b32 s17, s7
	s_cbranch_execz .LBB1046_184
.LBB1046_230:
	v_sub_nc_u32_e32 v14, v43, v4
	v_mov_b32_e32 v15, 0
	s_delay_alu instid0(VALU_DEP_1) | instskip(NEXT) | instid1(VALU_DEP_1)
	v_lshlrev_b64 v[14:15], 2, v[14:15]
	v_add_co_u32 v14, vcc_lo, v11, v14
	s_delay_alu instid0(VALU_DEP_2)
	v_add_co_ci_u32_e32 v15, vcc_lo, v12, v15, vcc_lo
	global_store_b32 v[14:15], v44, off
	s_or_b32 exec_lo, exec_lo, s17
	s_and_saveexec_b32 s17, s6
	s_cbranch_execz .LBB1046_185
.LBB1046_231:
	v_sub_nc_u32_e32 v14, v47, v4
	v_mov_b32_e32 v15, 0
	s_delay_alu instid0(VALU_DEP_1) | instskip(NEXT) | instid1(VALU_DEP_1)
	v_lshlrev_b64 v[14:15], 2, v[14:15]
	v_add_co_u32 v14, vcc_lo, v11, v14
	s_delay_alu instid0(VALU_DEP_2)
	v_add_co_ci_u32_e32 v15, vcc_lo, v12, v15, vcc_lo
	global_store_b32 v[14:15], v48, off
	s_or_b32 exec_lo, exec_lo, s17
	s_and_saveexec_b32 s17, s5
	s_cbranch_execz .LBB1046_186
.LBB1046_232:
	v_sub_nc_u32_e32 v14, v5, v4
	v_mov_b32_e32 v15, 0
	s_delay_alu instid0(VALU_DEP_1) | instskip(NEXT) | instid1(VALU_DEP_1)
	v_lshlrev_b64 v[14:15], 2, v[14:15]
	v_add_co_u32 v14, vcc_lo, v11, v14
	s_delay_alu instid0(VALU_DEP_2)
	v_add_co_ci_u32_e32 v15, vcc_lo, v12, v15, vcc_lo
	global_store_b32 v[14:15], v6, off
	s_or_b32 exec_lo, exec_lo, s17
	s_and_saveexec_b32 s17, s4
	s_cbranch_execz .LBB1046_187
.LBB1046_233:
	v_sub_nc_u32_e32 v14, v7, v4
	v_mov_b32_e32 v15, 0
	s_delay_alu instid0(VALU_DEP_1) | instskip(NEXT) | instid1(VALU_DEP_1)
	v_lshlrev_b64 v[14:15], 2, v[14:15]
	v_add_co_u32 v14, vcc_lo, v11, v14
	s_delay_alu instid0(VALU_DEP_2)
	v_add_co_ci_u32_e32 v15, vcc_lo, v12, v15, vcc_lo
	global_store_b32 v[14:15], v8, off
	s_or_b32 exec_lo, exec_lo, s17
	s_and_saveexec_b32 s17, s3
	s_cbranch_execz .LBB1046_188
.LBB1046_234:
	v_sub_nc_u32_e32 v14, v37, v4
	v_mov_b32_e32 v15, 0
	s_delay_alu instid0(VALU_DEP_1) | instskip(NEXT) | instid1(VALU_DEP_1)
	v_lshlrev_b64 v[14:15], 2, v[14:15]
	v_add_co_u32 v14, vcc_lo, v11, v14
	s_delay_alu instid0(VALU_DEP_2)
	v_add_co_ci_u32_e32 v15, vcc_lo, v12, v15, vcc_lo
	global_store_b32 v[14:15], v38, off
	s_or_b32 exec_lo, exec_lo, s17
	s_and_saveexec_b32 s17, s2
	s_cbranch_execz .LBB1046_189
.LBB1046_235:
	v_sub_nc_u32_e32 v14, v61, v4
	v_mov_b32_e32 v15, 0
	s_delay_alu instid0(VALU_DEP_1) | instskip(NEXT) | instid1(VALU_DEP_1)
	v_lshlrev_b64 v[14:15], 2, v[14:15]
	v_add_co_u32 v14, vcc_lo, v11, v14
	s_delay_alu instid0(VALU_DEP_2)
	v_add_co_ci_u32_e32 v15, vcc_lo, v12, v15, vcc_lo
	global_store_b32 v[14:15], v62, off
	s_or_b32 exec_lo, exec_lo, s17
	s_and_saveexec_b32 s17, s1
	s_cbranch_execnz .LBB1046_190
	s_branch .LBB1046_191
.LBB1046_236:
	v_sub_nc_u32_e32 v13, v53, v4
	s_delay_alu instid0(VALU_DEP_1)
	v_lshlrev_b32_e32 v13, 2, v13
	ds_store_b32 v13, v54
	s_or_b32 exec_lo, exec_lo, s17
	s_and_saveexec_b32 s14, s13
	s_cbranch_execz .LBB1046_195
.LBB1046_237:
	v_sub_nc_u32_e32 v13, v59, v4
	s_delay_alu instid0(VALU_DEP_1)
	v_lshlrev_b32_e32 v13, 2, v13
	ds_store_b32 v13, v60
	s_or_b32 exec_lo, exec_lo, s14
	s_and_saveexec_b32 s13, s12
	s_cbranch_execz .LBB1046_196
.LBB1046_238:
	v_sub_nc_u32_e32 v13, v55, v4
	s_delay_alu instid0(VALU_DEP_1)
	v_lshlrev_b32_e32 v13, 2, v13
	ds_store_b32 v13, v56
	s_or_b32 exec_lo, exec_lo, s13
	s_and_saveexec_b32 s12, s11
	s_cbranch_execz .LBB1046_197
.LBB1046_239:
	v_sub_nc_u32_e32 v13, v51, v4
	s_delay_alu instid0(VALU_DEP_1)
	v_lshlrev_b32_e32 v13, 2, v13
	ds_store_b32 v13, v52
	s_or_b32 exec_lo, exec_lo, s12
	s_and_saveexec_b32 s11, s10
	s_cbranch_execz .LBB1046_198
.LBB1046_240:
	v_sub_nc_u32_e32 v13, v45, v4
	s_delay_alu instid0(VALU_DEP_1)
	v_lshlrev_b32_e32 v13, 2, v13
	ds_store_b32 v13, v46
	s_or_b32 exec_lo, exec_lo, s11
	s_and_saveexec_b32 s10, s9
	s_cbranch_execz .LBB1046_199
.LBB1046_241:
	v_sub_nc_u32_e32 v13, v41, v4
	s_delay_alu instid0(VALU_DEP_1)
	v_lshlrev_b32_e32 v13, 2, v13
	ds_store_b32 v13, v42
	s_or_b32 exec_lo, exec_lo, s10
	s_and_saveexec_b32 s9, s8
	s_cbranch_execz .LBB1046_200
.LBB1046_242:
	v_sub_nc_u32_e32 v13, v39, v4
	s_delay_alu instid0(VALU_DEP_1)
	v_lshlrev_b32_e32 v13, 2, v13
	ds_store_b32 v13, v40
	s_or_b32 exec_lo, exec_lo, s9
	s_and_saveexec_b32 s8, s7
	s_cbranch_execz .LBB1046_201
.LBB1046_243:
	v_sub_nc_u32_e32 v13, v43, v4
	s_delay_alu instid0(VALU_DEP_1)
	v_lshlrev_b32_e32 v13, 2, v13
	ds_store_b32 v13, v44
	s_or_b32 exec_lo, exec_lo, s8
	s_and_saveexec_b32 s7, s6
	s_cbranch_execz .LBB1046_202
.LBB1046_244:
	v_sub_nc_u32_e32 v13, v47, v4
	s_delay_alu instid0(VALU_DEP_1)
	v_lshlrev_b32_e32 v13, 2, v13
	ds_store_b32 v13, v48
	s_or_b32 exec_lo, exec_lo, s7
	s_and_saveexec_b32 s6, s5
	s_cbranch_execz .LBB1046_203
.LBB1046_245:
	v_sub_nc_u32_e32 v5, v5, v4
	s_delay_alu instid0(VALU_DEP_1)
	v_lshlrev_b32_e32 v5, 2, v5
	ds_store_b32 v5, v6
	s_or_b32 exec_lo, exec_lo, s6
	s_and_saveexec_b32 s5, s4
	s_cbranch_execz .LBB1046_204
.LBB1046_246:
	v_sub_nc_u32_e32 v5, v7, v4
	s_delay_alu instid0(VALU_DEP_1)
	v_lshlrev_b32_e32 v5, 2, v5
	ds_store_b32 v5, v8
	s_or_b32 exec_lo, exec_lo, s5
	s_and_saveexec_b32 s4, s3
	s_cbranch_execz .LBB1046_205
.LBB1046_247:
	v_sub_nc_u32_e32 v5, v37, v4
	s_delay_alu instid0(VALU_DEP_1)
	v_lshlrev_b32_e32 v5, 2, v5
	ds_store_b32 v5, v38
	s_or_b32 exec_lo, exec_lo, s4
	s_and_saveexec_b32 s3, s2
	s_cbranch_execz .LBB1046_206
.LBB1046_248:
	v_sub_nc_u32_e32 v5, v61, v4
	s_delay_alu instid0(VALU_DEP_1)
	v_lshlrev_b32_e32 v5, 2, v5
	ds_store_b32 v5, v62
	s_or_b32 exec_lo, exec_lo, s3
	s_and_saveexec_b32 s2, s1
	s_cbranch_execnz .LBB1046_207
	s_branch .LBB1046_208
	.section	.rodata,"a",@progbits
	.p2align	6, 0x0
	.amdhsa_kernel _ZN7rocprim17ROCPRIM_400000_NS6detail17trampoline_kernelINS0_14default_configENS1_29reduce_by_key_config_selectorIjiN6thrust23THRUST_200600_302600_NS4plusIiEEEEZZNS1_33reduce_by_key_impl_wrapped_configILNS1_25lookback_scan_determinismE0ES3_S9_NS6_6detail15normal_iteratorINS6_10device_ptrIjEEEENSD_INSE_IiEEEENS6_16discard_iteratorINS6_11use_defaultEEESI_PmS8_NS6_8equal_toIjEEEE10hipError_tPvRmT2_T3_mT4_T5_T6_T7_T8_P12ihipStream_tbENKUlT_T0_E_clISt17integral_constantIbLb1EES15_IbLb0EEEEDaS11_S12_EUlS11_E_NS1_11comp_targetILNS1_3genE9ELNS1_11target_archE1100ELNS1_3gpuE3ELNS1_3repE0EEENS1_30default_config_static_selectorELNS0_4arch9wavefront6targetE0EEEvT1_
		.amdhsa_group_segment_fixed_size 15360
		.amdhsa_private_segment_fixed_size 0
		.amdhsa_kernarg_size 128
		.amdhsa_user_sgpr_count 15
		.amdhsa_user_sgpr_dispatch_ptr 0
		.amdhsa_user_sgpr_queue_ptr 0
		.amdhsa_user_sgpr_kernarg_segment_ptr 1
		.amdhsa_user_sgpr_dispatch_id 0
		.amdhsa_user_sgpr_private_segment_size 0
		.amdhsa_wavefront_size32 1
		.amdhsa_uses_dynamic_stack 0
		.amdhsa_enable_private_segment 0
		.amdhsa_system_sgpr_workgroup_id_x 1
		.amdhsa_system_sgpr_workgroup_id_y 0
		.amdhsa_system_sgpr_workgroup_id_z 0
		.amdhsa_system_sgpr_workgroup_info 0
		.amdhsa_system_vgpr_workitem_id 0
		.amdhsa_next_free_vgpr 85
		.amdhsa_next_free_sgpr 44
		.amdhsa_reserve_vcc 1
		.amdhsa_float_round_mode_32 0
		.amdhsa_float_round_mode_16_64 0
		.amdhsa_float_denorm_mode_32 3
		.amdhsa_float_denorm_mode_16_64 3
		.amdhsa_dx10_clamp 1
		.amdhsa_ieee_mode 1
		.amdhsa_fp16_overflow 0
		.amdhsa_workgroup_processor_mode 1
		.amdhsa_memory_ordered 1
		.amdhsa_forward_progress 0
		.amdhsa_shared_vgpr_count 0
		.amdhsa_exception_fp_ieee_invalid_op 0
		.amdhsa_exception_fp_denorm_src 0
		.amdhsa_exception_fp_ieee_div_zero 0
		.amdhsa_exception_fp_ieee_overflow 0
		.amdhsa_exception_fp_ieee_underflow 0
		.amdhsa_exception_fp_ieee_inexact 0
		.amdhsa_exception_int_div_zero 0
	.end_amdhsa_kernel
	.section	.text._ZN7rocprim17ROCPRIM_400000_NS6detail17trampoline_kernelINS0_14default_configENS1_29reduce_by_key_config_selectorIjiN6thrust23THRUST_200600_302600_NS4plusIiEEEEZZNS1_33reduce_by_key_impl_wrapped_configILNS1_25lookback_scan_determinismE0ES3_S9_NS6_6detail15normal_iteratorINS6_10device_ptrIjEEEENSD_INSE_IiEEEENS6_16discard_iteratorINS6_11use_defaultEEESI_PmS8_NS6_8equal_toIjEEEE10hipError_tPvRmT2_T3_mT4_T5_T6_T7_T8_P12ihipStream_tbENKUlT_T0_E_clISt17integral_constantIbLb1EES15_IbLb0EEEEDaS11_S12_EUlS11_E_NS1_11comp_targetILNS1_3genE9ELNS1_11target_archE1100ELNS1_3gpuE3ELNS1_3repE0EEENS1_30default_config_static_selectorELNS0_4arch9wavefront6targetE0EEEvT1_,"axG",@progbits,_ZN7rocprim17ROCPRIM_400000_NS6detail17trampoline_kernelINS0_14default_configENS1_29reduce_by_key_config_selectorIjiN6thrust23THRUST_200600_302600_NS4plusIiEEEEZZNS1_33reduce_by_key_impl_wrapped_configILNS1_25lookback_scan_determinismE0ES3_S9_NS6_6detail15normal_iteratorINS6_10device_ptrIjEEEENSD_INSE_IiEEEENS6_16discard_iteratorINS6_11use_defaultEEESI_PmS8_NS6_8equal_toIjEEEE10hipError_tPvRmT2_T3_mT4_T5_T6_T7_T8_P12ihipStream_tbENKUlT_T0_E_clISt17integral_constantIbLb1EES15_IbLb0EEEEDaS11_S12_EUlS11_E_NS1_11comp_targetILNS1_3genE9ELNS1_11target_archE1100ELNS1_3gpuE3ELNS1_3repE0EEENS1_30default_config_static_selectorELNS0_4arch9wavefront6targetE0EEEvT1_,comdat
.Lfunc_end1046:
	.size	_ZN7rocprim17ROCPRIM_400000_NS6detail17trampoline_kernelINS0_14default_configENS1_29reduce_by_key_config_selectorIjiN6thrust23THRUST_200600_302600_NS4plusIiEEEEZZNS1_33reduce_by_key_impl_wrapped_configILNS1_25lookback_scan_determinismE0ES3_S9_NS6_6detail15normal_iteratorINS6_10device_ptrIjEEEENSD_INSE_IiEEEENS6_16discard_iteratorINS6_11use_defaultEEESI_PmS8_NS6_8equal_toIjEEEE10hipError_tPvRmT2_T3_mT4_T5_T6_T7_T8_P12ihipStream_tbENKUlT_T0_E_clISt17integral_constantIbLb1EES15_IbLb0EEEEDaS11_S12_EUlS11_E_NS1_11comp_targetILNS1_3genE9ELNS1_11target_archE1100ELNS1_3gpuE3ELNS1_3repE0EEENS1_30default_config_static_selectorELNS0_4arch9wavefront6targetE0EEEvT1_, .Lfunc_end1046-_ZN7rocprim17ROCPRIM_400000_NS6detail17trampoline_kernelINS0_14default_configENS1_29reduce_by_key_config_selectorIjiN6thrust23THRUST_200600_302600_NS4plusIiEEEEZZNS1_33reduce_by_key_impl_wrapped_configILNS1_25lookback_scan_determinismE0ES3_S9_NS6_6detail15normal_iteratorINS6_10device_ptrIjEEEENSD_INSE_IiEEEENS6_16discard_iteratorINS6_11use_defaultEEESI_PmS8_NS6_8equal_toIjEEEE10hipError_tPvRmT2_T3_mT4_T5_T6_T7_T8_P12ihipStream_tbENKUlT_T0_E_clISt17integral_constantIbLb1EES15_IbLb0EEEEDaS11_S12_EUlS11_E_NS1_11comp_targetILNS1_3genE9ELNS1_11target_archE1100ELNS1_3gpuE3ELNS1_3repE0EEENS1_30default_config_static_selectorELNS0_4arch9wavefront6targetE0EEEvT1_
                                        ; -- End function
	.section	.AMDGPU.csdata,"",@progbits
; Kernel info:
; codeLenInByte = 15612
; NumSgprs: 46
; NumVgprs: 85
; ScratchSize: 0
; MemoryBound: 0
; FloatMode: 240
; IeeeMode: 1
; LDSByteSize: 15360 bytes/workgroup (compile time only)
; SGPRBlocks: 5
; VGPRBlocks: 10
; NumSGPRsForWavesPerEU: 46
; NumVGPRsForWavesPerEU: 85
; Occupancy: 16
; WaveLimiterHint : 1
; COMPUTE_PGM_RSRC2:SCRATCH_EN: 0
; COMPUTE_PGM_RSRC2:USER_SGPR: 15
; COMPUTE_PGM_RSRC2:TRAP_HANDLER: 0
; COMPUTE_PGM_RSRC2:TGID_X_EN: 1
; COMPUTE_PGM_RSRC2:TGID_Y_EN: 0
; COMPUTE_PGM_RSRC2:TGID_Z_EN: 0
; COMPUTE_PGM_RSRC2:TIDIG_COMP_CNT: 0
	.section	.text._ZN7rocprim17ROCPRIM_400000_NS6detail17trampoline_kernelINS0_14default_configENS1_29reduce_by_key_config_selectorIjiN6thrust23THRUST_200600_302600_NS4plusIiEEEEZZNS1_33reduce_by_key_impl_wrapped_configILNS1_25lookback_scan_determinismE0ES3_S9_NS6_6detail15normal_iteratorINS6_10device_ptrIjEEEENSD_INSE_IiEEEENS6_16discard_iteratorINS6_11use_defaultEEESI_PmS8_NS6_8equal_toIjEEEE10hipError_tPvRmT2_T3_mT4_T5_T6_T7_T8_P12ihipStream_tbENKUlT_T0_E_clISt17integral_constantIbLb1EES15_IbLb0EEEEDaS11_S12_EUlS11_E_NS1_11comp_targetILNS1_3genE8ELNS1_11target_archE1030ELNS1_3gpuE2ELNS1_3repE0EEENS1_30default_config_static_selectorELNS0_4arch9wavefront6targetE0EEEvT1_,"axG",@progbits,_ZN7rocprim17ROCPRIM_400000_NS6detail17trampoline_kernelINS0_14default_configENS1_29reduce_by_key_config_selectorIjiN6thrust23THRUST_200600_302600_NS4plusIiEEEEZZNS1_33reduce_by_key_impl_wrapped_configILNS1_25lookback_scan_determinismE0ES3_S9_NS6_6detail15normal_iteratorINS6_10device_ptrIjEEEENSD_INSE_IiEEEENS6_16discard_iteratorINS6_11use_defaultEEESI_PmS8_NS6_8equal_toIjEEEE10hipError_tPvRmT2_T3_mT4_T5_T6_T7_T8_P12ihipStream_tbENKUlT_T0_E_clISt17integral_constantIbLb1EES15_IbLb0EEEEDaS11_S12_EUlS11_E_NS1_11comp_targetILNS1_3genE8ELNS1_11target_archE1030ELNS1_3gpuE2ELNS1_3repE0EEENS1_30default_config_static_selectorELNS0_4arch9wavefront6targetE0EEEvT1_,comdat
	.protected	_ZN7rocprim17ROCPRIM_400000_NS6detail17trampoline_kernelINS0_14default_configENS1_29reduce_by_key_config_selectorIjiN6thrust23THRUST_200600_302600_NS4plusIiEEEEZZNS1_33reduce_by_key_impl_wrapped_configILNS1_25lookback_scan_determinismE0ES3_S9_NS6_6detail15normal_iteratorINS6_10device_ptrIjEEEENSD_INSE_IiEEEENS6_16discard_iteratorINS6_11use_defaultEEESI_PmS8_NS6_8equal_toIjEEEE10hipError_tPvRmT2_T3_mT4_T5_T6_T7_T8_P12ihipStream_tbENKUlT_T0_E_clISt17integral_constantIbLb1EES15_IbLb0EEEEDaS11_S12_EUlS11_E_NS1_11comp_targetILNS1_3genE8ELNS1_11target_archE1030ELNS1_3gpuE2ELNS1_3repE0EEENS1_30default_config_static_selectorELNS0_4arch9wavefront6targetE0EEEvT1_ ; -- Begin function _ZN7rocprim17ROCPRIM_400000_NS6detail17trampoline_kernelINS0_14default_configENS1_29reduce_by_key_config_selectorIjiN6thrust23THRUST_200600_302600_NS4plusIiEEEEZZNS1_33reduce_by_key_impl_wrapped_configILNS1_25lookback_scan_determinismE0ES3_S9_NS6_6detail15normal_iteratorINS6_10device_ptrIjEEEENSD_INSE_IiEEEENS6_16discard_iteratorINS6_11use_defaultEEESI_PmS8_NS6_8equal_toIjEEEE10hipError_tPvRmT2_T3_mT4_T5_T6_T7_T8_P12ihipStream_tbENKUlT_T0_E_clISt17integral_constantIbLb1EES15_IbLb0EEEEDaS11_S12_EUlS11_E_NS1_11comp_targetILNS1_3genE8ELNS1_11target_archE1030ELNS1_3gpuE2ELNS1_3repE0EEENS1_30default_config_static_selectorELNS0_4arch9wavefront6targetE0EEEvT1_
	.globl	_ZN7rocprim17ROCPRIM_400000_NS6detail17trampoline_kernelINS0_14default_configENS1_29reduce_by_key_config_selectorIjiN6thrust23THRUST_200600_302600_NS4plusIiEEEEZZNS1_33reduce_by_key_impl_wrapped_configILNS1_25lookback_scan_determinismE0ES3_S9_NS6_6detail15normal_iteratorINS6_10device_ptrIjEEEENSD_INSE_IiEEEENS6_16discard_iteratorINS6_11use_defaultEEESI_PmS8_NS6_8equal_toIjEEEE10hipError_tPvRmT2_T3_mT4_T5_T6_T7_T8_P12ihipStream_tbENKUlT_T0_E_clISt17integral_constantIbLb1EES15_IbLb0EEEEDaS11_S12_EUlS11_E_NS1_11comp_targetILNS1_3genE8ELNS1_11target_archE1030ELNS1_3gpuE2ELNS1_3repE0EEENS1_30default_config_static_selectorELNS0_4arch9wavefront6targetE0EEEvT1_
	.p2align	8
	.type	_ZN7rocprim17ROCPRIM_400000_NS6detail17trampoline_kernelINS0_14default_configENS1_29reduce_by_key_config_selectorIjiN6thrust23THRUST_200600_302600_NS4plusIiEEEEZZNS1_33reduce_by_key_impl_wrapped_configILNS1_25lookback_scan_determinismE0ES3_S9_NS6_6detail15normal_iteratorINS6_10device_ptrIjEEEENSD_INSE_IiEEEENS6_16discard_iteratorINS6_11use_defaultEEESI_PmS8_NS6_8equal_toIjEEEE10hipError_tPvRmT2_T3_mT4_T5_T6_T7_T8_P12ihipStream_tbENKUlT_T0_E_clISt17integral_constantIbLb1EES15_IbLb0EEEEDaS11_S12_EUlS11_E_NS1_11comp_targetILNS1_3genE8ELNS1_11target_archE1030ELNS1_3gpuE2ELNS1_3repE0EEENS1_30default_config_static_selectorELNS0_4arch9wavefront6targetE0EEEvT1_,@function
_ZN7rocprim17ROCPRIM_400000_NS6detail17trampoline_kernelINS0_14default_configENS1_29reduce_by_key_config_selectorIjiN6thrust23THRUST_200600_302600_NS4plusIiEEEEZZNS1_33reduce_by_key_impl_wrapped_configILNS1_25lookback_scan_determinismE0ES3_S9_NS6_6detail15normal_iteratorINS6_10device_ptrIjEEEENSD_INSE_IiEEEENS6_16discard_iteratorINS6_11use_defaultEEESI_PmS8_NS6_8equal_toIjEEEE10hipError_tPvRmT2_T3_mT4_T5_T6_T7_T8_P12ihipStream_tbENKUlT_T0_E_clISt17integral_constantIbLb1EES15_IbLb0EEEEDaS11_S12_EUlS11_E_NS1_11comp_targetILNS1_3genE8ELNS1_11target_archE1030ELNS1_3gpuE2ELNS1_3repE0EEENS1_30default_config_static_selectorELNS0_4arch9wavefront6targetE0EEEvT1_: ; @_ZN7rocprim17ROCPRIM_400000_NS6detail17trampoline_kernelINS0_14default_configENS1_29reduce_by_key_config_selectorIjiN6thrust23THRUST_200600_302600_NS4plusIiEEEEZZNS1_33reduce_by_key_impl_wrapped_configILNS1_25lookback_scan_determinismE0ES3_S9_NS6_6detail15normal_iteratorINS6_10device_ptrIjEEEENSD_INSE_IiEEEENS6_16discard_iteratorINS6_11use_defaultEEESI_PmS8_NS6_8equal_toIjEEEE10hipError_tPvRmT2_T3_mT4_T5_T6_T7_T8_P12ihipStream_tbENKUlT_T0_E_clISt17integral_constantIbLb1EES15_IbLb0EEEEDaS11_S12_EUlS11_E_NS1_11comp_targetILNS1_3genE8ELNS1_11target_archE1030ELNS1_3gpuE2ELNS1_3repE0EEENS1_30default_config_static_selectorELNS0_4arch9wavefront6targetE0EEEvT1_
; %bb.0:
	.section	.rodata,"a",@progbits
	.p2align	6, 0x0
	.amdhsa_kernel _ZN7rocprim17ROCPRIM_400000_NS6detail17trampoline_kernelINS0_14default_configENS1_29reduce_by_key_config_selectorIjiN6thrust23THRUST_200600_302600_NS4plusIiEEEEZZNS1_33reduce_by_key_impl_wrapped_configILNS1_25lookback_scan_determinismE0ES3_S9_NS6_6detail15normal_iteratorINS6_10device_ptrIjEEEENSD_INSE_IiEEEENS6_16discard_iteratorINS6_11use_defaultEEESI_PmS8_NS6_8equal_toIjEEEE10hipError_tPvRmT2_T3_mT4_T5_T6_T7_T8_P12ihipStream_tbENKUlT_T0_E_clISt17integral_constantIbLb1EES15_IbLb0EEEEDaS11_S12_EUlS11_E_NS1_11comp_targetILNS1_3genE8ELNS1_11target_archE1030ELNS1_3gpuE2ELNS1_3repE0EEENS1_30default_config_static_selectorELNS0_4arch9wavefront6targetE0EEEvT1_
		.amdhsa_group_segment_fixed_size 0
		.amdhsa_private_segment_fixed_size 0
		.amdhsa_kernarg_size 128
		.amdhsa_user_sgpr_count 15
		.amdhsa_user_sgpr_dispatch_ptr 0
		.amdhsa_user_sgpr_queue_ptr 0
		.amdhsa_user_sgpr_kernarg_segment_ptr 1
		.amdhsa_user_sgpr_dispatch_id 0
		.amdhsa_user_sgpr_private_segment_size 0
		.amdhsa_wavefront_size32 1
		.amdhsa_uses_dynamic_stack 0
		.amdhsa_enable_private_segment 0
		.amdhsa_system_sgpr_workgroup_id_x 1
		.amdhsa_system_sgpr_workgroup_id_y 0
		.amdhsa_system_sgpr_workgroup_id_z 0
		.amdhsa_system_sgpr_workgroup_info 0
		.amdhsa_system_vgpr_workitem_id 0
		.amdhsa_next_free_vgpr 1
		.amdhsa_next_free_sgpr 1
		.amdhsa_reserve_vcc 0
		.amdhsa_float_round_mode_32 0
		.amdhsa_float_round_mode_16_64 0
		.amdhsa_float_denorm_mode_32 3
		.amdhsa_float_denorm_mode_16_64 3
		.amdhsa_dx10_clamp 1
		.amdhsa_ieee_mode 1
		.amdhsa_fp16_overflow 0
		.amdhsa_workgroup_processor_mode 1
		.amdhsa_memory_ordered 1
		.amdhsa_forward_progress 0
		.amdhsa_shared_vgpr_count 0
		.amdhsa_exception_fp_ieee_invalid_op 0
		.amdhsa_exception_fp_denorm_src 0
		.amdhsa_exception_fp_ieee_div_zero 0
		.amdhsa_exception_fp_ieee_overflow 0
		.amdhsa_exception_fp_ieee_underflow 0
		.amdhsa_exception_fp_ieee_inexact 0
		.amdhsa_exception_int_div_zero 0
	.end_amdhsa_kernel
	.section	.text._ZN7rocprim17ROCPRIM_400000_NS6detail17trampoline_kernelINS0_14default_configENS1_29reduce_by_key_config_selectorIjiN6thrust23THRUST_200600_302600_NS4plusIiEEEEZZNS1_33reduce_by_key_impl_wrapped_configILNS1_25lookback_scan_determinismE0ES3_S9_NS6_6detail15normal_iteratorINS6_10device_ptrIjEEEENSD_INSE_IiEEEENS6_16discard_iteratorINS6_11use_defaultEEESI_PmS8_NS6_8equal_toIjEEEE10hipError_tPvRmT2_T3_mT4_T5_T6_T7_T8_P12ihipStream_tbENKUlT_T0_E_clISt17integral_constantIbLb1EES15_IbLb0EEEEDaS11_S12_EUlS11_E_NS1_11comp_targetILNS1_3genE8ELNS1_11target_archE1030ELNS1_3gpuE2ELNS1_3repE0EEENS1_30default_config_static_selectorELNS0_4arch9wavefront6targetE0EEEvT1_,"axG",@progbits,_ZN7rocprim17ROCPRIM_400000_NS6detail17trampoline_kernelINS0_14default_configENS1_29reduce_by_key_config_selectorIjiN6thrust23THRUST_200600_302600_NS4plusIiEEEEZZNS1_33reduce_by_key_impl_wrapped_configILNS1_25lookback_scan_determinismE0ES3_S9_NS6_6detail15normal_iteratorINS6_10device_ptrIjEEEENSD_INSE_IiEEEENS6_16discard_iteratorINS6_11use_defaultEEESI_PmS8_NS6_8equal_toIjEEEE10hipError_tPvRmT2_T3_mT4_T5_T6_T7_T8_P12ihipStream_tbENKUlT_T0_E_clISt17integral_constantIbLb1EES15_IbLb0EEEEDaS11_S12_EUlS11_E_NS1_11comp_targetILNS1_3genE8ELNS1_11target_archE1030ELNS1_3gpuE2ELNS1_3repE0EEENS1_30default_config_static_selectorELNS0_4arch9wavefront6targetE0EEEvT1_,comdat
.Lfunc_end1047:
	.size	_ZN7rocprim17ROCPRIM_400000_NS6detail17trampoline_kernelINS0_14default_configENS1_29reduce_by_key_config_selectorIjiN6thrust23THRUST_200600_302600_NS4plusIiEEEEZZNS1_33reduce_by_key_impl_wrapped_configILNS1_25lookback_scan_determinismE0ES3_S9_NS6_6detail15normal_iteratorINS6_10device_ptrIjEEEENSD_INSE_IiEEEENS6_16discard_iteratorINS6_11use_defaultEEESI_PmS8_NS6_8equal_toIjEEEE10hipError_tPvRmT2_T3_mT4_T5_T6_T7_T8_P12ihipStream_tbENKUlT_T0_E_clISt17integral_constantIbLb1EES15_IbLb0EEEEDaS11_S12_EUlS11_E_NS1_11comp_targetILNS1_3genE8ELNS1_11target_archE1030ELNS1_3gpuE2ELNS1_3repE0EEENS1_30default_config_static_selectorELNS0_4arch9wavefront6targetE0EEEvT1_, .Lfunc_end1047-_ZN7rocprim17ROCPRIM_400000_NS6detail17trampoline_kernelINS0_14default_configENS1_29reduce_by_key_config_selectorIjiN6thrust23THRUST_200600_302600_NS4plusIiEEEEZZNS1_33reduce_by_key_impl_wrapped_configILNS1_25lookback_scan_determinismE0ES3_S9_NS6_6detail15normal_iteratorINS6_10device_ptrIjEEEENSD_INSE_IiEEEENS6_16discard_iteratorINS6_11use_defaultEEESI_PmS8_NS6_8equal_toIjEEEE10hipError_tPvRmT2_T3_mT4_T5_T6_T7_T8_P12ihipStream_tbENKUlT_T0_E_clISt17integral_constantIbLb1EES15_IbLb0EEEEDaS11_S12_EUlS11_E_NS1_11comp_targetILNS1_3genE8ELNS1_11target_archE1030ELNS1_3gpuE2ELNS1_3repE0EEENS1_30default_config_static_selectorELNS0_4arch9wavefront6targetE0EEEvT1_
                                        ; -- End function
	.section	.AMDGPU.csdata,"",@progbits
; Kernel info:
; codeLenInByte = 0
; NumSgprs: 0
; NumVgprs: 0
; ScratchSize: 0
; MemoryBound: 0
; FloatMode: 240
; IeeeMode: 1
; LDSByteSize: 0 bytes/workgroup (compile time only)
; SGPRBlocks: 0
; VGPRBlocks: 0
; NumSGPRsForWavesPerEU: 1
; NumVGPRsForWavesPerEU: 1
; Occupancy: 16
; WaveLimiterHint : 0
; COMPUTE_PGM_RSRC2:SCRATCH_EN: 0
; COMPUTE_PGM_RSRC2:USER_SGPR: 15
; COMPUTE_PGM_RSRC2:TRAP_HANDLER: 0
; COMPUTE_PGM_RSRC2:TGID_X_EN: 1
; COMPUTE_PGM_RSRC2:TGID_Y_EN: 0
; COMPUTE_PGM_RSRC2:TGID_Z_EN: 0
; COMPUTE_PGM_RSRC2:TIDIG_COMP_CNT: 0
	.section	.text._ZN7rocprim17ROCPRIM_400000_NS6detail17trampoline_kernelINS0_14default_configENS1_29reduce_by_key_config_selectorIjiN6thrust23THRUST_200600_302600_NS4plusIiEEEEZZNS1_33reduce_by_key_impl_wrapped_configILNS1_25lookback_scan_determinismE0ES3_S9_NS6_6detail15normal_iteratorINS6_10device_ptrIjEEEENSD_INSE_IiEEEENS6_16discard_iteratorINS6_11use_defaultEEESI_PmS8_NS6_8equal_toIjEEEE10hipError_tPvRmT2_T3_mT4_T5_T6_T7_T8_P12ihipStream_tbENKUlT_T0_E_clISt17integral_constantIbLb0EES15_IbLb1EEEEDaS11_S12_EUlS11_E_NS1_11comp_targetILNS1_3genE0ELNS1_11target_archE4294967295ELNS1_3gpuE0ELNS1_3repE0EEENS1_30default_config_static_selectorELNS0_4arch9wavefront6targetE0EEEvT1_,"axG",@progbits,_ZN7rocprim17ROCPRIM_400000_NS6detail17trampoline_kernelINS0_14default_configENS1_29reduce_by_key_config_selectorIjiN6thrust23THRUST_200600_302600_NS4plusIiEEEEZZNS1_33reduce_by_key_impl_wrapped_configILNS1_25lookback_scan_determinismE0ES3_S9_NS6_6detail15normal_iteratorINS6_10device_ptrIjEEEENSD_INSE_IiEEEENS6_16discard_iteratorINS6_11use_defaultEEESI_PmS8_NS6_8equal_toIjEEEE10hipError_tPvRmT2_T3_mT4_T5_T6_T7_T8_P12ihipStream_tbENKUlT_T0_E_clISt17integral_constantIbLb0EES15_IbLb1EEEEDaS11_S12_EUlS11_E_NS1_11comp_targetILNS1_3genE0ELNS1_11target_archE4294967295ELNS1_3gpuE0ELNS1_3repE0EEENS1_30default_config_static_selectorELNS0_4arch9wavefront6targetE0EEEvT1_,comdat
	.protected	_ZN7rocprim17ROCPRIM_400000_NS6detail17trampoline_kernelINS0_14default_configENS1_29reduce_by_key_config_selectorIjiN6thrust23THRUST_200600_302600_NS4plusIiEEEEZZNS1_33reduce_by_key_impl_wrapped_configILNS1_25lookback_scan_determinismE0ES3_S9_NS6_6detail15normal_iteratorINS6_10device_ptrIjEEEENSD_INSE_IiEEEENS6_16discard_iteratorINS6_11use_defaultEEESI_PmS8_NS6_8equal_toIjEEEE10hipError_tPvRmT2_T3_mT4_T5_T6_T7_T8_P12ihipStream_tbENKUlT_T0_E_clISt17integral_constantIbLb0EES15_IbLb1EEEEDaS11_S12_EUlS11_E_NS1_11comp_targetILNS1_3genE0ELNS1_11target_archE4294967295ELNS1_3gpuE0ELNS1_3repE0EEENS1_30default_config_static_selectorELNS0_4arch9wavefront6targetE0EEEvT1_ ; -- Begin function _ZN7rocprim17ROCPRIM_400000_NS6detail17trampoline_kernelINS0_14default_configENS1_29reduce_by_key_config_selectorIjiN6thrust23THRUST_200600_302600_NS4plusIiEEEEZZNS1_33reduce_by_key_impl_wrapped_configILNS1_25lookback_scan_determinismE0ES3_S9_NS6_6detail15normal_iteratorINS6_10device_ptrIjEEEENSD_INSE_IiEEEENS6_16discard_iteratorINS6_11use_defaultEEESI_PmS8_NS6_8equal_toIjEEEE10hipError_tPvRmT2_T3_mT4_T5_T6_T7_T8_P12ihipStream_tbENKUlT_T0_E_clISt17integral_constantIbLb0EES15_IbLb1EEEEDaS11_S12_EUlS11_E_NS1_11comp_targetILNS1_3genE0ELNS1_11target_archE4294967295ELNS1_3gpuE0ELNS1_3repE0EEENS1_30default_config_static_selectorELNS0_4arch9wavefront6targetE0EEEvT1_
	.globl	_ZN7rocprim17ROCPRIM_400000_NS6detail17trampoline_kernelINS0_14default_configENS1_29reduce_by_key_config_selectorIjiN6thrust23THRUST_200600_302600_NS4plusIiEEEEZZNS1_33reduce_by_key_impl_wrapped_configILNS1_25lookback_scan_determinismE0ES3_S9_NS6_6detail15normal_iteratorINS6_10device_ptrIjEEEENSD_INSE_IiEEEENS6_16discard_iteratorINS6_11use_defaultEEESI_PmS8_NS6_8equal_toIjEEEE10hipError_tPvRmT2_T3_mT4_T5_T6_T7_T8_P12ihipStream_tbENKUlT_T0_E_clISt17integral_constantIbLb0EES15_IbLb1EEEEDaS11_S12_EUlS11_E_NS1_11comp_targetILNS1_3genE0ELNS1_11target_archE4294967295ELNS1_3gpuE0ELNS1_3repE0EEENS1_30default_config_static_selectorELNS0_4arch9wavefront6targetE0EEEvT1_
	.p2align	8
	.type	_ZN7rocprim17ROCPRIM_400000_NS6detail17trampoline_kernelINS0_14default_configENS1_29reduce_by_key_config_selectorIjiN6thrust23THRUST_200600_302600_NS4plusIiEEEEZZNS1_33reduce_by_key_impl_wrapped_configILNS1_25lookback_scan_determinismE0ES3_S9_NS6_6detail15normal_iteratorINS6_10device_ptrIjEEEENSD_INSE_IiEEEENS6_16discard_iteratorINS6_11use_defaultEEESI_PmS8_NS6_8equal_toIjEEEE10hipError_tPvRmT2_T3_mT4_T5_T6_T7_T8_P12ihipStream_tbENKUlT_T0_E_clISt17integral_constantIbLb0EES15_IbLb1EEEEDaS11_S12_EUlS11_E_NS1_11comp_targetILNS1_3genE0ELNS1_11target_archE4294967295ELNS1_3gpuE0ELNS1_3repE0EEENS1_30default_config_static_selectorELNS0_4arch9wavefront6targetE0EEEvT1_,@function
_ZN7rocprim17ROCPRIM_400000_NS6detail17trampoline_kernelINS0_14default_configENS1_29reduce_by_key_config_selectorIjiN6thrust23THRUST_200600_302600_NS4plusIiEEEEZZNS1_33reduce_by_key_impl_wrapped_configILNS1_25lookback_scan_determinismE0ES3_S9_NS6_6detail15normal_iteratorINS6_10device_ptrIjEEEENSD_INSE_IiEEEENS6_16discard_iteratorINS6_11use_defaultEEESI_PmS8_NS6_8equal_toIjEEEE10hipError_tPvRmT2_T3_mT4_T5_T6_T7_T8_P12ihipStream_tbENKUlT_T0_E_clISt17integral_constantIbLb0EES15_IbLb1EEEEDaS11_S12_EUlS11_E_NS1_11comp_targetILNS1_3genE0ELNS1_11target_archE4294967295ELNS1_3gpuE0ELNS1_3repE0EEENS1_30default_config_static_selectorELNS0_4arch9wavefront6targetE0EEEvT1_: ; @_ZN7rocprim17ROCPRIM_400000_NS6detail17trampoline_kernelINS0_14default_configENS1_29reduce_by_key_config_selectorIjiN6thrust23THRUST_200600_302600_NS4plusIiEEEEZZNS1_33reduce_by_key_impl_wrapped_configILNS1_25lookback_scan_determinismE0ES3_S9_NS6_6detail15normal_iteratorINS6_10device_ptrIjEEEENSD_INSE_IiEEEENS6_16discard_iteratorINS6_11use_defaultEEESI_PmS8_NS6_8equal_toIjEEEE10hipError_tPvRmT2_T3_mT4_T5_T6_T7_T8_P12ihipStream_tbENKUlT_T0_E_clISt17integral_constantIbLb0EES15_IbLb1EEEEDaS11_S12_EUlS11_E_NS1_11comp_targetILNS1_3genE0ELNS1_11target_archE4294967295ELNS1_3gpuE0ELNS1_3repE0EEENS1_30default_config_static_selectorELNS0_4arch9wavefront6targetE0EEEvT1_
; %bb.0:
	.section	.rodata,"a",@progbits
	.p2align	6, 0x0
	.amdhsa_kernel _ZN7rocprim17ROCPRIM_400000_NS6detail17trampoline_kernelINS0_14default_configENS1_29reduce_by_key_config_selectorIjiN6thrust23THRUST_200600_302600_NS4plusIiEEEEZZNS1_33reduce_by_key_impl_wrapped_configILNS1_25lookback_scan_determinismE0ES3_S9_NS6_6detail15normal_iteratorINS6_10device_ptrIjEEEENSD_INSE_IiEEEENS6_16discard_iteratorINS6_11use_defaultEEESI_PmS8_NS6_8equal_toIjEEEE10hipError_tPvRmT2_T3_mT4_T5_T6_T7_T8_P12ihipStream_tbENKUlT_T0_E_clISt17integral_constantIbLb0EES15_IbLb1EEEEDaS11_S12_EUlS11_E_NS1_11comp_targetILNS1_3genE0ELNS1_11target_archE4294967295ELNS1_3gpuE0ELNS1_3repE0EEENS1_30default_config_static_selectorELNS0_4arch9wavefront6targetE0EEEvT1_
		.amdhsa_group_segment_fixed_size 0
		.amdhsa_private_segment_fixed_size 0
		.amdhsa_kernarg_size 128
		.amdhsa_user_sgpr_count 15
		.amdhsa_user_sgpr_dispatch_ptr 0
		.amdhsa_user_sgpr_queue_ptr 0
		.amdhsa_user_sgpr_kernarg_segment_ptr 1
		.amdhsa_user_sgpr_dispatch_id 0
		.amdhsa_user_sgpr_private_segment_size 0
		.amdhsa_wavefront_size32 1
		.amdhsa_uses_dynamic_stack 0
		.amdhsa_enable_private_segment 0
		.amdhsa_system_sgpr_workgroup_id_x 1
		.amdhsa_system_sgpr_workgroup_id_y 0
		.amdhsa_system_sgpr_workgroup_id_z 0
		.amdhsa_system_sgpr_workgroup_info 0
		.amdhsa_system_vgpr_workitem_id 0
		.amdhsa_next_free_vgpr 1
		.amdhsa_next_free_sgpr 1
		.amdhsa_reserve_vcc 0
		.amdhsa_float_round_mode_32 0
		.amdhsa_float_round_mode_16_64 0
		.amdhsa_float_denorm_mode_32 3
		.amdhsa_float_denorm_mode_16_64 3
		.amdhsa_dx10_clamp 1
		.amdhsa_ieee_mode 1
		.amdhsa_fp16_overflow 0
		.amdhsa_workgroup_processor_mode 1
		.amdhsa_memory_ordered 1
		.amdhsa_forward_progress 0
		.amdhsa_shared_vgpr_count 0
		.amdhsa_exception_fp_ieee_invalid_op 0
		.amdhsa_exception_fp_denorm_src 0
		.amdhsa_exception_fp_ieee_div_zero 0
		.amdhsa_exception_fp_ieee_overflow 0
		.amdhsa_exception_fp_ieee_underflow 0
		.amdhsa_exception_fp_ieee_inexact 0
		.amdhsa_exception_int_div_zero 0
	.end_amdhsa_kernel
	.section	.text._ZN7rocprim17ROCPRIM_400000_NS6detail17trampoline_kernelINS0_14default_configENS1_29reduce_by_key_config_selectorIjiN6thrust23THRUST_200600_302600_NS4plusIiEEEEZZNS1_33reduce_by_key_impl_wrapped_configILNS1_25lookback_scan_determinismE0ES3_S9_NS6_6detail15normal_iteratorINS6_10device_ptrIjEEEENSD_INSE_IiEEEENS6_16discard_iteratorINS6_11use_defaultEEESI_PmS8_NS6_8equal_toIjEEEE10hipError_tPvRmT2_T3_mT4_T5_T6_T7_T8_P12ihipStream_tbENKUlT_T0_E_clISt17integral_constantIbLb0EES15_IbLb1EEEEDaS11_S12_EUlS11_E_NS1_11comp_targetILNS1_3genE0ELNS1_11target_archE4294967295ELNS1_3gpuE0ELNS1_3repE0EEENS1_30default_config_static_selectorELNS0_4arch9wavefront6targetE0EEEvT1_,"axG",@progbits,_ZN7rocprim17ROCPRIM_400000_NS6detail17trampoline_kernelINS0_14default_configENS1_29reduce_by_key_config_selectorIjiN6thrust23THRUST_200600_302600_NS4plusIiEEEEZZNS1_33reduce_by_key_impl_wrapped_configILNS1_25lookback_scan_determinismE0ES3_S9_NS6_6detail15normal_iteratorINS6_10device_ptrIjEEEENSD_INSE_IiEEEENS6_16discard_iteratorINS6_11use_defaultEEESI_PmS8_NS6_8equal_toIjEEEE10hipError_tPvRmT2_T3_mT4_T5_T6_T7_T8_P12ihipStream_tbENKUlT_T0_E_clISt17integral_constantIbLb0EES15_IbLb1EEEEDaS11_S12_EUlS11_E_NS1_11comp_targetILNS1_3genE0ELNS1_11target_archE4294967295ELNS1_3gpuE0ELNS1_3repE0EEENS1_30default_config_static_selectorELNS0_4arch9wavefront6targetE0EEEvT1_,comdat
.Lfunc_end1048:
	.size	_ZN7rocprim17ROCPRIM_400000_NS6detail17trampoline_kernelINS0_14default_configENS1_29reduce_by_key_config_selectorIjiN6thrust23THRUST_200600_302600_NS4plusIiEEEEZZNS1_33reduce_by_key_impl_wrapped_configILNS1_25lookback_scan_determinismE0ES3_S9_NS6_6detail15normal_iteratorINS6_10device_ptrIjEEEENSD_INSE_IiEEEENS6_16discard_iteratorINS6_11use_defaultEEESI_PmS8_NS6_8equal_toIjEEEE10hipError_tPvRmT2_T3_mT4_T5_T6_T7_T8_P12ihipStream_tbENKUlT_T0_E_clISt17integral_constantIbLb0EES15_IbLb1EEEEDaS11_S12_EUlS11_E_NS1_11comp_targetILNS1_3genE0ELNS1_11target_archE4294967295ELNS1_3gpuE0ELNS1_3repE0EEENS1_30default_config_static_selectorELNS0_4arch9wavefront6targetE0EEEvT1_, .Lfunc_end1048-_ZN7rocprim17ROCPRIM_400000_NS6detail17trampoline_kernelINS0_14default_configENS1_29reduce_by_key_config_selectorIjiN6thrust23THRUST_200600_302600_NS4plusIiEEEEZZNS1_33reduce_by_key_impl_wrapped_configILNS1_25lookback_scan_determinismE0ES3_S9_NS6_6detail15normal_iteratorINS6_10device_ptrIjEEEENSD_INSE_IiEEEENS6_16discard_iteratorINS6_11use_defaultEEESI_PmS8_NS6_8equal_toIjEEEE10hipError_tPvRmT2_T3_mT4_T5_T6_T7_T8_P12ihipStream_tbENKUlT_T0_E_clISt17integral_constantIbLb0EES15_IbLb1EEEEDaS11_S12_EUlS11_E_NS1_11comp_targetILNS1_3genE0ELNS1_11target_archE4294967295ELNS1_3gpuE0ELNS1_3repE0EEENS1_30default_config_static_selectorELNS0_4arch9wavefront6targetE0EEEvT1_
                                        ; -- End function
	.section	.AMDGPU.csdata,"",@progbits
; Kernel info:
; codeLenInByte = 0
; NumSgprs: 0
; NumVgprs: 0
; ScratchSize: 0
; MemoryBound: 0
; FloatMode: 240
; IeeeMode: 1
; LDSByteSize: 0 bytes/workgroup (compile time only)
; SGPRBlocks: 0
; VGPRBlocks: 0
; NumSGPRsForWavesPerEU: 1
; NumVGPRsForWavesPerEU: 1
; Occupancy: 16
; WaveLimiterHint : 0
; COMPUTE_PGM_RSRC2:SCRATCH_EN: 0
; COMPUTE_PGM_RSRC2:USER_SGPR: 15
; COMPUTE_PGM_RSRC2:TRAP_HANDLER: 0
; COMPUTE_PGM_RSRC2:TGID_X_EN: 1
; COMPUTE_PGM_RSRC2:TGID_Y_EN: 0
; COMPUTE_PGM_RSRC2:TGID_Z_EN: 0
; COMPUTE_PGM_RSRC2:TIDIG_COMP_CNT: 0
	.section	.text._ZN7rocprim17ROCPRIM_400000_NS6detail17trampoline_kernelINS0_14default_configENS1_29reduce_by_key_config_selectorIjiN6thrust23THRUST_200600_302600_NS4plusIiEEEEZZNS1_33reduce_by_key_impl_wrapped_configILNS1_25lookback_scan_determinismE0ES3_S9_NS6_6detail15normal_iteratorINS6_10device_ptrIjEEEENSD_INSE_IiEEEENS6_16discard_iteratorINS6_11use_defaultEEESI_PmS8_NS6_8equal_toIjEEEE10hipError_tPvRmT2_T3_mT4_T5_T6_T7_T8_P12ihipStream_tbENKUlT_T0_E_clISt17integral_constantIbLb0EES15_IbLb1EEEEDaS11_S12_EUlS11_E_NS1_11comp_targetILNS1_3genE5ELNS1_11target_archE942ELNS1_3gpuE9ELNS1_3repE0EEENS1_30default_config_static_selectorELNS0_4arch9wavefront6targetE0EEEvT1_,"axG",@progbits,_ZN7rocprim17ROCPRIM_400000_NS6detail17trampoline_kernelINS0_14default_configENS1_29reduce_by_key_config_selectorIjiN6thrust23THRUST_200600_302600_NS4plusIiEEEEZZNS1_33reduce_by_key_impl_wrapped_configILNS1_25lookback_scan_determinismE0ES3_S9_NS6_6detail15normal_iteratorINS6_10device_ptrIjEEEENSD_INSE_IiEEEENS6_16discard_iteratorINS6_11use_defaultEEESI_PmS8_NS6_8equal_toIjEEEE10hipError_tPvRmT2_T3_mT4_T5_T6_T7_T8_P12ihipStream_tbENKUlT_T0_E_clISt17integral_constantIbLb0EES15_IbLb1EEEEDaS11_S12_EUlS11_E_NS1_11comp_targetILNS1_3genE5ELNS1_11target_archE942ELNS1_3gpuE9ELNS1_3repE0EEENS1_30default_config_static_selectorELNS0_4arch9wavefront6targetE0EEEvT1_,comdat
	.protected	_ZN7rocprim17ROCPRIM_400000_NS6detail17trampoline_kernelINS0_14default_configENS1_29reduce_by_key_config_selectorIjiN6thrust23THRUST_200600_302600_NS4plusIiEEEEZZNS1_33reduce_by_key_impl_wrapped_configILNS1_25lookback_scan_determinismE0ES3_S9_NS6_6detail15normal_iteratorINS6_10device_ptrIjEEEENSD_INSE_IiEEEENS6_16discard_iteratorINS6_11use_defaultEEESI_PmS8_NS6_8equal_toIjEEEE10hipError_tPvRmT2_T3_mT4_T5_T6_T7_T8_P12ihipStream_tbENKUlT_T0_E_clISt17integral_constantIbLb0EES15_IbLb1EEEEDaS11_S12_EUlS11_E_NS1_11comp_targetILNS1_3genE5ELNS1_11target_archE942ELNS1_3gpuE9ELNS1_3repE0EEENS1_30default_config_static_selectorELNS0_4arch9wavefront6targetE0EEEvT1_ ; -- Begin function _ZN7rocprim17ROCPRIM_400000_NS6detail17trampoline_kernelINS0_14default_configENS1_29reduce_by_key_config_selectorIjiN6thrust23THRUST_200600_302600_NS4plusIiEEEEZZNS1_33reduce_by_key_impl_wrapped_configILNS1_25lookback_scan_determinismE0ES3_S9_NS6_6detail15normal_iteratorINS6_10device_ptrIjEEEENSD_INSE_IiEEEENS6_16discard_iteratorINS6_11use_defaultEEESI_PmS8_NS6_8equal_toIjEEEE10hipError_tPvRmT2_T3_mT4_T5_T6_T7_T8_P12ihipStream_tbENKUlT_T0_E_clISt17integral_constantIbLb0EES15_IbLb1EEEEDaS11_S12_EUlS11_E_NS1_11comp_targetILNS1_3genE5ELNS1_11target_archE942ELNS1_3gpuE9ELNS1_3repE0EEENS1_30default_config_static_selectorELNS0_4arch9wavefront6targetE0EEEvT1_
	.globl	_ZN7rocprim17ROCPRIM_400000_NS6detail17trampoline_kernelINS0_14default_configENS1_29reduce_by_key_config_selectorIjiN6thrust23THRUST_200600_302600_NS4plusIiEEEEZZNS1_33reduce_by_key_impl_wrapped_configILNS1_25lookback_scan_determinismE0ES3_S9_NS6_6detail15normal_iteratorINS6_10device_ptrIjEEEENSD_INSE_IiEEEENS6_16discard_iteratorINS6_11use_defaultEEESI_PmS8_NS6_8equal_toIjEEEE10hipError_tPvRmT2_T3_mT4_T5_T6_T7_T8_P12ihipStream_tbENKUlT_T0_E_clISt17integral_constantIbLb0EES15_IbLb1EEEEDaS11_S12_EUlS11_E_NS1_11comp_targetILNS1_3genE5ELNS1_11target_archE942ELNS1_3gpuE9ELNS1_3repE0EEENS1_30default_config_static_selectorELNS0_4arch9wavefront6targetE0EEEvT1_
	.p2align	8
	.type	_ZN7rocprim17ROCPRIM_400000_NS6detail17trampoline_kernelINS0_14default_configENS1_29reduce_by_key_config_selectorIjiN6thrust23THRUST_200600_302600_NS4plusIiEEEEZZNS1_33reduce_by_key_impl_wrapped_configILNS1_25lookback_scan_determinismE0ES3_S9_NS6_6detail15normal_iteratorINS6_10device_ptrIjEEEENSD_INSE_IiEEEENS6_16discard_iteratorINS6_11use_defaultEEESI_PmS8_NS6_8equal_toIjEEEE10hipError_tPvRmT2_T3_mT4_T5_T6_T7_T8_P12ihipStream_tbENKUlT_T0_E_clISt17integral_constantIbLb0EES15_IbLb1EEEEDaS11_S12_EUlS11_E_NS1_11comp_targetILNS1_3genE5ELNS1_11target_archE942ELNS1_3gpuE9ELNS1_3repE0EEENS1_30default_config_static_selectorELNS0_4arch9wavefront6targetE0EEEvT1_,@function
_ZN7rocprim17ROCPRIM_400000_NS6detail17trampoline_kernelINS0_14default_configENS1_29reduce_by_key_config_selectorIjiN6thrust23THRUST_200600_302600_NS4plusIiEEEEZZNS1_33reduce_by_key_impl_wrapped_configILNS1_25lookback_scan_determinismE0ES3_S9_NS6_6detail15normal_iteratorINS6_10device_ptrIjEEEENSD_INSE_IiEEEENS6_16discard_iteratorINS6_11use_defaultEEESI_PmS8_NS6_8equal_toIjEEEE10hipError_tPvRmT2_T3_mT4_T5_T6_T7_T8_P12ihipStream_tbENKUlT_T0_E_clISt17integral_constantIbLb0EES15_IbLb1EEEEDaS11_S12_EUlS11_E_NS1_11comp_targetILNS1_3genE5ELNS1_11target_archE942ELNS1_3gpuE9ELNS1_3repE0EEENS1_30default_config_static_selectorELNS0_4arch9wavefront6targetE0EEEvT1_: ; @_ZN7rocprim17ROCPRIM_400000_NS6detail17trampoline_kernelINS0_14default_configENS1_29reduce_by_key_config_selectorIjiN6thrust23THRUST_200600_302600_NS4plusIiEEEEZZNS1_33reduce_by_key_impl_wrapped_configILNS1_25lookback_scan_determinismE0ES3_S9_NS6_6detail15normal_iteratorINS6_10device_ptrIjEEEENSD_INSE_IiEEEENS6_16discard_iteratorINS6_11use_defaultEEESI_PmS8_NS6_8equal_toIjEEEE10hipError_tPvRmT2_T3_mT4_T5_T6_T7_T8_P12ihipStream_tbENKUlT_T0_E_clISt17integral_constantIbLb0EES15_IbLb1EEEEDaS11_S12_EUlS11_E_NS1_11comp_targetILNS1_3genE5ELNS1_11target_archE942ELNS1_3gpuE9ELNS1_3repE0EEENS1_30default_config_static_selectorELNS0_4arch9wavefront6targetE0EEEvT1_
; %bb.0:
	.section	.rodata,"a",@progbits
	.p2align	6, 0x0
	.amdhsa_kernel _ZN7rocprim17ROCPRIM_400000_NS6detail17trampoline_kernelINS0_14default_configENS1_29reduce_by_key_config_selectorIjiN6thrust23THRUST_200600_302600_NS4plusIiEEEEZZNS1_33reduce_by_key_impl_wrapped_configILNS1_25lookback_scan_determinismE0ES3_S9_NS6_6detail15normal_iteratorINS6_10device_ptrIjEEEENSD_INSE_IiEEEENS6_16discard_iteratorINS6_11use_defaultEEESI_PmS8_NS6_8equal_toIjEEEE10hipError_tPvRmT2_T3_mT4_T5_T6_T7_T8_P12ihipStream_tbENKUlT_T0_E_clISt17integral_constantIbLb0EES15_IbLb1EEEEDaS11_S12_EUlS11_E_NS1_11comp_targetILNS1_3genE5ELNS1_11target_archE942ELNS1_3gpuE9ELNS1_3repE0EEENS1_30default_config_static_selectorELNS0_4arch9wavefront6targetE0EEEvT1_
		.amdhsa_group_segment_fixed_size 0
		.amdhsa_private_segment_fixed_size 0
		.amdhsa_kernarg_size 128
		.amdhsa_user_sgpr_count 15
		.amdhsa_user_sgpr_dispatch_ptr 0
		.amdhsa_user_sgpr_queue_ptr 0
		.amdhsa_user_sgpr_kernarg_segment_ptr 1
		.amdhsa_user_sgpr_dispatch_id 0
		.amdhsa_user_sgpr_private_segment_size 0
		.amdhsa_wavefront_size32 1
		.amdhsa_uses_dynamic_stack 0
		.amdhsa_enable_private_segment 0
		.amdhsa_system_sgpr_workgroup_id_x 1
		.amdhsa_system_sgpr_workgroup_id_y 0
		.amdhsa_system_sgpr_workgroup_id_z 0
		.amdhsa_system_sgpr_workgroup_info 0
		.amdhsa_system_vgpr_workitem_id 0
		.amdhsa_next_free_vgpr 1
		.amdhsa_next_free_sgpr 1
		.amdhsa_reserve_vcc 0
		.amdhsa_float_round_mode_32 0
		.amdhsa_float_round_mode_16_64 0
		.amdhsa_float_denorm_mode_32 3
		.amdhsa_float_denorm_mode_16_64 3
		.amdhsa_dx10_clamp 1
		.amdhsa_ieee_mode 1
		.amdhsa_fp16_overflow 0
		.amdhsa_workgroup_processor_mode 1
		.amdhsa_memory_ordered 1
		.amdhsa_forward_progress 0
		.amdhsa_shared_vgpr_count 0
		.amdhsa_exception_fp_ieee_invalid_op 0
		.amdhsa_exception_fp_denorm_src 0
		.amdhsa_exception_fp_ieee_div_zero 0
		.amdhsa_exception_fp_ieee_overflow 0
		.amdhsa_exception_fp_ieee_underflow 0
		.amdhsa_exception_fp_ieee_inexact 0
		.amdhsa_exception_int_div_zero 0
	.end_amdhsa_kernel
	.section	.text._ZN7rocprim17ROCPRIM_400000_NS6detail17trampoline_kernelINS0_14default_configENS1_29reduce_by_key_config_selectorIjiN6thrust23THRUST_200600_302600_NS4plusIiEEEEZZNS1_33reduce_by_key_impl_wrapped_configILNS1_25lookback_scan_determinismE0ES3_S9_NS6_6detail15normal_iteratorINS6_10device_ptrIjEEEENSD_INSE_IiEEEENS6_16discard_iteratorINS6_11use_defaultEEESI_PmS8_NS6_8equal_toIjEEEE10hipError_tPvRmT2_T3_mT4_T5_T6_T7_T8_P12ihipStream_tbENKUlT_T0_E_clISt17integral_constantIbLb0EES15_IbLb1EEEEDaS11_S12_EUlS11_E_NS1_11comp_targetILNS1_3genE5ELNS1_11target_archE942ELNS1_3gpuE9ELNS1_3repE0EEENS1_30default_config_static_selectorELNS0_4arch9wavefront6targetE0EEEvT1_,"axG",@progbits,_ZN7rocprim17ROCPRIM_400000_NS6detail17trampoline_kernelINS0_14default_configENS1_29reduce_by_key_config_selectorIjiN6thrust23THRUST_200600_302600_NS4plusIiEEEEZZNS1_33reduce_by_key_impl_wrapped_configILNS1_25lookback_scan_determinismE0ES3_S9_NS6_6detail15normal_iteratorINS6_10device_ptrIjEEEENSD_INSE_IiEEEENS6_16discard_iteratorINS6_11use_defaultEEESI_PmS8_NS6_8equal_toIjEEEE10hipError_tPvRmT2_T3_mT4_T5_T6_T7_T8_P12ihipStream_tbENKUlT_T0_E_clISt17integral_constantIbLb0EES15_IbLb1EEEEDaS11_S12_EUlS11_E_NS1_11comp_targetILNS1_3genE5ELNS1_11target_archE942ELNS1_3gpuE9ELNS1_3repE0EEENS1_30default_config_static_selectorELNS0_4arch9wavefront6targetE0EEEvT1_,comdat
.Lfunc_end1049:
	.size	_ZN7rocprim17ROCPRIM_400000_NS6detail17trampoline_kernelINS0_14default_configENS1_29reduce_by_key_config_selectorIjiN6thrust23THRUST_200600_302600_NS4plusIiEEEEZZNS1_33reduce_by_key_impl_wrapped_configILNS1_25lookback_scan_determinismE0ES3_S9_NS6_6detail15normal_iteratorINS6_10device_ptrIjEEEENSD_INSE_IiEEEENS6_16discard_iteratorINS6_11use_defaultEEESI_PmS8_NS6_8equal_toIjEEEE10hipError_tPvRmT2_T3_mT4_T5_T6_T7_T8_P12ihipStream_tbENKUlT_T0_E_clISt17integral_constantIbLb0EES15_IbLb1EEEEDaS11_S12_EUlS11_E_NS1_11comp_targetILNS1_3genE5ELNS1_11target_archE942ELNS1_3gpuE9ELNS1_3repE0EEENS1_30default_config_static_selectorELNS0_4arch9wavefront6targetE0EEEvT1_, .Lfunc_end1049-_ZN7rocprim17ROCPRIM_400000_NS6detail17trampoline_kernelINS0_14default_configENS1_29reduce_by_key_config_selectorIjiN6thrust23THRUST_200600_302600_NS4plusIiEEEEZZNS1_33reduce_by_key_impl_wrapped_configILNS1_25lookback_scan_determinismE0ES3_S9_NS6_6detail15normal_iteratorINS6_10device_ptrIjEEEENSD_INSE_IiEEEENS6_16discard_iteratorINS6_11use_defaultEEESI_PmS8_NS6_8equal_toIjEEEE10hipError_tPvRmT2_T3_mT4_T5_T6_T7_T8_P12ihipStream_tbENKUlT_T0_E_clISt17integral_constantIbLb0EES15_IbLb1EEEEDaS11_S12_EUlS11_E_NS1_11comp_targetILNS1_3genE5ELNS1_11target_archE942ELNS1_3gpuE9ELNS1_3repE0EEENS1_30default_config_static_selectorELNS0_4arch9wavefront6targetE0EEEvT1_
                                        ; -- End function
	.section	.AMDGPU.csdata,"",@progbits
; Kernel info:
; codeLenInByte = 0
; NumSgprs: 0
; NumVgprs: 0
; ScratchSize: 0
; MemoryBound: 0
; FloatMode: 240
; IeeeMode: 1
; LDSByteSize: 0 bytes/workgroup (compile time only)
; SGPRBlocks: 0
; VGPRBlocks: 0
; NumSGPRsForWavesPerEU: 1
; NumVGPRsForWavesPerEU: 1
; Occupancy: 16
; WaveLimiterHint : 0
; COMPUTE_PGM_RSRC2:SCRATCH_EN: 0
; COMPUTE_PGM_RSRC2:USER_SGPR: 15
; COMPUTE_PGM_RSRC2:TRAP_HANDLER: 0
; COMPUTE_PGM_RSRC2:TGID_X_EN: 1
; COMPUTE_PGM_RSRC2:TGID_Y_EN: 0
; COMPUTE_PGM_RSRC2:TGID_Z_EN: 0
; COMPUTE_PGM_RSRC2:TIDIG_COMP_CNT: 0
	.section	.text._ZN7rocprim17ROCPRIM_400000_NS6detail17trampoline_kernelINS0_14default_configENS1_29reduce_by_key_config_selectorIjiN6thrust23THRUST_200600_302600_NS4plusIiEEEEZZNS1_33reduce_by_key_impl_wrapped_configILNS1_25lookback_scan_determinismE0ES3_S9_NS6_6detail15normal_iteratorINS6_10device_ptrIjEEEENSD_INSE_IiEEEENS6_16discard_iteratorINS6_11use_defaultEEESI_PmS8_NS6_8equal_toIjEEEE10hipError_tPvRmT2_T3_mT4_T5_T6_T7_T8_P12ihipStream_tbENKUlT_T0_E_clISt17integral_constantIbLb0EES15_IbLb1EEEEDaS11_S12_EUlS11_E_NS1_11comp_targetILNS1_3genE4ELNS1_11target_archE910ELNS1_3gpuE8ELNS1_3repE0EEENS1_30default_config_static_selectorELNS0_4arch9wavefront6targetE0EEEvT1_,"axG",@progbits,_ZN7rocprim17ROCPRIM_400000_NS6detail17trampoline_kernelINS0_14default_configENS1_29reduce_by_key_config_selectorIjiN6thrust23THRUST_200600_302600_NS4plusIiEEEEZZNS1_33reduce_by_key_impl_wrapped_configILNS1_25lookback_scan_determinismE0ES3_S9_NS6_6detail15normal_iteratorINS6_10device_ptrIjEEEENSD_INSE_IiEEEENS6_16discard_iteratorINS6_11use_defaultEEESI_PmS8_NS6_8equal_toIjEEEE10hipError_tPvRmT2_T3_mT4_T5_T6_T7_T8_P12ihipStream_tbENKUlT_T0_E_clISt17integral_constantIbLb0EES15_IbLb1EEEEDaS11_S12_EUlS11_E_NS1_11comp_targetILNS1_3genE4ELNS1_11target_archE910ELNS1_3gpuE8ELNS1_3repE0EEENS1_30default_config_static_selectorELNS0_4arch9wavefront6targetE0EEEvT1_,comdat
	.protected	_ZN7rocprim17ROCPRIM_400000_NS6detail17trampoline_kernelINS0_14default_configENS1_29reduce_by_key_config_selectorIjiN6thrust23THRUST_200600_302600_NS4plusIiEEEEZZNS1_33reduce_by_key_impl_wrapped_configILNS1_25lookback_scan_determinismE0ES3_S9_NS6_6detail15normal_iteratorINS6_10device_ptrIjEEEENSD_INSE_IiEEEENS6_16discard_iteratorINS6_11use_defaultEEESI_PmS8_NS6_8equal_toIjEEEE10hipError_tPvRmT2_T3_mT4_T5_T6_T7_T8_P12ihipStream_tbENKUlT_T0_E_clISt17integral_constantIbLb0EES15_IbLb1EEEEDaS11_S12_EUlS11_E_NS1_11comp_targetILNS1_3genE4ELNS1_11target_archE910ELNS1_3gpuE8ELNS1_3repE0EEENS1_30default_config_static_selectorELNS0_4arch9wavefront6targetE0EEEvT1_ ; -- Begin function _ZN7rocprim17ROCPRIM_400000_NS6detail17trampoline_kernelINS0_14default_configENS1_29reduce_by_key_config_selectorIjiN6thrust23THRUST_200600_302600_NS4plusIiEEEEZZNS1_33reduce_by_key_impl_wrapped_configILNS1_25lookback_scan_determinismE0ES3_S9_NS6_6detail15normal_iteratorINS6_10device_ptrIjEEEENSD_INSE_IiEEEENS6_16discard_iteratorINS6_11use_defaultEEESI_PmS8_NS6_8equal_toIjEEEE10hipError_tPvRmT2_T3_mT4_T5_T6_T7_T8_P12ihipStream_tbENKUlT_T0_E_clISt17integral_constantIbLb0EES15_IbLb1EEEEDaS11_S12_EUlS11_E_NS1_11comp_targetILNS1_3genE4ELNS1_11target_archE910ELNS1_3gpuE8ELNS1_3repE0EEENS1_30default_config_static_selectorELNS0_4arch9wavefront6targetE0EEEvT1_
	.globl	_ZN7rocprim17ROCPRIM_400000_NS6detail17trampoline_kernelINS0_14default_configENS1_29reduce_by_key_config_selectorIjiN6thrust23THRUST_200600_302600_NS4plusIiEEEEZZNS1_33reduce_by_key_impl_wrapped_configILNS1_25lookback_scan_determinismE0ES3_S9_NS6_6detail15normal_iteratorINS6_10device_ptrIjEEEENSD_INSE_IiEEEENS6_16discard_iteratorINS6_11use_defaultEEESI_PmS8_NS6_8equal_toIjEEEE10hipError_tPvRmT2_T3_mT4_T5_T6_T7_T8_P12ihipStream_tbENKUlT_T0_E_clISt17integral_constantIbLb0EES15_IbLb1EEEEDaS11_S12_EUlS11_E_NS1_11comp_targetILNS1_3genE4ELNS1_11target_archE910ELNS1_3gpuE8ELNS1_3repE0EEENS1_30default_config_static_selectorELNS0_4arch9wavefront6targetE0EEEvT1_
	.p2align	8
	.type	_ZN7rocprim17ROCPRIM_400000_NS6detail17trampoline_kernelINS0_14default_configENS1_29reduce_by_key_config_selectorIjiN6thrust23THRUST_200600_302600_NS4plusIiEEEEZZNS1_33reduce_by_key_impl_wrapped_configILNS1_25lookback_scan_determinismE0ES3_S9_NS6_6detail15normal_iteratorINS6_10device_ptrIjEEEENSD_INSE_IiEEEENS6_16discard_iteratorINS6_11use_defaultEEESI_PmS8_NS6_8equal_toIjEEEE10hipError_tPvRmT2_T3_mT4_T5_T6_T7_T8_P12ihipStream_tbENKUlT_T0_E_clISt17integral_constantIbLb0EES15_IbLb1EEEEDaS11_S12_EUlS11_E_NS1_11comp_targetILNS1_3genE4ELNS1_11target_archE910ELNS1_3gpuE8ELNS1_3repE0EEENS1_30default_config_static_selectorELNS0_4arch9wavefront6targetE0EEEvT1_,@function
_ZN7rocprim17ROCPRIM_400000_NS6detail17trampoline_kernelINS0_14default_configENS1_29reduce_by_key_config_selectorIjiN6thrust23THRUST_200600_302600_NS4plusIiEEEEZZNS1_33reduce_by_key_impl_wrapped_configILNS1_25lookback_scan_determinismE0ES3_S9_NS6_6detail15normal_iteratorINS6_10device_ptrIjEEEENSD_INSE_IiEEEENS6_16discard_iteratorINS6_11use_defaultEEESI_PmS8_NS6_8equal_toIjEEEE10hipError_tPvRmT2_T3_mT4_T5_T6_T7_T8_P12ihipStream_tbENKUlT_T0_E_clISt17integral_constantIbLb0EES15_IbLb1EEEEDaS11_S12_EUlS11_E_NS1_11comp_targetILNS1_3genE4ELNS1_11target_archE910ELNS1_3gpuE8ELNS1_3repE0EEENS1_30default_config_static_selectorELNS0_4arch9wavefront6targetE0EEEvT1_: ; @_ZN7rocprim17ROCPRIM_400000_NS6detail17trampoline_kernelINS0_14default_configENS1_29reduce_by_key_config_selectorIjiN6thrust23THRUST_200600_302600_NS4plusIiEEEEZZNS1_33reduce_by_key_impl_wrapped_configILNS1_25lookback_scan_determinismE0ES3_S9_NS6_6detail15normal_iteratorINS6_10device_ptrIjEEEENSD_INSE_IiEEEENS6_16discard_iteratorINS6_11use_defaultEEESI_PmS8_NS6_8equal_toIjEEEE10hipError_tPvRmT2_T3_mT4_T5_T6_T7_T8_P12ihipStream_tbENKUlT_T0_E_clISt17integral_constantIbLb0EES15_IbLb1EEEEDaS11_S12_EUlS11_E_NS1_11comp_targetILNS1_3genE4ELNS1_11target_archE910ELNS1_3gpuE8ELNS1_3repE0EEENS1_30default_config_static_selectorELNS0_4arch9wavefront6targetE0EEEvT1_
; %bb.0:
	.section	.rodata,"a",@progbits
	.p2align	6, 0x0
	.amdhsa_kernel _ZN7rocprim17ROCPRIM_400000_NS6detail17trampoline_kernelINS0_14default_configENS1_29reduce_by_key_config_selectorIjiN6thrust23THRUST_200600_302600_NS4plusIiEEEEZZNS1_33reduce_by_key_impl_wrapped_configILNS1_25lookback_scan_determinismE0ES3_S9_NS6_6detail15normal_iteratorINS6_10device_ptrIjEEEENSD_INSE_IiEEEENS6_16discard_iteratorINS6_11use_defaultEEESI_PmS8_NS6_8equal_toIjEEEE10hipError_tPvRmT2_T3_mT4_T5_T6_T7_T8_P12ihipStream_tbENKUlT_T0_E_clISt17integral_constantIbLb0EES15_IbLb1EEEEDaS11_S12_EUlS11_E_NS1_11comp_targetILNS1_3genE4ELNS1_11target_archE910ELNS1_3gpuE8ELNS1_3repE0EEENS1_30default_config_static_selectorELNS0_4arch9wavefront6targetE0EEEvT1_
		.amdhsa_group_segment_fixed_size 0
		.amdhsa_private_segment_fixed_size 0
		.amdhsa_kernarg_size 128
		.amdhsa_user_sgpr_count 15
		.amdhsa_user_sgpr_dispatch_ptr 0
		.amdhsa_user_sgpr_queue_ptr 0
		.amdhsa_user_sgpr_kernarg_segment_ptr 1
		.amdhsa_user_sgpr_dispatch_id 0
		.amdhsa_user_sgpr_private_segment_size 0
		.amdhsa_wavefront_size32 1
		.amdhsa_uses_dynamic_stack 0
		.amdhsa_enable_private_segment 0
		.amdhsa_system_sgpr_workgroup_id_x 1
		.amdhsa_system_sgpr_workgroup_id_y 0
		.amdhsa_system_sgpr_workgroup_id_z 0
		.amdhsa_system_sgpr_workgroup_info 0
		.amdhsa_system_vgpr_workitem_id 0
		.amdhsa_next_free_vgpr 1
		.amdhsa_next_free_sgpr 1
		.amdhsa_reserve_vcc 0
		.amdhsa_float_round_mode_32 0
		.amdhsa_float_round_mode_16_64 0
		.amdhsa_float_denorm_mode_32 3
		.amdhsa_float_denorm_mode_16_64 3
		.amdhsa_dx10_clamp 1
		.amdhsa_ieee_mode 1
		.amdhsa_fp16_overflow 0
		.amdhsa_workgroup_processor_mode 1
		.amdhsa_memory_ordered 1
		.amdhsa_forward_progress 0
		.amdhsa_shared_vgpr_count 0
		.amdhsa_exception_fp_ieee_invalid_op 0
		.amdhsa_exception_fp_denorm_src 0
		.amdhsa_exception_fp_ieee_div_zero 0
		.amdhsa_exception_fp_ieee_overflow 0
		.amdhsa_exception_fp_ieee_underflow 0
		.amdhsa_exception_fp_ieee_inexact 0
		.amdhsa_exception_int_div_zero 0
	.end_amdhsa_kernel
	.section	.text._ZN7rocprim17ROCPRIM_400000_NS6detail17trampoline_kernelINS0_14default_configENS1_29reduce_by_key_config_selectorIjiN6thrust23THRUST_200600_302600_NS4plusIiEEEEZZNS1_33reduce_by_key_impl_wrapped_configILNS1_25lookback_scan_determinismE0ES3_S9_NS6_6detail15normal_iteratorINS6_10device_ptrIjEEEENSD_INSE_IiEEEENS6_16discard_iteratorINS6_11use_defaultEEESI_PmS8_NS6_8equal_toIjEEEE10hipError_tPvRmT2_T3_mT4_T5_T6_T7_T8_P12ihipStream_tbENKUlT_T0_E_clISt17integral_constantIbLb0EES15_IbLb1EEEEDaS11_S12_EUlS11_E_NS1_11comp_targetILNS1_3genE4ELNS1_11target_archE910ELNS1_3gpuE8ELNS1_3repE0EEENS1_30default_config_static_selectorELNS0_4arch9wavefront6targetE0EEEvT1_,"axG",@progbits,_ZN7rocprim17ROCPRIM_400000_NS6detail17trampoline_kernelINS0_14default_configENS1_29reduce_by_key_config_selectorIjiN6thrust23THRUST_200600_302600_NS4plusIiEEEEZZNS1_33reduce_by_key_impl_wrapped_configILNS1_25lookback_scan_determinismE0ES3_S9_NS6_6detail15normal_iteratorINS6_10device_ptrIjEEEENSD_INSE_IiEEEENS6_16discard_iteratorINS6_11use_defaultEEESI_PmS8_NS6_8equal_toIjEEEE10hipError_tPvRmT2_T3_mT4_T5_T6_T7_T8_P12ihipStream_tbENKUlT_T0_E_clISt17integral_constantIbLb0EES15_IbLb1EEEEDaS11_S12_EUlS11_E_NS1_11comp_targetILNS1_3genE4ELNS1_11target_archE910ELNS1_3gpuE8ELNS1_3repE0EEENS1_30default_config_static_selectorELNS0_4arch9wavefront6targetE0EEEvT1_,comdat
.Lfunc_end1050:
	.size	_ZN7rocprim17ROCPRIM_400000_NS6detail17trampoline_kernelINS0_14default_configENS1_29reduce_by_key_config_selectorIjiN6thrust23THRUST_200600_302600_NS4plusIiEEEEZZNS1_33reduce_by_key_impl_wrapped_configILNS1_25lookback_scan_determinismE0ES3_S9_NS6_6detail15normal_iteratorINS6_10device_ptrIjEEEENSD_INSE_IiEEEENS6_16discard_iteratorINS6_11use_defaultEEESI_PmS8_NS6_8equal_toIjEEEE10hipError_tPvRmT2_T3_mT4_T5_T6_T7_T8_P12ihipStream_tbENKUlT_T0_E_clISt17integral_constantIbLb0EES15_IbLb1EEEEDaS11_S12_EUlS11_E_NS1_11comp_targetILNS1_3genE4ELNS1_11target_archE910ELNS1_3gpuE8ELNS1_3repE0EEENS1_30default_config_static_selectorELNS0_4arch9wavefront6targetE0EEEvT1_, .Lfunc_end1050-_ZN7rocprim17ROCPRIM_400000_NS6detail17trampoline_kernelINS0_14default_configENS1_29reduce_by_key_config_selectorIjiN6thrust23THRUST_200600_302600_NS4plusIiEEEEZZNS1_33reduce_by_key_impl_wrapped_configILNS1_25lookback_scan_determinismE0ES3_S9_NS6_6detail15normal_iteratorINS6_10device_ptrIjEEEENSD_INSE_IiEEEENS6_16discard_iteratorINS6_11use_defaultEEESI_PmS8_NS6_8equal_toIjEEEE10hipError_tPvRmT2_T3_mT4_T5_T6_T7_T8_P12ihipStream_tbENKUlT_T0_E_clISt17integral_constantIbLb0EES15_IbLb1EEEEDaS11_S12_EUlS11_E_NS1_11comp_targetILNS1_3genE4ELNS1_11target_archE910ELNS1_3gpuE8ELNS1_3repE0EEENS1_30default_config_static_selectorELNS0_4arch9wavefront6targetE0EEEvT1_
                                        ; -- End function
	.section	.AMDGPU.csdata,"",@progbits
; Kernel info:
; codeLenInByte = 0
; NumSgprs: 0
; NumVgprs: 0
; ScratchSize: 0
; MemoryBound: 0
; FloatMode: 240
; IeeeMode: 1
; LDSByteSize: 0 bytes/workgroup (compile time only)
; SGPRBlocks: 0
; VGPRBlocks: 0
; NumSGPRsForWavesPerEU: 1
; NumVGPRsForWavesPerEU: 1
; Occupancy: 16
; WaveLimiterHint : 0
; COMPUTE_PGM_RSRC2:SCRATCH_EN: 0
; COMPUTE_PGM_RSRC2:USER_SGPR: 15
; COMPUTE_PGM_RSRC2:TRAP_HANDLER: 0
; COMPUTE_PGM_RSRC2:TGID_X_EN: 1
; COMPUTE_PGM_RSRC2:TGID_Y_EN: 0
; COMPUTE_PGM_RSRC2:TGID_Z_EN: 0
; COMPUTE_PGM_RSRC2:TIDIG_COMP_CNT: 0
	.section	.text._ZN7rocprim17ROCPRIM_400000_NS6detail17trampoline_kernelINS0_14default_configENS1_29reduce_by_key_config_selectorIjiN6thrust23THRUST_200600_302600_NS4plusIiEEEEZZNS1_33reduce_by_key_impl_wrapped_configILNS1_25lookback_scan_determinismE0ES3_S9_NS6_6detail15normal_iteratorINS6_10device_ptrIjEEEENSD_INSE_IiEEEENS6_16discard_iteratorINS6_11use_defaultEEESI_PmS8_NS6_8equal_toIjEEEE10hipError_tPvRmT2_T3_mT4_T5_T6_T7_T8_P12ihipStream_tbENKUlT_T0_E_clISt17integral_constantIbLb0EES15_IbLb1EEEEDaS11_S12_EUlS11_E_NS1_11comp_targetILNS1_3genE3ELNS1_11target_archE908ELNS1_3gpuE7ELNS1_3repE0EEENS1_30default_config_static_selectorELNS0_4arch9wavefront6targetE0EEEvT1_,"axG",@progbits,_ZN7rocprim17ROCPRIM_400000_NS6detail17trampoline_kernelINS0_14default_configENS1_29reduce_by_key_config_selectorIjiN6thrust23THRUST_200600_302600_NS4plusIiEEEEZZNS1_33reduce_by_key_impl_wrapped_configILNS1_25lookback_scan_determinismE0ES3_S9_NS6_6detail15normal_iteratorINS6_10device_ptrIjEEEENSD_INSE_IiEEEENS6_16discard_iteratorINS6_11use_defaultEEESI_PmS8_NS6_8equal_toIjEEEE10hipError_tPvRmT2_T3_mT4_T5_T6_T7_T8_P12ihipStream_tbENKUlT_T0_E_clISt17integral_constantIbLb0EES15_IbLb1EEEEDaS11_S12_EUlS11_E_NS1_11comp_targetILNS1_3genE3ELNS1_11target_archE908ELNS1_3gpuE7ELNS1_3repE0EEENS1_30default_config_static_selectorELNS0_4arch9wavefront6targetE0EEEvT1_,comdat
	.protected	_ZN7rocprim17ROCPRIM_400000_NS6detail17trampoline_kernelINS0_14default_configENS1_29reduce_by_key_config_selectorIjiN6thrust23THRUST_200600_302600_NS4plusIiEEEEZZNS1_33reduce_by_key_impl_wrapped_configILNS1_25lookback_scan_determinismE0ES3_S9_NS6_6detail15normal_iteratorINS6_10device_ptrIjEEEENSD_INSE_IiEEEENS6_16discard_iteratorINS6_11use_defaultEEESI_PmS8_NS6_8equal_toIjEEEE10hipError_tPvRmT2_T3_mT4_T5_T6_T7_T8_P12ihipStream_tbENKUlT_T0_E_clISt17integral_constantIbLb0EES15_IbLb1EEEEDaS11_S12_EUlS11_E_NS1_11comp_targetILNS1_3genE3ELNS1_11target_archE908ELNS1_3gpuE7ELNS1_3repE0EEENS1_30default_config_static_selectorELNS0_4arch9wavefront6targetE0EEEvT1_ ; -- Begin function _ZN7rocprim17ROCPRIM_400000_NS6detail17trampoline_kernelINS0_14default_configENS1_29reduce_by_key_config_selectorIjiN6thrust23THRUST_200600_302600_NS4plusIiEEEEZZNS1_33reduce_by_key_impl_wrapped_configILNS1_25lookback_scan_determinismE0ES3_S9_NS6_6detail15normal_iteratorINS6_10device_ptrIjEEEENSD_INSE_IiEEEENS6_16discard_iteratorINS6_11use_defaultEEESI_PmS8_NS6_8equal_toIjEEEE10hipError_tPvRmT2_T3_mT4_T5_T6_T7_T8_P12ihipStream_tbENKUlT_T0_E_clISt17integral_constantIbLb0EES15_IbLb1EEEEDaS11_S12_EUlS11_E_NS1_11comp_targetILNS1_3genE3ELNS1_11target_archE908ELNS1_3gpuE7ELNS1_3repE0EEENS1_30default_config_static_selectorELNS0_4arch9wavefront6targetE0EEEvT1_
	.globl	_ZN7rocprim17ROCPRIM_400000_NS6detail17trampoline_kernelINS0_14default_configENS1_29reduce_by_key_config_selectorIjiN6thrust23THRUST_200600_302600_NS4plusIiEEEEZZNS1_33reduce_by_key_impl_wrapped_configILNS1_25lookback_scan_determinismE0ES3_S9_NS6_6detail15normal_iteratorINS6_10device_ptrIjEEEENSD_INSE_IiEEEENS6_16discard_iteratorINS6_11use_defaultEEESI_PmS8_NS6_8equal_toIjEEEE10hipError_tPvRmT2_T3_mT4_T5_T6_T7_T8_P12ihipStream_tbENKUlT_T0_E_clISt17integral_constantIbLb0EES15_IbLb1EEEEDaS11_S12_EUlS11_E_NS1_11comp_targetILNS1_3genE3ELNS1_11target_archE908ELNS1_3gpuE7ELNS1_3repE0EEENS1_30default_config_static_selectorELNS0_4arch9wavefront6targetE0EEEvT1_
	.p2align	8
	.type	_ZN7rocprim17ROCPRIM_400000_NS6detail17trampoline_kernelINS0_14default_configENS1_29reduce_by_key_config_selectorIjiN6thrust23THRUST_200600_302600_NS4plusIiEEEEZZNS1_33reduce_by_key_impl_wrapped_configILNS1_25lookback_scan_determinismE0ES3_S9_NS6_6detail15normal_iteratorINS6_10device_ptrIjEEEENSD_INSE_IiEEEENS6_16discard_iteratorINS6_11use_defaultEEESI_PmS8_NS6_8equal_toIjEEEE10hipError_tPvRmT2_T3_mT4_T5_T6_T7_T8_P12ihipStream_tbENKUlT_T0_E_clISt17integral_constantIbLb0EES15_IbLb1EEEEDaS11_S12_EUlS11_E_NS1_11comp_targetILNS1_3genE3ELNS1_11target_archE908ELNS1_3gpuE7ELNS1_3repE0EEENS1_30default_config_static_selectorELNS0_4arch9wavefront6targetE0EEEvT1_,@function
_ZN7rocprim17ROCPRIM_400000_NS6detail17trampoline_kernelINS0_14default_configENS1_29reduce_by_key_config_selectorIjiN6thrust23THRUST_200600_302600_NS4plusIiEEEEZZNS1_33reduce_by_key_impl_wrapped_configILNS1_25lookback_scan_determinismE0ES3_S9_NS6_6detail15normal_iteratorINS6_10device_ptrIjEEEENSD_INSE_IiEEEENS6_16discard_iteratorINS6_11use_defaultEEESI_PmS8_NS6_8equal_toIjEEEE10hipError_tPvRmT2_T3_mT4_T5_T6_T7_T8_P12ihipStream_tbENKUlT_T0_E_clISt17integral_constantIbLb0EES15_IbLb1EEEEDaS11_S12_EUlS11_E_NS1_11comp_targetILNS1_3genE3ELNS1_11target_archE908ELNS1_3gpuE7ELNS1_3repE0EEENS1_30default_config_static_selectorELNS0_4arch9wavefront6targetE0EEEvT1_: ; @_ZN7rocprim17ROCPRIM_400000_NS6detail17trampoline_kernelINS0_14default_configENS1_29reduce_by_key_config_selectorIjiN6thrust23THRUST_200600_302600_NS4plusIiEEEEZZNS1_33reduce_by_key_impl_wrapped_configILNS1_25lookback_scan_determinismE0ES3_S9_NS6_6detail15normal_iteratorINS6_10device_ptrIjEEEENSD_INSE_IiEEEENS6_16discard_iteratorINS6_11use_defaultEEESI_PmS8_NS6_8equal_toIjEEEE10hipError_tPvRmT2_T3_mT4_T5_T6_T7_T8_P12ihipStream_tbENKUlT_T0_E_clISt17integral_constantIbLb0EES15_IbLb1EEEEDaS11_S12_EUlS11_E_NS1_11comp_targetILNS1_3genE3ELNS1_11target_archE908ELNS1_3gpuE7ELNS1_3repE0EEENS1_30default_config_static_selectorELNS0_4arch9wavefront6targetE0EEEvT1_
; %bb.0:
	.section	.rodata,"a",@progbits
	.p2align	6, 0x0
	.amdhsa_kernel _ZN7rocprim17ROCPRIM_400000_NS6detail17trampoline_kernelINS0_14default_configENS1_29reduce_by_key_config_selectorIjiN6thrust23THRUST_200600_302600_NS4plusIiEEEEZZNS1_33reduce_by_key_impl_wrapped_configILNS1_25lookback_scan_determinismE0ES3_S9_NS6_6detail15normal_iteratorINS6_10device_ptrIjEEEENSD_INSE_IiEEEENS6_16discard_iteratorINS6_11use_defaultEEESI_PmS8_NS6_8equal_toIjEEEE10hipError_tPvRmT2_T3_mT4_T5_T6_T7_T8_P12ihipStream_tbENKUlT_T0_E_clISt17integral_constantIbLb0EES15_IbLb1EEEEDaS11_S12_EUlS11_E_NS1_11comp_targetILNS1_3genE3ELNS1_11target_archE908ELNS1_3gpuE7ELNS1_3repE0EEENS1_30default_config_static_selectorELNS0_4arch9wavefront6targetE0EEEvT1_
		.amdhsa_group_segment_fixed_size 0
		.amdhsa_private_segment_fixed_size 0
		.amdhsa_kernarg_size 128
		.amdhsa_user_sgpr_count 15
		.amdhsa_user_sgpr_dispatch_ptr 0
		.amdhsa_user_sgpr_queue_ptr 0
		.amdhsa_user_sgpr_kernarg_segment_ptr 1
		.amdhsa_user_sgpr_dispatch_id 0
		.amdhsa_user_sgpr_private_segment_size 0
		.amdhsa_wavefront_size32 1
		.amdhsa_uses_dynamic_stack 0
		.amdhsa_enable_private_segment 0
		.amdhsa_system_sgpr_workgroup_id_x 1
		.amdhsa_system_sgpr_workgroup_id_y 0
		.amdhsa_system_sgpr_workgroup_id_z 0
		.amdhsa_system_sgpr_workgroup_info 0
		.amdhsa_system_vgpr_workitem_id 0
		.amdhsa_next_free_vgpr 1
		.amdhsa_next_free_sgpr 1
		.amdhsa_reserve_vcc 0
		.amdhsa_float_round_mode_32 0
		.amdhsa_float_round_mode_16_64 0
		.amdhsa_float_denorm_mode_32 3
		.amdhsa_float_denorm_mode_16_64 3
		.amdhsa_dx10_clamp 1
		.amdhsa_ieee_mode 1
		.amdhsa_fp16_overflow 0
		.amdhsa_workgroup_processor_mode 1
		.amdhsa_memory_ordered 1
		.amdhsa_forward_progress 0
		.amdhsa_shared_vgpr_count 0
		.amdhsa_exception_fp_ieee_invalid_op 0
		.amdhsa_exception_fp_denorm_src 0
		.amdhsa_exception_fp_ieee_div_zero 0
		.amdhsa_exception_fp_ieee_overflow 0
		.amdhsa_exception_fp_ieee_underflow 0
		.amdhsa_exception_fp_ieee_inexact 0
		.amdhsa_exception_int_div_zero 0
	.end_amdhsa_kernel
	.section	.text._ZN7rocprim17ROCPRIM_400000_NS6detail17trampoline_kernelINS0_14default_configENS1_29reduce_by_key_config_selectorIjiN6thrust23THRUST_200600_302600_NS4plusIiEEEEZZNS1_33reduce_by_key_impl_wrapped_configILNS1_25lookback_scan_determinismE0ES3_S9_NS6_6detail15normal_iteratorINS6_10device_ptrIjEEEENSD_INSE_IiEEEENS6_16discard_iteratorINS6_11use_defaultEEESI_PmS8_NS6_8equal_toIjEEEE10hipError_tPvRmT2_T3_mT4_T5_T6_T7_T8_P12ihipStream_tbENKUlT_T0_E_clISt17integral_constantIbLb0EES15_IbLb1EEEEDaS11_S12_EUlS11_E_NS1_11comp_targetILNS1_3genE3ELNS1_11target_archE908ELNS1_3gpuE7ELNS1_3repE0EEENS1_30default_config_static_selectorELNS0_4arch9wavefront6targetE0EEEvT1_,"axG",@progbits,_ZN7rocprim17ROCPRIM_400000_NS6detail17trampoline_kernelINS0_14default_configENS1_29reduce_by_key_config_selectorIjiN6thrust23THRUST_200600_302600_NS4plusIiEEEEZZNS1_33reduce_by_key_impl_wrapped_configILNS1_25lookback_scan_determinismE0ES3_S9_NS6_6detail15normal_iteratorINS6_10device_ptrIjEEEENSD_INSE_IiEEEENS6_16discard_iteratorINS6_11use_defaultEEESI_PmS8_NS6_8equal_toIjEEEE10hipError_tPvRmT2_T3_mT4_T5_T6_T7_T8_P12ihipStream_tbENKUlT_T0_E_clISt17integral_constantIbLb0EES15_IbLb1EEEEDaS11_S12_EUlS11_E_NS1_11comp_targetILNS1_3genE3ELNS1_11target_archE908ELNS1_3gpuE7ELNS1_3repE0EEENS1_30default_config_static_selectorELNS0_4arch9wavefront6targetE0EEEvT1_,comdat
.Lfunc_end1051:
	.size	_ZN7rocprim17ROCPRIM_400000_NS6detail17trampoline_kernelINS0_14default_configENS1_29reduce_by_key_config_selectorIjiN6thrust23THRUST_200600_302600_NS4plusIiEEEEZZNS1_33reduce_by_key_impl_wrapped_configILNS1_25lookback_scan_determinismE0ES3_S9_NS6_6detail15normal_iteratorINS6_10device_ptrIjEEEENSD_INSE_IiEEEENS6_16discard_iteratorINS6_11use_defaultEEESI_PmS8_NS6_8equal_toIjEEEE10hipError_tPvRmT2_T3_mT4_T5_T6_T7_T8_P12ihipStream_tbENKUlT_T0_E_clISt17integral_constantIbLb0EES15_IbLb1EEEEDaS11_S12_EUlS11_E_NS1_11comp_targetILNS1_3genE3ELNS1_11target_archE908ELNS1_3gpuE7ELNS1_3repE0EEENS1_30default_config_static_selectorELNS0_4arch9wavefront6targetE0EEEvT1_, .Lfunc_end1051-_ZN7rocprim17ROCPRIM_400000_NS6detail17trampoline_kernelINS0_14default_configENS1_29reduce_by_key_config_selectorIjiN6thrust23THRUST_200600_302600_NS4plusIiEEEEZZNS1_33reduce_by_key_impl_wrapped_configILNS1_25lookback_scan_determinismE0ES3_S9_NS6_6detail15normal_iteratorINS6_10device_ptrIjEEEENSD_INSE_IiEEEENS6_16discard_iteratorINS6_11use_defaultEEESI_PmS8_NS6_8equal_toIjEEEE10hipError_tPvRmT2_T3_mT4_T5_T6_T7_T8_P12ihipStream_tbENKUlT_T0_E_clISt17integral_constantIbLb0EES15_IbLb1EEEEDaS11_S12_EUlS11_E_NS1_11comp_targetILNS1_3genE3ELNS1_11target_archE908ELNS1_3gpuE7ELNS1_3repE0EEENS1_30default_config_static_selectorELNS0_4arch9wavefront6targetE0EEEvT1_
                                        ; -- End function
	.section	.AMDGPU.csdata,"",@progbits
; Kernel info:
; codeLenInByte = 0
; NumSgprs: 0
; NumVgprs: 0
; ScratchSize: 0
; MemoryBound: 0
; FloatMode: 240
; IeeeMode: 1
; LDSByteSize: 0 bytes/workgroup (compile time only)
; SGPRBlocks: 0
; VGPRBlocks: 0
; NumSGPRsForWavesPerEU: 1
; NumVGPRsForWavesPerEU: 1
; Occupancy: 16
; WaveLimiterHint : 0
; COMPUTE_PGM_RSRC2:SCRATCH_EN: 0
; COMPUTE_PGM_RSRC2:USER_SGPR: 15
; COMPUTE_PGM_RSRC2:TRAP_HANDLER: 0
; COMPUTE_PGM_RSRC2:TGID_X_EN: 1
; COMPUTE_PGM_RSRC2:TGID_Y_EN: 0
; COMPUTE_PGM_RSRC2:TGID_Z_EN: 0
; COMPUTE_PGM_RSRC2:TIDIG_COMP_CNT: 0
	.section	.text._ZN7rocprim17ROCPRIM_400000_NS6detail17trampoline_kernelINS0_14default_configENS1_29reduce_by_key_config_selectorIjiN6thrust23THRUST_200600_302600_NS4plusIiEEEEZZNS1_33reduce_by_key_impl_wrapped_configILNS1_25lookback_scan_determinismE0ES3_S9_NS6_6detail15normal_iteratorINS6_10device_ptrIjEEEENSD_INSE_IiEEEENS6_16discard_iteratorINS6_11use_defaultEEESI_PmS8_NS6_8equal_toIjEEEE10hipError_tPvRmT2_T3_mT4_T5_T6_T7_T8_P12ihipStream_tbENKUlT_T0_E_clISt17integral_constantIbLb0EES15_IbLb1EEEEDaS11_S12_EUlS11_E_NS1_11comp_targetILNS1_3genE2ELNS1_11target_archE906ELNS1_3gpuE6ELNS1_3repE0EEENS1_30default_config_static_selectorELNS0_4arch9wavefront6targetE0EEEvT1_,"axG",@progbits,_ZN7rocprim17ROCPRIM_400000_NS6detail17trampoline_kernelINS0_14default_configENS1_29reduce_by_key_config_selectorIjiN6thrust23THRUST_200600_302600_NS4plusIiEEEEZZNS1_33reduce_by_key_impl_wrapped_configILNS1_25lookback_scan_determinismE0ES3_S9_NS6_6detail15normal_iteratorINS6_10device_ptrIjEEEENSD_INSE_IiEEEENS6_16discard_iteratorINS6_11use_defaultEEESI_PmS8_NS6_8equal_toIjEEEE10hipError_tPvRmT2_T3_mT4_T5_T6_T7_T8_P12ihipStream_tbENKUlT_T0_E_clISt17integral_constantIbLb0EES15_IbLb1EEEEDaS11_S12_EUlS11_E_NS1_11comp_targetILNS1_3genE2ELNS1_11target_archE906ELNS1_3gpuE6ELNS1_3repE0EEENS1_30default_config_static_selectorELNS0_4arch9wavefront6targetE0EEEvT1_,comdat
	.protected	_ZN7rocprim17ROCPRIM_400000_NS6detail17trampoline_kernelINS0_14default_configENS1_29reduce_by_key_config_selectorIjiN6thrust23THRUST_200600_302600_NS4plusIiEEEEZZNS1_33reduce_by_key_impl_wrapped_configILNS1_25lookback_scan_determinismE0ES3_S9_NS6_6detail15normal_iteratorINS6_10device_ptrIjEEEENSD_INSE_IiEEEENS6_16discard_iteratorINS6_11use_defaultEEESI_PmS8_NS6_8equal_toIjEEEE10hipError_tPvRmT2_T3_mT4_T5_T6_T7_T8_P12ihipStream_tbENKUlT_T0_E_clISt17integral_constantIbLb0EES15_IbLb1EEEEDaS11_S12_EUlS11_E_NS1_11comp_targetILNS1_3genE2ELNS1_11target_archE906ELNS1_3gpuE6ELNS1_3repE0EEENS1_30default_config_static_selectorELNS0_4arch9wavefront6targetE0EEEvT1_ ; -- Begin function _ZN7rocprim17ROCPRIM_400000_NS6detail17trampoline_kernelINS0_14default_configENS1_29reduce_by_key_config_selectorIjiN6thrust23THRUST_200600_302600_NS4plusIiEEEEZZNS1_33reduce_by_key_impl_wrapped_configILNS1_25lookback_scan_determinismE0ES3_S9_NS6_6detail15normal_iteratorINS6_10device_ptrIjEEEENSD_INSE_IiEEEENS6_16discard_iteratorINS6_11use_defaultEEESI_PmS8_NS6_8equal_toIjEEEE10hipError_tPvRmT2_T3_mT4_T5_T6_T7_T8_P12ihipStream_tbENKUlT_T0_E_clISt17integral_constantIbLb0EES15_IbLb1EEEEDaS11_S12_EUlS11_E_NS1_11comp_targetILNS1_3genE2ELNS1_11target_archE906ELNS1_3gpuE6ELNS1_3repE0EEENS1_30default_config_static_selectorELNS0_4arch9wavefront6targetE0EEEvT1_
	.globl	_ZN7rocprim17ROCPRIM_400000_NS6detail17trampoline_kernelINS0_14default_configENS1_29reduce_by_key_config_selectorIjiN6thrust23THRUST_200600_302600_NS4plusIiEEEEZZNS1_33reduce_by_key_impl_wrapped_configILNS1_25lookback_scan_determinismE0ES3_S9_NS6_6detail15normal_iteratorINS6_10device_ptrIjEEEENSD_INSE_IiEEEENS6_16discard_iteratorINS6_11use_defaultEEESI_PmS8_NS6_8equal_toIjEEEE10hipError_tPvRmT2_T3_mT4_T5_T6_T7_T8_P12ihipStream_tbENKUlT_T0_E_clISt17integral_constantIbLb0EES15_IbLb1EEEEDaS11_S12_EUlS11_E_NS1_11comp_targetILNS1_3genE2ELNS1_11target_archE906ELNS1_3gpuE6ELNS1_3repE0EEENS1_30default_config_static_selectorELNS0_4arch9wavefront6targetE0EEEvT1_
	.p2align	8
	.type	_ZN7rocprim17ROCPRIM_400000_NS6detail17trampoline_kernelINS0_14default_configENS1_29reduce_by_key_config_selectorIjiN6thrust23THRUST_200600_302600_NS4plusIiEEEEZZNS1_33reduce_by_key_impl_wrapped_configILNS1_25lookback_scan_determinismE0ES3_S9_NS6_6detail15normal_iteratorINS6_10device_ptrIjEEEENSD_INSE_IiEEEENS6_16discard_iteratorINS6_11use_defaultEEESI_PmS8_NS6_8equal_toIjEEEE10hipError_tPvRmT2_T3_mT4_T5_T6_T7_T8_P12ihipStream_tbENKUlT_T0_E_clISt17integral_constantIbLb0EES15_IbLb1EEEEDaS11_S12_EUlS11_E_NS1_11comp_targetILNS1_3genE2ELNS1_11target_archE906ELNS1_3gpuE6ELNS1_3repE0EEENS1_30default_config_static_selectorELNS0_4arch9wavefront6targetE0EEEvT1_,@function
_ZN7rocprim17ROCPRIM_400000_NS6detail17trampoline_kernelINS0_14default_configENS1_29reduce_by_key_config_selectorIjiN6thrust23THRUST_200600_302600_NS4plusIiEEEEZZNS1_33reduce_by_key_impl_wrapped_configILNS1_25lookback_scan_determinismE0ES3_S9_NS6_6detail15normal_iteratorINS6_10device_ptrIjEEEENSD_INSE_IiEEEENS6_16discard_iteratorINS6_11use_defaultEEESI_PmS8_NS6_8equal_toIjEEEE10hipError_tPvRmT2_T3_mT4_T5_T6_T7_T8_P12ihipStream_tbENKUlT_T0_E_clISt17integral_constantIbLb0EES15_IbLb1EEEEDaS11_S12_EUlS11_E_NS1_11comp_targetILNS1_3genE2ELNS1_11target_archE906ELNS1_3gpuE6ELNS1_3repE0EEENS1_30default_config_static_selectorELNS0_4arch9wavefront6targetE0EEEvT1_: ; @_ZN7rocprim17ROCPRIM_400000_NS6detail17trampoline_kernelINS0_14default_configENS1_29reduce_by_key_config_selectorIjiN6thrust23THRUST_200600_302600_NS4plusIiEEEEZZNS1_33reduce_by_key_impl_wrapped_configILNS1_25lookback_scan_determinismE0ES3_S9_NS6_6detail15normal_iteratorINS6_10device_ptrIjEEEENSD_INSE_IiEEEENS6_16discard_iteratorINS6_11use_defaultEEESI_PmS8_NS6_8equal_toIjEEEE10hipError_tPvRmT2_T3_mT4_T5_T6_T7_T8_P12ihipStream_tbENKUlT_T0_E_clISt17integral_constantIbLb0EES15_IbLb1EEEEDaS11_S12_EUlS11_E_NS1_11comp_targetILNS1_3genE2ELNS1_11target_archE906ELNS1_3gpuE6ELNS1_3repE0EEENS1_30default_config_static_selectorELNS0_4arch9wavefront6targetE0EEEvT1_
; %bb.0:
	.section	.rodata,"a",@progbits
	.p2align	6, 0x0
	.amdhsa_kernel _ZN7rocprim17ROCPRIM_400000_NS6detail17trampoline_kernelINS0_14default_configENS1_29reduce_by_key_config_selectorIjiN6thrust23THRUST_200600_302600_NS4plusIiEEEEZZNS1_33reduce_by_key_impl_wrapped_configILNS1_25lookback_scan_determinismE0ES3_S9_NS6_6detail15normal_iteratorINS6_10device_ptrIjEEEENSD_INSE_IiEEEENS6_16discard_iteratorINS6_11use_defaultEEESI_PmS8_NS6_8equal_toIjEEEE10hipError_tPvRmT2_T3_mT4_T5_T6_T7_T8_P12ihipStream_tbENKUlT_T0_E_clISt17integral_constantIbLb0EES15_IbLb1EEEEDaS11_S12_EUlS11_E_NS1_11comp_targetILNS1_3genE2ELNS1_11target_archE906ELNS1_3gpuE6ELNS1_3repE0EEENS1_30default_config_static_selectorELNS0_4arch9wavefront6targetE0EEEvT1_
		.amdhsa_group_segment_fixed_size 0
		.amdhsa_private_segment_fixed_size 0
		.amdhsa_kernarg_size 128
		.amdhsa_user_sgpr_count 15
		.amdhsa_user_sgpr_dispatch_ptr 0
		.amdhsa_user_sgpr_queue_ptr 0
		.amdhsa_user_sgpr_kernarg_segment_ptr 1
		.amdhsa_user_sgpr_dispatch_id 0
		.amdhsa_user_sgpr_private_segment_size 0
		.amdhsa_wavefront_size32 1
		.amdhsa_uses_dynamic_stack 0
		.amdhsa_enable_private_segment 0
		.amdhsa_system_sgpr_workgroup_id_x 1
		.amdhsa_system_sgpr_workgroup_id_y 0
		.amdhsa_system_sgpr_workgroup_id_z 0
		.amdhsa_system_sgpr_workgroup_info 0
		.amdhsa_system_vgpr_workitem_id 0
		.amdhsa_next_free_vgpr 1
		.amdhsa_next_free_sgpr 1
		.amdhsa_reserve_vcc 0
		.amdhsa_float_round_mode_32 0
		.amdhsa_float_round_mode_16_64 0
		.amdhsa_float_denorm_mode_32 3
		.amdhsa_float_denorm_mode_16_64 3
		.amdhsa_dx10_clamp 1
		.amdhsa_ieee_mode 1
		.amdhsa_fp16_overflow 0
		.amdhsa_workgroup_processor_mode 1
		.amdhsa_memory_ordered 1
		.amdhsa_forward_progress 0
		.amdhsa_shared_vgpr_count 0
		.amdhsa_exception_fp_ieee_invalid_op 0
		.amdhsa_exception_fp_denorm_src 0
		.amdhsa_exception_fp_ieee_div_zero 0
		.amdhsa_exception_fp_ieee_overflow 0
		.amdhsa_exception_fp_ieee_underflow 0
		.amdhsa_exception_fp_ieee_inexact 0
		.amdhsa_exception_int_div_zero 0
	.end_amdhsa_kernel
	.section	.text._ZN7rocprim17ROCPRIM_400000_NS6detail17trampoline_kernelINS0_14default_configENS1_29reduce_by_key_config_selectorIjiN6thrust23THRUST_200600_302600_NS4plusIiEEEEZZNS1_33reduce_by_key_impl_wrapped_configILNS1_25lookback_scan_determinismE0ES3_S9_NS6_6detail15normal_iteratorINS6_10device_ptrIjEEEENSD_INSE_IiEEEENS6_16discard_iteratorINS6_11use_defaultEEESI_PmS8_NS6_8equal_toIjEEEE10hipError_tPvRmT2_T3_mT4_T5_T6_T7_T8_P12ihipStream_tbENKUlT_T0_E_clISt17integral_constantIbLb0EES15_IbLb1EEEEDaS11_S12_EUlS11_E_NS1_11comp_targetILNS1_3genE2ELNS1_11target_archE906ELNS1_3gpuE6ELNS1_3repE0EEENS1_30default_config_static_selectorELNS0_4arch9wavefront6targetE0EEEvT1_,"axG",@progbits,_ZN7rocprim17ROCPRIM_400000_NS6detail17trampoline_kernelINS0_14default_configENS1_29reduce_by_key_config_selectorIjiN6thrust23THRUST_200600_302600_NS4plusIiEEEEZZNS1_33reduce_by_key_impl_wrapped_configILNS1_25lookback_scan_determinismE0ES3_S9_NS6_6detail15normal_iteratorINS6_10device_ptrIjEEEENSD_INSE_IiEEEENS6_16discard_iteratorINS6_11use_defaultEEESI_PmS8_NS6_8equal_toIjEEEE10hipError_tPvRmT2_T3_mT4_T5_T6_T7_T8_P12ihipStream_tbENKUlT_T0_E_clISt17integral_constantIbLb0EES15_IbLb1EEEEDaS11_S12_EUlS11_E_NS1_11comp_targetILNS1_3genE2ELNS1_11target_archE906ELNS1_3gpuE6ELNS1_3repE0EEENS1_30default_config_static_selectorELNS0_4arch9wavefront6targetE0EEEvT1_,comdat
.Lfunc_end1052:
	.size	_ZN7rocprim17ROCPRIM_400000_NS6detail17trampoline_kernelINS0_14default_configENS1_29reduce_by_key_config_selectorIjiN6thrust23THRUST_200600_302600_NS4plusIiEEEEZZNS1_33reduce_by_key_impl_wrapped_configILNS1_25lookback_scan_determinismE0ES3_S9_NS6_6detail15normal_iteratorINS6_10device_ptrIjEEEENSD_INSE_IiEEEENS6_16discard_iteratorINS6_11use_defaultEEESI_PmS8_NS6_8equal_toIjEEEE10hipError_tPvRmT2_T3_mT4_T5_T6_T7_T8_P12ihipStream_tbENKUlT_T0_E_clISt17integral_constantIbLb0EES15_IbLb1EEEEDaS11_S12_EUlS11_E_NS1_11comp_targetILNS1_3genE2ELNS1_11target_archE906ELNS1_3gpuE6ELNS1_3repE0EEENS1_30default_config_static_selectorELNS0_4arch9wavefront6targetE0EEEvT1_, .Lfunc_end1052-_ZN7rocprim17ROCPRIM_400000_NS6detail17trampoline_kernelINS0_14default_configENS1_29reduce_by_key_config_selectorIjiN6thrust23THRUST_200600_302600_NS4plusIiEEEEZZNS1_33reduce_by_key_impl_wrapped_configILNS1_25lookback_scan_determinismE0ES3_S9_NS6_6detail15normal_iteratorINS6_10device_ptrIjEEEENSD_INSE_IiEEEENS6_16discard_iteratorINS6_11use_defaultEEESI_PmS8_NS6_8equal_toIjEEEE10hipError_tPvRmT2_T3_mT4_T5_T6_T7_T8_P12ihipStream_tbENKUlT_T0_E_clISt17integral_constantIbLb0EES15_IbLb1EEEEDaS11_S12_EUlS11_E_NS1_11comp_targetILNS1_3genE2ELNS1_11target_archE906ELNS1_3gpuE6ELNS1_3repE0EEENS1_30default_config_static_selectorELNS0_4arch9wavefront6targetE0EEEvT1_
                                        ; -- End function
	.section	.AMDGPU.csdata,"",@progbits
; Kernel info:
; codeLenInByte = 0
; NumSgprs: 0
; NumVgprs: 0
; ScratchSize: 0
; MemoryBound: 0
; FloatMode: 240
; IeeeMode: 1
; LDSByteSize: 0 bytes/workgroup (compile time only)
; SGPRBlocks: 0
; VGPRBlocks: 0
; NumSGPRsForWavesPerEU: 1
; NumVGPRsForWavesPerEU: 1
; Occupancy: 16
; WaveLimiterHint : 0
; COMPUTE_PGM_RSRC2:SCRATCH_EN: 0
; COMPUTE_PGM_RSRC2:USER_SGPR: 15
; COMPUTE_PGM_RSRC2:TRAP_HANDLER: 0
; COMPUTE_PGM_RSRC2:TGID_X_EN: 1
; COMPUTE_PGM_RSRC2:TGID_Y_EN: 0
; COMPUTE_PGM_RSRC2:TGID_Z_EN: 0
; COMPUTE_PGM_RSRC2:TIDIG_COMP_CNT: 0
	.section	.text._ZN7rocprim17ROCPRIM_400000_NS6detail17trampoline_kernelINS0_14default_configENS1_29reduce_by_key_config_selectorIjiN6thrust23THRUST_200600_302600_NS4plusIiEEEEZZNS1_33reduce_by_key_impl_wrapped_configILNS1_25lookback_scan_determinismE0ES3_S9_NS6_6detail15normal_iteratorINS6_10device_ptrIjEEEENSD_INSE_IiEEEENS6_16discard_iteratorINS6_11use_defaultEEESI_PmS8_NS6_8equal_toIjEEEE10hipError_tPvRmT2_T3_mT4_T5_T6_T7_T8_P12ihipStream_tbENKUlT_T0_E_clISt17integral_constantIbLb0EES15_IbLb1EEEEDaS11_S12_EUlS11_E_NS1_11comp_targetILNS1_3genE10ELNS1_11target_archE1201ELNS1_3gpuE5ELNS1_3repE0EEENS1_30default_config_static_selectorELNS0_4arch9wavefront6targetE0EEEvT1_,"axG",@progbits,_ZN7rocprim17ROCPRIM_400000_NS6detail17trampoline_kernelINS0_14default_configENS1_29reduce_by_key_config_selectorIjiN6thrust23THRUST_200600_302600_NS4plusIiEEEEZZNS1_33reduce_by_key_impl_wrapped_configILNS1_25lookback_scan_determinismE0ES3_S9_NS6_6detail15normal_iteratorINS6_10device_ptrIjEEEENSD_INSE_IiEEEENS6_16discard_iteratorINS6_11use_defaultEEESI_PmS8_NS6_8equal_toIjEEEE10hipError_tPvRmT2_T3_mT4_T5_T6_T7_T8_P12ihipStream_tbENKUlT_T0_E_clISt17integral_constantIbLb0EES15_IbLb1EEEEDaS11_S12_EUlS11_E_NS1_11comp_targetILNS1_3genE10ELNS1_11target_archE1201ELNS1_3gpuE5ELNS1_3repE0EEENS1_30default_config_static_selectorELNS0_4arch9wavefront6targetE0EEEvT1_,comdat
	.protected	_ZN7rocprim17ROCPRIM_400000_NS6detail17trampoline_kernelINS0_14default_configENS1_29reduce_by_key_config_selectorIjiN6thrust23THRUST_200600_302600_NS4plusIiEEEEZZNS1_33reduce_by_key_impl_wrapped_configILNS1_25lookback_scan_determinismE0ES3_S9_NS6_6detail15normal_iteratorINS6_10device_ptrIjEEEENSD_INSE_IiEEEENS6_16discard_iteratorINS6_11use_defaultEEESI_PmS8_NS6_8equal_toIjEEEE10hipError_tPvRmT2_T3_mT4_T5_T6_T7_T8_P12ihipStream_tbENKUlT_T0_E_clISt17integral_constantIbLb0EES15_IbLb1EEEEDaS11_S12_EUlS11_E_NS1_11comp_targetILNS1_3genE10ELNS1_11target_archE1201ELNS1_3gpuE5ELNS1_3repE0EEENS1_30default_config_static_selectorELNS0_4arch9wavefront6targetE0EEEvT1_ ; -- Begin function _ZN7rocprim17ROCPRIM_400000_NS6detail17trampoline_kernelINS0_14default_configENS1_29reduce_by_key_config_selectorIjiN6thrust23THRUST_200600_302600_NS4plusIiEEEEZZNS1_33reduce_by_key_impl_wrapped_configILNS1_25lookback_scan_determinismE0ES3_S9_NS6_6detail15normal_iteratorINS6_10device_ptrIjEEEENSD_INSE_IiEEEENS6_16discard_iteratorINS6_11use_defaultEEESI_PmS8_NS6_8equal_toIjEEEE10hipError_tPvRmT2_T3_mT4_T5_T6_T7_T8_P12ihipStream_tbENKUlT_T0_E_clISt17integral_constantIbLb0EES15_IbLb1EEEEDaS11_S12_EUlS11_E_NS1_11comp_targetILNS1_3genE10ELNS1_11target_archE1201ELNS1_3gpuE5ELNS1_3repE0EEENS1_30default_config_static_selectorELNS0_4arch9wavefront6targetE0EEEvT1_
	.globl	_ZN7rocprim17ROCPRIM_400000_NS6detail17trampoline_kernelINS0_14default_configENS1_29reduce_by_key_config_selectorIjiN6thrust23THRUST_200600_302600_NS4plusIiEEEEZZNS1_33reduce_by_key_impl_wrapped_configILNS1_25lookback_scan_determinismE0ES3_S9_NS6_6detail15normal_iteratorINS6_10device_ptrIjEEEENSD_INSE_IiEEEENS6_16discard_iteratorINS6_11use_defaultEEESI_PmS8_NS6_8equal_toIjEEEE10hipError_tPvRmT2_T3_mT4_T5_T6_T7_T8_P12ihipStream_tbENKUlT_T0_E_clISt17integral_constantIbLb0EES15_IbLb1EEEEDaS11_S12_EUlS11_E_NS1_11comp_targetILNS1_3genE10ELNS1_11target_archE1201ELNS1_3gpuE5ELNS1_3repE0EEENS1_30default_config_static_selectorELNS0_4arch9wavefront6targetE0EEEvT1_
	.p2align	8
	.type	_ZN7rocprim17ROCPRIM_400000_NS6detail17trampoline_kernelINS0_14default_configENS1_29reduce_by_key_config_selectorIjiN6thrust23THRUST_200600_302600_NS4plusIiEEEEZZNS1_33reduce_by_key_impl_wrapped_configILNS1_25lookback_scan_determinismE0ES3_S9_NS6_6detail15normal_iteratorINS6_10device_ptrIjEEEENSD_INSE_IiEEEENS6_16discard_iteratorINS6_11use_defaultEEESI_PmS8_NS6_8equal_toIjEEEE10hipError_tPvRmT2_T3_mT4_T5_T6_T7_T8_P12ihipStream_tbENKUlT_T0_E_clISt17integral_constantIbLb0EES15_IbLb1EEEEDaS11_S12_EUlS11_E_NS1_11comp_targetILNS1_3genE10ELNS1_11target_archE1201ELNS1_3gpuE5ELNS1_3repE0EEENS1_30default_config_static_selectorELNS0_4arch9wavefront6targetE0EEEvT1_,@function
_ZN7rocprim17ROCPRIM_400000_NS6detail17trampoline_kernelINS0_14default_configENS1_29reduce_by_key_config_selectorIjiN6thrust23THRUST_200600_302600_NS4plusIiEEEEZZNS1_33reduce_by_key_impl_wrapped_configILNS1_25lookback_scan_determinismE0ES3_S9_NS6_6detail15normal_iteratorINS6_10device_ptrIjEEEENSD_INSE_IiEEEENS6_16discard_iteratorINS6_11use_defaultEEESI_PmS8_NS6_8equal_toIjEEEE10hipError_tPvRmT2_T3_mT4_T5_T6_T7_T8_P12ihipStream_tbENKUlT_T0_E_clISt17integral_constantIbLb0EES15_IbLb1EEEEDaS11_S12_EUlS11_E_NS1_11comp_targetILNS1_3genE10ELNS1_11target_archE1201ELNS1_3gpuE5ELNS1_3repE0EEENS1_30default_config_static_selectorELNS0_4arch9wavefront6targetE0EEEvT1_: ; @_ZN7rocprim17ROCPRIM_400000_NS6detail17trampoline_kernelINS0_14default_configENS1_29reduce_by_key_config_selectorIjiN6thrust23THRUST_200600_302600_NS4plusIiEEEEZZNS1_33reduce_by_key_impl_wrapped_configILNS1_25lookback_scan_determinismE0ES3_S9_NS6_6detail15normal_iteratorINS6_10device_ptrIjEEEENSD_INSE_IiEEEENS6_16discard_iteratorINS6_11use_defaultEEESI_PmS8_NS6_8equal_toIjEEEE10hipError_tPvRmT2_T3_mT4_T5_T6_T7_T8_P12ihipStream_tbENKUlT_T0_E_clISt17integral_constantIbLb0EES15_IbLb1EEEEDaS11_S12_EUlS11_E_NS1_11comp_targetILNS1_3genE10ELNS1_11target_archE1201ELNS1_3gpuE5ELNS1_3repE0EEENS1_30default_config_static_selectorELNS0_4arch9wavefront6targetE0EEEvT1_
; %bb.0:
	.section	.rodata,"a",@progbits
	.p2align	6, 0x0
	.amdhsa_kernel _ZN7rocprim17ROCPRIM_400000_NS6detail17trampoline_kernelINS0_14default_configENS1_29reduce_by_key_config_selectorIjiN6thrust23THRUST_200600_302600_NS4plusIiEEEEZZNS1_33reduce_by_key_impl_wrapped_configILNS1_25lookback_scan_determinismE0ES3_S9_NS6_6detail15normal_iteratorINS6_10device_ptrIjEEEENSD_INSE_IiEEEENS6_16discard_iteratorINS6_11use_defaultEEESI_PmS8_NS6_8equal_toIjEEEE10hipError_tPvRmT2_T3_mT4_T5_T6_T7_T8_P12ihipStream_tbENKUlT_T0_E_clISt17integral_constantIbLb0EES15_IbLb1EEEEDaS11_S12_EUlS11_E_NS1_11comp_targetILNS1_3genE10ELNS1_11target_archE1201ELNS1_3gpuE5ELNS1_3repE0EEENS1_30default_config_static_selectorELNS0_4arch9wavefront6targetE0EEEvT1_
		.amdhsa_group_segment_fixed_size 0
		.amdhsa_private_segment_fixed_size 0
		.amdhsa_kernarg_size 128
		.amdhsa_user_sgpr_count 15
		.amdhsa_user_sgpr_dispatch_ptr 0
		.amdhsa_user_sgpr_queue_ptr 0
		.amdhsa_user_sgpr_kernarg_segment_ptr 1
		.amdhsa_user_sgpr_dispatch_id 0
		.amdhsa_user_sgpr_private_segment_size 0
		.amdhsa_wavefront_size32 1
		.amdhsa_uses_dynamic_stack 0
		.amdhsa_enable_private_segment 0
		.amdhsa_system_sgpr_workgroup_id_x 1
		.amdhsa_system_sgpr_workgroup_id_y 0
		.amdhsa_system_sgpr_workgroup_id_z 0
		.amdhsa_system_sgpr_workgroup_info 0
		.amdhsa_system_vgpr_workitem_id 0
		.amdhsa_next_free_vgpr 1
		.amdhsa_next_free_sgpr 1
		.amdhsa_reserve_vcc 0
		.amdhsa_float_round_mode_32 0
		.amdhsa_float_round_mode_16_64 0
		.amdhsa_float_denorm_mode_32 3
		.amdhsa_float_denorm_mode_16_64 3
		.amdhsa_dx10_clamp 1
		.amdhsa_ieee_mode 1
		.amdhsa_fp16_overflow 0
		.amdhsa_workgroup_processor_mode 1
		.amdhsa_memory_ordered 1
		.amdhsa_forward_progress 0
		.amdhsa_shared_vgpr_count 0
		.amdhsa_exception_fp_ieee_invalid_op 0
		.amdhsa_exception_fp_denorm_src 0
		.amdhsa_exception_fp_ieee_div_zero 0
		.amdhsa_exception_fp_ieee_overflow 0
		.amdhsa_exception_fp_ieee_underflow 0
		.amdhsa_exception_fp_ieee_inexact 0
		.amdhsa_exception_int_div_zero 0
	.end_amdhsa_kernel
	.section	.text._ZN7rocprim17ROCPRIM_400000_NS6detail17trampoline_kernelINS0_14default_configENS1_29reduce_by_key_config_selectorIjiN6thrust23THRUST_200600_302600_NS4plusIiEEEEZZNS1_33reduce_by_key_impl_wrapped_configILNS1_25lookback_scan_determinismE0ES3_S9_NS6_6detail15normal_iteratorINS6_10device_ptrIjEEEENSD_INSE_IiEEEENS6_16discard_iteratorINS6_11use_defaultEEESI_PmS8_NS6_8equal_toIjEEEE10hipError_tPvRmT2_T3_mT4_T5_T6_T7_T8_P12ihipStream_tbENKUlT_T0_E_clISt17integral_constantIbLb0EES15_IbLb1EEEEDaS11_S12_EUlS11_E_NS1_11comp_targetILNS1_3genE10ELNS1_11target_archE1201ELNS1_3gpuE5ELNS1_3repE0EEENS1_30default_config_static_selectorELNS0_4arch9wavefront6targetE0EEEvT1_,"axG",@progbits,_ZN7rocprim17ROCPRIM_400000_NS6detail17trampoline_kernelINS0_14default_configENS1_29reduce_by_key_config_selectorIjiN6thrust23THRUST_200600_302600_NS4plusIiEEEEZZNS1_33reduce_by_key_impl_wrapped_configILNS1_25lookback_scan_determinismE0ES3_S9_NS6_6detail15normal_iteratorINS6_10device_ptrIjEEEENSD_INSE_IiEEEENS6_16discard_iteratorINS6_11use_defaultEEESI_PmS8_NS6_8equal_toIjEEEE10hipError_tPvRmT2_T3_mT4_T5_T6_T7_T8_P12ihipStream_tbENKUlT_T0_E_clISt17integral_constantIbLb0EES15_IbLb1EEEEDaS11_S12_EUlS11_E_NS1_11comp_targetILNS1_3genE10ELNS1_11target_archE1201ELNS1_3gpuE5ELNS1_3repE0EEENS1_30default_config_static_selectorELNS0_4arch9wavefront6targetE0EEEvT1_,comdat
.Lfunc_end1053:
	.size	_ZN7rocprim17ROCPRIM_400000_NS6detail17trampoline_kernelINS0_14default_configENS1_29reduce_by_key_config_selectorIjiN6thrust23THRUST_200600_302600_NS4plusIiEEEEZZNS1_33reduce_by_key_impl_wrapped_configILNS1_25lookback_scan_determinismE0ES3_S9_NS6_6detail15normal_iteratorINS6_10device_ptrIjEEEENSD_INSE_IiEEEENS6_16discard_iteratorINS6_11use_defaultEEESI_PmS8_NS6_8equal_toIjEEEE10hipError_tPvRmT2_T3_mT4_T5_T6_T7_T8_P12ihipStream_tbENKUlT_T0_E_clISt17integral_constantIbLb0EES15_IbLb1EEEEDaS11_S12_EUlS11_E_NS1_11comp_targetILNS1_3genE10ELNS1_11target_archE1201ELNS1_3gpuE5ELNS1_3repE0EEENS1_30default_config_static_selectorELNS0_4arch9wavefront6targetE0EEEvT1_, .Lfunc_end1053-_ZN7rocprim17ROCPRIM_400000_NS6detail17trampoline_kernelINS0_14default_configENS1_29reduce_by_key_config_selectorIjiN6thrust23THRUST_200600_302600_NS4plusIiEEEEZZNS1_33reduce_by_key_impl_wrapped_configILNS1_25lookback_scan_determinismE0ES3_S9_NS6_6detail15normal_iteratorINS6_10device_ptrIjEEEENSD_INSE_IiEEEENS6_16discard_iteratorINS6_11use_defaultEEESI_PmS8_NS6_8equal_toIjEEEE10hipError_tPvRmT2_T3_mT4_T5_T6_T7_T8_P12ihipStream_tbENKUlT_T0_E_clISt17integral_constantIbLb0EES15_IbLb1EEEEDaS11_S12_EUlS11_E_NS1_11comp_targetILNS1_3genE10ELNS1_11target_archE1201ELNS1_3gpuE5ELNS1_3repE0EEENS1_30default_config_static_selectorELNS0_4arch9wavefront6targetE0EEEvT1_
                                        ; -- End function
	.section	.AMDGPU.csdata,"",@progbits
; Kernel info:
; codeLenInByte = 0
; NumSgprs: 0
; NumVgprs: 0
; ScratchSize: 0
; MemoryBound: 0
; FloatMode: 240
; IeeeMode: 1
; LDSByteSize: 0 bytes/workgroup (compile time only)
; SGPRBlocks: 0
; VGPRBlocks: 0
; NumSGPRsForWavesPerEU: 1
; NumVGPRsForWavesPerEU: 1
; Occupancy: 16
; WaveLimiterHint : 0
; COMPUTE_PGM_RSRC2:SCRATCH_EN: 0
; COMPUTE_PGM_RSRC2:USER_SGPR: 15
; COMPUTE_PGM_RSRC2:TRAP_HANDLER: 0
; COMPUTE_PGM_RSRC2:TGID_X_EN: 1
; COMPUTE_PGM_RSRC2:TGID_Y_EN: 0
; COMPUTE_PGM_RSRC2:TGID_Z_EN: 0
; COMPUTE_PGM_RSRC2:TIDIG_COMP_CNT: 0
	.section	.text._ZN7rocprim17ROCPRIM_400000_NS6detail17trampoline_kernelINS0_14default_configENS1_29reduce_by_key_config_selectorIjiN6thrust23THRUST_200600_302600_NS4plusIiEEEEZZNS1_33reduce_by_key_impl_wrapped_configILNS1_25lookback_scan_determinismE0ES3_S9_NS6_6detail15normal_iteratorINS6_10device_ptrIjEEEENSD_INSE_IiEEEENS6_16discard_iteratorINS6_11use_defaultEEESI_PmS8_NS6_8equal_toIjEEEE10hipError_tPvRmT2_T3_mT4_T5_T6_T7_T8_P12ihipStream_tbENKUlT_T0_E_clISt17integral_constantIbLb0EES15_IbLb1EEEEDaS11_S12_EUlS11_E_NS1_11comp_targetILNS1_3genE10ELNS1_11target_archE1200ELNS1_3gpuE4ELNS1_3repE0EEENS1_30default_config_static_selectorELNS0_4arch9wavefront6targetE0EEEvT1_,"axG",@progbits,_ZN7rocprim17ROCPRIM_400000_NS6detail17trampoline_kernelINS0_14default_configENS1_29reduce_by_key_config_selectorIjiN6thrust23THRUST_200600_302600_NS4plusIiEEEEZZNS1_33reduce_by_key_impl_wrapped_configILNS1_25lookback_scan_determinismE0ES3_S9_NS6_6detail15normal_iteratorINS6_10device_ptrIjEEEENSD_INSE_IiEEEENS6_16discard_iteratorINS6_11use_defaultEEESI_PmS8_NS6_8equal_toIjEEEE10hipError_tPvRmT2_T3_mT4_T5_T6_T7_T8_P12ihipStream_tbENKUlT_T0_E_clISt17integral_constantIbLb0EES15_IbLb1EEEEDaS11_S12_EUlS11_E_NS1_11comp_targetILNS1_3genE10ELNS1_11target_archE1200ELNS1_3gpuE4ELNS1_3repE0EEENS1_30default_config_static_selectorELNS0_4arch9wavefront6targetE0EEEvT1_,comdat
	.protected	_ZN7rocprim17ROCPRIM_400000_NS6detail17trampoline_kernelINS0_14default_configENS1_29reduce_by_key_config_selectorIjiN6thrust23THRUST_200600_302600_NS4plusIiEEEEZZNS1_33reduce_by_key_impl_wrapped_configILNS1_25lookback_scan_determinismE0ES3_S9_NS6_6detail15normal_iteratorINS6_10device_ptrIjEEEENSD_INSE_IiEEEENS6_16discard_iteratorINS6_11use_defaultEEESI_PmS8_NS6_8equal_toIjEEEE10hipError_tPvRmT2_T3_mT4_T5_T6_T7_T8_P12ihipStream_tbENKUlT_T0_E_clISt17integral_constantIbLb0EES15_IbLb1EEEEDaS11_S12_EUlS11_E_NS1_11comp_targetILNS1_3genE10ELNS1_11target_archE1200ELNS1_3gpuE4ELNS1_3repE0EEENS1_30default_config_static_selectorELNS0_4arch9wavefront6targetE0EEEvT1_ ; -- Begin function _ZN7rocprim17ROCPRIM_400000_NS6detail17trampoline_kernelINS0_14default_configENS1_29reduce_by_key_config_selectorIjiN6thrust23THRUST_200600_302600_NS4plusIiEEEEZZNS1_33reduce_by_key_impl_wrapped_configILNS1_25lookback_scan_determinismE0ES3_S9_NS6_6detail15normal_iteratorINS6_10device_ptrIjEEEENSD_INSE_IiEEEENS6_16discard_iteratorINS6_11use_defaultEEESI_PmS8_NS6_8equal_toIjEEEE10hipError_tPvRmT2_T3_mT4_T5_T6_T7_T8_P12ihipStream_tbENKUlT_T0_E_clISt17integral_constantIbLb0EES15_IbLb1EEEEDaS11_S12_EUlS11_E_NS1_11comp_targetILNS1_3genE10ELNS1_11target_archE1200ELNS1_3gpuE4ELNS1_3repE0EEENS1_30default_config_static_selectorELNS0_4arch9wavefront6targetE0EEEvT1_
	.globl	_ZN7rocprim17ROCPRIM_400000_NS6detail17trampoline_kernelINS0_14default_configENS1_29reduce_by_key_config_selectorIjiN6thrust23THRUST_200600_302600_NS4plusIiEEEEZZNS1_33reduce_by_key_impl_wrapped_configILNS1_25lookback_scan_determinismE0ES3_S9_NS6_6detail15normal_iteratorINS6_10device_ptrIjEEEENSD_INSE_IiEEEENS6_16discard_iteratorINS6_11use_defaultEEESI_PmS8_NS6_8equal_toIjEEEE10hipError_tPvRmT2_T3_mT4_T5_T6_T7_T8_P12ihipStream_tbENKUlT_T0_E_clISt17integral_constantIbLb0EES15_IbLb1EEEEDaS11_S12_EUlS11_E_NS1_11comp_targetILNS1_3genE10ELNS1_11target_archE1200ELNS1_3gpuE4ELNS1_3repE0EEENS1_30default_config_static_selectorELNS0_4arch9wavefront6targetE0EEEvT1_
	.p2align	8
	.type	_ZN7rocprim17ROCPRIM_400000_NS6detail17trampoline_kernelINS0_14default_configENS1_29reduce_by_key_config_selectorIjiN6thrust23THRUST_200600_302600_NS4plusIiEEEEZZNS1_33reduce_by_key_impl_wrapped_configILNS1_25lookback_scan_determinismE0ES3_S9_NS6_6detail15normal_iteratorINS6_10device_ptrIjEEEENSD_INSE_IiEEEENS6_16discard_iteratorINS6_11use_defaultEEESI_PmS8_NS6_8equal_toIjEEEE10hipError_tPvRmT2_T3_mT4_T5_T6_T7_T8_P12ihipStream_tbENKUlT_T0_E_clISt17integral_constantIbLb0EES15_IbLb1EEEEDaS11_S12_EUlS11_E_NS1_11comp_targetILNS1_3genE10ELNS1_11target_archE1200ELNS1_3gpuE4ELNS1_3repE0EEENS1_30default_config_static_selectorELNS0_4arch9wavefront6targetE0EEEvT1_,@function
_ZN7rocprim17ROCPRIM_400000_NS6detail17trampoline_kernelINS0_14default_configENS1_29reduce_by_key_config_selectorIjiN6thrust23THRUST_200600_302600_NS4plusIiEEEEZZNS1_33reduce_by_key_impl_wrapped_configILNS1_25lookback_scan_determinismE0ES3_S9_NS6_6detail15normal_iteratorINS6_10device_ptrIjEEEENSD_INSE_IiEEEENS6_16discard_iteratorINS6_11use_defaultEEESI_PmS8_NS6_8equal_toIjEEEE10hipError_tPvRmT2_T3_mT4_T5_T6_T7_T8_P12ihipStream_tbENKUlT_T0_E_clISt17integral_constantIbLb0EES15_IbLb1EEEEDaS11_S12_EUlS11_E_NS1_11comp_targetILNS1_3genE10ELNS1_11target_archE1200ELNS1_3gpuE4ELNS1_3repE0EEENS1_30default_config_static_selectorELNS0_4arch9wavefront6targetE0EEEvT1_: ; @_ZN7rocprim17ROCPRIM_400000_NS6detail17trampoline_kernelINS0_14default_configENS1_29reduce_by_key_config_selectorIjiN6thrust23THRUST_200600_302600_NS4plusIiEEEEZZNS1_33reduce_by_key_impl_wrapped_configILNS1_25lookback_scan_determinismE0ES3_S9_NS6_6detail15normal_iteratorINS6_10device_ptrIjEEEENSD_INSE_IiEEEENS6_16discard_iteratorINS6_11use_defaultEEESI_PmS8_NS6_8equal_toIjEEEE10hipError_tPvRmT2_T3_mT4_T5_T6_T7_T8_P12ihipStream_tbENKUlT_T0_E_clISt17integral_constantIbLb0EES15_IbLb1EEEEDaS11_S12_EUlS11_E_NS1_11comp_targetILNS1_3genE10ELNS1_11target_archE1200ELNS1_3gpuE4ELNS1_3repE0EEENS1_30default_config_static_selectorELNS0_4arch9wavefront6targetE0EEEvT1_
; %bb.0:
	.section	.rodata,"a",@progbits
	.p2align	6, 0x0
	.amdhsa_kernel _ZN7rocprim17ROCPRIM_400000_NS6detail17trampoline_kernelINS0_14default_configENS1_29reduce_by_key_config_selectorIjiN6thrust23THRUST_200600_302600_NS4plusIiEEEEZZNS1_33reduce_by_key_impl_wrapped_configILNS1_25lookback_scan_determinismE0ES3_S9_NS6_6detail15normal_iteratorINS6_10device_ptrIjEEEENSD_INSE_IiEEEENS6_16discard_iteratorINS6_11use_defaultEEESI_PmS8_NS6_8equal_toIjEEEE10hipError_tPvRmT2_T3_mT4_T5_T6_T7_T8_P12ihipStream_tbENKUlT_T0_E_clISt17integral_constantIbLb0EES15_IbLb1EEEEDaS11_S12_EUlS11_E_NS1_11comp_targetILNS1_3genE10ELNS1_11target_archE1200ELNS1_3gpuE4ELNS1_3repE0EEENS1_30default_config_static_selectorELNS0_4arch9wavefront6targetE0EEEvT1_
		.amdhsa_group_segment_fixed_size 0
		.amdhsa_private_segment_fixed_size 0
		.amdhsa_kernarg_size 128
		.amdhsa_user_sgpr_count 15
		.amdhsa_user_sgpr_dispatch_ptr 0
		.amdhsa_user_sgpr_queue_ptr 0
		.amdhsa_user_sgpr_kernarg_segment_ptr 1
		.amdhsa_user_sgpr_dispatch_id 0
		.amdhsa_user_sgpr_private_segment_size 0
		.amdhsa_wavefront_size32 1
		.amdhsa_uses_dynamic_stack 0
		.amdhsa_enable_private_segment 0
		.amdhsa_system_sgpr_workgroup_id_x 1
		.amdhsa_system_sgpr_workgroup_id_y 0
		.amdhsa_system_sgpr_workgroup_id_z 0
		.amdhsa_system_sgpr_workgroup_info 0
		.amdhsa_system_vgpr_workitem_id 0
		.amdhsa_next_free_vgpr 1
		.amdhsa_next_free_sgpr 1
		.amdhsa_reserve_vcc 0
		.amdhsa_float_round_mode_32 0
		.amdhsa_float_round_mode_16_64 0
		.amdhsa_float_denorm_mode_32 3
		.amdhsa_float_denorm_mode_16_64 3
		.amdhsa_dx10_clamp 1
		.amdhsa_ieee_mode 1
		.amdhsa_fp16_overflow 0
		.amdhsa_workgroup_processor_mode 1
		.amdhsa_memory_ordered 1
		.amdhsa_forward_progress 0
		.amdhsa_shared_vgpr_count 0
		.amdhsa_exception_fp_ieee_invalid_op 0
		.amdhsa_exception_fp_denorm_src 0
		.amdhsa_exception_fp_ieee_div_zero 0
		.amdhsa_exception_fp_ieee_overflow 0
		.amdhsa_exception_fp_ieee_underflow 0
		.amdhsa_exception_fp_ieee_inexact 0
		.amdhsa_exception_int_div_zero 0
	.end_amdhsa_kernel
	.section	.text._ZN7rocprim17ROCPRIM_400000_NS6detail17trampoline_kernelINS0_14default_configENS1_29reduce_by_key_config_selectorIjiN6thrust23THRUST_200600_302600_NS4plusIiEEEEZZNS1_33reduce_by_key_impl_wrapped_configILNS1_25lookback_scan_determinismE0ES3_S9_NS6_6detail15normal_iteratorINS6_10device_ptrIjEEEENSD_INSE_IiEEEENS6_16discard_iteratorINS6_11use_defaultEEESI_PmS8_NS6_8equal_toIjEEEE10hipError_tPvRmT2_T3_mT4_T5_T6_T7_T8_P12ihipStream_tbENKUlT_T0_E_clISt17integral_constantIbLb0EES15_IbLb1EEEEDaS11_S12_EUlS11_E_NS1_11comp_targetILNS1_3genE10ELNS1_11target_archE1200ELNS1_3gpuE4ELNS1_3repE0EEENS1_30default_config_static_selectorELNS0_4arch9wavefront6targetE0EEEvT1_,"axG",@progbits,_ZN7rocprim17ROCPRIM_400000_NS6detail17trampoline_kernelINS0_14default_configENS1_29reduce_by_key_config_selectorIjiN6thrust23THRUST_200600_302600_NS4plusIiEEEEZZNS1_33reduce_by_key_impl_wrapped_configILNS1_25lookback_scan_determinismE0ES3_S9_NS6_6detail15normal_iteratorINS6_10device_ptrIjEEEENSD_INSE_IiEEEENS6_16discard_iteratorINS6_11use_defaultEEESI_PmS8_NS6_8equal_toIjEEEE10hipError_tPvRmT2_T3_mT4_T5_T6_T7_T8_P12ihipStream_tbENKUlT_T0_E_clISt17integral_constantIbLb0EES15_IbLb1EEEEDaS11_S12_EUlS11_E_NS1_11comp_targetILNS1_3genE10ELNS1_11target_archE1200ELNS1_3gpuE4ELNS1_3repE0EEENS1_30default_config_static_selectorELNS0_4arch9wavefront6targetE0EEEvT1_,comdat
.Lfunc_end1054:
	.size	_ZN7rocprim17ROCPRIM_400000_NS6detail17trampoline_kernelINS0_14default_configENS1_29reduce_by_key_config_selectorIjiN6thrust23THRUST_200600_302600_NS4plusIiEEEEZZNS1_33reduce_by_key_impl_wrapped_configILNS1_25lookback_scan_determinismE0ES3_S9_NS6_6detail15normal_iteratorINS6_10device_ptrIjEEEENSD_INSE_IiEEEENS6_16discard_iteratorINS6_11use_defaultEEESI_PmS8_NS6_8equal_toIjEEEE10hipError_tPvRmT2_T3_mT4_T5_T6_T7_T8_P12ihipStream_tbENKUlT_T0_E_clISt17integral_constantIbLb0EES15_IbLb1EEEEDaS11_S12_EUlS11_E_NS1_11comp_targetILNS1_3genE10ELNS1_11target_archE1200ELNS1_3gpuE4ELNS1_3repE0EEENS1_30default_config_static_selectorELNS0_4arch9wavefront6targetE0EEEvT1_, .Lfunc_end1054-_ZN7rocprim17ROCPRIM_400000_NS6detail17trampoline_kernelINS0_14default_configENS1_29reduce_by_key_config_selectorIjiN6thrust23THRUST_200600_302600_NS4plusIiEEEEZZNS1_33reduce_by_key_impl_wrapped_configILNS1_25lookback_scan_determinismE0ES3_S9_NS6_6detail15normal_iteratorINS6_10device_ptrIjEEEENSD_INSE_IiEEEENS6_16discard_iteratorINS6_11use_defaultEEESI_PmS8_NS6_8equal_toIjEEEE10hipError_tPvRmT2_T3_mT4_T5_T6_T7_T8_P12ihipStream_tbENKUlT_T0_E_clISt17integral_constantIbLb0EES15_IbLb1EEEEDaS11_S12_EUlS11_E_NS1_11comp_targetILNS1_3genE10ELNS1_11target_archE1200ELNS1_3gpuE4ELNS1_3repE0EEENS1_30default_config_static_selectorELNS0_4arch9wavefront6targetE0EEEvT1_
                                        ; -- End function
	.section	.AMDGPU.csdata,"",@progbits
; Kernel info:
; codeLenInByte = 0
; NumSgprs: 0
; NumVgprs: 0
; ScratchSize: 0
; MemoryBound: 0
; FloatMode: 240
; IeeeMode: 1
; LDSByteSize: 0 bytes/workgroup (compile time only)
; SGPRBlocks: 0
; VGPRBlocks: 0
; NumSGPRsForWavesPerEU: 1
; NumVGPRsForWavesPerEU: 1
; Occupancy: 16
; WaveLimiterHint : 0
; COMPUTE_PGM_RSRC2:SCRATCH_EN: 0
; COMPUTE_PGM_RSRC2:USER_SGPR: 15
; COMPUTE_PGM_RSRC2:TRAP_HANDLER: 0
; COMPUTE_PGM_RSRC2:TGID_X_EN: 1
; COMPUTE_PGM_RSRC2:TGID_Y_EN: 0
; COMPUTE_PGM_RSRC2:TGID_Z_EN: 0
; COMPUTE_PGM_RSRC2:TIDIG_COMP_CNT: 0
	.section	.text._ZN7rocprim17ROCPRIM_400000_NS6detail17trampoline_kernelINS0_14default_configENS1_29reduce_by_key_config_selectorIjiN6thrust23THRUST_200600_302600_NS4plusIiEEEEZZNS1_33reduce_by_key_impl_wrapped_configILNS1_25lookback_scan_determinismE0ES3_S9_NS6_6detail15normal_iteratorINS6_10device_ptrIjEEEENSD_INSE_IiEEEENS6_16discard_iteratorINS6_11use_defaultEEESI_PmS8_NS6_8equal_toIjEEEE10hipError_tPvRmT2_T3_mT4_T5_T6_T7_T8_P12ihipStream_tbENKUlT_T0_E_clISt17integral_constantIbLb0EES15_IbLb1EEEEDaS11_S12_EUlS11_E_NS1_11comp_targetILNS1_3genE9ELNS1_11target_archE1100ELNS1_3gpuE3ELNS1_3repE0EEENS1_30default_config_static_selectorELNS0_4arch9wavefront6targetE0EEEvT1_,"axG",@progbits,_ZN7rocprim17ROCPRIM_400000_NS6detail17trampoline_kernelINS0_14default_configENS1_29reduce_by_key_config_selectorIjiN6thrust23THRUST_200600_302600_NS4plusIiEEEEZZNS1_33reduce_by_key_impl_wrapped_configILNS1_25lookback_scan_determinismE0ES3_S9_NS6_6detail15normal_iteratorINS6_10device_ptrIjEEEENSD_INSE_IiEEEENS6_16discard_iteratorINS6_11use_defaultEEESI_PmS8_NS6_8equal_toIjEEEE10hipError_tPvRmT2_T3_mT4_T5_T6_T7_T8_P12ihipStream_tbENKUlT_T0_E_clISt17integral_constantIbLb0EES15_IbLb1EEEEDaS11_S12_EUlS11_E_NS1_11comp_targetILNS1_3genE9ELNS1_11target_archE1100ELNS1_3gpuE3ELNS1_3repE0EEENS1_30default_config_static_selectorELNS0_4arch9wavefront6targetE0EEEvT1_,comdat
	.protected	_ZN7rocprim17ROCPRIM_400000_NS6detail17trampoline_kernelINS0_14default_configENS1_29reduce_by_key_config_selectorIjiN6thrust23THRUST_200600_302600_NS4plusIiEEEEZZNS1_33reduce_by_key_impl_wrapped_configILNS1_25lookback_scan_determinismE0ES3_S9_NS6_6detail15normal_iteratorINS6_10device_ptrIjEEEENSD_INSE_IiEEEENS6_16discard_iteratorINS6_11use_defaultEEESI_PmS8_NS6_8equal_toIjEEEE10hipError_tPvRmT2_T3_mT4_T5_T6_T7_T8_P12ihipStream_tbENKUlT_T0_E_clISt17integral_constantIbLb0EES15_IbLb1EEEEDaS11_S12_EUlS11_E_NS1_11comp_targetILNS1_3genE9ELNS1_11target_archE1100ELNS1_3gpuE3ELNS1_3repE0EEENS1_30default_config_static_selectorELNS0_4arch9wavefront6targetE0EEEvT1_ ; -- Begin function _ZN7rocprim17ROCPRIM_400000_NS6detail17trampoline_kernelINS0_14default_configENS1_29reduce_by_key_config_selectorIjiN6thrust23THRUST_200600_302600_NS4plusIiEEEEZZNS1_33reduce_by_key_impl_wrapped_configILNS1_25lookback_scan_determinismE0ES3_S9_NS6_6detail15normal_iteratorINS6_10device_ptrIjEEEENSD_INSE_IiEEEENS6_16discard_iteratorINS6_11use_defaultEEESI_PmS8_NS6_8equal_toIjEEEE10hipError_tPvRmT2_T3_mT4_T5_T6_T7_T8_P12ihipStream_tbENKUlT_T0_E_clISt17integral_constantIbLb0EES15_IbLb1EEEEDaS11_S12_EUlS11_E_NS1_11comp_targetILNS1_3genE9ELNS1_11target_archE1100ELNS1_3gpuE3ELNS1_3repE0EEENS1_30default_config_static_selectorELNS0_4arch9wavefront6targetE0EEEvT1_
	.globl	_ZN7rocprim17ROCPRIM_400000_NS6detail17trampoline_kernelINS0_14default_configENS1_29reduce_by_key_config_selectorIjiN6thrust23THRUST_200600_302600_NS4plusIiEEEEZZNS1_33reduce_by_key_impl_wrapped_configILNS1_25lookback_scan_determinismE0ES3_S9_NS6_6detail15normal_iteratorINS6_10device_ptrIjEEEENSD_INSE_IiEEEENS6_16discard_iteratorINS6_11use_defaultEEESI_PmS8_NS6_8equal_toIjEEEE10hipError_tPvRmT2_T3_mT4_T5_T6_T7_T8_P12ihipStream_tbENKUlT_T0_E_clISt17integral_constantIbLb0EES15_IbLb1EEEEDaS11_S12_EUlS11_E_NS1_11comp_targetILNS1_3genE9ELNS1_11target_archE1100ELNS1_3gpuE3ELNS1_3repE0EEENS1_30default_config_static_selectorELNS0_4arch9wavefront6targetE0EEEvT1_
	.p2align	8
	.type	_ZN7rocprim17ROCPRIM_400000_NS6detail17trampoline_kernelINS0_14default_configENS1_29reduce_by_key_config_selectorIjiN6thrust23THRUST_200600_302600_NS4plusIiEEEEZZNS1_33reduce_by_key_impl_wrapped_configILNS1_25lookback_scan_determinismE0ES3_S9_NS6_6detail15normal_iteratorINS6_10device_ptrIjEEEENSD_INSE_IiEEEENS6_16discard_iteratorINS6_11use_defaultEEESI_PmS8_NS6_8equal_toIjEEEE10hipError_tPvRmT2_T3_mT4_T5_T6_T7_T8_P12ihipStream_tbENKUlT_T0_E_clISt17integral_constantIbLb0EES15_IbLb1EEEEDaS11_S12_EUlS11_E_NS1_11comp_targetILNS1_3genE9ELNS1_11target_archE1100ELNS1_3gpuE3ELNS1_3repE0EEENS1_30default_config_static_selectorELNS0_4arch9wavefront6targetE0EEEvT1_,@function
_ZN7rocprim17ROCPRIM_400000_NS6detail17trampoline_kernelINS0_14default_configENS1_29reduce_by_key_config_selectorIjiN6thrust23THRUST_200600_302600_NS4plusIiEEEEZZNS1_33reduce_by_key_impl_wrapped_configILNS1_25lookback_scan_determinismE0ES3_S9_NS6_6detail15normal_iteratorINS6_10device_ptrIjEEEENSD_INSE_IiEEEENS6_16discard_iteratorINS6_11use_defaultEEESI_PmS8_NS6_8equal_toIjEEEE10hipError_tPvRmT2_T3_mT4_T5_T6_T7_T8_P12ihipStream_tbENKUlT_T0_E_clISt17integral_constantIbLb0EES15_IbLb1EEEEDaS11_S12_EUlS11_E_NS1_11comp_targetILNS1_3genE9ELNS1_11target_archE1100ELNS1_3gpuE3ELNS1_3repE0EEENS1_30default_config_static_selectorELNS0_4arch9wavefront6targetE0EEEvT1_: ; @_ZN7rocprim17ROCPRIM_400000_NS6detail17trampoline_kernelINS0_14default_configENS1_29reduce_by_key_config_selectorIjiN6thrust23THRUST_200600_302600_NS4plusIiEEEEZZNS1_33reduce_by_key_impl_wrapped_configILNS1_25lookback_scan_determinismE0ES3_S9_NS6_6detail15normal_iteratorINS6_10device_ptrIjEEEENSD_INSE_IiEEEENS6_16discard_iteratorINS6_11use_defaultEEESI_PmS8_NS6_8equal_toIjEEEE10hipError_tPvRmT2_T3_mT4_T5_T6_T7_T8_P12ihipStream_tbENKUlT_T0_E_clISt17integral_constantIbLb0EES15_IbLb1EEEEDaS11_S12_EUlS11_E_NS1_11comp_targetILNS1_3genE9ELNS1_11target_archE1100ELNS1_3gpuE3ELNS1_3repE0EEENS1_30default_config_static_selectorELNS0_4arch9wavefront6targetE0EEEvT1_
; %bb.0:
	s_clause 0x4
	s_load_b128 s[4:7], s[0:1], 0x0
	s_load_b64 s[8:9], s[0:1], 0x10
	s_load_b64 s[18:19], s[0:1], 0x70
	s_load_b128 s[36:39], s[0:1], 0x60
	s_load_b256 s[20:27], s[0:1], 0x40
	v_cmp_ne_u32_e64 s3, 0, v0
	v_cmp_eq_u32_e64 s2, 0, v0
	s_delay_alu instid0(VALU_DEP_1)
	s_and_saveexec_b32 s10, s2
	s_cbranch_execz .LBB1055_4
; %bb.1:
	s_mov_b32 s12, exec_lo
	s_mov_b32 s11, exec_lo
	v_mbcnt_lo_u32_b32 v1, s12, 0
                                        ; implicit-def: $vgpr2
	s_delay_alu instid0(VALU_DEP_1)
	v_cmpx_eq_u32_e32 0, v1
	s_cbranch_execz .LBB1055_3
; %bb.2:
	s_load_b64 s[14:15], s[0:1], 0x78
	s_bcnt1_i32_b32 s12, s12
	s_delay_alu instid0(SALU_CYCLE_1)
	v_dual_mov_b32 v2, 0 :: v_dual_mov_b32 v3, s12
	s_waitcnt lgkmcnt(0)
	global_atomic_add_u32 v2, v2, v3, s[14:15] glc
.LBB1055_3:
	s_or_b32 exec_lo, exec_lo, s11
	s_waitcnt vmcnt(0)
	v_readfirstlane_b32 s11, v2
	s_delay_alu instid0(VALU_DEP_1)
	v_dual_mov_b32 v2, 0 :: v_dual_add_nc_u32 v1, s11, v1
	ds_store_b32 v2, v1
.LBB1055_4:
	s_or_b32 exec_lo, exec_lo, s10
	v_mov_b32_e32 v2, 0
	s_waitcnt lgkmcnt(0)
	s_barrier
	buffer_gl0_inv
	s_load_b128 s[28:31], s[0:1], 0x28
	ds_load_b32 v1, v2
	s_lshl_b64 s[6:7], s[6:7], 2
	s_mul_i32 s1, s24, s23
	s_add_u32 s13, s4, s6
	s_mul_hi_u32 s10, s24, s22
	s_addc_u32 s14, s5, s7
	s_add_u32 s6, s8, s6
	s_mul_i32 s11, s25, s22
	s_addc_u32 s7, s9, s7
	s_add_i32 s1, s10, s1
	s_mul_i32 s12, s24, s22
	s_add_i32 s1, s1, s11
	s_mov_b32 s0, 0
	s_waitcnt lgkmcnt(0)
	s_barrier
	buffer_gl0_inv
	v_readfirstlane_b32 s33, v1
	v_mul_lo_u32 v1, 0xf00, v1
	s_delay_alu instid0(VALU_DEP_2) | instskip(SKIP_3) | instid1(VALU_DEP_1)
	s_add_u32 s24, s12, s33
	s_addc_u32 s25, s1, 0
	s_add_u32 s4, s26, -1
	s_addc_u32 s5, s27, -1
	v_lshlrev_b64 v[5:6], 2, v[1:2]
	s_cmp_eq_u64 s[24:25], s[4:5]
	s_mul_i32 s26, s4, 0xfffff100
	s_cselect_b32 s17, -1, 0
	s_cmp_lg_u64 s[24:25], s[4:5]
	s_delay_alu instid0(VALU_DEP_1)
	v_add_co_u32 v4, vcc_lo, s13, v5
	v_add_co_ci_u32_e32 v2, vcc_lo, s14, v6, vcc_lo
	v_add_co_u32 v1, vcc_lo, s6, v5
	v_add_co_ci_u32_e32 v3, vcc_lo, s7, v6, vcc_lo
	s_cselect_b32 s34, -1, 0
	s_and_b32 vcc_lo, exec_lo, s17
	s_cbranch_vccnz .LBB1055_6
; %bb.5:
	v_lshlrev_b32_e32 v29, 2, v0
	s_delay_alu instid0(VALU_DEP_1) | instskip(SKIP_1) | instid1(VALU_DEP_2)
	v_add_co_u32 v5, vcc_lo, v4, v29
	v_add_co_ci_u32_e32 v6, vcc_lo, 0, v2, vcc_lo
	v_add_co_u32 v7, vcc_lo, 0x1000, v5
	s_delay_alu instid0(VALU_DEP_2)
	v_add_co_ci_u32_e32 v8, vcc_lo, 0, v6, vcc_lo
	s_clause 0x7
	flat_load_b32 v9, v[5:6]
	flat_load_b32 v10, v[5:6] offset:1024
	flat_load_b32 v11, v[5:6] offset:2048
	;; [unrolled: 1-line block ×3, first 2 shown]
	flat_load_b32 v13, v[7:8]
	flat_load_b32 v14, v[7:8] offset:1024
	flat_load_b32 v15, v[7:8] offset:2048
	;; [unrolled: 1-line block ×3, first 2 shown]
	v_add_co_u32 v7, vcc_lo, 0x2000, v5
	v_add_co_ci_u32_e32 v8, vcc_lo, 0, v6, vcc_lo
	v_add_co_u32 v5, vcc_lo, 0x3000, v5
	v_add_co_ci_u32_e32 v6, vcc_lo, 0, v6, vcc_lo
	s_clause 0x6
	flat_load_b32 v17, v[7:8]
	flat_load_b32 v18, v[7:8] offset:1024
	flat_load_b32 v19, v[7:8] offset:2048
	flat_load_b32 v8, v[7:8] offset:3072
	flat_load_b32 v20, v[5:6]
	flat_load_b32 v21, v[5:6] offset:1024
	flat_load_b32 v22, v[5:6] offset:2048
	v_add_co_u32 v6, vcc_lo, v1, v29
	v_add_co_ci_u32_e32 v7, vcc_lo, 0, v3, vcc_lo
	v_mad_u32_u24 v5, v0, 56, v29
	s_delay_alu instid0(VALU_DEP_3) | instskip(NEXT) | instid1(VALU_DEP_3)
	v_add_co_u32 v23, vcc_lo, 0x1000, v6
	v_add_co_ci_u32_e32 v24, vcc_lo, 0, v7, vcc_lo
	v_add_co_u32 v25, vcc_lo, 0x2000, v6
	v_add_co_ci_u32_e32 v26, vcc_lo, 0, v7, vcc_lo
	;; [unrolled: 2-line block ×3, first 2 shown]
	s_waitcnt vmcnt(13) lgkmcnt(13)
	ds_store_2addr_stride64_b32 v29, v9, v10 offset1:4
	s_waitcnt vmcnt(11) lgkmcnt(12)
	ds_store_2addr_stride64_b32 v29, v11, v12 offset0:8 offset1:12
	s_waitcnt vmcnt(9) lgkmcnt(11)
	ds_store_2addr_stride64_b32 v29, v13, v14 offset0:16 offset1:20
	;; [unrolled: 2-line block ×6, first 2 shown]
	s_waitcnt vmcnt(0) lgkmcnt(7)
	ds_store_b32 v29, v22 offset:14336
	s_waitcnt lgkmcnt(0)
	s_barrier
	buffer_gl0_inv
	ds_load_2addr_b32 v[21:22], v5 offset1:1
	ds_load_2addr_b32 v[19:20], v5 offset0:2 offset1:3
	ds_load_2addr_b32 v[17:18], v5 offset0:4 offset1:5
	;; [unrolled: 1-line block ×6, first 2 shown]
	ds_load_b32 v63, v5 offset:56
	s_waitcnt lgkmcnt(0)
	s_barrier
	buffer_gl0_inv
	s_clause 0xe
	flat_load_b32 v8, v[6:7]
	flat_load_b32 v30, v[6:7] offset:1024
	flat_load_b32 v31, v[6:7] offset:2048
	flat_load_b32 v6, v[6:7] offset:3072
	flat_load_b32 v7, v[23:24]
	flat_load_b32 v32, v[23:24] offset:1024
	flat_load_b32 v33, v[23:24] offset:2048
	flat_load_b32 v23, v[23:24] offset:3072
	;; [unrolled: 4-line block ×3, first 2 shown]
	flat_load_b32 v26, v[27:28]
	flat_load_b32 v36, v[27:28] offset:1024
	flat_load_b32 v27, v[27:28] offset:2048
	s_waitcnt vmcnt(13) lgkmcnt(13)
	ds_store_2addr_stride64_b32 v29, v8, v30 offset1:4
	s_waitcnt vmcnt(11) lgkmcnt(12)
	ds_store_2addr_stride64_b32 v29, v31, v6 offset0:8 offset1:12
	s_waitcnt vmcnt(9) lgkmcnt(11)
	ds_store_2addr_stride64_b32 v29, v7, v32 offset0:16 offset1:20
	;; [unrolled: 2-line block ×6, first 2 shown]
	s_waitcnt vmcnt(0) lgkmcnt(7)
	ds_store_b32 v29, v27 offset:14336
	s_waitcnt lgkmcnt(0)
	s_barrier
	s_and_not1_b32 vcc_lo, exec_lo, s0
	s_add_i32 s26, s26, s36
	s_cbranch_vccz .LBB1055_7
	s_branch .LBB1055_54
.LBB1055_6:
                                        ; implicit-def: $vgpr5
                                        ; implicit-def: $vgpr21
                                        ; implicit-def: $vgpr19
                                        ; implicit-def: $vgpr17
                                        ; implicit-def: $vgpr15
                                        ; implicit-def: $vgpr13
                                        ; implicit-def: $vgpr11
                                        ; implicit-def: $vgpr9
                                        ; implicit-def: $vgpr63
	s_add_i32 s26, s26, s36
.LBB1055_7:
	s_delay_alu instid0(SALU_CYCLE_1)
	v_cmp_gt_u32_e32 vcc_lo, s26, v0
                                        ; implicit-def: $vgpr5
	s_and_saveexec_b32 s1, vcc_lo
	s_cbranch_execz .LBB1055_9
; %bb.8:
	v_lshlrev_b32_e32 v5, 2, v0
	s_delay_alu instid0(VALU_DEP_1) | instskip(NEXT) | instid1(VALU_DEP_1)
	v_add_co_u32 v5, s0, v4, v5
	v_add_co_ci_u32_e64 v6, s0, 0, v2, s0
	flat_load_b32 v5, v[5:6]
.LBB1055_9:
	s_or_b32 exec_lo, exec_lo, s1
	v_or_b32_e32 v6, 0x100, v0
                                        ; implicit-def: $vgpr9
	s_delay_alu instid0(VALU_DEP_1) | instskip(NEXT) | instid1(VALU_DEP_1)
	v_cmp_gt_u32_e64 s0, s26, v6
	s_and_saveexec_b32 s4, s0
	s_cbranch_execz .LBB1055_11
; %bb.10:
	v_lshlrev_b32_e32 v6, 2, v0
	s_delay_alu instid0(VALU_DEP_1) | instskip(NEXT) | instid1(VALU_DEP_1)
	v_add_co_u32 v6, s1, v4, v6
	v_add_co_ci_u32_e64 v7, s1, 0, v2, s1
	flat_load_b32 v9, v[6:7] offset:1024
.LBB1055_11:
	s_or_b32 exec_lo, exec_lo, s4
	v_or_b32_e32 v6, 0x200, v0
                                        ; implicit-def: $vgpr10
	s_delay_alu instid0(VALU_DEP_1) | instskip(NEXT) | instid1(VALU_DEP_1)
	v_cmp_gt_u32_e64 s1, s26, v6
	s_and_saveexec_b32 s5, s1
	s_cbranch_execz .LBB1055_13
; %bb.12:
	v_lshlrev_b32_e32 v6, 2, v0
	s_delay_alu instid0(VALU_DEP_1) | instskip(NEXT) | instid1(VALU_DEP_1)
	v_add_co_u32 v6, s4, v4, v6
	v_add_co_ci_u32_e64 v7, s4, 0, v2, s4
	flat_load_b32 v10, v[6:7] offset:2048
.LBB1055_13:
	s_or_b32 exec_lo, exec_lo, s5
	v_or_b32_e32 v6, 0x300, v0
                                        ; implicit-def: $vgpr11
	s_delay_alu instid0(VALU_DEP_1) | instskip(NEXT) | instid1(VALU_DEP_1)
	v_cmp_gt_u32_e64 s4, s26, v6
	s_and_saveexec_b32 s6, s4
	s_cbranch_execz .LBB1055_15
; %bb.14:
	v_lshlrev_b32_e32 v6, 2, v0
	s_delay_alu instid0(VALU_DEP_1) | instskip(NEXT) | instid1(VALU_DEP_1)
	v_add_co_u32 v6, s5, v4, v6
	v_add_co_ci_u32_e64 v7, s5, 0, v2, s5
	flat_load_b32 v11, v[6:7] offset:3072
.LBB1055_15:
	s_or_b32 exec_lo, exec_lo, s6
	v_or_b32_e32 v6, 0x400, v0
                                        ; implicit-def: $vgpr12
	s_delay_alu instid0(VALU_DEP_1) | instskip(SKIP_1) | instid1(VALU_DEP_2)
	v_cmp_gt_u32_e64 s5, s26, v6
	v_lshlrev_b32_e32 v6, 2, v6
	s_and_saveexec_b32 s7, s5
	s_cbranch_execz .LBB1055_17
; %bb.16:
	s_delay_alu instid0(VALU_DEP_1) | instskip(NEXT) | instid1(VALU_DEP_1)
	v_add_co_u32 v7, s6, v4, v6
	v_add_co_ci_u32_e64 v8, s6, 0, v2, s6
	flat_load_b32 v12, v[7:8]
.LBB1055_17:
	s_or_b32 exec_lo, exec_lo, s7
	v_or_b32_e32 v7, 0x500, v0
                                        ; implicit-def: $vgpr13
	s_delay_alu instid0(VALU_DEP_1) | instskip(SKIP_1) | instid1(VALU_DEP_2)
	v_cmp_gt_u32_e64 s6, s26, v7
	v_lshlrev_b32_e32 v7, 2, v7
	s_and_saveexec_b32 s8, s6
	s_cbranch_execz .LBB1055_19
; %bb.18:
	s_delay_alu instid0(VALU_DEP_1) | instskip(NEXT) | instid1(VALU_DEP_1)
	v_add_co_u32 v13, s7, v4, v7
	v_add_co_ci_u32_e64 v14, s7, 0, v2, s7
	flat_load_b32 v13, v[13:14]
.LBB1055_19:
	s_or_b32 exec_lo, exec_lo, s8
	v_or_b32_e32 v8, 0x600, v0
                                        ; implicit-def: $vgpr14
	s_delay_alu instid0(VALU_DEP_1) | instskip(SKIP_1) | instid1(VALU_DEP_2)
	v_cmp_gt_u32_e64 s7, s26, v8
	v_lshlrev_b32_e32 v8, 2, v8
	s_and_saveexec_b32 s9, s7
	s_cbranch_execz .LBB1055_21
; %bb.20:
	s_delay_alu instid0(VALU_DEP_1) | instskip(NEXT) | instid1(VALU_DEP_1)
	v_add_co_u32 v14, s8, v4, v8
	v_add_co_ci_u32_e64 v15, s8, 0, v2, s8
	flat_load_b32 v14, v[14:15]
.LBB1055_21:
	s_or_b32 exec_lo, exec_lo, s9
	v_or_b32_e32 v15, 0x700, v0
	s_delay_alu instid0(VALU_DEP_1) | instskip(SKIP_1) | instid1(VALU_DEP_2)
	v_cmp_gt_u32_e64 s8, s26, v15
	v_lshlrev_b32_e32 v23, 2, v15
                                        ; implicit-def: $vgpr15
	s_and_saveexec_b32 s10, s8
	s_cbranch_execz .LBB1055_23
; %bb.22:
	s_delay_alu instid0(VALU_DEP_1) | instskip(NEXT) | instid1(VALU_DEP_1)
	v_add_co_u32 v15, s9, v4, v23
	v_add_co_ci_u32_e64 v16, s9, 0, v2, s9
	flat_load_b32 v15, v[15:16]
.LBB1055_23:
	s_or_b32 exec_lo, exec_lo, s10
	v_or_b32_e32 v16, 0x800, v0
	s_delay_alu instid0(VALU_DEP_1) | instskip(SKIP_1) | instid1(VALU_DEP_2)
	v_cmp_gt_u32_e64 s9, s26, v16
	v_lshlrev_b32_e32 v24, 2, v16
                                        ; implicit-def: $vgpr16
	s_and_saveexec_b32 s11, s9
	s_cbranch_execz .LBB1055_25
; %bb.24:
	s_delay_alu instid0(VALU_DEP_1) | instskip(NEXT) | instid1(VALU_DEP_1)
	v_add_co_u32 v16, s10, v4, v24
	v_add_co_ci_u32_e64 v17, s10, 0, v2, s10
	flat_load_b32 v16, v[16:17]
.LBB1055_25:
	s_or_b32 exec_lo, exec_lo, s11
	v_or_b32_e32 v17, 0x900, v0
	s_delay_alu instid0(VALU_DEP_1) | instskip(SKIP_1) | instid1(VALU_DEP_2)
	v_cmp_gt_u32_e64 s10, s26, v17
	v_lshlrev_b32_e32 v25, 2, v17
                                        ; implicit-def: $vgpr17
	s_and_saveexec_b32 s12, s10
	s_cbranch_execz .LBB1055_27
; %bb.26:
	s_delay_alu instid0(VALU_DEP_1) | instskip(NEXT) | instid1(VALU_DEP_1)
	v_add_co_u32 v17, s11, v4, v25
	v_add_co_ci_u32_e64 v18, s11, 0, v2, s11
	flat_load_b32 v17, v[17:18]
.LBB1055_27:
	s_or_b32 exec_lo, exec_lo, s12
	v_or_b32_e32 v18, 0xa00, v0
	s_delay_alu instid0(VALU_DEP_1) | instskip(SKIP_1) | instid1(VALU_DEP_2)
	v_cmp_gt_u32_e64 s11, s26, v18
	v_lshlrev_b32_e32 v27, 2, v18
                                        ; implicit-def: $vgpr18
	s_and_saveexec_b32 s13, s11
	s_cbranch_execz .LBB1055_29
; %bb.28:
	s_delay_alu instid0(VALU_DEP_1) | instskip(NEXT) | instid1(VALU_DEP_1)
	v_add_co_u32 v18, s12, v4, v27
	v_add_co_ci_u32_e64 v19, s12, 0, v2, s12
	flat_load_b32 v18, v[18:19]
.LBB1055_29:
	s_or_b32 exec_lo, exec_lo, s13
	v_or_b32_e32 v19, 0xb00, v0
	s_delay_alu instid0(VALU_DEP_1) | instskip(SKIP_1) | instid1(VALU_DEP_2)
	v_cmp_gt_u32_e64 s12, s26, v19
	v_lshlrev_b32_e32 v28, 2, v19
                                        ; implicit-def: $vgpr19
	s_and_saveexec_b32 s14, s12
	s_cbranch_execz .LBB1055_31
; %bb.30:
	s_delay_alu instid0(VALU_DEP_1) | instskip(NEXT) | instid1(VALU_DEP_1)
	v_add_co_u32 v19, s13, v4, v28
	v_add_co_ci_u32_e64 v20, s13, 0, v2, s13
	flat_load_b32 v19, v[19:20]
.LBB1055_31:
	s_or_b32 exec_lo, exec_lo, s14
	v_or_b32_e32 v20, 0xc00, v0
	s_delay_alu instid0(VALU_DEP_1) | instskip(SKIP_1) | instid1(VALU_DEP_2)
	v_cmp_gt_u32_e64 s13, s26, v20
	v_lshlrev_b32_e32 v29, 2, v20
                                        ; implicit-def: $vgpr20
	s_and_saveexec_b32 s15, s13
	s_cbranch_execz .LBB1055_33
; %bb.32:
	s_delay_alu instid0(VALU_DEP_1) | instskip(NEXT) | instid1(VALU_DEP_1)
	v_add_co_u32 v20, s14, v4, v29
	v_add_co_ci_u32_e64 v21, s14, 0, v2, s14
	flat_load_b32 v20, v[20:21]
.LBB1055_33:
	s_or_b32 exec_lo, exec_lo, s15
	v_or_b32_e32 v21, 0xd00, v0
	s_delay_alu instid0(VALU_DEP_1) | instskip(SKIP_1) | instid1(VALU_DEP_2)
	v_cmp_gt_u32_e64 s14, s26, v21
	v_lshlrev_b32_e32 v30, 2, v21
                                        ; implicit-def: $vgpr21
	s_and_saveexec_b32 s16, s14
	s_cbranch_execz .LBB1055_35
; %bb.34:
	s_delay_alu instid0(VALU_DEP_1) | instskip(NEXT) | instid1(VALU_DEP_1)
	v_add_co_u32 v21, s15, v4, v30
	v_add_co_ci_u32_e64 v22, s15, 0, v2, s15
	flat_load_b32 v21, v[21:22]
.LBB1055_35:
	s_or_b32 exec_lo, exec_lo, s16
	v_or_b32_e32 v22, 0xe00, v0
	s_delay_alu instid0(VALU_DEP_1) | instskip(SKIP_1) | instid1(VALU_DEP_2)
	v_cmp_gt_u32_e64 s15, s26, v22
	v_lshlrev_b32_e32 v31, 2, v22
                                        ; implicit-def: $vgpr22
	s_and_saveexec_b32 s27, s15
	s_cbranch_execz .LBB1055_37
; %bb.36:
	s_delay_alu instid0(VALU_DEP_1) | instskip(NEXT) | instid1(VALU_DEP_1)
	v_add_co_u32 v32, s16, v4, v31
	v_add_co_ci_u32_e64 v33, s16, 0, v2, s16
	flat_load_b32 v22, v[32:33]
.LBB1055_37:
	s_or_b32 exec_lo, exec_lo, s27
	v_lshlrev_b32_e32 v26, 2, v0
                                        ; implicit-def: $vgpr32
	s_waitcnt vmcnt(0) lgkmcnt(0)
	ds_store_2addr_stride64_b32 v26, v5, v9 offset1:4
	ds_store_2addr_stride64_b32 v26, v10, v11 offset0:8 offset1:12
	ds_store_2addr_stride64_b32 v26, v12, v13 offset0:16 offset1:20
	;; [unrolled: 1-line block ×6, first 2 shown]
	v_mad_u32_u24 v5, v0, 56, v26
	ds_store_b32 v26, v22 offset:14336
	s_waitcnt lgkmcnt(0)
	s_barrier
	buffer_gl0_inv
	ds_load_2addr_b32 v[21:22], v5 offset1:1
	ds_load_2addr_b32 v[19:20], v5 offset0:2 offset1:3
	ds_load_2addr_b32 v[17:18], v5 offset0:4 offset1:5
	;; [unrolled: 1-line block ×6, first 2 shown]
	ds_load_b32 v63, v5 offset:56
	s_waitcnt lgkmcnt(0)
	s_barrier
	buffer_gl0_inv
	s_and_saveexec_b32 s16, vcc_lo
	s_cbranch_execnz .LBB1055_61
; %bb.38:
	s_or_b32 exec_lo, exec_lo, s16
                                        ; implicit-def: $vgpr33
	s_and_saveexec_b32 s16, s0
	s_cbranch_execnz .LBB1055_62
.LBB1055_39:
	s_or_b32 exec_lo, exec_lo, s16
                                        ; implicit-def: $vgpr34
	s_and_saveexec_b32 s0, s1
	s_cbranch_execnz .LBB1055_63
.LBB1055_40:
	s_or_b32 exec_lo, exec_lo, s0
                                        ; implicit-def: $vgpr35
	s_and_saveexec_b32 s0, s4
	s_cbranch_execnz .LBB1055_64
.LBB1055_41:
	s_or_b32 exec_lo, exec_lo, s0
                                        ; implicit-def: $vgpr36
	s_and_saveexec_b32 s0, s5
	s_cbranch_execnz .LBB1055_65
.LBB1055_42:
	s_or_b32 exec_lo, exec_lo, s0
                                        ; implicit-def: $vgpr6
	s_and_saveexec_b32 s0, s6
	s_cbranch_execnz .LBB1055_66
.LBB1055_43:
	s_or_b32 exec_lo, exec_lo, s0
                                        ; implicit-def: $vgpr7
	s_and_saveexec_b32 s0, s7
	s_cbranch_execnz .LBB1055_67
.LBB1055_44:
	s_or_b32 exec_lo, exec_lo, s0
                                        ; implicit-def: $vgpr8
	s_and_saveexec_b32 s0, s8
	s_cbranch_execnz .LBB1055_68
.LBB1055_45:
	s_or_b32 exec_lo, exec_lo, s0
                                        ; implicit-def: $vgpr23
	s_and_saveexec_b32 s0, s9
	s_cbranch_execnz .LBB1055_69
.LBB1055_46:
	s_or_b32 exec_lo, exec_lo, s0
                                        ; implicit-def: $vgpr24
	s_and_saveexec_b32 s0, s10
	s_cbranch_execnz .LBB1055_70
.LBB1055_47:
	s_or_b32 exec_lo, exec_lo, s0
                                        ; implicit-def: $vgpr25
	s_and_saveexec_b32 s0, s11
	s_cbranch_execnz .LBB1055_71
.LBB1055_48:
	s_or_b32 exec_lo, exec_lo, s0
                                        ; implicit-def: $vgpr27
	s_and_saveexec_b32 s0, s12
	s_cbranch_execnz .LBB1055_72
.LBB1055_49:
	s_or_b32 exec_lo, exec_lo, s0
                                        ; implicit-def: $vgpr28
	s_and_saveexec_b32 s0, s13
	s_cbranch_execnz .LBB1055_73
.LBB1055_50:
	s_or_b32 exec_lo, exec_lo, s0
                                        ; implicit-def: $vgpr29
	s_and_saveexec_b32 s0, s14
	s_cbranch_execnz .LBB1055_74
.LBB1055_51:
	s_or_b32 exec_lo, exec_lo, s0
                                        ; implicit-def: $vgpr30
	s_and_saveexec_b32 s0, s15
	s_cbranch_execz .LBB1055_53
.LBB1055_52:
	v_add_co_u32 v30, vcc_lo, v1, v31
	v_add_co_ci_u32_e32 v31, vcc_lo, 0, v3, vcc_lo
	flat_load_b32 v30, v[30:31]
.LBB1055_53:
	s_or_b32 exec_lo, exec_lo, s0
	s_waitcnt vmcnt(0) lgkmcnt(0)
	ds_store_2addr_stride64_b32 v26, v32, v33 offset1:4
	ds_store_2addr_stride64_b32 v26, v34, v35 offset0:8 offset1:12
	ds_store_2addr_stride64_b32 v26, v36, v6 offset0:16 offset1:20
	;; [unrolled: 1-line block ×6, first 2 shown]
	ds_store_b32 v26, v30 offset:14336
	s_waitcnt lgkmcnt(0)
	s_barrier
.LBB1055_54:
	buffer_gl0_inv
	ds_load_2addr_b32 v[35:36], v5 offset1:1
	ds_load_2addr_b32 v[33:34], v5 offset0:2 offset1:3
	ds_load_2addr_b32 v[31:32], v5 offset0:4 offset1:5
	;; [unrolled: 1-line block ×6, first 2 shown]
	ds_load_b32 v78, v5 offset:56
	s_cmp_eq_u64 s[24:25], 0
	s_waitcnt lgkmcnt(0)
	s_cselect_b32 s27, -1, 0
	s_cmp_lg_u64 s[24:25], 0
	s_barrier
	s_cselect_b32 s15, -1, 0
	s_and_b32 vcc_lo, exec_lo, s34
	buffer_gl0_inv
	s_cbranch_vccz .LBB1055_60
; %bb.55:
	s_and_b32 vcc_lo, exec_lo, s15
	s_cbranch_vccz .LBB1055_75
; %bb.56:
	v_add_co_u32 v5, vcc_lo, -4, v4
	v_add_co_ci_u32_e32 v6, vcc_lo, -1, v2, vcc_lo
	v_lshlrev_b32_e32 v3, 2, v0
	v_cmp_ne_u32_e32 vcc_lo, v10, v63
	v_cmp_ne_u32_e64 s0, v9, v10
	flat_load_b32 v1, v[5:6]
	v_cmp_ne_u32_e64 s1, v12, v9
	v_cmp_ne_u32_e64 s4, v11, v12
	;; [unrolled: 1-line block ×12, first 2 shown]
	s_mov_b32 s34, -1
	ds_store_b32 v3, v63
	s_waitcnt vmcnt(0) lgkmcnt(0)
	s_barrier
	buffer_gl0_inv
	s_and_saveexec_b32 s16, s3
	s_cbranch_execz .LBB1055_58
; %bb.57:
	v_add_nc_u32_e32 v1, -4, v3
	ds_load_b32 v1, v1
.LBB1055_58:
	s_or_b32 exec_lo, exec_lo, s16
	v_cndmask_b32_e64 v69, 0, 1, vcc_lo
	v_cndmask_b32_e64 v64, 0, 1, s0
	v_cndmask_b32_e64 v65, 0, 1, s1
	;; [unrolled: 1-line block ×13, first 2 shown]
	s_waitcnt lgkmcnt(0)
	v_cmp_ne_u32_e64 s0, v1, v21
.LBB1055_59:
                                        ; implicit-def: $sgpr1
	s_branch .LBB1055_87
.LBB1055_60:
	s_mov_b32 s34, 0
                                        ; implicit-def: $sgpr0
                                        ; implicit-def: $vgpr69
                                        ; implicit-def: $vgpr64
                                        ; implicit-def: $vgpr65
                                        ; implicit-def: $vgpr66
                                        ; implicit-def: $vgpr67
                                        ; implicit-def: $vgpr68
                                        ; implicit-def: $vgpr70
                                        ; implicit-def: $vgpr71
                                        ; implicit-def: $vgpr72
                                        ; implicit-def: $vgpr73
                                        ; implicit-def: $vgpr74
                                        ; implicit-def: $vgpr75
                                        ; implicit-def: $vgpr76
                                        ; implicit-def: $vgpr77
                                        ; implicit-def: $sgpr1
	s_cbranch_execnz .LBB1055_79
	s_branch .LBB1055_87
.LBB1055_61:
	v_add_co_u32 v32, vcc_lo, v1, v26
	v_add_co_ci_u32_e32 v33, vcc_lo, 0, v3, vcc_lo
	flat_load_b32 v32, v[32:33]
	s_or_b32 exec_lo, exec_lo, s16
                                        ; implicit-def: $vgpr33
	s_and_saveexec_b32 s16, s0
	s_cbranch_execz .LBB1055_39
.LBB1055_62:
	v_add_co_u32 v33, vcc_lo, v1, v26
	v_add_co_ci_u32_e32 v34, vcc_lo, 0, v3, vcc_lo
	flat_load_b32 v33, v[33:34] offset:1024
	s_or_b32 exec_lo, exec_lo, s16
                                        ; implicit-def: $vgpr34
	s_and_saveexec_b32 s0, s1
	s_cbranch_execz .LBB1055_40
.LBB1055_63:
	v_add_co_u32 v34, vcc_lo, v1, v26
	v_add_co_ci_u32_e32 v35, vcc_lo, 0, v3, vcc_lo
	flat_load_b32 v34, v[34:35] offset:2048
	s_or_b32 exec_lo, exec_lo, s0
                                        ; implicit-def: $vgpr35
	s_and_saveexec_b32 s0, s4
	s_cbranch_execz .LBB1055_41
.LBB1055_64:
	v_add_co_u32 v35, vcc_lo, v1, v26
	v_add_co_ci_u32_e32 v36, vcc_lo, 0, v3, vcc_lo
	flat_load_b32 v35, v[35:36] offset:3072
	s_or_b32 exec_lo, exec_lo, s0
                                        ; implicit-def: $vgpr36
	s_and_saveexec_b32 s0, s5
	s_cbranch_execz .LBB1055_42
.LBB1055_65:
	v_add_co_u32 v36, vcc_lo, v1, v6
	v_add_co_ci_u32_e32 v37, vcc_lo, 0, v3, vcc_lo
	flat_load_b32 v36, v[36:37]
	s_or_b32 exec_lo, exec_lo, s0
                                        ; implicit-def: $vgpr6
	s_and_saveexec_b32 s0, s6
	s_cbranch_execz .LBB1055_43
.LBB1055_66:
	v_add_co_u32 v6, vcc_lo, v1, v7
	v_add_co_ci_u32_e32 v7, vcc_lo, 0, v3, vcc_lo
	flat_load_b32 v6, v[6:7]
	s_or_b32 exec_lo, exec_lo, s0
                                        ; implicit-def: $vgpr7
	s_and_saveexec_b32 s0, s7
	s_cbranch_execz .LBB1055_44
.LBB1055_67:
	v_add_co_u32 v7, vcc_lo, v1, v8
	v_add_co_ci_u32_e32 v8, vcc_lo, 0, v3, vcc_lo
	flat_load_b32 v7, v[7:8]
	s_or_b32 exec_lo, exec_lo, s0
                                        ; implicit-def: $vgpr8
	s_and_saveexec_b32 s0, s8
	s_cbranch_execz .LBB1055_45
.LBB1055_68:
	v_add_co_u32 v37, vcc_lo, v1, v23
	v_add_co_ci_u32_e32 v38, vcc_lo, 0, v3, vcc_lo
	flat_load_b32 v8, v[37:38]
	s_or_b32 exec_lo, exec_lo, s0
                                        ; implicit-def: $vgpr23
	s_and_saveexec_b32 s0, s9
	s_cbranch_execz .LBB1055_46
.LBB1055_69:
	v_add_co_u32 v23, vcc_lo, v1, v24
	v_add_co_ci_u32_e32 v24, vcc_lo, 0, v3, vcc_lo
	flat_load_b32 v23, v[23:24]
	s_or_b32 exec_lo, exec_lo, s0
                                        ; implicit-def: $vgpr24
	s_and_saveexec_b32 s0, s10
	s_cbranch_execz .LBB1055_47
.LBB1055_70:
	v_add_co_u32 v24, vcc_lo, v1, v25
	v_add_co_ci_u32_e32 v25, vcc_lo, 0, v3, vcc_lo
	flat_load_b32 v24, v[24:25]
	s_or_b32 exec_lo, exec_lo, s0
                                        ; implicit-def: $vgpr25
	s_and_saveexec_b32 s0, s11
	s_cbranch_execz .LBB1055_48
.LBB1055_71:
	v_add_co_u32 v37, vcc_lo, v1, v27
	v_add_co_ci_u32_e32 v38, vcc_lo, 0, v3, vcc_lo
	flat_load_b32 v25, v[37:38]
	s_or_b32 exec_lo, exec_lo, s0
                                        ; implicit-def: $vgpr27
	s_and_saveexec_b32 s0, s12
	s_cbranch_execz .LBB1055_49
.LBB1055_72:
	v_add_co_u32 v27, vcc_lo, v1, v28
	v_add_co_ci_u32_e32 v28, vcc_lo, 0, v3, vcc_lo
	flat_load_b32 v27, v[27:28]
	s_or_b32 exec_lo, exec_lo, s0
                                        ; implicit-def: $vgpr28
	s_and_saveexec_b32 s0, s13
	s_cbranch_execz .LBB1055_50
.LBB1055_73:
	v_add_co_u32 v28, vcc_lo, v1, v29
	v_add_co_ci_u32_e32 v29, vcc_lo, 0, v3, vcc_lo
	flat_load_b32 v28, v[28:29]
	s_or_b32 exec_lo, exec_lo, s0
                                        ; implicit-def: $vgpr29
	s_and_saveexec_b32 s0, s14
	s_cbranch_execz .LBB1055_51
.LBB1055_74:
	v_add_co_u32 v29, vcc_lo, v1, v30
	v_add_co_ci_u32_e32 v30, vcc_lo, 0, v3, vcc_lo
	flat_load_b32 v29, v[29:30]
	s_or_b32 exec_lo, exec_lo, s0
                                        ; implicit-def: $vgpr30
	s_and_saveexec_b32 s0, s15
	s_cbranch_execnz .LBB1055_52
	s_branch .LBB1055_53
.LBB1055_75:
	s_mov_b32 s34, 0
                                        ; implicit-def: $sgpr0
                                        ; implicit-def: $vgpr69
                                        ; implicit-def: $vgpr64
                                        ; implicit-def: $vgpr65
                                        ; implicit-def: $vgpr66
                                        ; implicit-def: $vgpr67
                                        ; implicit-def: $vgpr68
                                        ; implicit-def: $vgpr70
                                        ; implicit-def: $vgpr71
                                        ; implicit-def: $vgpr72
                                        ; implicit-def: $vgpr73
                                        ; implicit-def: $vgpr74
                                        ; implicit-def: $vgpr75
                                        ; implicit-def: $vgpr76
                                        ; implicit-def: $vgpr77
	s_cbranch_execz .LBB1055_59
; %bb.76:
	v_cmp_ne_u32_e32 vcc_lo, v10, v63
	v_lshlrev_b32_e32 v1, 2, v0
                                        ; implicit-def: $sgpr0
	v_cndmask_b32_e64 v69, 0, 1, vcc_lo
	v_cmp_ne_u32_e32 vcc_lo, v9, v10
	ds_store_b32 v1, v63
	s_waitcnt lgkmcnt(0)
	s_barrier
	buffer_gl0_inv
	v_cndmask_b32_e64 v64, 0, 1, vcc_lo
	v_cmp_ne_u32_e32 vcc_lo, v12, v9
	v_cndmask_b32_e64 v65, 0, 1, vcc_lo
	v_cmp_ne_u32_e32 vcc_lo, v11, v12
	;; [unrolled: 2-line block ×12, first 2 shown]
	v_cndmask_b32_e64 v77, 0, 1, vcc_lo
	s_and_saveexec_b32 s1, s3
	s_delay_alu instid0(SALU_CYCLE_1)
	s_xor_b32 s1, exec_lo, s1
	s_cbranch_execz .LBB1055_78
; %bb.77:
	v_add_nc_u32_e32 v1, -4, v1
	s_or_b32 s34, s34, exec_lo
	ds_load_b32 v1, v1
	s_waitcnt lgkmcnt(0)
	v_cmp_ne_u32_e32 vcc_lo, v1, v21
	s_and_b32 s0, vcc_lo, exec_lo
.LBB1055_78:
	s_or_b32 exec_lo, exec_lo, s1
	s_mov_b32 s1, 1
	s_branch .LBB1055_87
.LBB1055_79:
	s_mul_hi_u32 s0, s24, 0xfffff100
	s_mul_i32 s1, s25, 0xfffff100
	s_sub_i32 s0, s0, s24
	s_mul_i32 s4, s24, 0xfffff100
	s_add_i32 s0, s0, s1
	s_add_u32 s24, s4, s36
	s_addc_u32 s25, s0, s37
	s_and_b32 vcc_lo, exec_lo, s15
	v_cmp_ne_u32_e64 s14, v10, v63
	v_cmp_ne_u32_e64 s15, v9, v10
	;; [unrolled: 1-line block ×14, first 2 shown]
	v_mad_u32_u24 v1, v0, 15, 14
	v_mad_u32_u24 v55, v0, 15, 13
	v_mad_u32_u24 v53, v0, 15, 12
	v_mad_u32_u24 v51, v0, 15, 11
	v_mad_u32_u24 v49, v0, 15, 10
	v_mad_u32_u24 v47, v0, 15, 9
	v_mad_u32_u24 v45, v0, 15, 8
	v_mad_u32_u24 v43, v0, 15, 7
	v_mad_u32_u24 v41, v0, 15, 6
	v_mad_u32_u24 v39, v0, 15, 5
	v_mad_u32_u24 v37, v0, 15, 4
	v_mad_u32_u24 v7, v0, 15, 3
	v_mad_u32_u24 v5, v0, 15, 2
	v_mad_u32_u24 v3, v0, 15, 1
	s_cbranch_vccz .LBB1055_84
; %bb.80:
	v_add_co_u32 v56, vcc_lo, -4, v4
	v_add_co_ci_u32_e32 v57, vcc_lo, -1, v2, vcc_lo
	v_mov_b32_e32 v2, 0
	s_mov_b32 s34, -1
	s_mov_b32 s35, 0
	flat_load_b32 v58, v[56:57]
	v_lshlrev_b32_e32 v57, 2, v0
	v_cmp_gt_u64_e32 vcc_lo, s[24:25], v[1:2]
	v_mov_b32_e32 v56, v2
	v_mov_b32_e32 v54, v2
	;; [unrolled: 1-line block ×5, first 2 shown]
	v_cmp_gt_u64_e64 s16, s[24:25], v[55:56]
	s_and_b32 s36, vcc_lo, s14
	v_cmp_gt_u64_e32 vcc_lo, s[24:25], v[53:54]
	v_mov_b32_e32 v46, v2
	v_mov_b32_e32 v44, v2
	v_cmp_gt_u64_e64 s14, s[24:25], v[51:52]
	s_and_b32 s37, s16, s15
	v_mov_b32_e32 v42, v2
	s_and_b32 s40, vcc_lo, s13
	v_cmp_gt_u64_e32 vcc_lo, s[24:25], v[49:50]
	v_cmp_gt_u64_e64 s13, s[24:25], v[47:48]
	v_cmp_gt_u64_e64 s15, s[24:25], v[45:46]
	;; [unrolled: 1-line block ×3, first 2 shown]
	v_mov_b32_e32 v40, v2
	v_mov_b32_e32 v38, v2
	;; [unrolled: 1-line block ×5, first 2 shown]
	s_and_b32 s14, s14, s12
	s_and_b32 s41, vcc_lo, s8
	s_and_b32 s13, s13, s9
	s_and_b32 s15, s15, s10
	;; [unrolled: 1-line block ×3, first 2 shown]
	v_cmp_gt_u64_e32 vcc_lo, s[24:25], v[41:42]
	v_cmp_gt_u64_e64 s8, s[24:25], v[39:40]
	v_cmp_gt_u64_e64 s9, s[24:25], v[37:38]
	;; [unrolled: 1-line block ×5, first 2 shown]
	v_mul_u32_u24_e32 v56, 15, v0
	s_and_b32 s0, vcc_lo, s0
	s_and_b32 s8, s8, s1
	s_and_b32 s9, s9, s4
	;; [unrolled: 1-line block ×5, first 2 shown]
	ds_store_b32 v57, v63
	s_waitcnt vmcnt(0) lgkmcnt(0)
	s_barrier
	buffer_gl0_inv
	s_and_saveexec_b32 s6, s3
	s_cbranch_execz .LBB1055_82
; %bb.81:
	v_add_nc_u32_e32 v4, -4, v57
	ds_load_b32 v58, v4
.LBB1055_82:
	s_or_b32 exec_lo, exec_lo, s6
	v_mov_b32_e32 v57, v2
	v_cndmask_b32_e64 v72, 0, 1, s0
	s_waitcnt lgkmcnt(0)
	v_cmp_ne_u32_e64 s0, v58, v21
	v_cndmask_b32_e64 v69, 0, 1, s36
	v_cndmask_b32_e64 v64, 0, 1, s37
	v_cmp_gt_u64_e32 vcc_lo, s[24:25], v[56:57]
	v_cndmask_b32_e64 v65, 0, 1, s40
	v_cndmask_b32_e64 v66, 0, 1, s14
	v_cndmask_b32_e64 v67, 0, 1, s41
	v_cndmask_b32_e64 v68, 0, 1, s13
	v_cndmask_b32_e64 v70, 0, 1, s15
	v_cndmask_b32_e64 v71, 0, 1, s16
	v_cndmask_b32_e64 v73, 0, 1, s8
	v_cndmask_b32_e64 v74, 0, 1, s9
	v_cndmask_b32_e64 v75, 0, 1, s5
	v_cndmask_b32_e64 v76, 0, 1, s1
	v_cndmask_b32_e64 v77, 0, 1, s4
	s_and_b32 s0, vcc_lo, s0
	s_and_b32 vcc_lo, exec_lo, s35
	s_cbranch_vccnz .LBB1055_85
.LBB1055_83:
                                        ; implicit-def: $sgpr1
	v_mov_b32_e32 v79, s1
	s_and_saveexec_b32 s1, s34
	s_cbranch_execnz .LBB1055_88
	s_branch .LBB1055_89
.LBB1055_84:
                                        ; implicit-def: $sgpr0
                                        ; implicit-def: $vgpr69
                                        ; implicit-def: $vgpr64
                                        ; implicit-def: $vgpr65
                                        ; implicit-def: $vgpr66
                                        ; implicit-def: $vgpr67
                                        ; implicit-def: $vgpr68
                                        ; implicit-def: $vgpr70
                                        ; implicit-def: $vgpr71
                                        ; implicit-def: $vgpr72
                                        ; implicit-def: $vgpr73
                                        ; implicit-def: $vgpr74
                                        ; implicit-def: $vgpr75
                                        ; implicit-def: $vgpr76
                                        ; implicit-def: $vgpr77
	s_cbranch_execz .LBB1055_83
.LBB1055_85:
	v_dual_mov_b32 v2, 0 :: v_dual_lshlrev_b32 v57, 2, v0
	v_cmp_ne_u32_e64 s1, v12, v9
	v_cmp_ne_u32_e32 vcc_lo, v10, v63
	v_cmp_ne_u32_e64 s0, v9, v10
	s_delay_alu instid0(VALU_DEP_4)
	v_mov_b32_e32 v54, v2
	v_mov_b32_e32 v56, v2
	v_cmp_gt_u64_e64 s4, s[24:25], v[1:2]
	v_mov_b32_e32 v50, v2
	v_mov_b32_e32 v52, v2
	v_cmp_gt_u64_e64 s6, s[24:25], v[53:54]
	v_cmp_gt_u64_e64 s5, s[24:25], v[55:56]
	v_mov_b32_e32 v48, v2
	s_and_b32 s4, s4, vcc_lo
	v_cmp_gt_u64_e32 vcc_lo, s[24:25], v[51:52]
	v_cndmask_b32_e64 v69, 0, 1, s4
	s_and_b32 s1, s6, s1
	s_and_b32 s0, s5, s0
	v_cndmask_b32_e64 v65, 0, 1, s1
	v_cmp_gt_u64_e64 s1, s[24:25], v[49:50]
	v_cmp_ne_u32_e64 s4, v14, v11
	v_cndmask_b32_e64 v64, 0, 1, s0
	v_cmp_ne_u32_e64 s0, v11, v12
	v_mov_b32_e32 v46, v2
	v_mov_b32_e32 v44, v2
	s_and_b32 s1, s1, s4
	v_cmp_ne_u32_e64 s4, v16, v13
	s_and_b32 s0, vcc_lo, s0
	v_cmp_gt_u64_e32 vcc_lo, s[24:25], v[47:48]
	v_cndmask_b32_e64 v67, 0, 1, s1
	v_cmp_gt_u64_e64 s1, s[24:25], v[45:46]
	v_cndmask_b32_e64 v66, 0, 1, s0
	v_cmp_ne_u32_e64 s0, v13, v14
	v_mov_b32_e32 v42, v2
	v_mov_b32_e32 v40, v2
	;; [unrolled: 1-line block ×3, first 2 shown]
	s_and_b32 s1, s1, s4
	s_and_b32 s0, vcc_lo, s0
	v_cmp_gt_u64_e32 vcc_lo, s[24:25], v[43:44]
	v_cndmask_b32_e64 v68, 0, 1, s0
	v_cmp_ne_u32_e64 s0, v15, v16
	v_cndmask_b32_e64 v70, 0, 1, s1
	v_cmp_gt_u64_e64 s1, s[24:25], v[41:42]
	v_cmp_ne_u32_e64 s4, v18, v15
	v_mov_b32_e32 v8, v2
	s_and_b32 s0, vcc_lo, s0
	v_cmp_gt_u64_e32 vcc_lo, s[24:25], v[39:40]
	v_cndmask_b32_e64 v71, 0, 1, s0
	s_and_b32 s1, s1, s4
	v_cmp_ne_u32_e64 s0, v17, v18
	v_cndmask_b32_e64 v72, 0, 1, s1
	v_cmp_gt_u64_e64 s1, s[24:25], v[37:38]
	v_cmp_ne_u32_e64 s4, v20, v17
	v_mov_b32_e32 v6, v2
	s_and_b32 s0, vcc_lo, s0
	v_mov_b32_e32 v4, v2
	v_cndmask_b32_e64 v73, 0, 1, s0
	s_and_b32 s0, s1, s4
	v_cmp_gt_u64_e32 vcc_lo, s[24:25], v[7:8]
	v_cndmask_b32_e64 v74, 0, 1, s0
	v_cmp_ne_u32_e64 s0, v19, v20
	v_cmp_gt_u64_e64 s1, s[24:25], v[5:6]
	v_cmp_ne_u32_e64 s4, v22, v19
	v_cmp_gt_u64_e64 s5, s[24:25], v[3:4]
	v_cmp_ne_u32_e64 s6, v21, v22
	s_and_b32 s0, vcc_lo, s0
	ds_store_b32 v57, v63
	v_cndmask_b32_e64 v75, 0, 1, s0
	s_and_b32 s0, s1, s4
	s_mov_b32 s1, 1
	v_cndmask_b32_e64 v76, 0, 1, s0
	s_and_b32 s0, s5, s6
	s_waitcnt lgkmcnt(0)
	v_cndmask_b32_e64 v77, 0, 1, s0
	s_barrier
	buffer_gl0_inv
                                        ; implicit-def: $sgpr0
	s_and_saveexec_b32 s4, s3
	s_cbranch_execz .LBB1055_157
; %bb.86:
	v_add_nc_u32_e32 v1, -4, v57
	s_or_b32 s34, s34, exec_lo
	ds_load_b32 v3, v1
	v_mul_u32_u24_e32 v1, 15, v0
	s_delay_alu instid0(VALU_DEP_1) | instskip(SKIP_2) | instid1(VALU_DEP_1)
	v_cmp_gt_u64_e32 vcc_lo, s[24:25], v[1:2]
	s_waitcnt lgkmcnt(0)
	v_cmp_ne_u32_e64 s0, v3, v21
	s_and_b32 s0, vcc_lo, s0
	s_delay_alu instid0(SALU_CYCLE_1)
	s_and_b32 s0, s0, exec_lo
	s_or_b32 exec_lo, exec_lo, s4
.LBB1055_87:
	v_mov_b32_e32 v79, s1
	s_and_saveexec_b32 s1, s34
.LBB1055_88:
	s_delay_alu instid0(VALU_DEP_2)
	v_cndmask_b32_e64 v79, 0, 1, s0
.LBB1055_89:
	s_or_b32 exec_lo, exec_lo, s1
	s_delay_alu instid0(VALU_DEP_1)
	v_add3_u32 v1, v77, v79, v76
	v_cmp_eq_u32_e64 s13, 0, v77
	v_cmp_eq_u32_e64 s12, 0, v76
	;; [unrolled: 1-line block ×4, first 2 shown]
	v_add3_u32 v84, v1, v75, v74
	v_cmp_eq_u32_e64 s9, 0, v73
	v_cmp_eq_u32_e64 s8, 0, v72
	;; [unrolled: 1-line block ×9, first 2 shown]
	v_cmp_eq_u32_e32 vcc_lo, 0, v69
	v_mbcnt_lo_u32_b32 v81, -1, 0
	v_lshrrev_b32_e32 v82, 5, v0
	v_or_b32_e32 v83, 31, v0
	s_cmp_eq_u64 s[22:23], 0
	s_cselect_b32 s16, -1, 0
	s_cmp_lg_u32 s33, 0
	s_cbranch_scc0 .LBB1055_115
; %bb.90:
	v_cndmask_b32_e64 v1, 0, v35, s13
	v_add3_u32 v2, v84, v73, v72
	s_delay_alu instid0(VALU_DEP_2) | instskip(NEXT) | instid1(VALU_DEP_2)
	v_add_nc_u32_e32 v1, v1, v36
	v_add3_u32 v2, v2, v71, v70
	s_delay_alu instid0(VALU_DEP_2) | instskip(NEXT) | instid1(VALU_DEP_2)
	v_cndmask_b32_e64 v1, 0, v1, s12
	v_add3_u32 v2, v2, v68, v67
	s_delay_alu instid0(VALU_DEP_2) | instskip(NEXT) | instid1(VALU_DEP_2)
	v_add_nc_u32_e32 v1, v1, v33
	v_add3_u32 v2, v2, v66, v65
	s_delay_alu instid0(VALU_DEP_2) | instskip(NEXT) | instid1(VALU_DEP_2)
	v_cndmask_b32_e64 v1, 0, v1, s11
	v_add3_u32 v2, v2, v64, v69
	s_delay_alu instid0(VALU_DEP_2) | instskip(NEXT) | instid1(VALU_DEP_2)
	v_add_nc_u32_e32 v1, v1, v34
	v_mov_b32_dpp v5, v2 row_shr:1 row_mask:0xf bank_mask:0xf
	s_delay_alu instid0(VALU_DEP_2) | instskip(NEXT) | instid1(VALU_DEP_1)
	v_cndmask_b32_e64 v1, 0, v1, s10
	v_add_nc_u32_e32 v1, v1, v31
	s_delay_alu instid0(VALU_DEP_1) | instskip(NEXT) | instid1(VALU_DEP_1)
	v_cndmask_b32_e64 v1, 0, v1, s9
	v_add_nc_u32_e32 v1, v1, v32
	s_delay_alu instid0(VALU_DEP_1) | instskip(NEXT) | instid1(VALU_DEP_1)
	;; [unrolled: 3-line block ×9, first 2 shown]
	v_cndmask_b32_e64 v1, 0, v1, s0
	v_add_nc_u32_e32 v1, v1, v24
	s_delay_alu instid0(VALU_DEP_1) | instskip(SKIP_1) | instid1(VALU_DEP_2)
	v_cndmask_b32_e32 v1, 0, v1, vcc_lo
	v_cmp_eq_u32_e32 vcc_lo, 0, v2
	v_add_nc_u32_e32 v1, v1, v78
	s_delay_alu instid0(VALU_DEP_1) | instskip(NEXT) | instid1(VALU_DEP_1)
	v_mov_b32_dpp v3, v1 row_shr:1 row_mask:0xf bank_mask:0xf
	v_dual_cndmask_b32 v3, 0, v3 :: v_dual_and_b32 v4, 15, v81
	s_delay_alu instid0(VALU_DEP_1) | instskip(SKIP_2) | instid1(VALU_DEP_4)
	v_cmp_eq_u32_e32 vcc_lo, 0, v4
	v_cmp_lt_u32_e64 s14, 1, v4
	v_cndmask_b32_e64 v5, v5, 0, vcc_lo
	v_cndmask_b32_e64 v3, v3, 0, vcc_lo
	s_delay_alu instid0(VALU_DEP_2) | instskip(NEXT) | instid1(VALU_DEP_2)
	v_add_nc_u32_e32 v2, v5, v2
	v_add_nc_u32_e32 v1, v3, v1
	s_delay_alu instid0(VALU_DEP_2) | instskip(SKIP_1) | instid1(VALU_DEP_3)
	v_mov_b32_dpp v3, v2 row_shr:2 row_mask:0xf bank_mask:0xf
	v_cmp_eq_u32_e32 vcc_lo, 0, v2
	v_mov_b32_dpp v5, v1 row_shr:2 row_mask:0xf bank_mask:0xf
	s_delay_alu instid0(VALU_DEP_3) | instskip(SKIP_2) | instid1(VALU_DEP_2)
	v_cndmask_b32_e64 v3, 0, v3, s14
	s_and_b32 vcc_lo, s14, vcc_lo
	v_cmp_lt_u32_e64 s14, 3, v4
	v_dual_cndmask_b32 v5, 0, v5 :: v_dual_add_nc_u32 v2, v2, v3
	s_delay_alu instid0(VALU_DEP_1) | instskip(NEXT) | instid1(VALU_DEP_2)
	v_add_nc_u32_e32 v1, v5, v1
	v_mov_b32_dpp v3, v2 row_shr:4 row_mask:0xf bank_mask:0xf
	v_cmp_eq_u32_e32 vcc_lo, 0, v2
	s_delay_alu instid0(VALU_DEP_3) | instskip(NEXT) | instid1(VALU_DEP_3)
	v_mov_b32_dpp v5, v1 row_shr:4 row_mask:0xf bank_mask:0xf
	v_cndmask_b32_e64 v3, 0, v3, s14
	s_and_b32 vcc_lo, s14, vcc_lo
	v_cmp_lt_u32_e64 s14, 7, v4
	s_delay_alu instid0(VALU_DEP_2) | instskip(NEXT) | instid1(VALU_DEP_1)
	v_dual_cndmask_b32 v5, 0, v5 :: v_dual_add_nc_u32 v2, v3, v2
	v_add_nc_u32_e32 v1, v1, v5
	v_bfe_i32 v5, v81, 4, 1
	s_delay_alu instid0(VALU_DEP_3) | instskip(SKIP_1) | instid1(VALU_DEP_4)
	v_cmp_eq_u32_e32 vcc_lo, 0, v2
	v_mov_b32_dpp v3, v2 row_shr:8 row_mask:0xf bank_mask:0xf
	v_mov_b32_dpp v4, v1 row_shr:8 row_mask:0xf bank_mask:0xf
	s_and_b32 vcc_lo, s14, vcc_lo
	s_delay_alu instid0(VALU_DEP_2) | instskip(SKIP_1) | instid1(VALU_DEP_2)
	v_cndmask_b32_e64 v3, 0, v3, s14
	s_mov_b32 s14, exec_lo
	v_cndmask_b32_e32 v4, 0, v4, vcc_lo
	s_delay_alu instid0(VALU_DEP_1) | instskip(NEXT) | instid1(VALU_DEP_3)
	v_add_nc_u32_e32 v4, v4, v1
	v_add_nc_u32_e32 v1, v3, v2
	ds_swizzle_b32 v2, v4 offset:swizzle(BROADCAST,32,15)
	ds_swizzle_b32 v3, v1 offset:swizzle(BROADCAST,32,15)
	v_cmp_eq_u32_e32 vcc_lo, 0, v1
	s_waitcnt lgkmcnt(0)
	v_dual_cndmask_b32 v2, 0, v2 :: v_dual_and_b32 v3, v5, v3
	s_delay_alu instid0(VALU_DEP_1) | instskip(NEXT) | instid1(VALU_DEP_2)
	v_and_b32_e32 v2, v5, v2
	v_add_nc_u32_e32 v1, v3, v1
	v_lshlrev_b32_e32 v3, 3, v82
	s_delay_alu instid0(VALU_DEP_3)
	v_add_nc_u32_e32 v2, v2, v4
	v_cmpx_eq_u32_e64 v83, v0
	s_cbranch_execz .LBB1055_92
; %bb.91:
	ds_store_b64 v3, v[1:2] offset:2064
.LBB1055_92:
	s_or_b32 exec_lo, exec_lo, s14
	s_delay_alu instid0(SALU_CYCLE_1)
	s_mov_b32 s15, exec_lo
	s_waitcnt lgkmcnt(0)
	s_barrier
	buffer_gl0_inv
	v_cmpx_gt_u32_e32 8, v0
	s_cbranch_execz .LBB1055_94
; %bb.93:
	v_lshlrev_b32_e32 v6, 3, v0
	v_and_b32_e32 v8, 7, v81
	ds_load_b64 v[4:5], v6 offset:2064
	v_cmp_lt_u32_e64 s14, 1, v8
	s_waitcnt lgkmcnt(0)
	v_mov_b32_dpp v7, v5 row_shr:1 row_mask:0xf bank_mask:0xf
	v_cmp_eq_u32_e32 vcc_lo, 0, v4
	v_mov_b32_dpp v37, v4 row_shr:1 row_mask:0xf bank_mask:0xf
	s_delay_alu instid0(VALU_DEP_3) | instskip(SKIP_1) | instid1(VALU_DEP_3)
	v_cndmask_b32_e32 v7, 0, v7, vcc_lo
	v_cmp_eq_u32_e32 vcc_lo, 0, v8
	v_cndmask_b32_e64 v37, v37, 0, vcc_lo
	s_delay_alu instid0(VALU_DEP_3) | instskip(NEXT) | instid1(VALU_DEP_2)
	v_cndmask_b32_e64 v7, v7, 0, vcc_lo
	v_add_nc_u32_e32 v4, v37, v4
	s_delay_alu instid0(VALU_DEP_2) | instskip(NEXT) | instid1(VALU_DEP_2)
	v_add_nc_u32_e32 v5, v7, v5
	v_cmp_eq_u32_e32 vcc_lo, 0, v4
	s_delay_alu instid0(VALU_DEP_2) | instskip(SKIP_1) | instid1(VALU_DEP_1)
	v_mov_b32_dpp v37, v5 row_shr:2 row_mask:0xf bank_mask:0xf
	s_and_b32 vcc_lo, s14, vcc_lo
	v_cndmask_b32_e32 v37, 0, v37, vcc_lo
	v_mov_b32_dpp v7, v4 row_shr:2 row_mask:0xf bank_mask:0xf
	s_delay_alu instid0(VALU_DEP_2) | instskip(NEXT) | instid1(VALU_DEP_2)
	v_add_nc_u32_e32 v5, v37, v5
	v_cndmask_b32_e64 v7, 0, v7, s14
	v_cmp_lt_u32_e64 s14, 3, v8
	s_delay_alu instid0(VALU_DEP_3) | instskip(NEXT) | instid1(VALU_DEP_3)
	v_mov_b32_dpp v8, v5 row_shr:4 row_mask:0xf bank_mask:0xf
	v_add_nc_u32_e32 v4, v7, v4
	s_delay_alu instid0(VALU_DEP_1) | instskip(SKIP_2) | instid1(VALU_DEP_1)
	v_cmp_eq_u32_e32 vcc_lo, 0, v4
	v_mov_b32_dpp v7, v4 row_shr:4 row_mask:0xf bank_mask:0xf
	s_and_b32 vcc_lo, s14, vcc_lo
	v_cndmask_b32_e64 v7, 0, v7, s14
	v_cndmask_b32_e32 v8, 0, v8, vcc_lo
	s_delay_alu instid0(VALU_DEP_2) | instskip(NEXT) | instid1(VALU_DEP_2)
	v_add_nc_u32_e32 v4, v7, v4
	v_add_nc_u32_e32 v5, v8, v5
	ds_store_b64 v6, v[4:5] offset:2064
.LBB1055_94:
	s_or_b32 exec_lo, exec_lo, s15
	v_cmp_gt_u32_e32 vcc_lo, 32, v0
	v_dual_mov_b32 v37, 0 :: v_dual_mov_b32 v38, 0
	s_mov_b32 s15, exec_lo
	s_waitcnt lgkmcnt(0)
	s_barrier
	buffer_gl0_inv
	v_cmpx_lt_u32_e32 31, v0
	s_cbranch_execz .LBB1055_96
; %bb.95:
	ds_load_b64 v[37:38], v3 offset:2056
	v_cmp_eq_u32_e64 s14, 0, v1
	s_waitcnt lgkmcnt(0)
	s_delay_alu instid0(VALU_DEP_1) | instskip(SKIP_1) | instid1(VALU_DEP_2)
	v_cndmask_b32_e64 v3, 0, v38, s14
	v_add_nc_u32_e32 v1, v37, v1
	v_add_nc_u32_e32 v2, v3, v2
.LBB1055_96:
	s_or_b32 exec_lo, exec_lo, s15
	v_add_nc_u32_e32 v3, -1, v81
	s_delay_alu instid0(VALU_DEP_1) | instskip(NEXT) | instid1(VALU_DEP_1)
	v_cmp_gt_i32_e64 s14, 0, v3
	v_cndmask_b32_e64 v3, v3, v81, s14
	v_cmp_eq_u32_e64 s14, 0, v81
	s_delay_alu instid0(VALU_DEP_2)
	v_lshlrev_b32_e32 v3, 2, v3
	ds_bpermute_b32 v43, v3, v1
	ds_bpermute_b32 v44, v3, v2
	s_and_saveexec_b32 s22, vcc_lo
	s_cbranch_execz .LBB1055_114
; %bb.97:
	v_mov_b32_e32 v4, 0
	ds_load_b64 v[1:2], v4 offset:2120
	s_waitcnt lgkmcnt(0)
	v_readfirstlane_b32 s23, v2
	s_and_saveexec_b32 s15, s14
	s_cbranch_execz .LBB1055_99
; %bb.98:
	s_add_i32 s24, s33, 32
	s_mov_b32 s25, 0
	v_mov_b32_e32 v3, 1
	s_lshl_b64 s[34:35], s[24:25], 4
	s_mov_b32 s36, s25
	s_add_u32 s34, s20, s34
	s_addc_u32 s35, s21, s35
	s_and_b32 s37, s23, 0xff000000
	s_and_b32 s41, s23, 0xff0000
	s_mov_b32 s40, s25
	v_dual_mov_b32 v5, s34 :: v_dual_mov_b32 v6, s35
	s_or_b64 s[36:37], s[40:41], s[36:37]
	s_and_b32 s41, s23, 0xff00
	s_delay_alu instid0(SALU_CYCLE_1) | instskip(SKIP_1) | instid1(SALU_CYCLE_1)
	s_or_b64 s[36:37], s[36:37], s[40:41]
	s_and_b32 s41, s23, 0xff
	s_or_b64 s[24:25], s[36:37], s[40:41]
	s_delay_alu instid0(SALU_CYCLE_1)
	v_mov_b32_e32 v2, s25
	;;#ASMSTART
	global_store_dwordx4 v[5:6], v[1:4] off	
s_waitcnt vmcnt(0)
	;;#ASMEND
.LBB1055_99:
	s_or_b32 exec_lo, exec_lo, s15
	v_xad_u32 v39, v81, -1, s33
	s_mov_b32 s24, 0
	s_mov_b32 s15, exec_lo
	s_delay_alu instid0(VALU_DEP_1) | instskip(NEXT) | instid1(VALU_DEP_1)
	v_add_nc_u32_e32 v3, 32, v39
	v_lshlrev_b64 v[2:3], 4, v[3:4]
	s_delay_alu instid0(VALU_DEP_1) | instskip(NEXT) | instid1(VALU_DEP_2)
	v_add_co_u32 v2, vcc_lo, s20, v2
	v_add_co_ci_u32_e32 v3, vcc_lo, s21, v3, vcc_lo
	;;#ASMSTART
	global_load_dwordx4 v[5:8], v[2:3] off glc	
s_waitcnt vmcnt(0)
	;;#ASMEND
	v_and_b32_e32 v4, 0xff, v6
	v_and_b32_e32 v8, 0xff00, v6
	;; [unrolled: 1-line block ×3, first 2 shown]
	v_or3_b32 v5, v5, 0, 0
	v_and_b32_e32 v6, 0xff000000, v6
	s_delay_alu instid0(VALU_DEP_4) | instskip(SKIP_1) | instid1(VALU_DEP_4)
	v_or3_b32 v4, 0, v4, v8
	v_and_b32_e32 v8, 0xff, v7
	v_or3_b32 v5, v5, 0, 0
	s_delay_alu instid0(VALU_DEP_3) | instskip(NEXT) | instid1(VALU_DEP_3)
	v_or3_b32 v6, v4, v40, v6
	v_cmpx_eq_u16_e32 0, v8
	s_cbranch_execz .LBB1055_102
.LBB1055_100:                           ; =>This Inner Loop Header: Depth=1
	;;#ASMSTART
	global_load_dwordx4 v[5:8], v[2:3] off glc	
s_waitcnt vmcnt(0)
	;;#ASMEND
	v_and_b32_e32 v4, 0xff, v7
	s_delay_alu instid0(VALU_DEP_1) | instskip(SKIP_1) | instid1(SALU_CYCLE_1)
	v_cmp_ne_u16_e32 vcc_lo, 0, v4
	s_or_b32 s24, vcc_lo, s24
	s_and_not1_b32 exec_lo, exec_lo, s24
	s_cbranch_execnz .LBB1055_100
; %bb.101:
	s_or_b32 exec_lo, exec_lo, s24
.LBB1055_102:
	s_delay_alu instid0(SALU_CYCLE_1)
	s_or_b32 exec_lo, exec_lo, s15
	v_cmp_ne_u32_e32 vcc_lo, 31, v81
	v_and_b32_e32 v3, 0xff, v7
	v_lshlrev_b32_e64 v45, v81, -1
	v_add_nc_u32_e32 v47, 2, v81
	v_add_nc_u32_e32 v49, 4, v81
	v_add_co_ci_u32_e32 v2, vcc_lo, 0, v81, vcc_lo
	v_cmp_eq_u16_e32 vcc_lo, 2, v3
	v_add_nc_u32_e32 v51, 8, v81
	v_add_nc_u32_e32 v53, 16, v81
	v_and_or_b32 v8, vcc_lo, v45, 0x80000000
	v_cmp_gt_u32_e32 vcc_lo, 30, v81
	s_delay_alu instid0(VALU_DEP_2) | instskip(SKIP_2) | instid1(VALU_DEP_3)
	v_ctz_i32_b32_e32 v8, v8
	v_cndmask_b32_e64 v40, 0, 1, vcc_lo
	v_cmp_eq_u32_e32 vcc_lo, 0, v5
	v_cmp_lt_u32_e64 s15, v81, v8
	s_delay_alu instid0(VALU_DEP_3) | instskip(NEXT) | instid1(VALU_DEP_2)
	v_lshlrev_b32_e32 v40, 1, v40
	s_and_b32 vcc_lo, s15, vcc_lo
	v_lshlrev_b32_e32 v2, 2, v2
	s_delay_alu instid0(VALU_DEP_2)
	v_add_lshl_u32 v46, v40, v81, 2
	ds_bpermute_b32 v3, v2, v6
	s_waitcnt lgkmcnt(0)
	v_cndmask_b32_e32 v3, 0, v3, vcc_lo
	ds_bpermute_b32 v4, v2, v5
	v_cmp_gt_u32_e32 vcc_lo, 28, v81
	v_add_nc_u32_e32 v3, v3, v6
	ds_bpermute_b32 v6, v46, v3
	s_waitcnt lgkmcnt(1)
	v_cndmask_b32_e64 v4, 0, v4, s15
	s_delay_alu instid0(VALU_DEP_1) | instskip(SKIP_1) | instid1(VALU_DEP_2)
	v_add_nc_u32_e32 v4, v4, v5
	v_cndmask_b32_e64 v5, 0, 1, vcc_lo
	v_cmp_eq_u32_e32 vcc_lo, 0, v4
	ds_bpermute_b32 v40, v46, v4
	s_waitcnt lgkmcnt(1)
	v_dual_cndmask_b32 v6, 0, v6 :: v_dual_lshlrev_b32 v5, 2, v5
	v_cmp_gt_u32_e32 vcc_lo, v47, v8
	s_delay_alu instid0(VALU_DEP_2) | instskip(NEXT) | instid1(VALU_DEP_3)
	v_add_lshl_u32 v48, v5, v81, 2
	v_cndmask_b32_e64 v6, v6, 0, vcc_lo
	s_delay_alu instid0(VALU_DEP_1) | instskip(SKIP_4) | instid1(VALU_DEP_2)
	v_add_nc_u32_e32 v3, v6, v3
	ds_bpermute_b32 v5, v48, v3
	s_waitcnt lgkmcnt(1)
	v_cndmask_b32_e64 v6, v40, 0, vcc_lo
	v_cmp_gt_u32_e32 vcc_lo, 24, v81
	v_add_nc_u32_e32 v4, v4, v6
	v_cndmask_b32_e64 v40, 0, 1, vcc_lo
	ds_bpermute_b32 v6, v48, v4
	v_cmp_eq_u32_e32 vcc_lo, 0, v4
	v_lshlrev_b32_e32 v40, 3, v40
	s_delay_alu instid0(VALU_DEP_1) | instskip(SKIP_3) | instid1(VALU_DEP_2)
	v_add_lshl_u32 v50, v40, v81, 2
	s_waitcnt lgkmcnt(1)
	v_cndmask_b32_e32 v5, 0, v5, vcc_lo
	v_cmp_gt_u32_e32 vcc_lo, v49, v8
	v_cndmask_b32_e64 v5, v5, 0, vcc_lo
	s_delay_alu instid0(VALU_DEP_1)
	v_add_nc_u32_e32 v3, v3, v5
	s_waitcnt lgkmcnt(0)
	v_cndmask_b32_e64 v6, v6, 0, vcc_lo
	v_cmp_gt_u32_e32 vcc_lo, 16, v81
	ds_bpermute_b32 v5, v50, v3
	v_add_nc_u32_e32 v4, v4, v6
	v_cndmask_b32_e64 v40, 0, 1, vcc_lo
	ds_bpermute_b32 v6, v50, v4
	v_cmp_eq_u32_e32 vcc_lo, 0, v4
	v_lshlrev_b32_e32 v40, 4, v40
	s_delay_alu instid0(VALU_DEP_1) | instskip(SKIP_3) | instid1(VALU_DEP_2)
	v_add_lshl_u32 v52, v40, v81, 2
	s_waitcnt lgkmcnt(1)
	v_dual_mov_b32 v40, 0 :: v_dual_cndmask_b32 v5, 0, v5
	v_cmp_gt_u32_e32 vcc_lo, v51, v8
	v_cndmask_b32_e64 v5, v5, 0, vcc_lo
	s_delay_alu instid0(VALU_DEP_1)
	v_add_nc_u32_e32 v3, v3, v5
	s_waitcnt lgkmcnt(0)
	v_cndmask_b32_e64 v5, v6, 0, vcc_lo
	ds_bpermute_b32 v6, v52, v3
	v_add_nc_u32_e32 v4, v4, v5
	ds_bpermute_b32 v5, v52, v4
	v_cmp_eq_u32_e32 vcc_lo, 0, v4
	s_waitcnt lgkmcnt(1)
	v_cndmask_b32_e32 v6, 0, v6, vcc_lo
	v_cmp_gt_u32_e32 vcc_lo, v53, v8
	s_delay_alu instid0(VALU_DEP_2) | instskip(SKIP_2) | instid1(VALU_DEP_2)
	v_cndmask_b32_e64 v6, v6, 0, vcc_lo
	s_waitcnt lgkmcnt(0)
	v_cndmask_b32_e64 v5, v5, 0, vcc_lo
	v_add_nc_u32_e32 v6, v6, v3
	s_delay_alu instid0(VALU_DEP_2)
	v_add_nc_u32_e32 v5, v5, v4
	s_branch .LBB1055_104
.LBB1055_103:                           ;   in Loop: Header=BB1055_104 Depth=1
	s_or_b32 exec_lo, exec_lo, s15
	v_and_b32_e32 v8, 0xff, v7
	ds_bpermute_b32 v41, v2, v5
	v_subrev_nc_u32_e32 v39, 32, v39
	v_cmp_eq_u16_e32 vcc_lo, 2, v8
	ds_bpermute_b32 v8, v2, v6
	v_and_or_b32 v42, vcc_lo, v45, 0x80000000
	v_cmp_eq_u32_e32 vcc_lo, 0, v5
	s_delay_alu instid0(VALU_DEP_2) | instskip(NEXT) | instid1(VALU_DEP_1)
	v_ctz_i32_b32_e32 v42, v42
	v_cmp_lt_u32_e64 s15, v81, v42
	s_delay_alu instid0(VALU_DEP_1) | instskip(SKIP_4) | instid1(VALU_DEP_2)
	s_and_b32 vcc_lo, s15, vcc_lo
	s_waitcnt lgkmcnt(1)
	v_cndmask_b32_e64 v41, 0, v41, s15
	s_waitcnt lgkmcnt(0)
	v_cndmask_b32_e32 v8, 0, v8, vcc_lo
	v_add_nc_u32_e32 v5, v41, v5
	s_delay_alu instid0(VALU_DEP_2)
	v_add_nc_u32_e32 v6, v8, v6
	ds_bpermute_b32 v41, v46, v5
	ds_bpermute_b32 v8, v46, v6
	v_cmp_eq_u32_e32 vcc_lo, 0, v5
	s_waitcnt lgkmcnt(0)
	v_cndmask_b32_e32 v8, 0, v8, vcc_lo
	v_cmp_gt_u32_e32 vcc_lo, v47, v42
	v_cndmask_b32_e64 v41, v41, 0, vcc_lo
	s_delay_alu instid0(VALU_DEP_1) | instskip(NEXT) | instid1(VALU_DEP_4)
	v_add_nc_u32_e32 v5, v5, v41
	v_cndmask_b32_e64 v8, v8, 0, vcc_lo
	ds_bpermute_b32 v41, v48, v5
	v_add_nc_u32_e32 v6, v8, v6
	v_cmp_eq_u32_e32 vcc_lo, 0, v5
	ds_bpermute_b32 v8, v48, v6
	s_waitcnt lgkmcnt(0)
	v_cndmask_b32_e32 v8, 0, v8, vcc_lo
	v_cmp_gt_u32_e32 vcc_lo, v49, v42
	v_cndmask_b32_e64 v41, v41, 0, vcc_lo
	s_delay_alu instid0(VALU_DEP_1) | instskip(NEXT) | instid1(VALU_DEP_4)
	v_add_nc_u32_e32 v5, v5, v41
	v_cndmask_b32_e64 v8, v8, 0, vcc_lo
	ds_bpermute_b32 v41, v50, v5
	v_add_nc_u32_e32 v6, v6, v8
	v_cmp_eq_u32_e32 vcc_lo, 0, v5
	ds_bpermute_b32 v8, v50, v6
	;; [unrolled: 11-line block ×3, first 2 shown]
	s_waitcnt lgkmcnt(0)
	v_cndmask_b32_e32 v8, 0, v8, vcc_lo
	v_cmp_gt_u32_e32 vcc_lo, v53, v42
	s_delay_alu instid0(VALU_DEP_2) | instskip(NEXT) | instid1(VALU_DEP_1)
	v_cndmask_b32_e64 v8, v8, 0, vcc_lo
	v_add_nc_u32_e32 v6, v8, v6
	v_cndmask_b32_e64 v8, v41, 0, vcc_lo
	v_cmp_eq_u32_e32 vcc_lo, 0, v3
	s_delay_alu instid0(VALU_DEP_2) | instskip(NEXT) | instid1(VALU_DEP_4)
	v_add3_u32 v5, v5, v3, v8
	v_cndmask_b32_e32 v6, 0, v6, vcc_lo
	s_delay_alu instid0(VALU_DEP_1)
	v_add_nc_u32_e32 v6, v6, v4
.LBB1055_104:                           ; =>This Loop Header: Depth=1
                                        ;     Child Loop BB1055_107 Depth 2
	s_delay_alu instid0(VALU_DEP_1) | instskip(NEXT) | instid1(VALU_DEP_1)
	v_dual_mov_b32 v4, v6 :: v_dual_and_b32 v3, 0xff, v7
	v_cmp_ne_u16_e32 vcc_lo, 2, v3
	v_cndmask_b32_e64 v3, 0, 1, vcc_lo
	;;#ASMSTART
	;;#ASMEND
	s_delay_alu instid0(VALU_DEP_1)
	v_cmp_ne_u32_e32 vcc_lo, 0, v3
	v_mov_b32_e32 v3, v5
	s_cmp_lg_u32 vcc_lo, exec_lo
	s_cbranch_scc1 .LBB1055_109
; %bb.105:                              ;   in Loop: Header=BB1055_104 Depth=1
	v_lshlrev_b64 v[5:6], 4, v[39:40]
	s_mov_b32 s15, exec_lo
	s_delay_alu instid0(VALU_DEP_1) | instskip(NEXT) | instid1(VALU_DEP_2)
	v_add_co_u32 v41, vcc_lo, s20, v5
	v_add_co_ci_u32_e32 v42, vcc_lo, s21, v6, vcc_lo
	;;#ASMSTART
	global_load_dwordx4 v[5:8], v[41:42] off glc	
s_waitcnt vmcnt(0)
	;;#ASMEND
	v_and_b32_e32 v8, 0xff, v6
	v_and_b32_e32 v54, 0xff00, v6
	;; [unrolled: 1-line block ×3, first 2 shown]
	v_or3_b32 v5, v5, 0, 0
	v_and_b32_e32 v6, 0xff000000, v6
	s_delay_alu instid0(VALU_DEP_4) | instskip(SKIP_1) | instid1(VALU_DEP_4)
	v_or3_b32 v8, 0, v8, v54
	v_and_b32_e32 v54, 0xff, v7
	v_or3_b32 v5, v5, 0, 0
	s_delay_alu instid0(VALU_DEP_3) | instskip(NEXT) | instid1(VALU_DEP_3)
	v_or3_b32 v6, v8, v55, v6
	v_cmpx_eq_u16_e32 0, v54
	s_cbranch_execz .LBB1055_103
; %bb.106:                              ;   in Loop: Header=BB1055_104 Depth=1
	s_mov_b32 s24, 0
.LBB1055_107:                           ;   Parent Loop BB1055_104 Depth=1
                                        ; =>  This Inner Loop Header: Depth=2
	;;#ASMSTART
	global_load_dwordx4 v[5:8], v[41:42] off glc	
s_waitcnt vmcnt(0)
	;;#ASMEND
	v_and_b32_e32 v8, 0xff, v7
	s_delay_alu instid0(VALU_DEP_1) | instskip(SKIP_1) | instid1(SALU_CYCLE_1)
	v_cmp_ne_u16_e32 vcc_lo, 0, v8
	s_or_b32 s24, vcc_lo, s24
	s_and_not1_b32 exec_lo, exec_lo, s24
	s_cbranch_execnz .LBB1055_107
; %bb.108:                              ;   in Loop: Header=BB1055_104 Depth=1
	s_or_b32 exec_lo, exec_lo, s24
	s_branch .LBB1055_103
.LBB1055_109:                           ;   in Loop: Header=BB1055_104 Depth=1
                                        ; implicit-def: $vgpr6
                                        ; implicit-def: $vgpr5
                                        ; implicit-def: $vgpr7
	s_cbranch_execz .LBB1055_104
; %bb.110:
	s_and_saveexec_b32 s15, s14
	s_cbranch_execz .LBB1055_112
; %bb.111:
	v_cmp_eq_u32_e32 vcc_lo, 0, v1
	s_mov_b32 s25, 0
	s_add_i32 s24, s33, 32
	v_add_nc_u32_e32 v5, v3, v1
	s_lshl_b64 s[24:25], s[24:25], 4
	v_cndmask_b32_e32 v2, 0, v4, vcc_lo
	s_add_u32 s24, s20, s24
	s_addc_u32 s25, s21, s25
	v_mov_b32_e32 v8, 0
	s_delay_alu instid0(VALU_DEP_2) | instskip(NEXT) | instid1(VALU_DEP_1)
	v_add_nc_u32_e32 v2, s23, v2
	v_and_b32_e32 v6, 0xff000000, v2
	v_and_b32_e32 v7, 0xff0000, v2
	s_delay_alu instid0(VALU_DEP_1) | instskip(SKIP_3) | instid1(VALU_DEP_1)
	v_or_b32_e32 v6, v7, v6
	v_mov_b32_e32 v7, 2
	v_and_b32_e32 v39, 0xff00, v2
	v_and_b32_e32 v2, 0xff, v2
	v_or3_b32 v6, v6, v39, v2
	v_mov_b32_e32 v2, s23
	v_dual_mov_b32 v40, s25 :: v_dual_mov_b32 v39, s24
	;;#ASMSTART
	global_store_dwordx4 v[39:40], v[5:8] off	
s_waitcnt vmcnt(0)
	;;#ASMEND
	ds_store_b128 v8, v[1:4] offset:2048
.LBB1055_112:
	s_or_b32 exec_lo, exec_lo, s15
	s_delay_alu instid0(SALU_CYCLE_1)
	s_and_b32 exec_lo, exec_lo, s2
	s_cbranch_execz .LBB1055_114
; %bb.113:
	v_mov_b32_e32 v1, 0
	ds_store_b64 v1, v[3:4] offset:2120
.LBB1055_114:
	s_or_b32 exec_lo, exec_lo, s22
	s_waitcnt lgkmcnt(1)
	v_cndmask_b32_e64 v4, v43, v37, s14
	s_waitcnt lgkmcnt(0)
	s_barrier
	buffer_gl0_inv
	v_cndmask_b32_e64 v5, v44, v38, s14
	v_cmp_eq_u32_e32 vcc_lo, 0, v4
	v_mov_b32_e32 v3, 0
	ds_load_b64 v[1:2], v3 offset:2120
	s_waitcnt lgkmcnt(0)
	s_barrier
	buffer_gl0_inv
	v_cndmask_b32_e32 v6, 0, v2, vcc_lo
	v_cmp_eq_u32_e32 vcc_lo, 0, v79
	s_delay_alu instid0(VALU_DEP_2) | instskip(NEXT) | instid1(VALU_DEP_1)
	v_add_nc_u32_e32 v5, v6, v5
	v_cndmask_b32_e64 v54, v5, v2, s2
	s_delay_alu instid0(VALU_DEP_1) | instskip(NEXT) | instid1(VALU_DEP_1)
	v_cndmask_b32_e32 v2, 0, v54, vcc_lo
	v_add_nc_u32_e32 v60, v2, v35
	s_delay_alu instid0(VALU_DEP_1) | instskip(NEXT) | instid1(VALU_DEP_1)
	v_cndmask_b32_e64 v2, 0, v60, s13
	v_add_nc_u32_e32 v56, v2, v36
	s_delay_alu instid0(VALU_DEP_1) | instskip(NEXT) | instid1(VALU_DEP_1)
	v_cndmask_b32_e64 v2, 0, v56, s12
	v_add_nc_u32_e32 v52, v2, v33
	s_delay_alu instid0(VALU_DEP_1) | instskip(NEXT) | instid1(VALU_DEP_1)
	v_cndmask_b32_e64 v2, 0, v52, s11
	v_add_nc_u32_e32 v46, v2, v34
	s_delay_alu instid0(VALU_DEP_1) | instskip(NEXT) | instid1(VALU_DEP_1)
	v_cndmask_b32_e64 v2, 0, v46, s10
	v_add_nc_u32_e32 v42, v2, v31
	s_delay_alu instid0(VALU_DEP_1) | instskip(NEXT) | instid1(VALU_DEP_1)
	v_cndmask_b32_e64 v2, 0, v42, s9
	v_add_nc_u32_e32 v40, v2, v32
	v_cndmask_b32_e64 v2, v4, 0, s2
	s_delay_alu instid0(VALU_DEP_2) | instskip(NEXT) | instid1(VALU_DEP_2)
	v_cndmask_b32_e64 v4, 0, v40, s8
	v_add_nc_u32_e32 v53, v1, v2
	s_delay_alu instid0(VALU_DEP_2) | instskip(NEXT) | instid1(VALU_DEP_1)
	v_add_nc_u32_e32 v44, v4, v29
	v_cndmask_b32_e64 v1, 0, v44, s7
	s_delay_alu instid0(VALU_DEP_1) | instskip(NEXT) | instid1(VALU_DEP_1)
	v_add_nc_u32_e32 v48, v1, v30
	v_cndmask_b32_e64 v1, 0, v48, s6
	s_delay_alu instid0(VALU_DEP_1) | instskip(NEXT) | instid1(VALU_DEP_1)
	;; [unrolled: 3-line block ×3, first 2 shown]
	v_add_nc_u32_e32 v8, v1, v28
	v_cndmask_b32_e64 v1, 0, v8, s4
	s_delay_alu instid0(VALU_DEP_1) | instskip(SKIP_2) | instid1(VALU_DEP_1)
	v_add_nc_u32_e32 v38, v1, v25
	ds_load_b128 v[1:4], v3 offset:2048
	v_cndmask_b32_e64 v37, 0, v38, s3
	v_add_nc_u32_e32 v62, v37, v26
	s_delay_alu instid0(VALU_DEP_1) | instskip(NEXT) | instid1(VALU_DEP_1)
	v_cndmask_b32_e64 v49, 0, v62, s1
	v_add_nc_u32_e32 v58, v49, v23
	s_waitcnt lgkmcnt(0)
	v_cmp_eq_u32_e32 vcc_lo, 0, v1
	s_delay_alu instid0(VALU_DEP_2) | instskip(SKIP_1) | instid1(VALU_DEP_2)
	v_cndmask_b32_e64 v50, 0, v58, s0
	v_dual_cndmask_b32 v4, 0, v4 :: v_dual_add_nc_u32 v59, v53, v79
	v_add_nc_u32_e32 v50, v50, v24
	s_delay_alu instid0(VALU_DEP_2) | instskip(NEXT) | instid1(VALU_DEP_3)
	v_add_nc_u32_e32 v80, v4, v2
	v_add_nc_u32_e32 v55, v59, v77
	s_delay_alu instid0(VALU_DEP_1) | instskip(NEXT) | instid1(VALU_DEP_1)
	v_add_nc_u32_e32 v51, v55, v76
	v_add_nc_u32_e32 v45, v51, v75
	s_delay_alu instid0(VALU_DEP_1) | instskip(NEXT) | instid1(VALU_DEP_1)
	;; [unrolled: 3-line block ×6, first 2 shown]
	v_add_nc_u32_e32 v57, v61, v65
	v_add_nc_u32_e32 v49, v57, v64
	s_branch .LBB1055_127
.LBB1055_115:
                                        ; implicit-def: $vgpr1
                                        ; implicit-def: $vgpr80
                                        ; implicit-def: $vgpr53_vgpr54
                                        ; implicit-def: $vgpr59_vgpr60
                                        ; implicit-def: $vgpr55_vgpr56
                                        ; implicit-def: $vgpr51_vgpr52
                                        ; implicit-def: $vgpr45_vgpr46
                                        ; implicit-def: $vgpr41_vgpr42
                                        ; implicit-def: $vgpr39_vgpr40
                                        ; implicit-def: $vgpr43_vgpr44
                                        ; implicit-def: $vgpr47_vgpr48
                                        ; implicit-def: $vgpr5_vgpr6
                                        ; implicit-def: $vgpr7_vgpr8
                                        ; implicit-def: $vgpr37_vgpr38
                                        ; implicit-def: $vgpr61_vgpr62
                                        ; implicit-def: $vgpr57_vgpr58
                                        ; implicit-def: $vgpr49_vgpr50
	s_cbranch_execz .LBB1055_127
; %bb.116:
	s_and_b32 s0, s16, exec_lo
	v_mov_b32_e32 v49, v35
	s_cselect_b32 s1, 0, s19
	s_cselect_b32 s0, 0, s18
	s_delay_alu instid0(SALU_CYCLE_1)
	s_cmp_eq_u64 s[0:1], 0
	s_cbranch_scc1 .LBB1055_118
; %bb.117:
	v_mov_b32_e32 v1, 0
	global_load_b32 v49, v1, s[0:1]
.LBB1055_118:
	v_cmp_eq_u32_e64 s7, 0, v77
	v_cmp_eq_u32_e64 s8, 0, v76
	;; [unrolled: 1-line block ×5, first 2 shown]
	v_cndmask_b32_e64 v1, 0, v35, s7
	v_cmp_eq_u32_e64 s12, 0, v72
	v_cmp_eq_u32_e64 s6, 0, v71
	;; [unrolled: 1-line block ×4, first 2 shown]
	v_add_nc_u32_e32 v1, v1, v36
	v_cmp_eq_u32_e64 s3, 0, v67
	v_add3_u32 v2, v84, v73, v72
	v_cmp_eq_u32_e64 s1, 0, v66
	v_cmp_eq_u32_e32 vcc_lo, 0, v65
	v_cndmask_b32_e64 v1, 0, v1, s8
	v_cmp_eq_u32_e64 s0, 0, v64
	v_add3_u32 v2, v2, v71, v70
	v_cmp_eq_u32_e64 s13, 0, v69
	v_and_b32_e32 v4, 15, v81
	v_add_nc_u32_e32 v1, v1, v33
	s_delay_alu instid0(VALU_DEP_4) | instskip(NEXT) | instid1(VALU_DEP_3)
	v_add3_u32 v2, v2, v68, v67
	v_cmp_lt_u32_e64 s14, 1, v4
	s_delay_alu instid0(VALU_DEP_3) | instskip(NEXT) | instid1(VALU_DEP_3)
	v_cndmask_b32_e64 v1, 0, v1, s9
	v_add3_u32 v2, v2, v66, v65
	s_delay_alu instid0(VALU_DEP_2) | instskip(NEXT) | instid1(VALU_DEP_2)
	v_add_nc_u32_e32 v1, v1, v34
	v_add3_u32 v2, v2, v64, v69
	s_delay_alu instid0(VALU_DEP_2) | instskip(NEXT) | instid1(VALU_DEP_2)
	v_cndmask_b32_e64 v1, 0, v1, s10
	v_mov_b32_dpp v5, v2 row_shr:1 row_mask:0xf bank_mask:0xf
	s_delay_alu instid0(VALU_DEP_2) | instskip(NEXT) | instid1(VALU_DEP_1)
	v_add_nc_u32_e32 v1, v1, v31
	v_cndmask_b32_e64 v1, 0, v1, s11
	s_delay_alu instid0(VALU_DEP_1) | instskip(NEXT) | instid1(VALU_DEP_1)
	v_add_nc_u32_e32 v1, v1, v32
	v_cndmask_b32_e64 v1, 0, v1, s12
	s_delay_alu instid0(VALU_DEP_1) | instskip(NEXT) | instid1(VALU_DEP_1)
	;; [unrolled: 3-line block ×7, first 2 shown]
	v_add_nc_u32_e32 v1, v1, v26
	v_cndmask_b32_e32 v1, 0, v1, vcc_lo
	s_delay_alu instid0(VALU_DEP_1) | instskip(NEXT) | instid1(VALU_DEP_1)
	v_add_nc_u32_e32 v1, v1, v23
	v_cndmask_b32_e64 v1, 0, v1, s0
	s_delay_alu instid0(VALU_DEP_1) | instskip(NEXT) | instid1(VALU_DEP_1)
	v_add_nc_u32_e32 v1, v1, v24
	v_cndmask_b32_e64 v1, 0, v1, s13
	v_cmp_eq_u32_e64 s13, 0, v2
	s_delay_alu instid0(VALU_DEP_2) | instskip(NEXT) | instid1(VALU_DEP_1)
	v_add_nc_u32_e32 v1, v1, v78
	v_mov_b32_dpp v3, v1 row_shr:1 row_mask:0xf bank_mask:0xf
	s_delay_alu instid0(VALU_DEP_1) | instskip(SKIP_1) | instid1(VALU_DEP_1)
	v_cndmask_b32_e64 v3, 0, v3, s13
	v_cmp_eq_u32_e64 s13, 0, v4
	v_cndmask_b32_e64 v5, v5, 0, s13
	s_delay_alu instid0(VALU_DEP_3) | instskip(NEXT) | instid1(VALU_DEP_2)
	v_cndmask_b32_e64 v3, v3, 0, s13
	v_add_nc_u32_e32 v2, v5, v2
	s_delay_alu instid0(VALU_DEP_2) | instskip(NEXT) | instid1(VALU_DEP_2)
	v_add_nc_u32_e32 v1, v3, v1
	v_mov_b32_dpp v3, v2 row_shr:2 row_mask:0xf bank_mask:0xf
	v_cmp_eq_u32_e64 s13, 0, v2
	s_delay_alu instid0(VALU_DEP_3) | instskip(NEXT) | instid1(VALU_DEP_3)
	v_mov_b32_dpp v5, v1 row_shr:2 row_mask:0xf bank_mask:0xf
	v_cndmask_b32_e64 v3, 0, v3, s14
	s_delay_alu instid0(VALU_DEP_3) | instskip(SKIP_1) | instid1(VALU_DEP_3)
	s_and_b32 s13, s14, s13
	v_cmp_lt_u32_e64 s14, 3, v4
	v_cndmask_b32_e64 v5, 0, v5, s13
	s_delay_alu instid0(VALU_DEP_3) | instskip(NEXT) | instid1(VALU_DEP_2)
	v_add_nc_u32_e32 v2, v2, v3
	v_add_nc_u32_e32 v1, v5, v1
	s_delay_alu instid0(VALU_DEP_2) | instskip(SKIP_1) | instid1(VALU_DEP_3)
	v_mov_b32_dpp v3, v2 row_shr:4 row_mask:0xf bank_mask:0xf
	v_cmp_eq_u32_e64 s13, 0, v2
	v_mov_b32_dpp v5, v1 row_shr:4 row_mask:0xf bank_mask:0xf
	s_delay_alu instid0(VALU_DEP_3) | instskip(NEXT) | instid1(VALU_DEP_3)
	v_cndmask_b32_e64 v3, 0, v3, s14
	s_and_b32 s13, s14, s13
	v_cmp_lt_u32_e64 s14, 7, v4
	s_delay_alu instid0(VALU_DEP_3) | instskip(NEXT) | instid1(VALU_DEP_3)
	v_cndmask_b32_e64 v5, 0, v5, s13
	v_add_nc_u32_e32 v2, v3, v2
	s_delay_alu instid0(VALU_DEP_2) | instskip(SKIP_1) | instid1(VALU_DEP_3)
	v_add_nc_u32_e32 v1, v1, v5
	v_bfe_i32 v5, v81, 4, 1
	v_cmp_eq_u32_e64 s13, 0, v2
	v_mov_b32_dpp v3, v2 row_shr:8 row_mask:0xf bank_mask:0xf
	s_delay_alu instid0(VALU_DEP_4) | instskip(NEXT) | instid1(VALU_DEP_3)
	v_mov_b32_dpp v4, v1 row_shr:8 row_mask:0xf bank_mask:0xf
	s_and_b32 s13, s14, s13
	s_delay_alu instid0(VALU_DEP_2) | instskip(SKIP_1) | instid1(VALU_DEP_2)
	v_cndmask_b32_e64 v3, 0, v3, s14
	s_mov_b32 s14, exec_lo
	v_cndmask_b32_e64 v4, 0, v4, s13
	s_delay_alu instid0(VALU_DEP_1) | instskip(NEXT) | instid1(VALU_DEP_3)
	v_add_nc_u32_e32 v4, v4, v1
	v_add_nc_u32_e32 v1, v3, v2
	ds_swizzle_b32 v2, v4 offset:swizzle(BROADCAST,32,15)
	ds_swizzle_b32 v3, v1 offset:swizzle(BROADCAST,32,15)
	v_cmp_eq_u32_e64 s13, 0, v1
	s_waitcnt lgkmcnt(1)
	s_delay_alu instid0(VALU_DEP_1) | instskip(SKIP_2) | instid1(VALU_DEP_2)
	v_cndmask_b32_e64 v2, 0, v2, s13
	s_waitcnt lgkmcnt(0)
	v_and_b32_e32 v3, v5, v3
	v_and_b32_e32 v2, v5, v2
	s_delay_alu instid0(VALU_DEP_2) | instskip(NEXT) | instid1(VALU_DEP_2)
	v_add_nc_u32_e32 v1, v3, v1
	v_add_nc_u32_e32 v2, v2, v4
	v_lshlrev_b32_e32 v4, 3, v82
	v_cmpx_eq_u32_e64 v83, v0
	s_cbranch_execz .LBB1055_120
; %bb.119:
	ds_store_b64 v4, v[1:2] offset:2064
.LBB1055_120:
	s_or_b32 exec_lo, exec_lo, s14
	s_delay_alu instid0(SALU_CYCLE_1)
	s_mov_b32 s15, exec_lo
	s_waitcnt vmcnt(0) lgkmcnt(0)
	s_barrier
	buffer_gl0_inv
	v_cmpx_gt_u32_e32 8, v0
	s_cbranch_execz .LBB1055_122
; %bb.121:
	v_lshlrev_b32_e32 v3, 3, v0
	v_and_b32_e32 v8, 7, v81
	ds_load_b64 v[5:6], v3 offset:2064
	v_cmp_lt_u32_e64 s14, 1, v8
	s_waitcnt lgkmcnt(0)
	v_mov_b32_dpp v7, v6 row_shr:1 row_mask:0xf bank_mask:0xf
	v_cmp_eq_u32_e64 s13, 0, v5
	v_mov_b32_dpp v37, v5 row_shr:1 row_mask:0xf bank_mask:0xf
	s_delay_alu instid0(VALU_DEP_2) | instskip(SKIP_1) | instid1(VALU_DEP_1)
	v_cndmask_b32_e64 v7, 0, v7, s13
	v_cmp_eq_u32_e64 s13, 0, v8
	v_cndmask_b32_e64 v37, v37, 0, s13
	s_delay_alu instid0(VALU_DEP_3) | instskip(NEXT) | instid1(VALU_DEP_2)
	v_cndmask_b32_e64 v7, v7, 0, s13
	v_add_nc_u32_e32 v5, v37, v5
	s_delay_alu instid0(VALU_DEP_2) | instskip(NEXT) | instid1(VALU_DEP_2)
	v_add_nc_u32_e32 v6, v7, v6
	v_mov_b32_dpp v7, v5 row_shr:2 row_mask:0xf bank_mask:0xf
	v_cmp_eq_u32_e64 s13, 0, v5
	s_delay_alu instid0(VALU_DEP_3) | instskip(NEXT) | instid1(VALU_DEP_3)
	v_mov_b32_dpp v37, v6 row_shr:2 row_mask:0xf bank_mask:0xf
	v_cndmask_b32_e64 v7, 0, v7, s14
	s_delay_alu instid0(VALU_DEP_3) | instskip(SKIP_1) | instid1(VALU_DEP_3)
	s_and_b32 s13, s14, s13
	v_cmp_lt_u32_e64 s14, 3, v8
	v_cndmask_b32_e64 v37, 0, v37, s13
	s_delay_alu instid0(VALU_DEP_3) | instskip(NEXT) | instid1(VALU_DEP_2)
	v_add_nc_u32_e32 v5, v7, v5
	v_add_nc_u32_e32 v6, v37, v6
	s_delay_alu instid0(VALU_DEP_2) | instskip(SKIP_1) | instid1(VALU_DEP_3)
	v_cmp_eq_u32_e64 s13, 0, v5
	v_mov_b32_dpp v7, v5 row_shr:4 row_mask:0xf bank_mask:0xf
	v_mov_b32_dpp v8, v6 row_shr:4 row_mask:0xf bank_mask:0xf
	s_delay_alu instid0(VALU_DEP_3) | instskip(NEXT) | instid1(VALU_DEP_2)
	s_and_b32 s13, s14, s13
	v_cndmask_b32_e64 v7, 0, v7, s14
	s_delay_alu instid0(VALU_DEP_2) | instskip(NEXT) | instid1(VALU_DEP_2)
	v_cndmask_b32_e64 v8, 0, v8, s13
	v_add_nc_u32_e32 v5, v7, v5
	s_delay_alu instid0(VALU_DEP_2)
	v_add_nc_u32_e32 v6, v8, v6
	ds_store_b64 v3, v[5:6] offset:2064
.LBB1055_122:
	s_or_b32 exec_lo, exec_lo, s15
	v_mov_b32_e32 v7, 0
	v_mov_b32_e32 v3, 0
	;; [unrolled: 1-line block ×3, first 2 shown]
	s_mov_b32 s14, exec_lo
	s_waitcnt lgkmcnt(0)
	s_barrier
	buffer_gl0_inv
	v_cmpx_lt_u32_e32 31, v0
	s_cbranch_execz .LBB1055_124
; %bb.123:
	ds_load_b64 v[3:4], v4 offset:2056
	s_waitcnt lgkmcnt(0)
	v_cmp_eq_u32_e64 s13, 0, v3
	s_delay_alu instid0(VALU_DEP_1) | instskip(NEXT) | instid1(VALU_DEP_1)
	v_cndmask_b32_e64 v5, 0, v49, s13
	v_add_nc_u32_e32 v5, v5, v4
.LBB1055_124:
	s_or_b32 exec_lo, exec_lo, s14
	v_add_nc_u32_e32 v4, -1, v81
	s_delay_alu instid0(VALU_DEP_1) | instskip(NEXT) | instid1(VALU_DEP_1)
	v_cmp_gt_i32_e64 s13, 0, v4
	v_cndmask_b32_e64 v4, v4, v81, s13
	v_cmp_eq_u32_e64 s13, 0, v1
	v_add_nc_u32_e32 v1, v3, v1
	s_delay_alu instid0(VALU_DEP_3) | instskip(NEXT) | instid1(VALU_DEP_3)
	v_lshlrev_b32_e32 v4, 2, v4
	v_cndmask_b32_e64 v6, 0, v5, s13
	v_cmp_eq_u32_e64 s13, 0, v81
	ds_bpermute_b32 v1, v4, v1
	v_add_nc_u32_e32 v2, v6, v2
	ds_bpermute_b32 v2, v4, v2
	s_waitcnt lgkmcnt(1)
	v_cndmask_b32_e64 v1, v1, v3, s13
	s_delay_alu instid0(VALU_DEP_1) | instskip(SKIP_3) | instid1(VALU_DEP_2)
	v_cndmask_b32_e64 v53, v1, 0, s2
	s_waitcnt lgkmcnt(0)
	v_cndmask_b32_e64 v2, v2, v5, s13
	v_cmp_eq_u32_e64 s13, 0, v79
	v_cndmask_b32_e64 v54, v2, v49, s2
	s_delay_alu instid0(VALU_DEP_1) | instskip(NEXT) | instid1(VALU_DEP_1)
	v_cndmask_b32_e64 v2, 0, v54, s13
	v_add_nc_u32_e32 v60, v2, v35
	s_delay_alu instid0(VALU_DEP_1) | instskip(NEXT) | instid1(VALU_DEP_1)
	v_cndmask_b32_e64 v2, 0, v60, s7
	v_add_nc_u32_e32 v56, v2, v36
	;; [unrolled: 3-line block ×11, first 2 shown]
	ds_load_b64 v[1:2], v7 offset:2120
	v_cndmask_b32_e64 v3, 0, v38, s1
	s_delay_alu instid0(VALU_DEP_1) | instskip(NEXT) | instid1(VALU_DEP_1)
	v_add_nc_u32_e32 v62, v3, v26
	v_cndmask_b32_e32 v3, 0, v62, vcc_lo
	s_delay_alu instid0(VALU_DEP_1) | instskip(SKIP_3) | instid1(VALU_DEP_3)
	v_add_nc_u32_e32 v58, v3, v23
	s_waitcnt lgkmcnt(0)
	v_cmp_eq_u32_e32 vcc_lo, 0, v1
	v_add_nc_u32_e32 v59, v53, v79
	v_cndmask_b32_e64 v3, 0, v58, s0
	v_cndmask_b32_e32 v4, 0, v49, vcc_lo
	s_delay_alu instid0(VALU_DEP_3) | instskip(NEXT) | instid1(VALU_DEP_3)
	v_add_nc_u32_e32 v55, v59, v77
	v_add_nc_u32_e32 v50, v3, v24
	s_delay_alu instid0(VALU_DEP_3) | instskip(NEXT) | instid1(VALU_DEP_3)
	v_add_nc_u32_e32 v80, v4, v2
	v_add_nc_u32_e32 v51, v55, v76
	s_delay_alu instid0(VALU_DEP_1) | instskip(NEXT) | instid1(VALU_DEP_1)
	v_add_nc_u32_e32 v45, v51, v75
	v_add_nc_u32_e32 v41, v45, v74
	s_delay_alu instid0(VALU_DEP_1) | instskip(NEXT) | instid1(VALU_DEP_1)
	;; [unrolled: 3-line block ×5, first 2 shown]
	v_add_nc_u32_e32 v61, v37, v66
	v_add_nc_u32_e32 v57, v61, v65
	s_delay_alu instid0(VALU_DEP_1)
	v_add_nc_u32_e32 v49, v57, v64
	s_and_saveexec_b32 s0, s2
	s_cbranch_execz .LBB1055_126
; %bb.125:
	v_and_b32_e32 v2, 0xff000000, v80
	v_dual_mov_b32 v4, 0 :: v_dual_and_b32 v3, 0xff0000, v80
	s_add_u32 s4, s20, 0x200
	v_and_b32_e32 v23, 0xff00, v80
	s_addc_u32 s5, s21, 0
	v_and_b32_e32 v24, 0xff, v80
	v_or_b32_e32 v2, v3, v2
	v_mov_b32_e32 v3, 2
	s_delay_alu instid0(VALU_DEP_2)
	v_or3_b32 v2, v2, v23, v24
	v_dual_mov_b32 v24, s5 :: v_dual_mov_b32 v23, s4
	;;#ASMSTART
	global_store_dwordx4 v[23:24], v[1:4] off	
s_waitcnt vmcnt(0)
	;;#ASMEND
.LBB1055_126:
	s_or_b32 exec_lo, exec_lo, s0
	v_mov_b32_e32 v3, 0
.LBB1055_127:
	v_mov_b32_e32 v23, 0
	s_and_b32 s0, s16, exec_lo
	v_mov_b32_e32 v24, 0
	s_cselect_b32 s1, 0, s39
	s_cselect_b32 s0, 0, s38
	s_delay_alu instid0(SALU_CYCLE_1)
	s_cmp_eq_u64 s[0:1], 0
	s_barrier
	buffer_gl0_inv
	s_cbranch_scc1 .LBB1055_129
; %bb.128:
	v_mov_b32_e32 v2, 0
	global_load_b64 v[23:24], v2, s[0:1]
.LBB1055_129:
	v_cmp_gt_u32_e32 vcc_lo, 0x100, v1
	s_cbranch_vccnz .LBB1055_136
; %bb.130:
	v_cmp_eq_u32_e32 vcc_lo, 0, v77
	v_cmp_eq_u32_e64 s0, 0, v65
	v_cmp_eq_u32_e64 s1, 0, v64
	v_cmp_ne_u32_e64 s12, 0, v79
	v_cmp_ne_u32_e64 s3, 0, v66
	v_cndmask_b32_e64 v2, 1, 2, vcc_lo
	v_cmp_eq_u32_e32 vcc_lo, 0, v79
	v_cndmask_b32_e64 v26, 1, 2, s1
	v_cmp_ne_u32_e64 s1, 0, v65
	v_cmp_ne_u32_e64 s4, 0, v67
	;; [unrolled: 1-line block ×3, first 2 shown]
	v_cndmask_b32_e64 v4, 1, 2, vcc_lo
	v_cmp_eq_u32_e32 vcc_lo, 0, v76
	v_cmp_ne_u32_e64 s6, 0, v70
	v_cmp_ne_u32_e64 s7, 0, v71
	;; [unrolled: 1-line block ×3, first 2 shown]
	v_and_b32_e32 v2, v2, v4
	v_cndmask_b32_e64 v25, 1, 2, vcc_lo
	v_cmp_eq_u32_e32 vcc_lo, 0, v75
	v_cmp_ne_u32_e64 s9, 0, v73
	v_cmp_ne_u32_e64 s10, 0, v74
	;; [unrolled: 1-line block ×3, first 2 shown]
	v_and_b32_e32 v2, v2, v25
	v_cndmask_b32_e64 v4, 1, 2, vcc_lo
	v_cmp_eq_u32_e32 vcc_lo, 0, v74
	v_cmp_ne_u32_e64 s13, 0, v76
	v_cmp_ne_u32_e64 s14, 0, v77
	s_mov_b32 s18, 0
	v_and_b32_e32 v2, v2, v4
	v_cndmask_b32_e64 v25, 1, 2, vcc_lo
	v_cmp_eq_u32_e32 vcc_lo, 0, v73
	s_mov_b32 s16, exec_lo
	s_delay_alu instid0(VALU_DEP_2) | instskip(SKIP_2) | instid1(VALU_DEP_2)
	v_and_b32_e32 v2, v2, v25
	v_cndmask_b32_e64 v4, 1, 2, vcc_lo
	v_cmp_eq_u32_e32 vcc_lo, 0, v72
	v_and_b32_e32 v2, v2, v4
	v_cndmask_b32_e64 v25, 1, 2, vcc_lo
	v_cmp_eq_u32_e32 vcc_lo, 0, v71
	s_delay_alu instid0(VALU_DEP_2) | instskip(SKIP_2) | instid1(VALU_DEP_2)
	v_and_b32_e32 v2, v2, v25
	v_cndmask_b32_e64 v4, 1, 2, vcc_lo
	v_cmp_eq_u32_e32 vcc_lo, 0, v70
	v_and_b32_e32 v2, v2, v4
	v_cndmask_b32_e64 v25, 1, 2, vcc_lo
	v_cmp_eq_u32_e32 vcc_lo, 0, v68
	;; [unrolled: 7-line block ×3, first 2 shown]
	s_delay_alu instid0(VALU_DEP_2) | instskip(SKIP_4) | instid1(VALU_DEP_4)
	v_and_b32_e32 v2, v2, v25
	v_cndmask_b32_e64 v4, 1, 2, vcc_lo
	v_cndmask_b32_e64 v25, 1, 2, s0
	v_cmp_eq_u32_e64 s0, 0, v69
	v_cmp_ne_u32_e32 vcc_lo, 0, v69
	v_and_b32_e32 v2, v2, v4
	s_delay_alu instid0(VALU_DEP_3) | instskip(SKIP_1) | instid1(VALU_DEP_3)
	v_cndmask_b32_e64 v4, 1, 2, s0
	v_cmp_ne_u32_e64 s0, 0, v64
	v_and_b32_e32 v2, v2, v25
	s_delay_alu instid0(VALU_DEP_1) | instskip(NEXT) | instid1(VALU_DEP_1)
	v_and_b32_e32 v2, v2, v26
	v_and_b32_e32 v2, v2, v4
	s_delay_alu instid0(VALU_DEP_1)
	v_cmpx_gt_i16_e32 2, v2
	s_cbranch_execz .LBB1055_135
; %bb.131:
	v_cmp_ne_u16_e64 s15, 1, v2
	s_delay_alu instid0(VALU_DEP_1) | instskip(NEXT) | instid1(SALU_CYCLE_1)
	s_and_saveexec_b32 s19, s15
	s_xor_b32 s15, exec_lo, s19
	s_cbranch_execnz .LBB1055_158
; %bb.132:
	s_and_not1_saveexec_b32 s0, s15
	s_cbranch_execnz .LBB1055_174
.LBB1055_133:
	s_or_b32 exec_lo, exec_lo, s0
	s_delay_alu instid0(SALU_CYCLE_1)
	s_and_b32 exec_lo, exec_lo, s18
	s_cbranch_execz .LBB1055_135
.LBB1055_134:
	v_sub_nc_u32_e32 v2, v49, v3
	s_delay_alu instid0(VALU_DEP_1)
	v_lshlrev_b32_e32 v2, 2, v2
	ds_store_b32 v2, v63
.LBB1055_135:
	s_or_b32 exec_lo, exec_lo, s16
	s_waitcnt vmcnt(0) lgkmcnt(0)
	s_barrier
	buffer_gl0_inv
.LBB1055_136:
	s_cmpk_lg_i32 s26, 0xf00
	v_cndmask_b32_e64 v13, 0, 1, s27
	s_cselect_b32 s0, -1, 0
	v_mad_i32_i24 v10, v0, -15, s26
	s_and_b32 s0, s0, s17
	s_and_b32 s1, s2, s27
	v_cndmask_b32_e64 v9, 0, 1, s0
	s_mul_hi_u32 s0, s26, 0x88888889
	v_sub_nc_u32_e32 v2, v1, v13
	s_lshr_b32 s0, s0, 3
	v_cndmask_b32_e64 v11, v79, 0, s1
	v_cmp_eq_u32_e32 vcc_lo, s0, v0
	v_cmp_ne_u32_e64 s0, 0, v10
	s_mov_b32 s16, -1
	s_waitcnt vmcnt(0)
	s_barrier
	s_and_b32 vcc_lo, vcc_lo, s17
	v_add_nc_u32_e32 v2, v2, v9
	v_cndmask_b32_e64 v9, 1, v11, s0
	v_cmp_ne_u32_e64 s0, 1, v10
	buffer_gl0_inv
	v_cndmask_b32_e32 v18, v11, v9, vcc_lo
	v_cndmask_b32_e64 v12, 1, v77, s0
	v_cmp_ne_u32_e64 s0, 2, v10
	s_delay_alu instid0(VALU_DEP_2) | instskip(NEXT) | instid1(VALU_DEP_2)
	v_cndmask_b32_e32 v19, v77, v12, vcc_lo
	v_cndmask_b32_e64 v14, 1, v76, s0
	v_cmp_ne_u32_e64 s0, 14, v10
	s_delay_alu instid0(VALU_DEP_3) | instskip(NEXT) | instid1(VALU_DEP_2)
	v_cmp_ne_u32_e64 s13, 0, v19
	v_cndmask_b32_e64 v15, 1, v69, s0
	v_cmp_ne_u32_e64 s0, 3, v10
	s_delay_alu instid0(VALU_DEP_2) | instskip(NEXT) | instid1(VALU_DEP_2)
	v_dual_mov_b32 v4, 0 :: v_dual_cndmask_b32 v15, v69, v15
	v_cndmask_b32_e64 v16, 1, v75, s0
	v_cmp_ne_u32_e64 s0, 4, v10
	s_delay_alu instid0(VALU_DEP_1) | instskip(SKIP_1) | instid1(VALU_DEP_2)
	v_cndmask_b32_e64 v17, 1, v74, s0
	v_cmp_ne_u32_e64 s0, 5, v10
	v_dual_cndmask_b32 v14, v76, v14 :: v_dual_cndmask_b32 v17, v74, v17
	s_delay_alu instid0(VALU_DEP_2) | instskip(SKIP_2) | instid1(VALU_DEP_4)
	v_cndmask_b32_e64 v9, 1, v73, s0
	v_cmp_ne_u32_e64 s0, 6, v10
	v_cndmask_b32_e32 v16, v75, v16, vcc_lo
	v_cmp_ne_u32_e64 s12, 0, v14
	v_cmp_ne_u32_e64 s10, 0, v17
	v_cndmask_b32_e32 v27, v73, v9, vcc_lo
	v_cndmask_b32_e64 v11, 1, v72, s0
	v_cmp_eq_u32_e64 s0, 0, v18
	v_cmp_ne_u32_e64 s11, 0, v16
	s_delay_alu instid0(VALU_DEP_4) | instskip(NEXT) | instid1(VALU_DEP_3)
	v_cmp_ne_u32_e64 s9, 0, v27
	v_cndmask_b32_e64 v12, 1, 2, s0
	v_cmp_eq_u32_e64 s0, 0, v19
	s_delay_alu instid0(VALU_DEP_1) | instskip(SKIP_1) | instid1(VALU_DEP_1)
	v_cndmask_b32_e64 v20, 1, 2, s0
	v_cmp_ne_u32_e64 s0, 7, v10
	v_cndmask_b32_e64 v21, 1, v71, s0
	v_cmp_eq_u32_e64 s0, 0, v14
	s_delay_alu instid0(VALU_DEP_2) | instskip(NEXT) | instid1(VALU_DEP_2)
	v_dual_cndmask_b32 v21, v71, v21 :: v_dual_and_b32 v12, v20, v12
	v_cndmask_b32_e64 v20, 1, 2, s0
	v_cmp_ne_u32_e64 s0, 8, v10
	s_delay_alu instid0(VALU_DEP_3) | instskip(NEXT) | instid1(VALU_DEP_3)
	v_cmp_ne_u32_e64 s7, 0, v21
	v_and_b32_e32 v12, v12, v20
	s_delay_alu instid0(VALU_DEP_3) | instskip(SKIP_1) | instid1(VALU_DEP_2)
	v_cndmask_b32_e64 v22, 1, v70, s0
	v_cmp_ne_u32_e64 s0, 9, v10
	v_cndmask_b32_e32 v22, v70, v22, vcc_lo
	s_delay_alu instid0(VALU_DEP_2) | instskip(SKIP_1) | instid1(VALU_DEP_3)
	v_cndmask_b32_e64 v25, 1, v68, s0
	v_cmp_eq_u32_e64 s0, 0, v16
	v_cmp_ne_u32_e64 s6, 0, v22
	s_delay_alu instid0(VALU_DEP_3) | instskip(NEXT) | instid1(VALU_DEP_3)
	v_cndmask_b32_e32 v25, v68, v25, vcc_lo
	v_cndmask_b32_e64 v20, 1, 2, s0
	v_cmp_ne_u32_e64 s0, 10, v10
	s_delay_alu instid0(VALU_DEP_3) | instskip(NEXT) | instid1(VALU_DEP_3)
	v_cmp_ne_u32_e64 s5, 0, v25
	v_and_b32_e32 v9, v12, v20
	s_delay_alu instid0(VALU_DEP_3) | instskip(SKIP_2) | instid1(VALU_DEP_3)
	v_cndmask_b32_e64 v26, 1, v67, s0
	v_cmp_eq_u32_e64 s0, 0, v17
	v_cmp_ne_u32_e64 s14, 0, v18
	v_cndmask_b32_e32 v26, v67, v26, vcc_lo
	s_delay_alu instid0(VALU_DEP_3) | instskip(SKIP_1) | instid1(VALU_DEP_3)
	v_cndmask_b32_e64 v12, 1, 2, s0
	v_cmp_ne_u32_e64 s0, 11, v10
	v_cmp_ne_u32_e64 s4, 0, v26
	s_delay_alu instid0(VALU_DEP_3) | instskip(NEXT) | instid1(VALU_DEP_3)
	v_and_b32_e32 v9, v9, v12
	v_cndmask_b32_e64 v20, 1, v66, s0
	v_cmp_ne_u32_e64 s0, 13, v10
	s_delay_alu instid0(VALU_DEP_2) | instskip(NEXT) | instid1(VALU_DEP_2)
	v_cndmask_b32_e32 v20, v66, v20, vcc_lo
	v_cndmask_b32_e64 v28, 1, v64, s0
	v_cmp_eq_u32_e64 s0, 0, v27
	s_delay_alu instid0(VALU_DEP_3) | instskip(NEXT) | instid1(VALU_DEP_2)
	v_cmp_ne_u32_e64 s3, 0, v20
	v_cndmask_b32_e64 v12, 1, 2, s0
	v_cmp_ne_u32_e64 s0, 12, v10
	s_delay_alu instid0(VALU_DEP_2) | instskip(NEXT) | instid1(VALU_DEP_2)
	v_and_b32_e32 v9, v9, v12
	v_cndmask_b32_e64 v10, 1, v65, s0
	s_delay_alu instid0(VALU_DEP_1) | instskip(NEXT) | instid1(VALU_DEP_1)
	v_dual_cndmask_b32 v29, v72, v11 :: v_dual_cndmask_b32 v30, v65, v10
	v_cmp_eq_u32_e64 s0, 0, v29
	v_cmp_ne_u32_e64 s8, 0, v29
	s_delay_alu instid0(VALU_DEP_3) | instskip(NEXT) | instid1(VALU_DEP_3)
	v_cmp_ne_u32_e64 s2, 0, v30
	v_cndmask_b32_e64 v11, 1, 2, s0
	v_cmp_eq_u32_e64 s0, 0, v21
	v_cndmask_b32_e32 v28, v64, v28, vcc_lo
	v_cmp_eq_u32_e32 vcc_lo, 0, v22
	s_delay_alu instid0(VALU_DEP_4)
	v_and_b32_e32 v31, v9, v11
	v_lshlrev_b64 v[9:10], 2, v[23:24]
	v_cndmask_b32_e64 v32, 1, 2, s0
	v_lshlrev_b64 v[11:12], 2, v[3:4]
	v_cmp_ne_u32_e64 s1, 0, v28
	v_cmp_ne_u32_e64 s0, 0, v15
	s_delay_alu instid0(VALU_DEP_4) | instskip(SKIP_4) | instid1(VALU_DEP_4)
	v_and_b32_e32 v4, v31, v32
	v_cndmask_b32_e64 v31, 1, 2, vcc_lo
	v_add_co_u32 v9, vcc_lo, s28, v9
	v_add_co_ci_u32_e32 v10, vcc_lo, s29, v10, vcc_lo
	v_cmp_eq_u32_e32 vcc_lo, 0, v25
	v_and_b32_e32 v4, v4, v31
	v_cndmask_b32_e64 v31, 1, 2, vcc_lo
	v_add_co_u32 v9, vcc_lo, v9, v11
	v_add_co_ci_u32_e32 v10, vcc_lo, v10, v12, vcc_lo
	v_lshlrev_b32_e32 v11, 2, v13
	v_cmp_eq_u32_e32 vcc_lo, 0, v26
	v_and_b32_e32 v4, v4, v31
	v_cndmask_b32_e64 v12, 1, 2, vcc_lo
	s_delay_alu instid0(VALU_DEP_4) | instskip(SKIP_2) | instid1(VALU_DEP_4)
	v_add_co_u32 v11, vcc_lo, v11, v9
	v_add_co_ci_u32_e32 v31, vcc_lo, 0, v10, vcc_lo
	v_cmp_eq_u32_e32 vcc_lo, 0, v20
	v_and_b32_e32 v32, v4, v12
	v_add_nc_u32_e32 v4, v3, v13
	v_cndmask_b32_e64 v33, 1, 2, vcc_lo
	v_add_co_u32 v11, vcc_lo, v11, -4
	v_add_co_ci_u32_e32 v12, vcc_lo, -1, v31, vcc_lo
	v_cmp_eq_u32_e32 vcc_lo, 0, v30
	s_delay_alu instid0(VALU_DEP_4) | instskip(SKIP_2) | instid1(VALU_DEP_2)
	v_and_b32_e32 v13, v32, v33
	v_cndmask_b32_e64 v31, 1, 2, vcc_lo
	v_cmp_eq_u32_e32 vcc_lo, 0, v28
	v_and_b32_e32 v13, v13, v31
	v_cndmask_b32_e64 v14, 1, 2, vcc_lo
	v_cmp_eq_u32_e32 vcc_lo, 0, v15
	s_delay_alu instid0(VALU_DEP_2) | instskip(SKIP_2) | instid1(VALU_DEP_2)
	v_and_b32_e32 v13, v13, v14
	v_cndmask_b32_e64 v14, 1, 2, vcc_lo
	v_cmp_gt_u32_e32 vcc_lo, 0x100, v2
	v_and_b32_e32 v13, v13, v14
	s_delay_alu instid0(VALU_DEP_1)
	v_cmp_gt_i16_e64 s15, 2, v13
	s_cbranch_vccnz .LBB1055_140
; %bb.137:
	s_and_b32 vcc_lo, exec_lo, s16
	s_cbranch_vccnz .LBB1055_146
.LBB1055_138:
	v_cmp_eq_u32_e32 vcc_lo, 0xff, v0
	s_and_b32 s0, vcc_lo, s17
	s_delay_alu instid0(SALU_CYCLE_1)
	s_and_saveexec_b32 s1, s0
	s_cbranch_execnz .LBB1055_155
.LBB1055_139:
	s_nop 0
	s_sendmsg sendmsg(MSG_DEALLOC_VGPRS)
	s_endpgm
.LBB1055_140:
	s_delay_alu instid0(VALU_DEP_1)
	s_and_saveexec_b32 s16, s15
	s_cbranch_execz .LBB1055_145
; %bb.141:
	s_mov_b32 s18, 0
	s_mov_b32 s15, exec_lo
	v_cmpx_ne_u16_e32 1, v13
	s_xor_b32 s15, exec_lo, s15
	s_cbranch_execnz .LBB1055_175
; %bb.142:
	s_and_not1_saveexec_b32 s15, s15
	s_cbranch_execnz .LBB1055_191
.LBB1055_143:
	s_or_b32 exec_lo, exec_lo, s15
	s_delay_alu instid0(SALU_CYCLE_1)
	s_and_b32 exec_lo, exec_lo, s18
	s_cbranch_execz .LBB1055_145
.LBB1055_144:
	v_sub_nc_u32_e32 v14, v49, v4
	v_mov_b32_e32 v15, 0
	s_delay_alu instid0(VALU_DEP_1) | instskip(NEXT) | instid1(VALU_DEP_1)
	v_lshlrev_b64 v[14:15], 2, v[14:15]
	v_add_co_u32 v14, vcc_lo, v11, v14
	s_delay_alu instid0(VALU_DEP_2)
	v_add_co_ci_u32_e32 v15, vcc_lo, v12, v15, vcc_lo
	global_store_b32 v[14:15], v50, off
.LBB1055_145:
	s_or_b32 exec_lo, exec_lo, s16
	s_branch .LBB1055_138
.LBB1055_146:
	s_mov_b32 s15, exec_lo
	v_cmpx_gt_i16_e32 2, v13
	s_cbranch_execz .LBB1055_151
; %bb.147:
	s_mov_b32 s18, 0
	s_mov_b32 s16, exec_lo
	v_cmpx_ne_u16_e32 1, v13
	s_xor_b32 s16, exec_lo, s16
	s_cbranch_execnz .LBB1055_192
; %bb.148:
	s_and_not1_saveexec_b32 s0, s16
	s_cbranch_execnz .LBB1055_208
.LBB1055_149:
	s_or_b32 exec_lo, exec_lo, s0
	s_delay_alu instid0(SALU_CYCLE_1)
	s_and_b32 exec_lo, exec_lo, s18
	s_cbranch_execz .LBB1055_151
.LBB1055_150:
	v_sub_nc_u32_e32 v4, v49, v4
	s_delay_alu instid0(VALU_DEP_1)
	v_lshlrev_b32_e32 v4, 2, v4
	ds_store_b32 v4, v50
.LBB1055_151:
	s_or_b32 exec_lo, exec_lo, s15
	s_delay_alu instid0(SALU_CYCLE_1)
	s_mov_b32 s1, exec_lo
	s_waitcnt lgkmcnt(0)
	s_waitcnt_vscnt null, 0x0
	s_barrier
	buffer_gl0_inv
	v_cmpx_lt_u32_e64 v0, v2
	s_cbranch_execz .LBB1055_154
; %bb.152:
	v_dual_mov_b32 v5, 0 :: v_dual_lshlrev_b32 v6, 2, v0
	v_mov_b32_e32 v4, v0
	s_mov_b32 s2, 0
	.p2align	6
.LBB1055_153:                           ; =>This Inner Loop Header: Depth=1
	ds_load_b32 v13, v6
	v_lshlrev_b64 v[7:8], 2, v[4:5]
	v_add_nc_u32_e32 v4, 0x100, v4
	v_add_nc_u32_e32 v6, 0x400, v6
	s_delay_alu instid0(VALU_DEP_2) | instskip(NEXT) | instid1(VALU_DEP_4)
	v_cmp_ge_u32_e32 vcc_lo, v4, v2
	v_add_co_u32 v7, s0, v11, v7
	s_delay_alu instid0(VALU_DEP_1)
	v_add_co_ci_u32_e64 v8, s0, v12, v8, s0
	s_or_b32 s2, vcc_lo, s2
	s_waitcnt lgkmcnt(0)
	global_store_b32 v[7:8], v13, off
	s_and_not1_b32 exec_lo, exec_lo, s2
	s_cbranch_execnz .LBB1055_153
.LBB1055_154:
	s_or_b32 exec_lo, exec_lo, s1
	v_cmp_eq_u32_e32 vcc_lo, 0xff, v0
	s_and_b32 s0, vcc_lo, s17
	s_delay_alu instid0(SALU_CYCLE_1)
	s_and_saveexec_b32 s1, s0
	s_cbranch_execz .LBB1055_139
.LBB1055_155:
	v_add_co_u32 v0, s0, v1, v3
	s_delay_alu instid0(VALU_DEP_1) | instskip(SKIP_1) | instid1(VALU_DEP_3)
	v_add_co_ci_u32_e64 v4, null, 0, 0, s0
	v_mov_b32_e32 v2, 0
	v_add_co_u32 v3, vcc_lo, v0, v23
	s_delay_alu instid0(VALU_DEP_3)
	v_add_co_ci_u32_e32 v4, vcc_lo, v4, v24, vcc_lo
	s_cmpk_lg_i32 s26, 0xf00
	global_store_b64 v2, v[3:4], s[30:31]
	s_cbranch_scc1 .LBB1055_139
; %bb.156:
	v_lshlrev_b64 v[0:1], 2, v[1:2]
	s_delay_alu instid0(VALU_DEP_1) | instskip(NEXT) | instid1(VALU_DEP_2)
	v_add_co_u32 v0, vcc_lo, v9, v0
	v_add_co_ci_u32_e32 v1, vcc_lo, v10, v1, vcc_lo
	global_store_b32 v[0:1], v80, off offset:-4
	s_nop 0
	s_sendmsg sendmsg(MSG_DEALLOC_VGPRS)
	s_endpgm
.LBB1055_157:
	s_or_b32 exec_lo, exec_lo, s4
	v_mov_b32_e32 v79, s1
	s_and_saveexec_b32 s1, s34
	s_cbranch_execnz .LBB1055_88
	s_branch .LBB1055_89
.LBB1055_158:
	s_and_saveexec_b32 s18, s12
	s_cbranch_execnz .LBB1055_209
; %bb.159:
	s_or_b32 exec_lo, exec_lo, s18
	s_and_saveexec_b32 s12, s14
	s_cbranch_execnz .LBB1055_210
.LBB1055_160:
	s_or_b32 exec_lo, exec_lo, s12
	s_and_saveexec_b32 s12, s13
	s_cbranch_execnz .LBB1055_211
.LBB1055_161:
	s_or_b32 exec_lo, exec_lo, s12
	s_and_saveexec_b32 s12, s11
	s_cbranch_execnz .LBB1055_212
.LBB1055_162:
	s_or_b32 exec_lo, exec_lo, s12
	s_and_saveexec_b32 s11, s10
	s_cbranch_execnz .LBB1055_213
.LBB1055_163:
	s_or_b32 exec_lo, exec_lo, s11
	s_and_saveexec_b32 s10, s9
	s_cbranch_execnz .LBB1055_214
.LBB1055_164:
	s_or_b32 exec_lo, exec_lo, s10
	s_and_saveexec_b32 s9, s8
	s_cbranch_execnz .LBB1055_215
.LBB1055_165:
	s_or_b32 exec_lo, exec_lo, s9
	s_and_saveexec_b32 s8, s7
	s_cbranch_execnz .LBB1055_216
.LBB1055_166:
	s_or_b32 exec_lo, exec_lo, s8
	s_and_saveexec_b32 s7, s6
	s_cbranch_execnz .LBB1055_217
.LBB1055_167:
	s_or_b32 exec_lo, exec_lo, s7
	s_and_saveexec_b32 s6, s5
	s_cbranch_execnz .LBB1055_218
.LBB1055_168:
	s_or_b32 exec_lo, exec_lo, s6
	s_and_saveexec_b32 s5, s4
	s_cbranch_execnz .LBB1055_219
.LBB1055_169:
	s_or_b32 exec_lo, exec_lo, s5
	s_and_saveexec_b32 s4, s3
	s_cbranch_execnz .LBB1055_220
.LBB1055_170:
	s_or_b32 exec_lo, exec_lo, s4
	s_and_saveexec_b32 s3, s1
	s_cbranch_execnz .LBB1055_221
.LBB1055_171:
	s_or_b32 exec_lo, exec_lo, s3
	s_and_saveexec_b32 s1, s0
	s_cbranch_execz .LBB1055_173
.LBB1055_172:
	v_sub_nc_u32_e32 v2, v57, v3
	s_delay_alu instid0(VALU_DEP_1)
	v_lshlrev_b32_e32 v2, 2, v2
	ds_store_b32 v2, v10
.LBB1055_173:
	s_or_b32 exec_lo, exec_lo, s1
	s_delay_alu instid0(SALU_CYCLE_1)
	s_and_b32 s18, vcc_lo, exec_lo
                                        ; implicit-def: $vgpr21
                                        ; implicit-def: $vgpr19
                                        ; implicit-def: $vgpr17
                                        ; implicit-def: $vgpr15
                                        ; implicit-def: $vgpr13
                                        ; implicit-def: $vgpr11
                                        ; implicit-def: $vgpr9
	s_and_not1_saveexec_b32 s0, s15
	s_cbranch_execz .LBB1055_133
.LBB1055_174:
	v_sub_nc_u32_e32 v2, v53, v3
	v_sub_nc_u32_e32 v4, v59, v3
	;; [unrolled: 1-line block ×4, first 2 shown]
	s_or_b32 s18, s18, exec_lo
	v_lshlrev_b32_e32 v2, 2, v2
	v_lshlrev_b32_e32 v4, 2, v4
	;; [unrolled: 1-line block ×4, first 2 shown]
	ds_store_b32 v2, v21
	ds_store_b32 v4, v22
	;; [unrolled: 1-line block ×3, first 2 shown]
	v_sub_nc_u32_e32 v2, v45, v3
	v_sub_nc_u32_e32 v4, v41, v3
	v_sub_nc_u32_e32 v19, v39, v3
	ds_store_b32 v26, v20
	v_sub_nc_u32_e32 v20, v43, v3
	v_lshlrev_b32_e32 v2, 2, v2
	v_sub_nc_u32_e32 v21, v47, v3
	v_lshlrev_b32_e32 v4, 2, v4
	v_lshlrev_b32_e32 v19, 2, v19
	;; [unrolled: 1-line block ×3, first 2 shown]
	ds_store_b32 v2, v17
	v_lshlrev_b32_e32 v2, 2, v21
	ds_store_b32 v4, v18
	ds_store_b32 v19, v15
	;; [unrolled: 1-line block ×3, first 2 shown]
	v_sub_nc_u32_e32 v4, v5, v3
	v_sub_nc_u32_e32 v16, v57, v3
	;; [unrolled: 1-line block ×3, first 2 shown]
	ds_store_b32 v2, v13
	v_sub_nc_u32_e32 v2, v7, v3
	v_lshlrev_b32_e32 v4, 2, v4
	v_sub_nc_u32_e32 v13, v37, v3
	v_lshlrev_b32_e32 v15, 2, v15
	s_delay_alu instid0(VALU_DEP_4)
	v_lshlrev_b32_e32 v2, 2, v2
	ds_store_b32 v4, v14
	v_lshlrev_b32_e32 v4, 2, v16
	v_lshlrev_b32_e32 v13, 2, v13
	ds_store_b32 v2, v11
	ds_store_b32 v13, v12
	;; [unrolled: 1-line block ×4, first 2 shown]
	s_or_b32 exec_lo, exec_lo, s0
	s_delay_alu instid0(SALU_CYCLE_1)
	s_and_b32 exec_lo, exec_lo, s18
	s_cbranch_execnz .LBB1055_134
	s_branch .LBB1055_135
.LBB1055_175:
	s_and_saveexec_b32 s18, s14
	s_cbranch_execnz .LBB1055_222
; %bb.176:
	s_or_b32 exec_lo, exec_lo, s18
	s_and_saveexec_b32 s18, s13
	s_cbranch_execnz .LBB1055_223
.LBB1055_177:
	s_or_b32 exec_lo, exec_lo, s18
	s_and_saveexec_b32 s18, s12
	s_cbranch_execnz .LBB1055_224
.LBB1055_178:
	s_or_b32 exec_lo, exec_lo, s18
	s_and_saveexec_b32 s18, s11
	s_cbranch_execnz .LBB1055_225
.LBB1055_179:
	s_or_b32 exec_lo, exec_lo, s18
	s_and_saveexec_b32 s18, s10
	s_cbranch_execnz .LBB1055_226
.LBB1055_180:
	s_or_b32 exec_lo, exec_lo, s18
	s_and_saveexec_b32 s18, s9
	s_cbranch_execnz .LBB1055_227
.LBB1055_181:
	s_or_b32 exec_lo, exec_lo, s18
	s_and_saveexec_b32 s18, s8
	s_cbranch_execnz .LBB1055_228
.LBB1055_182:
	s_or_b32 exec_lo, exec_lo, s18
	s_and_saveexec_b32 s18, s7
	s_cbranch_execnz .LBB1055_229
.LBB1055_183:
	s_or_b32 exec_lo, exec_lo, s18
	s_and_saveexec_b32 s18, s6
	s_cbranch_execnz .LBB1055_230
.LBB1055_184:
	s_or_b32 exec_lo, exec_lo, s18
	s_and_saveexec_b32 s18, s5
	s_cbranch_execnz .LBB1055_231
.LBB1055_185:
	s_or_b32 exec_lo, exec_lo, s18
	s_and_saveexec_b32 s18, s4
	s_cbranch_execnz .LBB1055_232
.LBB1055_186:
	s_or_b32 exec_lo, exec_lo, s18
	s_and_saveexec_b32 s18, s3
	s_cbranch_execnz .LBB1055_233
.LBB1055_187:
	s_or_b32 exec_lo, exec_lo, s18
	s_and_saveexec_b32 s18, s2
	s_cbranch_execnz .LBB1055_234
.LBB1055_188:
	s_or_b32 exec_lo, exec_lo, s18
	s_and_saveexec_b32 s18, s1
	s_cbranch_execz .LBB1055_190
.LBB1055_189:
	v_sub_nc_u32_e32 v14, v57, v4
	v_mov_b32_e32 v15, 0
	s_delay_alu instid0(VALU_DEP_1) | instskip(NEXT) | instid1(VALU_DEP_1)
	v_lshlrev_b64 v[14:15], 2, v[14:15]
	v_add_co_u32 v14, vcc_lo, v11, v14
	s_delay_alu instid0(VALU_DEP_2)
	v_add_co_ci_u32_e32 v15, vcc_lo, v12, v15, vcc_lo
	global_store_b32 v[14:15], v58, off
.LBB1055_190:
	s_or_b32 exec_lo, exec_lo, s18
	s_delay_alu instid0(SALU_CYCLE_1)
	s_and_b32 s18, s0, exec_lo
	s_and_not1_saveexec_b32 s15, s15
	s_cbranch_execz .LBB1055_143
.LBB1055_191:
	v_sub_nc_u32_e32 v14, v53, v4
	v_mov_b32_e32 v15, 0
	s_or_b32 s18, s18, exec_lo
	s_delay_alu instid0(VALU_DEP_1) | instskip(SKIP_1) | instid1(VALU_DEP_1)
	v_lshlrev_b64 v[16:17], 2, v[14:15]
	v_sub_nc_u32_e32 v14, v59, v4
	v_lshlrev_b64 v[18:19], 2, v[14:15]
	v_sub_nc_u32_e32 v14, v55, v4
	s_delay_alu instid0(VALU_DEP_4) | instskip(SKIP_1) | instid1(VALU_DEP_3)
	v_add_co_u32 v16, vcc_lo, v11, v16
	v_add_co_ci_u32_e32 v17, vcc_lo, v12, v17, vcc_lo
	v_lshlrev_b64 v[20:21], 2, v[14:15]
	v_sub_nc_u32_e32 v14, v51, v4
	v_add_co_u32 v18, vcc_lo, v11, v18
	v_add_co_ci_u32_e32 v19, vcc_lo, v12, v19, vcc_lo
	global_store_b32 v[16:17], v54, off
	v_lshlrev_b64 v[16:17], 2, v[14:15]
	v_sub_nc_u32_e32 v14, v45, v4
	global_store_b32 v[18:19], v60, off
	v_add_co_u32 v18, vcc_lo, v11, v20
	v_add_co_ci_u32_e32 v19, vcc_lo, v12, v21, vcc_lo
	v_lshlrev_b64 v[20:21], 2, v[14:15]
	v_sub_nc_u32_e32 v14, v41, v4
	v_add_co_u32 v16, vcc_lo, v11, v16
	v_add_co_ci_u32_e32 v17, vcc_lo, v12, v17, vcc_lo
	s_delay_alu instid0(VALU_DEP_3) | instskip(SKIP_3) | instid1(VALU_DEP_3)
	v_lshlrev_b64 v[25:26], 2, v[14:15]
	v_sub_nc_u32_e32 v14, v39, v4
	v_add_co_u32 v20, vcc_lo, v11, v20
	v_add_co_ci_u32_e32 v21, vcc_lo, v12, v21, vcc_lo
	v_lshlrev_b64 v[27:28], 2, v[14:15]
	v_sub_nc_u32_e32 v14, v43, v4
	v_add_co_u32 v25, vcc_lo, v11, v25
	v_add_co_ci_u32_e32 v26, vcc_lo, v12, v26, vcc_lo
	s_clause 0x3
	global_store_b32 v[18:19], v56, off
	global_store_b32 v[16:17], v52, off
	;; [unrolled: 1-line block ×4, first 2 shown]
	v_lshlrev_b64 v[16:17], 2, v[14:15]
	v_sub_nc_u32_e32 v14, v47, v4
	v_add_co_u32 v18, vcc_lo, v11, v27
	v_add_co_ci_u32_e32 v19, vcc_lo, v12, v28, vcc_lo
	s_delay_alu instid0(VALU_DEP_3) | instskip(SKIP_3) | instid1(VALU_DEP_3)
	v_lshlrev_b64 v[20:21], 2, v[14:15]
	v_sub_nc_u32_e32 v14, v5, v4
	v_add_co_u32 v16, vcc_lo, v11, v16
	v_add_co_ci_u32_e32 v17, vcc_lo, v12, v17, vcc_lo
	v_lshlrev_b64 v[25:26], 2, v[14:15]
	v_sub_nc_u32_e32 v14, v7, v4
	v_add_co_u32 v20, vcc_lo, v11, v20
	v_add_co_ci_u32_e32 v21, vcc_lo, v12, v21, vcc_lo
	s_delay_alu instid0(VALU_DEP_3)
	v_lshlrev_b64 v[27:28], 2, v[14:15]
	v_sub_nc_u32_e32 v14, v37, v4
	v_add_co_u32 v25, vcc_lo, v11, v25
	v_add_co_ci_u32_e32 v26, vcc_lo, v12, v26, vcc_lo
	s_clause 0x3
	global_store_b32 v[18:19], v40, off
	global_store_b32 v[16:17], v44, off
	;; [unrolled: 1-line block ×4, first 2 shown]
	v_lshlrev_b64 v[16:17], 2, v[14:15]
	v_sub_nc_u32_e32 v14, v61, v4
	v_add_co_u32 v18, vcc_lo, v11, v27
	v_add_co_ci_u32_e32 v19, vcc_lo, v12, v28, vcc_lo
	s_delay_alu instid0(VALU_DEP_3) | instskip(SKIP_3) | instid1(VALU_DEP_3)
	v_lshlrev_b64 v[20:21], 2, v[14:15]
	v_sub_nc_u32_e32 v14, v57, v4
	v_add_co_u32 v16, vcc_lo, v11, v16
	v_add_co_ci_u32_e32 v17, vcc_lo, v12, v17, vcc_lo
	v_lshlrev_b64 v[14:15], 2, v[14:15]
	v_add_co_u32 v20, vcc_lo, v11, v20
	v_add_co_ci_u32_e32 v21, vcc_lo, v12, v21, vcc_lo
	s_clause 0x2
	global_store_b32 v[18:19], v8, off
	global_store_b32 v[16:17], v38, off
	;; [unrolled: 1-line block ×3, first 2 shown]
	v_add_co_u32 v14, vcc_lo, v11, v14
	v_add_co_ci_u32_e32 v15, vcc_lo, v12, v15, vcc_lo
	global_store_b32 v[14:15], v58, off
	s_or_b32 exec_lo, exec_lo, s15
	s_delay_alu instid0(SALU_CYCLE_1)
	s_and_b32 exec_lo, exec_lo, s18
	s_cbranch_execnz .LBB1055_144
	s_branch .LBB1055_145
.LBB1055_192:
	s_and_saveexec_b32 s18, s14
	s_cbranch_execnz .LBB1055_235
; %bb.193:
	s_or_b32 exec_lo, exec_lo, s18
	s_and_saveexec_b32 s14, s13
	s_cbranch_execnz .LBB1055_236
.LBB1055_194:
	s_or_b32 exec_lo, exec_lo, s14
	s_and_saveexec_b32 s13, s12
	s_cbranch_execnz .LBB1055_237
.LBB1055_195:
	s_or_b32 exec_lo, exec_lo, s13
	s_and_saveexec_b32 s12, s11
	s_cbranch_execnz .LBB1055_238
.LBB1055_196:
	s_or_b32 exec_lo, exec_lo, s12
	s_and_saveexec_b32 s11, s10
	s_cbranch_execnz .LBB1055_239
.LBB1055_197:
	s_or_b32 exec_lo, exec_lo, s11
	s_and_saveexec_b32 s10, s9
	s_cbranch_execnz .LBB1055_240
.LBB1055_198:
	s_or_b32 exec_lo, exec_lo, s10
	s_and_saveexec_b32 s9, s8
	s_cbranch_execnz .LBB1055_241
.LBB1055_199:
	s_or_b32 exec_lo, exec_lo, s9
	s_and_saveexec_b32 s8, s7
	s_cbranch_execnz .LBB1055_242
.LBB1055_200:
	s_or_b32 exec_lo, exec_lo, s8
	s_and_saveexec_b32 s7, s6
	s_cbranch_execnz .LBB1055_243
.LBB1055_201:
	s_or_b32 exec_lo, exec_lo, s7
	s_and_saveexec_b32 s6, s5
	s_cbranch_execnz .LBB1055_244
.LBB1055_202:
	s_or_b32 exec_lo, exec_lo, s6
	s_and_saveexec_b32 s5, s4
	s_cbranch_execnz .LBB1055_245
.LBB1055_203:
	s_or_b32 exec_lo, exec_lo, s5
	s_and_saveexec_b32 s4, s3
	s_cbranch_execnz .LBB1055_246
.LBB1055_204:
	s_or_b32 exec_lo, exec_lo, s4
	s_and_saveexec_b32 s3, s2
	s_cbranch_execnz .LBB1055_247
.LBB1055_205:
	s_or_b32 exec_lo, exec_lo, s3
	s_and_saveexec_b32 s2, s1
	s_cbranch_execz .LBB1055_207
.LBB1055_206:
	v_sub_nc_u32_e32 v5, v57, v4
	s_delay_alu instid0(VALU_DEP_1)
	v_lshlrev_b32_e32 v5, 2, v5
	ds_store_b32 v5, v58
.LBB1055_207:
	s_or_b32 exec_lo, exec_lo, s2
	s_delay_alu instid0(SALU_CYCLE_1)
	s_and_b32 s18, s0, exec_lo
                                        ; implicit-def: $vgpr53_vgpr54
                                        ; implicit-def: $vgpr59_vgpr60
                                        ; implicit-def: $vgpr55_vgpr56
                                        ; implicit-def: $vgpr51_vgpr52
                                        ; implicit-def: $vgpr45_vgpr46
                                        ; implicit-def: $vgpr41_vgpr42
                                        ; implicit-def: $vgpr39_vgpr40
                                        ; implicit-def: $vgpr43_vgpr44
                                        ; implicit-def: $vgpr47_vgpr48
                                        ; implicit-def: $vgpr5_vgpr6
                                        ; implicit-def: $vgpr7_vgpr8
                                        ; implicit-def: $vgpr37_vgpr38
                                        ; implicit-def: $vgpr61_vgpr62
                                        ; implicit-def: $vgpr57_vgpr58
	s_and_not1_saveexec_b32 s0, s16
	s_cbranch_execz .LBB1055_149
.LBB1055_208:
	v_sub_nc_u32_e32 v13, v53, v4
	v_sub_nc_u32_e32 v14, v59, v4
	v_sub_nc_u32_e32 v15, v55, v4
	v_sub_nc_u32_e32 v16, v51, v4
	v_sub_nc_u32_e32 v17, v47, v4
	v_lshlrev_b32_e32 v13, 2, v13
	v_lshlrev_b32_e32 v14, 2, v14
	;; [unrolled: 1-line block ×4, first 2 shown]
	v_sub_nc_u32_e32 v5, v5, v4
	ds_store_b32 v13, v54
	ds_store_b32 v14, v60
	;; [unrolled: 1-line block ×3, first 2 shown]
	v_sub_nc_u32_e32 v13, v45, v4
	v_sub_nc_u32_e32 v14, v41, v4
	;; [unrolled: 1-line block ×3, first 2 shown]
	ds_store_b32 v16, v52
	v_sub_nc_u32_e32 v16, v43, v4
	v_lshlrev_b32_e32 v13, 2, v13
	v_lshlrev_b32_e32 v14, 2, v14
	v_lshlrev_b32_e32 v15, 2, v15
	v_sub_nc_u32_e32 v7, v7, v4
	v_lshlrev_b32_e32 v16, 2, v16
	ds_store_b32 v13, v46
	v_lshlrev_b32_e32 v13, 2, v17
	ds_store_b32 v14, v42
	ds_store_b32 v15, v40
	;; [unrolled: 1-line block ×3, first 2 shown]
	v_lshlrev_b32_e32 v5, 2, v5
	v_sub_nc_u32_e32 v15, v57, v4
	v_sub_nc_u32_e32 v14, v61, v4
	ds_store_b32 v13, v48
	v_sub_nc_u32_e32 v13, v37, v4
	v_lshlrev_b32_e32 v7, 2, v7
	ds_store_b32 v5, v6
	v_lshlrev_b32_e32 v5, 2, v15
	v_lshlrev_b32_e32 v14, 2, v14
	;; [unrolled: 1-line block ×3, first 2 shown]
	s_or_b32 s18, s18, exec_lo
	ds_store_b32 v7, v8
	ds_store_b32 v13, v38
	;; [unrolled: 1-line block ×4, first 2 shown]
	s_or_b32 exec_lo, exec_lo, s0
	s_delay_alu instid0(SALU_CYCLE_1)
	s_and_b32 exec_lo, exec_lo, s18
	s_cbranch_execnz .LBB1055_150
	s_branch .LBB1055_151
.LBB1055_209:
	v_sub_nc_u32_e32 v2, v53, v3
	s_delay_alu instid0(VALU_DEP_1)
	v_lshlrev_b32_e32 v2, 2, v2
	ds_store_b32 v2, v21
	s_or_b32 exec_lo, exec_lo, s18
	s_and_saveexec_b32 s12, s14
	s_cbranch_execz .LBB1055_160
.LBB1055_210:
	v_sub_nc_u32_e32 v2, v59, v3
	s_delay_alu instid0(VALU_DEP_1)
	v_lshlrev_b32_e32 v2, 2, v2
	ds_store_b32 v2, v22
	s_or_b32 exec_lo, exec_lo, s12
	s_and_saveexec_b32 s12, s13
	s_cbranch_execz .LBB1055_161
.LBB1055_211:
	v_sub_nc_u32_e32 v2, v55, v3
	s_delay_alu instid0(VALU_DEP_1)
	v_lshlrev_b32_e32 v2, 2, v2
	ds_store_b32 v2, v19
	s_or_b32 exec_lo, exec_lo, s12
	s_and_saveexec_b32 s12, s11
	s_cbranch_execz .LBB1055_162
.LBB1055_212:
	v_sub_nc_u32_e32 v2, v51, v3
	s_delay_alu instid0(VALU_DEP_1)
	v_lshlrev_b32_e32 v2, 2, v2
	ds_store_b32 v2, v20
	s_or_b32 exec_lo, exec_lo, s12
	s_and_saveexec_b32 s11, s10
	s_cbranch_execz .LBB1055_163
.LBB1055_213:
	v_sub_nc_u32_e32 v2, v45, v3
	s_delay_alu instid0(VALU_DEP_1)
	v_lshlrev_b32_e32 v2, 2, v2
	ds_store_b32 v2, v17
	s_or_b32 exec_lo, exec_lo, s11
	s_and_saveexec_b32 s10, s9
	s_cbranch_execz .LBB1055_164
.LBB1055_214:
	v_sub_nc_u32_e32 v2, v41, v3
	s_delay_alu instid0(VALU_DEP_1)
	v_lshlrev_b32_e32 v2, 2, v2
	ds_store_b32 v2, v18
	s_or_b32 exec_lo, exec_lo, s10
	s_and_saveexec_b32 s9, s8
	s_cbranch_execz .LBB1055_165
.LBB1055_215:
	v_sub_nc_u32_e32 v2, v39, v3
	s_delay_alu instid0(VALU_DEP_1)
	v_lshlrev_b32_e32 v2, 2, v2
	ds_store_b32 v2, v15
	s_or_b32 exec_lo, exec_lo, s9
	s_and_saveexec_b32 s8, s7
	s_cbranch_execz .LBB1055_166
.LBB1055_216:
	v_sub_nc_u32_e32 v2, v43, v3
	s_delay_alu instid0(VALU_DEP_1)
	v_lshlrev_b32_e32 v2, 2, v2
	ds_store_b32 v2, v16
	s_or_b32 exec_lo, exec_lo, s8
	s_and_saveexec_b32 s7, s6
	s_cbranch_execz .LBB1055_167
.LBB1055_217:
	v_sub_nc_u32_e32 v2, v47, v3
	s_delay_alu instid0(VALU_DEP_1)
	v_lshlrev_b32_e32 v2, 2, v2
	ds_store_b32 v2, v13
	s_or_b32 exec_lo, exec_lo, s7
	s_and_saveexec_b32 s6, s5
	s_cbranch_execz .LBB1055_168
.LBB1055_218:
	v_sub_nc_u32_e32 v2, v5, v3
	s_delay_alu instid0(VALU_DEP_1)
	v_lshlrev_b32_e32 v2, 2, v2
	ds_store_b32 v2, v14
	s_or_b32 exec_lo, exec_lo, s6
	s_and_saveexec_b32 s5, s4
	s_cbranch_execz .LBB1055_169
.LBB1055_219:
	v_sub_nc_u32_e32 v2, v7, v3
	s_delay_alu instid0(VALU_DEP_1)
	v_lshlrev_b32_e32 v2, 2, v2
	ds_store_b32 v2, v11
	s_or_b32 exec_lo, exec_lo, s5
	s_and_saveexec_b32 s4, s3
	s_cbranch_execz .LBB1055_170
.LBB1055_220:
	v_sub_nc_u32_e32 v2, v37, v3
	s_delay_alu instid0(VALU_DEP_1)
	v_lshlrev_b32_e32 v2, 2, v2
	ds_store_b32 v2, v12
	s_or_b32 exec_lo, exec_lo, s4
	s_and_saveexec_b32 s3, s1
	s_cbranch_execz .LBB1055_171
.LBB1055_221:
	v_sub_nc_u32_e32 v2, v61, v3
	s_delay_alu instid0(VALU_DEP_1)
	v_lshlrev_b32_e32 v2, 2, v2
	ds_store_b32 v2, v9
	s_or_b32 exec_lo, exec_lo, s3
	s_and_saveexec_b32 s1, s0
	s_cbranch_execnz .LBB1055_172
	s_branch .LBB1055_173
.LBB1055_222:
	v_sub_nc_u32_e32 v14, v53, v4
	v_mov_b32_e32 v15, 0
	s_delay_alu instid0(VALU_DEP_1) | instskip(NEXT) | instid1(VALU_DEP_1)
	v_lshlrev_b64 v[14:15], 2, v[14:15]
	v_add_co_u32 v14, vcc_lo, v11, v14
	s_delay_alu instid0(VALU_DEP_2)
	v_add_co_ci_u32_e32 v15, vcc_lo, v12, v15, vcc_lo
	global_store_b32 v[14:15], v54, off
	s_or_b32 exec_lo, exec_lo, s18
	s_and_saveexec_b32 s18, s13
	s_cbranch_execz .LBB1055_177
.LBB1055_223:
	v_sub_nc_u32_e32 v14, v59, v4
	v_mov_b32_e32 v15, 0
	s_delay_alu instid0(VALU_DEP_1) | instskip(NEXT) | instid1(VALU_DEP_1)
	v_lshlrev_b64 v[14:15], 2, v[14:15]
	v_add_co_u32 v14, vcc_lo, v11, v14
	s_delay_alu instid0(VALU_DEP_2)
	v_add_co_ci_u32_e32 v15, vcc_lo, v12, v15, vcc_lo
	global_store_b32 v[14:15], v60, off
	s_or_b32 exec_lo, exec_lo, s18
	s_and_saveexec_b32 s18, s12
	s_cbranch_execz .LBB1055_178
.LBB1055_224:
	v_sub_nc_u32_e32 v14, v55, v4
	v_mov_b32_e32 v15, 0
	s_delay_alu instid0(VALU_DEP_1) | instskip(NEXT) | instid1(VALU_DEP_1)
	v_lshlrev_b64 v[14:15], 2, v[14:15]
	v_add_co_u32 v14, vcc_lo, v11, v14
	s_delay_alu instid0(VALU_DEP_2)
	v_add_co_ci_u32_e32 v15, vcc_lo, v12, v15, vcc_lo
	global_store_b32 v[14:15], v56, off
	s_or_b32 exec_lo, exec_lo, s18
	s_and_saveexec_b32 s18, s11
	s_cbranch_execz .LBB1055_179
.LBB1055_225:
	v_sub_nc_u32_e32 v14, v51, v4
	v_mov_b32_e32 v15, 0
	s_delay_alu instid0(VALU_DEP_1) | instskip(NEXT) | instid1(VALU_DEP_1)
	v_lshlrev_b64 v[14:15], 2, v[14:15]
	v_add_co_u32 v14, vcc_lo, v11, v14
	s_delay_alu instid0(VALU_DEP_2)
	v_add_co_ci_u32_e32 v15, vcc_lo, v12, v15, vcc_lo
	global_store_b32 v[14:15], v52, off
	s_or_b32 exec_lo, exec_lo, s18
	s_and_saveexec_b32 s18, s10
	s_cbranch_execz .LBB1055_180
.LBB1055_226:
	v_sub_nc_u32_e32 v14, v45, v4
	v_mov_b32_e32 v15, 0
	s_delay_alu instid0(VALU_DEP_1) | instskip(NEXT) | instid1(VALU_DEP_1)
	v_lshlrev_b64 v[14:15], 2, v[14:15]
	v_add_co_u32 v14, vcc_lo, v11, v14
	s_delay_alu instid0(VALU_DEP_2)
	v_add_co_ci_u32_e32 v15, vcc_lo, v12, v15, vcc_lo
	global_store_b32 v[14:15], v46, off
	s_or_b32 exec_lo, exec_lo, s18
	s_and_saveexec_b32 s18, s9
	s_cbranch_execz .LBB1055_181
.LBB1055_227:
	v_sub_nc_u32_e32 v14, v41, v4
	v_mov_b32_e32 v15, 0
	s_delay_alu instid0(VALU_DEP_1) | instskip(NEXT) | instid1(VALU_DEP_1)
	v_lshlrev_b64 v[14:15], 2, v[14:15]
	v_add_co_u32 v14, vcc_lo, v11, v14
	s_delay_alu instid0(VALU_DEP_2)
	v_add_co_ci_u32_e32 v15, vcc_lo, v12, v15, vcc_lo
	global_store_b32 v[14:15], v42, off
	s_or_b32 exec_lo, exec_lo, s18
	s_and_saveexec_b32 s18, s8
	s_cbranch_execz .LBB1055_182
.LBB1055_228:
	v_sub_nc_u32_e32 v14, v39, v4
	v_mov_b32_e32 v15, 0
	s_delay_alu instid0(VALU_DEP_1) | instskip(NEXT) | instid1(VALU_DEP_1)
	v_lshlrev_b64 v[14:15], 2, v[14:15]
	v_add_co_u32 v14, vcc_lo, v11, v14
	s_delay_alu instid0(VALU_DEP_2)
	v_add_co_ci_u32_e32 v15, vcc_lo, v12, v15, vcc_lo
	global_store_b32 v[14:15], v40, off
	s_or_b32 exec_lo, exec_lo, s18
	s_and_saveexec_b32 s18, s7
	s_cbranch_execz .LBB1055_183
.LBB1055_229:
	v_sub_nc_u32_e32 v14, v43, v4
	v_mov_b32_e32 v15, 0
	s_delay_alu instid0(VALU_DEP_1) | instskip(NEXT) | instid1(VALU_DEP_1)
	v_lshlrev_b64 v[14:15], 2, v[14:15]
	v_add_co_u32 v14, vcc_lo, v11, v14
	s_delay_alu instid0(VALU_DEP_2)
	v_add_co_ci_u32_e32 v15, vcc_lo, v12, v15, vcc_lo
	global_store_b32 v[14:15], v44, off
	s_or_b32 exec_lo, exec_lo, s18
	s_and_saveexec_b32 s18, s6
	s_cbranch_execz .LBB1055_184
.LBB1055_230:
	v_sub_nc_u32_e32 v14, v47, v4
	v_mov_b32_e32 v15, 0
	s_delay_alu instid0(VALU_DEP_1) | instskip(NEXT) | instid1(VALU_DEP_1)
	v_lshlrev_b64 v[14:15], 2, v[14:15]
	v_add_co_u32 v14, vcc_lo, v11, v14
	s_delay_alu instid0(VALU_DEP_2)
	v_add_co_ci_u32_e32 v15, vcc_lo, v12, v15, vcc_lo
	global_store_b32 v[14:15], v48, off
	s_or_b32 exec_lo, exec_lo, s18
	s_and_saveexec_b32 s18, s5
	s_cbranch_execz .LBB1055_185
.LBB1055_231:
	v_sub_nc_u32_e32 v14, v5, v4
	v_mov_b32_e32 v15, 0
	s_delay_alu instid0(VALU_DEP_1) | instskip(NEXT) | instid1(VALU_DEP_1)
	v_lshlrev_b64 v[14:15], 2, v[14:15]
	v_add_co_u32 v14, vcc_lo, v11, v14
	s_delay_alu instid0(VALU_DEP_2)
	v_add_co_ci_u32_e32 v15, vcc_lo, v12, v15, vcc_lo
	global_store_b32 v[14:15], v6, off
	s_or_b32 exec_lo, exec_lo, s18
	s_and_saveexec_b32 s18, s4
	s_cbranch_execz .LBB1055_186
.LBB1055_232:
	v_sub_nc_u32_e32 v14, v7, v4
	v_mov_b32_e32 v15, 0
	s_delay_alu instid0(VALU_DEP_1) | instskip(NEXT) | instid1(VALU_DEP_1)
	v_lshlrev_b64 v[14:15], 2, v[14:15]
	v_add_co_u32 v14, vcc_lo, v11, v14
	s_delay_alu instid0(VALU_DEP_2)
	v_add_co_ci_u32_e32 v15, vcc_lo, v12, v15, vcc_lo
	global_store_b32 v[14:15], v8, off
	s_or_b32 exec_lo, exec_lo, s18
	s_and_saveexec_b32 s18, s3
	s_cbranch_execz .LBB1055_187
.LBB1055_233:
	v_sub_nc_u32_e32 v14, v37, v4
	v_mov_b32_e32 v15, 0
	s_delay_alu instid0(VALU_DEP_1) | instskip(NEXT) | instid1(VALU_DEP_1)
	v_lshlrev_b64 v[14:15], 2, v[14:15]
	v_add_co_u32 v14, vcc_lo, v11, v14
	s_delay_alu instid0(VALU_DEP_2)
	v_add_co_ci_u32_e32 v15, vcc_lo, v12, v15, vcc_lo
	global_store_b32 v[14:15], v38, off
	s_or_b32 exec_lo, exec_lo, s18
	s_and_saveexec_b32 s18, s2
	s_cbranch_execz .LBB1055_188
.LBB1055_234:
	v_sub_nc_u32_e32 v14, v61, v4
	v_mov_b32_e32 v15, 0
	s_delay_alu instid0(VALU_DEP_1) | instskip(NEXT) | instid1(VALU_DEP_1)
	v_lshlrev_b64 v[14:15], 2, v[14:15]
	v_add_co_u32 v14, vcc_lo, v11, v14
	s_delay_alu instid0(VALU_DEP_2)
	v_add_co_ci_u32_e32 v15, vcc_lo, v12, v15, vcc_lo
	global_store_b32 v[14:15], v62, off
	s_or_b32 exec_lo, exec_lo, s18
	s_and_saveexec_b32 s18, s1
	s_cbranch_execnz .LBB1055_189
	s_branch .LBB1055_190
.LBB1055_235:
	v_sub_nc_u32_e32 v13, v53, v4
	s_delay_alu instid0(VALU_DEP_1)
	v_lshlrev_b32_e32 v13, 2, v13
	ds_store_b32 v13, v54
	s_or_b32 exec_lo, exec_lo, s18
	s_and_saveexec_b32 s14, s13
	s_cbranch_execz .LBB1055_194
.LBB1055_236:
	v_sub_nc_u32_e32 v13, v59, v4
	s_delay_alu instid0(VALU_DEP_1)
	v_lshlrev_b32_e32 v13, 2, v13
	ds_store_b32 v13, v60
	s_or_b32 exec_lo, exec_lo, s14
	s_and_saveexec_b32 s13, s12
	s_cbranch_execz .LBB1055_195
.LBB1055_237:
	v_sub_nc_u32_e32 v13, v55, v4
	s_delay_alu instid0(VALU_DEP_1)
	v_lshlrev_b32_e32 v13, 2, v13
	ds_store_b32 v13, v56
	s_or_b32 exec_lo, exec_lo, s13
	s_and_saveexec_b32 s12, s11
	s_cbranch_execz .LBB1055_196
.LBB1055_238:
	v_sub_nc_u32_e32 v13, v51, v4
	s_delay_alu instid0(VALU_DEP_1)
	v_lshlrev_b32_e32 v13, 2, v13
	ds_store_b32 v13, v52
	s_or_b32 exec_lo, exec_lo, s12
	s_and_saveexec_b32 s11, s10
	s_cbranch_execz .LBB1055_197
.LBB1055_239:
	v_sub_nc_u32_e32 v13, v45, v4
	s_delay_alu instid0(VALU_DEP_1)
	v_lshlrev_b32_e32 v13, 2, v13
	ds_store_b32 v13, v46
	s_or_b32 exec_lo, exec_lo, s11
	s_and_saveexec_b32 s10, s9
	s_cbranch_execz .LBB1055_198
.LBB1055_240:
	v_sub_nc_u32_e32 v13, v41, v4
	s_delay_alu instid0(VALU_DEP_1)
	v_lshlrev_b32_e32 v13, 2, v13
	ds_store_b32 v13, v42
	s_or_b32 exec_lo, exec_lo, s10
	s_and_saveexec_b32 s9, s8
	s_cbranch_execz .LBB1055_199
.LBB1055_241:
	v_sub_nc_u32_e32 v13, v39, v4
	s_delay_alu instid0(VALU_DEP_1)
	v_lshlrev_b32_e32 v13, 2, v13
	ds_store_b32 v13, v40
	s_or_b32 exec_lo, exec_lo, s9
	s_and_saveexec_b32 s8, s7
	s_cbranch_execz .LBB1055_200
.LBB1055_242:
	v_sub_nc_u32_e32 v13, v43, v4
	s_delay_alu instid0(VALU_DEP_1)
	v_lshlrev_b32_e32 v13, 2, v13
	ds_store_b32 v13, v44
	s_or_b32 exec_lo, exec_lo, s8
	s_and_saveexec_b32 s7, s6
	s_cbranch_execz .LBB1055_201
.LBB1055_243:
	v_sub_nc_u32_e32 v13, v47, v4
	s_delay_alu instid0(VALU_DEP_1)
	v_lshlrev_b32_e32 v13, 2, v13
	ds_store_b32 v13, v48
	s_or_b32 exec_lo, exec_lo, s7
	s_and_saveexec_b32 s6, s5
	s_cbranch_execz .LBB1055_202
.LBB1055_244:
	v_sub_nc_u32_e32 v5, v5, v4
	s_delay_alu instid0(VALU_DEP_1)
	v_lshlrev_b32_e32 v5, 2, v5
	ds_store_b32 v5, v6
	s_or_b32 exec_lo, exec_lo, s6
	s_and_saveexec_b32 s5, s4
	s_cbranch_execz .LBB1055_203
.LBB1055_245:
	v_sub_nc_u32_e32 v5, v7, v4
	s_delay_alu instid0(VALU_DEP_1)
	v_lshlrev_b32_e32 v5, 2, v5
	ds_store_b32 v5, v8
	s_or_b32 exec_lo, exec_lo, s5
	s_and_saveexec_b32 s4, s3
	s_cbranch_execz .LBB1055_204
.LBB1055_246:
	v_sub_nc_u32_e32 v5, v37, v4
	s_delay_alu instid0(VALU_DEP_1)
	v_lshlrev_b32_e32 v5, 2, v5
	ds_store_b32 v5, v38
	s_or_b32 exec_lo, exec_lo, s4
	s_and_saveexec_b32 s3, s2
	s_cbranch_execz .LBB1055_205
.LBB1055_247:
	v_sub_nc_u32_e32 v5, v61, v4
	s_delay_alu instid0(VALU_DEP_1)
	v_lshlrev_b32_e32 v5, 2, v5
	ds_store_b32 v5, v62
	s_or_b32 exec_lo, exec_lo, s3
	s_and_saveexec_b32 s2, s1
	s_cbranch_execnz .LBB1055_206
	s_branch .LBB1055_207
	.section	.rodata,"a",@progbits
	.p2align	6, 0x0
	.amdhsa_kernel _ZN7rocprim17ROCPRIM_400000_NS6detail17trampoline_kernelINS0_14default_configENS1_29reduce_by_key_config_selectorIjiN6thrust23THRUST_200600_302600_NS4plusIiEEEEZZNS1_33reduce_by_key_impl_wrapped_configILNS1_25lookback_scan_determinismE0ES3_S9_NS6_6detail15normal_iteratorINS6_10device_ptrIjEEEENSD_INSE_IiEEEENS6_16discard_iteratorINS6_11use_defaultEEESI_PmS8_NS6_8equal_toIjEEEE10hipError_tPvRmT2_T3_mT4_T5_T6_T7_T8_P12ihipStream_tbENKUlT_T0_E_clISt17integral_constantIbLb0EES15_IbLb1EEEEDaS11_S12_EUlS11_E_NS1_11comp_targetILNS1_3genE9ELNS1_11target_archE1100ELNS1_3gpuE3ELNS1_3repE0EEENS1_30default_config_static_selectorELNS0_4arch9wavefront6targetE0EEEvT1_
		.amdhsa_group_segment_fixed_size 15360
		.amdhsa_private_segment_fixed_size 0
		.amdhsa_kernarg_size 128
		.amdhsa_user_sgpr_count 15
		.amdhsa_user_sgpr_dispatch_ptr 0
		.amdhsa_user_sgpr_queue_ptr 0
		.amdhsa_user_sgpr_kernarg_segment_ptr 1
		.amdhsa_user_sgpr_dispatch_id 0
		.amdhsa_user_sgpr_private_segment_size 0
		.amdhsa_wavefront_size32 1
		.amdhsa_uses_dynamic_stack 0
		.amdhsa_enable_private_segment 0
		.amdhsa_system_sgpr_workgroup_id_x 1
		.amdhsa_system_sgpr_workgroup_id_y 0
		.amdhsa_system_sgpr_workgroup_id_z 0
		.amdhsa_system_sgpr_workgroup_info 0
		.amdhsa_system_vgpr_workitem_id 0
		.amdhsa_next_free_vgpr 85
		.amdhsa_next_free_sgpr 42
		.amdhsa_reserve_vcc 1
		.amdhsa_float_round_mode_32 0
		.amdhsa_float_round_mode_16_64 0
		.amdhsa_float_denorm_mode_32 3
		.amdhsa_float_denorm_mode_16_64 3
		.amdhsa_dx10_clamp 1
		.amdhsa_ieee_mode 1
		.amdhsa_fp16_overflow 0
		.amdhsa_workgroup_processor_mode 1
		.amdhsa_memory_ordered 1
		.amdhsa_forward_progress 0
		.amdhsa_shared_vgpr_count 0
		.amdhsa_exception_fp_ieee_invalid_op 0
		.amdhsa_exception_fp_denorm_src 0
		.amdhsa_exception_fp_ieee_div_zero 0
		.amdhsa_exception_fp_ieee_overflow 0
		.amdhsa_exception_fp_ieee_underflow 0
		.amdhsa_exception_fp_ieee_inexact 0
		.amdhsa_exception_int_div_zero 0
	.end_amdhsa_kernel
	.section	.text._ZN7rocprim17ROCPRIM_400000_NS6detail17trampoline_kernelINS0_14default_configENS1_29reduce_by_key_config_selectorIjiN6thrust23THRUST_200600_302600_NS4plusIiEEEEZZNS1_33reduce_by_key_impl_wrapped_configILNS1_25lookback_scan_determinismE0ES3_S9_NS6_6detail15normal_iteratorINS6_10device_ptrIjEEEENSD_INSE_IiEEEENS6_16discard_iteratorINS6_11use_defaultEEESI_PmS8_NS6_8equal_toIjEEEE10hipError_tPvRmT2_T3_mT4_T5_T6_T7_T8_P12ihipStream_tbENKUlT_T0_E_clISt17integral_constantIbLb0EES15_IbLb1EEEEDaS11_S12_EUlS11_E_NS1_11comp_targetILNS1_3genE9ELNS1_11target_archE1100ELNS1_3gpuE3ELNS1_3repE0EEENS1_30default_config_static_selectorELNS0_4arch9wavefront6targetE0EEEvT1_,"axG",@progbits,_ZN7rocprim17ROCPRIM_400000_NS6detail17trampoline_kernelINS0_14default_configENS1_29reduce_by_key_config_selectorIjiN6thrust23THRUST_200600_302600_NS4plusIiEEEEZZNS1_33reduce_by_key_impl_wrapped_configILNS1_25lookback_scan_determinismE0ES3_S9_NS6_6detail15normal_iteratorINS6_10device_ptrIjEEEENSD_INSE_IiEEEENS6_16discard_iteratorINS6_11use_defaultEEESI_PmS8_NS6_8equal_toIjEEEE10hipError_tPvRmT2_T3_mT4_T5_T6_T7_T8_P12ihipStream_tbENKUlT_T0_E_clISt17integral_constantIbLb0EES15_IbLb1EEEEDaS11_S12_EUlS11_E_NS1_11comp_targetILNS1_3genE9ELNS1_11target_archE1100ELNS1_3gpuE3ELNS1_3repE0EEENS1_30default_config_static_selectorELNS0_4arch9wavefront6targetE0EEEvT1_,comdat
.Lfunc_end1055:
	.size	_ZN7rocprim17ROCPRIM_400000_NS6detail17trampoline_kernelINS0_14default_configENS1_29reduce_by_key_config_selectorIjiN6thrust23THRUST_200600_302600_NS4plusIiEEEEZZNS1_33reduce_by_key_impl_wrapped_configILNS1_25lookback_scan_determinismE0ES3_S9_NS6_6detail15normal_iteratorINS6_10device_ptrIjEEEENSD_INSE_IiEEEENS6_16discard_iteratorINS6_11use_defaultEEESI_PmS8_NS6_8equal_toIjEEEE10hipError_tPvRmT2_T3_mT4_T5_T6_T7_T8_P12ihipStream_tbENKUlT_T0_E_clISt17integral_constantIbLb0EES15_IbLb1EEEEDaS11_S12_EUlS11_E_NS1_11comp_targetILNS1_3genE9ELNS1_11target_archE1100ELNS1_3gpuE3ELNS1_3repE0EEENS1_30default_config_static_selectorELNS0_4arch9wavefront6targetE0EEEvT1_, .Lfunc_end1055-_ZN7rocprim17ROCPRIM_400000_NS6detail17trampoline_kernelINS0_14default_configENS1_29reduce_by_key_config_selectorIjiN6thrust23THRUST_200600_302600_NS4plusIiEEEEZZNS1_33reduce_by_key_impl_wrapped_configILNS1_25lookback_scan_determinismE0ES3_S9_NS6_6detail15normal_iteratorINS6_10device_ptrIjEEEENSD_INSE_IiEEEENS6_16discard_iteratorINS6_11use_defaultEEESI_PmS8_NS6_8equal_toIjEEEE10hipError_tPvRmT2_T3_mT4_T5_T6_T7_T8_P12ihipStream_tbENKUlT_T0_E_clISt17integral_constantIbLb0EES15_IbLb1EEEEDaS11_S12_EUlS11_E_NS1_11comp_targetILNS1_3genE9ELNS1_11target_archE1100ELNS1_3gpuE3ELNS1_3repE0EEENS1_30default_config_static_selectorELNS0_4arch9wavefront6targetE0EEEvT1_
                                        ; -- End function
	.section	.AMDGPU.csdata,"",@progbits
; Kernel info:
; codeLenInByte = 15400
; NumSgprs: 44
; NumVgprs: 85
; ScratchSize: 0
; MemoryBound: 0
; FloatMode: 240
; IeeeMode: 1
; LDSByteSize: 15360 bytes/workgroup (compile time only)
; SGPRBlocks: 5
; VGPRBlocks: 10
; NumSGPRsForWavesPerEU: 44
; NumVGPRsForWavesPerEU: 85
; Occupancy: 16
; WaveLimiterHint : 1
; COMPUTE_PGM_RSRC2:SCRATCH_EN: 0
; COMPUTE_PGM_RSRC2:USER_SGPR: 15
; COMPUTE_PGM_RSRC2:TRAP_HANDLER: 0
; COMPUTE_PGM_RSRC2:TGID_X_EN: 1
; COMPUTE_PGM_RSRC2:TGID_Y_EN: 0
; COMPUTE_PGM_RSRC2:TGID_Z_EN: 0
; COMPUTE_PGM_RSRC2:TIDIG_COMP_CNT: 0
	.section	.text._ZN7rocprim17ROCPRIM_400000_NS6detail17trampoline_kernelINS0_14default_configENS1_29reduce_by_key_config_selectorIjiN6thrust23THRUST_200600_302600_NS4plusIiEEEEZZNS1_33reduce_by_key_impl_wrapped_configILNS1_25lookback_scan_determinismE0ES3_S9_NS6_6detail15normal_iteratorINS6_10device_ptrIjEEEENSD_INSE_IiEEEENS6_16discard_iteratorINS6_11use_defaultEEESI_PmS8_NS6_8equal_toIjEEEE10hipError_tPvRmT2_T3_mT4_T5_T6_T7_T8_P12ihipStream_tbENKUlT_T0_E_clISt17integral_constantIbLb0EES15_IbLb1EEEEDaS11_S12_EUlS11_E_NS1_11comp_targetILNS1_3genE8ELNS1_11target_archE1030ELNS1_3gpuE2ELNS1_3repE0EEENS1_30default_config_static_selectorELNS0_4arch9wavefront6targetE0EEEvT1_,"axG",@progbits,_ZN7rocprim17ROCPRIM_400000_NS6detail17trampoline_kernelINS0_14default_configENS1_29reduce_by_key_config_selectorIjiN6thrust23THRUST_200600_302600_NS4plusIiEEEEZZNS1_33reduce_by_key_impl_wrapped_configILNS1_25lookback_scan_determinismE0ES3_S9_NS6_6detail15normal_iteratorINS6_10device_ptrIjEEEENSD_INSE_IiEEEENS6_16discard_iteratorINS6_11use_defaultEEESI_PmS8_NS6_8equal_toIjEEEE10hipError_tPvRmT2_T3_mT4_T5_T6_T7_T8_P12ihipStream_tbENKUlT_T0_E_clISt17integral_constantIbLb0EES15_IbLb1EEEEDaS11_S12_EUlS11_E_NS1_11comp_targetILNS1_3genE8ELNS1_11target_archE1030ELNS1_3gpuE2ELNS1_3repE0EEENS1_30default_config_static_selectorELNS0_4arch9wavefront6targetE0EEEvT1_,comdat
	.protected	_ZN7rocprim17ROCPRIM_400000_NS6detail17trampoline_kernelINS0_14default_configENS1_29reduce_by_key_config_selectorIjiN6thrust23THRUST_200600_302600_NS4plusIiEEEEZZNS1_33reduce_by_key_impl_wrapped_configILNS1_25lookback_scan_determinismE0ES3_S9_NS6_6detail15normal_iteratorINS6_10device_ptrIjEEEENSD_INSE_IiEEEENS6_16discard_iteratorINS6_11use_defaultEEESI_PmS8_NS6_8equal_toIjEEEE10hipError_tPvRmT2_T3_mT4_T5_T6_T7_T8_P12ihipStream_tbENKUlT_T0_E_clISt17integral_constantIbLb0EES15_IbLb1EEEEDaS11_S12_EUlS11_E_NS1_11comp_targetILNS1_3genE8ELNS1_11target_archE1030ELNS1_3gpuE2ELNS1_3repE0EEENS1_30default_config_static_selectorELNS0_4arch9wavefront6targetE0EEEvT1_ ; -- Begin function _ZN7rocprim17ROCPRIM_400000_NS6detail17trampoline_kernelINS0_14default_configENS1_29reduce_by_key_config_selectorIjiN6thrust23THRUST_200600_302600_NS4plusIiEEEEZZNS1_33reduce_by_key_impl_wrapped_configILNS1_25lookback_scan_determinismE0ES3_S9_NS6_6detail15normal_iteratorINS6_10device_ptrIjEEEENSD_INSE_IiEEEENS6_16discard_iteratorINS6_11use_defaultEEESI_PmS8_NS6_8equal_toIjEEEE10hipError_tPvRmT2_T3_mT4_T5_T6_T7_T8_P12ihipStream_tbENKUlT_T0_E_clISt17integral_constantIbLb0EES15_IbLb1EEEEDaS11_S12_EUlS11_E_NS1_11comp_targetILNS1_3genE8ELNS1_11target_archE1030ELNS1_3gpuE2ELNS1_3repE0EEENS1_30default_config_static_selectorELNS0_4arch9wavefront6targetE0EEEvT1_
	.globl	_ZN7rocprim17ROCPRIM_400000_NS6detail17trampoline_kernelINS0_14default_configENS1_29reduce_by_key_config_selectorIjiN6thrust23THRUST_200600_302600_NS4plusIiEEEEZZNS1_33reduce_by_key_impl_wrapped_configILNS1_25lookback_scan_determinismE0ES3_S9_NS6_6detail15normal_iteratorINS6_10device_ptrIjEEEENSD_INSE_IiEEEENS6_16discard_iteratorINS6_11use_defaultEEESI_PmS8_NS6_8equal_toIjEEEE10hipError_tPvRmT2_T3_mT4_T5_T6_T7_T8_P12ihipStream_tbENKUlT_T0_E_clISt17integral_constantIbLb0EES15_IbLb1EEEEDaS11_S12_EUlS11_E_NS1_11comp_targetILNS1_3genE8ELNS1_11target_archE1030ELNS1_3gpuE2ELNS1_3repE0EEENS1_30default_config_static_selectorELNS0_4arch9wavefront6targetE0EEEvT1_
	.p2align	8
	.type	_ZN7rocprim17ROCPRIM_400000_NS6detail17trampoline_kernelINS0_14default_configENS1_29reduce_by_key_config_selectorIjiN6thrust23THRUST_200600_302600_NS4plusIiEEEEZZNS1_33reduce_by_key_impl_wrapped_configILNS1_25lookback_scan_determinismE0ES3_S9_NS6_6detail15normal_iteratorINS6_10device_ptrIjEEEENSD_INSE_IiEEEENS6_16discard_iteratorINS6_11use_defaultEEESI_PmS8_NS6_8equal_toIjEEEE10hipError_tPvRmT2_T3_mT4_T5_T6_T7_T8_P12ihipStream_tbENKUlT_T0_E_clISt17integral_constantIbLb0EES15_IbLb1EEEEDaS11_S12_EUlS11_E_NS1_11comp_targetILNS1_3genE8ELNS1_11target_archE1030ELNS1_3gpuE2ELNS1_3repE0EEENS1_30default_config_static_selectorELNS0_4arch9wavefront6targetE0EEEvT1_,@function
_ZN7rocprim17ROCPRIM_400000_NS6detail17trampoline_kernelINS0_14default_configENS1_29reduce_by_key_config_selectorIjiN6thrust23THRUST_200600_302600_NS4plusIiEEEEZZNS1_33reduce_by_key_impl_wrapped_configILNS1_25lookback_scan_determinismE0ES3_S9_NS6_6detail15normal_iteratorINS6_10device_ptrIjEEEENSD_INSE_IiEEEENS6_16discard_iteratorINS6_11use_defaultEEESI_PmS8_NS6_8equal_toIjEEEE10hipError_tPvRmT2_T3_mT4_T5_T6_T7_T8_P12ihipStream_tbENKUlT_T0_E_clISt17integral_constantIbLb0EES15_IbLb1EEEEDaS11_S12_EUlS11_E_NS1_11comp_targetILNS1_3genE8ELNS1_11target_archE1030ELNS1_3gpuE2ELNS1_3repE0EEENS1_30default_config_static_selectorELNS0_4arch9wavefront6targetE0EEEvT1_: ; @_ZN7rocprim17ROCPRIM_400000_NS6detail17trampoline_kernelINS0_14default_configENS1_29reduce_by_key_config_selectorIjiN6thrust23THRUST_200600_302600_NS4plusIiEEEEZZNS1_33reduce_by_key_impl_wrapped_configILNS1_25lookback_scan_determinismE0ES3_S9_NS6_6detail15normal_iteratorINS6_10device_ptrIjEEEENSD_INSE_IiEEEENS6_16discard_iteratorINS6_11use_defaultEEESI_PmS8_NS6_8equal_toIjEEEE10hipError_tPvRmT2_T3_mT4_T5_T6_T7_T8_P12ihipStream_tbENKUlT_T0_E_clISt17integral_constantIbLb0EES15_IbLb1EEEEDaS11_S12_EUlS11_E_NS1_11comp_targetILNS1_3genE8ELNS1_11target_archE1030ELNS1_3gpuE2ELNS1_3repE0EEENS1_30default_config_static_selectorELNS0_4arch9wavefront6targetE0EEEvT1_
; %bb.0:
	.section	.rodata,"a",@progbits
	.p2align	6, 0x0
	.amdhsa_kernel _ZN7rocprim17ROCPRIM_400000_NS6detail17trampoline_kernelINS0_14default_configENS1_29reduce_by_key_config_selectorIjiN6thrust23THRUST_200600_302600_NS4plusIiEEEEZZNS1_33reduce_by_key_impl_wrapped_configILNS1_25lookback_scan_determinismE0ES3_S9_NS6_6detail15normal_iteratorINS6_10device_ptrIjEEEENSD_INSE_IiEEEENS6_16discard_iteratorINS6_11use_defaultEEESI_PmS8_NS6_8equal_toIjEEEE10hipError_tPvRmT2_T3_mT4_T5_T6_T7_T8_P12ihipStream_tbENKUlT_T0_E_clISt17integral_constantIbLb0EES15_IbLb1EEEEDaS11_S12_EUlS11_E_NS1_11comp_targetILNS1_3genE8ELNS1_11target_archE1030ELNS1_3gpuE2ELNS1_3repE0EEENS1_30default_config_static_selectorELNS0_4arch9wavefront6targetE0EEEvT1_
		.amdhsa_group_segment_fixed_size 0
		.amdhsa_private_segment_fixed_size 0
		.amdhsa_kernarg_size 128
		.amdhsa_user_sgpr_count 15
		.amdhsa_user_sgpr_dispatch_ptr 0
		.amdhsa_user_sgpr_queue_ptr 0
		.amdhsa_user_sgpr_kernarg_segment_ptr 1
		.amdhsa_user_sgpr_dispatch_id 0
		.amdhsa_user_sgpr_private_segment_size 0
		.amdhsa_wavefront_size32 1
		.amdhsa_uses_dynamic_stack 0
		.amdhsa_enable_private_segment 0
		.amdhsa_system_sgpr_workgroup_id_x 1
		.amdhsa_system_sgpr_workgroup_id_y 0
		.amdhsa_system_sgpr_workgroup_id_z 0
		.amdhsa_system_sgpr_workgroup_info 0
		.amdhsa_system_vgpr_workitem_id 0
		.amdhsa_next_free_vgpr 1
		.amdhsa_next_free_sgpr 1
		.amdhsa_reserve_vcc 0
		.amdhsa_float_round_mode_32 0
		.amdhsa_float_round_mode_16_64 0
		.amdhsa_float_denorm_mode_32 3
		.amdhsa_float_denorm_mode_16_64 3
		.amdhsa_dx10_clamp 1
		.amdhsa_ieee_mode 1
		.amdhsa_fp16_overflow 0
		.amdhsa_workgroup_processor_mode 1
		.amdhsa_memory_ordered 1
		.amdhsa_forward_progress 0
		.amdhsa_shared_vgpr_count 0
		.amdhsa_exception_fp_ieee_invalid_op 0
		.amdhsa_exception_fp_denorm_src 0
		.amdhsa_exception_fp_ieee_div_zero 0
		.amdhsa_exception_fp_ieee_overflow 0
		.amdhsa_exception_fp_ieee_underflow 0
		.amdhsa_exception_fp_ieee_inexact 0
		.amdhsa_exception_int_div_zero 0
	.end_amdhsa_kernel
	.section	.text._ZN7rocprim17ROCPRIM_400000_NS6detail17trampoline_kernelINS0_14default_configENS1_29reduce_by_key_config_selectorIjiN6thrust23THRUST_200600_302600_NS4plusIiEEEEZZNS1_33reduce_by_key_impl_wrapped_configILNS1_25lookback_scan_determinismE0ES3_S9_NS6_6detail15normal_iteratorINS6_10device_ptrIjEEEENSD_INSE_IiEEEENS6_16discard_iteratorINS6_11use_defaultEEESI_PmS8_NS6_8equal_toIjEEEE10hipError_tPvRmT2_T3_mT4_T5_T6_T7_T8_P12ihipStream_tbENKUlT_T0_E_clISt17integral_constantIbLb0EES15_IbLb1EEEEDaS11_S12_EUlS11_E_NS1_11comp_targetILNS1_3genE8ELNS1_11target_archE1030ELNS1_3gpuE2ELNS1_3repE0EEENS1_30default_config_static_selectorELNS0_4arch9wavefront6targetE0EEEvT1_,"axG",@progbits,_ZN7rocprim17ROCPRIM_400000_NS6detail17trampoline_kernelINS0_14default_configENS1_29reduce_by_key_config_selectorIjiN6thrust23THRUST_200600_302600_NS4plusIiEEEEZZNS1_33reduce_by_key_impl_wrapped_configILNS1_25lookback_scan_determinismE0ES3_S9_NS6_6detail15normal_iteratorINS6_10device_ptrIjEEEENSD_INSE_IiEEEENS6_16discard_iteratorINS6_11use_defaultEEESI_PmS8_NS6_8equal_toIjEEEE10hipError_tPvRmT2_T3_mT4_T5_T6_T7_T8_P12ihipStream_tbENKUlT_T0_E_clISt17integral_constantIbLb0EES15_IbLb1EEEEDaS11_S12_EUlS11_E_NS1_11comp_targetILNS1_3genE8ELNS1_11target_archE1030ELNS1_3gpuE2ELNS1_3repE0EEENS1_30default_config_static_selectorELNS0_4arch9wavefront6targetE0EEEvT1_,comdat
.Lfunc_end1056:
	.size	_ZN7rocprim17ROCPRIM_400000_NS6detail17trampoline_kernelINS0_14default_configENS1_29reduce_by_key_config_selectorIjiN6thrust23THRUST_200600_302600_NS4plusIiEEEEZZNS1_33reduce_by_key_impl_wrapped_configILNS1_25lookback_scan_determinismE0ES3_S9_NS6_6detail15normal_iteratorINS6_10device_ptrIjEEEENSD_INSE_IiEEEENS6_16discard_iteratorINS6_11use_defaultEEESI_PmS8_NS6_8equal_toIjEEEE10hipError_tPvRmT2_T3_mT4_T5_T6_T7_T8_P12ihipStream_tbENKUlT_T0_E_clISt17integral_constantIbLb0EES15_IbLb1EEEEDaS11_S12_EUlS11_E_NS1_11comp_targetILNS1_3genE8ELNS1_11target_archE1030ELNS1_3gpuE2ELNS1_3repE0EEENS1_30default_config_static_selectorELNS0_4arch9wavefront6targetE0EEEvT1_, .Lfunc_end1056-_ZN7rocprim17ROCPRIM_400000_NS6detail17trampoline_kernelINS0_14default_configENS1_29reduce_by_key_config_selectorIjiN6thrust23THRUST_200600_302600_NS4plusIiEEEEZZNS1_33reduce_by_key_impl_wrapped_configILNS1_25lookback_scan_determinismE0ES3_S9_NS6_6detail15normal_iteratorINS6_10device_ptrIjEEEENSD_INSE_IiEEEENS6_16discard_iteratorINS6_11use_defaultEEESI_PmS8_NS6_8equal_toIjEEEE10hipError_tPvRmT2_T3_mT4_T5_T6_T7_T8_P12ihipStream_tbENKUlT_T0_E_clISt17integral_constantIbLb0EES15_IbLb1EEEEDaS11_S12_EUlS11_E_NS1_11comp_targetILNS1_3genE8ELNS1_11target_archE1030ELNS1_3gpuE2ELNS1_3repE0EEENS1_30default_config_static_selectorELNS0_4arch9wavefront6targetE0EEEvT1_
                                        ; -- End function
	.section	.AMDGPU.csdata,"",@progbits
; Kernel info:
; codeLenInByte = 0
; NumSgprs: 0
; NumVgprs: 0
; ScratchSize: 0
; MemoryBound: 0
; FloatMode: 240
; IeeeMode: 1
; LDSByteSize: 0 bytes/workgroup (compile time only)
; SGPRBlocks: 0
; VGPRBlocks: 0
; NumSGPRsForWavesPerEU: 1
; NumVGPRsForWavesPerEU: 1
; Occupancy: 16
; WaveLimiterHint : 0
; COMPUTE_PGM_RSRC2:SCRATCH_EN: 0
; COMPUTE_PGM_RSRC2:USER_SGPR: 15
; COMPUTE_PGM_RSRC2:TRAP_HANDLER: 0
; COMPUTE_PGM_RSRC2:TGID_X_EN: 1
; COMPUTE_PGM_RSRC2:TGID_Y_EN: 0
; COMPUTE_PGM_RSRC2:TGID_Z_EN: 0
; COMPUTE_PGM_RSRC2:TIDIG_COMP_CNT: 0
	.section	.text._ZN7rocprim17ROCPRIM_400000_NS6detail17trampoline_kernelINS0_14default_configENS1_29reduce_by_key_config_selectorIjsN6thrust23THRUST_200600_302600_NS4plusIsEEEEZZNS1_33reduce_by_key_impl_wrapped_configILNS1_25lookback_scan_determinismE0ES3_S9_NS6_6detail15normal_iteratorINS6_10device_ptrIjEEEENSD_INSE_IsEEEENS6_16discard_iteratorINS6_11use_defaultEEESI_PmS8_NS6_8equal_toIjEEEE10hipError_tPvRmT2_T3_mT4_T5_T6_T7_T8_P12ihipStream_tbENKUlT_T0_E_clISt17integral_constantIbLb0EES16_EEDaS11_S12_EUlS11_E_NS1_11comp_targetILNS1_3genE0ELNS1_11target_archE4294967295ELNS1_3gpuE0ELNS1_3repE0EEENS1_30default_config_static_selectorELNS0_4arch9wavefront6targetE0EEEvT1_,"axG",@progbits,_ZN7rocprim17ROCPRIM_400000_NS6detail17trampoline_kernelINS0_14default_configENS1_29reduce_by_key_config_selectorIjsN6thrust23THRUST_200600_302600_NS4plusIsEEEEZZNS1_33reduce_by_key_impl_wrapped_configILNS1_25lookback_scan_determinismE0ES3_S9_NS6_6detail15normal_iteratorINS6_10device_ptrIjEEEENSD_INSE_IsEEEENS6_16discard_iteratorINS6_11use_defaultEEESI_PmS8_NS6_8equal_toIjEEEE10hipError_tPvRmT2_T3_mT4_T5_T6_T7_T8_P12ihipStream_tbENKUlT_T0_E_clISt17integral_constantIbLb0EES16_EEDaS11_S12_EUlS11_E_NS1_11comp_targetILNS1_3genE0ELNS1_11target_archE4294967295ELNS1_3gpuE0ELNS1_3repE0EEENS1_30default_config_static_selectorELNS0_4arch9wavefront6targetE0EEEvT1_,comdat
	.protected	_ZN7rocprim17ROCPRIM_400000_NS6detail17trampoline_kernelINS0_14default_configENS1_29reduce_by_key_config_selectorIjsN6thrust23THRUST_200600_302600_NS4plusIsEEEEZZNS1_33reduce_by_key_impl_wrapped_configILNS1_25lookback_scan_determinismE0ES3_S9_NS6_6detail15normal_iteratorINS6_10device_ptrIjEEEENSD_INSE_IsEEEENS6_16discard_iteratorINS6_11use_defaultEEESI_PmS8_NS6_8equal_toIjEEEE10hipError_tPvRmT2_T3_mT4_T5_T6_T7_T8_P12ihipStream_tbENKUlT_T0_E_clISt17integral_constantIbLb0EES16_EEDaS11_S12_EUlS11_E_NS1_11comp_targetILNS1_3genE0ELNS1_11target_archE4294967295ELNS1_3gpuE0ELNS1_3repE0EEENS1_30default_config_static_selectorELNS0_4arch9wavefront6targetE0EEEvT1_ ; -- Begin function _ZN7rocprim17ROCPRIM_400000_NS6detail17trampoline_kernelINS0_14default_configENS1_29reduce_by_key_config_selectorIjsN6thrust23THRUST_200600_302600_NS4plusIsEEEEZZNS1_33reduce_by_key_impl_wrapped_configILNS1_25lookback_scan_determinismE0ES3_S9_NS6_6detail15normal_iteratorINS6_10device_ptrIjEEEENSD_INSE_IsEEEENS6_16discard_iteratorINS6_11use_defaultEEESI_PmS8_NS6_8equal_toIjEEEE10hipError_tPvRmT2_T3_mT4_T5_T6_T7_T8_P12ihipStream_tbENKUlT_T0_E_clISt17integral_constantIbLb0EES16_EEDaS11_S12_EUlS11_E_NS1_11comp_targetILNS1_3genE0ELNS1_11target_archE4294967295ELNS1_3gpuE0ELNS1_3repE0EEENS1_30default_config_static_selectorELNS0_4arch9wavefront6targetE0EEEvT1_
	.globl	_ZN7rocprim17ROCPRIM_400000_NS6detail17trampoline_kernelINS0_14default_configENS1_29reduce_by_key_config_selectorIjsN6thrust23THRUST_200600_302600_NS4plusIsEEEEZZNS1_33reduce_by_key_impl_wrapped_configILNS1_25lookback_scan_determinismE0ES3_S9_NS6_6detail15normal_iteratorINS6_10device_ptrIjEEEENSD_INSE_IsEEEENS6_16discard_iteratorINS6_11use_defaultEEESI_PmS8_NS6_8equal_toIjEEEE10hipError_tPvRmT2_T3_mT4_T5_T6_T7_T8_P12ihipStream_tbENKUlT_T0_E_clISt17integral_constantIbLb0EES16_EEDaS11_S12_EUlS11_E_NS1_11comp_targetILNS1_3genE0ELNS1_11target_archE4294967295ELNS1_3gpuE0ELNS1_3repE0EEENS1_30default_config_static_selectorELNS0_4arch9wavefront6targetE0EEEvT1_
	.p2align	8
	.type	_ZN7rocprim17ROCPRIM_400000_NS6detail17trampoline_kernelINS0_14default_configENS1_29reduce_by_key_config_selectorIjsN6thrust23THRUST_200600_302600_NS4plusIsEEEEZZNS1_33reduce_by_key_impl_wrapped_configILNS1_25lookback_scan_determinismE0ES3_S9_NS6_6detail15normal_iteratorINS6_10device_ptrIjEEEENSD_INSE_IsEEEENS6_16discard_iteratorINS6_11use_defaultEEESI_PmS8_NS6_8equal_toIjEEEE10hipError_tPvRmT2_T3_mT4_T5_T6_T7_T8_P12ihipStream_tbENKUlT_T0_E_clISt17integral_constantIbLb0EES16_EEDaS11_S12_EUlS11_E_NS1_11comp_targetILNS1_3genE0ELNS1_11target_archE4294967295ELNS1_3gpuE0ELNS1_3repE0EEENS1_30default_config_static_selectorELNS0_4arch9wavefront6targetE0EEEvT1_,@function
_ZN7rocprim17ROCPRIM_400000_NS6detail17trampoline_kernelINS0_14default_configENS1_29reduce_by_key_config_selectorIjsN6thrust23THRUST_200600_302600_NS4plusIsEEEEZZNS1_33reduce_by_key_impl_wrapped_configILNS1_25lookback_scan_determinismE0ES3_S9_NS6_6detail15normal_iteratorINS6_10device_ptrIjEEEENSD_INSE_IsEEEENS6_16discard_iteratorINS6_11use_defaultEEESI_PmS8_NS6_8equal_toIjEEEE10hipError_tPvRmT2_T3_mT4_T5_T6_T7_T8_P12ihipStream_tbENKUlT_T0_E_clISt17integral_constantIbLb0EES16_EEDaS11_S12_EUlS11_E_NS1_11comp_targetILNS1_3genE0ELNS1_11target_archE4294967295ELNS1_3gpuE0ELNS1_3repE0EEENS1_30default_config_static_selectorELNS0_4arch9wavefront6targetE0EEEvT1_: ; @_ZN7rocprim17ROCPRIM_400000_NS6detail17trampoline_kernelINS0_14default_configENS1_29reduce_by_key_config_selectorIjsN6thrust23THRUST_200600_302600_NS4plusIsEEEEZZNS1_33reduce_by_key_impl_wrapped_configILNS1_25lookback_scan_determinismE0ES3_S9_NS6_6detail15normal_iteratorINS6_10device_ptrIjEEEENSD_INSE_IsEEEENS6_16discard_iteratorINS6_11use_defaultEEESI_PmS8_NS6_8equal_toIjEEEE10hipError_tPvRmT2_T3_mT4_T5_T6_T7_T8_P12ihipStream_tbENKUlT_T0_E_clISt17integral_constantIbLb0EES16_EEDaS11_S12_EUlS11_E_NS1_11comp_targetILNS1_3genE0ELNS1_11target_archE4294967295ELNS1_3gpuE0ELNS1_3repE0EEENS1_30default_config_static_selectorELNS0_4arch9wavefront6targetE0EEEvT1_
; %bb.0:
	.section	.rodata,"a",@progbits
	.p2align	6, 0x0
	.amdhsa_kernel _ZN7rocprim17ROCPRIM_400000_NS6detail17trampoline_kernelINS0_14default_configENS1_29reduce_by_key_config_selectorIjsN6thrust23THRUST_200600_302600_NS4plusIsEEEEZZNS1_33reduce_by_key_impl_wrapped_configILNS1_25lookback_scan_determinismE0ES3_S9_NS6_6detail15normal_iteratorINS6_10device_ptrIjEEEENSD_INSE_IsEEEENS6_16discard_iteratorINS6_11use_defaultEEESI_PmS8_NS6_8equal_toIjEEEE10hipError_tPvRmT2_T3_mT4_T5_T6_T7_T8_P12ihipStream_tbENKUlT_T0_E_clISt17integral_constantIbLb0EES16_EEDaS11_S12_EUlS11_E_NS1_11comp_targetILNS1_3genE0ELNS1_11target_archE4294967295ELNS1_3gpuE0ELNS1_3repE0EEENS1_30default_config_static_selectorELNS0_4arch9wavefront6targetE0EEEvT1_
		.amdhsa_group_segment_fixed_size 0
		.amdhsa_private_segment_fixed_size 0
		.amdhsa_kernarg_size 128
		.amdhsa_user_sgpr_count 15
		.amdhsa_user_sgpr_dispatch_ptr 0
		.amdhsa_user_sgpr_queue_ptr 0
		.amdhsa_user_sgpr_kernarg_segment_ptr 1
		.amdhsa_user_sgpr_dispatch_id 0
		.amdhsa_user_sgpr_private_segment_size 0
		.amdhsa_wavefront_size32 1
		.amdhsa_uses_dynamic_stack 0
		.amdhsa_enable_private_segment 0
		.amdhsa_system_sgpr_workgroup_id_x 1
		.amdhsa_system_sgpr_workgroup_id_y 0
		.amdhsa_system_sgpr_workgroup_id_z 0
		.amdhsa_system_sgpr_workgroup_info 0
		.amdhsa_system_vgpr_workitem_id 0
		.amdhsa_next_free_vgpr 1
		.amdhsa_next_free_sgpr 1
		.amdhsa_reserve_vcc 0
		.amdhsa_float_round_mode_32 0
		.amdhsa_float_round_mode_16_64 0
		.amdhsa_float_denorm_mode_32 3
		.amdhsa_float_denorm_mode_16_64 3
		.amdhsa_dx10_clamp 1
		.amdhsa_ieee_mode 1
		.amdhsa_fp16_overflow 0
		.amdhsa_workgroup_processor_mode 1
		.amdhsa_memory_ordered 1
		.amdhsa_forward_progress 0
		.amdhsa_shared_vgpr_count 0
		.amdhsa_exception_fp_ieee_invalid_op 0
		.amdhsa_exception_fp_denorm_src 0
		.amdhsa_exception_fp_ieee_div_zero 0
		.amdhsa_exception_fp_ieee_overflow 0
		.amdhsa_exception_fp_ieee_underflow 0
		.amdhsa_exception_fp_ieee_inexact 0
		.amdhsa_exception_int_div_zero 0
	.end_amdhsa_kernel
	.section	.text._ZN7rocprim17ROCPRIM_400000_NS6detail17trampoline_kernelINS0_14default_configENS1_29reduce_by_key_config_selectorIjsN6thrust23THRUST_200600_302600_NS4plusIsEEEEZZNS1_33reduce_by_key_impl_wrapped_configILNS1_25lookback_scan_determinismE0ES3_S9_NS6_6detail15normal_iteratorINS6_10device_ptrIjEEEENSD_INSE_IsEEEENS6_16discard_iteratorINS6_11use_defaultEEESI_PmS8_NS6_8equal_toIjEEEE10hipError_tPvRmT2_T3_mT4_T5_T6_T7_T8_P12ihipStream_tbENKUlT_T0_E_clISt17integral_constantIbLb0EES16_EEDaS11_S12_EUlS11_E_NS1_11comp_targetILNS1_3genE0ELNS1_11target_archE4294967295ELNS1_3gpuE0ELNS1_3repE0EEENS1_30default_config_static_selectorELNS0_4arch9wavefront6targetE0EEEvT1_,"axG",@progbits,_ZN7rocprim17ROCPRIM_400000_NS6detail17trampoline_kernelINS0_14default_configENS1_29reduce_by_key_config_selectorIjsN6thrust23THRUST_200600_302600_NS4plusIsEEEEZZNS1_33reduce_by_key_impl_wrapped_configILNS1_25lookback_scan_determinismE0ES3_S9_NS6_6detail15normal_iteratorINS6_10device_ptrIjEEEENSD_INSE_IsEEEENS6_16discard_iteratorINS6_11use_defaultEEESI_PmS8_NS6_8equal_toIjEEEE10hipError_tPvRmT2_T3_mT4_T5_T6_T7_T8_P12ihipStream_tbENKUlT_T0_E_clISt17integral_constantIbLb0EES16_EEDaS11_S12_EUlS11_E_NS1_11comp_targetILNS1_3genE0ELNS1_11target_archE4294967295ELNS1_3gpuE0ELNS1_3repE0EEENS1_30default_config_static_selectorELNS0_4arch9wavefront6targetE0EEEvT1_,comdat
.Lfunc_end1057:
	.size	_ZN7rocprim17ROCPRIM_400000_NS6detail17trampoline_kernelINS0_14default_configENS1_29reduce_by_key_config_selectorIjsN6thrust23THRUST_200600_302600_NS4plusIsEEEEZZNS1_33reduce_by_key_impl_wrapped_configILNS1_25lookback_scan_determinismE0ES3_S9_NS6_6detail15normal_iteratorINS6_10device_ptrIjEEEENSD_INSE_IsEEEENS6_16discard_iteratorINS6_11use_defaultEEESI_PmS8_NS6_8equal_toIjEEEE10hipError_tPvRmT2_T3_mT4_T5_T6_T7_T8_P12ihipStream_tbENKUlT_T0_E_clISt17integral_constantIbLb0EES16_EEDaS11_S12_EUlS11_E_NS1_11comp_targetILNS1_3genE0ELNS1_11target_archE4294967295ELNS1_3gpuE0ELNS1_3repE0EEENS1_30default_config_static_selectorELNS0_4arch9wavefront6targetE0EEEvT1_, .Lfunc_end1057-_ZN7rocprim17ROCPRIM_400000_NS6detail17trampoline_kernelINS0_14default_configENS1_29reduce_by_key_config_selectorIjsN6thrust23THRUST_200600_302600_NS4plusIsEEEEZZNS1_33reduce_by_key_impl_wrapped_configILNS1_25lookback_scan_determinismE0ES3_S9_NS6_6detail15normal_iteratorINS6_10device_ptrIjEEEENSD_INSE_IsEEEENS6_16discard_iteratorINS6_11use_defaultEEESI_PmS8_NS6_8equal_toIjEEEE10hipError_tPvRmT2_T3_mT4_T5_T6_T7_T8_P12ihipStream_tbENKUlT_T0_E_clISt17integral_constantIbLb0EES16_EEDaS11_S12_EUlS11_E_NS1_11comp_targetILNS1_3genE0ELNS1_11target_archE4294967295ELNS1_3gpuE0ELNS1_3repE0EEENS1_30default_config_static_selectorELNS0_4arch9wavefront6targetE0EEEvT1_
                                        ; -- End function
	.section	.AMDGPU.csdata,"",@progbits
; Kernel info:
; codeLenInByte = 0
; NumSgprs: 0
; NumVgprs: 0
; ScratchSize: 0
; MemoryBound: 0
; FloatMode: 240
; IeeeMode: 1
; LDSByteSize: 0 bytes/workgroup (compile time only)
; SGPRBlocks: 0
; VGPRBlocks: 0
; NumSGPRsForWavesPerEU: 1
; NumVGPRsForWavesPerEU: 1
; Occupancy: 16
; WaveLimiterHint : 0
; COMPUTE_PGM_RSRC2:SCRATCH_EN: 0
; COMPUTE_PGM_RSRC2:USER_SGPR: 15
; COMPUTE_PGM_RSRC2:TRAP_HANDLER: 0
; COMPUTE_PGM_RSRC2:TGID_X_EN: 1
; COMPUTE_PGM_RSRC2:TGID_Y_EN: 0
; COMPUTE_PGM_RSRC2:TGID_Z_EN: 0
; COMPUTE_PGM_RSRC2:TIDIG_COMP_CNT: 0
	.section	.text._ZN7rocprim17ROCPRIM_400000_NS6detail17trampoline_kernelINS0_14default_configENS1_29reduce_by_key_config_selectorIjsN6thrust23THRUST_200600_302600_NS4plusIsEEEEZZNS1_33reduce_by_key_impl_wrapped_configILNS1_25lookback_scan_determinismE0ES3_S9_NS6_6detail15normal_iteratorINS6_10device_ptrIjEEEENSD_INSE_IsEEEENS6_16discard_iteratorINS6_11use_defaultEEESI_PmS8_NS6_8equal_toIjEEEE10hipError_tPvRmT2_T3_mT4_T5_T6_T7_T8_P12ihipStream_tbENKUlT_T0_E_clISt17integral_constantIbLb0EES16_EEDaS11_S12_EUlS11_E_NS1_11comp_targetILNS1_3genE5ELNS1_11target_archE942ELNS1_3gpuE9ELNS1_3repE0EEENS1_30default_config_static_selectorELNS0_4arch9wavefront6targetE0EEEvT1_,"axG",@progbits,_ZN7rocprim17ROCPRIM_400000_NS6detail17trampoline_kernelINS0_14default_configENS1_29reduce_by_key_config_selectorIjsN6thrust23THRUST_200600_302600_NS4plusIsEEEEZZNS1_33reduce_by_key_impl_wrapped_configILNS1_25lookback_scan_determinismE0ES3_S9_NS6_6detail15normal_iteratorINS6_10device_ptrIjEEEENSD_INSE_IsEEEENS6_16discard_iteratorINS6_11use_defaultEEESI_PmS8_NS6_8equal_toIjEEEE10hipError_tPvRmT2_T3_mT4_T5_T6_T7_T8_P12ihipStream_tbENKUlT_T0_E_clISt17integral_constantIbLb0EES16_EEDaS11_S12_EUlS11_E_NS1_11comp_targetILNS1_3genE5ELNS1_11target_archE942ELNS1_3gpuE9ELNS1_3repE0EEENS1_30default_config_static_selectorELNS0_4arch9wavefront6targetE0EEEvT1_,comdat
	.protected	_ZN7rocprim17ROCPRIM_400000_NS6detail17trampoline_kernelINS0_14default_configENS1_29reduce_by_key_config_selectorIjsN6thrust23THRUST_200600_302600_NS4plusIsEEEEZZNS1_33reduce_by_key_impl_wrapped_configILNS1_25lookback_scan_determinismE0ES3_S9_NS6_6detail15normal_iteratorINS6_10device_ptrIjEEEENSD_INSE_IsEEEENS6_16discard_iteratorINS6_11use_defaultEEESI_PmS8_NS6_8equal_toIjEEEE10hipError_tPvRmT2_T3_mT4_T5_T6_T7_T8_P12ihipStream_tbENKUlT_T0_E_clISt17integral_constantIbLb0EES16_EEDaS11_S12_EUlS11_E_NS1_11comp_targetILNS1_3genE5ELNS1_11target_archE942ELNS1_3gpuE9ELNS1_3repE0EEENS1_30default_config_static_selectorELNS0_4arch9wavefront6targetE0EEEvT1_ ; -- Begin function _ZN7rocprim17ROCPRIM_400000_NS6detail17trampoline_kernelINS0_14default_configENS1_29reduce_by_key_config_selectorIjsN6thrust23THRUST_200600_302600_NS4plusIsEEEEZZNS1_33reduce_by_key_impl_wrapped_configILNS1_25lookback_scan_determinismE0ES3_S9_NS6_6detail15normal_iteratorINS6_10device_ptrIjEEEENSD_INSE_IsEEEENS6_16discard_iteratorINS6_11use_defaultEEESI_PmS8_NS6_8equal_toIjEEEE10hipError_tPvRmT2_T3_mT4_T5_T6_T7_T8_P12ihipStream_tbENKUlT_T0_E_clISt17integral_constantIbLb0EES16_EEDaS11_S12_EUlS11_E_NS1_11comp_targetILNS1_3genE5ELNS1_11target_archE942ELNS1_3gpuE9ELNS1_3repE0EEENS1_30default_config_static_selectorELNS0_4arch9wavefront6targetE0EEEvT1_
	.globl	_ZN7rocprim17ROCPRIM_400000_NS6detail17trampoline_kernelINS0_14default_configENS1_29reduce_by_key_config_selectorIjsN6thrust23THRUST_200600_302600_NS4plusIsEEEEZZNS1_33reduce_by_key_impl_wrapped_configILNS1_25lookback_scan_determinismE0ES3_S9_NS6_6detail15normal_iteratorINS6_10device_ptrIjEEEENSD_INSE_IsEEEENS6_16discard_iteratorINS6_11use_defaultEEESI_PmS8_NS6_8equal_toIjEEEE10hipError_tPvRmT2_T3_mT4_T5_T6_T7_T8_P12ihipStream_tbENKUlT_T0_E_clISt17integral_constantIbLb0EES16_EEDaS11_S12_EUlS11_E_NS1_11comp_targetILNS1_3genE5ELNS1_11target_archE942ELNS1_3gpuE9ELNS1_3repE0EEENS1_30default_config_static_selectorELNS0_4arch9wavefront6targetE0EEEvT1_
	.p2align	8
	.type	_ZN7rocprim17ROCPRIM_400000_NS6detail17trampoline_kernelINS0_14default_configENS1_29reduce_by_key_config_selectorIjsN6thrust23THRUST_200600_302600_NS4plusIsEEEEZZNS1_33reduce_by_key_impl_wrapped_configILNS1_25lookback_scan_determinismE0ES3_S9_NS6_6detail15normal_iteratorINS6_10device_ptrIjEEEENSD_INSE_IsEEEENS6_16discard_iteratorINS6_11use_defaultEEESI_PmS8_NS6_8equal_toIjEEEE10hipError_tPvRmT2_T3_mT4_T5_T6_T7_T8_P12ihipStream_tbENKUlT_T0_E_clISt17integral_constantIbLb0EES16_EEDaS11_S12_EUlS11_E_NS1_11comp_targetILNS1_3genE5ELNS1_11target_archE942ELNS1_3gpuE9ELNS1_3repE0EEENS1_30default_config_static_selectorELNS0_4arch9wavefront6targetE0EEEvT1_,@function
_ZN7rocprim17ROCPRIM_400000_NS6detail17trampoline_kernelINS0_14default_configENS1_29reduce_by_key_config_selectorIjsN6thrust23THRUST_200600_302600_NS4plusIsEEEEZZNS1_33reduce_by_key_impl_wrapped_configILNS1_25lookback_scan_determinismE0ES3_S9_NS6_6detail15normal_iteratorINS6_10device_ptrIjEEEENSD_INSE_IsEEEENS6_16discard_iteratorINS6_11use_defaultEEESI_PmS8_NS6_8equal_toIjEEEE10hipError_tPvRmT2_T3_mT4_T5_T6_T7_T8_P12ihipStream_tbENKUlT_T0_E_clISt17integral_constantIbLb0EES16_EEDaS11_S12_EUlS11_E_NS1_11comp_targetILNS1_3genE5ELNS1_11target_archE942ELNS1_3gpuE9ELNS1_3repE0EEENS1_30default_config_static_selectorELNS0_4arch9wavefront6targetE0EEEvT1_: ; @_ZN7rocprim17ROCPRIM_400000_NS6detail17trampoline_kernelINS0_14default_configENS1_29reduce_by_key_config_selectorIjsN6thrust23THRUST_200600_302600_NS4plusIsEEEEZZNS1_33reduce_by_key_impl_wrapped_configILNS1_25lookback_scan_determinismE0ES3_S9_NS6_6detail15normal_iteratorINS6_10device_ptrIjEEEENSD_INSE_IsEEEENS6_16discard_iteratorINS6_11use_defaultEEESI_PmS8_NS6_8equal_toIjEEEE10hipError_tPvRmT2_T3_mT4_T5_T6_T7_T8_P12ihipStream_tbENKUlT_T0_E_clISt17integral_constantIbLb0EES16_EEDaS11_S12_EUlS11_E_NS1_11comp_targetILNS1_3genE5ELNS1_11target_archE942ELNS1_3gpuE9ELNS1_3repE0EEENS1_30default_config_static_selectorELNS0_4arch9wavefront6targetE0EEEvT1_
; %bb.0:
	.section	.rodata,"a",@progbits
	.p2align	6, 0x0
	.amdhsa_kernel _ZN7rocprim17ROCPRIM_400000_NS6detail17trampoline_kernelINS0_14default_configENS1_29reduce_by_key_config_selectorIjsN6thrust23THRUST_200600_302600_NS4plusIsEEEEZZNS1_33reduce_by_key_impl_wrapped_configILNS1_25lookback_scan_determinismE0ES3_S9_NS6_6detail15normal_iteratorINS6_10device_ptrIjEEEENSD_INSE_IsEEEENS6_16discard_iteratorINS6_11use_defaultEEESI_PmS8_NS6_8equal_toIjEEEE10hipError_tPvRmT2_T3_mT4_T5_T6_T7_T8_P12ihipStream_tbENKUlT_T0_E_clISt17integral_constantIbLb0EES16_EEDaS11_S12_EUlS11_E_NS1_11comp_targetILNS1_3genE5ELNS1_11target_archE942ELNS1_3gpuE9ELNS1_3repE0EEENS1_30default_config_static_selectorELNS0_4arch9wavefront6targetE0EEEvT1_
		.amdhsa_group_segment_fixed_size 0
		.amdhsa_private_segment_fixed_size 0
		.amdhsa_kernarg_size 128
		.amdhsa_user_sgpr_count 15
		.amdhsa_user_sgpr_dispatch_ptr 0
		.amdhsa_user_sgpr_queue_ptr 0
		.amdhsa_user_sgpr_kernarg_segment_ptr 1
		.amdhsa_user_sgpr_dispatch_id 0
		.amdhsa_user_sgpr_private_segment_size 0
		.amdhsa_wavefront_size32 1
		.amdhsa_uses_dynamic_stack 0
		.amdhsa_enable_private_segment 0
		.amdhsa_system_sgpr_workgroup_id_x 1
		.amdhsa_system_sgpr_workgroup_id_y 0
		.amdhsa_system_sgpr_workgroup_id_z 0
		.amdhsa_system_sgpr_workgroup_info 0
		.amdhsa_system_vgpr_workitem_id 0
		.amdhsa_next_free_vgpr 1
		.amdhsa_next_free_sgpr 1
		.amdhsa_reserve_vcc 0
		.amdhsa_float_round_mode_32 0
		.amdhsa_float_round_mode_16_64 0
		.amdhsa_float_denorm_mode_32 3
		.amdhsa_float_denorm_mode_16_64 3
		.amdhsa_dx10_clamp 1
		.amdhsa_ieee_mode 1
		.amdhsa_fp16_overflow 0
		.amdhsa_workgroup_processor_mode 1
		.amdhsa_memory_ordered 1
		.amdhsa_forward_progress 0
		.amdhsa_shared_vgpr_count 0
		.amdhsa_exception_fp_ieee_invalid_op 0
		.amdhsa_exception_fp_denorm_src 0
		.amdhsa_exception_fp_ieee_div_zero 0
		.amdhsa_exception_fp_ieee_overflow 0
		.amdhsa_exception_fp_ieee_underflow 0
		.amdhsa_exception_fp_ieee_inexact 0
		.amdhsa_exception_int_div_zero 0
	.end_amdhsa_kernel
	.section	.text._ZN7rocprim17ROCPRIM_400000_NS6detail17trampoline_kernelINS0_14default_configENS1_29reduce_by_key_config_selectorIjsN6thrust23THRUST_200600_302600_NS4plusIsEEEEZZNS1_33reduce_by_key_impl_wrapped_configILNS1_25lookback_scan_determinismE0ES3_S9_NS6_6detail15normal_iteratorINS6_10device_ptrIjEEEENSD_INSE_IsEEEENS6_16discard_iteratorINS6_11use_defaultEEESI_PmS8_NS6_8equal_toIjEEEE10hipError_tPvRmT2_T3_mT4_T5_T6_T7_T8_P12ihipStream_tbENKUlT_T0_E_clISt17integral_constantIbLb0EES16_EEDaS11_S12_EUlS11_E_NS1_11comp_targetILNS1_3genE5ELNS1_11target_archE942ELNS1_3gpuE9ELNS1_3repE0EEENS1_30default_config_static_selectorELNS0_4arch9wavefront6targetE0EEEvT1_,"axG",@progbits,_ZN7rocprim17ROCPRIM_400000_NS6detail17trampoline_kernelINS0_14default_configENS1_29reduce_by_key_config_selectorIjsN6thrust23THRUST_200600_302600_NS4plusIsEEEEZZNS1_33reduce_by_key_impl_wrapped_configILNS1_25lookback_scan_determinismE0ES3_S9_NS6_6detail15normal_iteratorINS6_10device_ptrIjEEEENSD_INSE_IsEEEENS6_16discard_iteratorINS6_11use_defaultEEESI_PmS8_NS6_8equal_toIjEEEE10hipError_tPvRmT2_T3_mT4_T5_T6_T7_T8_P12ihipStream_tbENKUlT_T0_E_clISt17integral_constantIbLb0EES16_EEDaS11_S12_EUlS11_E_NS1_11comp_targetILNS1_3genE5ELNS1_11target_archE942ELNS1_3gpuE9ELNS1_3repE0EEENS1_30default_config_static_selectorELNS0_4arch9wavefront6targetE0EEEvT1_,comdat
.Lfunc_end1058:
	.size	_ZN7rocprim17ROCPRIM_400000_NS6detail17trampoline_kernelINS0_14default_configENS1_29reduce_by_key_config_selectorIjsN6thrust23THRUST_200600_302600_NS4plusIsEEEEZZNS1_33reduce_by_key_impl_wrapped_configILNS1_25lookback_scan_determinismE0ES3_S9_NS6_6detail15normal_iteratorINS6_10device_ptrIjEEEENSD_INSE_IsEEEENS6_16discard_iteratorINS6_11use_defaultEEESI_PmS8_NS6_8equal_toIjEEEE10hipError_tPvRmT2_T3_mT4_T5_T6_T7_T8_P12ihipStream_tbENKUlT_T0_E_clISt17integral_constantIbLb0EES16_EEDaS11_S12_EUlS11_E_NS1_11comp_targetILNS1_3genE5ELNS1_11target_archE942ELNS1_3gpuE9ELNS1_3repE0EEENS1_30default_config_static_selectorELNS0_4arch9wavefront6targetE0EEEvT1_, .Lfunc_end1058-_ZN7rocprim17ROCPRIM_400000_NS6detail17trampoline_kernelINS0_14default_configENS1_29reduce_by_key_config_selectorIjsN6thrust23THRUST_200600_302600_NS4plusIsEEEEZZNS1_33reduce_by_key_impl_wrapped_configILNS1_25lookback_scan_determinismE0ES3_S9_NS6_6detail15normal_iteratorINS6_10device_ptrIjEEEENSD_INSE_IsEEEENS6_16discard_iteratorINS6_11use_defaultEEESI_PmS8_NS6_8equal_toIjEEEE10hipError_tPvRmT2_T3_mT4_T5_T6_T7_T8_P12ihipStream_tbENKUlT_T0_E_clISt17integral_constantIbLb0EES16_EEDaS11_S12_EUlS11_E_NS1_11comp_targetILNS1_3genE5ELNS1_11target_archE942ELNS1_3gpuE9ELNS1_3repE0EEENS1_30default_config_static_selectorELNS0_4arch9wavefront6targetE0EEEvT1_
                                        ; -- End function
	.section	.AMDGPU.csdata,"",@progbits
; Kernel info:
; codeLenInByte = 0
; NumSgprs: 0
; NumVgprs: 0
; ScratchSize: 0
; MemoryBound: 0
; FloatMode: 240
; IeeeMode: 1
; LDSByteSize: 0 bytes/workgroup (compile time only)
; SGPRBlocks: 0
; VGPRBlocks: 0
; NumSGPRsForWavesPerEU: 1
; NumVGPRsForWavesPerEU: 1
; Occupancy: 16
; WaveLimiterHint : 0
; COMPUTE_PGM_RSRC2:SCRATCH_EN: 0
; COMPUTE_PGM_RSRC2:USER_SGPR: 15
; COMPUTE_PGM_RSRC2:TRAP_HANDLER: 0
; COMPUTE_PGM_RSRC2:TGID_X_EN: 1
; COMPUTE_PGM_RSRC2:TGID_Y_EN: 0
; COMPUTE_PGM_RSRC2:TGID_Z_EN: 0
; COMPUTE_PGM_RSRC2:TIDIG_COMP_CNT: 0
	.section	.text._ZN7rocprim17ROCPRIM_400000_NS6detail17trampoline_kernelINS0_14default_configENS1_29reduce_by_key_config_selectorIjsN6thrust23THRUST_200600_302600_NS4plusIsEEEEZZNS1_33reduce_by_key_impl_wrapped_configILNS1_25lookback_scan_determinismE0ES3_S9_NS6_6detail15normal_iteratorINS6_10device_ptrIjEEEENSD_INSE_IsEEEENS6_16discard_iteratorINS6_11use_defaultEEESI_PmS8_NS6_8equal_toIjEEEE10hipError_tPvRmT2_T3_mT4_T5_T6_T7_T8_P12ihipStream_tbENKUlT_T0_E_clISt17integral_constantIbLb0EES16_EEDaS11_S12_EUlS11_E_NS1_11comp_targetILNS1_3genE4ELNS1_11target_archE910ELNS1_3gpuE8ELNS1_3repE0EEENS1_30default_config_static_selectorELNS0_4arch9wavefront6targetE0EEEvT1_,"axG",@progbits,_ZN7rocprim17ROCPRIM_400000_NS6detail17trampoline_kernelINS0_14default_configENS1_29reduce_by_key_config_selectorIjsN6thrust23THRUST_200600_302600_NS4plusIsEEEEZZNS1_33reduce_by_key_impl_wrapped_configILNS1_25lookback_scan_determinismE0ES3_S9_NS6_6detail15normal_iteratorINS6_10device_ptrIjEEEENSD_INSE_IsEEEENS6_16discard_iteratorINS6_11use_defaultEEESI_PmS8_NS6_8equal_toIjEEEE10hipError_tPvRmT2_T3_mT4_T5_T6_T7_T8_P12ihipStream_tbENKUlT_T0_E_clISt17integral_constantIbLb0EES16_EEDaS11_S12_EUlS11_E_NS1_11comp_targetILNS1_3genE4ELNS1_11target_archE910ELNS1_3gpuE8ELNS1_3repE0EEENS1_30default_config_static_selectorELNS0_4arch9wavefront6targetE0EEEvT1_,comdat
	.protected	_ZN7rocprim17ROCPRIM_400000_NS6detail17trampoline_kernelINS0_14default_configENS1_29reduce_by_key_config_selectorIjsN6thrust23THRUST_200600_302600_NS4plusIsEEEEZZNS1_33reduce_by_key_impl_wrapped_configILNS1_25lookback_scan_determinismE0ES3_S9_NS6_6detail15normal_iteratorINS6_10device_ptrIjEEEENSD_INSE_IsEEEENS6_16discard_iteratorINS6_11use_defaultEEESI_PmS8_NS6_8equal_toIjEEEE10hipError_tPvRmT2_T3_mT4_T5_T6_T7_T8_P12ihipStream_tbENKUlT_T0_E_clISt17integral_constantIbLb0EES16_EEDaS11_S12_EUlS11_E_NS1_11comp_targetILNS1_3genE4ELNS1_11target_archE910ELNS1_3gpuE8ELNS1_3repE0EEENS1_30default_config_static_selectorELNS0_4arch9wavefront6targetE0EEEvT1_ ; -- Begin function _ZN7rocprim17ROCPRIM_400000_NS6detail17trampoline_kernelINS0_14default_configENS1_29reduce_by_key_config_selectorIjsN6thrust23THRUST_200600_302600_NS4plusIsEEEEZZNS1_33reduce_by_key_impl_wrapped_configILNS1_25lookback_scan_determinismE0ES3_S9_NS6_6detail15normal_iteratorINS6_10device_ptrIjEEEENSD_INSE_IsEEEENS6_16discard_iteratorINS6_11use_defaultEEESI_PmS8_NS6_8equal_toIjEEEE10hipError_tPvRmT2_T3_mT4_T5_T6_T7_T8_P12ihipStream_tbENKUlT_T0_E_clISt17integral_constantIbLb0EES16_EEDaS11_S12_EUlS11_E_NS1_11comp_targetILNS1_3genE4ELNS1_11target_archE910ELNS1_3gpuE8ELNS1_3repE0EEENS1_30default_config_static_selectorELNS0_4arch9wavefront6targetE0EEEvT1_
	.globl	_ZN7rocprim17ROCPRIM_400000_NS6detail17trampoline_kernelINS0_14default_configENS1_29reduce_by_key_config_selectorIjsN6thrust23THRUST_200600_302600_NS4plusIsEEEEZZNS1_33reduce_by_key_impl_wrapped_configILNS1_25lookback_scan_determinismE0ES3_S9_NS6_6detail15normal_iteratorINS6_10device_ptrIjEEEENSD_INSE_IsEEEENS6_16discard_iteratorINS6_11use_defaultEEESI_PmS8_NS6_8equal_toIjEEEE10hipError_tPvRmT2_T3_mT4_T5_T6_T7_T8_P12ihipStream_tbENKUlT_T0_E_clISt17integral_constantIbLb0EES16_EEDaS11_S12_EUlS11_E_NS1_11comp_targetILNS1_3genE4ELNS1_11target_archE910ELNS1_3gpuE8ELNS1_3repE0EEENS1_30default_config_static_selectorELNS0_4arch9wavefront6targetE0EEEvT1_
	.p2align	8
	.type	_ZN7rocprim17ROCPRIM_400000_NS6detail17trampoline_kernelINS0_14default_configENS1_29reduce_by_key_config_selectorIjsN6thrust23THRUST_200600_302600_NS4plusIsEEEEZZNS1_33reduce_by_key_impl_wrapped_configILNS1_25lookback_scan_determinismE0ES3_S9_NS6_6detail15normal_iteratorINS6_10device_ptrIjEEEENSD_INSE_IsEEEENS6_16discard_iteratorINS6_11use_defaultEEESI_PmS8_NS6_8equal_toIjEEEE10hipError_tPvRmT2_T3_mT4_T5_T6_T7_T8_P12ihipStream_tbENKUlT_T0_E_clISt17integral_constantIbLb0EES16_EEDaS11_S12_EUlS11_E_NS1_11comp_targetILNS1_3genE4ELNS1_11target_archE910ELNS1_3gpuE8ELNS1_3repE0EEENS1_30default_config_static_selectorELNS0_4arch9wavefront6targetE0EEEvT1_,@function
_ZN7rocprim17ROCPRIM_400000_NS6detail17trampoline_kernelINS0_14default_configENS1_29reduce_by_key_config_selectorIjsN6thrust23THRUST_200600_302600_NS4plusIsEEEEZZNS1_33reduce_by_key_impl_wrapped_configILNS1_25lookback_scan_determinismE0ES3_S9_NS6_6detail15normal_iteratorINS6_10device_ptrIjEEEENSD_INSE_IsEEEENS6_16discard_iteratorINS6_11use_defaultEEESI_PmS8_NS6_8equal_toIjEEEE10hipError_tPvRmT2_T3_mT4_T5_T6_T7_T8_P12ihipStream_tbENKUlT_T0_E_clISt17integral_constantIbLb0EES16_EEDaS11_S12_EUlS11_E_NS1_11comp_targetILNS1_3genE4ELNS1_11target_archE910ELNS1_3gpuE8ELNS1_3repE0EEENS1_30default_config_static_selectorELNS0_4arch9wavefront6targetE0EEEvT1_: ; @_ZN7rocprim17ROCPRIM_400000_NS6detail17trampoline_kernelINS0_14default_configENS1_29reduce_by_key_config_selectorIjsN6thrust23THRUST_200600_302600_NS4plusIsEEEEZZNS1_33reduce_by_key_impl_wrapped_configILNS1_25lookback_scan_determinismE0ES3_S9_NS6_6detail15normal_iteratorINS6_10device_ptrIjEEEENSD_INSE_IsEEEENS6_16discard_iteratorINS6_11use_defaultEEESI_PmS8_NS6_8equal_toIjEEEE10hipError_tPvRmT2_T3_mT4_T5_T6_T7_T8_P12ihipStream_tbENKUlT_T0_E_clISt17integral_constantIbLb0EES16_EEDaS11_S12_EUlS11_E_NS1_11comp_targetILNS1_3genE4ELNS1_11target_archE910ELNS1_3gpuE8ELNS1_3repE0EEENS1_30default_config_static_selectorELNS0_4arch9wavefront6targetE0EEEvT1_
; %bb.0:
	.section	.rodata,"a",@progbits
	.p2align	6, 0x0
	.amdhsa_kernel _ZN7rocprim17ROCPRIM_400000_NS6detail17trampoline_kernelINS0_14default_configENS1_29reduce_by_key_config_selectorIjsN6thrust23THRUST_200600_302600_NS4plusIsEEEEZZNS1_33reduce_by_key_impl_wrapped_configILNS1_25lookback_scan_determinismE0ES3_S9_NS6_6detail15normal_iteratorINS6_10device_ptrIjEEEENSD_INSE_IsEEEENS6_16discard_iteratorINS6_11use_defaultEEESI_PmS8_NS6_8equal_toIjEEEE10hipError_tPvRmT2_T3_mT4_T5_T6_T7_T8_P12ihipStream_tbENKUlT_T0_E_clISt17integral_constantIbLb0EES16_EEDaS11_S12_EUlS11_E_NS1_11comp_targetILNS1_3genE4ELNS1_11target_archE910ELNS1_3gpuE8ELNS1_3repE0EEENS1_30default_config_static_selectorELNS0_4arch9wavefront6targetE0EEEvT1_
		.amdhsa_group_segment_fixed_size 0
		.amdhsa_private_segment_fixed_size 0
		.amdhsa_kernarg_size 128
		.amdhsa_user_sgpr_count 15
		.amdhsa_user_sgpr_dispatch_ptr 0
		.amdhsa_user_sgpr_queue_ptr 0
		.amdhsa_user_sgpr_kernarg_segment_ptr 1
		.amdhsa_user_sgpr_dispatch_id 0
		.amdhsa_user_sgpr_private_segment_size 0
		.amdhsa_wavefront_size32 1
		.amdhsa_uses_dynamic_stack 0
		.amdhsa_enable_private_segment 0
		.amdhsa_system_sgpr_workgroup_id_x 1
		.amdhsa_system_sgpr_workgroup_id_y 0
		.amdhsa_system_sgpr_workgroup_id_z 0
		.amdhsa_system_sgpr_workgroup_info 0
		.amdhsa_system_vgpr_workitem_id 0
		.amdhsa_next_free_vgpr 1
		.amdhsa_next_free_sgpr 1
		.amdhsa_reserve_vcc 0
		.amdhsa_float_round_mode_32 0
		.amdhsa_float_round_mode_16_64 0
		.amdhsa_float_denorm_mode_32 3
		.amdhsa_float_denorm_mode_16_64 3
		.amdhsa_dx10_clamp 1
		.amdhsa_ieee_mode 1
		.amdhsa_fp16_overflow 0
		.amdhsa_workgroup_processor_mode 1
		.amdhsa_memory_ordered 1
		.amdhsa_forward_progress 0
		.amdhsa_shared_vgpr_count 0
		.amdhsa_exception_fp_ieee_invalid_op 0
		.amdhsa_exception_fp_denorm_src 0
		.amdhsa_exception_fp_ieee_div_zero 0
		.amdhsa_exception_fp_ieee_overflow 0
		.amdhsa_exception_fp_ieee_underflow 0
		.amdhsa_exception_fp_ieee_inexact 0
		.amdhsa_exception_int_div_zero 0
	.end_amdhsa_kernel
	.section	.text._ZN7rocprim17ROCPRIM_400000_NS6detail17trampoline_kernelINS0_14default_configENS1_29reduce_by_key_config_selectorIjsN6thrust23THRUST_200600_302600_NS4plusIsEEEEZZNS1_33reduce_by_key_impl_wrapped_configILNS1_25lookback_scan_determinismE0ES3_S9_NS6_6detail15normal_iteratorINS6_10device_ptrIjEEEENSD_INSE_IsEEEENS6_16discard_iteratorINS6_11use_defaultEEESI_PmS8_NS6_8equal_toIjEEEE10hipError_tPvRmT2_T3_mT4_T5_T6_T7_T8_P12ihipStream_tbENKUlT_T0_E_clISt17integral_constantIbLb0EES16_EEDaS11_S12_EUlS11_E_NS1_11comp_targetILNS1_3genE4ELNS1_11target_archE910ELNS1_3gpuE8ELNS1_3repE0EEENS1_30default_config_static_selectorELNS0_4arch9wavefront6targetE0EEEvT1_,"axG",@progbits,_ZN7rocprim17ROCPRIM_400000_NS6detail17trampoline_kernelINS0_14default_configENS1_29reduce_by_key_config_selectorIjsN6thrust23THRUST_200600_302600_NS4plusIsEEEEZZNS1_33reduce_by_key_impl_wrapped_configILNS1_25lookback_scan_determinismE0ES3_S9_NS6_6detail15normal_iteratorINS6_10device_ptrIjEEEENSD_INSE_IsEEEENS6_16discard_iteratorINS6_11use_defaultEEESI_PmS8_NS6_8equal_toIjEEEE10hipError_tPvRmT2_T3_mT4_T5_T6_T7_T8_P12ihipStream_tbENKUlT_T0_E_clISt17integral_constantIbLb0EES16_EEDaS11_S12_EUlS11_E_NS1_11comp_targetILNS1_3genE4ELNS1_11target_archE910ELNS1_3gpuE8ELNS1_3repE0EEENS1_30default_config_static_selectorELNS0_4arch9wavefront6targetE0EEEvT1_,comdat
.Lfunc_end1059:
	.size	_ZN7rocprim17ROCPRIM_400000_NS6detail17trampoline_kernelINS0_14default_configENS1_29reduce_by_key_config_selectorIjsN6thrust23THRUST_200600_302600_NS4plusIsEEEEZZNS1_33reduce_by_key_impl_wrapped_configILNS1_25lookback_scan_determinismE0ES3_S9_NS6_6detail15normal_iteratorINS6_10device_ptrIjEEEENSD_INSE_IsEEEENS6_16discard_iteratorINS6_11use_defaultEEESI_PmS8_NS6_8equal_toIjEEEE10hipError_tPvRmT2_T3_mT4_T5_T6_T7_T8_P12ihipStream_tbENKUlT_T0_E_clISt17integral_constantIbLb0EES16_EEDaS11_S12_EUlS11_E_NS1_11comp_targetILNS1_3genE4ELNS1_11target_archE910ELNS1_3gpuE8ELNS1_3repE0EEENS1_30default_config_static_selectorELNS0_4arch9wavefront6targetE0EEEvT1_, .Lfunc_end1059-_ZN7rocprim17ROCPRIM_400000_NS6detail17trampoline_kernelINS0_14default_configENS1_29reduce_by_key_config_selectorIjsN6thrust23THRUST_200600_302600_NS4plusIsEEEEZZNS1_33reduce_by_key_impl_wrapped_configILNS1_25lookback_scan_determinismE0ES3_S9_NS6_6detail15normal_iteratorINS6_10device_ptrIjEEEENSD_INSE_IsEEEENS6_16discard_iteratorINS6_11use_defaultEEESI_PmS8_NS6_8equal_toIjEEEE10hipError_tPvRmT2_T3_mT4_T5_T6_T7_T8_P12ihipStream_tbENKUlT_T0_E_clISt17integral_constantIbLb0EES16_EEDaS11_S12_EUlS11_E_NS1_11comp_targetILNS1_3genE4ELNS1_11target_archE910ELNS1_3gpuE8ELNS1_3repE0EEENS1_30default_config_static_selectorELNS0_4arch9wavefront6targetE0EEEvT1_
                                        ; -- End function
	.section	.AMDGPU.csdata,"",@progbits
; Kernel info:
; codeLenInByte = 0
; NumSgprs: 0
; NumVgprs: 0
; ScratchSize: 0
; MemoryBound: 0
; FloatMode: 240
; IeeeMode: 1
; LDSByteSize: 0 bytes/workgroup (compile time only)
; SGPRBlocks: 0
; VGPRBlocks: 0
; NumSGPRsForWavesPerEU: 1
; NumVGPRsForWavesPerEU: 1
; Occupancy: 16
; WaveLimiterHint : 0
; COMPUTE_PGM_RSRC2:SCRATCH_EN: 0
; COMPUTE_PGM_RSRC2:USER_SGPR: 15
; COMPUTE_PGM_RSRC2:TRAP_HANDLER: 0
; COMPUTE_PGM_RSRC2:TGID_X_EN: 1
; COMPUTE_PGM_RSRC2:TGID_Y_EN: 0
; COMPUTE_PGM_RSRC2:TGID_Z_EN: 0
; COMPUTE_PGM_RSRC2:TIDIG_COMP_CNT: 0
	.section	.text._ZN7rocprim17ROCPRIM_400000_NS6detail17trampoline_kernelINS0_14default_configENS1_29reduce_by_key_config_selectorIjsN6thrust23THRUST_200600_302600_NS4plusIsEEEEZZNS1_33reduce_by_key_impl_wrapped_configILNS1_25lookback_scan_determinismE0ES3_S9_NS6_6detail15normal_iteratorINS6_10device_ptrIjEEEENSD_INSE_IsEEEENS6_16discard_iteratorINS6_11use_defaultEEESI_PmS8_NS6_8equal_toIjEEEE10hipError_tPvRmT2_T3_mT4_T5_T6_T7_T8_P12ihipStream_tbENKUlT_T0_E_clISt17integral_constantIbLb0EES16_EEDaS11_S12_EUlS11_E_NS1_11comp_targetILNS1_3genE3ELNS1_11target_archE908ELNS1_3gpuE7ELNS1_3repE0EEENS1_30default_config_static_selectorELNS0_4arch9wavefront6targetE0EEEvT1_,"axG",@progbits,_ZN7rocprim17ROCPRIM_400000_NS6detail17trampoline_kernelINS0_14default_configENS1_29reduce_by_key_config_selectorIjsN6thrust23THRUST_200600_302600_NS4plusIsEEEEZZNS1_33reduce_by_key_impl_wrapped_configILNS1_25lookback_scan_determinismE0ES3_S9_NS6_6detail15normal_iteratorINS6_10device_ptrIjEEEENSD_INSE_IsEEEENS6_16discard_iteratorINS6_11use_defaultEEESI_PmS8_NS6_8equal_toIjEEEE10hipError_tPvRmT2_T3_mT4_T5_T6_T7_T8_P12ihipStream_tbENKUlT_T0_E_clISt17integral_constantIbLb0EES16_EEDaS11_S12_EUlS11_E_NS1_11comp_targetILNS1_3genE3ELNS1_11target_archE908ELNS1_3gpuE7ELNS1_3repE0EEENS1_30default_config_static_selectorELNS0_4arch9wavefront6targetE0EEEvT1_,comdat
	.protected	_ZN7rocprim17ROCPRIM_400000_NS6detail17trampoline_kernelINS0_14default_configENS1_29reduce_by_key_config_selectorIjsN6thrust23THRUST_200600_302600_NS4plusIsEEEEZZNS1_33reduce_by_key_impl_wrapped_configILNS1_25lookback_scan_determinismE0ES3_S9_NS6_6detail15normal_iteratorINS6_10device_ptrIjEEEENSD_INSE_IsEEEENS6_16discard_iteratorINS6_11use_defaultEEESI_PmS8_NS6_8equal_toIjEEEE10hipError_tPvRmT2_T3_mT4_T5_T6_T7_T8_P12ihipStream_tbENKUlT_T0_E_clISt17integral_constantIbLb0EES16_EEDaS11_S12_EUlS11_E_NS1_11comp_targetILNS1_3genE3ELNS1_11target_archE908ELNS1_3gpuE7ELNS1_3repE0EEENS1_30default_config_static_selectorELNS0_4arch9wavefront6targetE0EEEvT1_ ; -- Begin function _ZN7rocprim17ROCPRIM_400000_NS6detail17trampoline_kernelINS0_14default_configENS1_29reduce_by_key_config_selectorIjsN6thrust23THRUST_200600_302600_NS4plusIsEEEEZZNS1_33reduce_by_key_impl_wrapped_configILNS1_25lookback_scan_determinismE0ES3_S9_NS6_6detail15normal_iteratorINS6_10device_ptrIjEEEENSD_INSE_IsEEEENS6_16discard_iteratorINS6_11use_defaultEEESI_PmS8_NS6_8equal_toIjEEEE10hipError_tPvRmT2_T3_mT4_T5_T6_T7_T8_P12ihipStream_tbENKUlT_T0_E_clISt17integral_constantIbLb0EES16_EEDaS11_S12_EUlS11_E_NS1_11comp_targetILNS1_3genE3ELNS1_11target_archE908ELNS1_3gpuE7ELNS1_3repE0EEENS1_30default_config_static_selectorELNS0_4arch9wavefront6targetE0EEEvT1_
	.globl	_ZN7rocprim17ROCPRIM_400000_NS6detail17trampoline_kernelINS0_14default_configENS1_29reduce_by_key_config_selectorIjsN6thrust23THRUST_200600_302600_NS4plusIsEEEEZZNS1_33reduce_by_key_impl_wrapped_configILNS1_25lookback_scan_determinismE0ES3_S9_NS6_6detail15normal_iteratorINS6_10device_ptrIjEEEENSD_INSE_IsEEEENS6_16discard_iteratorINS6_11use_defaultEEESI_PmS8_NS6_8equal_toIjEEEE10hipError_tPvRmT2_T3_mT4_T5_T6_T7_T8_P12ihipStream_tbENKUlT_T0_E_clISt17integral_constantIbLb0EES16_EEDaS11_S12_EUlS11_E_NS1_11comp_targetILNS1_3genE3ELNS1_11target_archE908ELNS1_3gpuE7ELNS1_3repE0EEENS1_30default_config_static_selectorELNS0_4arch9wavefront6targetE0EEEvT1_
	.p2align	8
	.type	_ZN7rocprim17ROCPRIM_400000_NS6detail17trampoline_kernelINS0_14default_configENS1_29reduce_by_key_config_selectorIjsN6thrust23THRUST_200600_302600_NS4plusIsEEEEZZNS1_33reduce_by_key_impl_wrapped_configILNS1_25lookback_scan_determinismE0ES3_S9_NS6_6detail15normal_iteratorINS6_10device_ptrIjEEEENSD_INSE_IsEEEENS6_16discard_iteratorINS6_11use_defaultEEESI_PmS8_NS6_8equal_toIjEEEE10hipError_tPvRmT2_T3_mT4_T5_T6_T7_T8_P12ihipStream_tbENKUlT_T0_E_clISt17integral_constantIbLb0EES16_EEDaS11_S12_EUlS11_E_NS1_11comp_targetILNS1_3genE3ELNS1_11target_archE908ELNS1_3gpuE7ELNS1_3repE0EEENS1_30default_config_static_selectorELNS0_4arch9wavefront6targetE0EEEvT1_,@function
_ZN7rocprim17ROCPRIM_400000_NS6detail17trampoline_kernelINS0_14default_configENS1_29reduce_by_key_config_selectorIjsN6thrust23THRUST_200600_302600_NS4plusIsEEEEZZNS1_33reduce_by_key_impl_wrapped_configILNS1_25lookback_scan_determinismE0ES3_S9_NS6_6detail15normal_iteratorINS6_10device_ptrIjEEEENSD_INSE_IsEEEENS6_16discard_iteratorINS6_11use_defaultEEESI_PmS8_NS6_8equal_toIjEEEE10hipError_tPvRmT2_T3_mT4_T5_T6_T7_T8_P12ihipStream_tbENKUlT_T0_E_clISt17integral_constantIbLb0EES16_EEDaS11_S12_EUlS11_E_NS1_11comp_targetILNS1_3genE3ELNS1_11target_archE908ELNS1_3gpuE7ELNS1_3repE0EEENS1_30default_config_static_selectorELNS0_4arch9wavefront6targetE0EEEvT1_: ; @_ZN7rocprim17ROCPRIM_400000_NS6detail17trampoline_kernelINS0_14default_configENS1_29reduce_by_key_config_selectorIjsN6thrust23THRUST_200600_302600_NS4plusIsEEEEZZNS1_33reduce_by_key_impl_wrapped_configILNS1_25lookback_scan_determinismE0ES3_S9_NS6_6detail15normal_iteratorINS6_10device_ptrIjEEEENSD_INSE_IsEEEENS6_16discard_iteratorINS6_11use_defaultEEESI_PmS8_NS6_8equal_toIjEEEE10hipError_tPvRmT2_T3_mT4_T5_T6_T7_T8_P12ihipStream_tbENKUlT_T0_E_clISt17integral_constantIbLb0EES16_EEDaS11_S12_EUlS11_E_NS1_11comp_targetILNS1_3genE3ELNS1_11target_archE908ELNS1_3gpuE7ELNS1_3repE0EEENS1_30default_config_static_selectorELNS0_4arch9wavefront6targetE0EEEvT1_
; %bb.0:
	.section	.rodata,"a",@progbits
	.p2align	6, 0x0
	.amdhsa_kernel _ZN7rocprim17ROCPRIM_400000_NS6detail17trampoline_kernelINS0_14default_configENS1_29reduce_by_key_config_selectorIjsN6thrust23THRUST_200600_302600_NS4plusIsEEEEZZNS1_33reduce_by_key_impl_wrapped_configILNS1_25lookback_scan_determinismE0ES3_S9_NS6_6detail15normal_iteratorINS6_10device_ptrIjEEEENSD_INSE_IsEEEENS6_16discard_iteratorINS6_11use_defaultEEESI_PmS8_NS6_8equal_toIjEEEE10hipError_tPvRmT2_T3_mT4_T5_T6_T7_T8_P12ihipStream_tbENKUlT_T0_E_clISt17integral_constantIbLb0EES16_EEDaS11_S12_EUlS11_E_NS1_11comp_targetILNS1_3genE3ELNS1_11target_archE908ELNS1_3gpuE7ELNS1_3repE0EEENS1_30default_config_static_selectorELNS0_4arch9wavefront6targetE0EEEvT1_
		.amdhsa_group_segment_fixed_size 0
		.amdhsa_private_segment_fixed_size 0
		.amdhsa_kernarg_size 128
		.amdhsa_user_sgpr_count 15
		.amdhsa_user_sgpr_dispatch_ptr 0
		.amdhsa_user_sgpr_queue_ptr 0
		.amdhsa_user_sgpr_kernarg_segment_ptr 1
		.amdhsa_user_sgpr_dispatch_id 0
		.amdhsa_user_sgpr_private_segment_size 0
		.amdhsa_wavefront_size32 1
		.amdhsa_uses_dynamic_stack 0
		.amdhsa_enable_private_segment 0
		.amdhsa_system_sgpr_workgroup_id_x 1
		.amdhsa_system_sgpr_workgroup_id_y 0
		.amdhsa_system_sgpr_workgroup_id_z 0
		.amdhsa_system_sgpr_workgroup_info 0
		.amdhsa_system_vgpr_workitem_id 0
		.amdhsa_next_free_vgpr 1
		.amdhsa_next_free_sgpr 1
		.amdhsa_reserve_vcc 0
		.amdhsa_float_round_mode_32 0
		.amdhsa_float_round_mode_16_64 0
		.amdhsa_float_denorm_mode_32 3
		.amdhsa_float_denorm_mode_16_64 3
		.amdhsa_dx10_clamp 1
		.amdhsa_ieee_mode 1
		.amdhsa_fp16_overflow 0
		.amdhsa_workgroup_processor_mode 1
		.amdhsa_memory_ordered 1
		.amdhsa_forward_progress 0
		.amdhsa_shared_vgpr_count 0
		.amdhsa_exception_fp_ieee_invalid_op 0
		.amdhsa_exception_fp_denorm_src 0
		.amdhsa_exception_fp_ieee_div_zero 0
		.amdhsa_exception_fp_ieee_overflow 0
		.amdhsa_exception_fp_ieee_underflow 0
		.amdhsa_exception_fp_ieee_inexact 0
		.amdhsa_exception_int_div_zero 0
	.end_amdhsa_kernel
	.section	.text._ZN7rocprim17ROCPRIM_400000_NS6detail17trampoline_kernelINS0_14default_configENS1_29reduce_by_key_config_selectorIjsN6thrust23THRUST_200600_302600_NS4plusIsEEEEZZNS1_33reduce_by_key_impl_wrapped_configILNS1_25lookback_scan_determinismE0ES3_S9_NS6_6detail15normal_iteratorINS6_10device_ptrIjEEEENSD_INSE_IsEEEENS6_16discard_iteratorINS6_11use_defaultEEESI_PmS8_NS6_8equal_toIjEEEE10hipError_tPvRmT2_T3_mT4_T5_T6_T7_T8_P12ihipStream_tbENKUlT_T0_E_clISt17integral_constantIbLb0EES16_EEDaS11_S12_EUlS11_E_NS1_11comp_targetILNS1_3genE3ELNS1_11target_archE908ELNS1_3gpuE7ELNS1_3repE0EEENS1_30default_config_static_selectorELNS0_4arch9wavefront6targetE0EEEvT1_,"axG",@progbits,_ZN7rocprim17ROCPRIM_400000_NS6detail17trampoline_kernelINS0_14default_configENS1_29reduce_by_key_config_selectorIjsN6thrust23THRUST_200600_302600_NS4plusIsEEEEZZNS1_33reduce_by_key_impl_wrapped_configILNS1_25lookback_scan_determinismE0ES3_S9_NS6_6detail15normal_iteratorINS6_10device_ptrIjEEEENSD_INSE_IsEEEENS6_16discard_iteratorINS6_11use_defaultEEESI_PmS8_NS6_8equal_toIjEEEE10hipError_tPvRmT2_T3_mT4_T5_T6_T7_T8_P12ihipStream_tbENKUlT_T0_E_clISt17integral_constantIbLb0EES16_EEDaS11_S12_EUlS11_E_NS1_11comp_targetILNS1_3genE3ELNS1_11target_archE908ELNS1_3gpuE7ELNS1_3repE0EEENS1_30default_config_static_selectorELNS0_4arch9wavefront6targetE0EEEvT1_,comdat
.Lfunc_end1060:
	.size	_ZN7rocprim17ROCPRIM_400000_NS6detail17trampoline_kernelINS0_14default_configENS1_29reduce_by_key_config_selectorIjsN6thrust23THRUST_200600_302600_NS4plusIsEEEEZZNS1_33reduce_by_key_impl_wrapped_configILNS1_25lookback_scan_determinismE0ES3_S9_NS6_6detail15normal_iteratorINS6_10device_ptrIjEEEENSD_INSE_IsEEEENS6_16discard_iteratorINS6_11use_defaultEEESI_PmS8_NS6_8equal_toIjEEEE10hipError_tPvRmT2_T3_mT4_T5_T6_T7_T8_P12ihipStream_tbENKUlT_T0_E_clISt17integral_constantIbLb0EES16_EEDaS11_S12_EUlS11_E_NS1_11comp_targetILNS1_3genE3ELNS1_11target_archE908ELNS1_3gpuE7ELNS1_3repE0EEENS1_30default_config_static_selectorELNS0_4arch9wavefront6targetE0EEEvT1_, .Lfunc_end1060-_ZN7rocprim17ROCPRIM_400000_NS6detail17trampoline_kernelINS0_14default_configENS1_29reduce_by_key_config_selectorIjsN6thrust23THRUST_200600_302600_NS4plusIsEEEEZZNS1_33reduce_by_key_impl_wrapped_configILNS1_25lookback_scan_determinismE0ES3_S9_NS6_6detail15normal_iteratorINS6_10device_ptrIjEEEENSD_INSE_IsEEEENS6_16discard_iteratorINS6_11use_defaultEEESI_PmS8_NS6_8equal_toIjEEEE10hipError_tPvRmT2_T3_mT4_T5_T6_T7_T8_P12ihipStream_tbENKUlT_T0_E_clISt17integral_constantIbLb0EES16_EEDaS11_S12_EUlS11_E_NS1_11comp_targetILNS1_3genE3ELNS1_11target_archE908ELNS1_3gpuE7ELNS1_3repE0EEENS1_30default_config_static_selectorELNS0_4arch9wavefront6targetE0EEEvT1_
                                        ; -- End function
	.section	.AMDGPU.csdata,"",@progbits
; Kernel info:
; codeLenInByte = 0
; NumSgprs: 0
; NumVgprs: 0
; ScratchSize: 0
; MemoryBound: 0
; FloatMode: 240
; IeeeMode: 1
; LDSByteSize: 0 bytes/workgroup (compile time only)
; SGPRBlocks: 0
; VGPRBlocks: 0
; NumSGPRsForWavesPerEU: 1
; NumVGPRsForWavesPerEU: 1
; Occupancy: 16
; WaveLimiterHint : 0
; COMPUTE_PGM_RSRC2:SCRATCH_EN: 0
; COMPUTE_PGM_RSRC2:USER_SGPR: 15
; COMPUTE_PGM_RSRC2:TRAP_HANDLER: 0
; COMPUTE_PGM_RSRC2:TGID_X_EN: 1
; COMPUTE_PGM_RSRC2:TGID_Y_EN: 0
; COMPUTE_PGM_RSRC2:TGID_Z_EN: 0
; COMPUTE_PGM_RSRC2:TIDIG_COMP_CNT: 0
	.section	.text._ZN7rocprim17ROCPRIM_400000_NS6detail17trampoline_kernelINS0_14default_configENS1_29reduce_by_key_config_selectorIjsN6thrust23THRUST_200600_302600_NS4plusIsEEEEZZNS1_33reduce_by_key_impl_wrapped_configILNS1_25lookback_scan_determinismE0ES3_S9_NS6_6detail15normal_iteratorINS6_10device_ptrIjEEEENSD_INSE_IsEEEENS6_16discard_iteratorINS6_11use_defaultEEESI_PmS8_NS6_8equal_toIjEEEE10hipError_tPvRmT2_T3_mT4_T5_T6_T7_T8_P12ihipStream_tbENKUlT_T0_E_clISt17integral_constantIbLb0EES16_EEDaS11_S12_EUlS11_E_NS1_11comp_targetILNS1_3genE2ELNS1_11target_archE906ELNS1_3gpuE6ELNS1_3repE0EEENS1_30default_config_static_selectorELNS0_4arch9wavefront6targetE0EEEvT1_,"axG",@progbits,_ZN7rocprim17ROCPRIM_400000_NS6detail17trampoline_kernelINS0_14default_configENS1_29reduce_by_key_config_selectorIjsN6thrust23THRUST_200600_302600_NS4plusIsEEEEZZNS1_33reduce_by_key_impl_wrapped_configILNS1_25lookback_scan_determinismE0ES3_S9_NS6_6detail15normal_iteratorINS6_10device_ptrIjEEEENSD_INSE_IsEEEENS6_16discard_iteratorINS6_11use_defaultEEESI_PmS8_NS6_8equal_toIjEEEE10hipError_tPvRmT2_T3_mT4_T5_T6_T7_T8_P12ihipStream_tbENKUlT_T0_E_clISt17integral_constantIbLb0EES16_EEDaS11_S12_EUlS11_E_NS1_11comp_targetILNS1_3genE2ELNS1_11target_archE906ELNS1_3gpuE6ELNS1_3repE0EEENS1_30default_config_static_selectorELNS0_4arch9wavefront6targetE0EEEvT1_,comdat
	.protected	_ZN7rocprim17ROCPRIM_400000_NS6detail17trampoline_kernelINS0_14default_configENS1_29reduce_by_key_config_selectorIjsN6thrust23THRUST_200600_302600_NS4plusIsEEEEZZNS1_33reduce_by_key_impl_wrapped_configILNS1_25lookback_scan_determinismE0ES3_S9_NS6_6detail15normal_iteratorINS6_10device_ptrIjEEEENSD_INSE_IsEEEENS6_16discard_iteratorINS6_11use_defaultEEESI_PmS8_NS6_8equal_toIjEEEE10hipError_tPvRmT2_T3_mT4_T5_T6_T7_T8_P12ihipStream_tbENKUlT_T0_E_clISt17integral_constantIbLb0EES16_EEDaS11_S12_EUlS11_E_NS1_11comp_targetILNS1_3genE2ELNS1_11target_archE906ELNS1_3gpuE6ELNS1_3repE0EEENS1_30default_config_static_selectorELNS0_4arch9wavefront6targetE0EEEvT1_ ; -- Begin function _ZN7rocprim17ROCPRIM_400000_NS6detail17trampoline_kernelINS0_14default_configENS1_29reduce_by_key_config_selectorIjsN6thrust23THRUST_200600_302600_NS4plusIsEEEEZZNS1_33reduce_by_key_impl_wrapped_configILNS1_25lookback_scan_determinismE0ES3_S9_NS6_6detail15normal_iteratorINS6_10device_ptrIjEEEENSD_INSE_IsEEEENS6_16discard_iteratorINS6_11use_defaultEEESI_PmS8_NS6_8equal_toIjEEEE10hipError_tPvRmT2_T3_mT4_T5_T6_T7_T8_P12ihipStream_tbENKUlT_T0_E_clISt17integral_constantIbLb0EES16_EEDaS11_S12_EUlS11_E_NS1_11comp_targetILNS1_3genE2ELNS1_11target_archE906ELNS1_3gpuE6ELNS1_3repE0EEENS1_30default_config_static_selectorELNS0_4arch9wavefront6targetE0EEEvT1_
	.globl	_ZN7rocprim17ROCPRIM_400000_NS6detail17trampoline_kernelINS0_14default_configENS1_29reduce_by_key_config_selectorIjsN6thrust23THRUST_200600_302600_NS4plusIsEEEEZZNS1_33reduce_by_key_impl_wrapped_configILNS1_25lookback_scan_determinismE0ES3_S9_NS6_6detail15normal_iteratorINS6_10device_ptrIjEEEENSD_INSE_IsEEEENS6_16discard_iteratorINS6_11use_defaultEEESI_PmS8_NS6_8equal_toIjEEEE10hipError_tPvRmT2_T3_mT4_T5_T6_T7_T8_P12ihipStream_tbENKUlT_T0_E_clISt17integral_constantIbLb0EES16_EEDaS11_S12_EUlS11_E_NS1_11comp_targetILNS1_3genE2ELNS1_11target_archE906ELNS1_3gpuE6ELNS1_3repE0EEENS1_30default_config_static_selectorELNS0_4arch9wavefront6targetE0EEEvT1_
	.p2align	8
	.type	_ZN7rocprim17ROCPRIM_400000_NS6detail17trampoline_kernelINS0_14default_configENS1_29reduce_by_key_config_selectorIjsN6thrust23THRUST_200600_302600_NS4plusIsEEEEZZNS1_33reduce_by_key_impl_wrapped_configILNS1_25lookback_scan_determinismE0ES3_S9_NS6_6detail15normal_iteratorINS6_10device_ptrIjEEEENSD_INSE_IsEEEENS6_16discard_iteratorINS6_11use_defaultEEESI_PmS8_NS6_8equal_toIjEEEE10hipError_tPvRmT2_T3_mT4_T5_T6_T7_T8_P12ihipStream_tbENKUlT_T0_E_clISt17integral_constantIbLb0EES16_EEDaS11_S12_EUlS11_E_NS1_11comp_targetILNS1_3genE2ELNS1_11target_archE906ELNS1_3gpuE6ELNS1_3repE0EEENS1_30default_config_static_selectorELNS0_4arch9wavefront6targetE0EEEvT1_,@function
_ZN7rocprim17ROCPRIM_400000_NS6detail17trampoline_kernelINS0_14default_configENS1_29reduce_by_key_config_selectorIjsN6thrust23THRUST_200600_302600_NS4plusIsEEEEZZNS1_33reduce_by_key_impl_wrapped_configILNS1_25lookback_scan_determinismE0ES3_S9_NS6_6detail15normal_iteratorINS6_10device_ptrIjEEEENSD_INSE_IsEEEENS6_16discard_iteratorINS6_11use_defaultEEESI_PmS8_NS6_8equal_toIjEEEE10hipError_tPvRmT2_T3_mT4_T5_T6_T7_T8_P12ihipStream_tbENKUlT_T0_E_clISt17integral_constantIbLb0EES16_EEDaS11_S12_EUlS11_E_NS1_11comp_targetILNS1_3genE2ELNS1_11target_archE906ELNS1_3gpuE6ELNS1_3repE0EEENS1_30default_config_static_selectorELNS0_4arch9wavefront6targetE0EEEvT1_: ; @_ZN7rocprim17ROCPRIM_400000_NS6detail17trampoline_kernelINS0_14default_configENS1_29reduce_by_key_config_selectorIjsN6thrust23THRUST_200600_302600_NS4plusIsEEEEZZNS1_33reduce_by_key_impl_wrapped_configILNS1_25lookback_scan_determinismE0ES3_S9_NS6_6detail15normal_iteratorINS6_10device_ptrIjEEEENSD_INSE_IsEEEENS6_16discard_iteratorINS6_11use_defaultEEESI_PmS8_NS6_8equal_toIjEEEE10hipError_tPvRmT2_T3_mT4_T5_T6_T7_T8_P12ihipStream_tbENKUlT_T0_E_clISt17integral_constantIbLb0EES16_EEDaS11_S12_EUlS11_E_NS1_11comp_targetILNS1_3genE2ELNS1_11target_archE906ELNS1_3gpuE6ELNS1_3repE0EEENS1_30default_config_static_selectorELNS0_4arch9wavefront6targetE0EEEvT1_
; %bb.0:
	.section	.rodata,"a",@progbits
	.p2align	6, 0x0
	.amdhsa_kernel _ZN7rocprim17ROCPRIM_400000_NS6detail17trampoline_kernelINS0_14default_configENS1_29reduce_by_key_config_selectorIjsN6thrust23THRUST_200600_302600_NS4plusIsEEEEZZNS1_33reduce_by_key_impl_wrapped_configILNS1_25lookback_scan_determinismE0ES3_S9_NS6_6detail15normal_iteratorINS6_10device_ptrIjEEEENSD_INSE_IsEEEENS6_16discard_iteratorINS6_11use_defaultEEESI_PmS8_NS6_8equal_toIjEEEE10hipError_tPvRmT2_T3_mT4_T5_T6_T7_T8_P12ihipStream_tbENKUlT_T0_E_clISt17integral_constantIbLb0EES16_EEDaS11_S12_EUlS11_E_NS1_11comp_targetILNS1_3genE2ELNS1_11target_archE906ELNS1_3gpuE6ELNS1_3repE0EEENS1_30default_config_static_selectorELNS0_4arch9wavefront6targetE0EEEvT1_
		.amdhsa_group_segment_fixed_size 0
		.amdhsa_private_segment_fixed_size 0
		.amdhsa_kernarg_size 128
		.amdhsa_user_sgpr_count 15
		.amdhsa_user_sgpr_dispatch_ptr 0
		.amdhsa_user_sgpr_queue_ptr 0
		.amdhsa_user_sgpr_kernarg_segment_ptr 1
		.amdhsa_user_sgpr_dispatch_id 0
		.amdhsa_user_sgpr_private_segment_size 0
		.amdhsa_wavefront_size32 1
		.amdhsa_uses_dynamic_stack 0
		.amdhsa_enable_private_segment 0
		.amdhsa_system_sgpr_workgroup_id_x 1
		.amdhsa_system_sgpr_workgroup_id_y 0
		.amdhsa_system_sgpr_workgroup_id_z 0
		.amdhsa_system_sgpr_workgroup_info 0
		.amdhsa_system_vgpr_workitem_id 0
		.amdhsa_next_free_vgpr 1
		.amdhsa_next_free_sgpr 1
		.amdhsa_reserve_vcc 0
		.amdhsa_float_round_mode_32 0
		.amdhsa_float_round_mode_16_64 0
		.amdhsa_float_denorm_mode_32 3
		.amdhsa_float_denorm_mode_16_64 3
		.amdhsa_dx10_clamp 1
		.amdhsa_ieee_mode 1
		.amdhsa_fp16_overflow 0
		.amdhsa_workgroup_processor_mode 1
		.amdhsa_memory_ordered 1
		.amdhsa_forward_progress 0
		.amdhsa_shared_vgpr_count 0
		.amdhsa_exception_fp_ieee_invalid_op 0
		.amdhsa_exception_fp_denorm_src 0
		.amdhsa_exception_fp_ieee_div_zero 0
		.amdhsa_exception_fp_ieee_overflow 0
		.amdhsa_exception_fp_ieee_underflow 0
		.amdhsa_exception_fp_ieee_inexact 0
		.amdhsa_exception_int_div_zero 0
	.end_amdhsa_kernel
	.section	.text._ZN7rocprim17ROCPRIM_400000_NS6detail17trampoline_kernelINS0_14default_configENS1_29reduce_by_key_config_selectorIjsN6thrust23THRUST_200600_302600_NS4plusIsEEEEZZNS1_33reduce_by_key_impl_wrapped_configILNS1_25lookback_scan_determinismE0ES3_S9_NS6_6detail15normal_iteratorINS6_10device_ptrIjEEEENSD_INSE_IsEEEENS6_16discard_iteratorINS6_11use_defaultEEESI_PmS8_NS6_8equal_toIjEEEE10hipError_tPvRmT2_T3_mT4_T5_T6_T7_T8_P12ihipStream_tbENKUlT_T0_E_clISt17integral_constantIbLb0EES16_EEDaS11_S12_EUlS11_E_NS1_11comp_targetILNS1_3genE2ELNS1_11target_archE906ELNS1_3gpuE6ELNS1_3repE0EEENS1_30default_config_static_selectorELNS0_4arch9wavefront6targetE0EEEvT1_,"axG",@progbits,_ZN7rocprim17ROCPRIM_400000_NS6detail17trampoline_kernelINS0_14default_configENS1_29reduce_by_key_config_selectorIjsN6thrust23THRUST_200600_302600_NS4plusIsEEEEZZNS1_33reduce_by_key_impl_wrapped_configILNS1_25lookback_scan_determinismE0ES3_S9_NS6_6detail15normal_iteratorINS6_10device_ptrIjEEEENSD_INSE_IsEEEENS6_16discard_iteratorINS6_11use_defaultEEESI_PmS8_NS6_8equal_toIjEEEE10hipError_tPvRmT2_T3_mT4_T5_T6_T7_T8_P12ihipStream_tbENKUlT_T0_E_clISt17integral_constantIbLb0EES16_EEDaS11_S12_EUlS11_E_NS1_11comp_targetILNS1_3genE2ELNS1_11target_archE906ELNS1_3gpuE6ELNS1_3repE0EEENS1_30default_config_static_selectorELNS0_4arch9wavefront6targetE0EEEvT1_,comdat
.Lfunc_end1061:
	.size	_ZN7rocprim17ROCPRIM_400000_NS6detail17trampoline_kernelINS0_14default_configENS1_29reduce_by_key_config_selectorIjsN6thrust23THRUST_200600_302600_NS4plusIsEEEEZZNS1_33reduce_by_key_impl_wrapped_configILNS1_25lookback_scan_determinismE0ES3_S9_NS6_6detail15normal_iteratorINS6_10device_ptrIjEEEENSD_INSE_IsEEEENS6_16discard_iteratorINS6_11use_defaultEEESI_PmS8_NS6_8equal_toIjEEEE10hipError_tPvRmT2_T3_mT4_T5_T6_T7_T8_P12ihipStream_tbENKUlT_T0_E_clISt17integral_constantIbLb0EES16_EEDaS11_S12_EUlS11_E_NS1_11comp_targetILNS1_3genE2ELNS1_11target_archE906ELNS1_3gpuE6ELNS1_3repE0EEENS1_30default_config_static_selectorELNS0_4arch9wavefront6targetE0EEEvT1_, .Lfunc_end1061-_ZN7rocprim17ROCPRIM_400000_NS6detail17trampoline_kernelINS0_14default_configENS1_29reduce_by_key_config_selectorIjsN6thrust23THRUST_200600_302600_NS4plusIsEEEEZZNS1_33reduce_by_key_impl_wrapped_configILNS1_25lookback_scan_determinismE0ES3_S9_NS6_6detail15normal_iteratorINS6_10device_ptrIjEEEENSD_INSE_IsEEEENS6_16discard_iteratorINS6_11use_defaultEEESI_PmS8_NS6_8equal_toIjEEEE10hipError_tPvRmT2_T3_mT4_T5_T6_T7_T8_P12ihipStream_tbENKUlT_T0_E_clISt17integral_constantIbLb0EES16_EEDaS11_S12_EUlS11_E_NS1_11comp_targetILNS1_3genE2ELNS1_11target_archE906ELNS1_3gpuE6ELNS1_3repE0EEENS1_30default_config_static_selectorELNS0_4arch9wavefront6targetE0EEEvT1_
                                        ; -- End function
	.section	.AMDGPU.csdata,"",@progbits
; Kernel info:
; codeLenInByte = 0
; NumSgprs: 0
; NumVgprs: 0
; ScratchSize: 0
; MemoryBound: 0
; FloatMode: 240
; IeeeMode: 1
; LDSByteSize: 0 bytes/workgroup (compile time only)
; SGPRBlocks: 0
; VGPRBlocks: 0
; NumSGPRsForWavesPerEU: 1
; NumVGPRsForWavesPerEU: 1
; Occupancy: 16
; WaveLimiterHint : 0
; COMPUTE_PGM_RSRC2:SCRATCH_EN: 0
; COMPUTE_PGM_RSRC2:USER_SGPR: 15
; COMPUTE_PGM_RSRC2:TRAP_HANDLER: 0
; COMPUTE_PGM_RSRC2:TGID_X_EN: 1
; COMPUTE_PGM_RSRC2:TGID_Y_EN: 0
; COMPUTE_PGM_RSRC2:TGID_Z_EN: 0
; COMPUTE_PGM_RSRC2:TIDIG_COMP_CNT: 0
	.section	.text._ZN7rocprim17ROCPRIM_400000_NS6detail17trampoline_kernelINS0_14default_configENS1_29reduce_by_key_config_selectorIjsN6thrust23THRUST_200600_302600_NS4plusIsEEEEZZNS1_33reduce_by_key_impl_wrapped_configILNS1_25lookback_scan_determinismE0ES3_S9_NS6_6detail15normal_iteratorINS6_10device_ptrIjEEEENSD_INSE_IsEEEENS6_16discard_iteratorINS6_11use_defaultEEESI_PmS8_NS6_8equal_toIjEEEE10hipError_tPvRmT2_T3_mT4_T5_T6_T7_T8_P12ihipStream_tbENKUlT_T0_E_clISt17integral_constantIbLb0EES16_EEDaS11_S12_EUlS11_E_NS1_11comp_targetILNS1_3genE10ELNS1_11target_archE1201ELNS1_3gpuE5ELNS1_3repE0EEENS1_30default_config_static_selectorELNS0_4arch9wavefront6targetE0EEEvT1_,"axG",@progbits,_ZN7rocprim17ROCPRIM_400000_NS6detail17trampoline_kernelINS0_14default_configENS1_29reduce_by_key_config_selectorIjsN6thrust23THRUST_200600_302600_NS4plusIsEEEEZZNS1_33reduce_by_key_impl_wrapped_configILNS1_25lookback_scan_determinismE0ES3_S9_NS6_6detail15normal_iteratorINS6_10device_ptrIjEEEENSD_INSE_IsEEEENS6_16discard_iteratorINS6_11use_defaultEEESI_PmS8_NS6_8equal_toIjEEEE10hipError_tPvRmT2_T3_mT4_T5_T6_T7_T8_P12ihipStream_tbENKUlT_T0_E_clISt17integral_constantIbLb0EES16_EEDaS11_S12_EUlS11_E_NS1_11comp_targetILNS1_3genE10ELNS1_11target_archE1201ELNS1_3gpuE5ELNS1_3repE0EEENS1_30default_config_static_selectorELNS0_4arch9wavefront6targetE0EEEvT1_,comdat
	.protected	_ZN7rocprim17ROCPRIM_400000_NS6detail17trampoline_kernelINS0_14default_configENS1_29reduce_by_key_config_selectorIjsN6thrust23THRUST_200600_302600_NS4plusIsEEEEZZNS1_33reduce_by_key_impl_wrapped_configILNS1_25lookback_scan_determinismE0ES3_S9_NS6_6detail15normal_iteratorINS6_10device_ptrIjEEEENSD_INSE_IsEEEENS6_16discard_iteratorINS6_11use_defaultEEESI_PmS8_NS6_8equal_toIjEEEE10hipError_tPvRmT2_T3_mT4_T5_T6_T7_T8_P12ihipStream_tbENKUlT_T0_E_clISt17integral_constantIbLb0EES16_EEDaS11_S12_EUlS11_E_NS1_11comp_targetILNS1_3genE10ELNS1_11target_archE1201ELNS1_3gpuE5ELNS1_3repE0EEENS1_30default_config_static_selectorELNS0_4arch9wavefront6targetE0EEEvT1_ ; -- Begin function _ZN7rocprim17ROCPRIM_400000_NS6detail17trampoline_kernelINS0_14default_configENS1_29reduce_by_key_config_selectorIjsN6thrust23THRUST_200600_302600_NS4plusIsEEEEZZNS1_33reduce_by_key_impl_wrapped_configILNS1_25lookback_scan_determinismE0ES3_S9_NS6_6detail15normal_iteratorINS6_10device_ptrIjEEEENSD_INSE_IsEEEENS6_16discard_iteratorINS6_11use_defaultEEESI_PmS8_NS6_8equal_toIjEEEE10hipError_tPvRmT2_T3_mT4_T5_T6_T7_T8_P12ihipStream_tbENKUlT_T0_E_clISt17integral_constantIbLb0EES16_EEDaS11_S12_EUlS11_E_NS1_11comp_targetILNS1_3genE10ELNS1_11target_archE1201ELNS1_3gpuE5ELNS1_3repE0EEENS1_30default_config_static_selectorELNS0_4arch9wavefront6targetE0EEEvT1_
	.globl	_ZN7rocprim17ROCPRIM_400000_NS6detail17trampoline_kernelINS0_14default_configENS1_29reduce_by_key_config_selectorIjsN6thrust23THRUST_200600_302600_NS4plusIsEEEEZZNS1_33reduce_by_key_impl_wrapped_configILNS1_25lookback_scan_determinismE0ES3_S9_NS6_6detail15normal_iteratorINS6_10device_ptrIjEEEENSD_INSE_IsEEEENS6_16discard_iteratorINS6_11use_defaultEEESI_PmS8_NS6_8equal_toIjEEEE10hipError_tPvRmT2_T3_mT4_T5_T6_T7_T8_P12ihipStream_tbENKUlT_T0_E_clISt17integral_constantIbLb0EES16_EEDaS11_S12_EUlS11_E_NS1_11comp_targetILNS1_3genE10ELNS1_11target_archE1201ELNS1_3gpuE5ELNS1_3repE0EEENS1_30default_config_static_selectorELNS0_4arch9wavefront6targetE0EEEvT1_
	.p2align	8
	.type	_ZN7rocprim17ROCPRIM_400000_NS6detail17trampoline_kernelINS0_14default_configENS1_29reduce_by_key_config_selectorIjsN6thrust23THRUST_200600_302600_NS4plusIsEEEEZZNS1_33reduce_by_key_impl_wrapped_configILNS1_25lookback_scan_determinismE0ES3_S9_NS6_6detail15normal_iteratorINS6_10device_ptrIjEEEENSD_INSE_IsEEEENS6_16discard_iteratorINS6_11use_defaultEEESI_PmS8_NS6_8equal_toIjEEEE10hipError_tPvRmT2_T3_mT4_T5_T6_T7_T8_P12ihipStream_tbENKUlT_T0_E_clISt17integral_constantIbLb0EES16_EEDaS11_S12_EUlS11_E_NS1_11comp_targetILNS1_3genE10ELNS1_11target_archE1201ELNS1_3gpuE5ELNS1_3repE0EEENS1_30default_config_static_selectorELNS0_4arch9wavefront6targetE0EEEvT1_,@function
_ZN7rocprim17ROCPRIM_400000_NS6detail17trampoline_kernelINS0_14default_configENS1_29reduce_by_key_config_selectorIjsN6thrust23THRUST_200600_302600_NS4plusIsEEEEZZNS1_33reduce_by_key_impl_wrapped_configILNS1_25lookback_scan_determinismE0ES3_S9_NS6_6detail15normal_iteratorINS6_10device_ptrIjEEEENSD_INSE_IsEEEENS6_16discard_iteratorINS6_11use_defaultEEESI_PmS8_NS6_8equal_toIjEEEE10hipError_tPvRmT2_T3_mT4_T5_T6_T7_T8_P12ihipStream_tbENKUlT_T0_E_clISt17integral_constantIbLb0EES16_EEDaS11_S12_EUlS11_E_NS1_11comp_targetILNS1_3genE10ELNS1_11target_archE1201ELNS1_3gpuE5ELNS1_3repE0EEENS1_30default_config_static_selectorELNS0_4arch9wavefront6targetE0EEEvT1_: ; @_ZN7rocprim17ROCPRIM_400000_NS6detail17trampoline_kernelINS0_14default_configENS1_29reduce_by_key_config_selectorIjsN6thrust23THRUST_200600_302600_NS4plusIsEEEEZZNS1_33reduce_by_key_impl_wrapped_configILNS1_25lookback_scan_determinismE0ES3_S9_NS6_6detail15normal_iteratorINS6_10device_ptrIjEEEENSD_INSE_IsEEEENS6_16discard_iteratorINS6_11use_defaultEEESI_PmS8_NS6_8equal_toIjEEEE10hipError_tPvRmT2_T3_mT4_T5_T6_T7_T8_P12ihipStream_tbENKUlT_T0_E_clISt17integral_constantIbLb0EES16_EEDaS11_S12_EUlS11_E_NS1_11comp_targetILNS1_3genE10ELNS1_11target_archE1201ELNS1_3gpuE5ELNS1_3repE0EEENS1_30default_config_static_selectorELNS0_4arch9wavefront6targetE0EEEvT1_
; %bb.0:
	.section	.rodata,"a",@progbits
	.p2align	6, 0x0
	.amdhsa_kernel _ZN7rocprim17ROCPRIM_400000_NS6detail17trampoline_kernelINS0_14default_configENS1_29reduce_by_key_config_selectorIjsN6thrust23THRUST_200600_302600_NS4plusIsEEEEZZNS1_33reduce_by_key_impl_wrapped_configILNS1_25lookback_scan_determinismE0ES3_S9_NS6_6detail15normal_iteratorINS6_10device_ptrIjEEEENSD_INSE_IsEEEENS6_16discard_iteratorINS6_11use_defaultEEESI_PmS8_NS6_8equal_toIjEEEE10hipError_tPvRmT2_T3_mT4_T5_T6_T7_T8_P12ihipStream_tbENKUlT_T0_E_clISt17integral_constantIbLb0EES16_EEDaS11_S12_EUlS11_E_NS1_11comp_targetILNS1_3genE10ELNS1_11target_archE1201ELNS1_3gpuE5ELNS1_3repE0EEENS1_30default_config_static_selectorELNS0_4arch9wavefront6targetE0EEEvT1_
		.amdhsa_group_segment_fixed_size 0
		.amdhsa_private_segment_fixed_size 0
		.amdhsa_kernarg_size 128
		.amdhsa_user_sgpr_count 15
		.amdhsa_user_sgpr_dispatch_ptr 0
		.amdhsa_user_sgpr_queue_ptr 0
		.amdhsa_user_sgpr_kernarg_segment_ptr 1
		.amdhsa_user_sgpr_dispatch_id 0
		.amdhsa_user_sgpr_private_segment_size 0
		.amdhsa_wavefront_size32 1
		.amdhsa_uses_dynamic_stack 0
		.amdhsa_enable_private_segment 0
		.amdhsa_system_sgpr_workgroup_id_x 1
		.amdhsa_system_sgpr_workgroup_id_y 0
		.amdhsa_system_sgpr_workgroup_id_z 0
		.amdhsa_system_sgpr_workgroup_info 0
		.amdhsa_system_vgpr_workitem_id 0
		.amdhsa_next_free_vgpr 1
		.amdhsa_next_free_sgpr 1
		.amdhsa_reserve_vcc 0
		.amdhsa_float_round_mode_32 0
		.amdhsa_float_round_mode_16_64 0
		.amdhsa_float_denorm_mode_32 3
		.amdhsa_float_denorm_mode_16_64 3
		.amdhsa_dx10_clamp 1
		.amdhsa_ieee_mode 1
		.amdhsa_fp16_overflow 0
		.amdhsa_workgroup_processor_mode 1
		.amdhsa_memory_ordered 1
		.amdhsa_forward_progress 0
		.amdhsa_shared_vgpr_count 0
		.amdhsa_exception_fp_ieee_invalid_op 0
		.amdhsa_exception_fp_denorm_src 0
		.amdhsa_exception_fp_ieee_div_zero 0
		.amdhsa_exception_fp_ieee_overflow 0
		.amdhsa_exception_fp_ieee_underflow 0
		.amdhsa_exception_fp_ieee_inexact 0
		.amdhsa_exception_int_div_zero 0
	.end_amdhsa_kernel
	.section	.text._ZN7rocprim17ROCPRIM_400000_NS6detail17trampoline_kernelINS0_14default_configENS1_29reduce_by_key_config_selectorIjsN6thrust23THRUST_200600_302600_NS4plusIsEEEEZZNS1_33reduce_by_key_impl_wrapped_configILNS1_25lookback_scan_determinismE0ES3_S9_NS6_6detail15normal_iteratorINS6_10device_ptrIjEEEENSD_INSE_IsEEEENS6_16discard_iteratorINS6_11use_defaultEEESI_PmS8_NS6_8equal_toIjEEEE10hipError_tPvRmT2_T3_mT4_T5_T6_T7_T8_P12ihipStream_tbENKUlT_T0_E_clISt17integral_constantIbLb0EES16_EEDaS11_S12_EUlS11_E_NS1_11comp_targetILNS1_3genE10ELNS1_11target_archE1201ELNS1_3gpuE5ELNS1_3repE0EEENS1_30default_config_static_selectorELNS0_4arch9wavefront6targetE0EEEvT1_,"axG",@progbits,_ZN7rocprim17ROCPRIM_400000_NS6detail17trampoline_kernelINS0_14default_configENS1_29reduce_by_key_config_selectorIjsN6thrust23THRUST_200600_302600_NS4plusIsEEEEZZNS1_33reduce_by_key_impl_wrapped_configILNS1_25lookback_scan_determinismE0ES3_S9_NS6_6detail15normal_iteratorINS6_10device_ptrIjEEEENSD_INSE_IsEEEENS6_16discard_iteratorINS6_11use_defaultEEESI_PmS8_NS6_8equal_toIjEEEE10hipError_tPvRmT2_T3_mT4_T5_T6_T7_T8_P12ihipStream_tbENKUlT_T0_E_clISt17integral_constantIbLb0EES16_EEDaS11_S12_EUlS11_E_NS1_11comp_targetILNS1_3genE10ELNS1_11target_archE1201ELNS1_3gpuE5ELNS1_3repE0EEENS1_30default_config_static_selectorELNS0_4arch9wavefront6targetE0EEEvT1_,comdat
.Lfunc_end1062:
	.size	_ZN7rocprim17ROCPRIM_400000_NS6detail17trampoline_kernelINS0_14default_configENS1_29reduce_by_key_config_selectorIjsN6thrust23THRUST_200600_302600_NS4plusIsEEEEZZNS1_33reduce_by_key_impl_wrapped_configILNS1_25lookback_scan_determinismE0ES3_S9_NS6_6detail15normal_iteratorINS6_10device_ptrIjEEEENSD_INSE_IsEEEENS6_16discard_iteratorINS6_11use_defaultEEESI_PmS8_NS6_8equal_toIjEEEE10hipError_tPvRmT2_T3_mT4_T5_T6_T7_T8_P12ihipStream_tbENKUlT_T0_E_clISt17integral_constantIbLb0EES16_EEDaS11_S12_EUlS11_E_NS1_11comp_targetILNS1_3genE10ELNS1_11target_archE1201ELNS1_3gpuE5ELNS1_3repE0EEENS1_30default_config_static_selectorELNS0_4arch9wavefront6targetE0EEEvT1_, .Lfunc_end1062-_ZN7rocprim17ROCPRIM_400000_NS6detail17trampoline_kernelINS0_14default_configENS1_29reduce_by_key_config_selectorIjsN6thrust23THRUST_200600_302600_NS4plusIsEEEEZZNS1_33reduce_by_key_impl_wrapped_configILNS1_25lookback_scan_determinismE0ES3_S9_NS6_6detail15normal_iteratorINS6_10device_ptrIjEEEENSD_INSE_IsEEEENS6_16discard_iteratorINS6_11use_defaultEEESI_PmS8_NS6_8equal_toIjEEEE10hipError_tPvRmT2_T3_mT4_T5_T6_T7_T8_P12ihipStream_tbENKUlT_T0_E_clISt17integral_constantIbLb0EES16_EEDaS11_S12_EUlS11_E_NS1_11comp_targetILNS1_3genE10ELNS1_11target_archE1201ELNS1_3gpuE5ELNS1_3repE0EEENS1_30default_config_static_selectorELNS0_4arch9wavefront6targetE0EEEvT1_
                                        ; -- End function
	.section	.AMDGPU.csdata,"",@progbits
; Kernel info:
; codeLenInByte = 0
; NumSgprs: 0
; NumVgprs: 0
; ScratchSize: 0
; MemoryBound: 0
; FloatMode: 240
; IeeeMode: 1
; LDSByteSize: 0 bytes/workgroup (compile time only)
; SGPRBlocks: 0
; VGPRBlocks: 0
; NumSGPRsForWavesPerEU: 1
; NumVGPRsForWavesPerEU: 1
; Occupancy: 16
; WaveLimiterHint : 0
; COMPUTE_PGM_RSRC2:SCRATCH_EN: 0
; COMPUTE_PGM_RSRC2:USER_SGPR: 15
; COMPUTE_PGM_RSRC2:TRAP_HANDLER: 0
; COMPUTE_PGM_RSRC2:TGID_X_EN: 1
; COMPUTE_PGM_RSRC2:TGID_Y_EN: 0
; COMPUTE_PGM_RSRC2:TGID_Z_EN: 0
; COMPUTE_PGM_RSRC2:TIDIG_COMP_CNT: 0
	.section	.text._ZN7rocprim17ROCPRIM_400000_NS6detail17trampoline_kernelINS0_14default_configENS1_29reduce_by_key_config_selectorIjsN6thrust23THRUST_200600_302600_NS4plusIsEEEEZZNS1_33reduce_by_key_impl_wrapped_configILNS1_25lookback_scan_determinismE0ES3_S9_NS6_6detail15normal_iteratorINS6_10device_ptrIjEEEENSD_INSE_IsEEEENS6_16discard_iteratorINS6_11use_defaultEEESI_PmS8_NS6_8equal_toIjEEEE10hipError_tPvRmT2_T3_mT4_T5_T6_T7_T8_P12ihipStream_tbENKUlT_T0_E_clISt17integral_constantIbLb0EES16_EEDaS11_S12_EUlS11_E_NS1_11comp_targetILNS1_3genE10ELNS1_11target_archE1200ELNS1_3gpuE4ELNS1_3repE0EEENS1_30default_config_static_selectorELNS0_4arch9wavefront6targetE0EEEvT1_,"axG",@progbits,_ZN7rocprim17ROCPRIM_400000_NS6detail17trampoline_kernelINS0_14default_configENS1_29reduce_by_key_config_selectorIjsN6thrust23THRUST_200600_302600_NS4plusIsEEEEZZNS1_33reduce_by_key_impl_wrapped_configILNS1_25lookback_scan_determinismE0ES3_S9_NS6_6detail15normal_iteratorINS6_10device_ptrIjEEEENSD_INSE_IsEEEENS6_16discard_iteratorINS6_11use_defaultEEESI_PmS8_NS6_8equal_toIjEEEE10hipError_tPvRmT2_T3_mT4_T5_T6_T7_T8_P12ihipStream_tbENKUlT_T0_E_clISt17integral_constantIbLb0EES16_EEDaS11_S12_EUlS11_E_NS1_11comp_targetILNS1_3genE10ELNS1_11target_archE1200ELNS1_3gpuE4ELNS1_3repE0EEENS1_30default_config_static_selectorELNS0_4arch9wavefront6targetE0EEEvT1_,comdat
	.protected	_ZN7rocprim17ROCPRIM_400000_NS6detail17trampoline_kernelINS0_14default_configENS1_29reduce_by_key_config_selectorIjsN6thrust23THRUST_200600_302600_NS4plusIsEEEEZZNS1_33reduce_by_key_impl_wrapped_configILNS1_25lookback_scan_determinismE0ES3_S9_NS6_6detail15normal_iteratorINS6_10device_ptrIjEEEENSD_INSE_IsEEEENS6_16discard_iteratorINS6_11use_defaultEEESI_PmS8_NS6_8equal_toIjEEEE10hipError_tPvRmT2_T3_mT4_T5_T6_T7_T8_P12ihipStream_tbENKUlT_T0_E_clISt17integral_constantIbLb0EES16_EEDaS11_S12_EUlS11_E_NS1_11comp_targetILNS1_3genE10ELNS1_11target_archE1200ELNS1_3gpuE4ELNS1_3repE0EEENS1_30default_config_static_selectorELNS0_4arch9wavefront6targetE0EEEvT1_ ; -- Begin function _ZN7rocprim17ROCPRIM_400000_NS6detail17trampoline_kernelINS0_14default_configENS1_29reduce_by_key_config_selectorIjsN6thrust23THRUST_200600_302600_NS4plusIsEEEEZZNS1_33reduce_by_key_impl_wrapped_configILNS1_25lookback_scan_determinismE0ES3_S9_NS6_6detail15normal_iteratorINS6_10device_ptrIjEEEENSD_INSE_IsEEEENS6_16discard_iteratorINS6_11use_defaultEEESI_PmS8_NS6_8equal_toIjEEEE10hipError_tPvRmT2_T3_mT4_T5_T6_T7_T8_P12ihipStream_tbENKUlT_T0_E_clISt17integral_constantIbLb0EES16_EEDaS11_S12_EUlS11_E_NS1_11comp_targetILNS1_3genE10ELNS1_11target_archE1200ELNS1_3gpuE4ELNS1_3repE0EEENS1_30default_config_static_selectorELNS0_4arch9wavefront6targetE0EEEvT1_
	.globl	_ZN7rocprim17ROCPRIM_400000_NS6detail17trampoline_kernelINS0_14default_configENS1_29reduce_by_key_config_selectorIjsN6thrust23THRUST_200600_302600_NS4plusIsEEEEZZNS1_33reduce_by_key_impl_wrapped_configILNS1_25lookback_scan_determinismE0ES3_S9_NS6_6detail15normal_iteratorINS6_10device_ptrIjEEEENSD_INSE_IsEEEENS6_16discard_iteratorINS6_11use_defaultEEESI_PmS8_NS6_8equal_toIjEEEE10hipError_tPvRmT2_T3_mT4_T5_T6_T7_T8_P12ihipStream_tbENKUlT_T0_E_clISt17integral_constantIbLb0EES16_EEDaS11_S12_EUlS11_E_NS1_11comp_targetILNS1_3genE10ELNS1_11target_archE1200ELNS1_3gpuE4ELNS1_3repE0EEENS1_30default_config_static_selectorELNS0_4arch9wavefront6targetE0EEEvT1_
	.p2align	8
	.type	_ZN7rocprim17ROCPRIM_400000_NS6detail17trampoline_kernelINS0_14default_configENS1_29reduce_by_key_config_selectorIjsN6thrust23THRUST_200600_302600_NS4plusIsEEEEZZNS1_33reduce_by_key_impl_wrapped_configILNS1_25lookback_scan_determinismE0ES3_S9_NS6_6detail15normal_iteratorINS6_10device_ptrIjEEEENSD_INSE_IsEEEENS6_16discard_iteratorINS6_11use_defaultEEESI_PmS8_NS6_8equal_toIjEEEE10hipError_tPvRmT2_T3_mT4_T5_T6_T7_T8_P12ihipStream_tbENKUlT_T0_E_clISt17integral_constantIbLb0EES16_EEDaS11_S12_EUlS11_E_NS1_11comp_targetILNS1_3genE10ELNS1_11target_archE1200ELNS1_3gpuE4ELNS1_3repE0EEENS1_30default_config_static_selectorELNS0_4arch9wavefront6targetE0EEEvT1_,@function
_ZN7rocprim17ROCPRIM_400000_NS6detail17trampoline_kernelINS0_14default_configENS1_29reduce_by_key_config_selectorIjsN6thrust23THRUST_200600_302600_NS4plusIsEEEEZZNS1_33reduce_by_key_impl_wrapped_configILNS1_25lookback_scan_determinismE0ES3_S9_NS6_6detail15normal_iteratorINS6_10device_ptrIjEEEENSD_INSE_IsEEEENS6_16discard_iteratorINS6_11use_defaultEEESI_PmS8_NS6_8equal_toIjEEEE10hipError_tPvRmT2_T3_mT4_T5_T6_T7_T8_P12ihipStream_tbENKUlT_T0_E_clISt17integral_constantIbLb0EES16_EEDaS11_S12_EUlS11_E_NS1_11comp_targetILNS1_3genE10ELNS1_11target_archE1200ELNS1_3gpuE4ELNS1_3repE0EEENS1_30default_config_static_selectorELNS0_4arch9wavefront6targetE0EEEvT1_: ; @_ZN7rocprim17ROCPRIM_400000_NS6detail17trampoline_kernelINS0_14default_configENS1_29reduce_by_key_config_selectorIjsN6thrust23THRUST_200600_302600_NS4plusIsEEEEZZNS1_33reduce_by_key_impl_wrapped_configILNS1_25lookback_scan_determinismE0ES3_S9_NS6_6detail15normal_iteratorINS6_10device_ptrIjEEEENSD_INSE_IsEEEENS6_16discard_iteratorINS6_11use_defaultEEESI_PmS8_NS6_8equal_toIjEEEE10hipError_tPvRmT2_T3_mT4_T5_T6_T7_T8_P12ihipStream_tbENKUlT_T0_E_clISt17integral_constantIbLb0EES16_EEDaS11_S12_EUlS11_E_NS1_11comp_targetILNS1_3genE10ELNS1_11target_archE1200ELNS1_3gpuE4ELNS1_3repE0EEENS1_30default_config_static_selectorELNS0_4arch9wavefront6targetE0EEEvT1_
; %bb.0:
	.section	.rodata,"a",@progbits
	.p2align	6, 0x0
	.amdhsa_kernel _ZN7rocprim17ROCPRIM_400000_NS6detail17trampoline_kernelINS0_14default_configENS1_29reduce_by_key_config_selectorIjsN6thrust23THRUST_200600_302600_NS4plusIsEEEEZZNS1_33reduce_by_key_impl_wrapped_configILNS1_25lookback_scan_determinismE0ES3_S9_NS6_6detail15normal_iteratorINS6_10device_ptrIjEEEENSD_INSE_IsEEEENS6_16discard_iteratorINS6_11use_defaultEEESI_PmS8_NS6_8equal_toIjEEEE10hipError_tPvRmT2_T3_mT4_T5_T6_T7_T8_P12ihipStream_tbENKUlT_T0_E_clISt17integral_constantIbLb0EES16_EEDaS11_S12_EUlS11_E_NS1_11comp_targetILNS1_3genE10ELNS1_11target_archE1200ELNS1_3gpuE4ELNS1_3repE0EEENS1_30default_config_static_selectorELNS0_4arch9wavefront6targetE0EEEvT1_
		.amdhsa_group_segment_fixed_size 0
		.amdhsa_private_segment_fixed_size 0
		.amdhsa_kernarg_size 128
		.amdhsa_user_sgpr_count 15
		.amdhsa_user_sgpr_dispatch_ptr 0
		.amdhsa_user_sgpr_queue_ptr 0
		.amdhsa_user_sgpr_kernarg_segment_ptr 1
		.amdhsa_user_sgpr_dispatch_id 0
		.amdhsa_user_sgpr_private_segment_size 0
		.amdhsa_wavefront_size32 1
		.amdhsa_uses_dynamic_stack 0
		.amdhsa_enable_private_segment 0
		.amdhsa_system_sgpr_workgroup_id_x 1
		.amdhsa_system_sgpr_workgroup_id_y 0
		.amdhsa_system_sgpr_workgroup_id_z 0
		.amdhsa_system_sgpr_workgroup_info 0
		.amdhsa_system_vgpr_workitem_id 0
		.amdhsa_next_free_vgpr 1
		.amdhsa_next_free_sgpr 1
		.amdhsa_reserve_vcc 0
		.amdhsa_float_round_mode_32 0
		.amdhsa_float_round_mode_16_64 0
		.amdhsa_float_denorm_mode_32 3
		.amdhsa_float_denorm_mode_16_64 3
		.amdhsa_dx10_clamp 1
		.amdhsa_ieee_mode 1
		.amdhsa_fp16_overflow 0
		.amdhsa_workgroup_processor_mode 1
		.amdhsa_memory_ordered 1
		.amdhsa_forward_progress 0
		.amdhsa_shared_vgpr_count 0
		.amdhsa_exception_fp_ieee_invalid_op 0
		.amdhsa_exception_fp_denorm_src 0
		.amdhsa_exception_fp_ieee_div_zero 0
		.amdhsa_exception_fp_ieee_overflow 0
		.amdhsa_exception_fp_ieee_underflow 0
		.amdhsa_exception_fp_ieee_inexact 0
		.amdhsa_exception_int_div_zero 0
	.end_amdhsa_kernel
	.section	.text._ZN7rocprim17ROCPRIM_400000_NS6detail17trampoline_kernelINS0_14default_configENS1_29reduce_by_key_config_selectorIjsN6thrust23THRUST_200600_302600_NS4plusIsEEEEZZNS1_33reduce_by_key_impl_wrapped_configILNS1_25lookback_scan_determinismE0ES3_S9_NS6_6detail15normal_iteratorINS6_10device_ptrIjEEEENSD_INSE_IsEEEENS6_16discard_iteratorINS6_11use_defaultEEESI_PmS8_NS6_8equal_toIjEEEE10hipError_tPvRmT2_T3_mT4_T5_T6_T7_T8_P12ihipStream_tbENKUlT_T0_E_clISt17integral_constantIbLb0EES16_EEDaS11_S12_EUlS11_E_NS1_11comp_targetILNS1_3genE10ELNS1_11target_archE1200ELNS1_3gpuE4ELNS1_3repE0EEENS1_30default_config_static_selectorELNS0_4arch9wavefront6targetE0EEEvT1_,"axG",@progbits,_ZN7rocprim17ROCPRIM_400000_NS6detail17trampoline_kernelINS0_14default_configENS1_29reduce_by_key_config_selectorIjsN6thrust23THRUST_200600_302600_NS4plusIsEEEEZZNS1_33reduce_by_key_impl_wrapped_configILNS1_25lookback_scan_determinismE0ES3_S9_NS6_6detail15normal_iteratorINS6_10device_ptrIjEEEENSD_INSE_IsEEEENS6_16discard_iteratorINS6_11use_defaultEEESI_PmS8_NS6_8equal_toIjEEEE10hipError_tPvRmT2_T3_mT4_T5_T6_T7_T8_P12ihipStream_tbENKUlT_T0_E_clISt17integral_constantIbLb0EES16_EEDaS11_S12_EUlS11_E_NS1_11comp_targetILNS1_3genE10ELNS1_11target_archE1200ELNS1_3gpuE4ELNS1_3repE0EEENS1_30default_config_static_selectorELNS0_4arch9wavefront6targetE0EEEvT1_,comdat
.Lfunc_end1063:
	.size	_ZN7rocprim17ROCPRIM_400000_NS6detail17trampoline_kernelINS0_14default_configENS1_29reduce_by_key_config_selectorIjsN6thrust23THRUST_200600_302600_NS4plusIsEEEEZZNS1_33reduce_by_key_impl_wrapped_configILNS1_25lookback_scan_determinismE0ES3_S9_NS6_6detail15normal_iteratorINS6_10device_ptrIjEEEENSD_INSE_IsEEEENS6_16discard_iteratorINS6_11use_defaultEEESI_PmS8_NS6_8equal_toIjEEEE10hipError_tPvRmT2_T3_mT4_T5_T6_T7_T8_P12ihipStream_tbENKUlT_T0_E_clISt17integral_constantIbLb0EES16_EEDaS11_S12_EUlS11_E_NS1_11comp_targetILNS1_3genE10ELNS1_11target_archE1200ELNS1_3gpuE4ELNS1_3repE0EEENS1_30default_config_static_selectorELNS0_4arch9wavefront6targetE0EEEvT1_, .Lfunc_end1063-_ZN7rocprim17ROCPRIM_400000_NS6detail17trampoline_kernelINS0_14default_configENS1_29reduce_by_key_config_selectorIjsN6thrust23THRUST_200600_302600_NS4plusIsEEEEZZNS1_33reduce_by_key_impl_wrapped_configILNS1_25lookback_scan_determinismE0ES3_S9_NS6_6detail15normal_iteratorINS6_10device_ptrIjEEEENSD_INSE_IsEEEENS6_16discard_iteratorINS6_11use_defaultEEESI_PmS8_NS6_8equal_toIjEEEE10hipError_tPvRmT2_T3_mT4_T5_T6_T7_T8_P12ihipStream_tbENKUlT_T0_E_clISt17integral_constantIbLb0EES16_EEDaS11_S12_EUlS11_E_NS1_11comp_targetILNS1_3genE10ELNS1_11target_archE1200ELNS1_3gpuE4ELNS1_3repE0EEENS1_30default_config_static_selectorELNS0_4arch9wavefront6targetE0EEEvT1_
                                        ; -- End function
	.section	.AMDGPU.csdata,"",@progbits
; Kernel info:
; codeLenInByte = 0
; NumSgprs: 0
; NumVgprs: 0
; ScratchSize: 0
; MemoryBound: 0
; FloatMode: 240
; IeeeMode: 1
; LDSByteSize: 0 bytes/workgroup (compile time only)
; SGPRBlocks: 0
; VGPRBlocks: 0
; NumSGPRsForWavesPerEU: 1
; NumVGPRsForWavesPerEU: 1
; Occupancy: 16
; WaveLimiterHint : 0
; COMPUTE_PGM_RSRC2:SCRATCH_EN: 0
; COMPUTE_PGM_RSRC2:USER_SGPR: 15
; COMPUTE_PGM_RSRC2:TRAP_HANDLER: 0
; COMPUTE_PGM_RSRC2:TGID_X_EN: 1
; COMPUTE_PGM_RSRC2:TGID_Y_EN: 0
; COMPUTE_PGM_RSRC2:TGID_Z_EN: 0
; COMPUTE_PGM_RSRC2:TIDIG_COMP_CNT: 0
	.section	.text._ZN7rocprim17ROCPRIM_400000_NS6detail17trampoline_kernelINS0_14default_configENS1_29reduce_by_key_config_selectorIjsN6thrust23THRUST_200600_302600_NS4plusIsEEEEZZNS1_33reduce_by_key_impl_wrapped_configILNS1_25lookback_scan_determinismE0ES3_S9_NS6_6detail15normal_iteratorINS6_10device_ptrIjEEEENSD_INSE_IsEEEENS6_16discard_iteratorINS6_11use_defaultEEESI_PmS8_NS6_8equal_toIjEEEE10hipError_tPvRmT2_T3_mT4_T5_T6_T7_T8_P12ihipStream_tbENKUlT_T0_E_clISt17integral_constantIbLb0EES16_EEDaS11_S12_EUlS11_E_NS1_11comp_targetILNS1_3genE9ELNS1_11target_archE1100ELNS1_3gpuE3ELNS1_3repE0EEENS1_30default_config_static_selectorELNS0_4arch9wavefront6targetE0EEEvT1_,"axG",@progbits,_ZN7rocprim17ROCPRIM_400000_NS6detail17trampoline_kernelINS0_14default_configENS1_29reduce_by_key_config_selectorIjsN6thrust23THRUST_200600_302600_NS4plusIsEEEEZZNS1_33reduce_by_key_impl_wrapped_configILNS1_25lookback_scan_determinismE0ES3_S9_NS6_6detail15normal_iteratorINS6_10device_ptrIjEEEENSD_INSE_IsEEEENS6_16discard_iteratorINS6_11use_defaultEEESI_PmS8_NS6_8equal_toIjEEEE10hipError_tPvRmT2_T3_mT4_T5_T6_T7_T8_P12ihipStream_tbENKUlT_T0_E_clISt17integral_constantIbLb0EES16_EEDaS11_S12_EUlS11_E_NS1_11comp_targetILNS1_3genE9ELNS1_11target_archE1100ELNS1_3gpuE3ELNS1_3repE0EEENS1_30default_config_static_selectorELNS0_4arch9wavefront6targetE0EEEvT1_,comdat
	.protected	_ZN7rocprim17ROCPRIM_400000_NS6detail17trampoline_kernelINS0_14default_configENS1_29reduce_by_key_config_selectorIjsN6thrust23THRUST_200600_302600_NS4plusIsEEEEZZNS1_33reduce_by_key_impl_wrapped_configILNS1_25lookback_scan_determinismE0ES3_S9_NS6_6detail15normal_iteratorINS6_10device_ptrIjEEEENSD_INSE_IsEEEENS6_16discard_iteratorINS6_11use_defaultEEESI_PmS8_NS6_8equal_toIjEEEE10hipError_tPvRmT2_T3_mT4_T5_T6_T7_T8_P12ihipStream_tbENKUlT_T0_E_clISt17integral_constantIbLb0EES16_EEDaS11_S12_EUlS11_E_NS1_11comp_targetILNS1_3genE9ELNS1_11target_archE1100ELNS1_3gpuE3ELNS1_3repE0EEENS1_30default_config_static_selectorELNS0_4arch9wavefront6targetE0EEEvT1_ ; -- Begin function _ZN7rocprim17ROCPRIM_400000_NS6detail17trampoline_kernelINS0_14default_configENS1_29reduce_by_key_config_selectorIjsN6thrust23THRUST_200600_302600_NS4plusIsEEEEZZNS1_33reduce_by_key_impl_wrapped_configILNS1_25lookback_scan_determinismE0ES3_S9_NS6_6detail15normal_iteratorINS6_10device_ptrIjEEEENSD_INSE_IsEEEENS6_16discard_iteratorINS6_11use_defaultEEESI_PmS8_NS6_8equal_toIjEEEE10hipError_tPvRmT2_T3_mT4_T5_T6_T7_T8_P12ihipStream_tbENKUlT_T0_E_clISt17integral_constantIbLb0EES16_EEDaS11_S12_EUlS11_E_NS1_11comp_targetILNS1_3genE9ELNS1_11target_archE1100ELNS1_3gpuE3ELNS1_3repE0EEENS1_30default_config_static_selectorELNS0_4arch9wavefront6targetE0EEEvT1_
	.globl	_ZN7rocprim17ROCPRIM_400000_NS6detail17trampoline_kernelINS0_14default_configENS1_29reduce_by_key_config_selectorIjsN6thrust23THRUST_200600_302600_NS4plusIsEEEEZZNS1_33reduce_by_key_impl_wrapped_configILNS1_25lookback_scan_determinismE0ES3_S9_NS6_6detail15normal_iteratorINS6_10device_ptrIjEEEENSD_INSE_IsEEEENS6_16discard_iteratorINS6_11use_defaultEEESI_PmS8_NS6_8equal_toIjEEEE10hipError_tPvRmT2_T3_mT4_T5_T6_T7_T8_P12ihipStream_tbENKUlT_T0_E_clISt17integral_constantIbLb0EES16_EEDaS11_S12_EUlS11_E_NS1_11comp_targetILNS1_3genE9ELNS1_11target_archE1100ELNS1_3gpuE3ELNS1_3repE0EEENS1_30default_config_static_selectorELNS0_4arch9wavefront6targetE0EEEvT1_
	.p2align	8
	.type	_ZN7rocprim17ROCPRIM_400000_NS6detail17trampoline_kernelINS0_14default_configENS1_29reduce_by_key_config_selectorIjsN6thrust23THRUST_200600_302600_NS4plusIsEEEEZZNS1_33reduce_by_key_impl_wrapped_configILNS1_25lookback_scan_determinismE0ES3_S9_NS6_6detail15normal_iteratorINS6_10device_ptrIjEEEENSD_INSE_IsEEEENS6_16discard_iteratorINS6_11use_defaultEEESI_PmS8_NS6_8equal_toIjEEEE10hipError_tPvRmT2_T3_mT4_T5_T6_T7_T8_P12ihipStream_tbENKUlT_T0_E_clISt17integral_constantIbLb0EES16_EEDaS11_S12_EUlS11_E_NS1_11comp_targetILNS1_3genE9ELNS1_11target_archE1100ELNS1_3gpuE3ELNS1_3repE0EEENS1_30default_config_static_selectorELNS0_4arch9wavefront6targetE0EEEvT1_,@function
_ZN7rocprim17ROCPRIM_400000_NS6detail17trampoline_kernelINS0_14default_configENS1_29reduce_by_key_config_selectorIjsN6thrust23THRUST_200600_302600_NS4plusIsEEEEZZNS1_33reduce_by_key_impl_wrapped_configILNS1_25lookback_scan_determinismE0ES3_S9_NS6_6detail15normal_iteratorINS6_10device_ptrIjEEEENSD_INSE_IsEEEENS6_16discard_iteratorINS6_11use_defaultEEESI_PmS8_NS6_8equal_toIjEEEE10hipError_tPvRmT2_T3_mT4_T5_T6_T7_T8_P12ihipStream_tbENKUlT_T0_E_clISt17integral_constantIbLb0EES16_EEDaS11_S12_EUlS11_E_NS1_11comp_targetILNS1_3genE9ELNS1_11target_archE1100ELNS1_3gpuE3ELNS1_3repE0EEENS1_30default_config_static_selectorELNS0_4arch9wavefront6targetE0EEEvT1_: ; @_ZN7rocprim17ROCPRIM_400000_NS6detail17trampoline_kernelINS0_14default_configENS1_29reduce_by_key_config_selectorIjsN6thrust23THRUST_200600_302600_NS4plusIsEEEEZZNS1_33reduce_by_key_impl_wrapped_configILNS1_25lookback_scan_determinismE0ES3_S9_NS6_6detail15normal_iteratorINS6_10device_ptrIjEEEENSD_INSE_IsEEEENS6_16discard_iteratorINS6_11use_defaultEEESI_PmS8_NS6_8equal_toIjEEEE10hipError_tPvRmT2_T3_mT4_T5_T6_T7_T8_P12ihipStream_tbENKUlT_T0_E_clISt17integral_constantIbLb0EES16_EEDaS11_S12_EUlS11_E_NS1_11comp_targetILNS1_3genE9ELNS1_11target_archE1100ELNS1_3gpuE3ELNS1_3repE0EEENS1_30default_config_static_selectorELNS0_4arch9wavefront6targetE0EEEvT1_
; %bb.0:
	s_clause 0x2
	s_load_b128 s[4:7], s[0:1], 0x0
	s_load_b256 s[20:27], s[0:1], 0x40
	s_load_b64 s[8:9], s[0:1], 0x10
	s_mov_b32 s3, 0
	s_clause 0x1
	s_load_b64 s[18:19], s[0:1], 0x70
	s_load_b128 s[28:31], s[0:1], 0x60
	s_mul_i32 s2, s15, 0xf00
	v_lshlrev_b32_e32 v5, 2, v0
	v_mad_u32_u24 v3, v0, 15, 1
	v_mad_u32_u24 v20, v0, 15, 2
	;; [unrolled: 1-line block ×13, first 2 shown]
	s_waitcnt lgkmcnt(0)
	s_lshl_b64 s[10:11], s[6:7], 2
	s_mul_i32 s12, s24, s23
	s_add_u32 s10, s4, s10
	s_addc_u32 s11, s5, s11
	s_lshl_b64 s[4:5], s[6:7], 1
	s_mul_hi_u32 s13, s24, s22
	s_add_u32 s7, s8, s4
	s_mul_i32 s6, s25, s22
	s_addc_u32 s8, s9, s5
	s_add_i32 s9, s13, s12
	s_lshl_b64 s[4:5], s[2:3], 2
	s_add_i32 s9, s9, s6
	s_add_u32 s38, s10, s4
	s_addc_u32 s37, s11, s5
	s_lshl_b64 s[4:5], s[2:3], 1
	s_mul_i32 s2, s24, s22
	s_add_u32 s24, s7, s4
	s_addc_u32 s25, s8, s5
	s_add_u32 s34, s2, s15
	s_addc_u32 s35, s9, 0
	s_add_u32 s4, s26, -1
	s_addc_u32 s5, s27, -1
	v_mad_u32_u24 v1, v0, 15, 14
	s_cmp_eq_u64 s[34:35], s[4:5]
	s_mul_i32 s33, s4, 0xfffff100
	s_cselect_b32 s17, -1, 0
	s_cmp_lg_u64 s[34:35], s[4:5]
	s_cselect_b32 s39, -1, 0
	s_and_b32 vcc_lo, exec_lo, s17
	s_cbranch_vccnz .LBB1064_2
; %bb.1:
	v_add_co_u32 v6, s2, s38, v5
	s_delay_alu instid0(VALU_DEP_1) | instskip(SKIP_1) | instid1(VALU_DEP_3)
	v_add_co_ci_u32_e64 v7, null, s37, 0, s2
	v_mad_u32_u24 v21, v0, 56, v5
	v_add_co_u32 v8, vcc_lo, 0x1000, v6
	s_delay_alu instid0(VALU_DEP_3)
	v_add_co_ci_u32_e32 v9, vcc_lo, 0, v7, vcc_lo
	s_clause 0x7
	flat_load_b32 v2, v[6:7]
	flat_load_b32 v4, v[6:7] offset:1024
	flat_load_b32 v10, v[6:7] offset:2048
	;; [unrolled: 1-line block ×3, first 2 shown]
	flat_load_b32 v12, v[8:9]
	flat_load_b32 v13, v[8:9] offset:1024
	flat_load_b32 v14, v[8:9] offset:2048
	;; [unrolled: 1-line block ×3, first 2 shown]
	v_add_co_u32 v8, vcc_lo, 0x2000, v6
	v_add_co_ci_u32_e32 v9, vcc_lo, 0, v7, vcc_lo
	v_add_co_u32 v6, vcc_lo, 0x3000, v6
	v_add_co_ci_u32_e32 v7, vcc_lo, 0, v7, vcc_lo
	s_clause 0x6
	flat_load_b32 v16, v[8:9]
	flat_load_b32 v17, v[8:9] offset:1024
	flat_load_b32 v18, v[8:9] offset:2048
	;; [unrolled: 1-line block ×3, first 2 shown]
	flat_load_b32 v9, v[6:7]
	flat_load_b32 v19, v[6:7] offset:1024
	flat_load_b32 v6, v[6:7] offset:2048
	v_lshlrev_b32_e32 v7, 1, v0
	s_waitcnt vmcnt(13) lgkmcnt(13)
	ds_store_2addr_stride64_b32 v5, v2, v4 offset1:4
	s_waitcnt vmcnt(11) lgkmcnt(12)
	ds_store_2addr_stride64_b32 v5, v10, v11 offset0:8 offset1:12
	s_waitcnt vmcnt(9) lgkmcnt(11)
	ds_store_2addr_stride64_b32 v5, v12, v13 offset0:16 offset1:20
	;; [unrolled: 2-line block ×6, first 2 shown]
	s_waitcnt vmcnt(0) lgkmcnt(7)
	ds_store_b32 v5, v6 offset:14336
	v_add_co_u32 v43, s2, s24, v7
	s_delay_alu instid0(VALU_DEP_1) | instskip(SKIP_1) | instid1(VALU_DEP_2)
	v_add_co_ci_u32_e64 v44, null, s25, 0, s2
	s_waitcnt lgkmcnt(0)
	v_add_co_u32 v45, vcc_lo, 0x1000, v43
	s_delay_alu instid0(VALU_DEP_2)
	v_add_co_ci_u32_e32 v46, vcc_lo, 0, v44, vcc_lo
	s_barrier
	buffer_gl0_inv
	ds_load_2addr_b32 v[18:19], v21 offset1:1
	ds_load_2addr_b32 v[16:17], v21 offset0:2 offset1:3
	ds_load_2addr_b32 v[14:15], v21 offset0:4 offset1:5
	;; [unrolled: 1-line block ×6, first 2 shown]
	ds_load_b32 v52, v21 offset:56
	s_waitcnt lgkmcnt(0)
	s_barrier
	buffer_gl0_inv
	s_clause 0xe
	flat_load_u16 v4, v[43:44]
	flat_load_u16 v23, v[43:44] offset:512
	flat_load_u16 v25, v[43:44] offset:1024
	flat_load_u16 v27, v[43:44] offset:1536
	flat_load_u16 v29, v[43:44] offset:2048
	flat_load_u16 v31, v[43:44] offset:2560
	flat_load_u16 v33, v[43:44] offset:3072
	flat_load_u16 v35, v[43:44] offset:3584
	flat_load_u16 v37, v[45:46]
	flat_load_u16 v39, v[45:46] offset:512
	flat_load_u16 v41, v[45:46] offset:1024
	;; [unrolled: 1-line block ×6, first 2 shown]
	v_mad_i32_i24 v21, 0xffffffc6, v0, v21
	v_mul_u32_u24_e32 v2, 15, v0
	s_waitcnt vmcnt(14) lgkmcnt(14)
	ds_store_b16 v21, v4
	s_waitcnt vmcnt(13) lgkmcnt(14)
	ds_store_b16 v21, v23 offset:512
	s_waitcnt vmcnt(12) lgkmcnt(14)
	ds_store_b16 v21, v25 offset:1024
	;; [unrolled: 2-line block ×14, first 2 shown]
	s_waitcnt lgkmcnt(0)
	s_barrier
	s_branch .LBB1064_3
.LBB1064_2:
	s_mov_b32 s3, -1
                                        ; implicit-def: $vgpr2
                                        ; implicit-def: $vgpr18
                                        ; implicit-def: $vgpr16
                                        ; implicit-def: $vgpr14
                                        ; implicit-def: $vgpr12
                                        ; implicit-def: $vgpr10
                                        ; implicit-def: $vgpr8
                                        ; implicit-def: $vgpr6
                                        ; implicit-def: $vgpr52
.LBB1064_3:
	v_dual_mov_b32 v4, v1 :: v_dual_mov_b32 v21, v42
	v_dual_mov_b32 v29, v40 :: v_dual_mov_b32 v54, v3
	;; [unrolled: 1-line block ×3, first 2 shown]
	v_mov_b32_e32 v23, v36
	v_dual_mov_b32 v25, v34 :: v_dual_mov_b32 v50, v24
	v_mov_b32_e32 v27, v32
	v_mov_b32_e32 v47, v30
	;; [unrolled: 1-line block ×5, first 2 shown]
	s_and_not1_b32 vcc_lo, exec_lo, s3
	s_add_i32 s33, s33, s28
	s_cbranch_vccnz .LBB1064_65
; %bb.4:
	v_cmp_gt_u32_e32 vcc_lo, s33, v0
                                        ; implicit-def: $vgpr6
	s_and_saveexec_b32 s2, vcc_lo
	s_cbranch_execz .LBB1064_6
; %bb.5:
	v_add_co_u32 v6, s3, s38, v5
	s_delay_alu instid0(VALU_DEP_1)
	v_add_co_ci_u32_e64 v7, null, s37, 0, s3
	flat_load_b32 v6, v[6:7]
.LBB1064_6:
	s_or_b32 exec_lo, exec_lo, s2
	v_or_b32_e32 v2, 0x100, v0
                                        ; implicit-def: $vgpr7
	s_delay_alu instid0(VALU_DEP_1) | instskip(NEXT) | instid1(VALU_DEP_1)
	v_cmp_gt_u32_e64 s2, s33, v2
	s_and_saveexec_b32 s3, s2
	s_cbranch_execz .LBB1064_8
; %bb.7:
	v_add_co_u32 v7, s4, s38, v5
	s_delay_alu instid0(VALU_DEP_1)
	v_add_co_ci_u32_e64 v8, null, s37, 0, s4
	flat_load_b32 v7, v[7:8] offset:1024
.LBB1064_8:
	s_or_b32 exec_lo, exec_lo, s3
	v_or_b32_e32 v2, 0x200, v0
                                        ; implicit-def: $vgpr8
	s_delay_alu instid0(VALU_DEP_1) | instskip(NEXT) | instid1(VALU_DEP_1)
	v_cmp_gt_u32_e64 s3, s33, v2
	s_and_saveexec_b32 s4, s3
	s_cbranch_execz .LBB1064_10
; %bb.9:
	v_add_co_u32 v8, s5, s38, v5
	s_delay_alu instid0(VALU_DEP_1)
	v_add_co_ci_u32_e64 v9, null, s37, 0, s5
	flat_load_b32 v8, v[8:9] offset:2048
.LBB1064_10:
	s_or_b32 exec_lo, exec_lo, s4
	v_or_b32_e32 v2, 0x300, v0
                                        ; implicit-def: $vgpr9
	s_delay_alu instid0(VALU_DEP_1) | instskip(NEXT) | instid1(VALU_DEP_1)
	v_cmp_gt_u32_e64 s4, s33, v2
	s_and_saveexec_b32 s5, s4
	s_cbranch_execz .LBB1064_12
; %bb.11:
	v_add_co_u32 v9, s6, s38, v5
	s_delay_alu instid0(VALU_DEP_1)
	v_add_co_ci_u32_e64 v10, null, s37, 0, s6
	flat_load_b32 v9, v[9:10] offset:3072
.LBB1064_12:
	s_or_b32 exec_lo, exec_lo, s5
	v_or_b32_e32 v2, 0x400, v0
                                        ; implicit-def: $vgpr10
	s_delay_alu instid0(VALU_DEP_1) | instskip(NEXT) | instid1(VALU_DEP_1)
	v_cmp_gt_u32_e64 s5, s33, v2
	s_and_saveexec_b32 s6, s5
	s_cbranch_execz .LBB1064_14
; %bb.13:
	v_lshlrev_b32_e32 v2, 2, v2
	s_delay_alu instid0(VALU_DEP_1) | instskip(NEXT) | instid1(VALU_DEP_1)
	v_add_co_u32 v10, s7, s38, v2
	v_add_co_ci_u32_e64 v11, null, s37, 0, s7
	flat_load_b32 v10, v[10:11]
.LBB1064_14:
	s_or_b32 exec_lo, exec_lo, s6
	v_or_b32_e32 v2, 0x500, v0
                                        ; implicit-def: $vgpr11
	s_delay_alu instid0(VALU_DEP_1) | instskip(NEXT) | instid1(VALU_DEP_1)
	v_cmp_gt_u32_e64 s6, s33, v2
	s_and_saveexec_b32 s7, s6
	s_cbranch_execz .LBB1064_16
; %bb.15:
	v_lshlrev_b32_e32 v2, 2, v2
	s_delay_alu instid0(VALU_DEP_1) | instskip(NEXT) | instid1(VALU_DEP_1)
	v_add_co_u32 v11, s8, s38, v2
	v_add_co_ci_u32_e64 v12, null, s37, 0, s8
	flat_load_b32 v11, v[11:12]
.LBB1064_16:
	s_or_b32 exec_lo, exec_lo, s7
	v_or_b32_e32 v2, 0x600, v0
                                        ; implicit-def: $vgpr12
	s_delay_alu instid0(VALU_DEP_1) | instskip(NEXT) | instid1(VALU_DEP_1)
	v_cmp_gt_u32_e64 s7, s33, v2
	s_and_saveexec_b32 s8, s7
	s_cbranch_execz .LBB1064_18
; %bb.17:
	v_lshlrev_b32_e32 v2, 2, v2
	s_delay_alu instid0(VALU_DEP_1) | instskip(NEXT) | instid1(VALU_DEP_1)
	v_add_co_u32 v12, s9, s38, v2
	v_add_co_ci_u32_e64 v13, null, s37, 0, s9
	flat_load_b32 v12, v[12:13]
.LBB1064_18:
	s_or_b32 exec_lo, exec_lo, s8
	v_or_b32_e32 v2, 0x700, v0
                                        ; implicit-def: $vgpr13
	s_delay_alu instid0(VALU_DEP_1) | instskip(NEXT) | instid1(VALU_DEP_1)
	v_cmp_gt_u32_e64 s8, s33, v2
	s_and_saveexec_b32 s9, s8
	s_cbranch_execz .LBB1064_20
; %bb.19:
	v_lshlrev_b32_e32 v2, 2, v2
	s_delay_alu instid0(VALU_DEP_1) | instskip(NEXT) | instid1(VALU_DEP_1)
	v_add_co_u32 v13, s10, s38, v2
	v_add_co_ci_u32_e64 v14, null, s37, 0, s10
	flat_load_b32 v13, v[13:14]
.LBB1064_20:
	s_or_b32 exec_lo, exec_lo, s9
	v_or_b32_e32 v2, 0x800, v0
                                        ; implicit-def: $vgpr14
	s_delay_alu instid0(VALU_DEP_1) | instskip(NEXT) | instid1(VALU_DEP_1)
	v_cmp_gt_u32_e64 s9, s33, v2
	s_and_saveexec_b32 s10, s9
	s_cbranch_execz .LBB1064_22
; %bb.21:
	v_lshlrev_b32_e32 v4, 2, v2
	s_delay_alu instid0(VALU_DEP_1) | instskip(NEXT) | instid1(VALU_DEP_1)
	v_add_co_u32 v14, s11, s38, v4
	v_add_co_ci_u32_e64 v15, null, s37, 0, s11
	flat_load_b32 v14, v[14:15]
.LBB1064_22:
	s_or_b32 exec_lo, exec_lo, s10
	v_or_b32_e32 v4, 0x900, v0
                                        ; implicit-def: $vgpr15
	s_delay_alu instid0(VALU_DEP_1) | instskip(NEXT) | instid1(VALU_DEP_1)
	v_cmp_gt_u32_e64 s10, s33, v4
	s_and_saveexec_b32 s11, s10
	s_cbranch_execz .LBB1064_24
; %bb.23:
	v_lshlrev_b32_e32 v15, 2, v4
	s_delay_alu instid0(VALU_DEP_1) | instskip(NEXT) | instid1(VALU_DEP_1)
	v_add_co_u32 v15, s12, s38, v15
	v_add_co_ci_u32_e64 v16, null, s37, 0, s12
	flat_load_b32 v15, v[15:16]
.LBB1064_24:
	s_or_b32 exec_lo, exec_lo, s11
	v_or_b32_e32 v23, 0xa00, v0
                                        ; implicit-def: $vgpr16
	s_delay_alu instid0(VALU_DEP_1) | instskip(NEXT) | instid1(VALU_DEP_1)
	v_cmp_gt_u32_e64 s11, s33, v23
	s_and_saveexec_b32 s12, s11
	s_cbranch_execz .LBB1064_26
; %bb.25:
	v_lshlrev_b32_e32 v16, 2, v23
	s_delay_alu instid0(VALU_DEP_1) | instskip(NEXT) | instid1(VALU_DEP_1)
	v_add_co_u32 v16, s13, s38, v16
	v_add_co_ci_u32_e64 v17, null, s37, 0, s13
	flat_load_b32 v16, v[16:17]
.LBB1064_26:
	s_or_b32 exec_lo, exec_lo, s12
	v_or_b32_e32 v25, 0xb00, v0
                                        ; implicit-def: $vgpr17
	s_delay_alu instid0(VALU_DEP_1) | instskip(NEXT) | instid1(VALU_DEP_1)
	v_cmp_gt_u32_e64 s12, s33, v25
	s_and_saveexec_b32 s13, s12
	s_cbranch_execz .LBB1064_28
; %bb.27:
	v_lshlrev_b32_e32 v17, 2, v25
	s_delay_alu instid0(VALU_DEP_1) | instskip(NEXT) | instid1(VALU_DEP_1)
	v_add_co_u32 v17, s14, s38, v17
	v_add_co_ci_u32_e64 v18, null, s37, 0, s14
	flat_load_b32 v17, v[17:18]
.LBB1064_28:
	s_or_b32 exec_lo, exec_lo, s13
	v_or_b32_e32 v27, 0xc00, v0
                                        ; implicit-def: $vgpr18
	s_delay_alu instid0(VALU_DEP_1) | instskip(NEXT) | instid1(VALU_DEP_1)
	v_cmp_gt_u32_e64 s13, s33, v27
	s_and_saveexec_b32 s14, s13
	s_cbranch_execz .LBB1064_30
; %bb.29:
	v_lshlrev_b32_e32 v18, 2, v27
	s_delay_alu instid0(VALU_DEP_1) | instskip(NEXT) | instid1(VALU_DEP_1)
	v_add_co_u32 v18, s16, s38, v18
	v_add_co_ci_u32_e64 v19, null, s37, 0, s16
	flat_load_b32 v18, v[18:19]
.LBB1064_30:
	s_or_b32 exec_lo, exec_lo, s14
	v_or_b32_e32 v29, 0xd00, v0
                                        ; implicit-def: $vgpr19
	s_delay_alu instid0(VALU_DEP_1) | instskip(NEXT) | instid1(VALU_DEP_1)
	v_cmp_gt_u32_e64 s14, s33, v29
	s_and_saveexec_b32 s16, s14
	s_cbranch_execz .LBB1064_32
; %bb.31:
	v_lshlrev_b32_e32 v19, 2, v29
	s_delay_alu instid0(VALU_DEP_1) | instskip(NEXT) | instid1(VALU_DEP_1)
	v_add_co_u32 v43, s26, s38, v19
	v_add_co_ci_u32_e64 v44, null, s37, 0, s26
	flat_load_b32 v19, v[43:44]
.LBB1064_32:
	s_or_b32 exec_lo, exec_lo, s16
	v_or_b32_e32 v31, 0xe00, v0
                                        ; implicit-def: $vgpr33
	s_delay_alu instid0(VALU_DEP_1) | instskip(NEXT) | instid1(VALU_DEP_1)
	v_cmp_gt_u32_e64 s16, s33, v31
	s_and_saveexec_b32 s26, s16
	s_cbranch_execz .LBB1064_34
; %bb.33:
	v_lshlrev_b32_e32 v21, 2, v31
	s_delay_alu instid0(VALU_DEP_1) | instskip(NEXT) | instid1(VALU_DEP_1)
	v_add_co_u32 v43, s27, s38, v21
	v_add_co_ci_u32_e64 v44, null, s37, 0, s27
	flat_load_b32 v33, v[43:44]
.LBB1064_34:
	s_or_b32 exec_lo, exec_lo, s26
	v_mad_u32_u24 v21, v0, 56, v5
	s_waitcnt vmcnt(0) lgkmcnt(0)
	ds_store_2addr_stride64_b32 v5, v6, v7 offset1:4
	ds_store_2addr_stride64_b32 v5, v8, v9 offset0:8 offset1:12
	ds_store_2addr_stride64_b32 v5, v10, v11 offset0:16 offset1:20
	;; [unrolled: 1-line block ×6, first 2 shown]
	ds_store_b32 v5, v33 offset:14336
	s_waitcnt lgkmcnt(0)
	s_barrier
	buffer_gl0_inv
	ds_load_2addr_b32 v[18:19], v21 offset1:1
	ds_load_2addr_b32 v[16:17], v21 offset0:2 offset1:3
	ds_load_2addr_b32 v[14:15], v21 offset0:4 offset1:5
	;; [unrolled: 1-line block ×6, first 2 shown]
	ds_load_b32 v52, v21 offset:56
	s_waitcnt lgkmcnt(0)
	s_barrier
	buffer_gl0_inv
                                        ; implicit-def: $vgpr33
	s_and_saveexec_b32 s26, vcc_lo
	s_cbranch_execz .LBB1064_48
; %bb.35:
	v_lshlrev_b32_e32 v33, 1, v0
	s_delay_alu instid0(VALU_DEP_1) | instskip(NEXT) | instid1(VALU_DEP_1)
	v_add_co_u32 v43, s27, s24, v33
	v_add_co_ci_u32_e64 v44, null, s25, 0, s27
	flat_load_u16 v33, v[43:44]
	s_or_b32 exec_lo, exec_lo, s26
                                        ; implicit-def: $vgpr35
	s_and_saveexec_b32 s26, s2
	s_cbranch_execnz .LBB1064_49
.LBB1064_36:
	s_or_b32 exec_lo, exec_lo, s26
                                        ; implicit-def: $vgpr37
	s_and_saveexec_b32 s2, s3
	s_cbranch_execz .LBB1064_50
.LBB1064_37:
	v_lshlrev_b32_e32 v37, 1, v0
	s_delay_alu instid0(VALU_DEP_1) | instskip(NEXT) | instid1(VALU_DEP_1)
	v_add_co_u32 v43, s3, s24, v37
	v_add_co_ci_u32_e64 v44, null, s25, 0, s3
	flat_load_u16 v37, v[43:44] offset:1024
	s_or_b32 exec_lo, exec_lo, s2
                                        ; implicit-def: $vgpr39
	s_and_saveexec_b32 s2, s4
	s_cbranch_execnz .LBB1064_51
.LBB1064_38:
	s_or_b32 exec_lo, exec_lo, s2
                                        ; implicit-def: $vgpr41
	s_and_saveexec_b32 s2, s5
	s_cbranch_execz .LBB1064_52
.LBB1064_39:
	v_lshlrev_b32_e32 v41, 1, v0
	s_delay_alu instid0(VALU_DEP_1) | instskip(NEXT) | instid1(VALU_DEP_1)
	v_add_co_u32 v43, s3, s24, v41
	v_add_co_ci_u32_e64 v44, null, s25, 0, s3
	flat_load_u16 v41, v[43:44] offset:2048
	s_or_b32 exec_lo, exec_lo, s2
                                        ; implicit-def: $vgpr43
	s_and_saveexec_b32 s2, s6
	s_cbranch_execnz .LBB1064_53
.LBB1064_40:
	s_or_b32 exec_lo, exec_lo, s2
                                        ; implicit-def: $vgpr44
	s_and_saveexec_b32 s2, s7
	s_cbranch_execz .LBB1064_54
.LBB1064_41:
	v_lshlrev_b32_e32 v44, 1, v0
	s_delay_alu instid0(VALU_DEP_1) | instskip(NEXT) | instid1(VALU_DEP_1)
	v_add_co_u32 v44, s3, s24, v44
	v_add_co_ci_u32_e64 v45, null, s25, 0, s3
	flat_load_u16 v44, v[44:45] offset:3072
	s_or_b32 exec_lo, exec_lo, s2
                                        ; implicit-def: $vgpr45
	s_and_saveexec_b32 s2, s8
	s_cbranch_execnz .LBB1064_55
.LBB1064_42:
	s_or_b32 exec_lo, exec_lo, s2
                                        ; implicit-def: $vgpr46
	s_and_saveexec_b32 s2, s9
	s_cbranch_execz .LBB1064_56
.LBB1064_43:
	v_lshlrev_b32_e32 v2, 1, v2
	s_delay_alu instid0(VALU_DEP_1) | instskip(NEXT) | instid1(VALU_DEP_1)
	v_add_co_u32 v46, s3, s24, v2
	v_add_co_ci_u32_e64 v47, null, s25, 0, s3
	flat_load_u16 v46, v[46:47]
	s_or_b32 exec_lo, exec_lo, s2
                                        ; implicit-def: $vgpr55
	s_and_saveexec_b32 s2, s10
	s_cbranch_execnz .LBB1064_57
.LBB1064_44:
	s_or_b32 exec_lo, exec_lo, s2
                                        ; implicit-def: $vgpr56
	s_and_saveexec_b32 s2, s11
	s_cbranch_execz .LBB1064_58
.LBB1064_45:
	v_lshlrev_b32_e32 v2, 1, v23
	s_delay_alu instid0(VALU_DEP_1) | instskip(NEXT) | instid1(VALU_DEP_1)
	v_add_co_u32 v47, s3, s24, v2
	v_add_co_ci_u32_e64 v48, null, s25, 0, s3
	flat_load_u16 v56, v[47:48]
	s_or_b32 exec_lo, exec_lo, s2
                                        ; implicit-def: $vgpr57
	s_and_saveexec_b32 s2, s12
	s_cbranch_execnz .LBB1064_59
.LBB1064_46:
	s_or_b32 exec_lo, exec_lo, s2
                                        ; implicit-def: $vgpr58
	s_and_saveexec_b32 s2, s13
	s_cbranch_execz .LBB1064_60
.LBB1064_47:
	v_lshlrev_b32_e32 v2, 1, v27
	s_delay_alu instid0(VALU_DEP_1) | instskip(NEXT) | instid1(VALU_DEP_1)
	v_add_co_u32 v47, s3, s24, v2
	v_add_co_ci_u32_e64 v48, null, s25, 0, s3
	flat_load_u16 v58, v[47:48]
	s_or_b32 exec_lo, exec_lo, s2
                                        ; implicit-def: $vgpr59
	s_and_saveexec_b32 s2, s14
	s_cbranch_execz .LBB1064_62
	s_branch .LBB1064_61
.LBB1064_48:
	s_or_b32 exec_lo, exec_lo, s26
                                        ; implicit-def: $vgpr35
	s_and_saveexec_b32 s26, s2
	s_cbranch_execz .LBB1064_36
.LBB1064_49:
	v_lshlrev_b32_e32 v35, 1, v0
	s_delay_alu instid0(VALU_DEP_1) | instskip(NEXT) | instid1(VALU_DEP_1)
	v_add_co_u32 v43, s2, s24, v35
	v_add_co_ci_u32_e64 v44, null, s25, 0, s2
	flat_load_u16 v35, v[43:44] offset:512
	s_or_b32 exec_lo, exec_lo, s26
                                        ; implicit-def: $vgpr37
	s_and_saveexec_b32 s2, s3
	s_cbranch_execnz .LBB1064_37
.LBB1064_50:
	s_or_b32 exec_lo, exec_lo, s2
                                        ; implicit-def: $vgpr39
	s_and_saveexec_b32 s2, s4
	s_cbranch_execz .LBB1064_38
.LBB1064_51:
	v_lshlrev_b32_e32 v39, 1, v0
	s_delay_alu instid0(VALU_DEP_1) | instskip(NEXT) | instid1(VALU_DEP_1)
	v_add_co_u32 v43, s3, s24, v39
	v_add_co_ci_u32_e64 v44, null, s25, 0, s3
	flat_load_u16 v39, v[43:44] offset:1536
	s_or_b32 exec_lo, exec_lo, s2
                                        ; implicit-def: $vgpr41
	s_and_saveexec_b32 s2, s5
	s_cbranch_execnz .LBB1064_39
.LBB1064_52:
	s_or_b32 exec_lo, exec_lo, s2
                                        ; implicit-def: $vgpr43
	s_and_saveexec_b32 s2, s6
	s_cbranch_execz .LBB1064_40
.LBB1064_53:
	v_lshlrev_b32_e32 v43, 1, v0
	s_delay_alu instid0(VALU_DEP_1) | instskip(NEXT) | instid1(VALU_DEP_1)
	v_add_co_u32 v43, s3, s24, v43
	v_add_co_ci_u32_e64 v44, null, s25, 0, s3
	flat_load_u16 v43, v[43:44] offset:2560
	s_or_b32 exec_lo, exec_lo, s2
                                        ; implicit-def: $vgpr44
	s_and_saveexec_b32 s2, s7
	s_cbranch_execnz .LBB1064_41
.LBB1064_54:
	s_or_b32 exec_lo, exec_lo, s2
                                        ; implicit-def: $vgpr45
	s_and_saveexec_b32 s2, s8
	s_cbranch_execz .LBB1064_42
.LBB1064_55:
	v_lshlrev_b32_e32 v45, 1, v0
	s_delay_alu instid0(VALU_DEP_1) | instskip(NEXT) | instid1(VALU_DEP_1)
	v_add_co_u32 v45, s3, s24, v45
	v_add_co_ci_u32_e64 v46, null, s25, 0, s3
	flat_load_u16 v45, v[45:46] offset:3584
	s_or_b32 exec_lo, exec_lo, s2
                                        ; implicit-def: $vgpr46
	s_and_saveexec_b32 s2, s9
	s_cbranch_execnz .LBB1064_43
.LBB1064_56:
	s_or_b32 exec_lo, exec_lo, s2
                                        ; implicit-def: $vgpr55
	s_and_saveexec_b32 s2, s10
	s_cbranch_execz .LBB1064_44
.LBB1064_57:
	v_lshlrev_b32_e32 v2, 1, v4
	s_delay_alu instid0(VALU_DEP_1) | instskip(NEXT) | instid1(VALU_DEP_1)
	v_add_co_u32 v47, s3, s24, v2
	v_add_co_ci_u32_e64 v48, null, s25, 0, s3
	flat_load_u16 v55, v[47:48]
	s_or_b32 exec_lo, exec_lo, s2
                                        ; implicit-def: $vgpr56
	s_and_saveexec_b32 s2, s11
	s_cbranch_execnz .LBB1064_45
.LBB1064_58:
	s_or_b32 exec_lo, exec_lo, s2
                                        ; implicit-def: $vgpr57
	s_and_saveexec_b32 s2, s12
	s_cbranch_execz .LBB1064_46
.LBB1064_59:
	v_lshlrev_b32_e32 v2, 1, v25
	s_delay_alu instid0(VALU_DEP_1) | instskip(NEXT) | instid1(VALU_DEP_1)
	v_add_co_u32 v47, s3, s24, v2
	v_add_co_ci_u32_e64 v48, null, s25, 0, s3
	flat_load_u16 v57, v[47:48]
	s_or_b32 exec_lo, exec_lo, s2
                                        ; implicit-def: $vgpr58
	s_and_saveexec_b32 s2, s13
	s_cbranch_execnz .LBB1064_47
.LBB1064_60:
	s_or_b32 exec_lo, exec_lo, s2
                                        ; implicit-def: $vgpr59
	s_and_saveexec_b32 s2, s14
	s_cbranch_execz .LBB1064_62
.LBB1064_61:
	v_lshlrev_b32_e32 v2, 1, v29
	s_delay_alu instid0(VALU_DEP_1) | instskip(NEXT) | instid1(VALU_DEP_1)
	v_add_co_u32 v47, s3, s24, v2
	v_add_co_ci_u32_e64 v48, null, s25, 0, s3
	flat_load_u16 v59, v[47:48]
.LBB1064_62:
	s_or_b32 exec_lo, exec_lo, s2
	v_mul_u32_u24_e32 v2, 15, v0
                                        ; implicit-def: $vgpr60
	s_and_saveexec_b32 s2, s16
	s_cbranch_execz .LBB1064_64
; %bb.63:
	v_lshlrev_b32_e32 v4, 1, v31
	s_delay_alu instid0(VALU_DEP_1) | instskip(NEXT) | instid1(VALU_DEP_1)
	v_add_co_u32 v47, s3, s24, v4
	v_add_co_ci_u32_e64 v48, null, s25, 0, s3
	flat_load_u16 v60, v[47:48]
.LBB1064_64:
	s_or_b32 exec_lo, exec_lo, s2
	s_delay_alu instid0(VALU_DEP_1)
	v_add_nc_u32_e32 v54, 1, v2
	v_add_nc_u32_e32 v53, 2, v2
	;; [unrolled: 1-line block ×10, first 2 shown]
	v_mad_i32_i24 v61, 0xffffffc6, v0, v21
	v_add_nc_u32_e32 v31, 11, v2
	v_add_nc_u32_e32 v29, 12, v2
	;; [unrolled: 1-line block ×4, first 2 shown]
	s_waitcnt vmcnt(0) lgkmcnt(0)
	ds_store_b16 v61, v33
	ds_store_b16 v61, v35 offset:512
	ds_store_b16 v61, v37 offset:1024
	;; [unrolled: 1-line block ×14, first 2 shown]
	s_waitcnt lgkmcnt(0)
	s_barrier
.LBB1064_65:
	v_lshlrev_b32_e32 v2, 1, v2
	v_lshlrev_b32_e32 v33, 1, v54
	;; [unrolled: 1-line block ×5, first 2 shown]
	buffer_gl0_inv
	v_lshlrev_b32_e32 v41, 1, v49
	v_lshlrev_b32_e32 v43, 1, v48
	;; [unrolled: 1-line block ×3, first 2 shown]
	ds_load_u16 v80, v2
	ds_load_u16 v79, v33
	;; [unrolled: 1-line block ×8, first 2 shown]
	v_lshlrev_b32_e32 v2, 1, v27
	v_lshlrev_b32_e32 v25, 1, v25
	;; [unrolled: 1-line block ×7, first 2 shown]
	ds_load_u16 v74, v2
	ds_load_u16 v72, v25
	;; [unrolled: 1-line block ×7, first 2 shown]
	s_load_b128 s[24:27], s[0:1], 0x28
	s_cmp_eq_u64 s[34:35], 0
	s_waitcnt lgkmcnt(0)
	s_cselect_b32 s36, -1, 0
	s_cmp_lg_u64 s[34:35], 0
	s_barrier
	s_cselect_b32 s14, -1, 0
	s_and_b32 vcc_lo, exec_lo, s39
	buffer_gl0_inv
	s_cbranch_vccz .LBB1064_71
; %bb.66:
	s_and_b32 vcc_lo, exec_lo, s14
	s_cbranch_vccz .LBB1064_131
; %bb.67:
	v_add_co_u32 v43, s0, -4, s38
	s_delay_alu instid0(VALU_DEP_1)
	v_add_co_ci_u32_e64 v44, null, -1, s37, s0
	v_cmp_ne_u32_e32 vcc_lo, v7, v52
	v_cmp_ne_u32_e64 s0, v6, v7
	v_cmp_ne_u32_e64 s1, v9, v6
	flat_load_b32 v2, v[43:44]
	v_cmp_ne_u32_e64 s2, v8, v9
	v_cmp_ne_u32_e64 s3, v11, v8
	;; [unrolled: 1-line block ×11, first 2 shown]
	s_mov_b32 s39, -1
	s_mov_b32 s16, 0
	s_mov_b32 s40, exec_lo
	ds_store_b32 v5, v52
	s_waitcnt vmcnt(0) lgkmcnt(0)
	s_barrier
	buffer_gl0_inv
	v_cmpx_ne_u32_e32 0, v0
	s_cbranch_execz .LBB1064_69
; %bb.68:
	v_add_nc_u32_e32 v2, -4, v5
	ds_load_b32 v2, v2
.LBB1064_69:
	s_or_b32 exec_lo, exec_lo, s40
	v_cndmask_b32_e64 v59, 0, 1, vcc_lo
	v_cndmask_b32_e64 v53, 0, 1, s0
	v_cndmask_b32_e64 v54, 0, 1, s1
	;; [unrolled: 1-line block ×13, first 2 shown]
	s_waitcnt lgkmcnt(0)
	v_cmp_ne_u32_e64 s0, v2, v18
	s_and_b32 vcc_lo, exec_lo, s16
	s_cbranch_vccnz .LBB1064_132
.LBB1064_70:
                                        ; implicit-def: $sgpr1
	s_branch .LBB1064_72
.LBB1064_71:
	s_mov_b32 s39, 0
                                        ; implicit-def: $sgpr0
                                        ; implicit-def: $vgpr59
                                        ; implicit-def: $vgpr53
                                        ; implicit-def: $vgpr54
                                        ; implicit-def: $vgpr55
                                        ; implicit-def: $vgpr56
                                        ; implicit-def: $vgpr57
                                        ; implicit-def: $vgpr58
                                        ; implicit-def: $vgpr60
                                        ; implicit-def: $vgpr61
                                        ; implicit-def: $vgpr62
                                        ; implicit-def: $vgpr63
                                        ; implicit-def: $vgpr64
                                        ; implicit-def: $vgpr65
                                        ; implicit-def: $vgpr66
                                        ; implicit-def: $sgpr1
	s_cbranch_execnz .LBB1064_135
.LBB1064_72:
	v_mov_b32_e32 v83, s1
	s_and_saveexec_b32 s1, s39
.LBB1064_73:
	v_cndmask_b32_e64 v83, 0, 1, s0
.LBB1064_74:
	s_or_b32 exec_lo, exec_lo, s1
	s_delay_alu instid0(VALU_DEP_1)
	v_add3_u32 v1, v66, v83, v65
	v_cmp_eq_u32_e64 s12, 0, v66
	v_cmp_eq_u32_e64 s11, 0, v65
	;; [unrolled: 1-line block ×4, first 2 shown]
	v_add3_u32 v87, v1, v64, v63
	v_cmp_eq_u32_e64 s8, 0, v62
	v_cmp_eq_u32_e64 s7, 0, v61
	;; [unrolled: 1-line block ×9, first 2 shown]
	v_cmp_eq_u32_e32 vcc_lo, 0, v59
	v_mbcnt_lo_u32_b32 v84, -1, 0
	v_lshrrev_b32_e32 v85, 5, v0
	v_or_b32_e32 v86, 31, v0
	s_cmp_eq_u64 s[22:23], 0
	s_cselect_b32 s16, -1, 0
	s_cmp_lg_u32 s15, 0
	s_cbranch_scc0 .LBB1064_100
; %bb.75:
	v_cndmask_b32_e64 v1, 0, v80, s12
	v_add3_u32 v2, v87, v62, v61
	v_and_b32_e32 v5, 15, v84
	s_delay_alu instid0(VALU_DEP_3) | instskip(NEXT) | instid1(VALU_DEP_3)
	v_add_nc_u16 v1, v1, v79
	v_add3_u32 v2, v2, v60, v58
	s_delay_alu instid0(VALU_DEP_2) | instskip(NEXT) | instid1(VALU_DEP_2)
	v_cndmask_b32_e64 v1, 0, v1, s11
	v_add3_u32 v2, v2, v57, v56
	s_delay_alu instid0(VALU_DEP_2) | instskip(NEXT) | instid1(VALU_DEP_2)
	v_add_nc_u16 v1, v1, v78
	v_add3_u32 v2, v2, v55, v54
	s_delay_alu instid0(VALU_DEP_2) | instskip(NEXT) | instid1(VALU_DEP_2)
	v_cndmask_b32_e64 v1, 0, v1, s10
	v_add3_u32 v2, v2, v53, v59
	s_delay_alu instid0(VALU_DEP_2) | instskip(NEXT) | instid1(VALU_DEP_2)
	v_add_nc_u16 v1, v1, v77
	v_mov_b32_dpp v20, v2 row_shr:1 row_mask:0xf bank_mask:0xf
	s_delay_alu instid0(VALU_DEP_2) | instskip(NEXT) | instid1(VALU_DEP_1)
	v_cndmask_b32_e64 v1, 0, v1, s9
	v_add_nc_u16 v1, v1, v76
	s_delay_alu instid0(VALU_DEP_1) | instskip(NEXT) | instid1(VALU_DEP_1)
	v_cndmask_b32_e64 v1, 0, v1, s8
	v_add_nc_u16 v1, v1, v75
	s_delay_alu instid0(VALU_DEP_1) | instskip(NEXT) | instid1(VALU_DEP_1)
	;; [unrolled: 3-line block ×9, first 2 shown]
	v_cndmask_b32_e64 v1, 0, v1, s0
	v_add_nc_u16 v1, v1, v67
	s_delay_alu instid0(VALU_DEP_1) | instskip(SKIP_1) | instid1(VALU_DEP_2)
	v_cndmask_b32_e32 v1, 0, v1, vcc_lo
	v_cmp_eq_u32_e32 vcc_lo, 0, v2
	v_add_nc_u16 v1, v1, v81
	s_delay_alu instid0(VALU_DEP_1) | instskip(NEXT) | instid1(VALU_DEP_1)
	v_and_b32_e32 v3, 0xffff, v1
	v_mov_b32_dpp v4, v3 row_shr:1 row_mask:0xf bank_mask:0xf
	s_delay_alu instid0(VALU_DEP_1) | instskip(SKIP_1) | instid1(VALU_DEP_2)
	v_cndmask_b32_e32 v4, 0, v4, vcc_lo
	v_cmp_eq_u32_e32 vcc_lo, 0, v5
	v_add_nc_u16 v4, v4, v1
	v_cndmask_b32_e64 v20, v20, 0, vcc_lo
	s_delay_alu instid0(VALU_DEP_2) | instskip(SKIP_1) | instid1(VALU_DEP_2)
	v_and_b32_e32 v21, 0xffff, v4
	v_cndmask_b32_e32 v1, v4, v1, vcc_lo
	v_dual_cndmask_b32 v3, v21, v3 :: v_dual_add_nc_u32 v2, v20, v2
	s_delay_alu instid0(VALU_DEP_1) | instskip(NEXT) | instid1(VALU_DEP_2)
	v_cmp_eq_u32_e32 vcc_lo, 0, v2
	v_mov_b32_dpp v20, v3 row_shr:2 row_mask:0xf bank_mask:0xf
	s_delay_alu instid0(VALU_DEP_1) | instskip(SKIP_2) | instid1(VALU_DEP_3)
	v_cndmask_b32_e32 v4, 0, v20, vcc_lo
	v_mov_b32_dpp v20, v2 row_shr:2 row_mask:0xf bank_mask:0xf
	v_cmp_lt_u32_e32 vcc_lo, 1, v5
	v_add_nc_u16 v4, v4, v1
	s_delay_alu instid0(VALU_DEP_1) | instskip(SKIP_1) | instid1(VALU_DEP_2)
	v_and_b32_e32 v21, 0xffff, v4
	v_cndmask_b32_e32 v1, v1, v4, vcc_lo
	v_dual_cndmask_b32 v4, 0, v20 :: v_dual_cndmask_b32 v3, v3, v21
	s_delay_alu instid0(VALU_DEP_1) | instskip(NEXT) | instid1(VALU_DEP_2)
	v_add_nc_u32_e32 v2, v2, v4
	v_mov_b32_dpp v4, v3 row_shr:4 row_mask:0xf bank_mask:0xf
	s_delay_alu instid0(VALU_DEP_2) | instskip(SKIP_1) | instid1(VALU_DEP_3)
	v_cmp_eq_u32_e32 vcc_lo, 0, v2
	v_mov_b32_dpp v20, v2 row_shr:4 row_mask:0xf bank_mask:0xf
	v_cndmask_b32_e32 v4, 0, v4, vcc_lo
	v_cmp_lt_u32_e32 vcc_lo, 3, v5
	s_delay_alu instid0(VALU_DEP_2) | instskip(NEXT) | instid1(VALU_DEP_1)
	v_add_nc_u16 v4, v4, v1
	v_and_b32_e32 v21, 0xffff, v4
	v_cndmask_b32_e32 v1, v1, v4, vcc_lo
	s_delay_alu instid0(VALU_DEP_2) | instskip(NEXT) | instid1(VALU_DEP_1)
	v_dual_cndmask_b32 v4, 0, v20 :: v_dual_cndmask_b32 v3, v3, v21
	v_add_nc_u32_e32 v2, v4, v2
	s_delay_alu instid0(VALU_DEP_2) | instskip(NEXT) | instid1(VALU_DEP_2)
	v_mov_b32_dpp v4, v3 row_shr:8 row_mask:0xf bank_mask:0xf
	v_cmp_eq_u32_e32 vcc_lo, 0, v2
	v_mov_b32_dpp v20, v2 row_shr:8 row_mask:0xf bank_mask:0xf
	s_delay_alu instid0(VALU_DEP_3) | instskip(SKIP_1) | instid1(VALU_DEP_2)
	v_cndmask_b32_e32 v4, 0, v4, vcc_lo
	v_cmp_lt_u32_e32 vcc_lo, 7, v5
	v_add_nc_u16 v4, v4, v1
	s_delay_alu instid0(VALU_DEP_4) | instskip(SKIP_1) | instid1(VALU_DEP_3)
	v_cndmask_b32_e32 v5, 0, v20, vcc_lo
	v_bfe_i32 v20, v84, 4, 1
	v_cndmask_b32_e32 v1, v1, v4, vcc_lo
	v_and_b32_e32 v4, 0xffff, v4
	s_delay_alu instid0(VALU_DEP_4) | instskip(SKIP_1) | instid1(VALU_DEP_3)
	v_add_nc_u32_e32 v2, v5, v2
	v_and_b32_e32 v5, 16, v84
	v_cndmask_b32_e32 v3, v3, v4, vcc_lo
	ds_swizzle_b32 v4, v2 offset:swizzle(BROADCAST,32,15)
	v_cmp_ne_u32_e32 vcc_lo, 0, v5
	v_cmp_eq_u32_e64 s13, 0, v2
	ds_swizzle_b32 v3, v3 offset:swizzle(BROADCAST,32,15)
	s_and_b32 vcc_lo, vcc_lo, s13
	s_mov_b32 s13, exec_lo
	s_waitcnt lgkmcnt(0)
	v_dual_cndmask_b32 v3, 0, v3 :: v_dual_and_b32 v4, v20, v4
	s_delay_alu instid0(VALU_DEP_1) | instskip(NEXT) | instid1(VALU_DEP_2)
	v_add_nc_u32_e32 v2, v4, v2
	v_add_nc_u16 v1, v3, v1
	v_lshlrev_b32_e32 v3, 3, v85
	v_cmpx_eq_u32_e64 v86, v0
	s_cbranch_execz .LBB1064_77
; %bb.76:
	ds_store_b32 v3, v2 offset:2064
	ds_store_b16 v3, v1 offset:2068
.LBB1064_77:
	s_or_b32 exec_lo, exec_lo, s13
	s_delay_alu instid0(SALU_CYCLE_1)
	s_mov_b32 s14, exec_lo
	s_waitcnt lgkmcnt(0)
	s_barrier
	buffer_gl0_inv
	v_cmpx_gt_u32_e32 8, v0
	s_cbranch_execz .LBB1064_79
; %bb.78:
	v_lshlrev_b32_e32 v20, 3, v0
	ds_load_b64 v[4:5], v20 offset:2064
	s_waitcnt lgkmcnt(0)
	v_mov_b32_dpp v21, v5 row_shr:1 row_mask:0xf bank_mask:0xf
	v_cmp_eq_u32_e32 vcc_lo, 0, v4
	v_and_b32_e32 v22, 0xffff0000, v5
	v_mov_b32_dpp v25, v4 row_shr:1 row_mask:0xf bank_mask:0xf
	s_delay_alu instid0(VALU_DEP_4) | instskip(NEXT) | instid1(VALU_DEP_1)
	v_cndmask_b32_e32 v21, 0, v21, vcc_lo
	v_add_nc_u16 v21, v21, v5
	s_delay_alu instid0(VALU_DEP_1) | instskip(NEXT) | instid1(VALU_DEP_1)
	v_and_b32_e32 v23, 0xffff, v21
	v_or_b32_e32 v23, v22, v23
	v_and_b32_e32 v24, 7, v84
	s_delay_alu instid0(VALU_DEP_1) | instskip(NEXT) | instid1(VALU_DEP_3)
	v_cmp_eq_u32_e32 vcc_lo, 0, v24
	v_cndmask_b32_e32 v23, v23, v5, vcc_lo
	v_cndmask_b32_e64 v25, v25, 0, vcc_lo
	v_cndmask_b32_e32 v5, v21, v5, vcc_lo
	v_cmp_lt_u32_e64 s13, 3, v24
	s_delay_alu instid0(VALU_DEP_3) | instskip(SKIP_1) | instid1(VALU_DEP_2)
	v_add_nc_u32_e32 v4, v25, v4
	v_mov_b32_dpp v25, v23 row_shr:2 row_mask:0xf bank_mask:0xf
	v_cmp_eq_u32_e32 vcc_lo, 0, v4
	s_delay_alu instid0(VALU_DEP_2) | instskip(SKIP_2) | instid1(VALU_DEP_3)
	v_cndmask_b32_e32 v21, 0, v25, vcc_lo
	v_mov_b32_dpp v25, v4 row_shr:2 row_mask:0xf bank_mask:0xf
	v_cmp_lt_u32_e32 vcc_lo, 1, v24
	v_add_nc_u16 v21, v21, v5
	s_delay_alu instid0(VALU_DEP_1) | instskip(SKIP_2) | instid1(VALU_DEP_3)
	v_and_b32_e32 v26, 0xffff, v21
	v_cndmask_b32_e32 v5, v5, v21, vcc_lo
	v_cndmask_b32_e32 v21, 0, v25, vcc_lo
	v_or_b32_e32 v22, v22, v26
	s_delay_alu instid0(VALU_DEP_1) | instskip(NEXT) | instid1(VALU_DEP_1)
	v_dual_cndmask_b32 v21, v23, v22 :: v_dual_add_nc_u32 v4, v21, v4
	v_cmp_eq_u32_e32 vcc_lo, 0, v4
	s_delay_alu instid0(VALU_DEP_2) | instskip(SKIP_1) | instid1(VALU_DEP_1)
	v_mov_b32_dpp v21, v21 row_shr:4 row_mask:0xf bank_mask:0xf
	s_and_b32 vcc_lo, s13, vcc_lo
	v_cndmask_b32_e32 v21, 0, v21, vcc_lo
	v_mov_b32_dpp v22, v4 row_shr:4 row_mask:0xf bank_mask:0xf
	s_delay_alu instid0(VALU_DEP_2) | instskip(NEXT) | instid1(VALU_DEP_2)
	v_add_nc_u16 v5, v5, v21
	v_cndmask_b32_e64 v22, 0, v22, s13
	s_delay_alu instid0(VALU_DEP_1)
	v_add_nc_u32_e32 v4, v22, v4
	ds_store_b32 v20, v4 offset:2064
	ds_store_b16 v20, v5 offset:2068
.LBB1064_79:
	s_or_b32 exec_lo, exec_lo, s14
	v_cmp_gt_u32_e32 vcc_lo, 32, v0
	v_dual_mov_b32 v25, 0 :: v_dual_mov_b32 v24, 0
	s_mov_b32 s14, exec_lo
	s_waitcnt lgkmcnt(0)
	s_barrier
	buffer_gl0_inv
	v_cmpx_lt_u32_e32 31, v0
	s_cbranch_execz .LBB1064_81
; %bb.80:
	ds_load_u16 v24, v3 offset:2060
	ds_load_b32 v25, v3 offset:2056
	v_cmp_eq_u32_e64 s13, 0, v2
	s_waitcnt lgkmcnt(1)
	s_delay_alu instid0(VALU_DEP_1) | instskip(SKIP_2) | instid1(VALU_DEP_2)
	v_cndmask_b32_e64 v3, 0, v24, s13
	s_waitcnt lgkmcnt(0)
	v_add_nc_u32_e32 v2, v25, v2
	v_add_nc_u16 v1, v3, v1
.LBB1064_81:
	s_or_b32 exec_lo, exec_lo, s14
	v_add_nc_u32_e32 v3, -1, v84
	s_delay_alu instid0(VALU_DEP_2) | instskip(NEXT) | instid1(VALU_DEP_2)
	v_and_b32_e32 v1, 0xffff, v1
	v_cmp_gt_i32_e64 s13, 0, v3
	s_delay_alu instid0(VALU_DEP_1) | instskip(SKIP_1) | instid1(VALU_DEP_2)
	v_cndmask_b32_e64 v3, v3, v84, s13
	v_cmp_eq_u32_e64 s13, 0, v84
	v_lshlrev_b32_e32 v3, 2, v3
	ds_bpermute_b32 v26, v3, v2
	ds_bpermute_b32 v27, v3, v1
	s_and_saveexec_b32 s22, vcc_lo
	s_cbranch_execz .LBB1064_99
; %bb.82:
	v_mov_b32_e32 v4, 0
	ds_load_b64 v[1:2], v4 offset:2120
	s_waitcnt lgkmcnt(0)
	v_readfirstlane_b32 s23, v2
	s_and_saveexec_b32 s14, s13
	s_cbranch_execz .LBB1064_84
; %bb.83:
	s_add_i32 s28, s15, 32
	s_mov_b32 s29, 0
	v_mov_b32_e32 v3, 1
	s_lshl_b64 s[34:35], s[28:29], 4
	s_mov_b32 s38, s29
	s_add_u32 s34, s20, s34
	s_addc_u32 s35, s21, s35
	s_and_b32 s39, s23, 0xff000000
	s_and_b32 s41, s23, 0xff0000
	s_mov_b32 s40, s29
	v_dual_mov_b32 v20, s34 :: v_dual_mov_b32 v21, s35
	s_or_b64 s[38:39], s[40:41], s[38:39]
	s_and_b32 s41, s23, 0xff00
	s_delay_alu instid0(SALU_CYCLE_1) | instskip(SKIP_1) | instid1(SALU_CYCLE_1)
	s_or_b64 s[38:39], s[38:39], s[40:41]
	s_and_b32 s41, s23, 0xff
	s_or_b64 s[28:29], s[38:39], s[40:41]
	s_delay_alu instid0(SALU_CYCLE_1)
	v_mov_b32_e32 v2, s29
	;;#ASMSTART
	global_store_dwordx4 v[20:21], v[1:4] off	
s_waitcnt vmcnt(0)
	;;#ASMEND
.LBB1064_84:
	s_or_b32 exec_lo, exec_lo, s14
	v_xad_u32 v20, v84, -1, s15
	s_mov_b32 s28, 0
	s_mov_b32 s14, exec_lo
	s_delay_alu instid0(VALU_DEP_1) | instskip(NEXT) | instid1(VALU_DEP_1)
	v_add_nc_u32_e32 v3, 32, v20
	v_lshlrev_b64 v[2:3], 4, v[3:4]
	s_delay_alu instid0(VALU_DEP_1) | instskip(NEXT) | instid1(VALU_DEP_2)
	v_add_co_u32 v21, vcc_lo, s20, v2
	v_add_co_ci_u32_e32 v22, vcc_lo, s21, v3, vcc_lo
	;;#ASMSTART
	global_load_dwordx4 v[2:5], v[21:22] off glc	
s_waitcnt vmcnt(0)
	;;#ASMEND
	v_and_b32_e32 v5, 0xffffff, v2
	v_and_b32_e32 v2, 0xff000000, v2
	;; [unrolled: 1-line block ×4, first 2 shown]
	s_delay_alu instid0(VALU_DEP_3) | instskip(SKIP_1) | instid1(VALU_DEP_3)
	v_or_b32_e32 v2, v5, v2
	v_and_b32_e32 v5, 0xff, v4
	v_or3_b32 v3, 0, v23, v3
	s_delay_alu instid0(VALU_DEP_3) | instskip(NEXT) | instid1(VALU_DEP_3)
	v_or3_b32 v2, v2, 0, 0
	v_cmpx_eq_u16_e32 0, v5
	s_cbranch_execz .LBB1064_87
.LBB1064_85:                            ; =>This Inner Loop Header: Depth=1
	;;#ASMSTART
	global_load_dwordx4 v[2:5], v[21:22] off glc	
s_waitcnt vmcnt(0)
	;;#ASMEND
	v_and_b32_e32 v5, 0xff, v4
	s_delay_alu instid0(VALU_DEP_1) | instskip(SKIP_1) | instid1(SALU_CYCLE_1)
	v_cmp_ne_u16_e32 vcc_lo, 0, v5
	s_or_b32 s28, vcc_lo, s28
	s_and_not1_b32 exec_lo, exec_lo, s28
	s_cbranch_execnz .LBB1064_85
; %bb.86:
	s_or_b32 exec_lo, exec_lo, s28
	v_and_b32_e32 v3, 0xffff, v3
.LBB1064_87:
	s_or_b32 exec_lo, exec_lo, s14
	v_cmp_ne_u32_e32 vcc_lo, 31, v84
	v_and_b32_e32 v21, 0xff, v4
	v_lshlrev_b32_e64 v29, v84, -1
	v_cmp_eq_u32_e64 s14, 0, v2
	v_add_nc_u32_e32 v37, 8, v84
	v_add_co_ci_u32_e32 v5, vcc_lo, 0, v84, vcc_lo
	v_cmp_eq_u16_e32 vcc_lo, 2, v21
	v_add_nc_u32_e32 v39, 16, v84
	v_and_or_b32 v21, vcc_lo, v29, 0x80000000
	v_cmp_gt_u32_e32 vcc_lo, 30, v84
	s_delay_alu instid0(VALU_DEP_2) | instskip(SKIP_1) | instid1(VALU_DEP_2)
	v_ctz_i32_b32_e32 v21, v21
	v_cndmask_b32_e64 v22, 0, 1, vcc_lo
	v_cmp_lt_u32_e32 vcc_lo, v84, v21
	v_lshlrev_b32_e32 v28, 2, v5
	ds_bpermute_b32 v5, v28, v3
	s_waitcnt lgkmcnt(0)
	v_cndmask_b32_e64 v5, 0, v5, s14
	s_delay_alu instid0(VALU_DEP_1) | instskip(SKIP_1) | instid1(VALU_DEP_2)
	v_add_nc_u16 v5, v5, v3
	v_lshlrev_b32_e32 v22, 1, v22
	v_and_b32_e32 v31, 0xffff, v5
	v_cndmask_b32_e32 v5, v3, v5, vcc_lo
	s_delay_alu instid0(VALU_DEP_3) | instskip(NEXT) | instid1(VALU_DEP_3)
	v_add_lshl_u32 v30, v22, v84, 2
	v_cndmask_b32_e32 v3, v3, v31, vcc_lo
	ds_bpermute_b32 v23, v28, v2
	v_add_nc_u32_e32 v31, 2, v84
	ds_bpermute_b32 v22, v30, v3
	s_waitcnt lgkmcnt(1)
	v_cndmask_b32_e32 v23, 0, v23, vcc_lo
	s_delay_alu instid0(VALU_DEP_1) | instskip(NEXT) | instid1(VALU_DEP_1)
	v_add_nc_u32_e32 v2, v23, v2
	v_cmp_eq_u32_e32 vcc_lo, 0, v2
	s_waitcnt lgkmcnt(0)
	v_cndmask_b32_e32 v22, 0, v22, vcc_lo
	v_cmp_gt_u32_e32 vcc_lo, 28, v84
	s_delay_alu instid0(VALU_DEP_2) | instskip(SKIP_2) | instid1(VALU_DEP_3)
	v_add_nc_u16 v22, v22, v5
	v_cndmask_b32_e64 v23, 0, 1, vcc_lo
	v_cmp_gt_u32_e32 vcc_lo, v31, v21
	v_and_b32_e32 v34, 0xffff, v22
	s_delay_alu instid0(VALU_DEP_3)
	v_lshlrev_b32_e32 v23, 2, v23
	v_cndmask_b32_e32 v5, v22, v5, vcc_lo
	ds_bpermute_b32 v33, v30, v2
	v_cndmask_b32_e32 v3, v34, v3, vcc_lo
	v_add_lshl_u32 v32, v23, v84, 2
	ds_bpermute_b32 v22, v32, v3
	s_waitcnt lgkmcnt(1)
	v_cndmask_b32_e64 v23, v33, 0, vcc_lo
	v_add_nc_u32_e32 v33, 4, v84
	s_delay_alu instid0(VALU_DEP_2) | instskip(NEXT) | instid1(VALU_DEP_1)
	v_add_nc_u32_e32 v2, v2, v23
	v_cmp_eq_u32_e32 vcc_lo, 0, v2
	ds_bpermute_b32 v34, v32, v2
	s_waitcnt lgkmcnt(1)
	v_cndmask_b32_e32 v22, 0, v22, vcc_lo
	v_cmp_gt_u32_e32 vcc_lo, 24, v84
	s_delay_alu instid0(VALU_DEP_2) | instskip(SKIP_2) | instid1(VALU_DEP_3)
	v_add_nc_u16 v22, v5, v22
	v_cndmask_b32_e64 v23, 0, 1, vcc_lo
	v_cmp_gt_u32_e32 vcc_lo, v33, v21
	v_and_b32_e32 v36, 0xffff, v22
	s_delay_alu instid0(VALU_DEP_3) | instskip(SKIP_1) | instid1(VALU_DEP_3)
	v_lshlrev_b32_e32 v23, 3, v23
	v_cndmask_b32_e32 v5, v22, v5, vcc_lo
	v_cndmask_b32_e32 v3, v36, v3, vcc_lo
	s_delay_alu instid0(VALU_DEP_3) | instskip(SKIP_4) | instid1(VALU_DEP_1)
	v_add_lshl_u32 v35, v23, v84, 2
	s_waitcnt lgkmcnt(0)
	v_cndmask_b32_e64 v23, v34, 0, vcc_lo
	ds_bpermute_b32 v22, v35, v3
	v_add_nc_u32_e32 v2, v2, v23
	v_cmp_eq_u32_e32 vcc_lo, 0, v2
	ds_bpermute_b32 v23, v35, v2
	s_waitcnt lgkmcnt(1)
	v_cndmask_b32_e32 v22, 0, v22, vcc_lo
	v_cmp_gt_u32_e32 vcc_lo, 16, v84
	v_cndmask_b32_e64 v34, 0, 1, vcc_lo
	v_cmp_gt_u32_e32 vcc_lo, v37, v21
	s_delay_alu instid0(VALU_DEP_2) | instskip(SKIP_1) | instid1(VALU_DEP_2)
	v_lshlrev_b32_e32 v34, 4, v34
	v_add_nc_u16 v22, v5, v22
	v_add_lshl_u32 v38, v34, v84, 2
	s_delay_alu instid0(VALU_DEP_2) | instskip(SKIP_2) | instid1(VALU_DEP_1)
	v_dual_cndmask_b32 v5, v22, v5 :: v_dual_and_b32 v36, 0xffff, v22
	s_waitcnt lgkmcnt(0)
	v_cndmask_b32_e64 v22, v23, 0, vcc_lo
	v_dual_cndmask_b32 v3, v36, v3 :: v_dual_add_nc_u32 v2, v2, v22
	ds_bpermute_b32 v3, v38, v3
	ds_bpermute_b32 v22, v38, v2
	v_cmp_eq_u32_e32 vcc_lo, 0, v2
	s_waitcnt lgkmcnt(1)
	v_cndmask_b32_e32 v3, 0, v3, vcc_lo
	v_cmp_gt_u32_e32 vcc_lo, v39, v21
	s_delay_alu instid0(VALU_DEP_2) | instskip(SKIP_2) | instid1(VALU_DEP_1)
	v_cndmask_b32_e64 v3, v3, 0, vcc_lo
	s_waitcnt lgkmcnt(0)
	v_cndmask_b32_e64 v21, v22, 0, vcc_lo
	v_add_nc_u32_e32 v2, v21, v2
	s_delay_alu instid0(VALU_DEP_3)
	v_add_nc_u16 v3, v5, v3
	v_mov_b32_e32 v21, 0
	s_branch .LBB1064_89
.LBB1064_88:                            ;   in Loop: Header=BB1064_89 Depth=1
	s_or_b32 exec_lo, exec_lo, s14
	ds_bpermute_b32 v5, v28, v3
	v_cmp_eq_u32_e64 s14, 0, v2
	ds_bpermute_b32 v23, v28, v2
	v_subrev_nc_u32_e32 v20, 32, v20
	s_waitcnt lgkmcnt(1)
	v_cndmask_b32_e64 v5, 0, v5, s14
	s_delay_alu instid0(VALU_DEP_1) | instskip(SKIP_1) | instid1(VALU_DEP_1)
	v_add_nc_u16 v5, v5, v3
	v_and_b32_e32 v22, 0xff, v4
	v_cmp_eq_u16_e32 vcc_lo, 2, v22
	v_and_or_b32 v22, vcc_lo, v29, 0x80000000
	s_delay_alu instid0(VALU_DEP_1) | instskip(NEXT) | instid1(VALU_DEP_1)
	v_ctz_i32_b32_e32 v22, v22
	v_cmp_lt_u32_e32 vcc_lo, v84, v22
	s_waitcnt lgkmcnt(0)
	v_dual_cndmask_b32 v23, 0, v23 :: v_dual_and_b32 v40, 0xffff, v5
	v_cndmask_b32_e32 v5, v3, v5, vcc_lo
	s_delay_alu instid0(VALU_DEP_2) | instskip(SKIP_2) | instid1(VALU_DEP_1)
	v_cndmask_b32_e32 v3, v3, v40, vcc_lo
	ds_bpermute_b32 v40, v30, v3
	v_add_nc_u32_e32 v2, v23, v2
	v_cmp_eq_u32_e32 vcc_lo, 0, v2
	s_waitcnt lgkmcnt(0)
	v_cndmask_b32_e32 v23, 0, v40, vcc_lo
	ds_bpermute_b32 v40, v30, v2
	v_cmp_gt_u32_e32 vcc_lo, v31, v22
	v_add_nc_u16 v23, v23, v5
	s_delay_alu instid0(VALU_DEP_1) | instskip(SKIP_2) | instid1(VALU_DEP_1)
	v_and_b32_e32 v41, 0xffff, v23
	s_waitcnt lgkmcnt(0)
	v_cndmask_b32_e64 v40, v40, 0, vcc_lo
	v_dual_cndmask_b32 v5, v23, v5 :: v_dual_add_nc_u32 v2, v2, v40
	s_delay_alu instid0(VALU_DEP_3)
	v_cndmask_b32_e32 v3, v41, v3, vcc_lo
	ds_bpermute_b32 v40, v32, v2
	ds_bpermute_b32 v23, v32, v3
	v_cmp_eq_u32_e32 vcc_lo, 0, v2
	s_waitcnt lgkmcnt(0)
	v_cndmask_b32_e32 v23, 0, v23, vcc_lo
	v_cmp_gt_u32_e32 vcc_lo, v33, v22
	s_delay_alu instid0(VALU_DEP_2) | instskip(SKIP_1) | instid1(VALU_DEP_2)
	v_add_nc_u16 v23, v5, v23
	v_cndmask_b32_e64 v40, v40, 0, vcc_lo
	v_and_b32_e32 v41, 0xffff, v23
	s_delay_alu instid0(VALU_DEP_2) | instskip(NEXT) | instid1(VALU_DEP_2)
	v_dual_cndmask_b32 v5, v23, v5 :: v_dual_add_nc_u32 v2, v2, v40
	v_cndmask_b32_e32 v3, v41, v3, vcc_lo
	s_delay_alu instid0(VALU_DEP_2)
	v_cmp_eq_u32_e32 vcc_lo, 0, v2
	ds_bpermute_b32 v40, v35, v2
	ds_bpermute_b32 v23, v35, v3
	s_waitcnt lgkmcnt(0)
	v_cndmask_b32_e32 v23, 0, v23, vcc_lo
	v_cmp_gt_u32_e32 vcc_lo, v37, v22
	s_delay_alu instid0(VALU_DEP_2) | instskip(NEXT) | instid1(VALU_DEP_1)
	v_add_nc_u16 v23, v5, v23
	v_and_b32_e32 v41, 0xffff, v23
	v_cndmask_b32_e32 v5, v23, v5, vcc_lo
	v_cndmask_b32_e64 v23, v40, 0, vcc_lo
	s_delay_alu instid0(VALU_DEP_3) | instskip(NEXT) | instid1(VALU_DEP_2)
	v_cndmask_b32_e32 v3, v41, v3, vcc_lo
	v_add_nc_u32_e32 v2, v2, v23
	ds_bpermute_b32 v3, v38, v3
	ds_bpermute_b32 v23, v38, v2
	v_cmp_eq_u32_e32 vcc_lo, 0, v2
	s_waitcnt lgkmcnt(1)
	v_cndmask_b32_e32 v3, 0, v3, vcc_lo
	v_cmp_gt_u32_e32 vcc_lo, v39, v22
	s_delay_alu instid0(VALU_DEP_2) | instskip(NEXT) | instid1(VALU_DEP_1)
	v_cndmask_b32_e64 v3, v3, 0, vcc_lo
	v_add_nc_u16 v3, v5, v3
	s_waitcnt lgkmcnt(0)
	v_cndmask_b32_e64 v5, v23, 0, vcc_lo
	v_cmp_eq_u32_e32 vcc_lo, 0, v36
	s_delay_alu instid0(VALU_DEP_2) | instskip(SKIP_1) | instid1(VALU_DEP_1)
	v_add3_u32 v2, v2, v36, v5
	v_cndmask_b32_e32 v3, 0, v3, vcc_lo
	v_add_nc_u16 v3, v3, v34
.LBB1064_89:                            ; =>This Loop Header: Depth=1
                                        ;     Child Loop BB1064_92 Depth 2
	v_and_b32_e32 v4, 0xff, v4
	s_delay_alu instid0(VALU_DEP_2) | instskip(SKIP_1) | instid1(VALU_DEP_3)
	v_mov_b32_e32 v34, v3
	v_mov_b32_e32 v36, v2
	v_cmp_ne_u16_e32 vcc_lo, 2, v4
	v_cndmask_b32_e64 v4, 0, 1, vcc_lo
	;;#ASMSTART
	;;#ASMEND
	s_delay_alu instid0(VALU_DEP_1)
	v_cmp_ne_u32_e32 vcc_lo, 0, v4
	s_cmp_lg_u32 vcc_lo, exec_lo
	s_cbranch_scc1 .LBB1064_94
; %bb.90:                               ;   in Loop: Header=BB1064_89 Depth=1
	v_lshlrev_b64 v[2:3], 4, v[20:21]
	s_mov_b32 s14, exec_lo
	s_delay_alu instid0(VALU_DEP_1) | instskip(NEXT) | instid1(VALU_DEP_2)
	v_add_co_u32 v22, vcc_lo, s20, v2
	v_add_co_ci_u32_e32 v23, vcc_lo, s21, v3, vcc_lo
	;;#ASMSTART
	global_load_dwordx4 v[2:5], v[22:23] off glc	
s_waitcnt vmcnt(0)
	;;#ASMEND
	v_and_b32_e32 v5, 0xffffff, v2
	v_and_b32_e32 v2, 0xff000000, v2
	;; [unrolled: 1-line block ×4, first 2 shown]
	s_delay_alu instid0(VALU_DEP_3) | instskip(SKIP_1) | instid1(VALU_DEP_3)
	v_or_b32_e32 v2, v5, v2
	v_and_b32_e32 v5, 0xff, v4
	v_or3_b32 v3, 0, v40, v3
	s_delay_alu instid0(VALU_DEP_3) | instskip(NEXT) | instid1(VALU_DEP_3)
	v_or3_b32 v2, v2, 0, 0
	v_cmpx_eq_u16_e32 0, v5
	s_cbranch_execz .LBB1064_88
; %bb.91:                               ;   in Loop: Header=BB1064_89 Depth=1
	s_mov_b32 s28, 0
.LBB1064_92:                            ;   Parent Loop BB1064_89 Depth=1
                                        ; =>  This Inner Loop Header: Depth=2
	;;#ASMSTART
	global_load_dwordx4 v[2:5], v[22:23] off glc	
s_waitcnt vmcnt(0)
	;;#ASMEND
	v_and_b32_e32 v5, 0xff, v4
	s_delay_alu instid0(VALU_DEP_1) | instskip(SKIP_1) | instid1(SALU_CYCLE_1)
	v_cmp_ne_u16_e32 vcc_lo, 0, v5
	s_or_b32 s28, vcc_lo, s28
	s_and_not1_b32 exec_lo, exec_lo, s28
	s_cbranch_execnz .LBB1064_92
; %bb.93:                               ;   in Loop: Header=BB1064_89 Depth=1
	s_or_b32 exec_lo, exec_lo, s28
	v_and_b32_e32 v3, 0xffff, v3
	s_branch .LBB1064_88
.LBB1064_94:                            ;   in Loop: Header=BB1064_89 Depth=1
                                        ; implicit-def: $vgpr3
                                        ; implicit-def: $vgpr2
                                        ; implicit-def: $vgpr4
	s_cbranch_execz .LBB1064_89
; %bb.95:
	s_and_saveexec_b32 s14, s13
	s_cbranch_execz .LBB1064_97
; %bb.96:
	v_cmp_eq_u32_e32 vcc_lo, 0, v1
	s_mov_b32 s29, 0
	s_add_i32 s28, s15, 32
	v_add_nc_u32_e64 v22, 0x800, 0
	s_lshl_b64 s[28:29], s[28:29], 4
	v_dual_cndmask_b32 v2, 0, v34 :: v_dual_mov_b32 v5, 0
	s_add_u32 s28, s20, s28
	s_addc_u32 s29, s21, s29
	v_mov_b32_e32 v4, 2
	s_delay_alu instid0(VALU_DEP_2) | instskip(SKIP_1) | instid1(VALU_DEP_2)
	v_add_nc_u16 v3, v2, s23
	v_dual_mov_b32 v23, s23 :: v_dual_add_nc_u32 v2, v36, v1
	v_and_b32_e32 v20, 0xff00, v3
	v_and_b32_e32 v3, 0xff, v3
	s_delay_alu instid0(VALU_DEP_1)
	v_or_b32_e32 v3, v20, v3
	v_dual_mov_b32 v20, s28 :: v_dual_mov_b32 v21, s29
	;;#ASMSTART
	global_store_dwordx4 v[20:21], v[2:5] off	
s_waitcnt vmcnt(0)
	;;#ASMEND
	ds_store_2addr_b32 v22, v1, v36 offset1:2
	ds_store_b16 v5, v23 offset:2052
	ds_store_b16 v5, v34 offset:2060
.LBB1064_97:
	s_or_b32 exec_lo, exec_lo, s14
	v_cmp_eq_u32_e32 vcc_lo, 0, v0
	s_and_b32 exec_lo, exec_lo, vcc_lo
	s_cbranch_execz .LBB1064_99
; %bb.98:
	v_mov_b32_e32 v1, 0
	ds_store_b32 v1, v36 offset:2120
	ds_store_b16 v1, v34 offset:2124
.LBB1064_99:
	s_or_b32 exec_lo, exec_lo, s22
	s_waitcnt lgkmcnt(1)
	v_cndmask_b32_e64 v4, v26, v25, s13
	s_waitcnt lgkmcnt(0)
	s_barrier
	buffer_gl0_inv
	v_cndmask_b32_e64 v5, v27, v24, s13
	v_cmp_eq_u32_e32 vcc_lo, 0, v4
	v_mov_b32_e32 v3, 0
	v_cmp_eq_u32_e64 s13, 0, v83
	ds_load_b64 v[1:2], v3 offset:2120
	s_waitcnt lgkmcnt(0)
	s_barrier
	buffer_gl0_inv
	v_cndmask_b32_e32 v20, 0, v2, vcc_lo
	v_cmp_eq_u32_e32 vcc_lo, 0, v0
	s_delay_alu instid0(VALU_DEP_2) | instskip(NEXT) | instid1(VALU_DEP_1)
	v_add_nc_u16 v5, v20, v5
	v_cndmask_b32_e32 v20, v5, v2, vcc_lo
	s_delay_alu instid0(VALU_DEP_1) | instskip(NEXT) | instid1(VALU_DEP_1)
	v_cndmask_b32_e64 v2, 0, v20, s13
	v_add_nc_u16 v21, v2, v80
	s_delay_alu instid0(VALU_DEP_1) | instskip(SKIP_1) | instid1(VALU_DEP_2)
	v_cndmask_b32_e64 v2, 0, v21, s12
	v_and_b32_e32 v43, 0xffff, v21
	v_add_nc_u16 v22, v2, v79
	s_delay_alu instid0(VALU_DEP_1) | instskip(SKIP_1) | instid1(VALU_DEP_2)
	v_cndmask_b32_e64 v2, 0, v22, s11
	v_and_b32_e32 v45, 0xffff, v22
	;; [unrolled: 4-line block ×3, first 2 shown]
	v_add_nc_u16 v25, v2, v77
	s_delay_alu instid0(VALU_DEP_1) | instskip(NEXT) | instid1(VALU_DEP_1)
	v_cndmask_b32_e64 v2, 0, v25, s9
	v_add_nc_u16 v27, v2, v76
	s_delay_alu instid0(VALU_DEP_1) | instskip(NEXT) | instid1(VALU_DEP_1)
	v_cndmask_b32_e64 v2, 0, v27, s8
	v_add_nc_u16 v31, v2, v75
	v_cndmask_b32_e64 v2, v4, 0, vcc_lo
	s_delay_alu instid0(VALU_DEP_2) | instskip(NEXT) | instid1(VALU_DEP_2)
	v_cndmask_b32_e64 v4, 0, v31, s7
	v_add_nc_u32_e32 v48, v1, v2
	s_delay_alu instid0(VALU_DEP_2) | instskip(NEXT) | instid1(VALU_DEP_2)
	v_add_nc_u16 v1, v4, v73
	v_add_nc_u32_e32 v42, v48, v83
	s_delay_alu instid0(VALU_DEP_2) | instskip(NEXT) | instid1(VALU_DEP_2)
	v_cndmask_b32_e64 v2, 0, v1, s6
	v_add_nc_u32_e32 v44, v42, v66
	v_and_b32_e32 v47, 0xffff, v1
	s_delay_alu instid0(VALU_DEP_3) | instskip(NEXT) | instid1(VALU_DEP_3)
	v_add_nc_u16 v33, v2, v71
	v_add_nc_u32_e32 v40, v44, v65
	s_delay_alu instid0(VALU_DEP_2) | instskip(NEXT) | instid1(VALU_DEP_2)
	v_cndmask_b32_e64 v2, 0, v33, s5
	v_add_nc_u32_e32 v28, v40, v64
	v_and_b32_e32 v51, 0xffff, v33
	s_delay_alu instid0(VALU_DEP_3) | instskip(NEXT) | instid1(VALU_DEP_3)
	v_add_nc_u16 v35, v2, v74
	v_add_nc_u32_e32 v24, v28, v63
	s_delay_alu instid0(VALU_DEP_2) | instskip(NEXT) | instid1(VALU_DEP_2)
	v_cndmask_b32_e64 v2, 0, v35, s4
	v_add_nc_u32_e32 v26, v24, v62
	v_and_b32_e32 v39, 0xffff, v35
	s_delay_alu instid0(VALU_DEP_3) | instskip(SKIP_4) | instid1(VALU_DEP_3)
	v_add_nc_u16 v37, v2, v72
	ds_load_b128 v[2:5], v3 offset:2048
	v_add_nc_u32_e32 v46, v26, v61
	v_cndmask_b32_e64 v29, 0, v37, s3
	v_and_b32_e32 v37, 0xffff, v37
	v_add_nc_u32_e32 v50, v46, v60
	s_delay_alu instid0(VALU_DEP_3) | instskip(NEXT) | instid1(VALU_DEP_2)
	v_add_nc_u16 v82, v29, v70
	v_add_nc_u32_e32 v38, v50, v58
	s_delay_alu instid0(VALU_DEP_2) | instskip(NEXT) | instid1(VALU_DEP_2)
	v_cndmask_b32_e64 v29, 0, v82, s2
	v_add_nc_u32_e32 v36, v38, v57
	s_delay_alu instid0(VALU_DEP_2) | instskip(SKIP_2) | instid1(VALU_DEP_3)
	v_add_nc_u16 v88, v29, v69
	s_waitcnt lgkmcnt(0)
	v_cmp_eq_u32_e32 vcc_lo, 0, v2
	v_add_nc_u32_e32 v30, v36, v56
	v_and_b32_e32 v29, 0xffff, v25
	v_and_b32_e32 v25, 0xffff, v27
	;; [unrolled: 1-line block ×3, first 2 shown]
	v_cndmask_b32_e32 v5, 0, v5, vcc_lo
	v_and_b32_e32 v49, 0xffff, v20
	v_cndmask_b32_e64 v20, 0, v88, s1
	v_add_nc_u32_e32 v34, v30, v55
	v_and_b32_e32 v31, 0xffff, v82
	v_and_b32_e32 v35, 0xffff, v88
	v_add_nc_u32_e32 v82, v5, v3
	v_add_nc_u16 v20, v20, v68
	v_add_nc_u32_e32 v32, v34, v54
	s_delay_alu instid0(VALU_DEP_2) | instskip(NEXT) | instid1(VALU_DEP_2)
	v_cndmask_b32_e64 v21, 0, v20, s0
	v_add_nc_u32_e32 v22, v32, v53
	v_and_b32_e32 v33, 0xffff, v20
	s_delay_alu instid0(VALU_DEP_3) | instskip(NEXT) | instid1(VALU_DEP_1)
	v_add_nc_u16 v1, v21, v67
	v_and_b32_e32 v23, 0xffff, v1
	s_branch .LBB1064_112
.LBB1064_100:
                                        ; implicit-def: $vgpr2
                                        ; implicit-def: $vgpr82
                                        ; implicit-def: $vgpr48_vgpr49
                                        ; implicit-def: $vgpr42_vgpr43
                                        ; implicit-def: $vgpr44_vgpr45
                                        ; implicit-def: $vgpr40_vgpr41
                                        ; implicit-def: $vgpr28_vgpr29
                                        ; implicit-def: $vgpr24_vgpr25
                                        ; implicit-def: $vgpr26_vgpr27
                                        ; implicit-def: $vgpr46_vgpr47
                                        ; implicit-def: $vgpr50_vgpr51
                                        ; implicit-def: $vgpr38_vgpr39
                                        ; implicit-def: $vgpr36_vgpr37
                                        ; implicit-def: $vgpr30_vgpr31
                                        ; implicit-def: $vgpr34_vgpr35
                                        ; implicit-def: $vgpr32_vgpr33
                                        ; implicit-def: $vgpr22_vgpr23
	s_cbranch_execz .LBB1064_112
; %bb.101:
	s_and_b32 s0, s16, exec_lo
	v_mov_b32_e32 v1, v80
	s_cselect_b32 s1, 0, s19
	s_cselect_b32 s0, 0, s18
	s_delay_alu instid0(SALU_CYCLE_1)
	s_cmp_eq_u64 s[0:1], 0
	s_cbranch_scc1 .LBB1064_103
; %bb.102:
	v_mov_b32_e32 v1, 0
	global_load_u16 v1, v1, s[0:1]
.LBB1064_103:
	v_cmp_eq_u32_e64 s11, 0, v66
	v_cmp_eq_u32_e64 s10, 0, v65
	;; [unrolled: 1-line block ×5, first 2 shown]
	v_cndmask_b32_e64 v2, 0, v80, s11
	v_cmp_eq_u32_e64 s7, 0, v61
	v_cmp_eq_u32_e64 s5, 0, v60
	;; [unrolled: 1-line block ×4, first 2 shown]
	v_add_nc_u16 v2, v2, v79
	v_cmp_eq_u32_e64 s2, 0, v56
	v_cmp_eq_u32_e64 s1, 0, v55
	v_add3_u32 v3, v87, v62, v61
	v_cmp_eq_u32_e64 s0, 0, v54
	v_cndmask_b32_e64 v2, 0, v2, s10
	v_cmp_eq_u32_e32 vcc_lo, 0, v53
	v_cmp_eq_u32_e64 s12, 0, v59
	v_add3_u32 v3, v3, v60, v58
	v_and_b32_e32 v20, 15, v84
	v_add_nc_u16 v2, v2, v78
	s_delay_alu instid0(VALU_DEP_3) | instskip(NEXT) | instid1(VALU_DEP_2)
	v_add3_u32 v3, v3, v57, v56
	v_cndmask_b32_e64 v2, 0, v2, s9
	s_delay_alu instid0(VALU_DEP_2) | instskip(NEXT) | instid1(VALU_DEP_2)
	v_add3_u32 v3, v3, v55, v54
	v_add_nc_u16 v2, v2, v77
	s_delay_alu instid0(VALU_DEP_2) | instskip(NEXT) | instid1(VALU_DEP_2)
	v_add3_u32 v3, v3, v53, v59
	v_cndmask_b32_e64 v2, 0, v2, s8
	s_delay_alu instid0(VALU_DEP_2) | instskip(NEXT) | instid1(VALU_DEP_2)
	v_mov_b32_dpp v21, v3 row_shr:1 row_mask:0xf bank_mask:0xf
	v_add_nc_u16 v2, v2, v76
	s_delay_alu instid0(VALU_DEP_1) | instskip(NEXT) | instid1(VALU_DEP_1)
	v_cndmask_b32_e64 v2, 0, v2, s6
	v_add_nc_u16 v2, v2, v75
	s_delay_alu instid0(VALU_DEP_1) | instskip(NEXT) | instid1(VALU_DEP_1)
	v_cndmask_b32_e64 v2, 0, v2, s7
	;; [unrolled: 3-line block ×8, first 2 shown]
	v_add_nc_u16 v2, v2, v68
	s_delay_alu instid0(VALU_DEP_1) | instskip(NEXT) | instid1(VALU_DEP_1)
	v_cndmask_b32_e32 v2, 0, v2, vcc_lo
	v_add_nc_u16 v2, v2, v67
	s_delay_alu instid0(VALU_DEP_1) | instskip(SKIP_1) | instid1(VALU_DEP_2)
	v_cndmask_b32_e64 v2, 0, v2, s12
	v_cmp_eq_u32_e64 s12, 0, v3
	v_add_nc_u16 v2, v2, v81
	s_delay_alu instid0(VALU_DEP_1) | instskip(NEXT) | instid1(VALU_DEP_1)
	v_and_b32_e32 v4, 0xffff, v2
	v_mov_b32_dpp v5, v4 row_shr:1 row_mask:0xf bank_mask:0xf
	s_delay_alu instid0(VALU_DEP_1) | instskip(SKIP_1) | instid1(VALU_DEP_2)
	v_cndmask_b32_e64 v5, 0, v5, s12
	v_cmp_eq_u32_e64 s12, 0, v20
	v_add_nc_u16 v5, v5, v2
	s_delay_alu instid0(VALU_DEP_2) | instskip(NEXT) | instid1(VALU_DEP_2)
	v_cndmask_b32_e64 v21, v21, 0, s12
	v_and_b32_e32 v22, 0xffff, v5
	s_delay_alu instid0(VALU_DEP_2) | instskip(SKIP_1) | instid1(VALU_DEP_3)
	v_add_nc_u32_e32 v3, v21, v3
	v_cndmask_b32_e64 v2, v5, v2, s12
	v_cndmask_b32_e64 v4, v22, v4, s12
	s_delay_alu instid0(VALU_DEP_3) | instskip(NEXT) | instid1(VALU_DEP_2)
	v_cmp_eq_u32_e64 s12, 0, v3
	v_mov_b32_dpp v21, v4 row_shr:2 row_mask:0xf bank_mask:0xf
	s_delay_alu instid0(VALU_DEP_1) | instskip(SKIP_2) | instid1(VALU_DEP_3)
	v_cndmask_b32_e64 v5, 0, v21, s12
	v_mov_b32_dpp v21, v3 row_shr:2 row_mask:0xf bank_mask:0xf
	v_cmp_lt_u32_e64 s12, 1, v20
	v_add_nc_u16 v5, v5, v2
	s_delay_alu instid0(VALU_DEP_1) | instskip(NEXT) | instid1(VALU_DEP_3)
	v_and_b32_e32 v22, 0xffff, v5
	v_cndmask_b32_e64 v2, v2, v5, s12
	v_cndmask_b32_e64 v5, 0, v21, s12
	s_delay_alu instid0(VALU_DEP_3) | instskip(NEXT) | instid1(VALU_DEP_2)
	v_cndmask_b32_e64 v4, v4, v22, s12
	v_add_nc_u32_e32 v3, v3, v5
	s_delay_alu instid0(VALU_DEP_2) | instskip(NEXT) | instid1(VALU_DEP_2)
	v_mov_b32_dpp v5, v4 row_shr:4 row_mask:0xf bank_mask:0xf
	v_cmp_eq_u32_e64 s12, 0, v3
	v_mov_b32_dpp v21, v3 row_shr:4 row_mask:0xf bank_mask:0xf
	s_delay_alu instid0(VALU_DEP_2) | instskip(SKIP_1) | instid1(VALU_DEP_2)
	v_cndmask_b32_e64 v5, 0, v5, s12
	v_cmp_lt_u32_e64 s12, 3, v20
	v_add_nc_u16 v5, v5, v2
	s_delay_alu instid0(VALU_DEP_1) | instskip(NEXT) | instid1(VALU_DEP_3)
	v_and_b32_e32 v22, 0xffff, v5
	v_cndmask_b32_e64 v2, v2, v5, s12
	v_cndmask_b32_e64 v5, 0, v21, s12
	s_delay_alu instid0(VALU_DEP_3) | instskip(NEXT) | instid1(VALU_DEP_2)
	v_cndmask_b32_e64 v4, v4, v22, s12
	v_add_nc_u32_e32 v3, v5, v3
	s_delay_alu instid0(VALU_DEP_2) | instskip(NEXT) | instid1(VALU_DEP_2)
	v_mov_b32_dpp v5, v4 row_shr:8 row_mask:0xf bank_mask:0xf
	v_cmp_eq_u32_e64 s12, 0, v3
	v_mov_b32_dpp v21, v3 row_shr:8 row_mask:0xf bank_mask:0xf
	s_delay_alu instid0(VALU_DEP_2) | instskip(SKIP_1) | instid1(VALU_DEP_2)
	v_cndmask_b32_e64 v5, 0, v5, s12
	v_cmp_lt_u32_e64 s12, 7, v20
	v_add_nc_u16 v5, v5, v2
	s_delay_alu instid0(VALU_DEP_1) | instskip(SKIP_3) | instid1(VALU_DEP_3)
	v_cndmask_b32_e64 v20, v2, v5, s12
	v_cndmask_b32_e64 v2, 0, v21, s12
	v_and_b32_e32 v5, 0xffff, v5
	v_bfe_i32 v21, v84, 4, 1
	v_add_nc_u32_e32 v2, v2, v3
	s_delay_alu instid0(VALU_DEP_3)
	v_cndmask_b32_e64 v3, v4, v5, s12
	v_and_b32_e32 v5, 16, v84
	ds_swizzle_b32 v4, v2 offset:swizzle(BROADCAST,32,15)
	ds_swizzle_b32 v3, v3 offset:swizzle(BROADCAST,32,15)
	v_cmp_ne_u32_e64 s12, 0, v5
	v_cmp_eq_u32_e64 s13, 0, v2
	v_lshlrev_b32_e32 v5, 3, v85
	s_delay_alu instid0(VALU_DEP_2)
	s_and_b32 s12, s12, s13
	s_mov_b32 s13, exec_lo
	s_waitcnt lgkmcnt(1)
	v_and_b32_e32 v4, v21, v4
	s_waitcnt lgkmcnt(0)
	v_cndmask_b32_e64 v3, 0, v3, s12
	s_delay_alu instid0(VALU_DEP_2) | instskip(NEXT) | instid1(VALU_DEP_2)
	v_add_nc_u32_e32 v2, v4, v2
	v_add_nc_u16 v4, v3, v20
	v_cmpx_eq_u32_e64 v86, v0
	s_cbranch_execz .LBB1064_105
; %bb.104:
	ds_store_b32 v5, v2 offset:2064
	ds_store_b16 v5, v4 offset:2068
.LBB1064_105:
	s_or_b32 exec_lo, exec_lo, s13
	s_delay_alu instid0(SALU_CYCLE_1)
	s_mov_b32 s14, exec_lo
	s_waitcnt vmcnt(0) lgkmcnt(0)
	s_barrier
	buffer_gl0_inv
	v_cmpx_gt_u32_e32 8, v0
	s_cbranch_execz .LBB1064_107
; %bb.106:
	v_lshlrev_b32_e32 v3, 3, v0
	v_and_b32_e32 v25, 7, v84
	ds_load_b64 v[20:21], v3 offset:2064
	v_cmp_lt_u32_e64 s13, 3, v25
	s_waitcnt lgkmcnt(0)
	v_mov_b32_dpp v22, v21 row_shr:1 row_mask:0xf bank_mask:0xf
	v_cmp_eq_u32_e64 s12, 0, v20
	v_and_b32_e32 v23, 0xffff0000, v21
	v_mov_b32_dpp v26, v20 row_shr:1 row_mask:0xf bank_mask:0xf
	s_delay_alu instid0(VALU_DEP_3) | instskip(SKIP_1) | instid1(VALU_DEP_2)
	v_cndmask_b32_e64 v22, 0, v22, s12
	v_cmp_eq_u32_e64 s12, 0, v25
	v_add_nc_u16 v22, v22, v21
	s_delay_alu instid0(VALU_DEP_2) | instskip(NEXT) | instid1(VALU_DEP_2)
	v_cndmask_b32_e64 v26, v26, 0, s12
	v_and_b32_e32 v24, 0xffff, v22
	s_delay_alu instid0(VALU_DEP_2) | instskip(NEXT) | instid1(VALU_DEP_2)
	v_add_nc_u32_e32 v20, v26, v20
	v_or_b32_e32 v24, v23, v24
	s_delay_alu instid0(VALU_DEP_1) | instskip(SKIP_1) | instid1(VALU_DEP_4)
	v_cndmask_b32_e64 v24, v24, v21, s12
	v_cndmask_b32_e64 v21, v22, v21, s12
	v_cmp_eq_u32_e64 s12, 0, v20
	s_delay_alu instid0(VALU_DEP_3) | instskip(NEXT) | instid1(VALU_DEP_1)
	v_mov_b32_dpp v26, v24 row_shr:2 row_mask:0xf bank_mask:0xf
	v_cndmask_b32_e64 v22, 0, v26, s12
	v_mov_b32_dpp v26, v20 row_shr:2 row_mask:0xf bank_mask:0xf
	v_cmp_lt_u32_e64 s12, 1, v25
	s_delay_alu instid0(VALU_DEP_3) | instskip(NEXT) | instid1(VALU_DEP_1)
	v_add_nc_u16 v22, v22, v21
	v_and_b32_e32 v27, 0xffff, v22
	s_delay_alu instid0(VALU_DEP_3) | instskip(SKIP_1) | instid1(VALU_DEP_3)
	v_cndmask_b32_e64 v21, v21, v22, s12
	v_cndmask_b32_e64 v22, 0, v26, s12
	v_or_b32_e32 v23, v23, v27
	s_delay_alu instid0(VALU_DEP_2) | instskip(NEXT) | instid1(VALU_DEP_2)
	v_add_nc_u32_e32 v20, v22, v20
	v_cndmask_b32_e64 v22, v24, v23, s12
	s_delay_alu instid0(VALU_DEP_2) | instskip(SKIP_1) | instid1(VALU_DEP_3)
	v_cmp_eq_u32_e64 s12, 0, v20
	v_mov_b32_dpp v23, v20 row_shr:4 row_mask:0xf bank_mask:0xf
	v_mov_b32_dpp v22, v22 row_shr:4 row_mask:0xf bank_mask:0xf
	s_delay_alu instid0(VALU_DEP_3) | instskip(NEXT) | instid1(VALU_DEP_2)
	s_and_b32 s12, s13, s12
	v_cndmask_b32_e64 v23, 0, v23, s13
	s_delay_alu instid0(VALU_DEP_2) | instskip(NEXT) | instid1(VALU_DEP_2)
	v_cndmask_b32_e64 v22, 0, v22, s12
	v_add_nc_u32_e32 v20, v23, v20
	s_delay_alu instid0(VALU_DEP_2)
	v_add_nc_u16 v21, v21, v22
	ds_store_b32 v3, v20 offset:2064
	ds_store_b16 v3, v21 offset:2068
.LBB1064_107:
	s_or_b32 exec_lo, exec_lo, s14
	v_dual_mov_b32 v3, 0 :: v_dual_mov_b32 v20, 0
	v_mov_b32_e32 v21, v1
	s_mov_b32 s13, exec_lo
	s_waitcnt lgkmcnt(0)
	s_barrier
	buffer_gl0_inv
	v_cmpx_lt_u32_e32 31, v0
	s_cbranch_execz .LBB1064_109
; %bb.108:
	ds_load_b32 v20, v5 offset:2056
	ds_load_u16 v5, v5 offset:2060
	s_waitcnt lgkmcnt(1)
	v_cmp_eq_u32_e64 s12, 0, v20
	s_delay_alu instid0(VALU_DEP_1) | instskip(SKIP_1) | instid1(VALU_DEP_1)
	v_cndmask_b32_e64 v21, 0, v1, s12
	s_waitcnt lgkmcnt(0)
	v_add_nc_u16 v21, v21, v5
.LBB1064_109:
	s_or_b32 exec_lo, exec_lo, s13
	v_add_nc_u32_e32 v5, -1, v84
	v_cmp_eq_u32_e64 s12, 0, v2
	v_add_nc_u32_e32 v2, v20, v2
	v_cmp_eq_u32_e64 s13, 0, v83
	s_delay_alu instid0(VALU_DEP_3) | instskip(SKIP_1) | instid1(VALU_DEP_2)
	v_cndmask_b32_e64 v22, 0, v21, s12
	v_cmp_gt_i32_e64 s12, 0, v5
	v_add_nc_u16 v4, v22, v4
	s_delay_alu instid0(VALU_DEP_2) | instskip(SKIP_1) | instid1(VALU_DEP_3)
	v_cndmask_b32_e64 v5, v5, v84, s12
	v_cmp_eq_u32_e64 s12, 0, v84
	v_and_b32_e32 v4, 0xffff, v4
	s_delay_alu instid0(VALU_DEP_3)
	v_lshlrev_b32_e32 v5, 2, v5
	ds_bpermute_b32 v2, v5, v2
	ds_bpermute_b32 v4, v5, v4
	s_waitcnt lgkmcnt(1)
	v_cndmask_b32_e64 v2, v2, v20, s12
	s_waitcnt lgkmcnt(0)
	v_cndmask_b32_e64 v4, v4, v21, s12
	v_cmp_eq_u32_e64 s12, 0, v0
	s_delay_alu instid0(VALU_DEP_1) | instskip(SKIP_1) | instid1(VALU_DEP_2)
	v_cndmask_b32_e64 v4, v4, v1, s12
	v_cndmask_b32_e64 v48, v2, 0, s12
	;; [unrolled: 1-line block ×3, first 2 shown]
	s_delay_alu instid0(VALU_DEP_2) | instskip(SKIP_1) | instid1(VALU_DEP_3)
	v_add_nc_u32_e32 v42, v48, v83
	v_and_b32_e32 v49, 0xffff, v4
	v_add_nc_u16 v5, v5, v80
	s_delay_alu instid0(VALU_DEP_3) | instskip(NEXT) | instid1(VALU_DEP_2)
	v_add_nc_u32_e32 v44, v42, v66
	v_cndmask_b32_e64 v20, 0, v5, s11
	s_delay_alu instid0(VALU_DEP_2) | instskip(SKIP_1) | instid1(VALU_DEP_3)
	v_add_nc_u32_e32 v40, v44, v65
	v_and_b32_e32 v43, 0xffff, v5
	v_add_nc_u16 v20, v20, v79
	s_delay_alu instid0(VALU_DEP_3) | instskip(NEXT) | instid1(VALU_DEP_2)
	v_add_nc_u32_e32 v28, v40, v64
	v_cndmask_b32_e64 v21, 0, v20, s10
	v_and_b32_e32 v45, 0xffff, v20
	s_delay_alu instid0(VALU_DEP_2) | instskip(NEXT) | instid1(VALU_DEP_1)
	v_add_nc_u16 v21, v21, v78
	v_cndmask_b32_e64 v22, 0, v21, s9
	v_and_b32_e32 v41, 0xffff, v21
	s_delay_alu instid0(VALU_DEP_2) | instskip(NEXT) | instid1(VALU_DEP_1)
	v_add_nc_u16 v22, v22, v77
	v_cndmask_b32_e64 v23, 0, v22, s8
	v_and_b32_e32 v29, 0xffff, v22
	s_delay_alu instid0(VALU_DEP_2) | instskip(NEXT) | instid1(VALU_DEP_1)
	v_add_nc_u16 v23, v23, v76
	v_cndmask_b32_e64 v24, 0, v23, s6
	s_delay_alu instid0(VALU_DEP_1) | instskip(NEXT) | instid1(VALU_DEP_1)
	v_add_nc_u16 v27, v24, v75
	v_cndmask_b32_e64 v24, 0, v27, s7
	v_and_b32_e32 v27, 0xffff, v27
	s_delay_alu instid0(VALU_DEP_2) | instskip(SKIP_1) | instid1(VALU_DEP_2)
	v_add_nc_u16 v31, v24, v73
	v_add_nc_u32_e32 v24, v28, v63
	v_cndmask_b32_e64 v2, 0, v31, s5
	s_delay_alu instid0(VALU_DEP_2) | instskip(SKIP_1) | instid1(VALU_DEP_3)
	v_add_nc_u32_e32 v26, v24, v62
	v_and_b32_e32 v47, 0xffff, v31
	v_add_nc_u16 v33, v2, v71
	s_delay_alu instid0(VALU_DEP_3) | instskip(NEXT) | instid1(VALU_DEP_2)
	v_add_nc_u32_e32 v46, v26, v61
	v_cndmask_b32_e64 v2, 0, v33, s4
	s_delay_alu instid0(VALU_DEP_2) | instskip(SKIP_1) | instid1(VALU_DEP_3)
	v_add_nc_u32_e32 v50, v46, v60
	v_and_b32_e32 v51, 0xffff, v33
	v_add_nc_u16 v35, v2, v74
	s_delay_alu instid0(VALU_DEP_3) | instskip(NEXT) | instid1(VALU_DEP_2)
	v_add_nc_u32_e32 v38, v50, v58
	v_cndmask_b32_e64 v2, 0, v35, s3
	s_delay_alu instid0(VALU_DEP_2) | instskip(SKIP_1) | instid1(VALU_DEP_3)
	v_add_nc_u32_e32 v36, v38, v57
	v_and_b32_e32 v39, 0xffff, v35
	v_add_nc_u16 v37, v2, v72
	ds_load_b32 v2, v3 offset:2120
	ds_load_u16 v3, v3 offset:2124
	v_add_nc_u32_e32 v30, v36, v56
	v_cndmask_b32_e64 v25, 0, v37, s2
	v_and_b32_e32 v37, 0xffff, v37
	s_delay_alu instid0(VALU_DEP_3) | instskip(NEXT) | instid1(VALU_DEP_3)
	v_add_nc_u32_e32 v34, v30, v55
	v_add_nc_u16 v70, v25, v70
	s_delay_alu instid0(VALU_DEP_2) | instskip(NEXT) | instid1(VALU_DEP_2)
	v_add_nc_u32_e32 v32, v34, v54
	v_cndmask_b32_e64 v25, 0, v70, s1
	v_and_b32_e32 v31, 0xffff, v70
	s_delay_alu instid0(VALU_DEP_3) | instskip(NEXT) | instid1(VALU_DEP_3)
	v_add_nc_u32_e32 v22, v32, v53
	v_add_nc_u16 v69, v25, v69
	s_waitcnt lgkmcnt(1)
	v_cmp_eq_u32_e64 s1, 0, v2
	v_and_b32_e32 v25, 0xffff, v23
	s_delay_alu instid0(VALU_DEP_3) | instskip(NEXT) | instid1(VALU_DEP_3)
	v_cndmask_b32_e64 v4, 0, v69, s0
	v_cndmask_b32_e64 v1, 0, v1, s1
	v_and_b32_e32 v35, 0xffff, v69
	s_delay_alu instid0(VALU_DEP_3) | instskip(SKIP_1) | instid1(VALU_DEP_3)
	v_add_nc_u16 v4, v4, v68
	s_waitcnt lgkmcnt(0)
	v_add_nc_u16 v82, v1, v3
	s_delay_alu instid0(VALU_DEP_2) | instskip(SKIP_1) | instid1(VALU_DEP_2)
	v_cndmask_b32_e32 v5, 0, v4, vcc_lo
	v_and_b32_e32 v33, 0xffff, v4
	v_add_nc_u16 v5, v5, v67
	s_delay_alu instid0(VALU_DEP_1)
	v_and_b32_e32 v23, 0xffff, v5
	s_and_saveexec_b32 s0, s12
	s_cbranch_execz .LBB1064_111
; %bb.110:
	s_add_u32 s2, s20, 0x200
	v_dual_mov_b32 v4, 2 :: v_dual_and_b32 v1, 0xff00, v82
	s_addc_u32 s3, s21, 0
	v_and_b32_e32 v3, 0xff, v82
	v_dual_mov_b32 v21, s3 :: v_dual_mov_b32 v20, s2
	v_mov_b32_e32 v5, 0
	s_delay_alu instid0(VALU_DEP_3)
	v_or_b32_e32 v3, v1, v3
	;;#ASMSTART
	global_store_dwordx4 v[20:21], v[2:5] off	
s_waitcnt vmcnt(0)
	;;#ASMEND
.LBB1064_111:
	s_or_b32 exec_lo, exec_lo, s0
	v_mov_b32_e32 v4, 0
.LBB1064_112:
	v_mov_b32_e32 v20, 0
	s_and_b32 s0, s16, exec_lo
	v_mov_b32_e32 v21, 0
	s_cselect_b32 s1, 0, s31
	s_cselect_b32 s0, 0, s30
	s_delay_alu instid0(SALU_CYCLE_1)
	s_cmp_eq_u64 s[0:1], 0
	s_barrier
	buffer_gl0_inv
	s_cbranch_scc1 .LBB1064_114
; %bb.113:
	v_mov_b32_e32 v1, 0
	global_load_b64 v[20:21], v1, s[0:1]
.LBB1064_114:
	v_cmp_gt_u32_e32 vcc_lo, 0x100, v2
	s_cbranch_vccnz .LBB1064_163
; %bb.115:
	v_cmp_eq_u32_e32 vcc_lo, 0, v66
	v_cmp_eq_u32_e64 s0, 0, v54
	v_cmp_eq_u32_e64 s1, 0, v53
	v_cmp_ne_u32_e64 s11, 0, v83
	v_cmp_ne_u32_e64 s2, 0, v55
	v_cndmask_b32_e64 v1, 1, 2, vcc_lo
	v_cmp_eq_u32_e32 vcc_lo, 0, v83
	v_cndmask_b32_e64 v67, 1, 2, s1
	v_cmp_ne_u32_e64 s1, 0, v54
	v_cmp_ne_u32_e64 s3, 0, v56
	;; [unrolled: 1-line block ×3, first 2 shown]
	v_cndmask_b32_e64 v3, 1, 2, vcc_lo
	v_cmp_eq_u32_e32 vcc_lo, 0, v65
	v_cmp_ne_u32_e64 s5, 0, v58
	v_cmp_ne_u32_e64 s6, 0, v60
	;; [unrolled: 1-line block ×3, first 2 shown]
	v_and_b32_e32 v1, v1, v3
	v_cndmask_b32_e64 v5, 1, 2, vcc_lo
	v_cmp_eq_u32_e32 vcc_lo, 0, v64
	v_cmp_ne_u32_e64 s8, 0, v62
	v_cmp_ne_u32_e64 s9, 0, v63
	;; [unrolled: 1-line block ×3, first 2 shown]
	v_and_b32_e32 v1, v1, v5
	v_cndmask_b32_e64 v3, 1, 2, vcc_lo
	v_cmp_eq_u32_e32 vcc_lo, 0, v63
	v_cmp_ne_u32_e64 s12, 0, v65
	v_cmp_ne_u32_e64 s13, 0, v66
	s_mov_b32 s16, 0
	v_and_b32_e32 v1, v1, v3
	v_cndmask_b32_e64 v5, 1, 2, vcc_lo
	v_cmp_eq_u32_e32 vcc_lo, 0, v62
	s_mov_b32 s15, exec_lo
	s_delay_alu instid0(VALU_DEP_2) | instskip(SKIP_2) | instid1(VALU_DEP_2)
	v_and_b32_e32 v1, v1, v5
	v_cndmask_b32_e64 v3, 1, 2, vcc_lo
	v_cmp_eq_u32_e32 vcc_lo, 0, v61
	v_and_b32_e32 v1, v1, v3
	v_cndmask_b32_e64 v5, 1, 2, vcc_lo
	v_cmp_eq_u32_e32 vcc_lo, 0, v60
	s_delay_alu instid0(VALU_DEP_2) | instskip(SKIP_2) | instid1(VALU_DEP_2)
	v_and_b32_e32 v1, v1, v5
	v_cndmask_b32_e64 v3, 1, 2, vcc_lo
	v_cmp_eq_u32_e32 vcc_lo, 0, v58
	v_and_b32_e32 v1, v1, v3
	v_cndmask_b32_e64 v5, 1, 2, vcc_lo
	v_cmp_eq_u32_e32 vcc_lo, 0, v57
	;; [unrolled: 7-line block ×3, first 2 shown]
	s_delay_alu instid0(VALU_DEP_2) | instskip(SKIP_4) | instid1(VALU_DEP_4)
	v_and_b32_e32 v1, v1, v5
	v_cndmask_b32_e64 v3, 1, 2, vcc_lo
	v_cndmask_b32_e64 v5, 1, 2, s0
	v_cmp_eq_u32_e64 s0, 0, v59
	v_cmp_ne_u32_e32 vcc_lo, 0, v59
	v_and_b32_e32 v1, v1, v3
	s_delay_alu instid0(VALU_DEP_3) | instskip(SKIP_1) | instid1(VALU_DEP_3)
	v_cndmask_b32_e64 v3, 1, 2, s0
	v_cmp_ne_u32_e64 s0, 0, v53
	v_and_b32_e32 v1, v1, v5
	s_delay_alu instid0(VALU_DEP_1) | instskip(NEXT) | instid1(VALU_DEP_1)
	v_and_b32_e32 v1, v1, v67
	v_and_b32_e32 v1, v1, v3
	s_delay_alu instid0(VALU_DEP_1)
	v_cmpx_gt_i16_e32 2, v1
	s_cbranch_execz .LBB1064_162
; %bb.116:
	v_cmp_ne_u16_e64 s14, 1, v1
	s_delay_alu instid0(VALU_DEP_1) | instskip(NEXT) | instid1(SALU_CYCLE_1)
	s_and_saveexec_b32 s18, s14
	s_xor_b32 s14, exec_lo, s18
	s_cbranch_execz .LBB1064_140
; %bb.117:
	s_and_saveexec_b32 s16, s11
	s_cbranch_execz .LBB1064_145
; %bb.118:
	v_sub_nc_u32_e32 v1, v48, v4
	s_delay_alu instid0(VALU_DEP_1)
	v_lshlrev_b32_e32 v1, 2, v1
	ds_store_b32 v1, v18
	s_or_b32 exec_lo, exec_lo, s16
	s_and_saveexec_b32 s11, s13
	s_cbranch_execnz .LBB1064_146
.LBB1064_119:
	s_or_b32 exec_lo, exec_lo, s11
	s_and_saveexec_b32 s11, s12
	s_cbranch_execz .LBB1064_147
.LBB1064_120:
	v_sub_nc_u32_e32 v1, v44, v4
	s_delay_alu instid0(VALU_DEP_1)
	v_lshlrev_b32_e32 v1, 2, v1
	ds_store_b32 v1, v16
	s_or_b32 exec_lo, exec_lo, s11
	s_and_saveexec_b32 s11, s10
	s_cbranch_execnz .LBB1064_148
.LBB1064_121:
	s_or_b32 exec_lo, exec_lo, s11
	s_and_saveexec_b32 s10, s9
	s_cbranch_execz .LBB1064_149
.LBB1064_122:
	v_sub_nc_u32_e32 v1, v28, v4
	s_delay_alu instid0(VALU_DEP_1)
	v_lshlrev_b32_e32 v1, 2, v1
	ds_store_b32 v1, v14
	s_or_b32 exec_lo, exec_lo, s10
	s_and_saveexec_b32 s9, s8
	s_cbranch_execnz .LBB1064_150
.LBB1064_123:
	s_or_b32 exec_lo, exec_lo, s9
	s_and_saveexec_b32 s8, s7
	s_cbranch_execz .LBB1064_151
.LBB1064_124:
	v_sub_nc_u32_e32 v1, v26, v4
	s_delay_alu instid0(VALU_DEP_1)
	v_lshlrev_b32_e32 v1, 2, v1
	ds_store_b32 v1, v12
	s_or_b32 exec_lo, exec_lo, s8
	s_and_saveexec_b32 s7, s6
	s_cbranch_execnz .LBB1064_152
.LBB1064_125:
	s_or_b32 exec_lo, exec_lo, s7
	s_and_saveexec_b32 s6, s5
	s_cbranch_execz .LBB1064_153
.LBB1064_126:
	v_sub_nc_u32_e32 v1, v50, v4
	s_delay_alu instid0(VALU_DEP_1)
	v_lshlrev_b32_e32 v1, 2, v1
	ds_store_b32 v1, v10
	s_or_b32 exec_lo, exec_lo, s6
	s_and_saveexec_b32 s5, s4
	s_cbranch_execnz .LBB1064_154
.LBB1064_127:
	s_or_b32 exec_lo, exec_lo, s5
	s_and_saveexec_b32 s4, s3
	s_cbranch_execz .LBB1064_155
.LBB1064_128:
	v_sub_nc_u32_e32 v1, v36, v4
	s_delay_alu instid0(VALU_DEP_1)
	v_lshlrev_b32_e32 v1, 2, v1
	ds_store_b32 v1, v8
	s_or_b32 exec_lo, exec_lo, s4
	s_and_saveexec_b32 s3, s2
	s_cbranch_execnz .LBB1064_156
.LBB1064_129:
	s_or_b32 exec_lo, exec_lo, s3
	s_and_saveexec_b32 s2, s1
	s_cbranch_execz .LBB1064_157
.LBB1064_130:
	v_sub_nc_u32_e32 v1, v34, v4
	s_delay_alu instid0(VALU_DEP_1)
	v_lshlrev_b32_e32 v1, 2, v1
	ds_store_b32 v1, v6
	s_or_b32 exec_lo, exec_lo, s2
	s_and_saveexec_b32 s1, s0
	s_cbranch_execnz .LBB1064_158
	s_branch .LBB1064_159
.LBB1064_131:
	s_mov_b32 s39, 0
                                        ; implicit-def: $sgpr0
                                        ; implicit-def: $vgpr59
                                        ; implicit-def: $vgpr53
                                        ; implicit-def: $vgpr54
                                        ; implicit-def: $vgpr55
                                        ; implicit-def: $vgpr56
                                        ; implicit-def: $vgpr57
                                        ; implicit-def: $vgpr58
                                        ; implicit-def: $vgpr60
                                        ; implicit-def: $vgpr61
                                        ; implicit-def: $vgpr62
                                        ; implicit-def: $vgpr63
                                        ; implicit-def: $vgpr64
                                        ; implicit-def: $vgpr65
                                        ; implicit-def: $vgpr66
	s_cbranch_execz .LBB1064_70
.LBB1064_132:
	v_cmp_ne_u32_e32 vcc_lo, v7, v52
	s_mov_b32 s1, exec_lo
	ds_store_b32 v5, v52
	s_waitcnt lgkmcnt(0)
	s_barrier
	v_cndmask_b32_e64 v59, 0, 1, vcc_lo
	v_cmp_ne_u32_e32 vcc_lo, v6, v7
	buffer_gl0_inv
                                        ; implicit-def: $sgpr0
	v_cndmask_b32_e64 v53, 0, 1, vcc_lo
	v_cmp_ne_u32_e32 vcc_lo, v9, v6
	v_cndmask_b32_e64 v54, 0, 1, vcc_lo
	v_cmp_ne_u32_e32 vcc_lo, v8, v9
	;; [unrolled: 2-line block ×12, first 2 shown]
	v_cndmask_b32_e64 v66, 0, 1, vcc_lo
	v_cmpx_ne_u32_e32 0, v0
	s_xor_b32 s1, exec_lo, s1
	s_cbranch_execz .LBB1064_134
; %bb.133:
	v_add_nc_u32_e32 v2, -4, v5
	s_or_b32 s39, s39, exec_lo
	ds_load_b32 v2, v2
	s_waitcnt lgkmcnt(0)
	v_cmp_ne_u32_e32 vcc_lo, v2, v18
	s_and_b32 s0, vcc_lo, exec_lo
.LBB1064_134:
	s_or_b32 exec_lo, exec_lo, s1
	s_mov_b32 s1, 1
	s_branch .LBB1064_72
.LBB1064_135:
	s_mul_hi_u32 s0, s34, 0xfffff100
	s_mul_i32 s1, s35, 0xfffff100
	s_sub_i32 s0, s0, s34
	s_mul_i32 s2, s34, 0xfffff100
	s_add_i32 s0, s0, s1
	s_add_u32 s28, s2, s28
	s_addc_u32 s29, s0, s29
	s_and_b32 vcc_lo, exec_lo, s14
	v_cmp_ne_u32_e64 s13, v7, v52
	v_cmp_ne_u32_e64 s14, v6, v7
	;; [unrolled: 1-line block ×15, first 2 shown]
	s_cbranch_vccz .LBB1064_142
; %bb.136:
	v_add_co_u32 v43, s16, -4, s38
	s_delay_alu instid0(VALU_DEP_1)
	v_add_co_ci_u32_e64 v44, null, -1, s37, s16
	v_mov_b32_e32 v2, 0
	s_mov_b32 s39, -1
	s_mov_b32 s34, 0
	flat_load_b32 v45, v[43:44]
	ds_store_b32 v5, v52
	v_cmp_gt_u64_e32 vcc_lo, s[28:29], v[1:2]
	v_mov_b32_e32 v43, v2
	v_mov_b32_e32 v41, v2
	;; [unrolled: 1-line block ×5, first 2 shown]
	v_cmp_gt_u64_e64 s16, s[28:29], v[42:43]
	s_and_b32 s35, vcc_lo, s13
	v_cmp_gt_u64_e32 vcc_lo, s[28:29], v[40:41]
	v_mov_b32_e32 v33, v2
	v_mov_b32_e32 v31, v2
	v_cmp_gt_u64_e64 s13, s[28:29], v[38:39]
	s_and_b32 s37, s16, s14
	v_mov_b32_e32 v29, v2
	s_and_b32 s38, vcc_lo, s12
	v_cmp_gt_u64_e32 vcc_lo, s[28:29], v[36:37]
	v_cmp_gt_u64_e64 s12, s[28:29], v[34:35]
	v_cmp_gt_u64_e64 s14, s[28:29], v[32:33]
	;; [unrolled: 1-line block ×3, first 2 shown]
	v_mov_b32_e32 v27, v2
	v_mov_b32_e32 v25, v2
	v_mov_b32_e32 v23, v2
	v_mov_b32_e32 v21, v2
	v_mov_b32_e32 v4, v2
	s_and_b32 s13, s13, s11
	s_and_b32 s40, vcc_lo, s7
	s_and_b32 s12, s12, s8
	s_and_b32 s14, s14, s9
	;; [unrolled: 1-line block ×3, first 2 shown]
	v_cmp_gt_u64_e32 vcc_lo, s[28:29], v[28:29]
	v_cmp_gt_u64_e64 s7, s[28:29], v[26:27]
	v_cmp_gt_u64_e64 s8, s[28:29], v[24:25]
	;; [unrolled: 1-line block ×5, first 2 shown]
	v_mul_u32_u24_e32 v43, 15, v0
	s_and_b32 s41, vcc_lo, s1
	s_and_b32 s7, s7, s2
	s_and_b32 s3, s8, s3
	;; [unrolled: 1-line block ×5, first 2 shown]
	s_waitcnt vmcnt(0) lgkmcnt(0)
	s_barrier
	buffer_gl0_inv
	s_and_saveexec_b32 s5, s0
	s_cbranch_execz .LBB1064_138
; %bb.137:
	v_add_nc_u32_e32 v4, -4, v5
	ds_load_b32 v45, v4
.LBB1064_138:
	s_or_b32 exec_lo, exec_lo, s5
	v_mov_b32_e32 v44, v2
	s_waitcnt lgkmcnt(0)
	v_cmp_ne_u32_e64 s0, v45, v18
	v_cndmask_b32_e64 v59, 0, 1, s35
	v_cndmask_b32_e64 v53, 0, 1, s37
	;; [unrolled: 1-line block ×3, first 2 shown]
	v_cmp_gt_u64_e32 vcc_lo, s[28:29], v[43:44]
	v_cndmask_b32_e64 v55, 0, 1, s13
	v_cndmask_b32_e64 v56, 0, 1, s40
	;; [unrolled: 1-line block ×11, first 2 shown]
	s_and_b32 s0, vcc_lo, s0
	s_and_b32 vcc_lo, exec_lo, s34
	s_cbranch_vccnz .LBB1064_143
.LBB1064_139:
                                        ; implicit-def: $sgpr1
	v_mov_b32_e32 v83, s1
	s_and_saveexec_b32 s1, s39
	s_cbranch_execnz .LBB1064_73
	s_branch .LBB1064_74
.LBB1064_140:
	s_and_not1_saveexec_b32 s0, s14
	s_cbranch_execz .LBB1064_160
.LBB1064_141:
	v_sub_nc_u32_e32 v1, v48, v4
	v_sub_nc_u32_e32 v3, v42, v4
	;; [unrolled: 1-line block ×4, first 2 shown]
	s_or_b32 s16, s16, exec_lo
	v_lshlrev_b32_e32 v1, 2, v1
	v_lshlrev_b32_e32 v3, 2, v3
	;; [unrolled: 1-line block ×4, first 2 shown]
	ds_store_b32 v1, v18
	ds_store_b32 v3, v19
	;; [unrolled: 1-line block ×3, first 2 shown]
	v_sub_nc_u32_e32 v1, v28, v4
	v_sub_nc_u32_e32 v3, v24, v4
	;; [unrolled: 1-line block ×4, first 2 shown]
	ds_store_b32 v67, v17
	v_lshlrev_b32_e32 v1, 2, v1
	v_sub_nc_u32_e32 v17, v50, v4
	v_lshlrev_b32_e32 v3, 2, v3
	v_lshlrev_b32_e32 v5, 2, v5
	v_lshlrev_b32_e32 v16, 2, v16
	ds_store_b32 v1, v14
	v_lshlrev_b32_e32 v1, 2, v17
	ds_store_b32 v3, v15
	ds_store_b32 v5, v12
	;; [unrolled: 1-line block ×3, first 2 shown]
	v_sub_nc_u32_e32 v3, v38, v4
	v_sub_nc_u32_e32 v12, v32, v4
	;; [unrolled: 1-line block ×3, first 2 shown]
	ds_store_b32 v1, v10
	v_sub_nc_u32_e32 v1, v36, v4
	v_lshlrev_b32_e32 v3, 2, v3
	v_sub_nc_u32_e32 v10, v34, v4
	v_lshlrev_b32_e32 v5, 2, v5
	s_delay_alu instid0(VALU_DEP_4)
	v_lshlrev_b32_e32 v1, 2, v1
	ds_store_b32 v3, v11
	v_lshlrev_b32_e32 v3, 2, v12
	v_lshlrev_b32_e32 v10, 2, v10
	ds_store_b32 v1, v8
	ds_store_b32 v5, v9
	;; [unrolled: 1-line block ×4, first 2 shown]
	s_or_b32 exec_lo, exec_lo, s0
	s_delay_alu instid0(SALU_CYCLE_1)
	s_and_b32 exec_lo, exec_lo, s16
	s_cbranch_execnz .LBB1064_161
	s_branch .LBB1064_162
.LBB1064_142:
                                        ; implicit-def: $sgpr0
                                        ; implicit-def: $vgpr59
                                        ; implicit-def: $vgpr53
                                        ; implicit-def: $vgpr54
                                        ; implicit-def: $vgpr55
                                        ; implicit-def: $vgpr56
                                        ; implicit-def: $vgpr57
                                        ; implicit-def: $vgpr58
                                        ; implicit-def: $vgpr60
                                        ; implicit-def: $vgpr61
                                        ; implicit-def: $vgpr62
                                        ; implicit-def: $vgpr63
                                        ; implicit-def: $vgpr64
                                        ; implicit-def: $vgpr65
                                        ; implicit-def: $vgpr66
	s_cbranch_execz .LBB1064_139
.LBB1064_143:
	v_mov_b32_e32 v2, 0
	v_cmp_ne_u32_e64 s0, v6, v7
	v_cmp_ne_u32_e64 s2, v9, v6
	v_cmp_ne_u32_e32 vcc_lo, v7, v52
	ds_store_b32 v5, v52
	v_mov_b32_e32 v43, v2
	v_mov_b32_e32 v41, v2
	v_cmp_gt_u64_e64 s1, s[28:29], v[1:2]
	v_mov_b32_e32 v37, v2
	v_mov_b32_e32 v39, v2
	v_cmp_gt_u64_e64 s3, s[28:29], v[42:43]
	v_cmp_gt_u64_e64 s4, s[28:29], v[40:41]
	v_mov_b32_e32 v33, v2
	s_and_b32 s1, s1, vcc_lo
	v_cmp_gt_u64_e64 s5, s[28:29], v[38:39]
	v_cndmask_b32_e64 v59, 0, 1, s1
	s_and_b32 s0, s3, s0
	v_cmp_ne_u32_e64 s1, v11, v8
	v_cndmask_b32_e64 v53, 0, 1, s0
	s_and_b32 s0, s4, s2
	v_cmp_ne_u32_e32 vcc_lo, v8, v9
	v_cndmask_b32_e64 v54, 0, 1, s0
	v_cmp_gt_u64_e64 s0, s[28:29], v[36:37]
	v_mov_b32_e32 v35, v2
	v_mov_b32_e32 v29, v2
	s_and_b32 s2, s5, vcc_lo
	v_mov_b32_e32 v31, v2
	v_cndmask_b32_e64 v55, 0, 1, s2
	s_and_b32 s0, s0, s1
	v_cmp_ne_u32_e64 s1, v13, v10
	v_cndmask_b32_e64 v56, 0, 1, s0
	v_cmp_gt_u64_e64 s0, s[28:29], v[32:33]
	v_cmp_gt_u64_e32 vcc_lo, s[28:29], v[34:35]
	v_cmp_ne_u32_e64 s2, v10, v11
	v_mov_b32_e32 v25, v2
	v_mov_b32_e32 v27, v2
	;; [unrolled: 1-line block ×3, first 2 shown]
	s_and_b32 s0, s0, s1
	s_and_b32 s2, vcc_lo, s2
	v_cndmask_b32_e64 v58, 0, 1, s0
	v_cmp_gt_u64_e64 s0, s[28:29], v[28:29]
	v_cmp_ne_u32_e64 s1, v15, v12
	v_cmp_gt_u64_e32 vcc_lo, s[28:29], v[30:31]
	v_cndmask_b32_e64 v57, 0, 1, s2
	v_cmp_ne_u32_e64 s2, v12, v13
	v_mov_b32_e32 v21, v2
	s_and_b32 s0, s0, s1
	v_cmp_ne_u32_e64 s1, v17, v14
	v_cndmask_b32_e64 v61, 0, 1, s0
	s_and_b32 s2, vcc_lo, s2
	v_cmp_gt_u64_e64 s0, s[28:29], v[24:25]
	v_cmp_gt_u64_e32 vcc_lo, s[28:29], v[26:27]
	v_cndmask_b32_e64 v60, 0, 1, s2
	v_cmp_ne_u32_e64 s2, v14, v15
	v_mov_b32_e32 v4, v2
	v_cmp_ne_u32_e64 s4, v18, v19
	s_and_b32 s0, s0, s1
	v_cmp_gt_u64_e64 s1, s[28:29], v[20:21]
	s_and_b32 s2, vcc_lo, s2
	v_cmp_gt_u64_e32 vcc_lo, s[28:29], v[22:23]
	v_cndmask_b32_e64 v63, 0, 1, s0
	v_cmp_ne_u32_e64 s0, v16, v17
	v_cndmask_b32_e64 v62, 0, 1, s2
	v_cmp_ne_u32_e64 s2, v19, v16
	v_cmp_gt_u64_e64 s3, s[28:29], v[3:4]
	s_waitcnt lgkmcnt(0)
	s_and_b32 s0, vcc_lo, s0
	s_barrier
	v_cndmask_b32_e64 v64, 0, 1, s0
	s_and_b32 s0, s1, s2
	s_mov_b32 s1, 1
	v_cndmask_b32_e64 v65, 0, 1, s0
	s_and_b32 s0, s3, s4
	s_mov_b32 s2, exec_lo
	v_cndmask_b32_e64 v66, 0, 1, s0
	buffer_gl0_inv
                                        ; implicit-def: $sgpr0
	v_cmpx_ne_u32_e32 0, v0
	s_cbranch_execz .LBB1064_201
; %bb.144:
	v_add_nc_u32_e32 v1, -4, v5
	s_or_b32 s39, s39, exec_lo
	ds_load_b32 v3, v1
	v_mul_u32_u24_e32 v1, 15, v0
	s_delay_alu instid0(VALU_DEP_1) | instskip(SKIP_2) | instid1(VALU_DEP_1)
	v_cmp_gt_u64_e32 vcc_lo, s[28:29], v[1:2]
	s_waitcnt lgkmcnt(0)
	v_cmp_ne_u32_e64 s0, v3, v18
	s_and_b32 s0, vcc_lo, s0
	s_delay_alu instid0(SALU_CYCLE_1)
	s_and_b32 s0, s0, exec_lo
	s_or_b32 exec_lo, exec_lo, s2
	v_mov_b32_e32 v83, s1
	s_and_saveexec_b32 s1, s39
	s_cbranch_execz .LBB1064_74
	s_branch .LBB1064_73
.LBB1064_145:
	s_or_b32 exec_lo, exec_lo, s16
	s_and_saveexec_b32 s11, s13
	s_cbranch_execz .LBB1064_119
.LBB1064_146:
	v_sub_nc_u32_e32 v1, v42, v4
	s_delay_alu instid0(VALU_DEP_1)
	v_lshlrev_b32_e32 v1, 2, v1
	ds_store_b32 v1, v19
	s_or_b32 exec_lo, exec_lo, s11
	s_and_saveexec_b32 s11, s12
	s_cbranch_execnz .LBB1064_120
.LBB1064_147:
	s_or_b32 exec_lo, exec_lo, s11
	s_and_saveexec_b32 s11, s10
	s_cbranch_execz .LBB1064_121
.LBB1064_148:
	v_sub_nc_u32_e32 v1, v40, v4
	s_delay_alu instid0(VALU_DEP_1)
	v_lshlrev_b32_e32 v1, 2, v1
	ds_store_b32 v1, v17
	s_or_b32 exec_lo, exec_lo, s11
	s_and_saveexec_b32 s10, s9
	s_cbranch_execnz .LBB1064_122
.LBB1064_149:
	s_or_b32 exec_lo, exec_lo, s10
	s_and_saveexec_b32 s9, s8
	s_cbranch_execz .LBB1064_123
.LBB1064_150:
	v_sub_nc_u32_e32 v1, v24, v4
	s_delay_alu instid0(VALU_DEP_1)
	v_lshlrev_b32_e32 v1, 2, v1
	ds_store_b32 v1, v15
	s_or_b32 exec_lo, exec_lo, s9
	s_and_saveexec_b32 s8, s7
	s_cbranch_execnz .LBB1064_124
.LBB1064_151:
	s_or_b32 exec_lo, exec_lo, s8
	s_and_saveexec_b32 s7, s6
	s_cbranch_execz .LBB1064_125
.LBB1064_152:
	v_sub_nc_u32_e32 v1, v46, v4
	s_delay_alu instid0(VALU_DEP_1)
	v_lshlrev_b32_e32 v1, 2, v1
	ds_store_b32 v1, v13
	s_or_b32 exec_lo, exec_lo, s7
	s_and_saveexec_b32 s6, s5
	s_cbranch_execnz .LBB1064_126
.LBB1064_153:
	s_or_b32 exec_lo, exec_lo, s6
	s_and_saveexec_b32 s5, s4
	s_cbranch_execz .LBB1064_127
.LBB1064_154:
	v_sub_nc_u32_e32 v1, v38, v4
	s_delay_alu instid0(VALU_DEP_1)
	v_lshlrev_b32_e32 v1, 2, v1
	ds_store_b32 v1, v11
	s_or_b32 exec_lo, exec_lo, s5
	s_and_saveexec_b32 s4, s3
	s_cbranch_execnz .LBB1064_128
.LBB1064_155:
	s_or_b32 exec_lo, exec_lo, s4
	s_and_saveexec_b32 s3, s2
	s_cbranch_execz .LBB1064_129
.LBB1064_156:
	v_sub_nc_u32_e32 v1, v30, v4
	s_delay_alu instid0(VALU_DEP_1)
	v_lshlrev_b32_e32 v1, 2, v1
	ds_store_b32 v1, v9
	s_or_b32 exec_lo, exec_lo, s3
	s_and_saveexec_b32 s2, s1
	s_cbranch_execnz .LBB1064_130
.LBB1064_157:
	s_or_b32 exec_lo, exec_lo, s2
	s_and_saveexec_b32 s1, s0
	s_cbranch_execz .LBB1064_159
.LBB1064_158:
	v_sub_nc_u32_e32 v1, v32, v4
	s_delay_alu instid0(VALU_DEP_1)
	v_lshlrev_b32_e32 v1, 2, v1
	ds_store_b32 v1, v7
.LBB1064_159:
	s_or_b32 exec_lo, exec_lo, s1
	s_delay_alu instid0(SALU_CYCLE_1)
	s_and_b32 s16, vcc_lo, exec_lo
                                        ; implicit-def: $vgpr18
                                        ; implicit-def: $vgpr16
                                        ; implicit-def: $vgpr14
                                        ; implicit-def: $vgpr12
                                        ; implicit-def: $vgpr10
                                        ; implicit-def: $vgpr8
                                        ; implicit-def: $vgpr6
	s_and_not1_saveexec_b32 s0, s14
	s_cbranch_execnz .LBB1064_141
.LBB1064_160:
	s_or_b32 exec_lo, exec_lo, s0
	s_delay_alu instid0(SALU_CYCLE_1)
	s_and_b32 exec_lo, exec_lo, s16
	s_cbranch_execz .LBB1064_162
.LBB1064_161:
	v_sub_nc_u32_e32 v1, v22, v4
	s_delay_alu instid0(VALU_DEP_1)
	v_lshlrev_b32_e32 v1, 2, v1
	ds_store_b32 v1, v52
.LBB1064_162:
	s_or_b32 exec_lo, exec_lo, s15
	s_waitcnt vmcnt(0) lgkmcnt(0)
	s_barrier
	buffer_gl0_inv
.LBB1064_163:
	s_cmpk_lg_i32 s33, 0xf00
	v_cmp_eq_u32_e32 vcc_lo, 0, v0
	s_cselect_b32 s0, -1, 0
	v_mad_i32_i24 v7, v0, -15, s33
	s_and_b32 s0, s17, s0
	v_cndmask_b32_e64 v1, 0, 1, s36
	v_cndmask_b32_e64 v6, 0, 1, s0
	s_mul_hi_u32 s0, s33, 0x88888889
	s_and_b32 s1, vcc_lo, s36
	s_lshr_b32 s0, s0, 3
	v_cndmask_b32_e64 v8, v83, 0, s1
	v_cmp_eq_u32_e32 vcc_lo, s0, v0
	v_cmp_ne_u32_e64 s0, 0, v7
	v_sub_nc_u32_e32 v3, v2, v1
	s_mov_b32 s16, -1
	s_waitcnt vmcnt(0)
	s_and_b32 vcc_lo, s17, vcc_lo
	v_cndmask_b32_e64 v9, 1, v8, s0
	v_cmp_ne_u32_e64 s0, 1, v7
	v_mov_b32_e32 v5, 0
	s_barrier
	buffer_gl0_inv
	v_cndmask_b32_e32 v16, v8, v9, vcc_lo
	v_cndmask_b32_e64 v10, 1, v66, s0
	v_cmp_ne_u32_e64 s0, 2, v7
	s_delay_alu instid0(VALU_DEP_3) | instskip(NEXT) | instid1(VALU_DEP_3)
	v_cmp_ne_u32_e64 s14, 0, v16
	v_cndmask_b32_e32 v17, v66, v10, vcc_lo
	s_delay_alu instid0(VALU_DEP_3) | instskip(SKIP_1) | instid1(VALU_DEP_2)
	v_cndmask_b32_e64 v11, 1, v65, s0
	v_cmp_ne_u32_e64 s0, 14, v7
	v_dual_cndmask_b32 v18, v65, v11 :: v_dual_add_nc_u32 v3, v3, v6
	s_delay_alu instid0(VALU_DEP_2) | instskip(SKIP_1) | instid1(VALU_DEP_3)
	v_cndmask_b32_e64 v12, 1, v59, s0
	v_cmp_ne_u32_e64 s0, 3, v7
	v_cmp_ne_u32_e64 s12, 0, v18
	s_delay_alu instid0(VALU_DEP_2) | instskip(SKIP_1) | instid1(VALU_DEP_1)
	v_cndmask_b32_e64 v13, 1, v64, s0
	v_cmp_ne_u32_e64 s0, 4, v7
	v_cndmask_b32_e64 v14, 1, v63, s0
	v_cmp_ne_u32_e64 s0, 5, v7
	s_delay_alu instid0(VALU_DEP_1) | instskip(SKIP_1) | instid1(VALU_DEP_2)
	v_cndmask_b32_e64 v8, 1, v62, s0
	v_cmp_ne_u32_e64 s0, 6, v7
	v_cndmask_b32_e32 v62, v62, v8, vcc_lo
	s_delay_alu instid0(VALU_DEP_2) | instskip(SKIP_1) | instid1(VALU_DEP_2)
	v_cndmask_b32_e64 v9, 1, v61, s0
	v_cmp_eq_u32_e64 s0, 0, v16
	v_dual_cndmask_b32 v14, v63, v14 :: v_dual_cndmask_b32 v61, v61, v9
	s_delay_alu instid0(VALU_DEP_2) | instskip(SKIP_2) | instid1(VALU_DEP_4)
	v_cndmask_b32_e64 v10, 1, 2, s0
	v_cmp_eq_u32_e64 s0, 0, v17
	v_cndmask_b32_e32 v15, v59, v12, vcc_lo
	v_cmp_ne_u32_e64 s10, 0, v14
	v_cmp_ne_u32_e64 s8, 0, v61
	s_delay_alu instid0(VALU_DEP_4) | instskip(SKIP_1) | instid1(VALU_DEP_2)
	v_cndmask_b32_e64 v12, 1, 2, s0
	v_cmp_ne_u32_e64 s0, 7, v7
	v_and_b32_e32 v10, v12, v10
	s_delay_alu instid0(VALU_DEP_2) | instskip(SKIP_1) | instid1(VALU_DEP_2)
	v_cndmask_b32_e64 v11, 1, v60, s0
	v_cmp_eq_u32_e64 s0, 0, v18
	v_cndmask_b32_e32 v60, v60, v11, vcc_lo
	s_delay_alu instid0(VALU_DEP_2)
	v_cndmask_b32_e64 v12, 1, 2, s0
	v_cmp_ne_u32_e64 s0, 8, v7
	v_cndmask_b32_e32 v13, v64, v13, vcc_lo
	v_cmp_ne_u32_e64 s13, 0, v17
	v_cmp_ne_u32_e64 s7, 0, v60
	v_and_b32_e32 v10, v10, v12
	v_cndmask_b32_e64 v19, 1, v58, s0
	v_cmp_ne_u32_e64 s0, 9, v7
	v_cmp_ne_u32_e64 s11, 0, v13
	s_delay_alu instid0(VALU_DEP_3) | instskip(NEXT) | instid1(VALU_DEP_3)
	v_cndmask_b32_e32 v19, v58, v19, vcc_lo
	v_cndmask_b32_e64 v52, 1, v57, s0
	v_cmp_eq_u32_e64 s0, 0, v13
	s_delay_alu instid0(VALU_DEP_3) | instskip(NEXT) | instid1(VALU_DEP_3)
	v_cmp_ne_u32_e64 s6, 0, v19
	v_cndmask_b32_e32 v52, v57, v52, vcc_lo
	s_delay_alu instid0(VALU_DEP_3) | instskip(SKIP_1) | instid1(VALU_DEP_2)
	v_cndmask_b32_e64 v12, 1, 2, s0
	v_cmp_ne_u32_e64 s0, 10, v7
	v_and_b32_e32 v8, v10, v12
	s_delay_alu instid0(VALU_DEP_2) | instskip(SKIP_1) | instid1(VALU_DEP_1)
	v_cndmask_b32_e64 v59, 1, v56, s0
	v_cmp_eq_u32_e64 s0, 0, v14
	v_cndmask_b32_e64 v10, 1, 2, s0
	v_cmp_ne_u32_e64 s0, 11, v7
	s_delay_alu instid0(VALU_DEP_1) | instskip(SKIP_1) | instid1(VALU_DEP_2)
	v_cndmask_b32_e64 v12, 1, v55, s0
	v_cmp_ne_u32_e64 s0, 13, v7
	v_dual_cndmask_b32 v55, v55, v12 :: v_dual_and_b32 v8, v8, v10
	s_delay_alu instid0(VALU_DEP_2) | instskip(NEXT) | instid1(VALU_DEP_2)
	v_cndmask_b32_e64 v63, 1, v53, s0
	v_cmp_ne_u32_e64 s3, 0, v55
	s_delay_alu instid0(VALU_DEP_2) | instskip(SKIP_2) | instid1(VALU_DEP_3)
	v_cndmask_b32_e32 v53, v53, v63, vcc_lo
	v_cmp_eq_u32_e64 s0, 0, v62
	v_cmp_ne_u32_e64 s9, 0, v62
	v_cmp_ne_u32_e64 s1, 0, v53
	s_delay_alu instid0(VALU_DEP_3) | instskip(SKIP_1) | instid1(VALU_DEP_2)
	v_cndmask_b32_e64 v10, 1, 2, s0
	v_cmp_ne_u32_e64 s0, 12, v7
	v_and_b32_e32 v8, v8, v10
	s_delay_alu instid0(VALU_DEP_2) | instskip(SKIP_1) | instid1(VALU_DEP_1)
	v_cndmask_b32_e64 v7, 1, v54, s0
	v_cmp_eq_u32_e64 s0, 0, v61
	v_cndmask_b32_e64 v9, 1, 2, s0
	v_cmp_eq_u32_e64 s0, 0, v60
	s_delay_alu instid0(VALU_DEP_2) | instskip(SKIP_1) | instid1(VALU_DEP_3)
	v_dual_cndmask_b32 v54, v54, v7 :: v_dual_and_b32 v11, v8, v9
	v_lshlrev_b64 v[7:8], 1, v[20:21]
	v_cndmask_b32_e64 v12, 1, 2, s0
	v_cndmask_b32_e32 v56, v56, v59, vcc_lo
	v_cmp_eq_u32_e32 vcc_lo, 0, v19
	v_lshlrev_b64 v[9:10], 1, v[4:5]
	v_cmp_ne_u32_e64 s2, 0, v54
	v_and_b32_e32 v5, v11, v12
	v_cmp_ne_u32_e64 s4, 0, v56
	v_cndmask_b32_e64 v11, 1, 2, vcc_lo
	v_add_co_u32 v7, vcc_lo, s24, v7
	v_add_co_ci_u32_e32 v8, vcc_lo, s25, v8, vcc_lo
	v_cmp_eq_u32_e32 vcc_lo, 0, v52
	s_delay_alu instid0(VALU_DEP_4)
	v_and_b32_e32 v5, v5, v11
	v_cmp_ne_u32_e64 s0, 0, v15
	v_cndmask_b32_e64 v11, 1, 2, vcc_lo
	v_add_co_u32 v9, vcc_lo, v7, v9
	v_add_co_ci_u32_e32 v10, vcc_lo, v8, v10, vcc_lo
	v_lshlrev_b32_e32 v7, 1, v1
	v_cmp_eq_u32_e32 vcc_lo, 0, v56
	v_and_b32_e32 v5, v5, v11
	v_cmp_ne_u32_e64 s5, 0, v52
	v_cndmask_b32_e64 v8, 1, 2, vcc_lo
	v_add_co_u32 v7, vcc_lo, v7, v9
	v_add_co_ci_u32_e32 v12, vcc_lo, 0, v10, vcc_lo
	v_cmp_eq_u32_e32 vcc_lo, 0, v55
	s_delay_alu instid0(VALU_DEP_4)
	v_and_b32_e32 v8, v5, v8
	v_add_nc_u32_e32 v5, v4, v1
	v_cndmask_b32_e64 v57, 1, 2, vcc_lo
	v_add_co_u32 v11, vcc_lo, v7, -2
	v_add_co_ci_u32_e32 v12, vcc_lo, -1, v12, vcc_lo
	v_cmp_eq_u32_e32 vcc_lo, 0, v54
	s_delay_alu instid0(VALU_DEP_4) | instskip(SKIP_2) | instid1(VALU_DEP_2)
	v_and_b32_e32 v7, v8, v57
	v_cndmask_b32_e64 v8, 1, 2, vcc_lo
	v_cmp_eq_u32_e32 vcc_lo, 0, v53
	v_and_b32_e32 v7, v7, v8
	v_cndmask_b32_e64 v8, 1, 2, vcc_lo
	v_cmp_eq_u32_e32 vcc_lo, 0, v15
	s_delay_alu instid0(VALU_DEP_2) | instskip(SKIP_2) | instid1(VALU_DEP_2)
	v_and_b32_e32 v7, v7, v8
	v_cndmask_b32_e64 v8, 1, 2, vcc_lo
	v_cmp_gt_u32_e32 vcc_lo, 0x100, v3
	v_and_b32_e32 v7, v7, v8
	s_delay_alu instid0(VALU_DEP_1)
	v_cmp_gt_i16_e64 s15, 2, v7
	s_cbranch_vccz .LBB1064_180
; %bb.164:
	s_delay_alu instid0(VALU_DEP_1)
	s_and_saveexec_b32 s16, s15
	s_cbranch_execz .LBB1064_219
; %bb.165:
	s_mov_b32 s18, 0
	s_mov_b32 s15, exec_lo
	v_cmpx_ne_u16_e32 1, v7
	s_xor_b32 s15, exec_lo, s15
	s_cbranch_execz .LBB1064_197
; %bb.166:
	s_and_saveexec_b32 s18, s14
	s_cbranch_execz .LBB1064_202
; %bb.167:
	v_sub_nc_u32_e32 v13, v48, v5
	v_mov_b32_e32 v14, 0
	s_delay_alu instid0(VALU_DEP_1) | instskip(NEXT) | instid1(VALU_DEP_1)
	v_lshlrev_b64 v[13:14], 1, v[13:14]
	v_add_co_u32 v13, vcc_lo, v11, v13
	s_delay_alu instid0(VALU_DEP_2)
	v_add_co_ci_u32_e32 v14, vcc_lo, v12, v14, vcc_lo
	global_store_b16 v[13:14], v49, off
	s_or_b32 exec_lo, exec_lo, s18
	s_and_saveexec_b32 s18, s13
	s_cbranch_execnz .LBB1064_203
.LBB1064_168:
	s_or_b32 exec_lo, exec_lo, s18
	s_and_saveexec_b32 s18, s12
	s_cbranch_execz .LBB1064_204
.LBB1064_169:
	v_sub_nc_u32_e32 v13, v44, v5
	v_mov_b32_e32 v14, 0
	s_delay_alu instid0(VALU_DEP_1) | instskip(NEXT) | instid1(VALU_DEP_1)
	v_lshlrev_b64 v[13:14], 1, v[13:14]
	v_add_co_u32 v13, vcc_lo, v11, v13
	s_delay_alu instid0(VALU_DEP_2)
	v_add_co_ci_u32_e32 v14, vcc_lo, v12, v14, vcc_lo
	global_store_b16 v[13:14], v45, off
	s_or_b32 exec_lo, exec_lo, s18
	s_and_saveexec_b32 s18, s11
	s_cbranch_execnz .LBB1064_205
.LBB1064_170:
	s_or_b32 exec_lo, exec_lo, s18
	s_and_saveexec_b32 s18, s10
	s_cbranch_execz .LBB1064_206
.LBB1064_171:
	v_sub_nc_u32_e32 v13, v28, v5
	v_mov_b32_e32 v14, 0
	s_delay_alu instid0(VALU_DEP_1) | instskip(NEXT) | instid1(VALU_DEP_1)
	v_lshlrev_b64 v[13:14], 1, v[13:14]
	v_add_co_u32 v13, vcc_lo, v11, v13
	s_delay_alu instid0(VALU_DEP_2)
	v_add_co_ci_u32_e32 v14, vcc_lo, v12, v14, vcc_lo
	global_store_b16 v[13:14], v29, off
	s_or_b32 exec_lo, exec_lo, s18
	s_and_saveexec_b32 s18, s9
	s_cbranch_execnz .LBB1064_207
.LBB1064_172:
	s_or_b32 exec_lo, exec_lo, s18
	s_and_saveexec_b32 s18, s8
	s_cbranch_execz .LBB1064_208
.LBB1064_173:
	v_sub_nc_u32_e32 v13, v26, v5
	v_mov_b32_e32 v14, 0
	s_delay_alu instid0(VALU_DEP_1) | instskip(NEXT) | instid1(VALU_DEP_1)
	v_lshlrev_b64 v[13:14], 1, v[13:14]
	v_add_co_u32 v13, vcc_lo, v11, v13
	s_delay_alu instid0(VALU_DEP_2)
	v_add_co_ci_u32_e32 v14, vcc_lo, v12, v14, vcc_lo
	global_store_b16 v[13:14], v27, off
	s_or_b32 exec_lo, exec_lo, s18
	s_and_saveexec_b32 s18, s7
	s_cbranch_execnz .LBB1064_209
.LBB1064_174:
	s_or_b32 exec_lo, exec_lo, s18
	s_and_saveexec_b32 s18, s6
	s_cbranch_execz .LBB1064_210
.LBB1064_175:
	v_sub_nc_u32_e32 v13, v50, v5
	v_mov_b32_e32 v14, 0
	s_delay_alu instid0(VALU_DEP_1) | instskip(NEXT) | instid1(VALU_DEP_1)
	v_lshlrev_b64 v[13:14], 1, v[13:14]
	v_add_co_u32 v13, vcc_lo, v11, v13
	s_delay_alu instid0(VALU_DEP_2)
	v_add_co_ci_u32_e32 v14, vcc_lo, v12, v14, vcc_lo
	global_store_b16 v[13:14], v51, off
	s_or_b32 exec_lo, exec_lo, s18
	s_and_saveexec_b32 s18, s5
	s_cbranch_execnz .LBB1064_211
.LBB1064_176:
	s_or_b32 exec_lo, exec_lo, s18
	s_and_saveexec_b32 s18, s4
	s_cbranch_execz .LBB1064_212
.LBB1064_177:
	v_sub_nc_u32_e32 v13, v36, v5
	v_mov_b32_e32 v14, 0
	s_delay_alu instid0(VALU_DEP_1) | instskip(NEXT) | instid1(VALU_DEP_1)
	v_lshlrev_b64 v[13:14], 1, v[13:14]
	v_add_co_u32 v13, vcc_lo, v11, v13
	s_delay_alu instid0(VALU_DEP_2)
	v_add_co_ci_u32_e32 v14, vcc_lo, v12, v14, vcc_lo
	global_store_b16 v[13:14], v37, off
	s_or_b32 exec_lo, exec_lo, s18
	s_and_saveexec_b32 s18, s3
	s_cbranch_execnz .LBB1064_213
.LBB1064_178:
	s_or_b32 exec_lo, exec_lo, s18
	s_and_saveexec_b32 s18, s2
	s_cbranch_execz .LBB1064_214
.LBB1064_179:
	v_sub_nc_u32_e32 v13, v34, v5
	v_mov_b32_e32 v14, 0
	s_delay_alu instid0(VALU_DEP_1) | instskip(NEXT) | instid1(VALU_DEP_1)
	v_lshlrev_b64 v[13:14], 1, v[13:14]
	v_add_co_u32 v13, vcc_lo, v11, v13
	s_delay_alu instid0(VALU_DEP_2)
	v_add_co_ci_u32_e32 v14, vcc_lo, v12, v14, vcc_lo
	global_store_b16 v[13:14], v35, off
	s_or_b32 exec_lo, exec_lo, s18
	s_and_saveexec_b32 s18, s1
	s_cbranch_execnz .LBB1064_215
	s_branch .LBB1064_216
.LBB1064_180:
	s_and_b32 vcc_lo, exec_lo, s16
	s_cbranch_vccz .LBB1064_220
; %bb.181:
	s_mov_b32 s15, exec_lo
	v_cmpx_gt_i16_e32 2, v7
	s_cbranch_execz .LBB1064_238
; %bb.182:
	s_mov_b32 s18, 0
	s_mov_b32 s16, exec_lo
	v_cmpx_ne_u16_e32 1, v7
	s_xor_b32 s16, exec_lo, s16
	s_cbranch_execz .LBB1064_199
; %bb.183:
	s_and_saveexec_b32 s18, s14
	s_cbranch_execz .LBB1064_221
; %bb.184:
	v_sub_nc_u32_e32 v7, v48, v5
	s_delay_alu instid0(VALU_DEP_1)
	v_lshlrev_b32_e32 v7, 1, v7
	ds_store_b16 v7, v49
	s_or_b32 exec_lo, exec_lo, s18
	s_and_saveexec_b32 s14, s13
	s_cbranch_execnz .LBB1064_222
.LBB1064_185:
	s_or_b32 exec_lo, exec_lo, s14
	s_and_saveexec_b32 s13, s12
	s_cbranch_execz .LBB1064_223
.LBB1064_186:
	v_sub_nc_u32_e32 v7, v44, v5
	s_delay_alu instid0(VALU_DEP_1)
	v_lshlrev_b32_e32 v7, 1, v7
	ds_store_b16 v7, v45
	s_or_b32 exec_lo, exec_lo, s13
	s_and_saveexec_b32 s12, s11
	s_cbranch_execnz .LBB1064_224
.LBB1064_187:
	s_or_b32 exec_lo, exec_lo, s12
	s_and_saveexec_b32 s11, s10
	s_cbranch_execz .LBB1064_225
.LBB1064_188:
	v_sub_nc_u32_e32 v7, v28, v5
	s_delay_alu instid0(VALU_DEP_1)
	v_lshlrev_b32_e32 v7, 1, v7
	ds_store_b16 v7, v29
	s_or_b32 exec_lo, exec_lo, s11
	s_and_saveexec_b32 s10, s9
	s_cbranch_execnz .LBB1064_226
.LBB1064_189:
	s_or_b32 exec_lo, exec_lo, s10
	s_and_saveexec_b32 s9, s8
	s_cbranch_execz .LBB1064_227
.LBB1064_190:
	v_sub_nc_u32_e32 v7, v26, v5
	s_delay_alu instid0(VALU_DEP_1)
	v_lshlrev_b32_e32 v7, 1, v7
	ds_store_b16 v7, v27
	s_or_b32 exec_lo, exec_lo, s9
	s_and_saveexec_b32 s8, s7
	s_cbranch_execnz .LBB1064_228
.LBB1064_191:
	s_or_b32 exec_lo, exec_lo, s8
	s_and_saveexec_b32 s7, s6
	s_cbranch_execz .LBB1064_229
.LBB1064_192:
	v_sub_nc_u32_e32 v7, v50, v5
	s_delay_alu instid0(VALU_DEP_1)
	v_lshlrev_b32_e32 v7, 1, v7
	ds_store_b16 v7, v51
	s_or_b32 exec_lo, exec_lo, s7
	s_and_saveexec_b32 s6, s5
	s_cbranch_execnz .LBB1064_230
.LBB1064_193:
	s_or_b32 exec_lo, exec_lo, s6
	s_and_saveexec_b32 s5, s4
	s_cbranch_execz .LBB1064_231
.LBB1064_194:
	v_sub_nc_u32_e32 v7, v36, v5
	s_delay_alu instid0(VALU_DEP_1)
	v_lshlrev_b32_e32 v7, 1, v7
	ds_store_b16 v7, v37
	s_or_b32 exec_lo, exec_lo, s5
	s_and_saveexec_b32 s4, s3
	s_cbranch_execnz .LBB1064_232
.LBB1064_195:
	s_or_b32 exec_lo, exec_lo, s4
	s_and_saveexec_b32 s3, s2
	s_cbranch_execz .LBB1064_233
.LBB1064_196:
	v_sub_nc_u32_e32 v7, v34, v5
	s_delay_alu instid0(VALU_DEP_1)
	v_lshlrev_b32_e32 v7, 1, v7
	ds_store_b16 v7, v35
	s_or_b32 exec_lo, exec_lo, s3
	s_and_saveexec_b32 s2, s1
	s_cbranch_execnz .LBB1064_234
	s_branch .LBB1064_235
.LBB1064_197:
	s_and_not1_saveexec_b32 s15, s15
	s_cbranch_execz .LBB1064_217
.LBB1064_198:
	v_sub_nc_u32_e32 v13, v48, v5
	v_mov_b32_e32 v14, 0
	s_or_b32 s18, s18, exec_lo
	s_delay_alu instid0(VALU_DEP_1) | instskip(SKIP_1) | instid1(VALU_DEP_1)
	v_lshlrev_b64 v[15:16], 1, v[13:14]
	v_sub_nc_u32_e32 v13, v42, v5
	v_lshlrev_b64 v[17:18], 1, v[13:14]
	v_sub_nc_u32_e32 v13, v44, v5
	s_delay_alu instid0(VALU_DEP_4) | instskip(SKIP_1) | instid1(VALU_DEP_3)
	v_add_co_u32 v15, vcc_lo, v11, v15
	v_add_co_ci_u32_e32 v16, vcc_lo, v12, v16, vcc_lo
	v_lshlrev_b64 v[52:53], 1, v[13:14]
	v_sub_nc_u32_e32 v13, v40, v5
	v_add_co_u32 v17, vcc_lo, v11, v17
	v_add_co_ci_u32_e32 v18, vcc_lo, v12, v18, vcc_lo
	global_store_b16 v[15:16], v49, off
	v_lshlrev_b64 v[15:16], 1, v[13:14]
	v_sub_nc_u32_e32 v13, v28, v5
	global_store_b16 v[17:18], v43, off
	v_add_co_u32 v17, vcc_lo, v11, v52
	v_add_co_ci_u32_e32 v18, vcc_lo, v12, v53, vcc_lo
	v_lshlrev_b64 v[52:53], 1, v[13:14]
	v_sub_nc_u32_e32 v13, v24, v5
	v_add_co_u32 v15, vcc_lo, v11, v15
	v_add_co_ci_u32_e32 v16, vcc_lo, v12, v16, vcc_lo
	s_delay_alu instid0(VALU_DEP_3) | instskip(SKIP_3) | instid1(VALU_DEP_3)
	v_lshlrev_b64 v[54:55], 1, v[13:14]
	v_sub_nc_u32_e32 v13, v26, v5
	v_add_co_u32 v52, vcc_lo, v11, v52
	v_add_co_ci_u32_e32 v53, vcc_lo, v12, v53, vcc_lo
	v_lshlrev_b64 v[56:57], 1, v[13:14]
	v_sub_nc_u32_e32 v13, v46, v5
	v_add_co_u32 v54, vcc_lo, v11, v54
	v_add_co_ci_u32_e32 v55, vcc_lo, v12, v55, vcc_lo
	s_clause 0x3
	global_store_b16 v[17:18], v45, off
	global_store_b16 v[15:16], v41, off
	global_store_b16 v[52:53], v29, off
	global_store_b16 v[54:55], v25, off
	v_lshlrev_b64 v[15:16], 1, v[13:14]
	v_sub_nc_u32_e32 v13, v50, v5
	v_add_co_u32 v17, vcc_lo, v11, v56
	v_add_co_ci_u32_e32 v18, vcc_lo, v12, v57, vcc_lo
	s_delay_alu instid0(VALU_DEP_3) | instskip(SKIP_3) | instid1(VALU_DEP_3)
	v_lshlrev_b64 v[52:53], 1, v[13:14]
	v_sub_nc_u32_e32 v13, v38, v5
	v_add_co_u32 v15, vcc_lo, v11, v15
	v_add_co_ci_u32_e32 v16, vcc_lo, v12, v16, vcc_lo
	v_lshlrev_b64 v[54:55], 1, v[13:14]
	v_sub_nc_u32_e32 v13, v36, v5
	v_add_co_u32 v52, vcc_lo, v11, v52
	v_add_co_ci_u32_e32 v53, vcc_lo, v12, v53, vcc_lo
	s_delay_alu instid0(VALU_DEP_3)
	v_lshlrev_b64 v[56:57], 1, v[13:14]
	v_sub_nc_u32_e32 v13, v30, v5
	v_add_co_u32 v54, vcc_lo, v11, v54
	v_add_co_ci_u32_e32 v55, vcc_lo, v12, v55, vcc_lo
	s_clause 0x3
	global_store_b16 v[17:18], v27, off
	global_store_b16 v[15:16], v47, off
	;; [unrolled: 1-line block ×4, first 2 shown]
	v_lshlrev_b64 v[15:16], 1, v[13:14]
	v_sub_nc_u32_e32 v13, v34, v5
	v_add_co_u32 v17, vcc_lo, v11, v56
	v_add_co_ci_u32_e32 v18, vcc_lo, v12, v57, vcc_lo
	s_delay_alu instid0(VALU_DEP_3) | instskip(SKIP_3) | instid1(VALU_DEP_3)
	v_lshlrev_b64 v[52:53], 1, v[13:14]
	v_sub_nc_u32_e32 v13, v32, v5
	v_add_co_u32 v15, vcc_lo, v11, v15
	v_add_co_ci_u32_e32 v16, vcc_lo, v12, v16, vcc_lo
	v_lshlrev_b64 v[13:14], 1, v[13:14]
	v_add_co_u32 v52, vcc_lo, v11, v52
	v_add_co_ci_u32_e32 v53, vcc_lo, v12, v53, vcc_lo
	s_clause 0x2
	global_store_b16 v[17:18], v37, off
	global_store_b16 v[15:16], v31, off
	;; [unrolled: 1-line block ×3, first 2 shown]
	v_add_co_u32 v13, vcc_lo, v11, v13
	v_add_co_ci_u32_e32 v14, vcc_lo, v12, v14, vcc_lo
	global_store_b16 v[13:14], v33, off
	s_or_b32 exec_lo, exec_lo, s15
	s_delay_alu instid0(SALU_CYCLE_1)
	s_and_b32 exec_lo, exec_lo, s18
	s_cbranch_execnz .LBB1064_218
	s_branch .LBB1064_219
.LBB1064_199:
	s_and_not1_saveexec_b32 s0, s16
	s_cbranch_execz .LBB1064_236
.LBB1064_200:
	v_sub_nc_u32_e32 v7, v48, v5
	v_sub_nc_u32_e32 v8, v42, v5
	;; [unrolled: 1-line block ×5, first 2 shown]
	v_lshlrev_b32_e32 v7, 1, v7
	v_lshlrev_b32_e32 v8, 1, v8
	;; [unrolled: 1-line block ×4, first 2 shown]
	s_or_b32 s18, s18, exec_lo
	ds_store_b16 v7, v49
	ds_store_b16 v8, v43
	;; [unrolled: 1-line block ×3, first 2 shown]
	v_sub_nc_u32_e32 v7, v28, v5
	v_sub_nc_u32_e32 v8, v24, v5
	;; [unrolled: 1-line block ×3, first 2 shown]
	ds_store_b16 v14, v41
	v_sub_nc_u32_e32 v14, v46, v5
	v_lshlrev_b32_e32 v7, 1, v7
	v_lshlrev_b32_e32 v8, 1, v8
	;; [unrolled: 1-line block ×3, first 2 shown]
	s_delay_alu instid0(VALU_DEP_4)
	v_lshlrev_b32_e32 v14, 1, v14
	ds_store_b16 v7, v29
	v_lshlrev_b32_e32 v7, 1, v15
	ds_store_b16 v8, v25
	ds_store_b16 v13, v27
	;; [unrolled: 1-line block ×3, first 2 shown]
	v_sub_nc_u32_e32 v8, v38, v5
	v_sub_nc_u32_e32 v15, v32, v5
	;; [unrolled: 1-line block ×3, first 2 shown]
	ds_store_b16 v7, v51
	v_sub_nc_u32_e32 v7, v36, v5
	v_lshlrev_b32_e32 v8, 1, v8
	v_sub_nc_u32_e32 v14, v34, v5
	v_lshlrev_b32_e32 v13, 1, v13
	s_delay_alu instid0(VALU_DEP_4)
	v_lshlrev_b32_e32 v7, 1, v7
	ds_store_b16 v8, v39
	v_lshlrev_b32_e32 v8, 1, v15
	v_lshlrev_b32_e32 v14, 1, v14
	ds_store_b16 v7, v37
	ds_store_b16 v13, v31
	;; [unrolled: 1-line block ×4, first 2 shown]
	s_or_b32 exec_lo, exec_lo, s0
	s_delay_alu instid0(SALU_CYCLE_1)
	s_and_b32 exec_lo, exec_lo, s18
	s_cbranch_execnz .LBB1064_237
	s_branch .LBB1064_238
.LBB1064_201:
	s_or_b32 exec_lo, exec_lo, s2
	v_mov_b32_e32 v83, s1
	s_and_saveexec_b32 s1, s39
	s_cbranch_execnz .LBB1064_73
	s_branch .LBB1064_74
.LBB1064_202:
	s_or_b32 exec_lo, exec_lo, s18
	s_and_saveexec_b32 s18, s13
	s_cbranch_execz .LBB1064_168
.LBB1064_203:
	v_sub_nc_u32_e32 v13, v42, v5
	v_mov_b32_e32 v14, 0
	s_delay_alu instid0(VALU_DEP_1) | instskip(NEXT) | instid1(VALU_DEP_1)
	v_lshlrev_b64 v[13:14], 1, v[13:14]
	v_add_co_u32 v13, vcc_lo, v11, v13
	s_delay_alu instid0(VALU_DEP_2)
	v_add_co_ci_u32_e32 v14, vcc_lo, v12, v14, vcc_lo
	global_store_b16 v[13:14], v43, off
	s_or_b32 exec_lo, exec_lo, s18
	s_and_saveexec_b32 s18, s12
	s_cbranch_execnz .LBB1064_169
.LBB1064_204:
	s_or_b32 exec_lo, exec_lo, s18
	s_and_saveexec_b32 s18, s11
	s_cbranch_execz .LBB1064_170
.LBB1064_205:
	v_sub_nc_u32_e32 v13, v40, v5
	v_mov_b32_e32 v14, 0
	s_delay_alu instid0(VALU_DEP_1) | instskip(NEXT) | instid1(VALU_DEP_1)
	v_lshlrev_b64 v[13:14], 1, v[13:14]
	v_add_co_u32 v13, vcc_lo, v11, v13
	s_delay_alu instid0(VALU_DEP_2)
	v_add_co_ci_u32_e32 v14, vcc_lo, v12, v14, vcc_lo
	global_store_b16 v[13:14], v41, off
	s_or_b32 exec_lo, exec_lo, s18
	s_and_saveexec_b32 s18, s10
	s_cbranch_execnz .LBB1064_171
.LBB1064_206:
	s_or_b32 exec_lo, exec_lo, s18
	s_and_saveexec_b32 s18, s9
	s_cbranch_execz .LBB1064_172
.LBB1064_207:
	v_sub_nc_u32_e32 v13, v24, v5
	v_mov_b32_e32 v14, 0
	s_delay_alu instid0(VALU_DEP_1) | instskip(NEXT) | instid1(VALU_DEP_1)
	v_lshlrev_b64 v[13:14], 1, v[13:14]
	v_add_co_u32 v13, vcc_lo, v11, v13
	s_delay_alu instid0(VALU_DEP_2)
	v_add_co_ci_u32_e32 v14, vcc_lo, v12, v14, vcc_lo
	global_store_b16 v[13:14], v25, off
	s_or_b32 exec_lo, exec_lo, s18
	s_and_saveexec_b32 s18, s8
	s_cbranch_execnz .LBB1064_173
.LBB1064_208:
	s_or_b32 exec_lo, exec_lo, s18
	s_and_saveexec_b32 s18, s7
	s_cbranch_execz .LBB1064_174
.LBB1064_209:
	v_sub_nc_u32_e32 v13, v46, v5
	v_mov_b32_e32 v14, 0
	s_delay_alu instid0(VALU_DEP_1) | instskip(NEXT) | instid1(VALU_DEP_1)
	v_lshlrev_b64 v[13:14], 1, v[13:14]
	v_add_co_u32 v13, vcc_lo, v11, v13
	s_delay_alu instid0(VALU_DEP_2)
	v_add_co_ci_u32_e32 v14, vcc_lo, v12, v14, vcc_lo
	global_store_b16 v[13:14], v47, off
	s_or_b32 exec_lo, exec_lo, s18
	s_and_saveexec_b32 s18, s6
	s_cbranch_execnz .LBB1064_175
.LBB1064_210:
	s_or_b32 exec_lo, exec_lo, s18
	s_and_saveexec_b32 s18, s5
	s_cbranch_execz .LBB1064_176
.LBB1064_211:
	v_sub_nc_u32_e32 v13, v38, v5
	v_mov_b32_e32 v14, 0
	s_delay_alu instid0(VALU_DEP_1) | instskip(NEXT) | instid1(VALU_DEP_1)
	v_lshlrev_b64 v[13:14], 1, v[13:14]
	v_add_co_u32 v13, vcc_lo, v11, v13
	s_delay_alu instid0(VALU_DEP_2)
	v_add_co_ci_u32_e32 v14, vcc_lo, v12, v14, vcc_lo
	global_store_b16 v[13:14], v39, off
	s_or_b32 exec_lo, exec_lo, s18
	s_and_saveexec_b32 s18, s4
	s_cbranch_execnz .LBB1064_177
.LBB1064_212:
	s_or_b32 exec_lo, exec_lo, s18
	s_and_saveexec_b32 s18, s3
	s_cbranch_execz .LBB1064_178
.LBB1064_213:
	v_sub_nc_u32_e32 v13, v30, v5
	v_mov_b32_e32 v14, 0
	s_delay_alu instid0(VALU_DEP_1) | instskip(NEXT) | instid1(VALU_DEP_1)
	v_lshlrev_b64 v[13:14], 1, v[13:14]
	v_add_co_u32 v13, vcc_lo, v11, v13
	s_delay_alu instid0(VALU_DEP_2)
	v_add_co_ci_u32_e32 v14, vcc_lo, v12, v14, vcc_lo
	global_store_b16 v[13:14], v31, off
	s_or_b32 exec_lo, exec_lo, s18
	s_and_saveexec_b32 s18, s2
	s_cbranch_execnz .LBB1064_179
.LBB1064_214:
	s_or_b32 exec_lo, exec_lo, s18
	s_and_saveexec_b32 s18, s1
	s_cbranch_execz .LBB1064_216
.LBB1064_215:
	v_sub_nc_u32_e32 v13, v32, v5
	v_mov_b32_e32 v14, 0
	s_delay_alu instid0(VALU_DEP_1) | instskip(NEXT) | instid1(VALU_DEP_1)
	v_lshlrev_b64 v[13:14], 1, v[13:14]
	v_add_co_u32 v13, vcc_lo, v11, v13
	s_delay_alu instid0(VALU_DEP_2)
	v_add_co_ci_u32_e32 v14, vcc_lo, v12, v14, vcc_lo
	global_store_b16 v[13:14], v33, off
.LBB1064_216:
	s_or_b32 exec_lo, exec_lo, s18
	s_delay_alu instid0(SALU_CYCLE_1)
	s_and_b32 s18, s0, exec_lo
	s_and_not1_saveexec_b32 s15, s15
	s_cbranch_execnz .LBB1064_198
.LBB1064_217:
	s_or_b32 exec_lo, exec_lo, s15
	s_delay_alu instid0(SALU_CYCLE_1)
	s_and_b32 exec_lo, exec_lo, s18
	s_cbranch_execz .LBB1064_219
.LBB1064_218:
	v_sub_nc_u32_e32 v13, v22, v5
	v_mov_b32_e32 v14, 0
	s_delay_alu instid0(VALU_DEP_1) | instskip(NEXT) | instid1(VALU_DEP_1)
	v_lshlrev_b64 v[13:14], 1, v[13:14]
	v_add_co_u32 v13, vcc_lo, v11, v13
	s_delay_alu instid0(VALU_DEP_2)
	v_add_co_ci_u32_e32 v14, vcc_lo, v12, v14, vcc_lo
	global_store_b16 v[13:14], v23, off
.LBB1064_219:
	s_or_b32 exec_lo, exec_lo, s16
.LBB1064_220:
	v_cmp_eq_u32_e32 vcc_lo, 0xff, v0
	s_and_b32 s0, vcc_lo, s17
	s_delay_alu instid0(SALU_CYCLE_1)
	s_and_saveexec_b32 s1, s0
	s_cbranch_execnz .LBB1064_254
	s_branch .LBB1064_256
.LBB1064_221:
	s_or_b32 exec_lo, exec_lo, s18
	s_and_saveexec_b32 s14, s13
	s_cbranch_execz .LBB1064_185
.LBB1064_222:
	v_sub_nc_u32_e32 v7, v42, v5
	s_delay_alu instid0(VALU_DEP_1)
	v_lshlrev_b32_e32 v7, 1, v7
	ds_store_b16 v7, v43
	s_or_b32 exec_lo, exec_lo, s14
	s_and_saveexec_b32 s13, s12
	s_cbranch_execnz .LBB1064_186
.LBB1064_223:
	s_or_b32 exec_lo, exec_lo, s13
	s_and_saveexec_b32 s12, s11
	s_cbranch_execz .LBB1064_187
.LBB1064_224:
	v_sub_nc_u32_e32 v7, v40, v5
	s_delay_alu instid0(VALU_DEP_1)
	v_lshlrev_b32_e32 v7, 1, v7
	ds_store_b16 v7, v41
	s_or_b32 exec_lo, exec_lo, s12
	s_and_saveexec_b32 s11, s10
	s_cbranch_execnz .LBB1064_188
.LBB1064_225:
	s_or_b32 exec_lo, exec_lo, s11
	s_and_saveexec_b32 s10, s9
	s_cbranch_execz .LBB1064_189
.LBB1064_226:
	v_sub_nc_u32_e32 v7, v24, v5
	s_delay_alu instid0(VALU_DEP_1)
	v_lshlrev_b32_e32 v7, 1, v7
	ds_store_b16 v7, v25
	s_or_b32 exec_lo, exec_lo, s10
	s_and_saveexec_b32 s9, s8
	s_cbranch_execnz .LBB1064_190
.LBB1064_227:
	s_or_b32 exec_lo, exec_lo, s9
	s_and_saveexec_b32 s8, s7
	s_cbranch_execz .LBB1064_191
.LBB1064_228:
	v_sub_nc_u32_e32 v7, v46, v5
	s_delay_alu instid0(VALU_DEP_1)
	v_lshlrev_b32_e32 v7, 1, v7
	ds_store_b16 v7, v47
	s_or_b32 exec_lo, exec_lo, s8
	s_and_saveexec_b32 s7, s6
	s_cbranch_execnz .LBB1064_192
.LBB1064_229:
	s_or_b32 exec_lo, exec_lo, s7
	s_and_saveexec_b32 s6, s5
	s_cbranch_execz .LBB1064_193
.LBB1064_230:
	v_sub_nc_u32_e32 v7, v38, v5
	s_delay_alu instid0(VALU_DEP_1)
	v_lshlrev_b32_e32 v7, 1, v7
	ds_store_b16 v7, v39
	s_or_b32 exec_lo, exec_lo, s6
	s_and_saveexec_b32 s5, s4
	s_cbranch_execnz .LBB1064_194
.LBB1064_231:
	s_or_b32 exec_lo, exec_lo, s5
	s_and_saveexec_b32 s4, s3
	s_cbranch_execz .LBB1064_195
.LBB1064_232:
	v_sub_nc_u32_e32 v7, v30, v5
	s_delay_alu instid0(VALU_DEP_1)
	v_lshlrev_b32_e32 v7, 1, v7
	ds_store_b16 v7, v31
	s_or_b32 exec_lo, exec_lo, s4
	s_and_saveexec_b32 s3, s2
	s_cbranch_execnz .LBB1064_196
.LBB1064_233:
	s_or_b32 exec_lo, exec_lo, s3
	s_and_saveexec_b32 s2, s1
	s_cbranch_execz .LBB1064_235
.LBB1064_234:
	v_sub_nc_u32_e32 v7, v32, v5
	s_delay_alu instid0(VALU_DEP_1)
	v_lshlrev_b32_e32 v7, 1, v7
	ds_store_b16 v7, v33
.LBB1064_235:
	s_or_b32 exec_lo, exec_lo, s2
	s_delay_alu instid0(SALU_CYCLE_1)
	s_and_b32 s18, s0, exec_lo
                                        ; implicit-def: $vgpr48_vgpr49
                                        ; implicit-def: $vgpr42_vgpr43
                                        ; implicit-def: $vgpr44_vgpr45
                                        ; implicit-def: $vgpr40_vgpr41
                                        ; implicit-def: $vgpr28_vgpr29
                                        ; implicit-def: $vgpr24_vgpr25
                                        ; implicit-def: $vgpr26_vgpr27
                                        ; implicit-def: $vgpr46_vgpr47
                                        ; implicit-def: $vgpr50_vgpr51
                                        ; implicit-def: $vgpr38_vgpr39
                                        ; implicit-def: $vgpr36_vgpr37
                                        ; implicit-def: $vgpr30_vgpr31
                                        ; implicit-def: $vgpr34_vgpr35
                                        ; implicit-def: $vgpr32_vgpr33
	s_and_not1_saveexec_b32 s0, s16
	s_cbranch_execnz .LBB1064_200
.LBB1064_236:
	s_or_b32 exec_lo, exec_lo, s0
	s_delay_alu instid0(SALU_CYCLE_1)
	s_and_b32 exec_lo, exec_lo, s18
	s_cbranch_execz .LBB1064_238
.LBB1064_237:
	v_sub_nc_u32_e32 v5, v22, v5
	s_delay_alu instid0(VALU_DEP_1)
	v_lshlrev_b32_e32 v5, 1, v5
	ds_store_b16 v5, v23
.LBB1064_238:
	s_or_b32 exec_lo, exec_lo, s15
	s_delay_alu instid0(SALU_CYCLE_1)
	s_mov_b32 s1, exec_lo
	s_waitcnt lgkmcnt(0)
	s_waitcnt_vscnt null, 0x0
	s_barrier
	buffer_gl0_inv
	v_cmpx_lt_u32_e64 v0, v3
	s_cbranch_execz .LBB1064_253
; %bb.239:
	v_add_nc_u32_e32 v7, v2, v6
	s_mov_b32 s0, -1
	s_mov_b32 s3, exec_lo
	s_delay_alu instid0(VALU_DEP_1) | instskip(NEXT) | instid1(VALU_DEP_1)
	v_xad_u32 v5, v0, -1, v7
	v_sub_nc_u32_e32 v6, v5, v1
	v_mov_b32_e32 v5, v0
	s_delay_alu instid0(VALU_DEP_2)
	v_cmp_gt_u32_e64 s2, 0x1b00, v6
	v_cmpx_lt_u32_e32 0x1aff, v6
	s_cbranch_execz .LBB1064_250
; %bb.240:
	v_sub_nc_u32_e32 v5, v0, v7
	s_mov_b32 s4, exec_lo
	s_delay_alu instid0(VALU_DEP_1) | instskip(SKIP_1) | instid1(VALU_DEP_2)
	v_add_nc_u32_e32 v1, v5, v1
	v_mov_b32_e32 v5, v0
	v_or_b32_e32 v1, 0xff, v1
	s_delay_alu instid0(VALU_DEP_1)
	v_cmpx_ge_u32_e64 v1, v0
	s_cbranch_execz .LBB1064_249
; %bb.241:
	v_lshrrev_b32_e32 v13, 8, v6
	v_or_b32_e32 v1, 0x100, v0
	v_lshlrev_b32_e32 v14, 1, v0
	s_delay_alu instid0(VALU_DEP_3) | instskip(NEXT) | instid1(VALU_DEP_1)
	v_dual_mov_b32 v18, 0 :: v_dual_add_nc_u32 v5, -1, v13
	v_lshrrev_b32_e32 v6, 1, v5
	v_cmp_lt_u32_e32 vcc_lo, 13, v5
	s_delay_alu instid0(VALU_DEP_2)
	v_dual_mov_b32 v6, v1 :: v_dual_add_nc_u32 v15, 1, v6
	v_mov_b32_e32 v5, v0
	s_and_saveexec_b32 s0, vcc_lo
	s_cbranch_execz .LBB1064_245
; %bb.242:
	v_mov_b32_e32 v6, v1
	v_dual_mov_b32 v17, v14 :: v_dual_and_b32 v16, -8, v15
	v_dual_mov_b32 v8, 0 :: v_dual_mov_b32 v5, v0
	s_mov_b32 s5, 0
	s_mov_b32 s6, 0
.LBB1064_243:                           ; =>This Inner Loop Header: Depth=1
	s_delay_alu instid0(VALU_DEP_1) | instskip(NEXT) | instid1(VALU_DEP_2)
	v_dual_mov_b32 v7, v5 :: v_dual_add_nc_u32 v22, 0x200, v6
	v_dual_mov_b32 v35, v8 :: v_dual_add_nc_u32 v16, -8, v16
	v_dual_mov_b32 v23, v8 :: v_dual_add_nc_u32 v24, 0x400, v6
	s_delay_alu instid0(VALU_DEP_3) | instskip(SKIP_1) | instid1(VALU_DEP_4)
	v_lshlrev_b64 v[36:37], 1, v[7:8]
	v_dual_mov_b32 v25, v8 :: v_dual_add_nc_u32 v26, 0x600, v6
	v_cmp_eq_u32_e32 vcc_lo, 0, v16
	s_delay_alu instid0(VALU_DEP_4)
	v_lshlrev_b64 v[22:23], 1, v[22:23]
	v_dual_mov_b32 v27, v8 :: v_dual_add_nc_u32 v28, 0x800, v6
	s_add_i32 s6, s6, 16
	v_lshlrev_b64 v[24:25], 1, v[24:25]
	s_or_b32 s5, vcc_lo, s5
	v_add_co_u32 v36, vcc_lo, v11, v36
	v_dual_mov_b32 v29, v8 :: v_dual_add_nc_u32 v30, 0xa00, v6
	v_add_co_ci_u32_e32 v37, vcc_lo, v12, v37, vcc_lo
	v_lshlrev_b64 v[26:27], 1, v[26:27]
	v_add_co_u32 v22, vcc_lo, v11, v22
	v_dual_mov_b32 v31, v8 :: v_dual_add_nc_u32 v32, 0xc00, v6
	v_add_co_ci_u32_e32 v23, vcc_lo, v12, v23, vcc_lo
	v_lshlrev_b64 v[28:29], 1, v[28:29]
	;; [unrolled: 4-line block ×4, first 2 shown]
	v_add_co_u32 v28, vcc_lo, v11, v28
	ds_load_u16 v1, v17
	ds_load_u16 v19, v17 offset:512
	ds_load_u16 v42, v17 offset:1024
	;; [unrolled: 1-line block ×7, first 2 shown]
	v_add_co_ci_u32_e32 v29, vcc_lo, v12, v29, vcc_lo
	v_lshlrev_b64 v[34:35], 1, v[34:35]
	v_add_co_u32 v30, vcc_lo, v11, v30
	v_lshlrev_b64 v[38:39], 1, v[7:8]
	v_add_nc_u32_e32 v7, 0x200, v5
	v_add_co_ci_u32_e32 v31, vcc_lo, v12, v31, vcc_lo
	v_add_co_u32 v32, vcc_lo, v11, v32
	v_add_co_ci_u32_e32 v33, vcc_lo, v12, v33, vcc_lo
	v_add_co_u32 v34, vcc_lo, v11, v34
	v_lshlrev_b64 v[40:41], 1, v[7:8]
	v_add_nc_u32_e32 v7, 0x400, v5
	v_add_co_ci_u32_e32 v35, vcc_lo, v12, v35, vcc_lo
	v_add_co_u32 v38, vcc_lo, v11, v38
	ds_load_u16 v48, v17 offset:4096
	ds_load_u16 v49, v17 offset:4608
	;; [unrolled: 1-line block ×8, first 2 shown]
	v_add_co_ci_u32_e32 v39, vcc_lo, v12, v39, vcc_lo
	s_waitcnt lgkmcnt(15)
	global_store_b16 v[36:37], v1, off
	v_lshlrev_b64 v[36:37], 1, v[7:8]
	v_add_nc_u32_e32 v7, 0x600, v5
	v_add_co_u32 v40, vcc_lo, v11, v40
	v_add_co_ci_u32_e32 v41, vcc_lo, v12, v41, vcc_lo
	s_waitcnt lgkmcnt(14)
	global_store_b16 v[38:39], v19, off
	v_lshlrev_b64 v[38:39], 1, v[7:8]
	v_add_nc_u32_e32 v7, 0x800, v5
	s_waitcnt lgkmcnt(13)
	global_store_b16 v[40:41], v42, off
	s_waitcnt lgkmcnt(12)
	global_store_b16 v[22:23], v43, off
	v_add_co_u32 v22, vcc_lo, v11, v36
	v_add_co_ci_u32_e32 v23, vcc_lo, v12, v37, vcc_lo
	v_lshlrev_b64 v[36:37], 1, v[7:8]
	v_add_nc_u32_e32 v7, 0xa00, v5
	v_add_co_u32 v38, vcc_lo, v11, v38
	v_add_co_ci_u32_e32 v39, vcc_lo, v12, v39, vcc_lo
	s_waitcnt lgkmcnt(11)
	global_store_b16 v[22:23], v44, off
	s_waitcnt lgkmcnt(10)
	global_store_b16 v[24:25], v45, off
	v_lshlrev_b64 v[22:23], 1, v[7:8]
	v_add_nc_u32_e32 v7, 0xc00, v5
	v_add_co_u32 v24, vcc_lo, v11, v36
	s_waitcnt lgkmcnt(9)
	global_store_b16 v[38:39], v46, off
	s_waitcnt lgkmcnt(8)
	global_store_b16 v[26:27], v47, off
	v_add_co_ci_u32_e32 v25, vcc_lo, v12, v37, vcc_lo
	v_lshlrev_b64 v[26:27], 1, v[7:8]
	v_add_nc_u32_e32 v7, 0xe00, v5
	v_add_co_u32 v22, vcc_lo, v11, v22
	v_add_co_ci_u32_e32 v23, vcc_lo, v12, v23, vcc_lo
	s_waitcnt lgkmcnt(7)
	global_store_b16 v[24:25], v48, off
	s_waitcnt lgkmcnt(6)
	global_store_b16 v[28:29], v49, off
	v_lshlrev_b64 v[24:25], 1, v[7:8]
	v_dual_mov_b32 v18, s6 :: v_dual_add_nc_u32 v17, 0x2000, v17
	s_waitcnt lgkmcnt(5)
	global_store_b16 v[22:23], v50, off
	v_add_co_u32 v22, vcc_lo, v11, v26
	v_add_nc_u32_e32 v5, 0x1000, v5
	v_add_co_ci_u32_e32 v23, vcc_lo, v12, v27, vcc_lo
	v_add_co_u32 v24, vcc_lo, v11, v24
	v_add_co_ci_u32_e32 v25, vcc_lo, v12, v25, vcc_lo
	s_waitcnt lgkmcnt(4)
	global_store_b16 v[30:31], v51, off
	s_waitcnt lgkmcnt(3)
	global_store_b16 v[22:23], v52, off
	;; [unrolled: 2-line block ×5, first 2 shown]
	s_and_not1_b32 exec_lo, exec_lo, s5
	s_cbranch_execnz .LBB1064_243
; %bb.244:
	s_or_b32 exec_lo, exec_lo, s5
.LBB1064_245:
	s_delay_alu instid0(SALU_CYCLE_1) | instskip(SKIP_3) | instid1(VALU_DEP_1)
	s_or_b32 exec_lo, exec_lo, s0
	v_and_b32_e32 v1, 7, v15
	s_mov_b32 s6, 0
	s_mov_b32 s5, exec_lo
	v_cmpx_ne_u32_e32 0, v1
	s_cbranch_execz .LBB1064_248
; %bb.246:
	v_lshl_or_b32 v14, v18, 9, v14
	v_mov_b32_e32 v8, 0
	s_set_inst_prefetch_distance 0x1
	.p2align	6
.LBB1064_247:                           ; =>This Inner Loop Header: Depth=1
	v_mov_b32_e32 v7, v5
	ds_load_u16 v19, v14
	ds_load_u16 v22, v14 offset:512
	v_add_nc_u32_e32 v14, 0x400, v14
	v_add_nc_u32_e32 v1, -1, v1
	v_add_nc_u32_e32 v5, 0x200, v5
	v_lshlrev_b64 v[15:16], 1, v[7:8]
	v_dual_mov_b32 v7, v6 :: v_dual_add_nc_u32 v6, 0x200, v6
	s_delay_alu instid0(VALU_DEP_4) | instskip(NEXT) | instid1(VALU_DEP_2)
	v_cmp_eq_u32_e32 vcc_lo, 0, v1
	v_lshlrev_b64 v[17:18], 1, v[7:8]
	s_delay_alu instid0(VALU_DEP_4) | instskip(NEXT) | instid1(VALU_DEP_1)
	v_add_co_u32 v15, s0, v11, v15
	v_add_co_ci_u32_e64 v16, s0, v12, v16, s0
	s_or_b32 s6, vcc_lo, s6
	s_delay_alu instid0(VALU_DEP_3) | instskip(NEXT) | instid1(VALU_DEP_1)
	v_add_co_u32 v17, s0, v11, v17
	v_add_co_ci_u32_e64 v18, s0, v12, v18, s0
	s_waitcnt lgkmcnt(1)
	global_store_b16 v[15:16], v19, off
	s_waitcnt lgkmcnt(0)
	global_store_b16 v[17:18], v22, off
	s_and_not1_b32 exec_lo, exec_lo, s6
	s_cbranch_execnz .LBB1064_247
.LBB1064_248:
	s_set_inst_prefetch_distance 0x2
	s_or_b32 exec_lo, exec_lo, s5
	v_add_nc_u32_e32 v1, 1, v13
	s_delay_alu instid0(VALU_DEP_1) | instskip(NEXT) | instid1(VALU_DEP_1)
	v_and_b32_e32 v5, 0x1fffffe, v1
	v_cmp_ne_u32_e32 vcc_lo, v1, v5
	v_lshl_or_b32 v5, v5, 8, v0
	s_or_not1_b32 s0, vcc_lo, exec_lo
.LBB1064_249:
	s_or_b32 exec_lo, exec_lo, s4
	s_delay_alu instid0(SALU_CYCLE_1) | instskip(SKIP_1) | instid1(SALU_CYCLE_1)
	s_and_not1_b32 s2, s2, exec_lo
	s_and_b32 s0, s0, exec_lo
	s_or_b32 s2, s2, s0
.LBB1064_250:
	s_or_b32 exec_lo, exec_lo, s3
	s_delay_alu instid0(VALU_DEP_2) | instid1(SALU_CYCLE_1)
	s_and_b32 exec_lo, exec_lo, s2
	s_cbranch_execz .LBB1064_253
; %bb.251:
	v_dual_mov_b32 v6, 0 :: v_dual_lshlrev_b32 v1, 1, v5
	s_mov_b32 s2, 0
	.p2align	6
.LBB1064_252:                           ; =>This Inner Loop Header: Depth=1
	ds_load_u16 v13, v1
	v_lshlrev_b64 v[7:8], 1, v[5:6]
	v_add_nc_u32_e32 v5, 0x100, v5
	v_add_nc_u32_e32 v1, 0x200, v1
	s_delay_alu instid0(VALU_DEP_2) | instskip(NEXT) | instid1(VALU_DEP_4)
	v_cmp_ge_u32_e32 vcc_lo, v5, v3
	v_add_co_u32 v7, s0, v11, v7
	s_delay_alu instid0(VALU_DEP_1)
	v_add_co_ci_u32_e64 v8, s0, v12, v8, s0
	s_or_b32 s2, vcc_lo, s2
	s_waitcnt lgkmcnt(0)
	global_store_b16 v[7:8], v13, off
	s_and_not1_b32 exec_lo, exec_lo, s2
	s_cbranch_execnz .LBB1064_252
.LBB1064_253:
	s_or_b32 exec_lo, exec_lo, s1
	v_cmp_eq_u32_e32 vcc_lo, 0xff, v0
	s_and_b32 s0, vcc_lo, s17
	s_delay_alu instid0(SALU_CYCLE_1)
	s_and_saveexec_b32 s1, s0
	s_cbranch_execz .LBB1064_256
.LBB1064_254:
	v_add_co_u32 v0, s0, v2, v4
	s_delay_alu instid0(VALU_DEP_1) | instskip(SKIP_1) | instid1(VALU_DEP_3)
	v_add_co_ci_u32_e64 v1, null, 0, 0, s0
	v_mov_b32_e32 v3, 0
	v_add_co_u32 v0, vcc_lo, v0, v20
	s_delay_alu instid0(VALU_DEP_3)
	v_add_co_ci_u32_e32 v1, vcc_lo, v1, v21, vcc_lo
	s_cmpk_lg_i32 s33, 0xf00
	global_store_b64 v3, v[0:1], s[26:27]
	s_cbranch_scc1 .LBB1064_256
; %bb.255:
	v_lshlrev_b64 v[0:1], 1, v[2:3]
	s_delay_alu instid0(VALU_DEP_1) | instskip(NEXT) | instid1(VALU_DEP_2)
	v_add_co_u32 v0, vcc_lo, v9, v0
	v_add_co_ci_u32_e32 v1, vcc_lo, v10, v1, vcc_lo
	global_store_b16 v[0:1], v82, off offset:-2
	s_nop 0
	s_sendmsg sendmsg(MSG_DEALLOC_VGPRS)
	s_endpgm
.LBB1064_256:
	s_nop 0
	s_sendmsg sendmsg(MSG_DEALLOC_VGPRS)
	s_endpgm
	.section	.rodata,"a",@progbits
	.p2align	6, 0x0
	.amdhsa_kernel _ZN7rocprim17ROCPRIM_400000_NS6detail17trampoline_kernelINS0_14default_configENS1_29reduce_by_key_config_selectorIjsN6thrust23THRUST_200600_302600_NS4plusIsEEEEZZNS1_33reduce_by_key_impl_wrapped_configILNS1_25lookback_scan_determinismE0ES3_S9_NS6_6detail15normal_iteratorINS6_10device_ptrIjEEEENSD_INSE_IsEEEENS6_16discard_iteratorINS6_11use_defaultEEESI_PmS8_NS6_8equal_toIjEEEE10hipError_tPvRmT2_T3_mT4_T5_T6_T7_T8_P12ihipStream_tbENKUlT_T0_E_clISt17integral_constantIbLb0EES16_EEDaS11_S12_EUlS11_E_NS1_11comp_targetILNS1_3genE9ELNS1_11target_archE1100ELNS1_3gpuE3ELNS1_3repE0EEENS1_30default_config_static_selectorELNS0_4arch9wavefront6targetE0EEEvT1_
		.amdhsa_group_segment_fixed_size 15360
		.amdhsa_private_segment_fixed_size 0
		.amdhsa_kernarg_size 128
		.amdhsa_user_sgpr_count 15
		.amdhsa_user_sgpr_dispatch_ptr 0
		.amdhsa_user_sgpr_queue_ptr 0
		.amdhsa_user_sgpr_kernarg_segment_ptr 1
		.amdhsa_user_sgpr_dispatch_id 0
		.amdhsa_user_sgpr_private_segment_size 0
		.amdhsa_wavefront_size32 1
		.amdhsa_uses_dynamic_stack 0
		.amdhsa_enable_private_segment 0
		.amdhsa_system_sgpr_workgroup_id_x 1
		.amdhsa_system_sgpr_workgroup_id_y 0
		.amdhsa_system_sgpr_workgroup_id_z 0
		.amdhsa_system_sgpr_workgroup_info 0
		.amdhsa_system_vgpr_workitem_id 0
		.amdhsa_next_free_vgpr 89
		.amdhsa_next_free_sgpr 42
		.amdhsa_reserve_vcc 1
		.amdhsa_float_round_mode_32 0
		.amdhsa_float_round_mode_16_64 0
		.amdhsa_float_denorm_mode_32 3
		.amdhsa_float_denorm_mode_16_64 3
		.amdhsa_dx10_clamp 1
		.amdhsa_ieee_mode 1
		.amdhsa_fp16_overflow 0
		.amdhsa_workgroup_processor_mode 1
		.amdhsa_memory_ordered 1
		.amdhsa_forward_progress 0
		.amdhsa_shared_vgpr_count 0
		.amdhsa_exception_fp_ieee_invalid_op 0
		.amdhsa_exception_fp_denorm_src 0
		.amdhsa_exception_fp_ieee_div_zero 0
		.amdhsa_exception_fp_ieee_overflow 0
		.amdhsa_exception_fp_ieee_underflow 0
		.amdhsa_exception_fp_ieee_inexact 0
		.amdhsa_exception_int_div_zero 0
	.end_amdhsa_kernel
	.section	.text._ZN7rocprim17ROCPRIM_400000_NS6detail17trampoline_kernelINS0_14default_configENS1_29reduce_by_key_config_selectorIjsN6thrust23THRUST_200600_302600_NS4plusIsEEEEZZNS1_33reduce_by_key_impl_wrapped_configILNS1_25lookback_scan_determinismE0ES3_S9_NS6_6detail15normal_iteratorINS6_10device_ptrIjEEEENSD_INSE_IsEEEENS6_16discard_iteratorINS6_11use_defaultEEESI_PmS8_NS6_8equal_toIjEEEE10hipError_tPvRmT2_T3_mT4_T5_T6_T7_T8_P12ihipStream_tbENKUlT_T0_E_clISt17integral_constantIbLb0EES16_EEDaS11_S12_EUlS11_E_NS1_11comp_targetILNS1_3genE9ELNS1_11target_archE1100ELNS1_3gpuE3ELNS1_3repE0EEENS1_30default_config_static_selectorELNS0_4arch9wavefront6targetE0EEEvT1_,"axG",@progbits,_ZN7rocprim17ROCPRIM_400000_NS6detail17trampoline_kernelINS0_14default_configENS1_29reduce_by_key_config_selectorIjsN6thrust23THRUST_200600_302600_NS4plusIsEEEEZZNS1_33reduce_by_key_impl_wrapped_configILNS1_25lookback_scan_determinismE0ES3_S9_NS6_6detail15normal_iteratorINS6_10device_ptrIjEEEENSD_INSE_IsEEEENS6_16discard_iteratorINS6_11use_defaultEEESI_PmS8_NS6_8equal_toIjEEEE10hipError_tPvRmT2_T3_mT4_T5_T6_T7_T8_P12ihipStream_tbENKUlT_T0_E_clISt17integral_constantIbLb0EES16_EEDaS11_S12_EUlS11_E_NS1_11comp_targetILNS1_3genE9ELNS1_11target_archE1100ELNS1_3gpuE3ELNS1_3repE0EEENS1_30default_config_static_selectorELNS0_4arch9wavefront6targetE0EEEvT1_,comdat
.Lfunc_end1064:
	.size	_ZN7rocprim17ROCPRIM_400000_NS6detail17trampoline_kernelINS0_14default_configENS1_29reduce_by_key_config_selectorIjsN6thrust23THRUST_200600_302600_NS4plusIsEEEEZZNS1_33reduce_by_key_impl_wrapped_configILNS1_25lookback_scan_determinismE0ES3_S9_NS6_6detail15normal_iteratorINS6_10device_ptrIjEEEENSD_INSE_IsEEEENS6_16discard_iteratorINS6_11use_defaultEEESI_PmS8_NS6_8equal_toIjEEEE10hipError_tPvRmT2_T3_mT4_T5_T6_T7_T8_P12ihipStream_tbENKUlT_T0_E_clISt17integral_constantIbLb0EES16_EEDaS11_S12_EUlS11_E_NS1_11comp_targetILNS1_3genE9ELNS1_11target_archE1100ELNS1_3gpuE3ELNS1_3repE0EEENS1_30default_config_static_selectorELNS0_4arch9wavefront6targetE0EEEvT1_, .Lfunc_end1064-_ZN7rocprim17ROCPRIM_400000_NS6detail17trampoline_kernelINS0_14default_configENS1_29reduce_by_key_config_selectorIjsN6thrust23THRUST_200600_302600_NS4plusIsEEEEZZNS1_33reduce_by_key_impl_wrapped_configILNS1_25lookback_scan_determinismE0ES3_S9_NS6_6detail15normal_iteratorINS6_10device_ptrIjEEEENSD_INSE_IsEEEENS6_16discard_iteratorINS6_11use_defaultEEESI_PmS8_NS6_8equal_toIjEEEE10hipError_tPvRmT2_T3_mT4_T5_T6_T7_T8_P12ihipStream_tbENKUlT_T0_E_clISt17integral_constantIbLb0EES16_EEDaS11_S12_EUlS11_E_NS1_11comp_targetILNS1_3genE9ELNS1_11target_archE1100ELNS1_3gpuE3ELNS1_3repE0EEENS1_30default_config_static_selectorELNS0_4arch9wavefront6targetE0EEEvT1_
                                        ; -- End function
	.section	.AMDGPU.csdata,"",@progbits
; Kernel info:
; codeLenInByte = 18124
; NumSgprs: 44
; NumVgprs: 89
; ScratchSize: 0
; MemoryBound: 0
; FloatMode: 240
; IeeeMode: 1
; LDSByteSize: 15360 bytes/workgroup (compile time only)
; SGPRBlocks: 5
; VGPRBlocks: 11
; NumSGPRsForWavesPerEU: 44
; NumVGPRsForWavesPerEU: 89
; Occupancy: 16
; WaveLimiterHint : 1
; COMPUTE_PGM_RSRC2:SCRATCH_EN: 0
; COMPUTE_PGM_RSRC2:USER_SGPR: 15
; COMPUTE_PGM_RSRC2:TRAP_HANDLER: 0
; COMPUTE_PGM_RSRC2:TGID_X_EN: 1
; COMPUTE_PGM_RSRC2:TGID_Y_EN: 0
; COMPUTE_PGM_RSRC2:TGID_Z_EN: 0
; COMPUTE_PGM_RSRC2:TIDIG_COMP_CNT: 0
	.section	.text._ZN7rocprim17ROCPRIM_400000_NS6detail17trampoline_kernelINS0_14default_configENS1_29reduce_by_key_config_selectorIjsN6thrust23THRUST_200600_302600_NS4plusIsEEEEZZNS1_33reduce_by_key_impl_wrapped_configILNS1_25lookback_scan_determinismE0ES3_S9_NS6_6detail15normal_iteratorINS6_10device_ptrIjEEEENSD_INSE_IsEEEENS6_16discard_iteratorINS6_11use_defaultEEESI_PmS8_NS6_8equal_toIjEEEE10hipError_tPvRmT2_T3_mT4_T5_T6_T7_T8_P12ihipStream_tbENKUlT_T0_E_clISt17integral_constantIbLb0EES16_EEDaS11_S12_EUlS11_E_NS1_11comp_targetILNS1_3genE8ELNS1_11target_archE1030ELNS1_3gpuE2ELNS1_3repE0EEENS1_30default_config_static_selectorELNS0_4arch9wavefront6targetE0EEEvT1_,"axG",@progbits,_ZN7rocprim17ROCPRIM_400000_NS6detail17trampoline_kernelINS0_14default_configENS1_29reduce_by_key_config_selectorIjsN6thrust23THRUST_200600_302600_NS4plusIsEEEEZZNS1_33reduce_by_key_impl_wrapped_configILNS1_25lookback_scan_determinismE0ES3_S9_NS6_6detail15normal_iteratorINS6_10device_ptrIjEEEENSD_INSE_IsEEEENS6_16discard_iteratorINS6_11use_defaultEEESI_PmS8_NS6_8equal_toIjEEEE10hipError_tPvRmT2_T3_mT4_T5_T6_T7_T8_P12ihipStream_tbENKUlT_T0_E_clISt17integral_constantIbLb0EES16_EEDaS11_S12_EUlS11_E_NS1_11comp_targetILNS1_3genE8ELNS1_11target_archE1030ELNS1_3gpuE2ELNS1_3repE0EEENS1_30default_config_static_selectorELNS0_4arch9wavefront6targetE0EEEvT1_,comdat
	.protected	_ZN7rocprim17ROCPRIM_400000_NS6detail17trampoline_kernelINS0_14default_configENS1_29reduce_by_key_config_selectorIjsN6thrust23THRUST_200600_302600_NS4plusIsEEEEZZNS1_33reduce_by_key_impl_wrapped_configILNS1_25lookback_scan_determinismE0ES3_S9_NS6_6detail15normal_iteratorINS6_10device_ptrIjEEEENSD_INSE_IsEEEENS6_16discard_iteratorINS6_11use_defaultEEESI_PmS8_NS6_8equal_toIjEEEE10hipError_tPvRmT2_T3_mT4_T5_T6_T7_T8_P12ihipStream_tbENKUlT_T0_E_clISt17integral_constantIbLb0EES16_EEDaS11_S12_EUlS11_E_NS1_11comp_targetILNS1_3genE8ELNS1_11target_archE1030ELNS1_3gpuE2ELNS1_3repE0EEENS1_30default_config_static_selectorELNS0_4arch9wavefront6targetE0EEEvT1_ ; -- Begin function _ZN7rocprim17ROCPRIM_400000_NS6detail17trampoline_kernelINS0_14default_configENS1_29reduce_by_key_config_selectorIjsN6thrust23THRUST_200600_302600_NS4plusIsEEEEZZNS1_33reduce_by_key_impl_wrapped_configILNS1_25lookback_scan_determinismE0ES3_S9_NS6_6detail15normal_iteratorINS6_10device_ptrIjEEEENSD_INSE_IsEEEENS6_16discard_iteratorINS6_11use_defaultEEESI_PmS8_NS6_8equal_toIjEEEE10hipError_tPvRmT2_T3_mT4_T5_T6_T7_T8_P12ihipStream_tbENKUlT_T0_E_clISt17integral_constantIbLb0EES16_EEDaS11_S12_EUlS11_E_NS1_11comp_targetILNS1_3genE8ELNS1_11target_archE1030ELNS1_3gpuE2ELNS1_3repE0EEENS1_30default_config_static_selectorELNS0_4arch9wavefront6targetE0EEEvT1_
	.globl	_ZN7rocprim17ROCPRIM_400000_NS6detail17trampoline_kernelINS0_14default_configENS1_29reduce_by_key_config_selectorIjsN6thrust23THRUST_200600_302600_NS4plusIsEEEEZZNS1_33reduce_by_key_impl_wrapped_configILNS1_25lookback_scan_determinismE0ES3_S9_NS6_6detail15normal_iteratorINS6_10device_ptrIjEEEENSD_INSE_IsEEEENS6_16discard_iteratorINS6_11use_defaultEEESI_PmS8_NS6_8equal_toIjEEEE10hipError_tPvRmT2_T3_mT4_T5_T6_T7_T8_P12ihipStream_tbENKUlT_T0_E_clISt17integral_constantIbLb0EES16_EEDaS11_S12_EUlS11_E_NS1_11comp_targetILNS1_3genE8ELNS1_11target_archE1030ELNS1_3gpuE2ELNS1_3repE0EEENS1_30default_config_static_selectorELNS0_4arch9wavefront6targetE0EEEvT1_
	.p2align	8
	.type	_ZN7rocprim17ROCPRIM_400000_NS6detail17trampoline_kernelINS0_14default_configENS1_29reduce_by_key_config_selectorIjsN6thrust23THRUST_200600_302600_NS4plusIsEEEEZZNS1_33reduce_by_key_impl_wrapped_configILNS1_25lookback_scan_determinismE0ES3_S9_NS6_6detail15normal_iteratorINS6_10device_ptrIjEEEENSD_INSE_IsEEEENS6_16discard_iteratorINS6_11use_defaultEEESI_PmS8_NS6_8equal_toIjEEEE10hipError_tPvRmT2_T3_mT4_T5_T6_T7_T8_P12ihipStream_tbENKUlT_T0_E_clISt17integral_constantIbLb0EES16_EEDaS11_S12_EUlS11_E_NS1_11comp_targetILNS1_3genE8ELNS1_11target_archE1030ELNS1_3gpuE2ELNS1_3repE0EEENS1_30default_config_static_selectorELNS0_4arch9wavefront6targetE0EEEvT1_,@function
_ZN7rocprim17ROCPRIM_400000_NS6detail17trampoline_kernelINS0_14default_configENS1_29reduce_by_key_config_selectorIjsN6thrust23THRUST_200600_302600_NS4plusIsEEEEZZNS1_33reduce_by_key_impl_wrapped_configILNS1_25lookback_scan_determinismE0ES3_S9_NS6_6detail15normal_iteratorINS6_10device_ptrIjEEEENSD_INSE_IsEEEENS6_16discard_iteratorINS6_11use_defaultEEESI_PmS8_NS6_8equal_toIjEEEE10hipError_tPvRmT2_T3_mT4_T5_T6_T7_T8_P12ihipStream_tbENKUlT_T0_E_clISt17integral_constantIbLb0EES16_EEDaS11_S12_EUlS11_E_NS1_11comp_targetILNS1_3genE8ELNS1_11target_archE1030ELNS1_3gpuE2ELNS1_3repE0EEENS1_30default_config_static_selectorELNS0_4arch9wavefront6targetE0EEEvT1_: ; @_ZN7rocprim17ROCPRIM_400000_NS6detail17trampoline_kernelINS0_14default_configENS1_29reduce_by_key_config_selectorIjsN6thrust23THRUST_200600_302600_NS4plusIsEEEEZZNS1_33reduce_by_key_impl_wrapped_configILNS1_25lookback_scan_determinismE0ES3_S9_NS6_6detail15normal_iteratorINS6_10device_ptrIjEEEENSD_INSE_IsEEEENS6_16discard_iteratorINS6_11use_defaultEEESI_PmS8_NS6_8equal_toIjEEEE10hipError_tPvRmT2_T3_mT4_T5_T6_T7_T8_P12ihipStream_tbENKUlT_T0_E_clISt17integral_constantIbLb0EES16_EEDaS11_S12_EUlS11_E_NS1_11comp_targetILNS1_3genE8ELNS1_11target_archE1030ELNS1_3gpuE2ELNS1_3repE0EEENS1_30default_config_static_selectorELNS0_4arch9wavefront6targetE0EEEvT1_
; %bb.0:
	.section	.rodata,"a",@progbits
	.p2align	6, 0x0
	.amdhsa_kernel _ZN7rocprim17ROCPRIM_400000_NS6detail17trampoline_kernelINS0_14default_configENS1_29reduce_by_key_config_selectorIjsN6thrust23THRUST_200600_302600_NS4plusIsEEEEZZNS1_33reduce_by_key_impl_wrapped_configILNS1_25lookback_scan_determinismE0ES3_S9_NS6_6detail15normal_iteratorINS6_10device_ptrIjEEEENSD_INSE_IsEEEENS6_16discard_iteratorINS6_11use_defaultEEESI_PmS8_NS6_8equal_toIjEEEE10hipError_tPvRmT2_T3_mT4_T5_T6_T7_T8_P12ihipStream_tbENKUlT_T0_E_clISt17integral_constantIbLb0EES16_EEDaS11_S12_EUlS11_E_NS1_11comp_targetILNS1_3genE8ELNS1_11target_archE1030ELNS1_3gpuE2ELNS1_3repE0EEENS1_30default_config_static_selectorELNS0_4arch9wavefront6targetE0EEEvT1_
		.amdhsa_group_segment_fixed_size 0
		.amdhsa_private_segment_fixed_size 0
		.amdhsa_kernarg_size 128
		.amdhsa_user_sgpr_count 15
		.amdhsa_user_sgpr_dispatch_ptr 0
		.amdhsa_user_sgpr_queue_ptr 0
		.amdhsa_user_sgpr_kernarg_segment_ptr 1
		.amdhsa_user_sgpr_dispatch_id 0
		.amdhsa_user_sgpr_private_segment_size 0
		.amdhsa_wavefront_size32 1
		.amdhsa_uses_dynamic_stack 0
		.amdhsa_enable_private_segment 0
		.amdhsa_system_sgpr_workgroup_id_x 1
		.amdhsa_system_sgpr_workgroup_id_y 0
		.amdhsa_system_sgpr_workgroup_id_z 0
		.amdhsa_system_sgpr_workgroup_info 0
		.amdhsa_system_vgpr_workitem_id 0
		.amdhsa_next_free_vgpr 1
		.amdhsa_next_free_sgpr 1
		.amdhsa_reserve_vcc 0
		.amdhsa_float_round_mode_32 0
		.amdhsa_float_round_mode_16_64 0
		.amdhsa_float_denorm_mode_32 3
		.amdhsa_float_denorm_mode_16_64 3
		.amdhsa_dx10_clamp 1
		.amdhsa_ieee_mode 1
		.amdhsa_fp16_overflow 0
		.amdhsa_workgroup_processor_mode 1
		.amdhsa_memory_ordered 1
		.amdhsa_forward_progress 0
		.amdhsa_shared_vgpr_count 0
		.amdhsa_exception_fp_ieee_invalid_op 0
		.amdhsa_exception_fp_denorm_src 0
		.amdhsa_exception_fp_ieee_div_zero 0
		.amdhsa_exception_fp_ieee_overflow 0
		.amdhsa_exception_fp_ieee_underflow 0
		.amdhsa_exception_fp_ieee_inexact 0
		.amdhsa_exception_int_div_zero 0
	.end_amdhsa_kernel
	.section	.text._ZN7rocprim17ROCPRIM_400000_NS6detail17trampoline_kernelINS0_14default_configENS1_29reduce_by_key_config_selectorIjsN6thrust23THRUST_200600_302600_NS4plusIsEEEEZZNS1_33reduce_by_key_impl_wrapped_configILNS1_25lookback_scan_determinismE0ES3_S9_NS6_6detail15normal_iteratorINS6_10device_ptrIjEEEENSD_INSE_IsEEEENS6_16discard_iteratorINS6_11use_defaultEEESI_PmS8_NS6_8equal_toIjEEEE10hipError_tPvRmT2_T3_mT4_T5_T6_T7_T8_P12ihipStream_tbENKUlT_T0_E_clISt17integral_constantIbLb0EES16_EEDaS11_S12_EUlS11_E_NS1_11comp_targetILNS1_3genE8ELNS1_11target_archE1030ELNS1_3gpuE2ELNS1_3repE0EEENS1_30default_config_static_selectorELNS0_4arch9wavefront6targetE0EEEvT1_,"axG",@progbits,_ZN7rocprim17ROCPRIM_400000_NS6detail17trampoline_kernelINS0_14default_configENS1_29reduce_by_key_config_selectorIjsN6thrust23THRUST_200600_302600_NS4plusIsEEEEZZNS1_33reduce_by_key_impl_wrapped_configILNS1_25lookback_scan_determinismE0ES3_S9_NS6_6detail15normal_iteratorINS6_10device_ptrIjEEEENSD_INSE_IsEEEENS6_16discard_iteratorINS6_11use_defaultEEESI_PmS8_NS6_8equal_toIjEEEE10hipError_tPvRmT2_T3_mT4_T5_T6_T7_T8_P12ihipStream_tbENKUlT_T0_E_clISt17integral_constantIbLb0EES16_EEDaS11_S12_EUlS11_E_NS1_11comp_targetILNS1_3genE8ELNS1_11target_archE1030ELNS1_3gpuE2ELNS1_3repE0EEENS1_30default_config_static_selectorELNS0_4arch9wavefront6targetE0EEEvT1_,comdat
.Lfunc_end1065:
	.size	_ZN7rocprim17ROCPRIM_400000_NS6detail17trampoline_kernelINS0_14default_configENS1_29reduce_by_key_config_selectorIjsN6thrust23THRUST_200600_302600_NS4plusIsEEEEZZNS1_33reduce_by_key_impl_wrapped_configILNS1_25lookback_scan_determinismE0ES3_S9_NS6_6detail15normal_iteratorINS6_10device_ptrIjEEEENSD_INSE_IsEEEENS6_16discard_iteratorINS6_11use_defaultEEESI_PmS8_NS6_8equal_toIjEEEE10hipError_tPvRmT2_T3_mT4_T5_T6_T7_T8_P12ihipStream_tbENKUlT_T0_E_clISt17integral_constantIbLb0EES16_EEDaS11_S12_EUlS11_E_NS1_11comp_targetILNS1_3genE8ELNS1_11target_archE1030ELNS1_3gpuE2ELNS1_3repE0EEENS1_30default_config_static_selectorELNS0_4arch9wavefront6targetE0EEEvT1_, .Lfunc_end1065-_ZN7rocprim17ROCPRIM_400000_NS6detail17trampoline_kernelINS0_14default_configENS1_29reduce_by_key_config_selectorIjsN6thrust23THRUST_200600_302600_NS4plusIsEEEEZZNS1_33reduce_by_key_impl_wrapped_configILNS1_25lookback_scan_determinismE0ES3_S9_NS6_6detail15normal_iteratorINS6_10device_ptrIjEEEENSD_INSE_IsEEEENS6_16discard_iteratorINS6_11use_defaultEEESI_PmS8_NS6_8equal_toIjEEEE10hipError_tPvRmT2_T3_mT4_T5_T6_T7_T8_P12ihipStream_tbENKUlT_T0_E_clISt17integral_constantIbLb0EES16_EEDaS11_S12_EUlS11_E_NS1_11comp_targetILNS1_3genE8ELNS1_11target_archE1030ELNS1_3gpuE2ELNS1_3repE0EEENS1_30default_config_static_selectorELNS0_4arch9wavefront6targetE0EEEvT1_
                                        ; -- End function
	.section	.AMDGPU.csdata,"",@progbits
; Kernel info:
; codeLenInByte = 0
; NumSgprs: 0
; NumVgprs: 0
; ScratchSize: 0
; MemoryBound: 0
; FloatMode: 240
; IeeeMode: 1
; LDSByteSize: 0 bytes/workgroup (compile time only)
; SGPRBlocks: 0
; VGPRBlocks: 0
; NumSGPRsForWavesPerEU: 1
; NumVGPRsForWavesPerEU: 1
; Occupancy: 16
; WaveLimiterHint : 0
; COMPUTE_PGM_RSRC2:SCRATCH_EN: 0
; COMPUTE_PGM_RSRC2:USER_SGPR: 15
; COMPUTE_PGM_RSRC2:TRAP_HANDLER: 0
; COMPUTE_PGM_RSRC2:TGID_X_EN: 1
; COMPUTE_PGM_RSRC2:TGID_Y_EN: 0
; COMPUTE_PGM_RSRC2:TGID_Z_EN: 0
; COMPUTE_PGM_RSRC2:TIDIG_COMP_CNT: 0
	.section	.text._ZN7rocprim17ROCPRIM_400000_NS6detail17trampoline_kernelINS0_14default_configENS1_29reduce_by_key_config_selectorIjsN6thrust23THRUST_200600_302600_NS4plusIsEEEEZZNS1_33reduce_by_key_impl_wrapped_configILNS1_25lookback_scan_determinismE0ES3_S9_NS6_6detail15normal_iteratorINS6_10device_ptrIjEEEENSD_INSE_IsEEEENS6_16discard_iteratorINS6_11use_defaultEEESI_PmS8_NS6_8equal_toIjEEEE10hipError_tPvRmT2_T3_mT4_T5_T6_T7_T8_P12ihipStream_tbENKUlT_T0_E_clISt17integral_constantIbLb1EES16_EEDaS11_S12_EUlS11_E_NS1_11comp_targetILNS1_3genE0ELNS1_11target_archE4294967295ELNS1_3gpuE0ELNS1_3repE0EEENS1_30default_config_static_selectorELNS0_4arch9wavefront6targetE0EEEvT1_,"axG",@progbits,_ZN7rocprim17ROCPRIM_400000_NS6detail17trampoline_kernelINS0_14default_configENS1_29reduce_by_key_config_selectorIjsN6thrust23THRUST_200600_302600_NS4plusIsEEEEZZNS1_33reduce_by_key_impl_wrapped_configILNS1_25lookback_scan_determinismE0ES3_S9_NS6_6detail15normal_iteratorINS6_10device_ptrIjEEEENSD_INSE_IsEEEENS6_16discard_iteratorINS6_11use_defaultEEESI_PmS8_NS6_8equal_toIjEEEE10hipError_tPvRmT2_T3_mT4_T5_T6_T7_T8_P12ihipStream_tbENKUlT_T0_E_clISt17integral_constantIbLb1EES16_EEDaS11_S12_EUlS11_E_NS1_11comp_targetILNS1_3genE0ELNS1_11target_archE4294967295ELNS1_3gpuE0ELNS1_3repE0EEENS1_30default_config_static_selectorELNS0_4arch9wavefront6targetE0EEEvT1_,comdat
	.protected	_ZN7rocprim17ROCPRIM_400000_NS6detail17trampoline_kernelINS0_14default_configENS1_29reduce_by_key_config_selectorIjsN6thrust23THRUST_200600_302600_NS4plusIsEEEEZZNS1_33reduce_by_key_impl_wrapped_configILNS1_25lookback_scan_determinismE0ES3_S9_NS6_6detail15normal_iteratorINS6_10device_ptrIjEEEENSD_INSE_IsEEEENS6_16discard_iteratorINS6_11use_defaultEEESI_PmS8_NS6_8equal_toIjEEEE10hipError_tPvRmT2_T3_mT4_T5_T6_T7_T8_P12ihipStream_tbENKUlT_T0_E_clISt17integral_constantIbLb1EES16_EEDaS11_S12_EUlS11_E_NS1_11comp_targetILNS1_3genE0ELNS1_11target_archE4294967295ELNS1_3gpuE0ELNS1_3repE0EEENS1_30default_config_static_selectorELNS0_4arch9wavefront6targetE0EEEvT1_ ; -- Begin function _ZN7rocprim17ROCPRIM_400000_NS6detail17trampoline_kernelINS0_14default_configENS1_29reduce_by_key_config_selectorIjsN6thrust23THRUST_200600_302600_NS4plusIsEEEEZZNS1_33reduce_by_key_impl_wrapped_configILNS1_25lookback_scan_determinismE0ES3_S9_NS6_6detail15normal_iteratorINS6_10device_ptrIjEEEENSD_INSE_IsEEEENS6_16discard_iteratorINS6_11use_defaultEEESI_PmS8_NS6_8equal_toIjEEEE10hipError_tPvRmT2_T3_mT4_T5_T6_T7_T8_P12ihipStream_tbENKUlT_T0_E_clISt17integral_constantIbLb1EES16_EEDaS11_S12_EUlS11_E_NS1_11comp_targetILNS1_3genE0ELNS1_11target_archE4294967295ELNS1_3gpuE0ELNS1_3repE0EEENS1_30default_config_static_selectorELNS0_4arch9wavefront6targetE0EEEvT1_
	.globl	_ZN7rocprim17ROCPRIM_400000_NS6detail17trampoline_kernelINS0_14default_configENS1_29reduce_by_key_config_selectorIjsN6thrust23THRUST_200600_302600_NS4plusIsEEEEZZNS1_33reduce_by_key_impl_wrapped_configILNS1_25lookback_scan_determinismE0ES3_S9_NS6_6detail15normal_iteratorINS6_10device_ptrIjEEEENSD_INSE_IsEEEENS6_16discard_iteratorINS6_11use_defaultEEESI_PmS8_NS6_8equal_toIjEEEE10hipError_tPvRmT2_T3_mT4_T5_T6_T7_T8_P12ihipStream_tbENKUlT_T0_E_clISt17integral_constantIbLb1EES16_EEDaS11_S12_EUlS11_E_NS1_11comp_targetILNS1_3genE0ELNS1_11target_archE4294967295ELNS1_3gpuE0ELNS1_3repE0EEENS1_30default_config_static_selectorELNS0_4arch9wavefront6targetE0EEEvT1_
	.p2align	8
	.type	_ZN7rocprim17ROCPRIM_400000_NS6detail17trampoline_kernelINS0_14default_configENS1_29reduce_by_key_config_selectorIjsN6thrust23THRUST_200600_302600_NS4plusIsEEEEZZNS1_33reduce_by_key_impl_wrapped_configILNS1_25lookback_scan_determinismE0ES3_S9_NS6_6detail15normal_iteratorINS6_10device_ptrIjEEEENSD_INSE_IsEEEENS6_16discard_iteratorINS6_11use_defaultEEESI_PmS8_NS6_8equal_toIjEEEE10hipError_tPvRmT2_T3_mT4_T5_T6_T7_T8_P12ihipStream_tbENKUlT_T0_E_clISt17integral_constantIbLb1EES16_EEDaS11_S12_EUlS11_E_NS1_11comp_targetILNS1_3genE0ELNS1_11target_archE4294967295ELNS1_3gpuE0ELNS1_3repE0EEENS1_30default_config_static_selectorELNS0_4arch9wavefront6targetE0EEEvT1_,@function
_ZN7rocprim17ROCPRIM_400000_NS6detail17trampoline_kernelINS0_14default_configENS1_29reduce_by_key_config_selectorIjsN6thrust23THRUST_200600_302600_NS4plusIsEEEEZZNS1_33reduce_by_key_impl_wrapped_configILNS1_25lookback_scan_determinismE0ES3_S9_NS6_6detail15normal_iteratorINS6_10device_ptrIjEEEENSD_INSE_IsEEEENS6_16discard_iteratorINS6_11use_defaultEEESI_PmS8_NS6_8equal_toIjEEEE10hipError_tPvRmT2_T3_mT4_T5_T6_T7_T8_P12ihipStream_tbENKUlT_T0_E_clISt17integral_constantIbLb1EES16_EEDaS11_S12_EUlS11_E_NS1_11comp_targetILNS1_3genE0ELNS1_11target_archE4294967295ELNS1_3gpuE0ELNS1_3repE0EEENS1_30default_config_static_selectorELNS0_4arch9wavefront6targetE0EEEvT1_: ; @_ZN7rocprim17ROCPRIM_400000_NS6detail17trampoline_kernelINS0_14default_configENS1_29reduce_by_key_config_selectorIjsN6thrust23THRUST_200600_302600_NS4plusIsEEEEZZNS1_33reduce_by_key_impl_wrapped_configILNS1_25lookback_scan_determinismE0ES3_S9_NS6_6detail15normal_iteratorINS6_10device_ptrIjEEEENSD_INSE_IsEEEENS6_16discard_iteratorINS6_11use_defaultEEESI_PmS8_NS6_8equal_toIjEEEE10hipError_tPvRmT2_T3_mT4_T5_T6_T7_T8_P12ihipStream_tbENKUlT_T0_E_clISt17integral_constantIbLb1EES16_EEDaS11_S12_EUlS11_E_NS1_11comp_targetILNS1_3genE0ELNS1_11target_archE4294967295ELNS1_3gpuE0ELNS1_3repE0EEENS1_30default_config_static_selectorELNS0_4arch9wavefront6targetE0EEEvT1_
; %bb.0:
	.section	.rodata,"a",@progbits
	.p2align	6, 0x0
	.amdhsa_kernel _ZN7rocprim17ROCPRIM_400000_NS6detail17trampoline_kernelINS0_14default_configENS1_29reduce_by_key_config_selectorIjsN6thrust23THRUST_200600_302600_NS4plusIsEEEEZZNS1_33reduce_by_key_impl_wrapped_configILNS1_25lookback_scan_determinismE0ES3_S9_NS6_6detail15normal_iteratorINS6_10device_ptrIjEEEENSD_INSE_IsEEEENS6_16discard_iteratorINS6_11use_defaultEEESI_PmS8_NS6_8equal_toIjEEEE10hipError_tPvRmT2_T3_mT4_T5_T6_T7_T8_P12ihipStream_tbENKUlT_T0_E_clISt17integral_constantIbLb1EES16_EEDaS11_S12_EUlS11_E_NS1_11comp_targetILNS1_3genE0ELNS1_11target_archE4294967295ELNS1_3gpuE0ELNS1_3repE0EEENS1_30default_config_static_selectorELNS0_4arch9wavefront6targetE0EEEvT1_
		.amdhsa_group_segment_fixed_size 0
		.amdhsa_private_segment_fixed_size 0
		.amdhsa_kernarg_size 128
		.amdhsa_user_sgpr_count 15
		.amdhsa_user_sgpr_dispatch_ptr 0
		.amdhsa_user_sgpr_queue_ptr 0
		.amdhsa_user_sgpr_kernarg_segment_ptr 1
		.amdhsa_user_sgpr_dispatch_id 0
		.amdhsa_user_sgpr_private_segment_size 0
		.amdhsa_wavefront_size32 1
		.amdhsa_uses_dynamic_stack 0
		.amdhsa_enable_private_segment 0
		.amdhsa_system_sgpr_workgroup_id_x 1
		.amdhsa_system_sgpr_workgroup_id_y 0
		.amdhsa_system_sgpr_workgroup_id_z 0
		.amdhsa_system_sgpr_workgroup_info 0
		.amdhsa_system_vgpr_workitem_id 0
		.amdhsa_next_free_vgpr 1
		.amdhsa_next_free_sgpr 1
		.amdhsa_reserve_vcc 0
		.amdhsa_float_round_mode_32 0
		.amdhsa_float_round_mode_16_64 0
		.amdhsa_float_denorm_mode_32 3
		.amdhsa_float_denorm_mode_16_64 3
		.amdhsa_dx10_clamp 1
		.amdhsa_ieee_mode 1
		.amdhsa_fp16_overflow 0
		.amdhsa_workgroup_processor_mode 1
		.amdhsa_memory_ordered 1
		.amdhsa_forward_progress 0
		.amdhsa_shared_vgpr_count 0
		.amdhsa_exception_fp_ieee_invalid_op 0
		.amdhsa_exception_fp_denorm_src 0
		.amdhsa_exception_fp_ieee_div_zero 0
		.amdhsa_exception_fp_ieee_overflow 0
		.amdhsa_exception_fp_ieee_underflow 0
		.amdhsa_exception_fp_ieee_inexact 0
		.amdhsa_exception_int_div_zero 0
	.end_amdhsa_kernel
	.section	.text._ZN7rocprim17ROCPRIM_400000_NS6detail17trampoline_kernelINS0_14default_configENS1_29reduce_by_key_config_selectorIjsN6thrust23THRUST_200600_302600_NS4plusIsEEEEZZNS1_33reduce_by_key_impl_wrapped_configILNS1_25lookback_scan_determinismE0ES3_S9_NS6_6detail15normal_iteratorINS6_10device_ptrIjEEEENSD_INSE_IsEEEENS6_16discard_iteratorINS6_11use_defaultEEESI_PmS8_NS6_8equal_toIjEEEE10hipError_tPvRmT2_T3_mT4_T5_T6_T7_T8_P12ihipStream_tbENKUlT_T0_E_clISt17integral_constantIbLb1EES16_EEDaS11_S12_EUlS11_E_NS1_11comp_targetILNS1_3genE0ELNS1_11target_archE4294967295ELNS1_3gpuE0ELNS1_3repE0EEENS1_30default_config_static_selectorELNS0_4arch9wavefront6targetE0EEEvT1_,"axG",@progbits,_ZN7rocprim17ROCPRIM_400000_NS6detail17trampoline_kernelINS0_14default_configENS1_29reduce_by_key_config_selectorIjsN6thrust23THRUST_200600_302600_NS4plusIsEEEEZZNS1_33reduce_by_key_impl_wrapped_configILNS1_25lookback_scan_determinismE0ES3_S9_NS6_6detail15normal_iteratorINS6_10device_ptrIjEEEENSD_INSE_IsEEEENS6_16discard_iteratorINS6_11use_defaultEEESI_PmS8_NS6_8equal_toIjEEEE10hipError_tPvRmT2_T3_mT4_T5_T6_T7_T8_P12ihipStream_tbENKUlT_T0_E_clISt17integral_constantIbLb1EES16_EEDaS11_S12_EUlS11_E_NS1_11comp_targetILNS1_3genE0ELNS1_11target_archE4294967295ELNS1_3gpuE0ELNS1_3repE0EEENS1_30default_config_static_selectorELNS0_4arch9wavefront6targetE0EEEvT1_,comdat
.Lfunc_end1066:
	.size	_ZN7rocprim17ROCPRIM_400000_NS6detail17trampoline_kernelINS0_14default_configENS1_29reduce_by_key_config_selectorIjsN6thrust23THRUST_200600_302600_NS4plusIsEEEEZZNS1_33reduce_by_key_impl_wrapped_configILNS1_25lookback_scan_determinismE0ES3_S9_NS6_6detail15normal_iteratorINS6_10device_ptrIjEEEENSD_INSE_IsEEEENS6_16discard_iteratorINS6_11use_defaultEEESI_PmS8_NS6_8equal_toIjEEEE10hipError_tPvRmT2_T3_mT4_T5_T6_T7_T8_P12ihipStream_tbENKUlT_T0_E_clISt17integral_constantIbLb1EES16_EEDaS11_S12_EUlS11_E_NS1_11comp_targetILNS1_3genE0ELNS1_11target_archE4294967295ELNS1_3gpuE0ELNS1_3repE0EEENS1_30default_config_static_selectorELNS0_4arch9wavefront6targetE0EEEvT1_, .Lfunc_end1066-_ZN7rocprim17ROCPRIM_400000_NS6detail17trampoline_kernelINS0_14default_configENS1_29reduce_by_key_config_selectorIjsN6thrust23THRUST_200600_302600_NS4plusIsEEEEZZNS1_33reduce_by_key_impl_wrapped_configILNS1_25lookback_scan_determinismE0ES3_S9_NS6_6detail15normal_iteratorINS6_10device_ptrIjEEEENSD_INSE_IsEEEENS6_16discard_iteratorINS6_11use_defaultEEESI_PmS8_NS6_8equal_toIjEEEE10hipError_tPvRmT2_T3_mT4_T5_T6_T7_T8_P12ihipStream_tbENKUlT_T0_E_clISt17integral_constantIbLb1EES16_EEDaS11_S12_EUlS11_E_NS1_11comp_targetILNS1_3genE0ELNS1_11target_archE4294967295ELNS1_3gpuE0ELNS1_3repE0EEENS1_30default_config_static_selectorELNS0_4arch9wavefront6targetE0EEEvT1_
                                        ; -- End function
	.section	.AMDGPU.csdata,"",@progbits
; Kernel info:
; codeLenInByte = 0
; NumSgprs: 0
; NumVgprs: 0
; ScratchSize: 0
; MemoryBound: 0
; FloatMode: 240
; IeeeMode: 1
; LDSByteSize: 0 bytes/workgroup (compile time only)
; SGPRBlocks: 0
; VGPRBlocks: 0
; NumSGPRsForWavesPerEU: 1
; NumVGPRsForWavesPerEU: 1
; Occupancy: 16
; WaveLimiterHint : 0
; COMPUTE_PGM_RSRC2:SCRATCH_EN: 0
; COMPUTE_PGM_RSRC2:USER_SGPR: 15
; COMPUTE_PGM_RSRC2:TRAP_HANDLER: 0
; COMPUTE_PGM_RSRC2:TGID_X_EN: 1
; COMPUTE_PGM_RSRC2:TGID_Y_EN: 0
; COMPUTE_PGM_RSRC2:TGID_Z_EN: 0
; COMPUTE_PGM_RSRC2:TIDIG_COMP_CNT: 0
	.section	.text._ZN7rocprim17ROCPRIM_400000_NS6detail17trampoline_kernelINS0_14default_configENS1_29reduce_by_key_config_selectorIjsN6thrust23THRUST_200600_302600_NS4plusIsEEEEZZNS1_33reduce_by_key_impl_wrapped_configILNS1_25lookback_scan_determinismE0ES3_S9_NS6_6detail15normal_iteratorINS6_10device_ptrIjEEEENSD_INSE_IsEEEENS6_16discard_iteratorINS6_11use_defaultEEESI_PmS8_NS6_8equal_toIjEEEE10hipError_tPvRmT2_T3_mT4_T5_T6_T7_T8_P12ihipStream_tbENKUlT_T0_E_clISt17integral_constantIbLb1EES16_EEDaS11_S12_EUlS11_E_NS1_11comp_targetILNS1_3genE5ELNS1_11target_archE942ELNS1_3gpuE9ELNS1_3repE0EEENS1_30default_config_static_selectorELNS0_4arch9wavefront6targetE0EEEvT1_,"axG",@progbits,_ZN7rocprim17ROCPRIM_400000_NS6detail17trampoline_kernelINS0_14default_configENS1_29reduce_by_key_config_selectorIjsN6thrust23THRUST_200600_302600_NS4plusIsEEEEZZNS1_33reduce_by_key_impl_wrapped_configILNS1_25lookback_scan_determinismE0ES3_S9_NS6_6detail15normal_iteratorINS6_10device_ptrIjEEEENSD_INSE_IsEEEENS6_16discard_iteratorINS6_11use_defaultEEESI_PmS8_NS6_8equal_toIjEEEE10hipError_tPvRmT2_T3_mT4_T5_T6_T7_T8_P12ihipStream_tbENKUlT_T0_E_clISt17integral_constantIbLb1EES16_EEDaS11_S12_EUlS11_E_NS1_11comp_targetILNS1_3genE5ELNS1_11target_archE942ELNS1_3gpuE9ELNS1_3repE0EEENS1_30default_config_static_selectorELNS0_4arch9wavefront6targetE0EEEvT1_,comdat
	.protected	_ZN7rocprim17ROCPRIM_400000_NS6detail17trampoline_kernelINS0_14default_configENS1_29reduce_by_key_config_selectorIjsN6thrust23THRUST_200600_302600_NS4plusIsEEEEZZNS1_33reduce_by_key_impl_wrapped_configILNS1_25lookback_scan_determinismE0ES3_S9_NS6_6detail15normal_iteratorINS6_10device_ptrIjEEEENSD_INSE_IsEEEENS6_16discard_iteratorINS6_11use_defaultEEESI_PmS8_NS6_8equal_toIjEEEE10hipError_tPvRmT2_T3_mT4_T5_T6_T7_T8_P12ihipStream_tbENKUlT_T0_E_clISt17integral_constantIbLb1EES16_EEDaS11_S12_EUlS11_E_NS1_11comp_targetILNS1_3genE5ELNS1_11target_archE942ELNS1_3gpuE9ELNS1_3repE0EEENS1_30default_config_static_selectorELNS0_4arch9wavefront6targetE0EEEvT1_ ; -- Begin function _ZN7rocprim17ROCPRIM_400000_NS6detail17trampoline_kernelINS0_14default_configENS1_29reduce_by_key_config_selectorIjsN6thrust23THRUST_200600_302600_NS4plusIsEEEEZZNS1_33reduce_by_key_impl_wrapped_configILNS1_25lookback_scan_determinismE0ES3_S9_NS6_6detail15normal_iteratorINS6_10device_ptrIjEEEENSD_INSE_IsEEEENS6_16discard_iteratorINS6_11use_defaultEEESI_PmS8_NS6_8equal_toIjEEEE10hipError_tPvRmT2_T3_mT4_T5_T6_T7_T8_P12ihipStream_tbENKUlT_T0_E_clISt17integral_constantIbLb1EES16_EEDaS11_S12_EUlS11_E_NS1_11comp_targetILNS1_3genE5ELNS1_11target_archE942ELNS1_3gpuE9ELNS1_3repE0EEENS1_30default_config_static_selectorELNS0_4arch9wavefront6targetE0EEEvT1_
	.globl	_ZN7rocprim17ROCPRIM_400000_NS6detail17trampoline_kernelINS0_14default_configENS1_29reduce_by_key_config_selectorIjsN6thrust23THRUST_200600_302600_NS4plusIsEEEEZZNS1_33reduce_by_key_impl_wrapped_configILNS1_25lookback_scan_determinismE0ES3_S9_NS6_6detail15normal_iteratorINS6_10device_ptrIjEEEENSD_INSE_IsEEEENS6_16discard_iteratorINS6_11use_defaultEEESI_PmS8_NS6_8equal_toIjEEEE10hipError_tPvRmT2_T3_mT4_T5_T6_T7_T8_P12ihipStream_tbENKUlT_T0_E_clISt17integral_constantIbLb1EES16_EEDaS11_S12_EUlS11_E_NS1_11comp_targetILNS1_3genE5ELNS1_11target_archE942ELNS1_3gpuE9ELNS1_3repE0EEENS1_30default_config_static_selectorELNS0_4arch9wavefront6targetE0EEEvT1_
	.p2align	8
	.type	_ZN7rocprim17ROCPRIM_400000_NS6detail17trampoline_kernelINS0_14default_configENS1_29reduce_by_key_config_selectorIjsN6thrust23THRUST_200600_302600_NS4plusIsEEEEZZNS1_33reduce_by_key_impl_wrapped_configILNS1_25lookback_scan_determinismE0ES3_S9_NS6_6detail15normal_iteratorINS6_10device_ptrIjEEEENSD_INSE_IsEEEENS6_16discard_iteratorINS6_11use_defaultEEESI_PmS8_NS6_8equal_toIjEEEE10hipError_tPvRmT2_T3_mT4_T5_T6_T7_T8_P12ihipStream_tbENKUlT_T0_E_clISt17integral_constantIbLb1EES16_EEDaS11_S12_EUlS11_E_NS1_11comp_targetILNS1_3genE5ELNS1_11target_archE942ELNS1_3gpuE9ELNS1_3repE0EEENS1_30default_config_static_selectorELNS0_4arch9wavefront6targetE0EEEvT1_,@function
_ZN7rocprim17ROCPRIM_400000_NS6detail17trampoline_kernelINS0_14default_configENS1_29reduce_by_key_config_selectorIjsN6thrust23THRUST_200600_302600_NS4plusIsEEEEZZNS1_33reduce_by_key_impl_wrapped_configILNS1_25lookback_scan_determinismE0ES3_S9_NS6_6detail15normal_iteratorINS6_10device_ptrIjEEEENSD_INSE_IsEEEENS6_16discard_iteratorINS6_11use_defaultEEESI_PmS8_NS6_8equal_toIjEEEE10hipError_tPvRmT2_T3_mT4_T5_T6_T7_T8_P12ihipStream_tbENKUlT_T0_E_clISt17integral_constantIbLb1EES16_EEDaS11_S12_EUlS11_E_NS1_11comp_targetILNS1_3genE5ELNS1_11target_archE942ELNS1_3gpuE9ELNS1_3repE0EEENS1_30default_config_static_selectorELNS0_4arch9wavefront6targetE0EEEvT1_: ; @_ZN7rocprim17ROCPRIM_400000_NS6detail17trampoline_kernelINS0_14default_configENS1_29reduce_by_key_config_selectorIjsN6thrust23THRUST_200600_302600_NS4plusIsEEEEZZNS1_33reduce_by_key_impl_wrapped_configILNS1_25lookback_scan_determinismE0ES3_S9_NS6_6detail15normal_iteratorINS6_10device_ptrIjEEEENSD_INSE_IsEEEENS6_16discard_iteratorINS6_11use_defaultEEESI_PmS8_NS6_8equal_toIjEEEE10hipError_tPvRmT2_T3_mT4_T5_T6_T7_T8_P12ihipStream_tbENKUlT_T0_E_clISt17integral_constantIbLb1EES16_EEDaS11_S12_EUlS11_E_NS1_11comp_targetILNS1_3genE5ELNS1_11target_archE942ELNS1_3gpuE9ELNS1_3repE0EEENS1_30default_config_static_selectorELNS0_4arch9wavefront6targetE0EEEvT1_
; %bb.0:
	.section	.rodata,"a",@progbits
	.p2align	6, 0x0
	.amdhsa_kernel _ZN7rocprim17ROCPRIM_400000_NS6detail17trampoline_kernelINS0_14default_configENS1_29reduce_by_key_config_selectorIjsN6thrust23THRUST_200600_302600_NS4plusIsEEEEZZNS1_33reduce_by_key_impl_wrapped_configILNS1_25lookback_scan_determinismE0ES3_S9_NS6_6detail15normal_iteratorINS6_10device_ptrIjEEEENSD_INSE_IsEEEENS6_16discard_iteratorINS6_11use_defaultEEESI_PmS8_NS6_8equal_toIjEEEE10hipError_tPvRmT2_T3_mT4_T5_T6_T7_T8_P12ihipStream_tbENKUlT_T0_E_clISt17integral_constantIbLb1EES16_EEDaS11_S12_EUlS11_E_NS1_11comp_targetILNS1_3genE5ELNS1_11target_archE942ELNS1_3gpuE9ELNS1_3repE0EEENS1_30default_config_static_selectorELNS0_4arch9wavefront6targetE0EEEvT1_
		.amdhsa_group_segment_fixed_size 0
		.amdhsa_private_segment_fixed_size 0
		.amdhsa_kernarg_size 128
		.amdhsa_user_sgpr_count 15
		.amdhsa_user_sgpr_dispatch_ptr 0
		.amdhsa_user_sgpr_queue_ptr 0
		.amdhsa_user_sgpr_kernarg_segment_ptr 1
		.amdhsa_user_sgpr_dispatch_id 0
		.amdhsa_user_sgpr_private_segment_size 0
		.amdhsa_wavefront_size32 1
		.amdhsa_uses_dynamic_stack 0
		.amdhsa_enable_private_segment 0
		.amdhsa_system_sgpr_workgroup_id_x 1
		.amdhsa_system_sgpr_workgroup_id_y 0
		.amdhsa_system_sgpr_workgroup_id_z 0
		.amdhsa_system_sgpr_workgroup_info 0
		.amdhsa_system_vgpr_workitem_id 0
		.amdhsa_next_free_vgpr 1
		.amdhsa_next_free_sgpr 1
		.amdhsa_reserve_vcc 0
		.amdhsa_float_round_mode_32 0
		.amdhsa_float_round_mode_16_64 0
		.amdhsa_float_denorm_mode_32 3
		.amdhsa_float_denorm_mode_16_64 3
		.amdhsa_dx10_clamp 1
		.amdhsa_ieee_mode 1
		.amdhsa_fp16_overflow 0
		.amdhsa_workgroup_processor_mode 1
		.amdhsa_memory_ordered 1
		.amdhsa_forward_progress 0
		.amdhsa_shared_vgpr_count 0
		.amdhsa_exception_fp_ieee_invalid_op 0
		.amdhsa_exception_fp_denorm_src 0
		.amdhsa_exception_fp_ieee_div_zero 0
		.amdhsa_exception_fp_ieee_overflow 0
		.amdhsa_exception_fp_ieee_underflow 0
		.amdhsa_exception_fp_ieee_inexact 0
		.amdhsa_exception_int_div_zero 0
	.end_amdhsa_kernel
	.section	.text._ZN7rocprim17ROCPRIM_400000_NS6detail17trampoline_kernelINS0_14default_configENS1_29reduce_by_key_config_selectorIjsN6thrust23THRUST_200600_302600_NS4plusIsEEEEZZNS1_33reduce_by_key_impl_wrapped_configILNS1_25lookback_scan_determinismE0ES3_S9_NS6_6detail15normal_iteratorINS6_10device_ptrIjEEEENSD_INSE_IsEEEENS6_16discard_iteratorINS6_11use_defaultEEESI_PmS8_NS6_8equal_toIjEEEE10hipError_tPvRmT2_T3_mT4_T5_T6_T7_T8_P12ihipStream_tbENKUlT_T0_E_clISt17integral_constantIbLb1EES16_EEDaS11_S12_EUlS11_E_NS1_11comp_targetILNS1_3genE5ELNS1_11target_archE942ELNS1_3gpuE9ELNS1_3repE0EEENS1_30default_config_static_selectorELNS0_4arch9wavefront6targetE0EEEvT1_,"axG",@progbits,_ZN7rocprim17ROCPRIM_400000_NS6detail17trampoline_kernelINS0_14default_configENS1_29reduce_by_key_config_selectorIjsN6thrust23THRUST_200600_302600_NS4plusIsEEEEZZNS1_33reduce_by_key_impl_wrapped_configILNS1_25lookback_scan_determinismE0ES3_S9_NS6_6detail15normal_iteratorINS6_10device_ptrIjEEEENSD_INSE_IsEEEENS6_16discard_iteratorINS6_11use_defaultEEESI_PmS8_NS6_8equal_toIjEEEE10hipError_tPvRmT2_T3_mT4_T5_T6_T7_T8_P12ihipStream_tbENKUlT_T0_E_clISt17integral_constantIbLb1EES16_EEDaS11_S12_EUlS11_E_NS1_11comp_targetILNS1_3genE5ELNS1_11target_archE942ELNS1_3gpuE9ELNS1_3repE0EEENS1_30default_config_static_selectorELNS0_4arch9wavefront6targetE0EEEvT1_,comdat
.Lfunc_end1067:
	.size	_ZN7rocprim17ROCPRIM_400000_NS6detail17trampoline_kernelINS0_14default_configENS1_29reduce_by_key_config_selectorIjsN6thrust23THRUST_200600_302600_NS4plusIsEEEEZZNS1_33reduce_by_key_impl_wrapped_configILNS1_25lookback_scan_determinismE0ES3_S9_NS6_6detail15normal_iteratorINS6_10device_ptrIjEEEENSD_INSE_IsEEEENS6_16discard_iteratorINS6_11use_defaultEEESI_PmS8_NS6_8equal_toIjEEEE10hipError_tPvRmT2_T3_mT4_T5_T6_T7_T8_P12ihipStream_tbENKUlT_T0_E_clISt17integral_constantIbLb1EES16_EEDaS11_S12_EUlS11_E_NS1_11comp_targetILNS1_3genE5ELNS1_11target_archE942ELNS1_3gpuE9ELNS1_3repE0EEENS1_30default_config_static_selectorELNS0_4arch9wavefront6targetE0EEEvT1_, .Lfunc_end1067-_ZN7rocprim17ROCPRIM_400000_NS6detail17trampoline_kernelINS0_14default_configENS1_29reduce_by_key_config_selectorIjsN6thrust23THRUST_200600_302600_NS4plusIsEEEEZZNS1_33reduce_by_key_impl_wrapped_configILNS1_25lookback_scan_determinismE0ES3_S9_NS6_6detail15normal_iteratorINS6_10device_ptrIjEEEENSD_INSE_IsEEEENS6_16discard_iteratorINS6_11use_defaultEEESI_PmS8_NS6_8equal_toIjEEEE10hipError_tPvRmT2_T3_mT4_T5_T6_T7_T8_P12ihipStream_tbENKUlT_T0_E_clISt17integral_constantIbLb1EES16_EEDaS11_S12_EUlS11_E_NS1_11comp_targetILNS1_3genE5ELNS1_11target_archE942ELNS1_3gpuE9ELNS1_3repE0EEENS1_30default_config_static_selectorELNS0_4arch9wavefront6targetE0EEEvT1_
                                        ; -- End function
	.section	.AMDGPU.csdata,"",@progbits
; Kernel info:
; codeLenInByte = 0
; NumSgprs: 0
; NumVgprs: 0
; ScratchSize: 0
; MemoryBound: 0
; FloatMode: 240
; IeeeMode: 1
; LDSByteSize: 0 bytes/workgroup (compile time only)
; SGPRBlocks: 0
; VGPRBlocks: 0
; NumSGPRsForWavesPerEU: 1
; NumVGPRsForWavesPerEU: 1
; Occupancy: 16
; WaveLimiterHint : 0
; COMPUTE_PGM_RSRC2:SCRATCH_EN: 0
; COMPUTE_PGM_RSRC2:USER_SGPR: 15
; COMPUTE_PGM_RSRC2:TRAP_HANDLER: 0
; COMPUTE_PGM_RSRC2:TGID_X_EN: 1
; COMPUTE_PGM_RSRC2:TGID_Y_EN: 0
; COMPUTE_PGM_RSRC2:TGID_Z_EN: 0
; COMPUTE_PGM_RSRC2:TIDIG_COMP_CNT: 0
	.section	.text._ZN7rocprim17ROCPRIM_400000_NS6detail17trampoline_kernelINS0_14default_configENS1_29reduce_by_key_config_selectorIjsN6thrust23THRUST_200600_302600_NS4plusIsEEEEZZNS1_33reduce_by_key_impl_wrapped_configILNS1_25lookback_scan_determinismE0ES3_S9_NS6_6detail15normal_iteratorINS6_10device_ptrIjEEEENSD_INSE_IsEEEENS6_16discard_iteratorINS6_11use_defaultEEESI_PmS8_NS6_8equal_toIjEEEE10hipError_tPvRmT2_T3_mT4_T5_T6_T7_T8_P12ihipStream_tbENKUlT_T0_E_clISt17integral_constantIbLb1EES16_EEDaS11_S12_EUlS11_E_NS1_11comp_targetILNS1_3genE4ELNS1_11target_archE910ELNS1_3gpuE8ELNS1_3repE0EEENS1_30default_config_static_selectorELNS0_4arch9wavefront6targetE0EEEvT1_,"axG",@progbits,_ZN7rocprim17ROCPRIM_400000_NS6detail17trampoline_kernelINS0_14default_configENS1_29reduce_by_key_config_selectorIjsN6thrust23THRUST_200600_302600_NS4plusIsEEEEZZNS1_33reduce_by_key_impl_wrapped_configILNS1_25lookback_scan_determinismE0ES3_S9_NS6_6detail15normal_iteratorINS6_10device_ptrIjEEEENSD_INSE_IsEEEENS6_16discard_iteratorINS6_11use_defaultEEESI_PmS8_NS6_8equal_toIjEEEE10hipError_tPvRmT2_T3_mT4_T5_T6_T7_T8_P12ihipStream_tbENKUlT_T0_E_clISt17integral_constantIbLb1EES16_EEDaS11_S12_EUlS11_E_NS1_11comp_targetILNS1_3genE4ELNS1_11target_archE910ELNS1_3gpuE8ELNS1_3repE0EEENS1_30default_config_static_selectorELNS0_4arch9wavefront6targetE0EEEvT1_,comdat
	.protected	_ZN7rocprim17ROCPRIM_400000_NS6detail17trampoline_kernelINS0_14default_configENS1_29reduce_by_key_config_selectorIjsN6thrust23THRUST_200600_302600_NS4plusIsEEEEZZNS1_33reduce_by_key_impl_wrapped_configILNS1_25lookback_scan_determinismE0ES3_S9_NS6_6detail15normal_iteratorINS6_10device_ptrIjEEEENSD_INSE_IsEEEENS6_16discard_iteratorINS6_11use_defaultEEESI_PmS8_NS6_8equal_toIjEEEE10hipError_tPvRmT2_T3_mT4_T5_T6_T7_T8_P12ihipStream_tbENKUlT_T0_E_clISt17integral_constantIbLb1EES16_EEDaS11_S12_EUlS11_E_NS1_11comp_targetILNS1_3genE4ELNS1_11target_archE910ELNS1_3gpuE8ELNS1_3repE0EEENS1_30default_config_static_selectorELNS0_4arch9wavefront6targetE0EEEvT1_ ; -- Begin function _ZN7rocprim17ROCPRIM_400000_NS6detail17trampoline_kernelINS0_14default_configENS1_29reduce_by_key_config_selectorIjsN6thrust23THRUST_200600_302600_NS4plusIsEEEEZZNS1_33reduce_by_key_impl_wrapped_configILNS1_25lookback_scan_determinismE0ES3_S9_NS6_6detail15normal_iteratorINS6_10device_ptrIjEEEENSD_INSE_IsEEEENS6_16discard_iteratorINS6_11use_defaultEEESI_PmS8_NS6_8equal_toIjEEEE10hipError_tPvRmT2_T3_mT4_T5_T6_T7_T8_P12ihipStream_tbENKUlT_T0_E_clISt17integral_constantIbLb1EES16_EEDaS11_S12_EUlS11_E_NS1_11comp_targetILNS1_3genE4ELNS1_11target_archE910ELNS1_3gpuE8ELNS1_3repE0EEENS1_30default_config_static_selectorELNS0_4arch9wavefront6targetE0EEEvT1_
	.globl	_ZN7rocprim17ROCPRIM_400000_NS6detail17trampoline_kernelINS0_14default_configENS1_29reduce_by_key_config_selectorIjsN6thrust23THRUST_200600_302600_NS4plusIsEEEEZZNS1_33reduce_by_key_impl_wrapped_configILNS1_25lookback_scan_determinismE0ES3_S9_NS6_6detail15normal_iteratorINS6_10device_ptrIjEEEENSD_INSE_IsEEEENS6_16discard_iteratorINS6_11use_defaultEEESI_PmS8_NS6_8equal_toIjEEEE10hipError_tPvRmT2_T3_mT4_T5_T6_T7_T8_P12ihipStream_tbENKUlT_T0_E_clISt17integral_constantIbLb1EES16_EEDaS11_S12_EUlS11_E_NS1_11comp_targetILNS1_3genE4ELNS1_11target_archE910ELNS1_3gpuE8ELNS1_3repE0EEENS1_30default_config_static_selectorELNS0_4arch9wavefront6targetE0EEEvT1_
	.p2align	8
	.type	_ZN7rocprim17ROCPRIM_400000_NS6detail17trampoline_kernelINS0_14default_configENS1_29reduce_by_key_config_selectorIjsN6thrust23THRUST_200600_302600_NS4plusIsEEEEZZNS1_33reduce_by_key_impl_wrapped_configILNS1_25lookback_scan_determinismE0ES3_S9_NS6_6detail15normal_iteratorINS6_10device_ptrIjEEEENSD_INSE_IsEEEENS6_16discard_iteratorINS6_11use_defaultEEESI_PmS8_NS6_8equal_toIjEEEE10hipError_tPvRmT2_T3_mT4_T5_T6_T7_T8_P12ihipStream_tbENKUlT_T0_E_clISt17integral_constantIbLb1EES16_EEDaS11_S12_EUlS11_E_NS1_11comp_targetILNS1_3genE4ELNS1_11target_archE910ELNS1_3gpuE8ELNS1_3repE0EEENS1_30default_config_static_selectorELNS0_4arch9wavefront6targetE0EEEvT1_,@function
_ZN7rocprim17ROCPRIM_400000_NS6detail17trampoline_kernelINS0_14default_configENS1_29reduce_by_key_config_selectorIjsN6thrust23THRUST_200600_302600_NS4plusIsEEEEZZNS1_33reduce_by_key_impl_wrapped_configILNS1_25lookback_scan_determinismE0ES3_S9_NS6_6detail15normal_iteratorINS6_10device_ptrIjEEEENSD_INSE_IsEEEENS6_16discard_iteratorINS6_11use_defaultEEESI_PmS8_NS6_8equal_toIjEEEE10hipError_tPvRmT2_T3_mT4_T5_T6_T7_T8_P12ihipStream_tbENKUlT_T0_E_clISt17integral_constantIbLb1EES16_EEDaS11_S12_EUlS11_E_NS1_11comp_targetILNS1_3genE4ELNS1_11target_archE910ELNS1_3gpuE8ELNS1_3repE0EEENS1_30default_config_static_selectorELNS0_4arch9wavefront6targetE0EEEvT1_: ; @_ZN7rocprim17ROCPRIM_400000_NS6detail17trampoline_kernelINS0_14default_configENS1_29reduce_by_key_config_selectorIjsN6thrust23THRUST_200600_302600_NS4plusIsEEEEZZNS1_33reduce_by_key_impl_wrapped_configILNS1_25lookback_scan_determinismE0ES3_S9_NS6_6detail15normal_iteratorINS6_10device_ptrIjEEEENSD_INSE_IsEEEENS6_16discard_iteratorINS6_11use_defaultEEESI_PmS8_NS6_8equal_toIjEEEE10hipError_tPvRmT2_T3_mT4_T5_T6_T7_T8_P12ihipStream_tbENKUlT_T0_E_clISt17integral_constantIbLb1EES16_EEDaS11_S12_EUlS11_E_NS1_11comp_targetILNS1_3genE4ELNS1_11target_archE910ELNS1_3gpuE8ELNS1_3repE0EEENS1_30default_config_static_selectorELNS0_4arch9wavefront6targetE0EEEvT1_
; %bb.0:
	.section	.rodata,"a",@progbits
	.p2align	6, 0x0
	.amdhsa_kernel _ZN7rocprim17ROCPRIM_400000_NS6detail17trampoline_kernelINS0_14default_configENS1_29reduce_by_key_config_selectorIjsN6thrust23THRUST_200600_302600_NS4plusIsEEEEZZNS1_33reduce_by_key_impl_wrapped_configILNS1_25lookback_scan_determinismE0ES3_S9_NS6_6detail15normal_iteratorINS6_10device_ptrIjEEEENSD_INSE_IsEEEENS6_16discard_iteratorINS6_11use_defaultEEESI_PmS8_NS6_8equal_toIjEEEE10hipError_tPvRmT2_T3_mT4_T5_T6_T7_T8_P12ihipStream_tbENKUlT_T0_E_clISt17integral_constantIbLb1EES16_EEDaS11_S12_EUlS11_E_NS1_11comp_targetILNS1_3genE4ELNS1_11target_archE910ELNS1_3gpuE8ELNS1_3repE0EEENS1_30default_config_static_selectorELNS0_4arch9wavefront6targetE0EEEvT1_
		.amdhsa_group_segment_fixed_size 0
		.amdhsa_private_segment_fixed_size 0
		.amdhsa_kernarg_size 128
		.amdhsa_user_sgpr_count 15
		.amdhsa_user_sgpr_dispatch_ptr 0
		.amdhsa_user_sgpr_queue_ptr 0
		.amdhsa_user_sgpr_kernarg_segment_ptr 1
		.amdhsa_user_sgpr_dispatch_id 0
		.amdhsa_user_sgpr_private_segment_size 0
		.amdhsa_wavefront_size32 1
		.amdhsa_uses_dynamic_stack 0
		.amdhsa_enable_private_segment 0
		.amdhsa_system_sgpr_workgroup_id_x 1
		.amdhsa_system_sgpr_workgroup_id_y 0
		.amdhsa_system_sgpr_workgroup_id_z 0
		.amdhsa_system_sgpr_workgroup_info 0
		.amdhsa_system_vgpr_workitem_id 0
		.amdhsa_next_free_vgpr 1
		.amdhsa_next_free_sgpr 1
		.amdhsa_reserve_vcc 0
		.amdhsa_float_round_mode_32 0
		.amdhsa_float_round_mode_16_64 0
		.amdhsa_float_denorm_mode_32 3
		.amdhsa_float_denorm_mode_16_64 3
		.amdhsa_dx10_clamp 1
		.amdhsa_ieee_mode 1
		.amdhsa_fp16_overflow 0
		.amdhsa_workgroup_processor_mode 1
		.amdhsa_memory_ordered 1
		.amdhsa_forward_progress 0
		.amdhsa_shared_vgpr_count 0
		.amdhsa_exception_fp_ieee_invalid_op 0
		.amdhsa_exception_fp_denorm_src 0
		.amdhsa_exception_fp_ieee_div_zero 0
		.amdhsa_exception_fp_ieee_overflow 0
		.amdhsa_exception_fp_ieee_underflow 0
		.amdhsa_exception_fp_ieee_inexact 0
		.amdhsa_exception_int_div_zero 0
	.end_amdhsa_kernel
	.section	.text._ZN7rocprim17ROCPRIM_400000_NS6detail17trampoline_kernelINS0_14default_configENS1_29reduce_by_key_config_selectorIjsN6thrust23THRUST_200600_302600_NS4plusIsEEEEZZNS1_33reduce_by_key_impl_wrapped_configILNS1_25lookback_scan_determinismE0ES3_S9_NS6_6detail15normal_iteratorINS6_10device_ptrIjEEEENSD_INSE_IsEEEENS6_16discard_iteratorINS6_11use_defaultEEESI_PmS8_NS6_8equal_toIjEEEE10hipError_tPvRmT2_T3_mT4_T5_T6_T7_T8_P12ihipStream_tbENKUlT_T0_E_clISt17integral_constantIbLb1EES16_EEDaS11_S12_EUlS11_E_NS1_11comp_targetILNS1_3genE4ELNS1_11target_archE910ELNS1_3gpuE8ELNS1_3repE0EEENS1_30default_config_static_selectorELNS0_4arch9wavefront6targetE0EEEvT1_,"axG",@progbits,_ZN7rocprim17ROCPRIM_400000_NS6detail17trampoline_kernelINS0_14default_configENS1_29reduce_by_key_config_selectorIjsN6thrust23THRUST_200600_302600_NS4plusIsEEEEZZNS1_33reduce_by_key_impl_wrapped_configILNS1_25lookback_scan_determinismE0ES3_S9_NS6_6detail15normal_iteratorINS6_10device_ptrIjEEEENSD_INSE_IsEEEENS6_16discard_iteratorINS6_11use_defaultEEESI_PmS8_NS6_8equal_toIjEEEE10hipError_tPvRmT2_T3_mT4_T5_T6_T7_T8_P12ihipStream_tbENKUlT_T0_E_clISt17integral_constantIbLb1EES16_EEDaS11_S12_EUlS11_E_NS1_11comp_targetILNS1_3genE4ELNS1_11target_archE910ELNS1_3gpuE8ELNS1_3repE0EEENS1_30default_config_static_selectorELNS0_4arch9wavefront6targetE0EEEvT1_,comdat
.Lfunc_end1068:
	.size	_ZN7rocprim17ROCPRIM_400000_NS6detail17trampoline_kernelINS0_14default_configENS1_29reduce_by_key_config_selectorIjsN6thrust23THRUST_200600_302600_NS4plusIsEEEEZZNS1_33reduce_by_key_impl_wrapped_configILNS1_25lookback_scan_determinismE0ES3_S9_NS6_6detail15normal_iteratorINS6_10device_ptrIjEEEENSD_INSE_IsEEEENS6_16discard_iteratorINS6_11use_defaultEEESI_PmS8_NS6_8equal_toIjEEEE10hipError_tPvRmT2_T3_mT4_T5_T6_T7_T8_P12ihipStream_tbENKUlT_T0_E_clISt17integral_constantIbLb1EES16_EEDaS11_S12_EUlS11_E_NS1_11comp_targetILNS1_3genE4ELNS1_11target_archE910ELNS1_3gpuE8ELNS1_3repE0EEENS1_30default_config_static_selectorELNS0_4arch9wavefront6targetE0EEEvT1_, .Lfunc_end1068-_ZN7rocprim17ROCPRIM_400000_NS6detail17trampoline_kernelINS0_14default_configENS1_29reduce_by_key_config_selectorIjsN6thrust23THRUST_200600_302600_NS4plusIsEEEEZZNS1_33reduce_by_key_impl_wrapped_configILNS1_25lookback_scan_determinismE0ES3_S9_NS6_6detail15normal_iteratorINS6_10device_ptrIjEEEENSD_INSE_IsEEEENS6_16discard_iteratorINS6_11use_defaultEEESI_PmS8_NS6_8equal_toIjEEEE10hipError_tPvRmT2_T3_mT4_T5_T6_T7_T8_P12ihipStream_tbENKUlT_T0_E_clISt17integral_constantIbLb1EES16_EEDaS11_S12_EUlS11_E_NS1_11comp_targetILNS1_3genE4ELNS1_11target_archE910ELNS1_3gpuE8ELNS1_3repE0EEENS1_30default_config_static_selectorELNS0_4arch9wavefront6targetE0EEEvT1_
                                        ; -- End function
	.section	.AMDGPU.csdata,"",@progbits
; Kernel info:
; codeLenInByte = 0
; NumSgprs: 0
; NumVgprs: 0
; ScratchSize: 0
; MemoryBound: 0
; FloatMode: 240
; IeeeMode: 1
; LDSByteSize: 0 bytes/workgroup (compile time only)
; SGPRBlocks: 0
; VGPRBlocks: 0
; NumSGPRsForWavesPerEU: 1
; NumVGPRsForWavesPerEU: 1
; Occupancy: 16
; WaveLimiterHint : 0
; COMPUTE_PGM_RSRC2:SCRATCH_EN: 0
; COMPUTE_PGM_RSRC2:USER_SGPR: 15
; COMPUTE_PGM_RSRC2:TRAP_HANDLER: 0
; COMPUTE_PGM_RSRC2:TGID_X_EN: 1
; COMPUTE_PGM_RSRC2:TGID_Y_EN: 0
; COMPUTE_PGM_RSRC2:TGID_Z_EN: 0
; COMPUTE_PGM_RSRC2:TIDIG_COMP_CNT: 0
	.section	.text._ZN7rocprim17ROCPRIM_400000_NS6detail17trampoline_kernelINS0_14default_configENS1_29reduce_by_key_config_selectorIjsN6thrust23THRUST_200600_302600_NS4plusIsEEEEZZNS1_33reduce_by_key_impl_wrapped_configILNS1_25lookback_scan_determinismE0ES3_S9_NS6_6detail15normal_iteratorINS6_10device_ptrIjEEEENSD_INSE_IsEEEENS6_16discard_iteratorINS6_11use_defaultEEESI_PmS8_NS6_8equal_toIjEEEE10hipError_tPvRmT2_T3_mT4_T5_T6_T7_T8_P12ihipStream_tbENKUlT_T0_E_clISt17integral_constantIbLb1EES16_EEDaS11_S12_EUlS11_E_NS1_11comp_targetILNS1_3genE3ELNS1_11target_archE908ELNS1_3gpuE7ELNS1_3repE0EEENS1_30default_config_static_selectorELNS0_4arch9wavefront6targetE0EEEvT1_,"axG",@progbits,_ZN7rocprim17ROCPRIM_400000_NS6detail17trampoline_kernelINS0_14default_configENS1_29reduce_by_key_config_selectorIjsN6thrust23THRUST_200600_302600_NS4plusIsEEEEZZNS1_33reduce_by_key_impl_wrapped_configILNS1_25lookback_scan_determinismE0ES3_S9_NS6_6detail15normal_iteratorINS6_10device_ptrIjEEEENSD_INSE_IsEEEENS6_16discard_iteratorINS6_11use_defaultEEESI_PmS8_NS6_8equal_toIjEEEE10hipError_tPvRmT2_T3_mT4_T5_T6_T7_T8_P12ihipStream_tbENKUlT_T0_E_clISt17integral_constantIbLb1EES16_EEDaS11_S12_EUlS11_E_NS1_11comp_targetILNS1_3genE3ELNS1_11target_archE908ELNS1_3gpuE7ELNS1_3repE0EEENS1_30default_config_static_selectorELNS0_4arch9wavefront6targetE0EEEvT1_,comdat
	.protected	_ZN7rocprim17ROCPRIM_400000_NS6detail17trampoline_kernelINS0_14default_configENS1_29reduce_by_key_config_selectorIjsN6thrust23THRUST_200600_302600_NS4plusIsEEEEZZNS1_33reduce_by_key_impl_wrapped_configILNS1_25lookback_scan_determinismE0ES3_S9_NS6_6detail15normal_iteratorINS6_10device_ptrIjEEEENSD_INSE_IsEEEENS6_16discard_iteratorINS6_11use_defaultEEESI_PmS8_NS6_8equal_toIjEEEE10hipError_tPvRmT2_T3_mT4_T5_T6_T7_T8_P12ihipStream_tbENKUlT_T0_E_clISt17integral_constantIbLb1EES16_EEDaS11_S12_EUlS11_E_NS1_11comp_targetILNS1_3genE3ELNS1_11target_archE908ELNS1_3gpuE7ELNS1_3repE0EEENS1_30default_config_static_selectorELNS0_4arch9wavefront6targetE0EEEvT1_ ; -- Begin function _ZN7rocprim17ROCPRIM_400000_NS6detail17trampoline_kernelINS0_14default_configENS1_29reduce_by_key_config_selectorIjsN6thrust23THRUST_200600_302600_NS4plusIsEEEEZZNS1_33reduce_by_key_impl_wrapped_configILNS1_25lookback_scan_determinismE0ES3_S9_NS6_6detail15normal_iteratorINS6_10device_ptrIjEEEENSD_INSE_IsEEEENS6_16discard_iteratorINS6_11use_defaultEEESI_PmS8_NS6_8equal_toIjEEEE10hipError_tPvRmT2_T3_mT4_T5_T6_T7_T8_P12ihipStream_tbENKUlT_T0_E_clISt17integral_constantIbLb1EES16_EEDaS11_S12_EUlS11_E_NS1_11comp_targetILNS1_3genE3ELNS1_11target_archE908ELNS1_3gpuE7ELNS1_3repE0EEENS1_30default_config_static_selectorELNS0_4arch9wavefront6targetE0EEEvT1_
	.globl	_ZN7rocprim17ROCPRIM_400000_NS6detail17trampoline_kernelINS0_14default_configENS1_29reduce_by_key_config_selectorIjsN6thrust23THRUST_200600_302600_NS4plusIsEEEEZZNS1_33reduce_by_key_impl_wrapped_configILNS1_25lookback_scan_determinismE0ES3_S9_NS6_6detail15normal_iteratorINS6_10device_ptrIjEEEENSD_INSE_IsEEEENS6_16discard_iteratorINS6_11use_defaultEEESI_PmS8_NS6_8equal_toIjEEEE10hipError_tPvRmT2_T3_mT4_T5_T6_T7_T8_P12ihipStream_tbENKUlT_T0_E_clISt17integral_constantIbLb1EES16_EEDaS11_S12_EUlS11_E_NS1_11comp_targetILNS1_3genE3ELNS1_11target_archE908ELNS1_3gpuE7ELNS1_3repE0EEENS1_30default_config_static_selectorELNS0_4arch9wavefront6targetE0EEEvT1_
	.p2align	8
	.type	_ZN7rocprim17ROCPRIM_400000_NS6detail17trampoline_kernelINS0_14default_configENS1_29reduce_by_key_config_selectorIjsN6thrust23THRUST_200600_302600_NS4plusIsEEEEZZNS1_33reduce_by_key_impl_wrapped_configILNS1_25lookback_scan_determinismE0ES3_S9_NS6_6detail15normal_iteratorINS6_10device_ptrIjEEEENSD_INSE_IsEEEENS6_16discard_iteratorINS6_11use_defaultEEESI_PmS8_NS6_8equal_toIjEEEE10hipError_tPvRmT2_T3_mT4_T5_T6_T7_T8_P12ihipStream_tbENKUlT_T0_E_clISt17integral_constantIbLb1EES16_EEDaS11_S12_EUlS11_E_NS1_11comp_targetILNS1_3genE3ELNS1_11target_archE908ELNS1_3gpuE7ELNS1_3repE0EEENS1_30default_config_static_selectorELNS0_4arch9wavefront6targetE0EEEvT1_,@function
_ZN7rocprim17ROCPRIM_400000_NS6detail17trampoline_kernelINS0_14default_configENS1_29reduce_by_key_config_selectorIjsN6thrust23THRUST_200600_302600_NS4plusIsEEEEZZNS1_33reduce_by_key_impl_wrapped_configILNS1_25lookback_scan_determinismE0ES3_S9_NS6_6detail15normal_iteratorINS6_10device_ptrIjEEEENSD_INSE_IsEEEENS6_16discard_iteratorINS6_11use_defaultEEESI_PmS8_NS6_8equal_toIjEEEE10hipError_tPvRmT2_T3_mT4_T5_T6_T7_T8_P12ihipStream_tbENKUlT_T0_E_clISt17integral_constantIbLb1EES16_EEDaS11_S12_EUlS11_E_NS1_11comp_targetILNS1_3genE3ELNS1_11target_archE908ELNS1_3gpuE7ELNS1_3repE0EEENS1_30default_config_static_selectorELNS0_4arch9wavefront6targetE0EEEvT1_: ; @_ZN7rocprim17ROCPRIM_400000_NS6detail17trampoline_kernelINS0_14default_configENS1_29reduce_by_key_config_selectorIjsN6thrust23THRUST_200600_302600_NS4plusIsEEEEZZNS1_33reduce_by_key_impl_wrapped_configILNS1_25lookback_scan_determinismE0ES3_S9_NS6_6detail15normal_iteratorINS6_10device_ptrIjEEEENSD_INSE_IsEEEENS6_16discard_iteratorINS6_11use_defaultEEESI_PmS8_NS6_8equal_toIjEEEE10hipError_tPvRmT2_T3_mT4_T5_T6_T7_T8_P12ihipStream_tbENKUlT_T0_E_clISt17integral_constantIbLb1EES16_EEDaS11_S12_EUlS11_E_NS1_11comp_targetILNS1_3genE3ELNS1_11target_archE908ELNS1_3gpuE7ELNS1_3repE0EEENS1_30default_config_static_selectorELNS0_4arch9wavefront6targetE0EEEvT1_
; %bb.0:
	.section	.rodata,"a",@progbits
	.p2align	6, 0x0
	.amdhsa_kernel _ZN7rocprim17ROCPRIM_400000_NS6detail17trampoline_kernelINS0_14default_configENS1_29reduce_by_key_config_selectorIjsN6thrust23THRUST_200600_302600_NS4plusIsEEEEZZNS1_33reduce_by_key_impl_wrapped_configILNS1_25lookback_scan_determinismE0ES3_S9_NS6_6detail15normal_iteratorINS6_10device_ptrIjEEEENSD_INSE_IsEEEENS6_16discard_iteratorINS6_11use_defaultEEESI_PmS8_NS6_8equal_toIjEEEE10hipError_tPvRmT2_T3_mT4_T5_T6_T7_T8_P12ihipStream_tbENKUlT_T0_E_clISt17integral_constantIbLb1EES16_EEDaS11_S12_EUlS11_E_NS1_11comp_targetILNS1_3genE3ELNS1_11target_archE908ELNS1_3gpuE7ELNS1_3repE0EEENS1_30default_config_static_selectorELNS0_4arch9wavefront6targetE0EEEvT1_
		.amdhsa_group_segment_fixed_size 0
		.amdhsa_private_segment_fixed_size 0
		.amdhsa_kernarg_size 128
		.amdhsa_user_sgpr_count 15
		.amdhsa_user_sgpr_dispatch_ptr 0
		.amdhsa_user_sgpr_queue_ptr 0
		.amdhsa_user_sgpr_kernarg_segment_ptr 1
		.amdhsa_user_sgpr_dispatch_id 0
		.amdhsa_user_sgpr_private_segment_size 0
		.amdhsa_wavefront_size32 1
		.amdhsa_uses_dynamic_stack 0
		.amdhsa_enable_private_segment 0
		.amdhsa_system_sgpr_workgroup_id_x 1
		.amdhsa_system_sgpr_workgroup_id_y 0
		.amdhsa_system_sgpr_workgroup_id_z 0
		.amdhsa_system_sgpr_workgroup_info 0
		.amdhsa_system_vgpr_workitem_id 0
		.amdhsa_next_free_vgpr 1
		.amdhsa_next_free_sgpr 1
		.amdhsa_reserve_vcc 0
		.amdhsa_float_round_mode_32 0
		.amdhsa_float_round_mode_16_64 0
		.amdhsa_float_denorm_mode_32 3
		.amdhsa_float_denorm_mode_16_64 3
		.amdhsa_dx10_clamp 1
		.amdhsa_ieee_mode 1
		.amdhsa_fp16_overflow 0
		.amdhsa_workgroup_processor_mode 1
		.amdhsa_memory_ordered 1
		.amdhsa_forward_progress 0
		.amdhsa_shared_vgpr_count 0
		.amdhsa_exception_fp_ieee_invalid_op 0
		.amdhsa_exception_fp_denorm_src 0
		.amdhsa_exception_fp_ieee_div_zero 0
		.amdhsa_exception_fp_ieee_overflow 0
		.amdhsa_exception_fp_ieee_underflow 0
		.amdhsa_exception_fp_ieee_inexact 0
		.amdhsa_exception_int_div_zero 0
	.end_amdhsa_kernel
	.section	.text._ZN7rocprim17ROCPRIM_400000_NS6detail17trampoline_kernelINS0_14default_configENS1_29reduce_by_key_config_selectorIjsN6thrust23THRUST_200600_302600_NS4plusIsEEEEZZNS1_33reduce_by_key_impl_wrapped_configILNS1_25lookback_scan_determinismE0ES3_S9_NS6_6detail15normal_iteratorINS6_10device_ptrIjEEEENSD_INSE_IsEEEENS6_16discard_iteratorINS6_11use_defaultEEESI_PmS8_NS6_8equal_toIjEEEE10hipError_tPvRmT2_T3_mT4_T5_T6_T7_T8_P12ihipStream_tbENKUlT_T0_E_clISt17integral_constantIbLb1EES16_EEDaS11_S12_EUlS11_E_NS1_11comp_targetILNS1_3genE3ELNS1_11target_archE908ELNS1_3gpuE7ELNS1_3repE0EEENS1_30default_config_static_selectorELNS0_4arch9wavefront6targetE0EEEvT1_,"axG",@progbits,_ZN7rocprim17ROCPRIM_400000_NS6detail17trampoline_kernelINS0_14default_configENS1_29reduce_by_key_config_selectorIjsN6thrust23THRUST_200600_302600_NS4plusIsEEEEZZNS1_33reduce_by_key_impl_wrapped_configILNS1_25lookback_scan_determinismE0ES3_S9_NS6_6detail15normal_iteratorINS6_10device_ptrIjEEEENSD_INSE_IsEEEENS6_16discard_iteratorINS6_11use_defaultEEESI_PmS8_NS6_8equal_toIjEEEE10hipError_tPvRmT2_T3_mT4_T5_T6_T7_T8_P12ihipStream_tbENKUlT_T0_E_clISt17integral_constantIbLb1EES16_EEDaS11_S12_EUlS11_E_NS1_11comp_targetILNS1_3genE3ELNS1_11target_archE908ELNS1_3gpuE7ELNS1_3repE0EEENS1_30default_config_static_selectorELNS0_4arch9wavefront6targetE0EEEvT1_,comdat
.Lfunc_end1069:
	.size	_ZN7rocprim17ROCPRIM_400000_NS6detail17trampoline_kernelINS0_14default_configENS1_29reduce_by_key_config_selectorIjsN6thrust23THRUST_200600_302600_NS4plusIsEEEEZZNS1_33reduce_by_key_impl_wrapped_configILNS1_25lookback_scan_determinismE0ES3_S9_NS6_6detail15normal_iteratorINS6_10device_ptrIjEEEENSD_INSE_IsEEEENS6_16discard_iteratorINS6_11use_defaultEEESI_PmS8_NS6_8equal_toIjEEEE10hipError_tPvRmT2_T3_mT4_T5_T6_T7_T8_P12ihipStream_tbENKUlT_T0_E_clISt17integral_constantIbLb1EES16_EEDaS11_S12_EUlS11_E_NS1_11comp_targetILNS1_3genE3ELNS1_11target_archE908ELNS1_3gpuE7ELNS1_3repE0EEENS1_30default_config_static_selectorELNS0_4arch9wavefront6targetE0EEEvT1_, .Lfunc_end1069-_ZN7rocprim17ROCPRIM_400000_NS6detail17trampoline_kernelINS0_14default_configENS1_29reduce_by_key_config_selectorIjsN6thrust23THRUST_200600_302600_NS4plusIsEEEEZZNS1_33reduce_by_key_impl_wrapped_configILNS1_25lookback_scan_determinismE0ES3_S9_NS6_6detail15normal_iteratorINS6_10device_ptrIjEEEENSD_INSE_IsEEEENS6_16discard_iteratorINS6_11use_defaultEEESI_PmS8_NS6_8equal_toIjEEEE10hipError_tPvRmT2_T3_mT4_T5_T6_T7_T8_P12ihipStream_tbENKUlT_T0_E_clISt17integral_constantIbLb1EES16_EEDaS11_S12_EUlS11_E_NS1_11comp_targetILNS1_3genE3ELNS1_11target_archE908ELNS1_3gpuE7ELNS1_3repE0EEENS1_30default_config_static_selectorELNS0_4arch9wavefront6targetE0EEEvT1_
                                        ; -- End function
	.section	.AMDGPU.csdata,"",@progbits
; Kernel info:
; codeLenInByte = 0
; NumSgprs: 0
; NumVgprs: 0
; ScratchSize: 0
; MemoryBound: 0
; FloatMode: 240
; IeeeMode: 1
; LDSByteSize: 0 bytes/workgroup (compile time only)
; SGPRBlocks: 0
; VGPRBlocks: 0
; NumSGPRsForWavesPerEU: 1
; NumVGPRsForWavesPerEU: 1
; Occupancy: 16
; WaveLimiterHint : 0
; COMPUTE_PGM_RSRC2:SCRATCH_EN: 0
; COMPUTE_PGM_RSRC2:USER_SGPR: 15
; COMPUTE_PGM_RSRC2:TRAP_HANDLER: 0
; COMPUTE_PGM_RSRC2:TGID_X_EN: 1
; COMPUTE_PGM_RSRC2:TGID_Y_EN: 0
; COMPUTE_PGM_RSRC2:TGID_Z_EN: 0
; COMPUTE_PGM_RSRC2:TIDIG_COMP_CNT: 0
	.section	.text._ZN7rocprim17ROCPRIM_400000_NS6detail17trampoline_kernelINS0_14default_configENS1_29reduce_by_key_config_selectorIjsN6thrust23THRUST_200600_302600_NS4plusIsEEEEZZNS1_33reduce_by_key_impl_wrapped_configILNS1_25lookback_scan_determinismE0ES3_S9_NS6_6detail15normal_iteratorINS6_10device_ptrIjEEEENSD_INSE_IsEEEENS6_16discard_iteratorINS6_11use_defaultEEESI_PmS8_NS6_8equal_toIjEEEE10hipError_tPvRmT2_T3_mT4_T5_T6_T7_T8_P12ihipStream_tbENKUlT_T0_E_clISt17integral_constantIbLb1EES16_EEDaS11_S12_EUlS11_E_NS1_11comp_targetILNS1_3genE2ELNS1_11target_archE906ELNS1_3gpuE6ELNS1_3repE0EEENS1_30default_config_static_selectorELNS0_4arch9wavefront6targetE0EEEvT1_,"axG",@progbits,_ZN7rocprim17ROCPRIM_400000_NS6detail17trampoline_kernelINS0_14default_configENS1_29reduce_by_key_config_selectorIjsN6thrust23THRUST_200600_302600_NS4plusIsEEEEZZNS1_33reduce_by_key_impl_wrapped_configILNS1_25lookback_scan_determinismE0ES3_S9_NS6_6detail15normal_iteratorINS6_10device_ptrIjEEEENSD_INSE_IsEEEENS6_16discard_iteratorINS6_11use_defaultEEESI_PmS8_NS6_8equal_toIjEEEE10hipError_tPvRmT2_T3_mT4_T5_T6_T7_T8_P12ihipStream_tbENKUlT_T0_E_clISt17integral_constantIbLb1EES16_EEDaS11_S12_EUlS11_E_NS1_11comp_targetILNS1_3genE2ELNS1_11target_archE906ELNS1_3gpuE6ELNS1_3repE0EEENS1_30default_config_static_selectorELNS0_4arch9wavefront6targetE0EEEvT1_,comdat
	.protected	_ZN7rocprim17ROCPRIM_400000_NS6detail17trampoline_kernelINS0_14default_configENS1_29reduce_by_key_config_selectorIjsN6thrust23THRUST_200600_302600_NS4plusIsEEEEZZNS1_33reduce_by_key_impl_wrapped_configILNS1_25lookback_scan_determinismE0ES3_S9_NS6_6detail15normal_iteratorINS6_10device_ptrIjEEEENSD_INSE_IsEEEENS6_16discard_iteratorINS6_11use_defaultEEESI_PmS8_NS6_8equal_toIjEEEE10hipError_tPvRmT2_T3_mT4_T5_T6_T7_T8_P12ihipStream_tbENKUlT_T0_E_clISt17integral_constantIbLb1EES16_EEDaS11_S12_EUlS11_E_NS1_11comp_targetILNS1_3genE2ELNS1_11target_archE906ELNS1_3gpuE6ELNS1_3repE0EEENS1_30default_config_static_selectorELNS0_4arch9wavefront6targetE0EEEvT1_ ; -- Begin function _ZN7rocprim17ROCPRIM_400000_NS6detail17trampoline_kernelINS0_14default_configENS1_29reduce_by_key_config_selectorIjsN6thrust23THRUST_200600_302600_NS4plusIsEEEEZZNS1_33reduce_by_key_impl_wrapped_configILNS1_25lookback_scan_determinismE0ES3_S9_NS6_6detail15normal_iteratorINS6_10device_ptrIjEEEENSD_INSE_IsEEEENS6_16discard_iteratorINS6_11use_defaultEEESI_PmS8_NS6_8equal_toIjEEEE10hipError_tPvRmT2_T3_mT4_T5_T6_T7_T8_P12ihipStream_tbENKUlT_T0_E_clISt17integral_constantIbLb1EES16_EEDaS11_S12_EUlS11_E_NS1_11comp_targetILNS1_3genE2ELNS1_11target_archE906ELNS1_3gpuE6ELNS1_3repE0EEENS1_30default_config_static_selectorELNS0_4arch9wavefront6targetE0EEEvT1_
	.globl	_ZN7rocprim17ROCPRIM_400000_NS6detail17trampoline_kernelINS0_14default_configENS1_29reduce_by_key_config_selectorIjsN6thrust23THRUST_200600_302600_NS4plusIsEEEEZZNS1_33reduce_by_key_impl_wrapped_configILNS1_25lookback_scan_determinismE0ES3_S9_NS6_6detail15normal_iteratorINS6_10device_ptrIjEEEENSD_INSE_IsEEEENS6_16discard_iteratorINS6_11use_defaultEEESI_PmS8_NS6_8equal_toIjEEEE10hipError_tPvRmT2_T3_mT4_T5_T6_T7_T8_P12ihipStream_tbENKUlT_T0_E_clISt17integral_constantIbLb1EES16_EEDaS11_S12_EUlS11_E_NS1_11comp_targetILNS1_3genE2ELNS1_11target_archE906ELNS1_3gpuE6ELNS1_3repE0EEENS1_30default_config_static_selectorELNS0_4arch9wavefront6targetE0EEEvT1_
	.p2align	8
	.type	_ZN7rocprim17ROCPRIM_400000_NS6detail17trampoline_kernelINS0_14default_configENS1_29reduce_by_key_config_selectorIjsN6thrust23THRUST_200600_302600_NS4plusIsEEEEZZNS1_33reduce_by_key_impl_wrapped_configILNS1_25lookback_scan_determinismE0ES3_S9_NS6_6detail15normal_iteratorINS6_10device_ptrIjEEEENSD_INSE_IsEEEENS6_16discard_iteratorINS6_11use_defaultEEESI_PmS8_NS6_8equal_toIjEEEE10hipError_tPvRmT2_T3_mT4_T5_T6_T7_T8_P12ihipStream_tbENKUlT_T0_E_clISt17integral_constantIbLb1EES16_EEDaS11_S12_EUlS11_E_NS1_11comp_targetILNS1_3genE2ELNS1_11target_archE906ELNS1_3gpuE6ELNS1_3repE0EEENS1_30default_config_static_selectorELNS0_4arch9wavefront6targetE0EEEvT1_,@function
_ZN7rocprim17ROCPRIM_400000_NS6detail17trampoline_kernelINS0_14default_configENS1_29reduce_by_key_config_selectorIjsN6thrust23THRUST_200600_302600_NS4plusIsEEEEZZNS1_33reduce_by_key_impl_wrapped_configILNS1_25lookback_scan_determinismE0ES3_S9_NS6_6detail15normal_iteratorINS6_10device_ptrIjEEEENSD_INSE_IsEEEENS6_16discard_iteratorINS6_11use_defaultEEESI_PmS8_NS6_8equal_toIjEEEE10hipError_tPvRmT2_T3_mT4_T5_T6_T7_T8_P12ihipStream_tbENKUlT_T0_E_clISt17integral_constantIbLb1EES16_EEDaS11_S12_EUlS11_E_NS1_11comp_targetILNS1_3genE2ELNS1_11target_archE906ELNS1_3gpuE6ELNS1_3repE0EEENS1_30default_config_static_selectorELNS0_4arch9wavefront6targetE0EEEvT1_: ; @_ZN7rocprim17ROCPRIM_400000_NS6detail17trampoline_kernelINS0_14default_configENS1_29reduce_by_key_config_selectorIjsN6thrust23THRUST_200600_302600_NS4plusIsEEEEZZNS1_33reduce_by_key_impl_wrapped_configILNS1_25lookback_scan_determinismE0ES3_S9_NS6_6detail15normal_iteratorINS6_10device_ptrIjEEEENSD_INSE_IsEEEENS6_16discard_iteratorINS6_11use_defaultEEESI_PmS8_NS6_8equal_toIjEEEE10hipError_tPvRmT2_T3_mT4_T5_T6_T7_T8_P12ihipStream_tbENKUlT_T0_E_clISt17integral_constantIbLb1EES16_EEDaS11_S12_EUlS11_E_NS1_11comp_targetILNS1_3genE2ELNS1_11target_archE906ELNS1_3gpuE6ELNS1_3repE0EEENS1_30default_config_static_selectorELNS0_4arch9wavefront6targetE0EEEvT1_
; %bb.0:
	.section	.rodata,"a",@progbits
	.p2align	6, 0x0
	.amdhsa_kernel _ZN7rocprim17ROCPRIM_400000_NS6detail17trampoline_kernelINS0_14default_configENS1_29reduce_by_key_config_selectorIjsN6thrust23THRUST_200600_302600_NS4plusIsEEEEZZNS1_33reduce_by_key_impl_wrapped_configILNS1_25lookback_scan_determinismE0ES3_S9_NS6_6detail15normal_iteratorINS6_10device_ptrIjEEEENSD_INSE_IsEEEENS6_16discard_iteratorINS6_11use_defaultEEESI_PmS8_NS6_8equal_toIjEEEE10hipError_tPvRmT2_T3_mT4_T5_T6_T7_T8_P12ihipStream_tbENKUlT_T0_E_clISt17integral_constantIbLb1EES16_EEDaS11_S12_EUlS11_E_NS1_11comp_targetILNS1_3genE2ELNS1_11target_archE906ELNS1_3gpuE6ELNS1_3repE0EEENS1_30default_config_static_selectorELNS0_4arch9wavefront6targetE0EEEvT1_
		.amdhsa_group_segment_fixed_size 0
		.amdhsa_private_segment_fixed_size 0
		.amdhsa_kernarg_size 128
		.amdhsa_user_sgpr_count 15
		.amdhsa_user_sgpr_dispatch_ptr 0
		.amdhsa_user_sgpr_queue_ptr 0
		.amdhsa_user_sgpr_kernarg_segment_ptr 1
		.amdhsa_user_sgpr_dispatch_id 0
		.amdhsa_user_sgpr_private_segment_size 0
		.amdhsa_wavefront_size32 1
		.amdhsa_uses_dynamic_stack 0
		.amdhsa_enable_private_segment 0
		.amdhsa_system_sgpr_workgroup_id_x 1
		.amdhsa_system_sgpr_workgroup_id_y 0
		.amdhsa_system_sgpr_workgroup_id_z 0
		.amdhsa_system_sgpr_workgroup_info 0
		.amdhsa_system_vgpr_workitem_id 0
		.amdhsa_next_free_vgpr 1
		.amdhsa_next_free_sgpr 1
		.amdhsa_reserve_vcc 0
		.amdhsa_float_round_mode_32 0
		.amdhsa_float_round_mode_16_64 0
		.amdhsa_float_denorm_mode_32 3
		.amdhsa_float_denorm_mode_16_64 3
		.amdhsa_dx10_clamp 1
		.amdhsa_ieee_mode 1
		.amdhsa_fp16_overflow 0
		.amdhsa_workgroup_processor_mode 1
		.amdhsa_memory_ordered 1
		.amdhsa_forward_progress 0
		.amdhsa_shared_vgpr_count 0
		.amdhsa_exception_fp_ieee_invalid_op 0
		.amdhsa_exception_fp_denorm_src 0
		.amdhsa_exception_fp_ieee_div_zero 0
		.amdhsa_exception_fp_ieee_overflow 0
		.amdhsa_exception_fp_ieee_underflow 0
		.amdhsa_exception_fp_ieee_inexact 0
		.amdhsa_exception_int_div_zero 0
	.end_amdhsa_kernel
	.section	.text._ZN7rocprim17ROCPRIM_400000_NS6detail17trampoline_kernelINS0_14default_configENS1_29reduce_by_key_config_selectorIjsN6thrust23THRUST_200600_302600_NS4plusIsEEEEZZNS1_33reduce_by_key_impl_wrapped_configILNS1_25lookback_scan_determinismE0ES3_S9_NS6_6detail15normal_iteratorINS6_10device_ptrIjEEEENSD_INSE_IsEEEENS6_16discard_iteratorINS6_11use_defaultEEESI_PmS8_NS6_8equal_toIjEEEE10hipError_tPvRmT2_T3_mT4_T5_T6_T7_T8_P12ihipStream_tbENKUlT_T0_E_clISt17integral_constantIbLb1EES16_EEDaS11_S12_EUlS11_E_NS1_11comp_targetILNS1_3genE2ELNS1_11target_archE906ELNS1_3gpuE6ELNS1_3repE0EEENS1_30default_config_static_selectorELNS0_4arch9wavefront6targetE0EEEvT1_,"axG",@progbits,_ZN7rocprim17ROCPRIM_400000_NS6detail17trampoline_kernelINS0_14default_configENS1_29reduce_by_key_config_selectorIjsN6thrust23THRUST_200600_302600_NS4plusIsEEEEZZNS1_33reduce_by_key_impl_wrapped_configILNS1_25lookback_scan_determinismE0ES3_S9_NS6_6detail15normal_iteratorINS6_10device_ptrIjEEEENSD_INSE_IsEEEENS6_16discard_iteratorINS6_11use_defaultEEESI_PmS8_NS6_8equal_toIjEEEE10hipError_tPvRmT2_T3_mT4_T5_T6_T7_T8_P12ihipStream_tbENKUlT_T0_E_clISt17integral_constantIbLb1EES16_EEDaS11_S12_EUlS11_E_NS1_11comp_targetILNS1_3genE2ELNS1_11target_archE906ELNS1_3gpuE6ELNS1_3repE0EEENS1_30default_config_static_selectorELNS0_4arch9wavefront6targetE0EEEvT1_,comdat
.Lfunc_end1070:
	.size	_ZN7rocprim17ROCPRIM_400000_NS6detail17trampoline_kernelINS0_14default_configENS1_29reduce_by_key_config_selectorIjsN6thrust23THRUST_200600_302600_NS4plusIsEEEEZZNS1_33reduce_by_key_impl_wrapped_configILNS1_25lookback_scan_determinismE0ES3_S9_NS6_6detail15normal_iteratorINS6_10device_ptrIjEEEENSD_INSE_IsEEEENS6_16discard_iteratorINS6_11use_defaultEEESI_PmS8_NS6_8equal_toIjEEEE10hipError_tPvRmT2_T3_mT4_T5_T6_T7_T8_P12ihipStream_tbENKUlT_T0_E_clISt17integral_constantIbLb1EES16_EEDaS11_S12_EUlS11_E_NS1_11comp_targetILNS1_3genE2ELNS1_11target_archE906ELNS1_3gpuE6ELNS1_3repE0EEENS1_30default_config_static_selectorELNS0_4arch9wavefront6targetE0EEEvT1_, .Lfunc_end1070-_ZN7rocprim17ROCPRIM_400000_NS6detail17trampoline_kernelINS0_14default_configENS1_29reduce_by_key_config_selectorIjsN6thrust23THRUST_200600_302600_NS4plusIsEEEEZZNS1_33reduce_by_key_impl_wrapped_configILNS1_25lookback_scan_determinismE0ES3_S9_NS6_6detail15normal_iteratorINS6_10device_ptrIjEEEENSD_INSE_IsEEEENS6_16discard_iteratorINS6_11use_defaultEEESI_PmS8_NS6_8equal_toIjEEEE10hipError_tPvRmT2_T3_mT4_T5_T6_T7_T8_P12ihipStream_tbENKUlT_T0_E_clISt17integral_constantIbLb1EES16_EEDaS11_S12_EUlS11_E_NS1_11comp_targetILNS1_3genE2ELNS1_11target_archE906ELNS1_3gpuE6ELNS1_3repE0EEENS1_30default_config_static_selectorELNS0_4arch9wavefront6targetE0EEEvT1_
                                        ; -- End function
	.section	.AMDGPU.csdata,"",@progbits
; Kernel info:
; codeLenInByte = 0
; NumSgprs: 0
; NumVgprs: 0
; ScratchSize: 0
; MemoryBound: 0
; FloatMode: 240
; IeeeMode: 1
; LDSByteSize: 0 bytes/workgroup (compile time only)
; SGPRBlocks: 0
; VGPRBlocks: 0
; NumSGPRsForWavesPerEU: 1
; NumVGPRsForWavesPerEU: 1
; Occupancy: 16
; WaveLimiterHint : 0
; COMPUTE_PGM_RSRC2:SCRATCH_EN: 0
; COMPUTE_PGM_RSRC2:USER_SGPR: 15
; COMPUTE_PGM_RSRC2:TRAP_HANDLER: 0
; COMPUTE_PGM_RSRC2:TGID_X_EN: 1
; COMPUTE_PGM_RSRC2:TGID_Y_EN: 0
; COMPUTE_PGM_RSRC2:TGID_Z_EN: 0
; COMPUTE_PGM_RSRC2:TIDIG_COMP_CNT: 0
	.section	.text._ZN7rocprim17ROCPRIM_400000_NS6detail17trampoline_kernelINS0_14default_configENS1_29reduce_by_key_config_selectorIjsN6thrust23THRUST_200600_302600_NS4plusIsEEEEZZNS1_33reduce_by_key_impl_wrapped_configILNS1_25lookback_scan_determinismE0ES3_S9_NS6_6detail15normal_iteratorINS6_10device_ptrIjEEEENSD_INSE_IsEEEENS6_16discard_iteratorINS6_11use_defaultEEESI_PmS8_NS6_8equal_toIjEEEE10hipError_tPvRmT2_T3_mT4_T5_T6_T7_T8_P12ihipStream_tbENKUlT_T0_E_clISt17integral_constantIbLb1EES16_EEDaS11_S12_EUlS11_E_NS1_11comp_targetILNS1_3genE10ELNS1_11target_archE1201ELNS1_3gpuE5ELNS1_3repE0EEENS1_30default_config_static_selectorELNS0_4arch9wavefront6targetE0EEEvT1_,"axG",@progbits,_ZN7rocprim17ROCPRIM_400000_NS6detail17trampoline_kernelINS0_14default_configENS1_29reduce_by_key_config_selectorIjsN6thrust23THRUST_200600_302600_NS4plusIsEEEEZZNS1_33reduce_by_key_impl_wrapped_configILNS1_25lookback_scan_determinismE0ES3_S9_NS6_6detail15normal_iteratorINS6_10device_ptrIjEEEENSD_INSE_IsEEEENS6_16discard_iteratorINS6_11use_defaultEEESI_PmS8_NS6_8equal_toIjEEEE10hipError_tPvRmT2_T3_mT4_T5_T6_T7_T8_P12ihipStream_tbENKUlT_T0_E_clISt17integral_constantIbLb1EES16_EEDaS11_S12_EUlS11_E_NS1_11comp_targetILNS1_3genE10ELNS1_11target_archE1201ELNS1_3gpuE5ELNS1_3repE0EEENS1_30default_config_static_selectorELNS0_4arch9wavefront6targetE0EEEvT1_,comdat
	.protected	_ZN7rocprim17ROCPRIM_400000_NS6detail17trampoline_kernelINS0_14default_configENS1_29reduce_by_key_config_selectorIjsN6thrust23THRUST_200600_302600_NS4plusIsEEEEZZNS1_33reduce_by_key_impl_wrapped_configILNS1_25lookback_scan_determinismE0ES3_S9_NS6_6detail15normal_iteratorINS6_10device_ptrIjEEEENSD_INSE_IsEEEENS6_16discard_iteratorINS6_11use_defaultEEESI_PmS8_NS6_8equal_toIjEEEE10hipError_tPvRmT2_T3_mT4_T5_T6_T7_T8_P12ihipStream_tbENKUlT_T0_E_clISt17integral_constantIbLb1EES16_EEDaS11_S12_EUlS11_E_NS1_11comp_targetILNS1_3genE10ELNS1_11target_archE1201ELNS1_3gpuE5ELNS1_3repE0EEENS1_30default_config_static_selectorELNS0_4arch9wavefront6targetE0EEEvT1_ ; -- Begin function _ZN7rocprim17ROCPRIM_400000_NS6detail17trampoline_kernelINS0_14default_configENS1_29reduce_by_key_config_selectorIjsN6thrust23THRUST_200600_302600_NS4plusIsEEEEZZNS1_33reduce_by_key_impl_wrapped_configILNS1_25lookback_scan_determinismE0ES3_S9_NS6_6detail15normal_iteratorINS6_10device_ptrIjEEEENSD_INSE_IsEEEENS6_16discard_iteratorINS6_11use_defaultEEESI_PmS8_NS6_8equal_toIjEEEE10hipError_tPvRmT2_T3_mT4_T5_T6_T7_T8_P12ihipStream_tbENKUlT_T0_E_clISt17integral_constantIbLb1EES16_EEDaS11_S12_EUlS11_E_NS1_11comp_targetILNS1_3genE10ELNS1_11target_archE1201ELNS1_3gpuE5ELNS1_3repE0EEENS1_30default_config_static_selectorELNS0_4arch9wavefront6targetE0EEEvT1_
	.globl	_ZN7rocprim17ROCPRIM_400000_NS6detail17trampoline_kernelINS0_14default_configENS1_29reduce_by_key_config_selectorIjsN6thrust23THRUST_200600_302600_NS4plusIsEEEEZZNS1_33reduce_by_key_impl_wrapped_configILNS1_25lookback_scan_determinismE0ES3_S9_NS6_6detail15normal_iteratorINS6_10device_ptrIjEEEENSD_INSE_IsEEEENS6_16discard_iteratorINS6_11use_defaultEEESI_PmS8_NS6_8equal_toIjEEEE10hipError_tPvRmT2_T3_mT4_T5_T6_T7_T8_P12ihipStream_tbENKUlT_T0_E_clISt17integral_constantIbLb1EES16_EEDaS11_S12_EUlS11_E_NS1_11comp_targetILNS1_3genE10ELNS1_11target_archE1201ELNS1_3gpuE5ELNS1_3repE0EEENS1_30default_config_static_selectorELNS0_4arch9wavefront6targetE0EEEvT1_
	.p2align	8
	.type	_ZN7rocprim17ROCPRIM_400000_NS6detail17trampoline_kernelINS0_14default_configENS1_29reduce_by_key_config_selectorIjsN6thrust23THRUST_200600_302600_NS4plusIsEEEEZZNS1_33reduce_by_key_impl_wrapped_configILNS1_25lookback_scan_determinismE0ES3_S9_NS6_6detail15normal_iteratorINS6_10device_ptrIjEEEENSD_INSE_IsEEEENS6_16discard_iteratorINS6_11use_defaultEEESI_PmS8_NS6_8equal_toIjEEEE10hipError_tPvRmT2_T3_mT4_T5_T6_T7_T8_P12ihipStream_tbENKUlT_T0_E_clISt17integral_constantIbLb1EES16_EEDaS11_S12_EUlS11_E_NS1_11comp_targetILNS1_3genE10ELNS1_11target_archE1201ELNS1_3gpuE5ELNS1_3repE0EEENS1_30default_config_static_selectorELNS0_4arch9wavefront6targetE0EEEvT1_,@function
_ZN7rocprim17ROCPRIM_400000_NS6detail17trampoline_kernelINS0_14default_configENS1_29reduce_by_key_config_selectorIjsN6thrust23THRUST_200600_302600_NS4plusIsEEEEZZNS1_33reduce_by_key_impl_wrapped_configILNS1_25lookback_scan_determinismE0ES3_S9_NS6_6detail15normal_iteratorINS6_10device_ptrIjEEEENSD_INSE_IsEEEENS6_16discard_iteratorINS6_11use_defaultEEESI_PmS8_NS6_8equal_toIjEEEE10hipError_tPvRmT2_T3_mT4_T5_T6_T7_T8_P12ihipStream_tbENKUlT_T0_E_clISt17integral_constantIbLb1EES16_EEDaS11_S12_EUlS11_E_NS1_11comp_targetILNS1_3genE10ELNS1_11target_archE1201ELNS1_3gpuE5ELNS1_3repE0EEENS1_30default_config_static_selectorELNS0_4arch9wavefront6targetE0EEEvT1_: ; @_ZN7rocprim17ROCPRIM_400000_NS6detail17trampoline_kernelINS0_14default_configENS1_29reduce_by_key_config_selectorIjsN6thrust23THRUST_200600_302600_NS4plusIsEEEEZZNS1_33reduce_by_key_impl_wrapped_configILNS1_25lookback_scan_determinismE0ES3_S9_NS6_6detail15normal_iteratorINS6_10device_ptrIjEEEENSD_INSE_IsEEEENS6_16discard_iteratorINS6_11use_defaultEEESI_PmS8_NS6_8equal_toIjEEEE10hipError_tPvRmT2_T3_mT4_T5_T6_T7_T8_P12ihipStream_tbENKUlT_T0_E_clISt17integral_constantIbLb1EES16_EEDaS11_S12_EUlS11_E_NS1_11comp_targetILNS1_3genE10ELNS1_11target_archE1201ELNS1_3gpuE5ELNS1_3repE0EEENS1_30default_config_static_selectorELNS0_4arch9wavefront6targetE0EEEvT1_
; %bb.0:
	.section	.rodata,"a",@progbits
	.p2align	6, 0x0
	.amdhsa_kernel _ZN7rocprim17ROCPRIM_400000_NS6detail17trampoline_kernelINS0_14default_configENS1_29reduce_by_key_config_selectorIjsN6thrust23THRUST_200600_302600_NS4plusIsEEEEZZNS1_33reduce_by_key_impl_wrapped_configILNS1_25lookback_scan_determinismE0ES3_S9_NS6_6detail15normal_iteratorINS6_10device_ptrIjEEEENSD_INSE_IsEEEENS6_16discard_iteratorINS6_11use_defaultEEESI_PmS8_NS6_8equal_toIjEEEE10hipError_tPvRmT2_T3_mT4_T5_T6_T7_T8_P12ihipStream_tbENKUlT_T0_E_clISt17integral_constantIbLb1EES16_EEDaS11_S12_EUlS11_E_NS1_11comp_targetILNS1_3genE10ELNS1_11target_archE1201ELNS1_3gpuE5ELNS1_3repE0EEENS1_30default_config_static_selectorELNS0_4arch9wavefront6targetE0EEEvT1_
		.amdhsa_group_segment_fixed_size 0
		.amdhsa_private_segment_fixed_size 0
		.amdhsa_kernarg_size 128
		.amdhsa_user_sgpr_count 15
		.amdhsa_user_sgpr_dispatch_ptr 0
		.amdhsa_user_sgpr_queue_ptr 0
		.amdhsa_user_sgpr_kernarg_segment_ptr 1
		.amdhsa_user_sgpr_dispatch_id 0
		.amdhsa_user_sgpr_private_segment_size 0
		.amdhsa_wavefront_size32 1
		.amdhsa_uses_dynamic_stack 0
		.amdhsa_enable_private_segment 0
		.amdhsa_system_sgpr_workgroup_id_x 1
		.amdhsa_system_sgpr_workgroup_id_y 0
		.amdhsa_system_sgpr_workgroup_id_z 0
		.amdhsa_system_sgpr_workgroup_info 0
		.amdhsa_system_vgpr_workitem_id 0
		.amdhsa_next_free_vgpr 1
		.amdhsa_next_free_sgpr 1
		.amdhsa_reserve_vcc 0
		.amdhsa_float_round_mode_32 0
		.amdhsa_float_round_mode_16_64 0
		.amdhsa_float_denorm_mode_32 3
		.amdhsa_float_denorm_mode_16_64 3
		.amdhsa_dx10_clamp 1
		.amdhsa_ieee_mode 1
		.amdhsa_fp16_overflow 0
		.amdhsa_workgroup_processor_mode 1
		.amdhsa_memory_ordered 1
		.amdhsa_forward_progress 0
		.amdhsa_shared_vgpr_count 0
		.amdhsa_exception_fp_ieee_invalid_op 0
		.amdhsa_exception_fp_denorm_src 0
		.amdhsa_exception_fp_ieee_div_zero 0
		.amdhsa_exception_fp_ieee_overflow 0
		.amdhsa_exception_fp_ieee_underflow 0
		.amdhsa_exception_fp_ieee_inexact 0
		.amdhsa_exception_int_div_zero 0
	.end_amdhsa_kernel
	.section	.text._ZN7rocprim17ROCPRIM_400000_NS6detail17trampoline_kernelINS0_14default_configENS1_29reduce_by_key_config_selectorIjsN6thrust23THRUST_200600_302600_NS4plusIsEEEEZZNS1_33reduce_by_key_impl_wrapped_configILNS1_25lookback_scan_determinismE0ES3_S9_NS6_6detail15normal_iteratorINS6_10device_ptrIjEEEENSD_INSE_IsEEEENS6_16discard_iteratorINS6_11use_defaultEEESI_PmS8_NS6_8equal_toIjEEEE10hipError_tPvRmT2_T3_mT4_T5_T6_T7_T8_P12ihipStream_tbENKUlT_T0_E_clISt17integral_constantIbLb1EES16_EEDaS11_S12_EUlS11_E_NS1_11comp_targetILNS1_3genE10ELNS1_11target_archE1201ELNS1_3gpuE5ELNS1_3repE0EEENS1_30default_config_static_selectorELNS0_4arch9wavefront6targetE0EEEvT1_,"axG",@progbits,_ZN7rocprim17ROCPRIM_400000_NS6detail17trampoline_kernelINS0_14default_configENS1_29reduce_by_key_config_selectorIjsN6thrust23THRUST_200600_302600_NS4plusIsEEEEZZNS1_33reduce_by_key_impl_wrapped_configILNS1_25lookback_scan_determinismE0ES3_S9_NS6_6detail15normal_iteratorINS6_10device_ptrIjEEEENSD_INSE_IsEEEENS6_16discard_iteratorINS6_11use_defaultEEESI_PmS8_NS6_8equal_toIjEEEE10hipError_tPvRmT2_T3_mT4_T5_T6_T7_T8_P12ihipStream_tbENKUlT_T0_E_clISt17integral_constantIbLb1EES16_EEDaS11_S12_EUlS11_E_NS1_11comp_targetILNS1_3genE10ELNS1_11target_archE1201ELNS1_3gpuE5ELNS1_3repE0EEENS1_30default_config_static_selectorELNS0_4arch9wavefront6targetE0EEEvT1_,comdat
.Lfunc_end1071:
	.size	_ZN7rocprim17ROCPRIM_400000_NS6detail17trampoline_kernelINS0_14default_configENS1_29reduce_by_key_config_selectorIjsN6thrust23THRUST_200600_302600_NS4plusIsEEEEZZNS1_33reduce_by_key_impl_wrapped_configILNS1_25lookback_scan_determinismE0ES3_S9_NS6_6detail15normal_iteratorINS6_10device_ptrIjEEEENSD_INSE_IsEEEENS6_16discard_iteratorINS6_11use_defaultEEESI_PmS8_NS6_8equal_toIjEEEE10hipError_tPvRmT2_T3_mT4_T5_T6_T7_T8_P12ihipStream_tbENKUlT_T0_E_clISt17integral_constantIbLb1EES16_EEDaS11_S12_EUlS11_E_NS1_11comp_targetILNS1_3genE10ELNS1_11target_archE1201ELNS1_3gpuE5ELNS1_3repE0EEENS1_30default_config_static_selectorELNS0_4arch9wavefront6targetE0EEEvT1_, .Lfunc_end1071-_ZN7rocprim17ROCPRIM_400000_NS6detail17trampoline_kernelINS0_14default_configENS1_29reduce_by_key_config_selectorIjsN6thrust23THRUST_200600_302600_NS4plusIsEEEEZZNS1_33reduce_by_key_impl_wrapped_configILNS1_25lookback_scan_determinismE0ES3_S9_NS6_6detail15normal_iteratorINS6_10device_ptrIjEEEENSD_INSE_IsEEEENS6_16discard_iteratorINS6_11use_defaultEEESI_PmS8_NS6_8equal_toIjEEEE10hipError_tPvRmT2_T3_mT4_T5_T6_T7_T8_P12ihipStream_tbENKUlT_T0_E_clISt17integral_constantIbLb1EES16_EEDaS11_S12_EUlS11_E_NS1_11comp_targetILNS1_3genE10ELNS1_11target_archE1201ELNS1_3gpuE5ELNS1_3repE0EEENS1_30default_config_static_selectorELNS0_4arch9wavefront6targetE0EEEvT1_
                                        ; -- End function
	.section	.AMDGPU.csdata,"",@progbits
; Kernel info:
; codeLenInByte = 0
; NumSgprs: 0
; NumVgprs: 0
; ScratchSize: 0
; MemoryBound: 0
; FloatMode: 240
; IeeeMode: 1
; LDSByteSize: 0 bytes/workgroup (compile time only)
; SGPRBlocks: 0
; VGPRBlocks: 0
; NumSGPRsForWavesPerEU: 1
; NumVGPRsForWavesPerEU: 1
; Occupancy: 16
; WaveLimiterHint : 0
; COMPUTE_PGM_RSRC2:SCRATCH_EN: 0
; COMPUTE_PGM_RSRC2:USER_SGPR: 15
; COMPUTE_PGM_RSRC2:TRAP_HANDLER: 0
; COMPUTE_PGM_RSRC2:TGID_X_EN: 1
; COMPUTE_PGM_RSRC2:TGID_Y_EN: 0
; COMPUTE_PGM_RSRC2:TGID_Z_EN: 0
; COMPUTE_PGM_RSRC2:TIDIG_COMP_CNT: 0
	.section	.text._ZN7rocprim17ROCPRIM_400000_NS6detail17trampoline_kernelINS0_14default_configENS1_29reduce_by_key_config_selectorIjsN6thrust23THRUST_200600_302600_NS4plusIsEEEEZZNS1_33reduce_by_key_impl_wrapped_configILNS1_25lookback_scan_determinismE0ES3_S9_NS6_6detail15normal_iteratorINS6_10device_ptrIjEEEENSD_INSE_IsEEEENS6_16discard_iteratorINS6_11use_defaultEEESI_PmS8_NS6_8equal_toIjEEEE10hipError_tPvRmT2_T3_mT4_T5_T6_T7_T8_P12ihipStream_tbENKUlT_T0_E_clISt17integral_constantIbLb1EES16_EEDaS11_S12_EUlS11_E_NS1_11comp_targetILNS1_3genE10ELNS1_11target_archE1200ELNS1_3gpuE4ELNS1_3repE0EEENS1_30default_config_static_selectorELNS0_4arch9wavefront6targetE0EEEvT1_,"axG",@progbits,_ZN7rocprim17ROCPRIM_400000_NS6detail17trampoline_kernelINS0_14default_configENS1_29reduce_by_key_config_selectorIjsN6thrust23THRUST_200600_302600_NS4plusIsEEEEZZNS1_33reduce_by_key_impl_wrapped_configILNS1_25lookback_scan_determinismE0ES3_S9_NS6_6detail15normal_iteratorINS6_10device_ptrIjEEEENSD_INSE_IsEEEENS6_16discard_iteratorINS6_11use_defaultEEESI_PmS8_NS6_8equal_toIjEEEE10hipError_tPvRmT2_T3_mT4_T5_T6_T7_T8_P12ihipStream_tbENKUlT_T0_E_clISt17integral_constantIbLb1EES16_EEDaS11_S12_EUlS11_E_NS1_11comp_targetILNS1_3genE10ELNS1_11target_archE1200ELNS1_3gpuE4ELNS1_3repE0EEENS1_30default_config_static_selectorELNS0_4arch9wavefront6targetE0EEEvT1_,comdat
	.protected	_ZN7rocprim17ROCPRIM_400000_NS6detail17trampoline_kernelINS0_14default_configENS1_29reduce_by_key_config_selectorIjsN6thrust23THRUST_200600_302600_NS4plusIsEEEEZZNS1_33reduce_by_key_impl_wrapped_configILNS1_25lookback_scan_determinismE0ES3_S9_NS6_6detail15normal_iteratorINS6_10device_ptrIjEEEENSD_INSE_IsEEEENS6_16discard_iteratorINS6_11use_defaultEEESI_PmS8_NS6_8equal_toIjEEEE10hipError_tPvRmT2_T3_mT4_T5_T6_T7_T8_P12ihipStream_tbENKUlT_T0_E_clISt17integral_constantIbLb1EES16_EEDaS11_S12_EUlS11_E_NS1_11comp_targetILNS1_3genE10ELNS1_11target_archE1200ELNS1_3gpuE4ELNS1_3repE0EEENS1_30default_config_static_selectorELNS0_4arch9wavefront6targetE0EEEvT1_ ; -- Begin function _ZN7rocprim17ROCPRIM_400000_NS6detail17trampoline_kernelINS0_14default_configENS1_29reduce_by_key_config_selectorIjsN6thrust23THRUST_200600_302600_NS4plusIsEEEEZZNS1_33reduce_by_key_impl_wrapped_configILNS1_25lookback_scan_determinismE0ES3_S9_NS6_6detail15normal_iteratorINS6_10device_ptrIjEEEENSD_INSE_IsEEEENS6_16discard_iteratorINS6_11use_defaultEEESI_PmS8_NS6_8equal_toIjEEEE10hipError_tPvRmT2_T3_mT4_T5_T6_T7_T8_P12ihipStream_tbENKUlT_T0_E_clISt17integral_constantIbLb1EES16_EEDaS11_S12_EUlS11_E_NS1_11comp_targetILNS1_3genE10ELNS1_11target_archE1200ELNS1_3gpuE4ELNS1_3repE0EEENS1_30default_config_static_selectorELNS0_4arch9wavefront6targetE0EEEvT1_
	.globl	_ZN7rocprim17ROCPRIM_400000_NS6detail17trampoline_kernelINS0_14default_configENS1_29reduce_by_key_config_selectorIjsN6thrust23THRUST_200600_302600_NS4plusIsEEEEZZNS1_33reduce_by_key_impl_wrapped_configILNS1_25lookback_scan_determinismE0ES3_S9_NS6_6detail15normal_iteratorINS6_10device_ptrIjEEEENSD_INSE_IsEEEENS6_16discard_iteratorINS6_11use_defaultEEESI_PmS8_NS6_8equal_toIjEEEE10hipError_tPvRmT2_T3_mT4_T5_T6_T7_T8_P12ihipStream_tbENKUlT_T0_E_clISt17integral_constantIbLb1EES16_EEDaS11_S12_EUlS11_E_NS1_11comp_targetILNS1_3genE10ELNS1_11target_archE1200ELNS1_3gpuE4ELNS1_3repE0EEENS1_30default_config_static_selectorELNS0_4arch9wavefront6targetE0EEEvT1_
	.p2align	8
	.type	_ZN7rocprim17ROCPRIM_400000_NS6detail17trampoline_kernelINS0_14default_configENS1_29reduce_by_key_config_selectorIjsN6thrust23THRUST_200600_302600_NS4plusIsEEEEZZNS1_33reduce_by_key_impl_wrapped_configILNS1_25lookback_scan_determinismE0ES3_S9_NS6_6detail15normal_iteratorINS6_10device_ptrIjEEEENSD_INSE_IsEEEENS6_16discard_iteratorINS6_11use_defaultEEESI_PmS8_NS6_8equal_toIjEEEE10hipError_tPvRmT2_T3_mT4_T5_T6_T7_T8_P12ihipStream_tbENKUlT_T0_E_clISt17integral_constantIbLb1EES16_EEDaS11_S12_EUlS11_E_NS1_11comp_targetILNS1_3genE10ELNS1_11target_archE1200ELNS1_3gpuE4ELNS1_3repE0EEENS1_30default_config_static_selectorELNS0_4arch9wavefront6targetE0EEEvT1_,@function
_ZN7rocprim17ROCPRIM_400000_NS6detail17trampoline_kernelINS0_14default_configENS1_29reduce_by_key_config_selectorIjsN6thrust23THRUST_200600_302600_NS4plusIsEEEEZZNS1_33reduce_by_key_impl_wrapped_configILNS1_25lookback_scan_determinismE0ES3_S9_NS6_6detail15normal_iteratorINS6_10device_ptrIjEEEENSD_INSE_IsEEEENS6_16discard_iteratorINS6_11use_defaultEEESI_PmS8_NS6_8equal_toIjEEEE10hipError_tPvRmT2_T3_mT4_T5_T6_T7_T8_P12ihipStream_tbENKUlT_T0_E_clISt17integral_constantIbLb1EES16_EEDaS11_S12_EUlS11_E_NS1_11comp_targetILNS1_3genE10ELNS1_11target_archE1200ELNS1_3gpuE4ELNS1_3repE0EEENS1_30default_config_static_selectorELNS0_4arch9wavefront6targetE0EEEvT1_: ; @_ZN7rocprim17ROCPRIM_400000_NS6detail17trampoline_kernelINS0_14default_configENS1_29reduce_by_key_config_selectorIjsN6thrust23THRUST_200600_302600_NS4plusIsEEEEZZNS1_33reduce_by_key_impl_wrapped_configILNS1_25lookback_scan_determinismE0ES3_S9_NS6_6detail15normal_iteratorINS6_10device_ptrIjEEEENSD_INSE_IsEEEENS6_16discard_iteratorINS6_11use_defaultEEESI_PmS8_NS6_8equal_toIjEEEE10hipError_tPvRmT2_T3_mT4_T5_T6_T7_T8_P12ihipStream_tbENKUlT_T0_E_clISt17integral_constantIbLb1EES16_EEDaS11_S12_EUlS11_E_NS1_11comp_targetILNS1_3genE10ELNS1_11target_archE1200ELNS1_3gpuE4ELNS1_3repE0EEENS1_30default_config_static_selectorELNS0_4arch9wavefront6targetE0EEEvT1_
; %bb.0:
	.section	.rodata,"a",@progbits
	.p2align	6, 0x0
	.amdhsa_kernel _ZN7rocprim17ROCPRIM_400000_NS6detail17trampoline_kernelINS0_14default_configENS1_29reduce_by_key_config_selectorIjsN6thrust23THRUST_200600_302600_NS4plusIsEEEEZZNS1_33reduce_by_key_impl_wrapped_configILNS1_25lookback_scan_determinismE0ES3_S9_NS6_6detail15normal_iteratorINS6_10device_ptrIjEEEENSD_INSE_IsEEEENS6_16discard_iteratorINS6_11use_defaultEEESI_PmS8_NS6_8equal_toIjEEEE10hipError_tPvRmT2_T3_mT4_T5_T6_T7_T8_P12ihipStream_tbENKUlT_T0_E_clISt17integral_constantIbLb1EES16_EEDaS11_S12_EUlS11_E_NS1_11comp_targetILNS1_3genE10ELNS1_11target_archE1200ELNS1_3gpuE4ELNS1_3repE0EEENS1_30default_config_static_selectorELNS0_4arch9wavefront6targetE0EEEvT1_
		.amdhsa_group_segment_fixed_size 0
		.amdhsa_private_segment_fixed_size 0
		.amdhsa_kernarg_size 128
		.amdhsa_user_sgpr_count 15
		.amdhsa_user_sgpr_dispatch_ptr 0
		.amdhsa_user_sgpr_queue_ptr 0
		.amdhsa_user_sgpr_kernarg_segment_ptr 1
		.amdhsa_user_sgpr_dispatch_id 0
		.amdhsa_user_sgpr_private_segment_size 0
		.amdhsa_wavefront_size32 1
		.amdhsa_uses_dynamic_stack 0
		.amdhsa_enable_private_segment 0
		.amdhsa_system_sgpr_workgroup_id_x 1
		.amdhsa_system_sgpr_workgroup_id_y 0
		.amdhsa_system_sgpr_workgroup_id_z 0
		.amdhsa_system_sgpr_workgroup_info 0
		.amdhsa_system_vgpr_workitem_id 0
		.amdhsa_next_free_vgpr 1
		.amdhsa_next_free_sgpr 1
		.amdhsa_reserve_vcc 0
		.amdhsa_float_round_mode_32 0
		.amdhsa_float_round_mode_16_64 0
		.amdhsa_float_denorm_mode_32 3
		.amdhsa_float_denorm_mode_16_64 3
		.amdhsa_dx10_clamp 1
		.amdhsa_ieee_mode 1
		.amdhsa_fp16_overflow 0
		.amdhsa_workgroup_processor_mode 1
		.amdhsa_memory_ordered 1
		.amdhsa_forward_progress 0
		.amdhsa_shared_vgpr_count 0
		.amdhsa_exception_fp_ieee_invalid_op 0
		.amdhsa_exception_fp_denorm_src 0
		.amdhsa_exception_fp_ieee_div_zero 0
		.amdhsa_exception_fp_ieee_overflow 0
		.amdhsa_exception_fp_ieee_underflow 0
		.amdhsa_exception_fp_ieee_inexact 0
		.amdhsa_exception_int_div_zero 0
	.end_amdhsa_kernel
	.section	.text._ZN7rocprim17ROCPRIM_400000_NS6detail17trampoline_kernelINS0_14default_configENS1_29reduce_by_key_config_selectorIjsN6thrust23THRUST_200600_302600_NS4plusIsEEEEZZNS1_33reduce_by_key_impl_wrapped_configILNS1_25lookback_scan_determinismE0ES3_S9_NS6_6detail15normal_iteratorINS6_10device_ptrIjEEEENSD_INSE_IsEEEENS6_16discard_iteratorINS6_11use_defaultEEESI_PmS8_NS6_8equal_toIjEEEE10hipError_tPvRmT2_T3_mT4_T5_T6_T7_T8_P12ihipStream_tbENKUlT_T0_E_clISt17integral_constantIbLb1EES16_EEDaS11_S12_EUlS11_E_NS1_11comp_targetILNS1_3genE10ELNS1_11target_archE1200ELNS1_3gpuE4ELNS1_3repE0EEENS1_30default_config_static_selectorELNS0_4arch9wavefront6targetE0EEEvT1_,"axG",@progbits,_ZN7rocprim17ROCPRIM_400000_NS6detail17trampoline_kernelINS0_14default_configENS1_29reduce_by_key_config_selectorIjsN6thrust23THRUST_200600_302600_NS4plusIsEEEEZZNS1_33reduce_by_key_impl_wrapped_configILNS1_25lookback_scan_determinismE0ES3_S9_NS6_6detail15normal_iteratorINS6_10device_ptrIjEEEENSD_INSE_IsEEEENS6_16discard_iteratorINS6_11use_defaultEEESI_PmS8_NS6_8equal_toIjEEEE10hipError_tPvRmT2_T3_mT4_T5_T6_T7_T8_P12ihipStream_tbENKUlT_T0_E_clISt17integral_constantIbLb1EES16_EEDaS11_S12_EUlS11_E_NS1_11comp_targetILNS1_3genE10ELNS1_11target_archE1200ELNS1_3gpuE4ELNS1_3repE0EEENS1_30default_config_static_selectorELNS0_4arch9wavefront6targetE0EEEvT1_,comdat
.Lfunc_end1072:
	.size	_ZN7rocprim17ROCPRIM_400000_NS6detail17trampoline_kernelINS0_14default_configENS1_29reduce_by_key_config_selectorIjsN6thrust23THRUST_200600_302600_NS4plusIsEEEEZZNS1_33reduce_by_key_impl_wrapped_configILNS1_25lookback_scan_determinismE0ES3_S9_NS6_6detail15normal_iteratorINS6_10device_ptrIjEEEENSD_INSE_IsEEEENS6_16discard_iteratorINS6_11use_defaultEEESI_PmS8_NS6_8equal_toIjEEEE10hipError_tPvRmT2_T3_mT4_T5_T6_T7_T8_P12ihipStream_tbENKUlT_T0_E_clISt17integral_constantIbLb1EES16_EEDaS11_S12_EUlS11_E_NS1_11comp_targetILNS1_3genE10ELNS1_11target_archE1200ELNS1_3gpuE4ELNS1_3repE0EEENS1_30default_config_static_selectorELNS0_4arch9wavefront6targetE0EEEvT1_, .Lfunc_end1072-_ZN7rocprim17ROCPRIM_400000_NS6detail17trampoline_kernelINS0_14default_configENS1_29reduce_by_key_config_selectorIjsN6thrust23THRUST_200600_302600_NS4plusIsEEEEZZNS1_33reduce_by_key_impl_wrapped_configILNS1_25lookback_scan_determinismE0ES3_S9_NS6_6detail15normal_iteratorINS6_10device_ptrIjEEEENSD_INSE_IsEEEENS6_16discard_iteratorINS6_11use_defaultEEESI_PmS8_NS6_8equal_toIjEEEE10hipError_tPvRmT2_T3_mT4_T5_T6_T7_T8_P12ihipStream_tbENKUlT_T0_E_clISt17integral_constantIbLb1EES16_EEDaS11_S12_EUlS11_E_NS1_11comp_targetILNS1_3genE10ELNS1_11target_archE1200ELNS1_3gpuE4ELNS1_3repE0EEENS1_30default_config_static_selectorELNS0_4arch9wavefront6targetE0EEEvT1_
                                        ; -- End function
	.section	.AMDGPU.csdata,"",@progbits
; Kernel info:
; codeLenInByte = 0
; NumSgprs: 0
; NumVgprs: 0
; ScratchSize: 0
; MemoryBound: 0
; FloatMode: 240
; IeeeMode: 1
; LDSByteSize: 0 bytes/workgroup (compile time only)
; SGPRBlocks: 0
; VGPRBlocks: 0
; NumSGPRsForWavesPerEU: 1
; NumVGPRsForWavesPerEU: 1
; Occupancy: 16
; WaveLimiterHint : 0
; COMPUTE_PGM_RSRC2:SCRATCH_EN: 0
; COMPUTE_PGM_RSRC2:USER_SGPR: 15
; COMPUTE_PGM_RSRC2:TRAP_HANDLER: 0
; COMPUTE_PGM_RSRC2:TGID_X_EN: 1
; COMPUTE_PGM_RSRC2:TGID_Y_EN: 0
; COMPUTE_PGM_RSRC2:TGID_Z_EN: 0
; COMPUTE_PGM_RSRC2:TIDIG_COMP_CNT: 0
	.section	.text._ZN7rocprim17ROCPRIM_400000_NS6detail17trampoline_kernelINS0_14default_configENS1_29reduce_by_key_config_selectorIjsN6thrust23THRUST_200600_302600_NS4plusIsEEEEZZNS1_33reduce_by_key_impl_wrapped_configILNS1_25lookback_scan_determinismE0ES3_S9_NS6_6detail15normal_iteratorINS6_10device_ptrIjEEEENSD_INSE_IsEEEENS6_16discard_iteratorINS6_11use_defaultEEESI_PmS8_NS6_8equal_toIjEEEE10hipError_tPvRmT2_T3_mT4_T5_T6_T7_T8_P12ihipStream_tbENKUlT_T0_E_clISt17integral_constantIbLb1EES16_EEDaS11_S12_EUlS11_E_NS1_11comp_targetILNS1_3genE9ELNS1_11target_archE1100ELNS1_3gpuE3ELNS1_3repE0EEENS1_30default_config_static_selectorELNS0_4arch9wavefront6targetE0EEEvT1_,"axG",@progbits,_ZN7rocprim17ROCPRIM_400000_NS6detail17trampoline_kernelINS0_14default_configENS1_29reduce_by_key_config_selectorIjsN6thrust23THRUST_200600_302600_NS4plusIsEEEEZZNS1_33reduce_by_key_impl_wrapped_configILNS1_25lookback_scan_determinismE0ES3_S9_NS6_6detail15normal_iteratorINS6_10device_ptrIjEEEENSD_INSE_IsEEEENS6_16discard_iteratorINS6_11use_defaultEEESI_PmS8_NS6_8equal_toIjEEEE10hipError_tPvRmT2_T3_mT4_T5_T6_T7_T8_P12ihipStream_tbENKUlT_T0_E_clISt17integral_constantIbLb1EES16_EEDaS11_S12_EUlS11_E_NS1_11comp_targetILNS1_3genE9ELNS1_11target_archE1100ELNS1_3gpuE3ELNS1_3repE0EEENS1_30default_config_static_selectorELNS0_4arch9wavefront6targetE0EEEvT1_,comdat
	.protected	_ZN7rocprim17ROCPRIM_400000_NS6detail17trampoline_kernelINS0_14default_configENS1_29reduce_by_key_config_selectorIjsN6thrust23THRUST_200600_302600_NS4plusIsEEEEZZNS1_33reduce_by_key_impl_wrapped_configILNS1_25lookback_scan_determinismE0ES3_S9_NS6_6detail15normal_iteratorINS6_10device_ptrIjEEEENSD_INSE_IsEEEENS6_16discard_iteratorINS6_11use_defaultEEESI_PmS8_NS6_8equal_toIjEEEE10hipError_tPvRmT2_T3_mT4_T5_T6_T7_T8_P12ihipStream_tbENKUlT_T0_E_clISt17integral_constantIbLb1EES16_EEDaS11_S12_EUlS11_E_NS1_11comp_targetILNS1_3genE9ELNS1_11target_archE1100ELNS1_3gpuE3ELNS1_3repE0EEENS1_30default_config_static_selectorELNS0_4arch9wavefront6targetE0EEEvT1_ ; -- Begin function _ZN7rocprim17ROCPRIM_400000_NS6detail17trampoline_kernelINS0_14default_configENS1_29reduce_by_key_config_selectorIjsN6thrust23THRUST_200600_302600_NS4plusIsEEEEZZNS1_33reduce_by_key_impl_wrapped_configILNS1_25lookback_scan_determinismE0ES3_S9_NS6_6detail15normal_iteratorINS6_10device_ptrIjEEEENSD_INSE_IsEEEENS6_16discard_iteratorINS6_11use_defaultEEESI_PmS8_NS6_8equal_toIjEEEE10hipError_tPvRmT2_T3_mT4_T5_T6_T7_T8_P12ihipStream_tbENKUlT_T0_E_clISt17integral_constantIbLb1EES16_EEDaS11_S12_EUlS11_E_NS1_11comp_targetILNS1_3genE9ELNS1_11target_archE1100ELNS1_3gpuE3ELNS1_3repE0EEENS1_30default_config_static_selectorELNS0_4arch9wavefront6targetE0EEEvT1_
	.globl	_ZN7rocprim17ROCPRIM_400000_NS6detail17trampoline_kernelINS0_14default_configENS1_29reduce_by_key_config_selectorIjsN6thrust23THRUST_200600_302600_NS4plusIsEEEEZZNS1_33reduce_by_key_impl_wrapped_configILNS1_25lookback_scan_determinismE0ES3_S9_NS6_6detail15normal_iteratorINS6_10device_ptrIjEEEENSD_INSE_IsEEEENS6_16discard_iteratorINS6_11use_defaultEEESI_PmS8_NS6_8equal_toIjEEEE10hipError_tPvRmT2_T3_mT4_T5_T6_T7_T8_P12ihipStream_tbENKUlT_T0_E_clISt17integral_constantIbLb1EES16_EEDaS11_S12_EUlS11_E_NS1_11comp_targetILNS1_3genE9ELNS1_11target_archE1100ELNS1_3gpuE3ELNS1_3repE0EEENS1_30default_config_static_selectorELNS0_4arch9wavefront6targetE0EEEvT1_
	.p2align	8
	.type	_ZN7rocprim17ROCPRIM_400000_NS6detail17trampoline_kernelINS0_14default_configENS1_29reduce_by_key_config_selectorIjsN6thrust23THRUST_200600_302600_NS4plusIsEEEEZZNS1_33reduce_by_key_impl_wrapped_configILNS1_25lookback_scan_determinismE0ES3_S9_NS6_6detail15normal_iteratorINS6_10device_ptrIjEEEENSD_INSE_IsEEEENS6_16discard_iteratorINS6_11use_defaultEEESI_PmS8_NS6_8equal_toIjEEEE10hipError_tPvRmT2_T3_mT4_T5_T6_T7_T8_P12ihipStream_tbENKUlT_T0_E_clISt17integral_constantIbLb1EES16_EEDaS11_S12_EUlS11_E_NS1_11comp_targetILNS1_3genE9ELNS1_11target_archE1100ELNS1_3gpuE3ELNS1_3repE0EEENS1_30default_config_static_selectorELNS0_4arch9wavefront6targetE0EEEvT1_,@function
_ZN7rocprim17ROCPRIM_400000_NS6detail17trampoline_kernelINS0_14default_configENS1_29reduce_by_key_config_selectorIjsN6thrust23THRUST_200600_302600_NS4plusIsEEEEZZNS1_33reduce_by_key_impl_wrapped_configILNS1_25lookback_scan_determinismE0ES3_S9_NS6_6detail15normal_iteratorINS6_10device_ptrIjEEEENSD_INSE_IsEEEENS6_16discard_iteratorINS6_11use_defaultEEESI_PmS8_NS6_8equal_toIjEEEE10hipError_tPvRmT2_T3_mT4_T5_T6_T7_T8_P12ihipStream_tbENKUlT_T0_E_clISt17integral_constantIbLb1EES16_EEDaS11_S12_EUlS11_E_NS1_11comp_targetILNS1_3genE9ELNS1_11target_archE1100ELNS1_3gpuE3ELNS1_3repE0EEENS1_30default_config_static_selectorELNS0_4arch9wavefront6targetE0EEEvT1_: ; @_ZN7rocprim17ROCPRIM_400000_NS6detail17trampoline_kernelINS0_14default_configENS1_29reduce_by_key_config_selectorIjsN6thrust23THRUST_200600_302600_NS4plusIsEEEEZZNS1_33reduce_by_key_impl_wrapped_configILNS1_25lookback_scan_determinismE0ES3_S9_NS6_6detail15normal_iteratorINS6_10device_ptrIjEEEENSD_INSE_IsEEEENS6_16discard_iteratorINS6_11use_defaultEEESI_PmS8_NS6_8equal_toIjEEEE10hipError_tPvRmT2_T3_mT4_T5_T6_T7_T8_P12ihipStream_tbENKUlT_T0_E_clISt17integral_constantIbLb1EES16_EEDaS11_S12_EUlS11_E_NS1_11comp_targetILNS1_3genE9ELNS1_11target_archE1100ELNS1_3gpuE3ELNS1_3repE0EEENS1_30default_config_static_selectorELNS0_4arch9wavefront6targetE0EEEvT1_
; %bb.0:
	s_clause 0x4
	s_load_b128 s[4:7], s[0:1], 0x0
	s_load_b64 s[8:9], s[0:1], 0x10
	s_load_b64 s[34:35], s[0:1], 0x70
	s_load_b128 s[40:43], s[0:1], 0x60
	s_load_b256 s[24:31], s[0:1], 0x40
	v_cmp_ne_u32_e64 s3, 0, v0
	v_cmp_eq_u32_e64 s2, 0, v0
	s_delay_alu instid0(VALU_DEP_1)
	s_and_saveexec_b32 s10, s2
	s_cbranch_execz .LBB1073_4
; %bb.1:
	s_mov_b32 s12, exec_lo
	s_mov_b32 s11, exec_lo
	v_mbcnt_lo_u32_b32 v1, s12, 0
                                        ; implicit-def: $vgpr2
	s_delay_alu instid0(VALU_DEP_1)
	v_cmpx_eq_u32_e32 0, v1
	s_cbranch_execz .LBB1073_3
; %bb.2:
	s_load_b64 s[14:15], s[0:1], 0x78
	s_bcnt1_i32_b32 s12, s12
	s_delay_alu instid0(SALU_CYCLE_1)
	v_dual_mov_b32 v2, 0 :: v_dual_mov_b32 v3, s12
	s_waitcnt lgkmcnt(0)
	global_atomic_add_u32 v2, v2, v3, s[14:15] glc
.LBB1073_3:
	s_or_b32 exec_lo, exec_lo, s11
	s_waitcnt vmcnt(0)
	v_readfirstlane_b32 s11, v2
	s_delay_alu instid0(VALU_DEP_1)
	v_dual_mov_b32 v2, 0 :: v_dual_add_nc_u32 v1, s11, v1
	ds_store_b32 v2, v1
.LBB1073_4:
	s_or_b32 exec_lo, exec_lo, s10
	v_mov_b32_e32 v2, 0
	s_waitcnt lgkmcnt(0)
	s_barrier
	buffer_gl0_inv
	s_load_b128 s[36:39], s[0:1], 0x28
	ds_load_b32 v1, v2
	s_lshl_b64 s[0:1], s[6:7], 2
	s_mul_i32 s10, s28, s27
	s_add_u32 s14, s4, s0
	s_addc_u32 s1, s5, s1
	s_lshl_b64 s[4:5], s[6:7], 1
	s_mul_hi_u32 s11, s28, s26
	s_add_u32 s6, s8, s4
	s_mul_i32 s12, s29, s26
	s_addc_u32 s7, s9, s5
	s_add_i32 s4, s11, s10
	s_mul_i32 s13, s28, s26
	s_add_i32 s4, s4, s12
	s_mov_b32 s0, 0
	s_waitcnt lgkmcnt(0)
	s_barrier
	buffer_gl0_inv
	v_readfirstlane_b32 s44, v1
	v_mul_lo_u32 v1, 0xf00, v1
	s_delay_alu instid0(VALU_DEP_2) | instskip(SKIP_3) | instid1(VALU_DEP_1)
	s_add_u32 s18, s13, s44
	s_addc_u32 s19, s4, 0
	s_add_u32 s4, s30, -1
	s_addc_u32 s5, s31, -1
	v_lshlrev_b64 v[3:4], 2, v[1:2]
	v_lshlrev_b64 v[5:6], 1, v[1:2]
	s_cmp_eq_u64 s[18:19], s[4:5]
	s_mul_i32 s31, s4, 0xfffff100
	s_cselect_b32 s30, -1, 0
	s_cmp_lg_u64 s[18:19], s[4:5]
	v_add_co_u32 v2, vcc_lo, s14, v3
	v_add_co_ci_u32_e32 v1, vcc_lo, s1, v4, vcc_lo
	v_add_co_u32 v3, vcc_lo, s6, v5
	v_add_co_ci_u32_e32 v4, vcc_lo, s7, v6, vcc_lo
	s_cselect_b32 s17, -1, 0
	s_and_b32 vcc_lo, exec_lo, s30
	s_cbranch_vccnz .LBB1073_6
; %bb.5:
	v_lshlrev_b32_e32 v9, 2, v0
	v_mad_u32_u24 v33, v0, 15, 1
	v_mad_u32_u24 v28, v0, 15, 2
	;; [unrolled: 1-line block ×4, first 2 shown]
	v_add_co_u32 v5, vcc_lo, v2, v9
	v_add_co_ci_u32_e32 v6, vcc_lo, 0, v1, vcc_lo
	v_mad_u32_u24 v27, v0, 56, v9
	s_delay_alu instid0(VALU_DEP_3) | instskip(NEXT) | instid1(VALU_DEP_3)
	v_add_co_u32 v7, vcc_lo, 0x1000, v5
	v_add_co_ci_u32_e32 v8, vcc_lo, 0, v6, vcc_lo
	s_clause 0x7
	flat_load_b32 v10, v[5:6]
	flat_load_b32 v11, v[5:6] offset:1024
	flat_load_b32 v12, v[5:6] offset:2048
	;; [unrolled: 1-line block ×3, first 2 shown]
	flat_load_b32 v14, v[7:8]
	flat_load_b32 v15, v[7:8] offset:1024
	flat_load_b32 v16, v[7:8] offset:2048
	flat_load_b32 v17, v[7:8] offset:3072
	v_add_co_u32 v7, vcc_lo, 0x2000, v5
	v_add_co_ci_u32_e32 v8, vcc_lo, 0, v6, vcc_lo
	v_add_co_u32 v5, vcc_lo, 0x3000, v5
	v_add_co_ci_u32_e32 v6, vcc_lo, 0, v6, vcc_lo
	s_clause 0x6
	flat_load_b32 v18, v[7:8]
	flat_load_b32 v19, v[7:8] offset:1024
	flat_load_b32 v24, v[7:8] offset:2048
	flat_load_b32 v7, v[7:8] offset:3072
	flat_load_b32 v8, v[5:6]
	flat_load_b32 v25, v[5:6] offset:1024
	flat_load_b32 v5, v[5:6] offset:2048
	v_lshlrev_b32_e32 v6, 1, v0
	v_mad_u32_u24 v31, v0, 15, 5
	v_mad_u32_u24 v30, v0, 15, 7
	;; [unrolled: 1-line block ×4, first 2 shown]
	v_add_co_u32 v20, vcc_lo, v3, v6
	v_add_co_ci_u32_e32 v21, vcc_lo, 0, v4, vcc_lo
	s_waitcnt vmcnt(13) lgkmcnt(13)
	ds_store_2addr_stride64_b32 v9, v10, v11 offset1:4
	s_waitcnt vmcnt(11) lgkmcnt(12)
	ds_store_2addr_stride64_b32 v9, v12, v13 offset0:8 offset1:12
	s_waitcnt vmcnt(9) lgkmcnt(11)
	ds_store_2addr_stride64_b32 v9, v14, v15 offset0:16 offset1:20
	;; [unrolled: 2-line block ×6, first 2 shown]
	s_waitcnt vmcnt(0) lgkmcnt(7)
	ds_store_b32 v9, v5 offset:14336
	v_add_co_u32 v22, vcc_lo, 0x1000, v20
	v_add_co_ci_u32_e32 v23, vcc_lo, 0, v21, vcc_lo
	s_waitcnt lgkmcnt(0)
	s_barrier
	buffer_gl0_inv
	ds_load_2addr_b32 v[18:19], v27 offset1:1
	ds_load_2addr_b32 v[16:17], v27 offset0:2 offset1:3
	ds_load_2addr_b32 v[14:15], v27 offset0:4 offset1:5
	;; [unrolled: 1-line block ×6, first 2 shown]
	ds_load_b32 v52, v27 offset:56
	s_waitcnt lgkmcnt(0)
	s_barrier
	buffer_gl0_inv
	s_clause 0xe
	flat_load_u16 v35, v[20:21]
	flat_load_u16 v36, v[20:21] offset:512
	flat_load_u16 v37, v[20:21] offset:1024
	;; [unrolled: 1-line block ×7, first 2 shown]
	flat_load_u16 v43, v[22:23]
	flat_load_u16 v44, v[22:23] offset:512
	flat_load_u16 v45, v[22:23] offset:1024
	;; [unrolled: 1-line block ×6, first 2 shown]
	v_mul_u32_u24_e32 v5, 15, v0
	v_mad_u32_u24 v25, v0, 15, 6
	v_mad_u32_u24 v21, v0, 15, 8
	;; [unrolled: 1-line block ×4, first 2 shown]
	v_mad_i32_i24 v27, 0xffffffc6, v0, v27
	v_mad_u32_u24 v24, v0, 15, 13
	v_mad_u32_u24 v22, v0, 15, 14
	s_waitcnt vmcnt(14) lgkmcnt(14)
	ds_store_b16 v27, v35
	s_waitcnt vmcnt(13) lgkmcnt(14)
	ds_store_b16 v27, v36 offset:512
	s_waitcnt vmcnt(12) lgkmcnt(14)
	ds_store_b16 v27, v37 offset:1024
	;; [unrolled: 2-line block ×14, first 2 shown]
	s_waitcnt lgkmcnt(0)
	s_barrier
	s_and_not1_b32 vcc_lo, exec_lo, s0
	s_add_i32 s31, s31, s40
	s_cbranch_vccz .LBB1073_7
	s_branch .LBB1073_68
.LBB1073_6:
                                        ; implicit-def: $vgpr22
                                        ; implicit-def: $vgpr24
                                        ; implicit-def: $vgpr29
                                        ; implicit-def: $vgpr34
                                        ; implicit-def: $vgpr20
                                        ; implicit-def: $vgpr23
                                        ; implicit-def: $vgpr21
                                        ; implicit-def: $vgpr30
                                        ; implicit-def: $vgpr25
                                        ; implicit-def: $vgpr31
                                        ; implicit-def: $vgpr26
                                        ; implicit-def: $vgpr32
                                        ; implicit-def: $vgpr28
                                        ; implicit-def: $vgpr33
                                        ; implicit-def: $vgpr5
                                        ; implicit-def: $vgpr18
                                        ; implicit-def: $vgpr16
                                        ; implicit-def: $vgpr14
                                        ; implicit-def: $vgpr12
                                        ; implicit-def: $vgpr10
                                        ; implicit-def: $vgpr8
                                        ; implicit-def: $vgpr6
                                        ; implicit-def: $vgpr52
	s_add_i32 s31, s31, s40
.LBB1073_7:
	s_delay_alu instid0(SALU_CYCLE_1)
	v_cmp_gt_u32_e32 vcc_lo, s31, v0
                                        ; implicit-def: $vgpr6
	s_and_saveexec_b32 s1, vcc_lo
	s_cbranch_execz .LBB1073_9
; %bb.8:
	v_lshlrev_b32_e32 v5, 2, v0
	s_delay_alu instid0(VALU_DEP_1) | instskip(NEXT) | instid1(VALU_DEP_1)
	v_add_co_u32 v5, s0, v2, v5
	v_add_co_ci_u32_e64 v6, s0, 0, v1, s0
	flat_load_b32 v6, v[5:6]
.LBB1073_9:
	s_or_b32 exec_lo, exec_lo, s1
	v_or_b32_e32 v5, 0x100, v0
                                        ; implicit-def: $vgpr7
	s_delay_alu instid0(VALU_DEP_1) | instskip(NEXT) | instid1(VALU_DEP_1)
	v_cmp_gt_u32_e64 s0, s31, v5
	s_and_saveexec_b32 s4, s0
	s_cbranch_execz .LBB1073_11
; %bb.10:
	v_lshlrev_b32_e32 v5, 2, v0
	s_delay_alu instid0(VALU_DEP_1) | instskip(NEXT) | instid1(VALU_DEP_1)
	v_add_co_u32 v7, s1, v2, v5
	v_add_co_ci_u32_e64 v8, s1, 0, v1, s1
	flat_load_b32 v7, v[7:8] offset:1024
.LBB1073_11:
	s_or_b32 exec_lo, exec_lo, s4
	v_or_b32_e32 v5, 0x200, v0
                                        ; implicit-def: $vgpr8
	s_delay_alu instid0(VALU_DEP_1) | instskip(NEXT) | instid1(VALU_DEP_1)
	v_cmp_gt_u32_e64 s1, s31, v5
	s_and_saveexec_b32 s5, s1
	s_cbranch_execz .LBB1073_13
; %bb.12:
	v_lshlrev_b32_e32 v5, 2, v0
	s_delay_alu instid0(VALU_DEP_1) | instskip(NEXT) | instid1(VALU_DEP_1)
	v_add_co_u32 v8, s4, v2, v5
	v_add_co_ci_u32_e64 v9, s4, 0, v1, s4
	flat_load_b32 v8, v[8:9] offset:2048
.LBB1073_13:
	s_or_b32 exec_lo, exec_lo, s5
	v_or_b32_e32 v5, 0x300, v0
                                        ; implicit-def: $vgpr9
	s_delay_alu instid0(VALU_DEP_1) | instskip(NEXT) | instid1(VALU_DEP_1)
	v_cmp_gt_u32_e64 s4, s31, v5
	s_and_saveexec_b32 s6, s4
	s_cbranch_execz .LBB1073_15
; %bb.14:
	v_lshlrev_b32_e32 v5, 2, v0
	s_delay_alu instid0(VALU_DEP_1) | instskip(NEXT) | instid1(VALU_DEP_1)
	v_add_co_u32 v9, s5, v2, v5
	v_add_co_ci_u32_e64 v10, s5, 0, v1, s5
	flat_load_b32 v9, v[9:10] offset:3072
.LBB1073_15:
	s_or_b32 exec_lo, exec_lo, s6
	v_or_b32_e32 v5, 0x400, v0
                                        ; implicit-def: $vgpr10
	s_delay_alu instid0(VALU_DEP_1) | instskip(NEXT) | instid1(VALU_DEP_1)
	v_cmp_gt_u32_e64 s5, s31, v5
	s_and_saveexec_b32 s7, s5
	s_cbranch_execz .LBB1073_17
; %bb.16:
	v_lshlrev_b32_e32 v5, 2, v5
	s_delay_alu instid0(VALU_DEP_1) | instskip(NEXT) | instid1(VALU_DEP_1)
	v_add_co_u32 v10, s6, v2, v5
	v_add_co_ci_u32_e64 v11, s6, 0, v1, s6
	flat_load_b32 v10, v[10:11]
.LBB1073_17:
	s_or_b32 exec_lo, exec_lo, s7
	v_or_b32_e32 v5, 0x500, v0
                                        ; implicit-def: $vgpr11
	s_delay_alu instid0(VALU_DEP_1) | instskip(NEXT) | instid1(VALU_DEP_1)
	v_cmp_gt_u32_e64 s6, s31, v5
	s_and_saveexec_b32 s8, s6
	s_cbranch_execz .LBB1073_19
; %bb.18:
	v_lshlrev_b32_e32 v5, 2, v5
	s_delay_alu instid0(VALU_DEP_1) | instskip(NEXT) | instid1(VALU_DEP_1)
	v_add_co_u32 v11, s7, v2, v5
	v_add_co_ci_u32_e64 v12, s7, 0, v1, s7
	flat_load_b32 v11, v[11:12]
.LBB1073_19:
	s_or_b32 exec_lo, exec_lo, s8
	v_or_b32_e32 v5, 0x600, v0
                                        ; implicit-def: $vgpr12
	s_delay_alu instid0(VALU_DEP_1) | instskip(NEXT) | instid1(VALU_DEP_1)
	v_cmp_gt_u32_e64 s7, s31, v5
	s_and_saveexec_b32 s9, s7
	s_cbranch_execz .LBB1073_21
; %bb.20:
	v_lshlrev_b32_e32 v5, 2, v5
	s_delay_alu instid0(VALU_DEP_1) | instskip(NEXT) | instid1(VALU_DEP_1)
	v_add_co_u32 v12, s8, v2, v5
	v_add_co_ci_u32_e64 v13, s8, 0, v1, s8
	flat_load_b32 v12, v[12:13]
.LBB1073_21:
	s_or_b32 exec_lo, exec_lo, s9
	v_or_b32_e32 v5, 0x700, v0
                                        ; implicit-def: $vgpr13
	s_delay_alu instid0(VALU_DEP_1) | instskip(NEXT) | instid1(VALU_DEP_1)
	v_cmp_gt_u32_e64 s8, s31, v5
	s_and_saveexec_b32 s10, s8
	s_cbranch_execz .LBB1073_23
; %bb.22:
	v_lshlrev_b32_e32 v5, 2, v5
	s_delay_alu instid0(VALU_DEP_1) | instskip(NEXT) | instid1(VALU_DEP_1)
	v_add_co_u32 v13, s9, v2, v5
	v_add_co_ci_u32_e64 v14, s9, 0, v1, s9
	flat_load_b32 v13, v[13:14]
.LBB1073_23:
	s_or_b32 exec_lo, exec_lo, s10
	v_or_b32_e32 v5, 0x800, v0
                                        ; implicit-def: $vgpr14
	s_delay_alu instid0(VALU_DEP_1) | instskip(NEXT) | instid1(VALU_DEP_1)
	v_cmp_gt_u32_e64 s9, s31, v5
	s_and_saveexec_b32 s11, s9
	s_cbranch_execz .LBB1073_25
; %bb.24:
	v_lshlrev_b32_e32 v14, 2, v5
	s_delay_alu instid0(VALU_DEP_1) | instskip(NEXT) | instid1(VALU_DEP_1)
	v_add_co_u32 v14, s10, v2, v14
	v_add_co_ci_u32_e64 v15, s10, 0, v1, s10
	flat_load_b32 v14, v[14:15]
.LBB1073_25:
	s_or_b32 exec_lo, exec_lo, s11
	v_or_b32_e32 v20, 0x900, v0
                                        ; implicit-def: $vgpr15
	s_delay_alu instid0(VALU_DEP_1) | instskip(NEXT) | instid1(VALU_DEP_1)
	v_cmp_gt_u32_e64 s10, s31, v20
	s_and_saveexec_b32 s12, s10
	s_cbranch_execz .LBB1073_27
; %bb.26:
	v_lshlrev_b32_e32 v15, 2, v20
	s_delay_alu instid0(VALU_DEP_1) | instskip(NEXT) | instid1(VALU_DEP_1)
	v_add_co_u32 v15, s11, v2, v15
	v_add_co_ci_u32_e64 v16, s11, 0, v1, s11
	flat_load_b32 v15, v[15:16]
.LBB1073_27:
	s_or_b32 exec_lo, exec_lo, s12
	v_or_b32_e32 v21, 0xa00, v0
                                        ; implicit-def: $vgpr16
	s_delay_alu instid0(VALU_DEP_1) | instskip(NEXT) | instid1(VALU_DEP_1)
	v_cmp_gt_u32_e64 s11, s31, v21
	s_and_saveexec_b32 s13, s11
	s_cbranch_execz .LBB1073_29
; %bb.28:
	v_lshlrev_b32_e32 v16, 2, v21
	s_delay_alu instid0(VALU_DEP_1) | instskip(NEXT) | instid1(VALU_DEP_1)
	v_add_co_u32 v16, s12, v2, v16
	v_add_co_ci_u32_e64 v17, s12, 0, v1, s12
	flat_load_b32 v16, v[16:17]
.LBB1073_29:
	s_or_b32 exec_lo, exec_lo, s13
	v_or_b32_e32 v23, 0xb00, v0
                                        ; implicit-def: $vgpr17
	s_delay_alu instid0(VALU_DEP_1) | instskip(NEXT) | instid1(VALU_DEP_1)
	v_cmp_gt_u32_e64 s12, s31, v23
	s_and_saveexec_b32 s14, s12
	s_cbranch_execz .LBB1073_31
; %bb.30:
	v_lshlrev_b32_e32 v17, 2, v23
	s_delay_alu instid0(VALU_DEP_1) | instskip(NEXT) | instid1(VALU_DEP_1)
	v_add_co_u32 v17, s13, v2, v17
	v_add_co_ci_u32_e64 v18, s13, 0, v1, s13
	flat_load_b32 v17, v[17:18]
.LBB1073_31:
	s_or_b32 exec_lo, exec_lo, s14
	v_or_b32_e32 v24, 0xc00, v0
                                        ; implicit-def: $vgpr18
	s_delay_alu instid0(VALU_DEP_1) | instskip(NEXT) | instid1(VALU_DEP_1)
	v_cmp_gt_u32_e64 s13, s31, v24
	s_and_saveexec_b32 s15, s13
	s_cbranch_execz .LBB1073_33
; %bb.32:
	v_lshlrev_b32_e32 v18, 2, v24
	s_delay_alu instid0(VALU_DEP_1) | instskip(NEXT) | instid1(VALU_DEP_1)
	v_add_co_u32 v18, s14, v2, v18
	v_add_co_ci_u32_e64 v19, s14, 0, v1, s14
	flat_load_b32 v18, v[18:19]
.LBB1073_33:
	s_or_b32 exec_lo, exec_lo, s15
	v_or_b32_e32 v25, 0xd00, v0
                                        ; implicit-def: $vgpr19
	s_delay_alu instid0(VALU_DEP_1) | instskip(NEXT) | instid1(VALU_DEP_1)
	v_cmp_gt_u32_e64 s14, s31, v25
	s_and_saveexec_b32 s16, s14
	s_cbranch_execz .LBB1073_35
; %bb.34:
	v_lshlrev_b32_e32 v19, 2, v25
	s_delay_alu instid0(VALU_DEP_1) | instskip(NEXT) | instid1(VALU_DEP_1)
	v_add_co_u32 v26, s15, v2, v19
	v_add_co_ci_u32_e64 v27, s15, 0, v1, s15
	flat_load_b32 v19, v[26:27]
.LBB1073_35:
	s_or_b32 exec_lo, exec_lo, s16
	v_or_b32_e32 v26, 0xe00, v0
                                        ; implicit-def: $vgpr27
	s_delay_alu instid0(VALU_DEP_1) | instskip(NEXT) | instid1(VALU_DEP_1)
	v_cmp_gt_u32_e64 s15, s31, v26
	s_and_saveexec_b32 s20, s15
	s_cbranch_execz .LBB1073_37
; %bb.36:
	v_lshlrev_b32_e32 v22, 2, v26
	s_delay_alu instid0(VALU_DEP_1) | instskip(NEXT) | instid1(VALU_DEP_1)
	v_add_co_u32 v27, s16, v2, v22
	v_add_co_ci_u32_e64 v28, s16, 0, v1, s16
	flat_load_b32 v27, v[27:28]
.LBB1073_37:
	s_or_b32 exec_lo, exec_lo, s20
	v_lshlrev_b32_e32 v28, 2, v0
	s_waitcnt vmcnt(0) lgkmcnt(0)
	ds_store_2addr_stride64_b32 v28, v6, v7 offset1:4
	ds_store_2addr_stride64_b32 v28, v8, v9 offset0:8 offset1:12
	ds_store_2addr_stride64_b32 v28, v10, v11 offset0:16 offset1:20
	;; [unrolled: 1-line block ×6, first 2 shown]
	v_mad_u32_u24 v22, v0, 56, v28
	ds_store_b32 v28, v27 offset:14336
	s_waitcnt lgkmcnt(0)
	s_barrier
	buffer_gl0_inv
	ds_load_2addr_b32 v[18:19], v22 offset1:1
	ds_load_2addr_b32 v[16:17], v22 offset0:2 offset1:3
	ds_load_2addr_b32 v[14:15], v22 offset0:4 offset1:5
	;; [unrolled: 1-line block ×6, first 2 shown]
	ds_load_b32 v52, v22 offset:56
	s_waitcnt lgkmcnt(0)
	s_barrier
	buffer_gl0_inv
                                        ; implicit-def: $vgpr27
	s_and_saveexec_b32 s16, vcc_lo
	s_cbranch_execz .LBB1073_51
; %bb.38:
	v_lshlrev_b32_e32 v27, 1, v0
	s_delay_alu instid0(VALU_DEP_1)
	v_add_co_u32 v27, vcc_lo, v3, v27
	v_add_co_ci_u32_e32 v28, vcc_lo, 0, v4, vcc_lo
	flat_load_u16 v27, v[27:28]
	s_or_b32 exec_lo, exec_lo, s16
                                        ; implicit-def: $vgpr35
	s_and_saveexec_b32 s16, s0
	s_cbranch_execnz .LBB1073_52
.LBB1073_39:
	s_or_b32 exec_lo, exec_lo, s16
                                        ; implicit-def: $vgpr36
	s_and_saveexec_b32 s0, s1
	s_cbranch_execz .LBB1073_53
.LBB1073_40:
	v_lshlrev_b32_e32 v28, 1, v0
	s_delay_alu instid0(VALU_DEP_1)
	v_add_co_u32 v28, vcc_lo, v3, v28
	v_add_co_ci_u32_e32 v29, vcc_lo, 0, v4, vcc_lo
	flat_load_u16 v36, v[28:29] offset:1024
	s_or_b32 exec_lo, exec_lo, s0
                                        ; implicit-def: $vgpr37
	s_and_saveexec_b32 s0, s4
	s_cbranch_execnz .LBB1073_54
.LBB1073_41:
	s_or_b32 exec_lo, exec_lo, s0
                                        ; implicit-def: $vgpr38
	s_and_saveexec_b32 s0, s5
	s_cbranch_execz .LBB1073_55
.LBB1073_42:
	v_lshlrev_b32_e32 v28, 1, v0
	s_delay_alu instid0(VALU_DEP_1)
	v_add_co_u32 v28, vcc_lo, v3, v28
	v_add_co_ci_u32_e32 v29, vcc_lo, 0, v4, vcc_lo
	flat_load_u16 v38, v[28:29] offset:2048
	s_or_b32 exec_lo, exec_lo, s0
                                        ; implicit-def: $vgpr39
	s_and_saveexec_b32 s0, s6
	s_cbranch_execnz .LBB1073_56
.LBB1073_43:
	s_or_b32 exec_lo, exec_lo, s0
                                        ; implicit-def: $vgpr40
	s_and_saveexec_b32 s0, s7
	s_cbranch_execz .LBB1073_57
.LBB1073_44:
	v_lshlrev_b32_e32 v28, 1, v0
	s_delay_alu instid0(VALU_DEP_1)
	v_add_co_u32 v28, vcc_lo, v3, v28
	v_add_co_ci_u32_e32 v29, vcc_lo, 0, v4, vcc_lo
	flat_load_u16 v40, v[28:29] offset:3072
	s_or_b32 exec_lo, exec_lo, s0
                                        ; implicit-def: $vgpr41
	s_and_saveexec_b32 s0, s8
	s_cbranch_execnz .LBB1073_58
.LBB1073_45:
	s_or_b32 exec_lo, exec_lo, s0
                                        ; implicit-def: $vgpr42
	s_and_saveexec_b32 s0, s9
	s_cbranch_execz .LBB1073_59
.LBB1073_46:
	v_lshlrev_b32_e32 v5, 1, v5
	s_delay_alu instid0(VALU_DEP_1)
	v_add_co_u32 v28, vcc_lo, v3, v5
	v_add_co_ci_u32_e32 v29, vcc_lo, 0, v4, vcc_lo
	flat_load_u16 v42, v[28:29]
	s_or_b32 exec_lo, exec_lo, s0
                                        ; implicit-def: $vgpr43
	s_and_saveexec_b32 s0, s10
	s_cbranch_execnz .LBB1073_60
.LBB1073_47:
	s_or_b32 exec_lo, exec_lo, s0
                                        ; implicit-def: $vgpr44
	s_and_saveexec_b32 s0, s11
	s_cbranch_execz .LBB1073_61
.LBB1073_48:
	v_lshlrev_b32_e32 v5, 1, v21
	s_delay_alu instid0(VALU_DEP_1)
	v_add_co_u32 v20, vcc_lo, v3, v5
	v_add_co_ci_u32_e32 v21, vcc_lo, 0, v4, vcc_lo
	flat_load_u16 v44, v[20:21]
	s_or_b32 exec_lo, exec_lo, s0
                                        ; implicit-def: $vgpr45
	s_and_saveexec_b32 s0, s12
	s_cbranch_execnz .LBB1073_62
.LBB1073_49:
	s_or_b32 exec_lo, exec_lo, s0
                                        ; implicit-def: $vgpr46
	s_and_saveexec_b32 s0, s13
	s_cbranch_execz .LBB1073_63
.LBB1073_50:
	v_lshlrev_b32_e32 v5, 1, v24
	s_delay_alu instid0(VALU_DEP_1)
	v_add_co_u32 v20, vcc_lo, v3, v5
	v_add_co_ci_u32_e32 v21, vcc_lo, 0, v4, vcc_lo
	flat_load_u16 v46, v[20:21]
	s_or_b32 exec_lo, exec_lo, s0
                                        ; implicit-def: $vgpr47
	s_and_saveexec_b32 s0, s14
	s_cbranch_execz .LBB1073_65
	s_branch .LBB1073_64
.LBB1073_51:
	s_or_b32 exec_lo, exec_lo, s16
                                        ; implicit-def: $vgpr35
	s_and_saveexec_b32 s16, s0
	s_cbranch_execz .LBB1073_39
.LBB1073_52:
	v_lshlrev_b32_e32 v28, 1, v0
	s_delay_alu instid0(VALU_DEP_1)
	v_add_co_u32 v28, vcc_lo, v3, v28
	v_add_co_ci_u32_e32 v29, vcc_lo, 0, v4, vcc_lo
	flat_load_u16 v35, v[28:29] offset:512
	s_or_b32 exec_lo, exec_lo, s16
                                        ; implicit-def: $vgpr36
	s_and_saveexec_b32 s0, s1
	s_cbranch_execnz .LBB1073_40
.LBB1073_53:
	s_or_b32 exec_lo, exec_lo, s0
                                        ; implicit-def: $vgpr37
	s_and_saveexec_b32 s0, s4
	s_cbranch_execz .LBB1073_41
.LBB1073_54:
	v_lshlrev_b32_e32 v28, 1, v0
	s_delay_alu instid0(VALU_DEP_1)
	v_add_co_u32 v28, vcc_lo, v3, v28
	v_add_co_ci_u32_e32 v29, vcc_lo, 0, v4, vcc_lo
	flat_load_u16 v37, v[28:29] offset:1536
	s_or_b32 exec_lo, exec_lo, s0
                                        ; implicit-def: $vgpr38
	s_and_saveexec_b32 s0, s5
	s_cbranch_execnz .LBB1073_42
.LBB1073_55:
	s_or_b32 exec_lo, exec_lo, s0
                                        ; implicit-def: $vgpr39
	s_and_saveexec_b32 s0, s6
	s_cbranch_execz .LBB1073_43
.LBB1073_56:
	v_lshlrev_b32_e32 v28, 1, v0
	s_delay_alu instid0(VALU_DEP_1)
	v_add_co_u32 v28, vcc_lo, v3, v28
	v_add_co_ci_u32_e32 v29, vcc_lo, 0, v4, vcc_lo
	flat_load_u16 v39, v[28:29] offset:2560
	s_or_b32 exec_lo, exec_lo, s0
                                        ; implicit-def: $vgpr40
	s_and_saveexec_b32 s0, s7
	s_cbranch_execnz .LBB1073_44
.LBB1073_57:
	s_or_b32 exec_lo, exec_lo, s0
                                        ; implicit-def: $vgpr41
	s_and_saveexec_b32 s0, s8
	s_cbranch_execz .LBB1073_45
.LBB1073_58:
	v_lshlrev_b32_e32 v28, 1, v0
	s_delay_alu instid0(VALU_DEP_1)
	v_add_co_u32 v28, vcc_lo, v3, v28
	v_add_co_ci_u32_e32 v29, vcc_lo, 0, v4, vcc_lo
	flat_load_u16 v41, v[28:29] offset:3584
	s_or_b32 exec_lo, exec_lo, s0
                                        ; implicit-def: $vgpr42
	s_and_saveexec_b32 s0, s9
	s_cbranch_execnz .LBB1073_46
.LBB1073_59:
	s_or_b32 exec_lo, exec_lo, s0
                                        ; implicit-def: $vgpr43
	s_and_saveexec_b32 s0, s10
	s_cbranch_execz .LBB1073_47
.LBB1073_60:
	v_lshlrev_b32_e32 v5, 1, v20
	s_delay_alu instid0(VALU_DEP_1)
	v_add_co_u32 v28, vcc_lo, v3, v5
	v_add_co_ci_u32_e32 v29, vcc_lo, 0, v4, vcc_lo
	flat_load_u16 v43, v[28:29]
	s_or_b32 exec_lo, exec_lo, s0
                                        ; implicit-def: $vgpr44
	s_and_saveexec_b32 s0, s11
	s_cbranch_execnz .LBB1073_48
.LBB1073_61:
	s_or_b32 exec_lo, exec_lo, s0
                                        ; implicit-def: $vgpr45
	s_and_saveexec_b32 s0, s12
	s_cbranch_execz .LBB1073_49
.LBB1073_62:
	v_lshlrev_b32_e32 v5, 1, v23
	s_delay_alu instid0(VALU_DEP_1)
	v_add_co_u32 v20, vcc_lo, v3, v5
	v_add_co_ci_u32_e32 v21, vcc_lo, 0, v4, vcc_lo
	flat_load_u16 v45, v[20:21]
	s_or_b32 exec_lo, exec_lo, s0
                                        ; implicit-def: $vgpr46
	s_and_saveexec_b32 s0, s13
	s_cbranch_execnz .LBB1073_50
.LBB1073_63:
	s_or_b32 exec_lo, exec_lo, s0
                                        ; implicit-def: $vgpr47
	s_and_saveexec_b32 s0, s14
	s_cbranch_execz .LBB1073_65
.LBB1073_64:
	v_lshlrev_b32_e32 v5, 1, v25
	s_delay_alu instid0(VALU_DEP_1)
	v_add_co_u32 v20, vcc_lo, v3, v5
	v_add_co_ci_u32_e32 v21, vcc_lo, 0, v4, vcc_lo
	flat_load_u16 v47, v[20:21]
.LBB1073_65:
	s_or_b32 exec_lo, exec_lo, s0
	v_mul_u32_u24_e32 v5, 15, v0
                                        ; implicit-def: $vgpr48
	s_and_saveexec_b32 s0, s15
	s_cbranch_execz .LBB1073_67
; %bb.66:
	v_lshlrev_b32_e32 v20, 1, v26
	s_delay_alu instid0(VALU_DEP_1)
	v_add_co_u32 v3, vcc_lo, v3, v20
	v_add_co_ci_u32_e32 v4, vcc_lo, 0, v4, vcc_lo
	flat_load_u16 v48, v[3:4]
.LBB1073_67:
	s_or_b32 exec_lo, exec_lo, s0
	s_delay_alu instid0(VALU_DEP_1)
	v_add_nc_u32_e32 v33, 1, v5
	v_add_nc_u32_e32 v28, 2, v5
	v_add_nc_u32_e32 v32, 3, v5
	v_add_nc_u32_e32 v26, 4, v5
	v_add_nc_u32_e32 v31, 5, v5
	v_add_nc_u32_e32 v25, 6, v5
	v_add_nc_u32_e32 v30, 7, v5
	v_add_nc_u32_e32 v21, 8, v5
	v_add_nc_u32_e32 v23, 9, v5
	v_add_nc_u32_e32 v20, 10, v5
	v_mad_i32_i24 v3, 0xffffffc6, v0, v22
	v_add_nc_u32_e32 v34, 11, v5
	v_add_nc_u32_e32 v29, 12, v5
	;; [unrolled: 1-line block ×4, first 2 shown]
	s_waitcnt vmcnt(0) lgkmcnt(0)
	ds_store_b16 v3, v27
	ds_store_b16 v3, v35 offset:512
	ds_store_b16 v3, v36 offset:1024
	;; [unrolled: 1-line block ×14, first 2 shown]
	s_waitcnt lgkmcnt(0)
	s_barrier
.LBB1073_68:
	v_lshlrev_b32_e32 v3, 1, v5
	v_lshlrev_b32_e32 v4, 1, v33
	;; [unrolled: 1-line block ×5, first 2 shown]
	buffer_gl0_inv
	v_lshlrev_b32_e32 v28, 1, v31
	v_lshlrev_b32_e32 v25, 1, v25
	;; [unrolled: 1-line block ×3, first 2 shown]
	ds_load_u16 v80, v3
	ds_load_u16 v79, v4
	;; [unrolled: 1-line block ×8, first 2 shown]
	v_lshlrev_b32_e32 v3, 1, v21
	v_lshlrev_b32_e32 v4, 1, v23
	;; [unrolled: 1-line block ×7, first 2 shown]
	ds_load_u16 v74, v3
	ds_load_u16 v72, v4
	;; [unrolled: 1-line block ×7, first 2 shown]
	s_cmp_eq_u64 s[18:19], 0
	s_waitcnt lgkmcnt(0)
	s_cselect_b32 s33, -1, 0
	s_cmp_lg_u64 s[18:19], 0
	s_barrier
	s_cselect_b32 s15, -1, 0
	s_and_b32 vcc_lo, exec_lo, s17
	buffer_gl0_inv
	s_cbranch_vccz .LBB1073_74
; %bb.69:
	s_and_b32 vcc_lo, exec_lo, s15
	s_cbranch_vccz .LBB1073_139
; %bb.70:
	v_add_co_u32 v3, vcc_lo, -4, v2
	v_add_co_ci_u32_e32 v4, vcc_lo, -1, v1, vcc_lo
	v_cmp_ne_u32_e32 vcc_lo, v7, v52
	v_cmp_ne_u32_e64 s0, v6, v7
	v_cmp_ne_u32_e64 s1, v9, v6
	flat_load_b32 v3, v[3:4]
	v_lshlrev_b32_e32 v4, 2, v0
	v_cmp_ne_u32_e64 s4, v8, v9
	v_cmp_ne_u32_e64 s5, v11, v8
	;; [unrolled: 1-line block ×11, first 2 shown]
	s_mov_b32 s45, -1
	ds_store_b32 v4, v52
	s_waitcnt vmcnt(0) lgkmcnt(0)
	s_barrier
	buffer_gl0_inv
	s_and_saveexec_b32 s16, s3
	s_cbranch_execz .LBB1073_72
; %bb.71:
	v_add_nc_u32_e32 v3, -4, v4
	ds_load_b32 v3, v3
.LBB1073_72:
	s_or_b32 exec_lo, exec_lo, s16
	v_cndmask_b32_e64 v60, 0, 1, vcc_lo
	v_cndmask_b32_e64 v53, 0, 1, s0
	v_cndmask_b32_e64 v54, 0, 1, s1
	;; [unrolled: 1-line block ×13, first 2 shown]
	s_waitcnt lgkmcnt(0)
	v_cmp_ne_u32_e64 s0, v3, v18
.LBB1073_73:
                                        ; implicit-def: $sgpr1
	s_branch .LBB1073_75
.LBB1073_74:
	s_mov_b32 s45, 0
                                        ; implicit-def: $sgpr0
                                        ; implicit-def: $vgpr60
                                        ; implicit-def: $vgpr53
                                        ; implicit-def: $vgpr54
                                        ; implicit-def: $vgpr55
                                        ; implicit-def: $vgpr56
                                        ; implicit-def: $vgpr57
                                        ; implicit-def: $vgpr58
                                        ; implicit-def: $vgpr59
                                        ; implicit-def: $vgpr61
                                        ; implicit-def: $vgpr62
                                        ; implicit-def: $vgpr63
                                        ; implicit-def: $vgpr64
                                        ; implicit-def: $vgpr65
                                        ; implicit-def: $vgpr66
                                        ; implicit-def: $sgpr1
	s_cbranch_execnz .LBB1073_143
.LBB1073_75:
	v_mov_b32_e32 v83, s1
	s_and_saveexec_b32 s1, s45
.LBB1073_76:
	s_delay_alu instid0(VALU_DEP_2)
	v_cndmask_b32_e64 v83, 0, 1, s0
.LBB1073_77:
	s_or_b32 exec_lo, exec_lo, s1
	s_delay_alu instid0(VALU_DEP_1)
	v_add3_u32 v1, v66, v83, v65
	v_cmp_eq_u32_e64 s13, 0, v66
	v_cmp_eq_u32_e64 s12, 0, v65
	v_cmp_eq_u32_e64 s11, 0, v64
	v_cmp_eq_u32_e64 s10, 0, v63
	v_add3_u32 v87, v1, v64, v63
	v_cmp_eq_u32_e64 s9, 0, v62
	v_cmp_eq_u32_e64 s8, 0, v61
	;; [unrolled: 1-line block ×9, first 2 shown]
	v_cmp_eq_u32_e32 vcc_lo, 0, v60
	v_mbcnt_lo_u32_b32 v84, -1, 0
	v_lshrrev_b32_e32 v85, 5, v0
	v_or_b32_e32 v86, 31, v0
	s_cmp_eq_u64 s[26:27], 0
	s_cselect_b32 s16, -1, 0
	s_cmp_lg_u32 s44, 0
	s_cbranch_scc0 .LBB1073_108
; %bb.78:
	v_cndmask_b32_e64 v1, 0, v80, s13
	v_add3_u32 v2, v87, v62, v61
	v_and_b32_e32 v5, 15, v84
	s_delay_alu instid0(VALU_DEP_3) | instskip(NEXT) | instid1(VALU_DEP_3)
	v_add_nc_u16 v1, v1, v79
	v_add3_u32 v2, v2, v59, v58
	s_delay_alu instid0(VALU_DEP_2) | instskip(NEXT) | instid1(VALU_DEP_2)
	v_cndmask_b32_e64 v1, 0, v1, s12
	v_add3_u32 v2, v2, v57, v56
	s_delay_alu instid0(VALU_DEP_2) | instskip(NEXT) | instid1(VALU_DEP_2)
	v_add_nc_u16 v1, v1, v78
	v_add3_u32 v2, v2, v55, v54
	s_delay_alu instid0(VALU_DEP_2) | instskip(NEXT) | instid1(VALU_DEP_2)
	v_cndmask_b32_e64 v1, 0, v1, s11
	v_add3_u32 v2, v2, v53, v60
	s_delay_alu instid0(VALU_DEP_2) | instskip(NEXT) | instid1(VALU_DEP_2)
	v_add_nc_u16 v1, v1, v77
	v_mov_b32_dpp v20, v2 row_shr:1 row_mask:0xf bank_mask:0xf
	s_delay_alu instid0(VALU_DEP_2) | instskip(NEXT) | instid1(VALU_DEP_1)
	v_cndmask_b32_e64 v1, 0, v1, s10
	v_add_nc_u16 v1, v1, v76
	s_delay_alu instid0(VALU_DEP_1) | instskip(NEXT) | instid1(VALU_DEP_1)
	v_cndmask_b32_e64 v1, 0, v1, s9
	v_add_nc_u16 v1, v1, v75
	s_delay_alu instid0(VALU_DEP_1) | instskip(NEXT) | instid1(VALU_DEP_1)
	;; [unrolled: 3-line block ×9, first 2 shown]
	v_cndmask_b32_e64 v1, 0, v1, s0
	v_add_nc_u16 v1, v1, v67
	s_delay_alu instid0(VALU_DEP_1) | instskip(SKIP_1) | instid1(VALU_DEP_2)
	v_cndmask_b32_e32 v1, 0, v1, vcc_lo
	v_cmp_eq_u32_e32 vcc_lo, 0, v2
	v_add_nc_u16 v1, v1, v81
	s_delay_alu instid0(VALU_DEP_1) | instskip(NEXT) | instid1(VALU_DEP_1)
	v_and_b32_e32 v3, 0xffff, v1
	v_mov_b32_dpp v4, v3 row_shr:1 row_mask:0xf bank_mask:0xf
	s_delay_alu instid0(VALU_DEP_1) | instskip(SKIP_1) | instid1(VALU_DEP_2)
	v_cndmask_b32_e32 v4, 0, v4, vcc_lo
	v_cmp_eq_u32_e32 vcc_lo, 0, v5
	v_add_nc_u16 v4, v4, v1
	v_cndmask_b32_e64 v20, v20, 0, vcc_lo
	s_delay_alu instid0(VALU_DEP_2) | instskip(SKIP_1) | instid1(VALU_DEP_2)
	v_and_b32_e32 v21, 0xffff, v4
	v_cndmask_b32_e32 v1, v4, v1, vcc_lo
	v_dual_cndmask_b32 v3, v21, v3 :: v_dual_add_nc_u32 v2, v20, v2
	s_delay_alu instid0(VALU_DEP_1) | instskip(NEXT) | instid1(VALU_DEP_2)
	v_cmp_eq_u32_e32 vcc_lo, 0, v2
	v_mov_b32_dpp v20, v3 row_shr:2 row_mask:0xf bank_mask:0xf
	s_delay_alu instid0(VALU_DEP_1) | instskip(SKIP_2) | instid1(VALU_DEP_3)
	v_cndmask_b32_e32 v4, 0, v20, vcc_lo
	v_mov_b32_dpp v20, v2 row_shr:2 row_mask:0xf bank_mask:0xf
	v_cmp_lt_u32_e32 vcc_lo, 1, v5
	v_add_nc_u16 v4, v4, v1
	s_delay_alu instid0(VALU_DEP_1) | instskip(SKIP_1) | instid1(VALU_DEP_2)
	v_and_b32_e32 v21, 0xffff, v4
	v_cndmask_b32_e32 v1, v1, v4, vcc_lo
	v_dual_cndmask_b32 v4, 0, v20 :: v_dual_cndmask_b32 v3, v3, v21
	s_delay_alu instid0(VALU_DEP_1) | instskip(NEXT) | instid1(VALU_DEP_2)
	v_add_nc_u32_e32 v2, v2, v4
	v_mov_b32_dpp v4, v3 row_shr:4 row_mask:0xf bank_mask:0xf
	s_delay_alu instid0(VALU_DEP_2) | instskip(SKIP_1) | instid1(VALU_DEP_3)
	v_cmp_eq_u32_e32 vcc_lo, 0, v2
	v_mov_b32_dpp v20, v2 row_shr:4 row_mask:0xf bank_mask:0xf
	v_cndmask_b32_e32 v4, 0, v4, vcc_lo
	v_cmp_lt_u32_e32 vcc_lo, 3, v5
	s_delay_alu instid0(VALU_DEP_2) | instskip(NEXT) | instid1(VALU_DEP_1)
	v_add_nc_u16 v4, v4, v1
	v_and_b32_e32 v21, 0xffff, v4
	v_cndmask_b32_e32 v1, v1, v4, vcc_lo
	s_delay_alu instid0(VALU_DEP_2) | instskip(NEXT) | instid1(VALU_DEP_1)
	v_dual_cndmask_b32 v4, 0, v20 :: v_dual_cndmask_b32 v3, v3, v21
	v_add_nc_u32_e32 v2, v4, v2
	s_delay_alu instid0(VALU_DEP_2) | instskip(NEXT) | instid1(VALU_DEP_2)
	v_mov_b32_dpp v4, v3 row_shr:8 row_mask:0xf bank_mask:0xf
	v_cmp_eq_u32_e32 vcc_lo, 0, v2
	v_mov_b32_dpp v20, v2 row_shr:8 row_mask:0xf bank_mask:0xf
	s_delay_alu instid0(VALU_DEP_3) | instskip(SKIP_1) | instid1(VALU_DEP_2)
	v_cndmask_b32_e32 v4, 0, v4, vcc_lo
	v_cmp_lt_u32_e32 vcc_lo, 7, v5
	v_add_nc_u16 v4, v4, v1
	s_delay_alu instid0(VALU_DEP_4) | instskip(SKIP_1) | instid1(VALU_DEP_3)
	v_cndmask_b32_e32 v5, 0, v20, vcc_lo
	v_bfe_i32 v20, v84, 4, 1
	v_cndmask_b32_e32 v1, v1, v4, vcc_lo
	v_and_b32_e32 v4, 0xffff, v4
	s_delay_alu instid0(VALU_DEP_4) | instskip(SKIP_1) | instid1(VALU_DEP_3)
	v_add_nc_u32_e32 v2, v5, v2
	v_and_b32_e32 v5, 16, v84
	v_cndmask_b32_e32 v3, v3, v4, vcc_lo
	ds_swizzle_b32 v4, v2 offset:swizzle(BROADCAST,32,15)
	v_cmp_ne_u32_e32 vcc_lo, 0, v5
	v_cmp_eq_u32_e64 s14, 0, v2
	ds_swizzle_b32 v3, v3 offset:swizzle(BROADCAST,32,15)
	s_and_b32 vcc_lo, vcc_lo, s14
	s_mov_b32 s14, exec_lo
	s_waitcnt lgkmcnt(0)
	v_dual_cndmask_b32 v3, 0, v3 :: v_dual_and_b32 v4, v20, v4
	s_delay_alu instid0(VALU_DEP_1) | instskip(NEXT) | instid1(VALU_DEP_2)
	v_add_nc_u32_e32 v2, v4, v2
	v_add_nc_u16 v1, v3, v1
	v_lshlrev_b32_e32 v3, 3, v85
	v_cmpx_eq_u32_e64 v86, v0
	s_cbranch_execz .LBB1073_80
; %bb.79:
	ds_store_b32 v3, v2 offset:2064
	ds_store_b16 v3, v1 offset:2068
.LBB1073_80:
	s_or_b32 exec_lo, exec_lo, s14
	s_delay_alu instid0(SALU_CYCLE_1)
	s_mov_b32 s15, exec_lo
	s_waitcnt lgkmcnt(0)
	s_barrier
	buffer_gl0_inv
	v_cmpx_gt_u32_e32 8, v0
	s_cbranch_execz .LBB1073_82
; %bb.81:
	v_lshlrev_b32_e32 v20, 3, v0
	ds_load_b64 v[4:5], v20 offset:2064
	s_waitcnt lgkmcnt(0)
	v_mov_b32_dpp v21, v5 row_shr:1 row_mask:0xf bank_mask:0xf
	v_cmp_eq_u32_e32 vcc_lo, 0, v4
	v_and_b32_e32 v22, 0xffff0000, v5
	v_mov_b32_dpp v25, v4 row_shr:1 row_mask:0xf bank_mask:0xf
	s_delay_alu instid0(VALU_DEP_4) | instskip(NEXT) | instid1(VALU_DEP_1)
	v_cndmask_b32_e32 v21, 0, v21, vcc_lo
	v_add_nc_u16 v21, v21, v5
	s_delay_alu instid0(VALU_DEP_1) | instskip(NEXT) | instid1(VALU_DEP_1)
	v_and_b32_e32 v23, 0xffff, v21
	v_or_b32_e32 v23, v22, v23
	v_and_b32_e32 v24, 7, v84
	s_delay_alu instid0(VALU_DEP_1) | instskip(NEXT) | instid1(VALU_DEP_3)
	v_cmp_eq_u32_e32 vcc_lo, 0, v24
	v_cndmask_b32_e32 v23, v23, v5, vcc_lo
	v_cndmask_b32_e64 v25, v25, 0, vcc_lo
	v_cndmask_b32_e32 v5, v21, v5, vcc_lo
	v_cmp_lt_u32_e64 s14, 3, v24
	s_delay_alu instid0(VALU_DEP_3) | instskip(SKIP_1) | instid1(VALU_DEP_2)
	v_add_nc_u32_e32 v4, v25, v4
	v_mov_b32_dpp v25, v23 row_shr:2 row_mask:0xf bank_mask:0xf
	v_cmp_eq_u32_e32 vcc_lo, 0, v4
	s_delay_alu instid0(VALU_DEP_2) | instskip(SKIP_2) | instid1(VALU_DEP_3)
	v_cndmask_b32_e32 v21, 0, v25, vcc_lo
	v_mov_b32_dpp v25, v4 row_shr:2 row_mask:0xf bank_mask:0xf
	v_cmp_lt_u32_e32 vcc_lo, 1, v24
	v_add_nc_u16 v21, v21, v5
	s_delay_alu instid0(VALU_DEP_1) | instskip(SKIP_2) | instid1(VALU_DEP_3)
	v_and_b32_e32 v26, 0xffff, v21
	v_cndmask_b32_e32 v5, v5, v21, vcc_lo
	v_cndmask_b32_e32 v21, 0, v25, vcc_lo
	v_or_b32_e32 v22, v22, v26
	s_delay_alu instid0(VALU_DEP_1) | instskip(NEXT) | instid1(VALU_DEP_1)
	v_dual_cndmask_b32 v21, v23, v22 :: v_dual_add_nc_u32 v4, v21, v4
	v_cmp_eq_u32_e32 vcc_lo, 0, v4
	s_delay_alu instid0(VALU_DEP_2) | instskip(SKIP_1) | instid1(VALU_DEP_1)
	v_mov_b32_dpp v21, v21 row_shr:4 row_mask:0xf bank_mask:0xf
	s_and_b32 vcc_lo, s14, vcc_lo
	v_cndmask_b32_e32 v21, 0, v21, vcc_lo
	v_mov_b32_dpp v22, v4 row_shr:4 row_mask:0xf bank_mask:0xf
	s_delay_alu instid0(VALU_DEP_2) | instskip(NEXT) | instid1(VALU_DEP_2)
	v_add_nc_u16 v5, v5, v21
	v_cndmask_b32_e64 v22, 0, v22, s14
	s_delay_alu instid0(VALU_DEP_1)
	v_add_nc_u32_e32 v4, v22, v4
	ds_store_b32 v20, v4 offset:2064
	ds_store_b16 v20, v5 offset:2068
.LBB1073_82:
	s_or_b32 exec_lo, exec_lo, s15
	v_cmp_gt_u32_e32 vcc_lo, 32, v0
	v_dual_mov_b32 v25, 0 :: v_dual_mov_b32 v24, 0
	s_mov_b32 s15, exec_lo
	s_waitcnt lgkmcnt(0)
	s_barrier
	buffer_gl0_inv
	v_cmpx_lt_u32_e32 31, v0
	s_cbranch_execz .LBB1073_84
; %bb.83:
	ds_load_u16 v24, v3 offset:2060
	ds_load_b32 v25, v3 offset:2056
	v_cmp_eq_u32_e64 s14, 0, v2
	s_waitcnt lgkmcnt(1)
	s_delay_alu instid0(VALU_DEP_1) | instskip(SKIP_2) | instid1(VALU_DEP_2)
	v_cndmask_b32_e64 v3, 0, v24, s14
	s_waitcnt lgkmcnt(0)
	v_add_nc_u32_e32 v2, v25, v2
	v_add_nc_u16 v1, v3, v1
.LBB1073_84:
	s_or_b32 exec_lo, exec_lo, s15
	v_add_nc_u32_e32 v3, -1, v84
	s_delay_alu instid0(VALU_DEP_2) | instskip(NEXT) | instid1(VALU_DEP_2)
	v_and_b32_e32 v1, 0xffff, v1
	v_cmp_gt_i32_e64 s14, 0, v3
	s_delay_alu instid0(VALU_DEP_1) | instskip(SKIP_1) | instid1(VALU_DEP_2)
	v_cndmask_b32_e64 v3, v3, v84, s14
	v_cmp_eq_u32_e64 s14, 0, v84
	v_lshlrev_b32_e32 v3, 2, v3
	ds_bpermute_b32 v26, v3, v2
	ds_bpermute_b32 v27, v3, v1
	s_and_saveexec_b32 s17, vcc_lo
	s_cbranch_execz .LBB1073_107
; %bb.85:
	v_mov_b32_e32 v4, 0
	ds_load_b64 v[1:2], v4 offset:2120
	s_waitcnt lgkmcnt(0)
	v_readfirstlane_b32 s18, v2
	s_and_saveexec_b32 s15, s14
	s_cbranch_execz .LBB1073_87
; %bb.86:
	s_add_i32 s20, s44, 32
	s_mov_b32 s21, 0
	v_mov_b32_e32 v3, 1
	s_lshl_b64 s[22:23], s[20:21], 4
	s_mov_b32 s26, s21
	s_add_u32 s22, s24, s22
	s_addc_u32 s23, s25, s23
	s_and_b32 s27, s18, 0xff000000
	s_and_b32 s29, s18, 0xff0000
	s_mov_b32 s28, s21
	v_dual_mov_b32 v20, s22 :: v_dual_mov_b32 v21, s23
	s_or_b64 s[26:27], s[28:29], s[26:27]
	s_and_b32 s29, s18, 0xff00
	s_delay_alu instid0(SALU_CYCLE_1) | instskip(SKIP_1) | instid1(SALU_CYCLE_1)
	s_or_b64 s[26:27], s[26:27], s[28:29]
	s_and_b32 s29, s18, 0xff
	s_or_b64 s[20:21], s[26:27], s[28:29]
	s_delay_alu instid0(SALU_CYCLE_1)
	v_mov_b32_e32 v2, s21
	;;#ASMSTART
	global_store_dwordx4 v[20:21], v[1:4] off	
s_waitcnt vmcnt(0)
	;;#ASMEND
.LBB1073_87:
	s_or_b32 exec_lo, exec_lo, s15
	v_xad_u32 v20, v84, -1, s44
	s_mov_b32 s19, 0
	s_mov_b32 s15, exec_lo
	s_delay_alu instid0(VALU_DEP_1) | instskip(NEXT) | instid1(VALU_DEP_1)
	v_add_nc_u32_e32 v3, 32, v20
	v_lshlrev_b64 v[2:3], 4, v[3:4]
	s_delay_alu instid0(VALU_DEP_1) | instskip(NEXT) | instid1(VALU_DEP_2)
	v_add_co_u32 v21, vcc_lo, s24, v2
	v_add_co_ci_u32_e32 v22, vcc_lo, s25, v3, vcc_lo
	;;#ASMSTART
	global_load_dwordx4 v[2:5], v[21:22] off glc	
s_waitcnt vmcnt(0)
	;;#ASMEND
	v_and_b32_e32 v5, 0xffffff, v2
	v_and_b32_e32 v2, 0xff000000, v2
	;; [unrolled: 1-line block ×4, first 2 shown]
	s_delay_alu instid0(VALU_DEP_3) | instskip(SKIP_1) | instid1(VALU_DEP_3)
	v_or_b32_e32 v2, v5, v2
	v_and_b32_e32 v5, 0xff, v4
	v_or3_b32 v3, 0, v23, v3
	s_delay_alu instid0(VALU_DEP_3) | instskip(NEXT) | instid1(VALU_DEP_3)
	v_or3_b32 v2, v2, 0, 0
	v_cmpx_eq_u16_e32 0, v5
	s_cbranch_execz .LBB1073_93
; %bb.88:
	s_mov_b32 s20, 1
	.p2align	6
.LBB1073_89:                            ; =>This Loop Header: Depth=1
                                        ;     Child Loop BB1073_90 Depth 2
	s_delay_alu instid0(SALU_CYCLE_1)
	s_max_u32 s21, s20, 1
.LBB1073_90:                            ;   Parent Loop BB1073_89 Depth=1
                                        ; =>  This Inner Loop Header: Depth=2
	s_delay_alu instid0(SALU_CYCLE_1)
	s_add_i32 s21, s21, -1
	s_sleep 1
	s_cmp_eq_u32 s21, 0
	s_cbranch_scc0 .LBB1073_90
; %bb.91:                               ;   in Loop: Header=BB1073_89 Depth=1
	;;#ASMSTART
	global_load_dwordx4 v[2:5], v[21:22] off glc	
s_waitcnt vmcnt(0)
	;;#ASMEND
	v_and_b32_e32 v5, 0xff, v4
	s_cmp_lt_u32 s20, 32
	s_cselect_b32 s21, -1, 0
	s_delay_alu instid0(SALU_CYCLE_1) | instskip(NEXT) | instid1(VALU_DEP_1)
	s_cmp_lg_u32 s21, 0
	v_cmp_ne_u16_e32 vcc_lo, 0, v5
	s_addc_u32 s20, s20, 0
	s_or_b32 s19, vcc_lo, s19
	s_delay_alu instid0(SALU_CYCLE_1)
	s_and_not1_b32 exec_lo, exec_lo, s19
	s_cbranch_execnz .LBB1073_89
; %bb.92:
	s_or_b32 exec_lo, exec_lo, s19
	v_and_b32_e32 v3, 0xffff, v3
.LBB1073_93:
	s_or_b32 exec_lo, exec_lo, s15
	v_cmp_ne_u32_e32 vcc_lo, 31, v84
	v_and_b32_e32 v21, 0xff, v4
	v_lshlrev_b32_e64 v29, v84, -1
	v_cmp_eq_u32_e64 s15, 0, v2
	v_add_nc_u32_e32 v37, 8, v84
	v_add_co_ci_u32_e32 v5, vcc_lo, 0, v84, vcc_lo
	v_cmp_eq_u16_e32 vcc_lo, 2, v21
	v_add_nc_u32_e32 v39, 16, v84
	v_and_or_b32 v21, vcc_lo, v29, 0x80000000
	v_cmp_gt_u32_e32 vcc_lo, 30, v84
	s_delay_alu instid0(VALU_DEP_2) | instskip(SKIP_1) | instid1(VALU_DEP_2)
	v_ctz_i32_b32_e32 v21, v21
	v_cndmask_b32_e64 v22, 0, 1, vcc_lo
	v_cmp_lt_u32_e32 vcc_lo, v84, v21
	v_lshlrev_b32_e32 v28, 2, v5
	ds_bpermute_b32 v5, v28, v3
	s_waitcnt lgkmcnt(0)
	v_cndmask_b32_e64 v5, 0, v5, s15
	s_delay_alu instid0(VALU_DEP_1) | instskip(SKIP_1) | instid1(VALU_DEP_2)
	v_add_nc_u16 v5, v5, v3
	v_lshlrev_b32_e32 v22, 1, v22
	v_and_b32_e32 v31, 0xffff, v5
	v_cndmask_b32_e32 v5, v3, v5, vcc_lo
	s_delay_alu instid0(VALU_DEP_3) | instskip(NEXT) | instid1(VALU_DEP_3)
	v_add_lshl_u32 v30, v22, v84, 2
	v_cndmask_b32_e32 v3, v3, v31, vcc_lo
	ds_bpermute_b32 v23, v28, v2
	v_add_nc_u32_e32 v31, 2, v84
	ds_bpermute_b32 v22, v30, v3
	s_waitcnt lgkmcnt(1)
	v_cndmask_b32_e32 v23, 0, v23, vcc_lo
	s_delay_alu instid0(VALU_DEP_1) | instskip(NEXT) | instid1(VALU_DEP_1)
	v_add_nc_u32_e32 v2, v23, v2
	v_cmp_eq_u32_e32 vcc_lo, 0, v2
	s_waitcnt lgkmcnt(0)
	v_cndmask_b32_e32 v22, 0, v22, vcc_lo
	v_cmp_gt_u32_e32 vcc_lo, 28, v84
	s_delay_alu instid0(VALU_DEP_2) | instskip(SKIP_2) | instid1(VALU_DEP_3)
	v_add_nc_u16 v22, v22, v5
	v_cndmask_b32_e64 v23, 0, 1, vcc_lo
	v_cmp_gt_u32_e32 vcc_lo, v31, v21
	v_and_b32_e32 v34, 0xffff, v22
	s_delay_alu instid0(VALU_DEP_3)
	v_lshlrev_b32_e32 v23, 2, v23
	v_cndmask_b32_e32 v5, v22, v5, vcc_lo
	ds_bpermute_b32 v33, v30, v2
	v_cndmask_b32_e32 v3, v34, v3, vcc_lo
	v_add_lshl_u32 v32, v23, v84, 2
	ds_bpermute_b32 v22, v32, v3
	s_waitcnt lgkmcnt(1)
	v_cndmask_b32_e64 v23, v33, 0, vcc_lo
	v_add_nc_u32_e32 v33, 4, v84
	s_delay_alu instid0(VALU_DEP_2) | instskip(NEXT) | instid1(VALU_DEP_1)
	v_add_nc_u32_e32 v2, v2, v23
	v_cmp_eq_u32_e32 vcc_lo, 0, v2
	ds_bpermute_b32 v35, v32, v2
	s_waitcnt lgkmcnt(1)
	v_cndmask_b32_e32 v22, 0, v22, vcc_lo
	v_cmp_gt_u32_e32 vcc_lo, 24, v84
	s_delay_alu instid0(VALU_DEP_2) | instskip(SKIP_2) | instid1(VALU_DEP_3)
	v_add_nc_u16 v22, v5, v22
	v_cndmask_b32_e64 v23, 0, 1, vcc_lo
	v_cmp_gt_u32_e32 vcc_lo, v33, v21
	v_and_b32_e32 v36, 0xffff, v22
	s_delay_alu instid0(VALU_DEP_3) | instskip(SKIP_1) | instid1(VALU_DEP_2)
	v_lshlrev_b32_e32 v23, 3, v23
	v_cndmask_b32_e32 v5, v22, v5, vcc_lo
	v_add_lshl_u32 v34, v23, v84, 2
	s_waitcnt lgkmcnt(0)
	v_cndmask_b32_e64 v23, v35, 0, vcc_lo
	s_delay_alu instid0(VALU_DEP_1)
	v_add_nc_u32_e32 v2, v2, v23
	v_cndmask_b32_e32 v3, v36, v3, vcc_lo
	ds_bpermute_b32 v23, v34, v2
	ds_bpermute_b32 v22, v34, v3
	v_cmp_eq_u32_e32 vcc_lo, 0, v2
	s_waitcnt lgkmcnt(0)
	v_cndmask_b32_e32 v22, 0, v22, vcc_lo
	v_cmp_gt_u32_e32 vcc_lo, 16, v84
	s_delay_alu instid0(VALU_DEP_2) | instskip(SKIP_2) | instid1(VALU_DEP_3)
	v_add_nc_u16 v22, v5, v22
	v_cndmask_b32_e64 v35, 0, 1, vcc_lo
	v_cmp_gt_u32_e32 vcc_lo, v37, v21
	v_and_b32_e32 v36, 0xffff, v22
	s_delay_alu instid0(VALU_DEP_3) | instskip(SKIP_2) | instid1(VALU_DEP_3)
	v_lshlrev_b32_e32 v35, 4, v35
	v_cndmask_b32_e32 v5, v22, v5, vcc_lo
	v_cndmask_b32_e64 v22, v23, 0, vcc_lo
	v_add_lshl_u32 v38, v35, v84, 2
	s_delay_alu instid0(VALU_DEP_2)
	v_dual_cndmask_b32 v3, v36, v3 :: v_dual_add_nc_u32 v2, v2, v22
	ds_bpermute_b32 v22, v38, v2
	ds_bpermute_b32 v3, v38, v3
	v_cmp_eq_u32_e32 vcc_lo, 0, v2
	s_waitcnt lgkmcnt(0)
	v_cndmask_b32_e32 v3, 0, v3, vcc_lo
	v_cmp_gt_u32_e32 vcc_lo, v39, v21
	s_delay_alu instid0(VALU_DEP_2) | instskip(SKIP_1) | instid1(VALU_DEP_1)
	v_cndmask_b32_e64 v3, v3, 0, vcc_lo
	v_cndmask_b32_e64 v21, v22, 0, vcc_lo
	v_add_nc_u32_e32 v2, v21, v2
	s_delay_alu instid0(VALU_DEP_3)
	v_add_nc_u16 v3, v5, v3
	v_mov_b32_e32 v21, 0
	s_branch .LBB1073_95
.LBB1073_94:                            ;   in Loop: Header=BB1073_95 Depth=1
	s_or_b32 exec_lo, exec_lo, s15
	ds_bpermute_b32 v5, v28, v3
	v_cmp_eq_u32_e64 s15, 0, v2
	ds_bpermute_b32 v23, v28, v2
	v_subrev_nc_u32_e32 v20, 32, v20
	s_waitcnt lgkmcnt(1)
	v_cndmask_b32_e64 v5, 0, v5, s15
	s_delay_alu instid0(VALU_DEP_1) | instskip(SKIP_1) | instid1(VALU_DEP_1)
	v_add_nc_u16 v5, v5, v3
	v_and_b32_e32 v22, 0xff, v4
	v_cmp_eq_u16_e32 vcc_lo, 2, v22
	v_and_or_b32 v22, vcc_lo, v29, 0x80000000
	s_delay_alu instid0(VALU_DEP_1) | instskip(NEXT) | instid1(VALU_DEP_1)
	v_ctz_i32_b32_e32 v22, v22
	v_cmp_lt_u32_e32 vcc_lo, v84, v22
	s_waitcnt lgkmcnt(0)
	v_dual_cndmask_b32 v23, 0, v23 :: v_dual_and_b32 v40, 0xffff, v5
	v_cndmask_b32_e32 v5, v3, v5, vcc_lo
	s_delay_alu instid0(VALU_DEP_2) | instskip(SKIP_2) | instid1(VALU_DEP_1)
	v_cndmask_b32_e32 v3, v3, v40, vcc_lo
	ds_bpermute_b32 v40, v30, v3
	v_add_nc_u32_e32 v2, v23, v2
	v_cmp_eq_u32_e32 vcc_lo, 0, v2
	s_waitcnt lgkmcnt(0)
	v_cndmask_b32_e32 v23, 0, v40, vcc_lo
	ds_bpermute_b32 v40, v30, v2
	v_cmp_gt_u32_e32 vcc_lo, v31, v22
	v_add_nc_u16 v23, v23, v5
	s_delay_alu instid0(VALU_DEP_1) | instskip(SKIP_2) | instid1(VALU_DEP_1)
	v_and_b32_e32 v41, 0xffff, v23
	s_waitcnt lgkmcnt(0)
	v_cndmask_b32_e64 v40, v40, 0, vcc_lo
	v_dual_cndmask_b32 v5, v23, v5 :: v_dual_add_nc_u32 v2, v2, v40
	s_delay_alu instid0(VALU_DEP_3)
	v_cndmask_b32_e32 v3, v41, v3, vcc_lo
	ds_bpermute_b32 v40, v32, v2
	ds_bpermute_b32 v23, v32, v3
	v_cmp_eq_u32_e32 vcc_lo, 0, v2
	s_waitcnt lgkmcnt(0)
	v_cndmask_b32_e32 v23, 0, v23, vcc_lo
	v_cmp_gt_u32_e32 vcc_lo, v33, v22
	s_delay_alu instid0(VALU_DEP_2) | instskip(SKIP_1) | instid1(VALU_DEP_2)
	v_add_nc_u16 v23, v5, v23
	v_cndmask_b32_e64 v40, v40, 0, vcc_lo
	v_and_b32_e32 v41, 0xffff, v23
	s_delay_alu instid0(VALU_DEP_2) | instskip(NEXT) | instid1(VALU_DEP_2)
	v_dual_cndmask_b32 v5, v23, v5 :: v_dual_add_nc_u32 v2, v2, v40
	v_cndmask_b32_e32 v3, v41, v3, vcc_lo
	s_delay_alu instid0(VALU_DEP_2)
	v_cmp_eq_u32_e32 vcc_lo, 0, v2
	ds_bpermute_b32 v40, v34, v2
	ds_bpermute_b32 v23, v34, v3
	s_waitcnt lgkmcnt(0)
	v_cndmask_b32_e32 v23, 0, v23, vcc_lo
	v_cmp_gt_u32_e32 vcc_lo, v37, v22
	s_delay_alu instid0(VALU_DEP_2) | instskip(NEXT) | instid1(VALU_DEP_1)
	v_add_nc_u16 v23, v5, v23
	v_and_b32_e32 v41, 0xffff, v23
	v_cndmask_b32_e32 v5, v23, v5, vcc_lo
	v_cndmask_b32_e64 v23, v40, 0, vcc_lo
	s_delay_alu instid0(VALU_DEP_3) | instskip(NEXT) | instid1(VALU_DEP_2)
	v_cndmask_b32_e32 v3, v41, v3, vcc_lo
	v_add_nc_u32_e32 v2, v2, v23
	ds_bpermute_b32 v3, v38, v3
	ds_bpermute_b32 v23, v38, v2
	v_cmp_eq_u32_e32 vcc_lo, 0, v2
	s_waitcnt lgkmcnt(1)
	v_cndmask_b32_e32 v3, 0, v3, vcc_lo
	v_cmp_gt_u32_e32 vcc_lo, v39, v22
	s_delay_alu instid0(VALU_DEP_2) | instskip(NEXT) | instid1(VALU_DEP_1)
	v_cndmask_b32_e64 v3, v3, 0, vcc_lo
	v_add_nc_u16 v3, v5, v3
	s_waitcnt lgkmcnt(0)
	v_cndmask_b32_e64 v5, v23, 0, vcc_lo
	v_cmp_eq_u32_e32 vcc_lo, 0, v36
	s_delay_alu instid0(VALU_DEP_2) | instskip(SKIP_1) | instid1(VALU_DEP_1)
	v_add3_u32 v2, v2, v36, v5
	v_cndmask_b32_e32 v3, 0, v3, vcc_lo
	v_add_nc_u16 v3, v3, v35
.LBB1073_95:                            ; =>This Loop Header: Depth=1
                                        ;     Child Loop BB1073_98 Depth 2
                                        ;       Child Loop BB1073_99 Depth 3
	s_delay_alu instid0(VALU_DEP_1) | instskip(NEXT) | instid1(VALU_DEP_4)
	v_dual_mov_b32 v35, v3 :: v_dual_and_b32 v4, 0xff, v4
	v_mov_b32_e32 v36, v2
	s_delay_alu instid0(VALU_DEP_2) | instskip(SKIP_2) | instid1(VALU_DEP_1)
	v_cmp_ne_u16_e32 vcc_lo, 2, v4
	v_cndmask_b32_e64 v4, 0, 1, vcc_lo
	;;#ASMSTART
	;;#ASMEND
	v_cmp_ne_u32_e32 vcc_lo, 0, v4
	s_cmp_lg_u32 vcc_lo, exec_lo
	s_cbranch_scc1 .LBB1073_102
; %bb.96:                               ;   in Loop: Header=BB1073_95 Depth=1
	v_lshlrev_b64 v[2:3], 4, v[20:21]
	s_mov_b32 s15, exec_lo
	s_delay_alu instid0(VALU_DEP_1) | instskip(NEXT) | instid1(VALU_DEP_2)
	v_add_co_u32 v22, vcc_lo, s24, v2
	v_add_co_ci_u32_e32 v23, vcc_lo, s25, v3, vcc_lo
	;;#ASMSTART
	global_load_dwordx4 v[2:5], v[22:23] off glc	
s_waitcnt vmcnt(0)
	;;#ASMEND
	v_and_b32_e32 v5, 0xffffff, v2
	v_and_b32_e32 v2, 0xff000000, v2
	;; [unrolled: 1-line block ×4, first 2 shown]
	s_delay_alu instid0(VALU_DEP_3) | instskip(SKIP_1) | instid1(VALU_DEP_3)
	v_or_b32_e32 v2, v5, v2
	v_and_b32_e32 v5, 0xff, v4
	v_or3_b32 v3, 0, v40, v3
	s_delay_alu instid0(VALU_DEP_3) | instskip(NEXT) | instid1(VALU_DEP_3)
	v_or3_b32 v2, v2, 0, 0
	v_cmpx_eq_u16_e32 0, v5
	s_cbranch_execz .LBB1073_94
; %bb.97:                               ;   in Loop: Header=BB1073_95 Depth=1
	s_mov_b32 s20, 1
	s_mov_b32 s19, 0
	.p2align	6
.LBB1073_98:                            ;   Parent Loop BB1073_95 Depth=1
                                        ; =>  This Loop Header: Depth=2
                                        ;       Child Loop BB1073_99 Depth 3
	s_max_u32 s21, s20, 1
.LBB1073_99:                            ;   Parent Loop BB1073_95 Depth=1
                                        ;     Parent Loop BB1073_98 Depth=2
                                        ; =>    This Inner Loop Header: Depth=3
	s_delay_alu instid0(SALU_CYCLE_1)
	s_add_i32 s21, s21, -1
	s_sleep 1
	s_cmp_eq_u32 s21, 0
	s_cbranch_scc0 .LBB1073_99
; %bb.100:                              ;   in Loop: Header=BB1073_98 Depth=2
	;;#ASMSTART
	global_load_dwordx4 v[2:5], v[22:23] off glc	
s_waitcnt vmcnt(0)
	;;#ASMEND
	v_and_b32_e32 v5, 0xff, v4
	s_cmp_lt_u32 s20, 32
	s_cselect_b32 s21, -1, 0
	s_delay_alu instid0(SALU_CYCLE_1) | instskip(NEXT) | instid1(VALU_DEP_1)
	s_cmp_lg_u32 s21, 0
	v_cmp_ne_u16_e32 vcc_lo, 0, v5
	s_addc_u32 s20, s20, 0
	s_or_b32 s19, vcc_lo, s19
	s_delay_alu instid0(SALU_CYCLE_1)
	s_and_not1_b32 exec_lo, exec_lo, s19
	s_cbranch_execnz .LBB1073_98
; %bb.101:                              ;   in Loop: Header=BB1073_95 Depth=1
	s_or_b32 exec_lo, exec_lo, s19
	v_and_b32_e32 v3, 0xffff, v3
	s_branch .LBB1073_94
.LBB1073_102:                           ;   in Loop: Header=BB1073_95 Depth=1
                                        ; implicit-def: $vgpr3
                                        ; implicit-def: $vgpr2
                                        ; implicit-def: $vgpr4
	s_cbranch_execz .LBB1073_95
; %bb.103:
	s_and_saveexec_b32 s15, s14
	s_cbranch_execz .LBB1073_105
; %bb.104:
	v_cmp_eq_u32_e32 vcc_lo, 0, v1
	s_mov_b32 s21, 0
	s_add_i32 s20, s44, 32
	v_add_nc_u32_e64 v22, 0x800, 0
	s_lshl_b64 s[20:21], s[20:21], 4
	v_dual_cndmask_b32 v2, 0, v35 :: v_dual_mov_b32 v5, 0
	s_add_u32 s20, s24, s20
	s_addc_u32 s21, s25, s21
	v_mov_b32_e32 v4, 2
	s_delay_alu instid0(VALU_DEP_2) | instskip(SKIP_1) | instid1(VALU_DEP_2)
	v_add_nc_u16 v3, v2, s18
	v_dual_mov_b32 v23, s18 :: v_dual_add_nc_u32 v2, v36, v1
	v_and_b32_e32 v20, 0xff00, v3
	v_and_b32_e32 v3, 0xff, v3
	s_delay_alu instid0(VALU_DEP_1)
	v_or_b32_e32 v3, v20, v3
	v_dual_mov_b32 v20, s20 :: v_dual_mov_b32 v21, s21
	;;#ASMSTART
	global_store_dwordx4 v[20:21], v[2:5] off	
s_waitcnt vmcnt(0)
	;;#ASMEND
	ds_store_2addr_b32 v22, v1, v36 offset1:2
	ds_store_b16 v5, v23 offset:2052
	ds_store_b16 v5, v35 offset:2060
.LBB1073_105:
	s_or_b32 exec_lo, exec_lo, s15
	s_delay_alu instid0(SALU_CYCLE_1)
	s_and_b32 exec_lo, exec_lo, s2
	s_cbranch_execz .LBB1073_107
; %bb.106:
	v_mov_b32_e32 v1, 0
	ds_store_b32 v1, v36 offset:2120
	ds_store_b16 v1, v35 offset:2124
.LBB1073_107:
	s_or_b32 exec_lo, exec_lo, s17
	s_waitcnt lgkmcnt(1)
	v_cndmask_b32_e64 v4, v26, v25, s14
	s_waitcnt lgkmcnt(0)
	s_barrier
	buffer_gl0_inv
	v_cndmask_b32_e64 v5, v27, v24, s14
	v_cmp_eq_u32_e32 vcc_lo, 0, v4
	v_mov_b32_e32 v3, 0
	v_cndmask_b32_e64 v4, v4, 0, s2
	ds_load_b64 v[1:2], v3 offset:2120
	s_waitcnt lgkmcnt(0)
	s_barrier
	buffer_gl0_inv
	v_cndmask_b32_e32 v20, 0, v2, vcc_lo
	v_cmp_eq_u32_e32 vcc_lo, 0, v83
	v_add_nc_u32_e32 v48, v1, v4
	s_delay_alu instid0(VALU_DEP_3) | instskip(NEXT) | instid1(VALU_DEP_2)
	v_add_nc_u16 v5, v20, v5
	v_add_nc_u32_e32 v44, v48, v83
	s_delay_alu instid0(VALU_DEP_2) | instskip(NEXT) | instid1(VALU_DEP_2)
	v_cndmask_b32_e64 v20, v5, v2, s2
	v_add_nc_u32_e32 v42, v44, v66
	s_delay_alu instid0(VALU_DEP_2) | instskip(SKIP_1) | instid1(VALU_DEP_3)
	v_cndmask_b32_e32 v2, 0, v20, vcc_lo
	v_and_b32_e32 v49, 0xffff, v20
	v_add_nc_u32_e32 v40, v42, v65
	s_delay_alu instid0(VALU_DEP_3) | instskip(NEXT) | instid1(VALU_DEP_2)
	v_add_nc_u16 v21, v2, v80
	v_add_nc_u32_e32 v28, v40, v64
	s_delay_alu instid0(VALU_DEP_2) | instskip(SKIP_1) | instid1(VALU_DEP_3)
	v_cndmask_b32_e64 v2, 0, v21, s13
	v_and_b32_e32 v45, 0xffff, v21
	v_add_nc_u32_e32 v26, v28, v63
	s_delay_alu instid0(VALU_DEP_3) | instskip(NEXT) | instid1(VALU_DEP_2)
	v_add_nc_u16 v22, v2, v79
	v_add_nc_u32_e32 v24, v26, v62
	s_delay_alu instid0(VALU_DEP_2) | instskip(SKIP_1) | instid1(VALU_DEP_3)
	v_cndmask_b32_e64 v2, 0, v22, s12
	;; [unrolled: 7-line block ×3, first 2 shown]
	v_and_b32_e32 v41, 0xffff, v23
	v_add_nc_u32_e32 v38, v50, v58
	s_delay_alu instid0(VALU_DEP_3) | instskip(NEXT) | instid1(VALU_DEP_2)
	v_add_nc_u16 v25, v2, v77
	v_add_nc_u32_e32 v36, v38, v57
	s_delay_alu instid0(VALU_DEP_2) | instskip(NEXT) | instid1(VALU_DEP_2)
	v_cndmask_b32_e64 v2, 0, v25, s10
	v_add_nc_u32_e32 v32, v36, v56
	s_delay_alu instid0(VALU_DEP_2) | instskip(NEXT) | instid1(VALU_DEP_2)
	v_add_nc_u16 v27, v2, v76
	v_add_nc_u32_e32 v34, v32, v55
	s_delay_alu instid0(VALU_DEP_2) | instskip(SKIP_1) | instid1(VALU_DEP_3)
	v_cndmask_b32_e64 v2, 0, v27, s9
	v_and_b32_e32 v27, 0xffff, v27
	v_add_nc_u32_e32 v30, v34, v54
	s_delay_alu instid0(VALU_DEP_3) | instskip(NEXT) | instid1(VALU_DEP_2)
	v_add_nc_u16 v31, v2, v75
	v_add_nc_u32_e32 v22, v30, v53
	s_delay_alu instid0(VALU_DEP_2) | instskip(NEXT) | instid1(VALU_DEP_1)
	v_cndmask_b32_e64 v1, 0, v31, s8
	v_add_nc_u16 v1, v1, v73
	s_delay_alu instid0(VALU_DEP_1) | instskip(SKIP_1) | instid1(VALU_DEP_2)
	v_cndmask_b32_e64 v2, 0, v1, s7
	v_and_b32_e32 v47, 0xffff, v1
	v_add_nc_u16 v33, v2, v71
	s_delay_alu instid0(VALU_DEP_1) | instskip(SKIP_1) | instid1(VALU_DEP_2)
	v_cndmask_b32_e64 v2, 0, v33, s6
	v_and_b32_e32 v51, 0xffff, v33
	;; [unrolled: 4-line block ×3, first 2 shown]
	v_add_nc_u16 v37, v2, v72
	ds_load_b128 v[2:5], v3 offset:2048
	v_cndmask_b32_e64 v29, 0, v37, s4
	v_and_b32_e32 v37, 0xffff, v37
	s_delay_alu instid0(VALU_DEP_2) | instskip(NEXT) | instid1(VALU_DEP_1)
	v_add_nc_u16 v82, v29, v70
	v_cndmask_b32_e64 v29, 0, v82, s3
	v_and_b32_e32 v33, 0xffff, v82
	s_delay_alu instid0(VALU_DEP_2) | instskip(SKIP_2) | instid1(VALU_DEP_2)
	v_add_nc_u16 v88, v29, v69
	s_waitcnt lgkmcnt(0)
	v_cmp_eq_u32_e32 vcc_lo, 0, v2
	v_cndmask_b32_e64 v29, 0, v88, s1
	v_cndmask_b32_e32 v5, 0, v5, vcc_lo
	v_and_b32_e32 v35, 0xffff, v88
	s_delay_alu instid0(VALU_DEP_3) | instskip(SKIP_3) | instid1(VALU_DEP_4)
	v_add_nc_u16 v20, v29, v68
	v_and_b32_e32 v29, 0xffff, v25
	v_and_b32_e32 v25, 0xffff, v31
	v_add_nc_u32_e32 v82, v5, v3
	v_cndmask_b32_e64 v21, 0, v20, s0
	v_and_b32_e32 v31, 0xffff, v20
	s_delay_alu instid0(VALU_DEP_2) | instskip(NEXT) | instid1(VALU_DEP_1)
	v_add_nc_u16 v1, v21, v67
	v_and_b32_e32 v23, 0xffff, v1
	s_branch .LBB1073_120
.LBB1073_108:
                                        ; implicit-def: $vgpr2
                                        ; implicit-def: $vgpr82
                                        ; implicit-def: $vgpr48_vgpr49
                                        ; implicit-def: $vgpr44_vgpr45
                                        ; implicit-def: $vgpr42_vgpr43
                                        ; implicit-def: $vgpr40_vgpr41
                                        ; implicit-def: $vgpr28_vgpr29
                                        ; implicit-def: $vgpr26_vgpr27
                                        ; implicit-def: $vgpr24_vgpr25
                                        ; implicit-def: $vgpr46_vgpr47
                                        ; implicit-def: $vgpr50_vgpr51
                                        ; implicit-def: $vgpr38_vgpr39
                                        ; implicit-def: $vgpr36_vgpr37
                                        ; implicit-def: $vgpr32_vgpr33
                                        ; implicit-def: $vgpr34_vgpr35
                                        ; implicit-def: $vgpr30_vgpr31
                                        ; implicit-def: $vgpr22_vgpr23
	s_cbranch_execz .LBB1073_120
; %bb.109:
	s_and_b32 s0, s16, exec_lo
	v_mov_b32_e32 v1, v80
	s_cselect_b32 s1, 0, s35
	s_cselect_b32 s0, 0, s34
	s_delay_alu instid0(SALU_CYCLE_1)
	s_cmp_eq_u64 s[0:1], 0
	s_cbranch_scc1 .LBB1073_111
; %bb.110:
	v_mov_b32_e32 v1, 0
	global_load_u16 v1, v1, s[0:1]
.LBB1073_111:
	v_cmp_eq_u32_e64 s12, 0, v66
	v_cmp_eq_u32_e64 s11, 0, v65
	;; [unrolled: 1-line block ×5, first 2 shown]
	v_cndmask_b32_e64 v2, 0, v80, s12
	v_cmp_eq_u32_e64 s8, 0, v61
	v_cmp_eq_u32_e64 s6, 0, v59
	;; [unrolled: 1-line block ×4, first 2 shown]
	v_add_nc_u16 v2, v2, v79
	v_cmp_eq_u32_e64 s3, 0, v56
	v_cmp_eq_u32_e64 s1, 0, v55
	v_add3_u32 v3, v87, v62, v61
	v_cmp_eq_u32_e64 s0, 0, v54
	v_cndmask_b32_e64 v2, 0, v2, s11
	v_cmp_eq_u32_e32 vcc_lo, 0, v53
	v_cmp_eq_u32_e64 s13, 0, v60
	v_add3_u32 v3, v3, v59, v58
	v_and_b32_e32 v20, 15, v84
	v_add_nc_u16 v2, v2, v78
	s_delay_alu instid0(VALU_DEP_3) | instskip(NEXT) | instid1(VALU_DEP_2)
	v_add3_u32 v3, v3, v57, v56
	v_cndmask_b32_e64 v2, 0, v2, s10
	s_delay_alu instid0(VALU_DEP_2) | instskip(NEXT) | instid1(VALU_DEP_2)
	v_add3_u32 v3, v3, v55, v54
	v_add_nc_u16 v2, v2, v77
	s_delay_alu instid0(VALU_DEP_2) | instskip(NEXT) | instid1(VALU_DEP_2)
	v_add3_u32 v3, v3, v53, v60
	v_cndmask_b32_e64 v2, 0, v2, s9
	s_delay_alu instid0(VALU_DEP_2) | instskip(NEXT) | instid1(VALU_DEP_2)
	v_mov_b32_dpp v21, v3 row_shr:1 row_mask:0xf bank_mask:0xf
	v_add_nc_u16 v2, v2, v76
	s_delay_alu instid0(VALU_DEP_1) | instskip(NEXT) | instid1(VALU_DEP_1)
	v_cndmask_b32_e64 v2, 0, v2, s7
	v_add_nc_u16 v2, v2, v75
	s_delay_alu instid0(VALU_DEP_1) | instskip(NEXT) | instid1(VALU_DEP_1)
	v_cndmask_b32_e64 v2, 0, v2, s8
	;; [unrolled: 3-line block ×8, first 2 shown]
	v_add_nc_u16 v2, v2, v68
	s_delay_alu instid0(VALU_DEP_1) | instskip(NEXT) | instid1(VALU_DEP_1)
	v_cndmask_b32_e32 v2, 0, v2, vcc_lo
	v_add_nc_u16 v2, v2, v67
	s_delay_alu instid0(VALU_DEP_1) | instskip(SKIP_1) | instid1(VALU_DEP_2)
	v_cndmask_b32_e64 v2, 0, v2, s13
	v_cmp_eq_u32_e64 s13, 0, v3
	v_add_nc_u16 v2, v2, v81
	s_delay_alu instid0(VALU_DEP_1) | instskip(NEXT) | instid1(VALU_DEP_1)
	v_and_b32_e32 v4, 0xffff, v2
	v_mov_b32_dpp v5, v4 row_shr:1 row_mask:0xf bank_mask:0xf
	s_delay_alu instid0(VALU_DEP_1) | instskip(SKIP_1) | instid1(VALU_DEP_2)
	v_cndmask_b32_e64 v5, 0, v5, s13
	v_cmp_eq_u32_e64 s13, 0, v20
	v_add_nc_u16 v5, v5, v2
	s_delay_alu instid0(VALU_DEP_2) | instskip(NEXT) | instid1(VALU_DEP_2)
	v_cndmask_b32_e64 v21, v21, 0, s13
	v_and_b32_e32 v22, 0xffff, v5
	s_delay_alu instid0(VALU_DEP_2) | instskip(SKIP_1) | instid1(VALU_DEP_3)
	v_add_nc_u32_e32 v3, v21, v3
	v_cndmask_b32_e64 v2, v5, v2, s13
	v_cndmask_b32_e64 v4, v22, v4, s13
	s_delay_alu instid0(VALU_DEP_3) | instskip(NEXT) | instid1(VALU_DEP_2)
	v_cmp_eq_u32_e64 s13, 0, v3
	v_mov_b32_dpp v21, v4 row_shr:2 row_mask:0xf bank_mask:0xf
	s_delay_alu instid0(VALU_DEP_1) | instskip(SKIP_2) | instid1(VALU_DEP_3)
	v_cndmask_b32_e64 v5, 0, v21, s13
	v_mov_b32_dpp v21, v3 row_shr:2 row_mask:0xf bank_mask:0xf
	v_cmp_lt_u32_e64 s13, 1, v20
	v_add_nc_u16 v5, v5, v2
	s_delay_alu instid0(VALU_DEP_1) | instskip(NEXT) | instid1(VALU_DEP_3)
	v_and_b32_e32 v22, 0xffff, v5
	v_cndmask_b32_e64 v2, v2, v5, s13
	v_cndmask_b32_e64 v5, 0, v21, s13
	s_delay_alu instid0(VALU_DEP_3) | instskip(NEXT) | instid1(VALU_DEP_2)
	v_cndmask_b32_e64 v4, v4, v22, s13
	v_add_nc_u32_e32 v3, v3, v5
	s_delay_alu instid0(VALU_DEP_2) | instskip(NEXT) | instid1(VALU_DEP_2)
	v_mov_b32_dpp v5, v4 row_shr:4 row_mask:0xf bank_mask:0xf
	v_cmp_eq_u32_e64 s13, 0, v3
	v_mov_b32_dpp v21, v3 row_shr:4 row_mask:0xf bank_mask:0xf
	s_delay_alu instid0(VALU_DEP_2) | instskip(SKIP_1) | instid1(VALU_DEP_2)
	v_cndmask_b32_e64 v5, 0, v5, s13
	v_cmp_lt_u32_e64 s13, 3, v20
	v_add_nc_u16 v5, v5, v2
	s_delay_alu instid0(VALU_DEP_1) | instskip(NEXT) | instid1(VALU_DEP_3)
	v_and_b32_e32 v22, 0xffff, v5
	v_cndmask_b32_e64 v2, v2, v5, s13
	v_cndmask_b32_e64 v5, 0, v21, s13
	s_delay_alu instid0(VALU_DEP_3) | instskip(NEXT) | instid1(VALU_DEP_2)
	v_cndmask_b32_e64 v4, v4, v22, s13
	v_add_nc_u32_e32 v3, v5, v3
	s_delay_alu instid0(VALU_DEP_2) | instskip(NEXT) | instid1(VALU_DEP_2)
	v_mov_b32_dpp v5, v4 row_shr:8 row_mask:0xf bank_mask:0xf
	v_cmp_eq_u32_e64 s13, 0, v3
	v_mov_b32_dpp v21, v3 row_shr:8 row_mask:0xf bank_mask:0xf
	s_delay_alu instid0(VALU_DEP_2) | instskip(SKIP_1) | instid1(VALU_DEP_2)
	v_cndmask_b32_e64 v5, 0, v5, s13
	v_cmp_lt_u32_e64 s13, 7, v20
	v_add_nc_u16 v5, v5, v2
	s_delay_alu instid0(VALU_DEP_1) | instskip(SKIP_3) | instid1(VALU_DEP_3)
	v_cndmask_b32_e64 v20, v2, v5, s13
	v_cndmask_b32_e64 v2, 0, v21, s13
	v_and_b32_e32 v5, 0xffff, v5
	v_bfe_i32 v21, v84, 4, 1
	v_add_nc_u32_e32 v2, v2, v3
	s_delay_alu instid0(VALU_DEP_3)
	v_cndmask_b32_e64 v3, v4, v5, s13
	v_and_b32_e32 v5, 16, v84
	ds_swizzle_b32 v4, v2 offset:swizzle(BROADCAST,32,15)
	ds_swizzle_b32 v3, v3 offset:swizzle(BROADCAST,32,15)
	v_cmp_ne_u32_e64 s13, 0, v5
	v_cmp_eq_u32_e64 s14, 0, v2
	s_delay_alu instid0(VALU_DEP_1)
	s_and_b32 s13, s13, s14
	s_mov_b32 s14, exec_lo
	s_waitcnt lgkmcnt(1)
	v_and_b32_e32 v4, v21, v4
	s_waitcnt lgkmcnt(0)
	v_cndmask_b32_e64 v3, 0, v3, s13
	s_delay_alu instid0(VALU_DEP_2) | instskip(NEXT) | instid1(VALU_DEP_2)
	v_add_nc_u32_e32 v2, v4, v2
	v_add_nc_u16 v3, v3, v20
	v_cmpx_eq_u32_e64 v86, v0
	s_cbranch_execz .LBB1073_113
; %bb.112:
	v_lshlrev_b32_e32 v4, 3, v85
	ds_store_b32 v4, v2 offset:2064
	ds_store_b16 v4, v3 offset:2068
.LBB1073_113:
	s_or_b32 exec_lo, exec_lo, s14
	s_delay_alu instid0(SALU_CYCLE_1)
	s_mov_b32 s15, exec_lo
	s_waitcnt vmcnt(0) lgkmcnt(0)
	s_barrier
	buffer_gl0_inv
	v_cmpx_gt_u32_e32 8, v0
	s_cbranch_execz .LBB1073_115
; %bb.114:
	v_lshlrev_b32_e32 v20, 3, v0
	v_and_b32_e32 v24, 7, v84
	ds_load_b64 v[4:5], v20 offset:2064
	v_cmp_lt_u32_e64 s14, 3, v24
	s_waitcnt lgkmcnt(0)
	v_mov_b32_dpp v21, v5 row_shr:1 row_mask:0xf bank_mask:0xf
	v_cmp_eq_u32_e64 s13, 0, v4
	v_and_b32_e32 v22, 0xffff0000, v5
	v_mov_b32_dpp v25, v4 row_shr:1 row_mask:0xf bank_mask:0xf
	s_delay_alu instid0(VALU_DEP_3) | instskip(SKIP_1) | instid1(VALU_DEP_2)
	v_cndmask_b32_e64 v21, 0, v21, s13
	v_cmp_eq_u32_e64 s13, 0, v24
	v_add_nc_u16 v21, v21, v5
	s_delay_alu instid0(VALU_DEP_2) | instskip(NEXT) | instid1(VALU_DEP_2)
	v_cndmask_b32_e64 v25, v25, 0, s13
	v_and_b32_e32 v23, 0xffff, v21
	s_delay_alu instid0(VALU_DEP_2) | instskip(NEXT) | instid1(VALU_DEP_2)
	v_add_nc_u32_e32 v4, v25, v4
	v_or_b32_e32 v23, v22, v23
	s_delay_alu instid0(VALU_DEP_1) | instskip(SKIP_1) | instid1(VALU_DEP_4)
	v_cndmask_b32_e64 v23, v23, v5, s13
	v_cndmask_b32_e64 v5, v21, v5, s13
	v_cmp_eq_u32_e64 s13, 0, v4
	s_delay_alu instid0(VALU_DEP_3) | instskip(NEXT) | instid1(VALU_DEP_1)
	v_mov_b32_dpp v25, v23 row_shr:2 row_mask:0xf bank_mask:0xf
	v_cndmask_b32_e64 v21, 0, v25, s13
	v_mov_b32_dpp v25, v4 row_shr:2 row_mask:0xf bank_mask:0xf
	v_cmp_lt_u32_e64 s13, 1, v24
	s_delay_alu instid0(VALU_DEP_3) | instskip(NEXT) | instid1(VALU_DEP_1)
	v_add_nc_u16 v21, v21, v5
	v_and_b32_e32 v26, 0xffff, v21
	s_delay_alu instid0(VALU_DEP_3) | instskip(SKIP_1) | instid1(VALU_DEP_3)
	v_cndmask_b32_e64 v5, v5, v21, s13
	v_cndmask_b32_e64 v21, 0, v25, s13
	v_or_b32_e32 v22, v22, v26
	s_delay_alu instid0(VALU_DEP_2) | instskip(NEXT) | instid1(VALU_DEP_2)
	v_add_nc_u32_e32 v4, v21, v4
	v_cndmask_b32_e64 v21, v23, v22, s13
	s_delay_alu instid0(VALU_DEP_2) | instskip(SKIP_1) | instid1(VALU_DEP_3)
	v_cmp_eq_u32_e64 s13, 0, v4
	v_mov_b32_dpp v22, v4 row_shr:4 row_mask:0xf bank_mask:0xf
	v_mov_b32_dpp v21, v21 row_shr:4 row_mask:0xf bank_mask:0xf
	s_delay_alu instid0(VALU_DEP_3) | instskip(NEXT) | instid1(VALU_DEP_2)
	s_and_b32 s13, s14, s13
	v_cndmask_b32_e64 v22, 0, v22, s14
	s_delay_alu instid0(VALU_DEP_2) | instskip(NEXT) | instid1(VALU_DEP_2)
	v_cndmask_b32_e64 v21, 0, v21, s13
	v_add_nc_u32_e32 v4, v22, v4
	s_delay_alu instid0(VALU_DEP_2)
	v_add_nc_u16 v5, v5, v21
	ds_store_b32 v20, v4 offset:2064
	ds_store_b16 v20, v5 offset:2068
.LBB1073_115:
	s_or_b32 exec_lo, exec_lo, s15
	v_dual_mov_b32 v4, 0 :: v_dual_mov_b32 v5, 0
	v_mov_b32_e32 v20, v1
	s_mov_b32 s14, exec_lo
	s_waitcnt lgkmcnt(0)
	s_barrier
	buffer_gl0_inv
	v_cmpx_lt_u32_e32 31, v0
	s_cbranch_execz .LBB1073_117
; %bb.116:
	v_lshlrev_b32_e32 v20, 3, v85
	ds_load_b32 v5, v20 offset:2056
	ds_load_u16 v20, v20 offset:2060
	s_waitcnt lgkmcnt(1)
	v_cmp_eq_u32_e64 s13, 0, v5
	s_delay_alu instid0(VALU_DEP_1) | instskip(SKIP_1) | instid1(VALU_DEP_1)
	v_cndmask_b32_e64 v21, 0, v1, s13
	s_waitcnt lgkmcnt(0)
	v_add_nc_u16 v20, v21, v20
.LBB1073_117:
	s_or_b32 exec_lo, exec_lo, s14
	v_add_nc_u32_e32 v21, -1, v84
	v_cmp_eq_u32_e64 s13, 0, v2
	v_add_nc_u32_e32 v2, v5, v2
	s_delay_alu instid0(VALU_DEP_2) | instskip(NEXT) | instid1(VALU_DEP_4)
	v_cndmask_b32_e64 v22, 0, v20, s13
	v_cmp_gt_i32_e64 s13, 0, v21
	s_delay_alu instid0(VALU_DEP_2) | instskip(NEXT) | instid1(VALU_DEP_2)
	v_add_nc_u16 v3, v22, v3
	v_cndmask_b32_e64 v21, v21, v84, s13
	v_cmp_eq_u32_e64 s13, 0, v84
	s_delay_alu instid0(VALU_DEP_3) | instskip(NEXT) | instid1(VALU_DEP_3)
	v_and_b32_e32 v3, 0xffff, v3
	v_lshlrev_b32_e32 v21, 2, v21
	ds_bpermute_b32 v3, v21, v3
	ds_bpermute_b32 v2, v21, v2
	s_waitcnt lgkmcnt(1)
	v_cndmask_b32_e64 v3, v3, v20, s13
	s_waitcnt lgkmcnt(0)
	v_cndmask_b32_e64 v2, v2, v5, s13
	v_cmp_eq_u32_e64 s13, 0, v83
	s_delay_alu instid0(VALU_DEP_3) | instskip(NEXT) | instid1(VALU_DEP_3)
	v_cndmask_b32_e64 v3, v3, v1, s2
	v_cndmask_b32_e64 v48, v2, 0, s2
	s_delay_alu instid0(VALU_DEP_2) | instskip(NEXT) | instid1(VALU_DEP_2)
	v_cndmask_b32_e64 v5, 0, v3, s13
	v_add_nc_u32_e32 v44, v48, v83
	v_and_b32_e32 v49, 0xffff, v3
	s_delay_alu instid0(VALU_DEP_3) | instskip(NEXT) | instid1(VALU_DEP_3)
	v_add_nc_u16 v5, v5, v80
	v_add_nc_u32_e32 v42, v44, v66
	s_delay_alu instid0(VALU_DEP_2) | instskip(NEXT) | instid1(VALU_DEP_2)
	v_cndmask_b32_e64 v20, 0, v5, s12
	v_add_nc_u32_e32 v40, v42, v65
	v_and_b32_e32 v45, 0xffff, v5
	s_delay_alu instid0(VALU_DEP_3) | instskip(NEXT) | instid1(VALU_DEP_3)
	v_add_nc_u16 v20, v20, v79
	v_add_nc_u32_e32 v28, v40, v64
	s_delay_alu instid0(VALU_DEP_2) | instskip(NEXT) | instid1(VALU_DEP_2)
	v_cndmask_b32_e64 v21, 0, v20, s11
	v_add_nc_u32_e32 v26, v28, v63
	v_and_b32_e32 v43, 0xffff, v20
	s_delay_alu instid0(VALU_DEP_3) | instskip(NEXT) | instid1(VALU_DEP_1)
	v_add_nc_u16 v21, v21, v78
	v_cndmask_b32_e64 v22, 0, v21, s10
	v_and_b32_e32 v41, 0xffff, v21
	s_delay_alu instid0(VALU_DEP_2) | instskip(NEXT) | instid1(VALU_DEP_1)
	v_add_nc_u16 v22, v22, v77
	v_cndmask_b32_e64 v23, 0, v22, s9
	v_and_b32_e32 v29, 0xffff, v22
	s_delay_alu instid0(VALU_DEP_2) | instskip(NEXT) | instid1(VALU_DEP_1)
	v_add_nc_u16 v23, v23, v76
	v_cndmask_b32_e64 v24, 0, v23, s7
	s_delay_alu instid0(VALU_DEP_1) | instskip(NEXT) | instid1(VALU_DEP_1)
	v_add_nc_u16 v25, v24, v75
	v_cndmask_b32_e64 v24, 0, v25, s8
	v_and_b32_e32 v25, 0xffff, v25
	s_delay_alu instid0(VALU_DEP_2) | instskip(SKIP_1) | instid1(VALU_DEP_2)
	v_add_nc_u16 v31, v24, v73
	v_add_nc_u32_e32 v24, v26, v62
	v_cndmask_b32_e64 v2, 0, v31, s6
	s_delay_alu instid0(VALU_DEP_2) | instskip(SKIP_1) | instid1(VALU_DEP_3)
	v_add_nc_u32_e32 v46, v24, v61
	v_and_b32_e32 v47, 0xffff, v31
	v_add_nc_u16 v33, v2, v71
	s_delay_alu instid0(VALU_DEP_3) | instskip(NEXT) | instid1(VALU_DEP_2)
	v_add_nc_u32_e32 v50, v46, v59
	v_cndmask_b32_e64 v2, 0, v33, s5
	s_delay_alu instid0(VALU_DEP_2) | instskip(SKIP_1) | instid1(VALU_DEP_3)
	v_add_nc_u32_e32 v38, v50, v58
	v_and_b32_e32 v51, 0xffff, v33
	v_add_nc_u16 v35, v2, v74
	s_delay_alu instid0(VALU_DEP_3) | instskip(NEXT) | instid1(VALU_DEP_2)
	v_add_nc_u32_e32 v36, v38, v57
	v_cndmask_b32_e64 v2, 0, v35, s4
	s_delay_alu instid0(VALU_DEP_2) | instskip(SKIP_1) | instid1(VALU_DEP_3)
	v_add_nc_u32_e32 v32, v36, v56
	v_and_b32_e32 v39, 0xffff, v35
	v_add_nc_u16 v37, v2, v72
	ds_load_b32 v2, v4 offset:2120
	ds_load_u16 v4, v4 offset:2124
	v_add_nc_u32_e32 v34, v32, v55
	v_cndmask_b32_e64 v27, 0, v37, s3
	v_and_b32_e32 v37, 0xffff, v37
	s_delay_alu instid0(VALU_DEP_3) | instskip(NEXT) | instid1(VALU_DEP_3)
	v_add_nc_u32_e32 v30, v34, v54
	v_add_nc_u16 v70, v27, v70
	s_delay_alu instid0(VALU_DEP_2) | instskip(NEXT) | instid1(VALU_DEP_2)
	v_add_nc_u32_e32 v22, v30, v53
	v_cndmask_b32_e64 v27, 0, v70, s1
	v_and_b32_e32 v33, 0xffff, v70
	s_delay_alu instid0(VALU_DEP_2) | instskip(SKIP_3) | instid1(VALU_DEP_3)
	v_add_nc_u16 v69, v27, v69
	s_waitcnt lgkmcnt(1)
	v_cmp_eq_u32_e64 s1, 0, v2
	v_and_b32_e32 v27, 0xffff, v23
	v_cndmask_b32_e64 v3, 0, v69, s0
	s_delay_alu instid0(VALU_DEP_3) | instskip(SKIP_1) | instid1(VALU_DEP_3)
	v_cndmask_b32_e64 v1, 0, v1, s1
	v_and_b32_e32 v35, 0xffff, v69
	v_add_nc_u16 v3, v3, v68
	s_waitcnt lgkmcnt(0)
	s_delay_alu instid0(VALU_DEP_3) | instskip(NEXT) | instid1(VALU_DEP_2)
	v_add_nc_u16 v82, v1, v4
	v_cndmask_b32_e32 v5, 0, v3, vcc_lo
	v_and_b32_e32 v31, 0xffff, v3
	s_delay_alu instid0(VALU_DEP_2) | instskip(NEXT) | instid1(VALU_DEP_1)
	v_add_nc_u16 v5, v5, v67
	v_and_b32_e32 v23, 0xffff, v5
	s_and_saveexec_b32 s0, s2
	s_cbranch_execz .LBB1073_119
; %bb.118:
	s_add_u32 s4, s24, 0x200
	v_dual_mov_b32 v4, 2 :: v_dual_and_b32 v1, 0xff00, v82
	s_addc_u32 s5, s25, 0
	v_and_b32_e32 v3, 0xff, v82
	v_dual_mov_b32 v21, s5 :: v_dual_mov_b32 v20, s4
	v_mov_b32_e32 v5, 0
	s_delay_alu instid0(VALU_DEP_3)
	v_or_b32_e32 v3, v1, v3
	;;#ASMSTART
	global_store_dwordx4 v[20:21], v[2:5] off	
s_waitcnt vmcnt(0)
	;;#ASMEND
.LBB1073_119:
	s_or_b32 exec_lo, exec_lo, s0
	v_mov_b32_e32 v4, 0
.LBB1073_120:
	v_mov_b32_e32 v20, 0
	s_and_b32 s0, s16, exec_lo
	v_mov_b32_e32 v21, 0
	s_cselect_b32 s1, 0, s43
	s_cselect_b32 s0, 0, s42
	s_delay_alu instid0(SALU_CYCLE_1)
	s_cmp_eq_u64 s[0:1], 0
	s_barrier
	buffer_gl0_inv
	s_cbranch_scc1 .LBB1073_122
; %bb.121:
	v_mov_b32_e32 v1, 0
	global_load_b64 v[20:21], v1, s[0:1]
.LBB1073_122:
	v_cmp_gt_u32_e32 vcc_lo, 0x100, v2
	s_cbranch_vccnz .LBB1073_171
; %bb.123:
	v_cmp_eq_u32_e32 vcc_lo, 0, v66
	v_cmp_eq_u32_e64 s0, 0, v54
	v_cmp_eq_u32_e64 s1, 0, v53
	v_cmp_ne_u32_e64 s12, 0, v83
	v_cmp_ne_u32_e64 s3, 0, v55
	v_cndmask_b32_e64 v1, 1, 2, vcc_lo
	v_cmp_eq_u32_e32 vcc_lo, 0, v83
	v_cndmask_b32_e64 v67, 1, 2, s1
	v_cmp_ne_u32_e64 s1, 0, v54
	v_cmp_ne_u32_e64 s4, 0, v56
	;; [unrolled: 1-line block ×3, first 2 shown]
	v_cndmask_b32_e64 v3, 1, 2, vcc_lo
	v_cmp_eq_u32_e32 vcc_lo, 0, v65
	v_cmp_ne_u32_e64 s6, 0, v58
	v_cmp_ne_u32_e64 s7, 0, v59
	;; [unrolled: 1-line block ×3, first 2 shown]
	v_and_b32_e32 v1, v1, v3
	v_cndmask_b32_e64 v5, 1, 2, vcc_lo
	v_cmp_eq_u32_e32 vcc_lo, 0, v64
	v_cmp_ne_u32_e64 s9, 0, v62
	v_cmp_ne_u32_e64 s10, 0, v63
	;; [unrolled: 1-line block ×3, first 2 shown]
	v_and_b32_e32 v1, v1, v5
	v_cndmask_b32_e64 v3, 1, 2, vcc_lo
	v_cmp_eq_u32_e32 vcc_lo, 0, v63
	v_cmp_ne_u32_e64 s13, 0, v65
	v_cmp_ne_u32_e64 s14, 0, v66
	s_mov_b32 s17, 0
	v_and_b32_e32 v1, v1, v3
	v_cndmask_b32_e64 v5, 1, 2, vcc_lo
	v_cmp_eq_u32_e32 vcc_lo, 0, v62
	s_mov_b32 s16, exec_lo
	s_delay_alu instid0(VALU_DEP_2) | instskip(SKIP_2) | instid1(VALU_DEP_2)
	v_and_b32_e32 v1, v1, v5
	v_cndmask_b32_e64 v3, 1, 2, vcc_lo
	v_cmp_eq_u32_e32 vcc_lo, 0, v61
	v_and_b32_e32 v1, v1, v3
	v_cndmask_b32_e64 v5, 1, 2, vcc_lo
	v_cmp_eq_u32_e32 vcc_lo, 0, v59
	s_delay_alu instid0(VALU_DEP_2) | instskip(SKIP_2) | instid1(VALU_DEP_2)
	v_and_b32_e32 v1, v1, v5
	v_cndmask_b32_e64 v3, 1, 2, vcc_lo
	v_cmp_eq_u32_e32 vcc_lo, 0, v58
	v_and_b32_e32 v1, v1, v3
	v_cndmask_b32_e64 v5, 1, 2, vcc_lo
	v_cmp_eq_u32_e32 vcc_lo, 0, v57
	;; [unrolled: 7-line block ×3, first 2 shown]
	s_delay_alu instid0(VALU_DEP_2) | instskip(SKIP_4) | instid1(VALU_DEP_4)
	v_and_b32_e32 v1, v1, v5
	v_cndmask_b32_e64 v3, 1, 2, vcc_lo
	v_cndmask_b32_e64 v5, 1, 2, s0
	v_cmp_eq_u32_e64 s0, 0, v60
	v_cmp_ne_u32_e32 vcc_lo, 0, v60
	v_and_b32_e32 v1, v1, v3
	s_delay_alu instid0(VALU_DEP_3) | instskip(SKIP_1) | instid1(VALU_DEP_3)
	v_cndmask_b32_e64 v3, 1, 2, s0
	v_cmp_ne_u32_e64 s0, 0, v53
	v_and_b32_e32 v1, v1, v5
	s_delay_alu instid0(VALU_DEP_1) | instskip(NEXT) | instid1(VALU_DEP_1)
	v_and_b32_e32 v1, v1, v67
	v_and_b32_e32 v1, v1, v3
	s_delay_alu instid0(VALU_DEP_1)
	v_cmpx_gt_i16_e32 2, v1
	s_cbranch_execz .LBB1073_170
; %bb.124:
	v_cmp_ne_u16_e64 s15, 1, v1
	s_delay_alu instid0(VALU_DEP_1) | instskip(NEXT) | instid1(SALU_CYCLE_1)
	s_and_saveexec_b32 s18, s15
	s_xor_b32 s15, exec_lo, s18
	s_cbranch_execz .LBB1073_148
; %bb.125:
	s_and_saveexec_b32 s17, s12
	s_cbranch_execz .LBB1073_153
; %bb.126:
	v_sub_nc_u32_e32 v1, v48, v4
	s_delay_alu instid0(VALU_DEP_1)
	v_lshlrev_b32_e32 v1, 2, v1
	ds_store_b32 v1, v18
	s_or_b32 exec_lo, exec_lo, s17
	s_and_saveexec_b32 s12, s14
	s_cbranch_execnz .LBB1073_154
.LBB1073_127:
	s_or_b32 exec_lo, exec_lo, s12
	s_and_saveexec_b32 s12, s13
	s_cbranch_execz .LBB1073_155
.LBB1073_128:
	v_sub_nc_u32_e32 v1, v42, v4
	s_delay_alu instid0(VALU_DEP_1)
	v_lshlrev_b32_e32 v1, 2, v1
	ds_store_b32 v1, v16
	s_or_b32 exec_lo, exec_lo, s12
	s_and_saveexec_b32 s12, s11
	s_cbranch_execnz .LBB1073_156
.LBB1073_129:
	s_or_b32 exec_lo, exec_lo, s12
	s_and_saveexec_b32 s11, s10
	s_cbranch_execz .LBB1073_157
.LBB1073_130:
	v_sub_nc_u32_e32 v1, v28, v4
	s_delay_alu instid0(VALU_DEP_1)
	v_lshlrev_b32_e32 v1, 2, v1
	ds_store_b32 v1, v14
	s_or_b32 exec_lo, exec_lo, s11
	s_and_saveexec_b32 s10, s9
	s_cbranch_execnz .LBB1073_158
.LBB1073_131:
	s_or_b32 exec_lo, exec_lo, s10
	s_and_saveexec_b32 s9, s8
	s_cbranch_execz .LBB1073_159
.LBB1073_132:
	v_sub_nc_u32_e32 v1, v24, v4
	s_delay_alu instid0(VALU_DEP_1)
	v_lshlrev_b32_e32 v1, 2, v1
	ds_store_b32 v1, v12
	s_or_b32 exec_lo, exec_lo, s9
	s_and_saveexec_b32 s8, s7
	s_cbranch_execnz .LBB1073_160
.LBB1073_133:
	s_or_b32 exec_lo, exec_lo, s8
	s_and_saveexec_b32 s7, s6
	s_cbranch_execz .LBB1073_161
.LBB1073_134:
	v_sub_nc_u32_e32 v1, v50, v4
	s_delay_alu instid0(VALU_DEP_1)
	v_lshlrev_b32_e32 v1, 2, v1
	ds_store_b32 v1, v10
	s_or_b32 exec_lo, exec_lo, s7
	s_and_saveexec_b32 s6, s5
	s_cbranch_execnz .LBB1073_162
.LBB1073_135:
	s_or_b32 exec_lo, exec_lo, s6
	s_and_saveexec_b32 s5, s4
	s_cbranch_execz .LBB1073_163
.LBB1073_136:
	v_sub_nc_u32_e32 v1, v36, v4
	s_delay_alu instid0(VALU_DEP_1)
	v_lshlrev_b32_e32 v1, 2, v1
	ds_store_b32 v1, v8
	s_or_b32 exec_lo, exec_lo, s5
	s_and_saveexec_b32 s4, s3
	s_cbranch_execnz .LBB1073_164
.LBB1073_137:
	s_or_b32 exec_lo, exec_lo, s4
	s_and_saveexec_b32 s3, s1
	s_cbranch_execz .LBB1073_165
.LBB1073_138:
	v_sub_nc_u32_e32 v1, v34, v4
	s_delay_alu instid0(VALU_DEP_1)
	v_lshlrev_b32_e32 v1, 2, v1
	ds_store_b32 v1, v6
	s_or_b32 exec_lo, exec_lo, s3
	s_and_saveexec_b32 s1, s0
	s_cbranch_execnz .LBB1073_166
	s_branch .LBB1073_167
.LBB1073_139:
	s_mov_b32 s45, 0
                                        ; implicit-def: $sgpr0
                                        ; implicit-def: $vgpr60
                                        ; implicit-def: $vgpr53
                                        ; implicit-def: $vgpr54
                                        ; implicit-def: $vgpr55
                                        ; implicit-def: $vgpr56
                                        ; implicit-def: $vgpr57
                                        ; implicit-def: $vgpr58
                                        ; implicit-def: $vgpr59
                                        ; implicit-def: $vgpr61
                                        ; implicit-def: $vgpr62
                                        ; implicit-def: $vgpr63
                                        ; implicit-def: $vgpr64
                                        ; implicit-def: $vgpr65
                                        ; implicit-def: $vgpr66
	s_cbranch_execz .LBB1073_73
; %bb.140:
	v_cmp_ne_u32_e32 vcc_lo, v7, v52
	v_lshlrev_b32_e32 v3, 2, v0
                                        ; implicit-def: $sgpr0
	v_cndmask_b32_e64 v60, 0, 1, vcc_lo
	v_cmp_ne_u32_e32 vcc_lo, v6, v7
	ds_store_b32 v3, v52
	s_waitcnt lgkmcnt(0)
	s_barrier
	buffer_gl0_inv
	v_cndmask_b32_e64 v53, 0, 1, vcc_lo
	v_cmp_ne_u32_e32 vcc_lo, v9, v6
	v_cndmask_b32_e64 v54, 0, 1, vcc_lo
	v_cmp_ne_u32_e32 vcc_lo, v8, v9
	;; [unrolled: 2-line block ×12, first 2 shown]
	v_cndmask_b32_e64 v66, 0, 1, vcc_lo
	s_and_saveexec_b32 s1, s3
	s_delay_alu instid0(SALU_CYCLE_1)
	s_xor_b32 s1, exec_lo, s1
	s_cbranch_execz .LBB1073_142
; %bb.141:
	v_add_nc_u32_e32 v3, -4, v3
	s_or_b32 s45, s45, exec_lo
	ds_load_b32 v3, v3
	s_waitcnt lgkmcnt(0)
	v_cmp_ne_u32_e32 vcc_lo, v3, v18
	s_and_b32 s0, vcc_lo, exec_lo
.LBB1073_142:
	s_or_b32 exec_lo, exec_lo, s1
	s_mov_b32 s1, 1
	s_branch .LBB1073_75
.LBB1073_143:
	s_mul_hi_u32 s0, s18, 0xfffff100
	s_mul_i32 s1, s19, 0xfffff100
	s_sub_i32 s0, s0, s18
	s_mul_i32 s4, s18, 0xfffff100
	s_add_i32 s0, s0, s1
	s_add_u32 s28, s4, s40
	s_addc_u32 s29, s0, s41
	s_and_b32 vcc_lo, exec_lo, s15
	s_cbranch_vccz .LBB1073_150
; %bb.144:
	v_add_co_u32 v2, vcc_lo, -4, v2
	v_add_co_ci_u32_e32 v3, vcc_lo, -1, v1, vcc_lo
	v_mad_u32_u24 v1, v0, 15, 14
	v_cmp_ne_u32_e64 s8, v7, v52
	v_cmp_ne_u32_e64 s10, v9, v6
	flat_load_b32 v5, v[2:3]
	v_mov_b32_e32 v2, 0
	v_cmp_ne_u32_e64 s12, v11, v8
	v_cmp_ne_u32_e64 s11, v8, v9
	v_lshlrev_b32_e32 v4, 2, v0
	v_mul_u32_u24_e32 v3, 15, v0
	v_cmp_gt_u64_e32 vcc_lo, s[28:29], v[1:2]
	v_mad_u32_u24 v1, v0, 15, 13
	s_mov_b32 s45, -1
	s_mov_b32 s14, 0
	ds_store_b32 v4, v52
	s_waitcnt vmcnt(0) lgkmcnt(0)
	v_cmp_gt_u64_e64 s0, s[28:29], v[1:2]
	v_mad_u32_u24 v1, v0, 15, 12
	s_and_b32 s15, vcc_lo, s8
	v_cmp_ne_u32_e64 s8, v6, v7
	s_barrier
	buffer_gl0_inv
	v_cmp_gt_u64_e64 s1, s[28:29], v[1:2]
	v_mad_u32_u24 v1, v0, 15, 11
	s_and_b32 s16, s0, s8
	v_cmp_ne_u32_e64 s8, v15, v12
	s_delay_alu instid0(VALU_DEP_2) | instskip(SKIP_3) | instid1(VALU_DEP_2)
	v_cmp_gt_u64_e64 s4, s[28:29], v[1:2]
	v_mad_u32_u24 v1, v0, 15, 10
	s_and_b32 s17, s1, s10
	v_cmp_ne_u32_e64 s1, v10, v11
	v_cmp_gt_u64_e64 s5, s[28:29], v[1:2]
	v_mad_u32_u24 v1, v0, 15, 9
	s_and_b32 s11, s4, s11
	v_cmp_ne_u32_e64 s4, v13, v10
	s_delay_alu instid0(VALU_DEP_2) | instskip(SKIP_3) | instid1(VALU_DEP_2)
	v_cmp_gt_u64_e64 s6, s[28:29], v[1:2]
	v_mad_u32_u24 v1, v0, 15, 8
	s_and_b32 s12, s5, s12
	v_cmp_ne_u32_e64 s5, v12, v13
	v_cmp_gt_u64_e64 s7, s[28:29], v[1:2]
	v_mad_u32_u24 v1, v0, 15, 7
	s_and_b32 s18, s6, s1
	v_cmp_ne_u32_e64 s1, v14, v15
	v_cmp_ne_u32_e64 s6, v19, v16
	s_delay_alu instid0(VALU_DEP_3) | instskip(SKIP_3) | instid1(VALU_DEP_2)
	v_cmp_gt_u64_e64 s9, s[28:29], v[1:2]
	v_mad_u32_u24 v1, v0, 15, 6
	s_and_b32 s19, s7, s4
	v_cmp_ne_u32_e64 s4, v17, v14
	v_cmp_gt_u64_e32 vcc_lo, s[28:29], v[1:2]
	v_mad_u32_u24 v1, v0, 15, 5
	s_and_b32 s20, s9, s5
	v_cmp_ne_u32_e64 s5, v16, v17
	s_delay_alu instid0(VALU_DEP_2) | instskip(SKIP_3) | instid1(VALU_DEP_2)
	v_cmp_gt_u64_e64 s13, s[28:29], v[1:2]
	v_mad_u32_u24 v1, v0, 15, 4
	s_and_b32 s9, vcc_lo, s8
	v_cmp_ne_u32_e64 s8, v18, v19
	v_cmp_gt_u64_e64 s0, s[28:29], v[1:2]
	v_mad_u32_u24 v1, v0, 15, 3
	s_and_b32 s13, s13, s1
	s_delay_alu instid0(VALU_DEP_1) | instskip(SKIP_1) | instid1(VALU_DEP_4)
	v_cmp_gt_u64_e64 s10, s[28:29], v[1:2]
	v_mad_u32_u24 v1, v0, 15, 2
	s_and_b32 s0, s0, s4
	s_delay_alu instid0(VALU_DEP_1) | instskip(SKIP_1) | instid1(VALU_DEP_4)
	v_cmp_gt_u64_e32 vcc_lo, s[28:29], v[1:2]
	v_mad_u32_u24 v1, v0, 15, 1
	s_and_b32 s5, s10, s5
	s_delay_alu instid0(VALU_DEP_1) | instskip(SKIP_1) | instid1(VALU_DEP_1)
	v_cmp_gt_u64_e64 s7, s[28:29], v[1:2]
	s_and_b32 s1, vcc_lo, s6
	s_and_b32 s4, s7, s8
	s_and_saveexec_b32 s6, s3
	s_cbranch_execz .LBB1073_146
; %bb.145:
	v_add_nc_u32_e32 v1, -4, v4
	ds_load_b32 v5, v1
.LBB1073_146:
	s_or_b32 exec_lo, exec_lo, s6
	v_mov_b32_e32 v4, v2
	v_cndmask_b32_e64 v63, 0, 1, s0
	s_waitcnt lgkmcnt(0)
	v_cmp_ne_u32_e64 s0, v5, v18
	v_cndmask_b32_e64 v60, 0, 1, s15
	v_cndmask_b32_e64 v53, 0, 1, s16
	v_cmp_gt_u64_e32 vcc_lo, s[28:29], v[3:4]
	v_cndmask_b32_e64 v54, 0, 1, s17
	v_cndmask_b32_e64 v55, 0, 1, s11
	;; [unrolled: 1-line block ×11, first 2 shown]
	s_and_b32 s0, vcc_lo, s0
	s_and_b32 vcc_lo, exec_lo, s14
	s_cbranch_vccnz .LBB1073_151
.LBB1073_147:
                                        ; implicit-def: $sgpr1
	v_mov_b32_e32 v83, s1
	s_and_saveexec_b32 s1, s45
	s_cbranch_execnz .LBB1073_76
	s_branch .LBB1073_77
.LBB1073_148:
	s_and_not1_saveexec_b32 s0, s15
	s_cbranch_execz .LBB1073_168
.LBB1073_149:
	v_sub_nc_u32_e32 v1, v48, v4
	v_sub_nc_u32_e32 v3, v44, v4
	;; [unrolled: 1-line block ×4, first 2 shown]
	s_or_b32 s17, s17, exec_lo
	v_lshlrev_b32_e32 v1, 2, v1
	v_lshlrev_b32_e32 v3, 2, v3
	;; [unrolled: 1-line block ×4, first 2 shown]
	ds_store_b32 v1, v18
	ds_store_b32 v3, v19
	ds_store_b32 v5, v16
	v_sub_nc_u32_e32 v1, v28, v4
	v_sub_nc_u32_e32 v3, v26, v4
	;; [unrolled: 1-line block ×4, first 2 shown]
	ds_store_b32 v67, v17
	v_lshlrev_b32_e32 v1, 2, v1
	v_sub_nc_u32_e32 v17, v50, v4
	v_lshlrev_b32_e32 v3, 2, v3
	v_lshlrev_b32_e32 v5, 2, v5
	;; [unrolled: 1-line block ×3, first 2 shown]
	ds_store_b32 v1, v14
	v_lshlrev_b32_e32 v1, 2, v17
	ds_store_b32 v3, v15
	ds_store_b32 v5, v12
	;; [unrolled: 1-line block ×3, first 2 shown]
	v_sub_nc_u32_e32 v3, v38, v4
	v_sub_nc_u32_e32 v12, v30, v4
	;; [unrolled: 1-line block ×3, first 2 shown]
	ds_store_b32 v1, v10
	v_sub_nc_u32_e32 v1, v36, v4
	v_lshlrev_b32_e32 v3, 2, v3
	v_sub_nc_u32_e32 v10, v34, v4
	v_lshlrev_b32_e32 v5, 2, v5
	s_delay_alu instid0(VALU_DEP_4)
	v_lshlrev_b32_e32 v1, 2, v1
	ds_store_b32 v3, v11
	v_lshlrev_b32_e32 v3, 2, v12
	v_lshlrev_b32_e32 v10, 2, v10
	ds_store_b32 v1, v8
	ds_store_b32 v5, v9
	ds_store_b32 v10, v6
	ds_store_b32 v3, v7
	s_or_b32 exec_lo, exec_lo, s0
	s_delay_alu instid0(SALU_CYCLE_1)
	s_and_b32 exec_lo, exec_lo, s17
	s_cbranch_execnz .LBB1073_169
	s_branch .LBB1073_170
.LBB1073_150:
                                        ; implicit-def: $sgpr0
                                        ; implicit-def: $vgpr60
                                        ; implicit-def: $vgpr53
                                        ; implicit-def: $vgpr54
                                        ; implicit-def: $vgpr55
                                        ; implicit-def: $vgpr56
                                        ; implicit-def: $vgpr57
                                        ; implicit-def: $vgpr58
                                        ; implicit-def: $vgpr59
                                        ; implicit-def: $vgpr61
                                        ; implicit-def: $vgpr62
                                        ; implicit-def: $vgpr63
                                        ; implicit-def: $vgpr64
                                        ; implicit-def: $vgpr65
                                        ; implicit-def: $vgpr66
	s_cbranch_execz .LBB1073_147
.LBB1073_151:
	v_mad_u32_u24 v1, v0, 15, 14
	v_dual_mov_b32 v2, 0 :: v_dual_lshlrev_b32 v3, 2, v0
	v_cmp_ne_u32_e64 s7, v6, v7
	v_cmp_ne_u32_e64 s6, v7, v52
	;; [unrolled: 1-line block ×3, first 2 shown]
	s_delay_alu instid0(VALU_DEP_4)
	v_cmp_gt_u64_e32 vcc_lo, s[28:29], v[1:2]
	v_mad_u32_u24 v1, v0, 15, 13
	v_cmp_ne_u32_e64 s10, v8, v9
	v_cmp_ne_u32_e64 s11, v11, v8
	;; [unrolled: 1-line block ×4, first 2 shown]
	v_cmp_gt_u64_e64 s0, s[28:29], v[1:2]
	v_mad_u32_u24 v1, v0, 15, 12
	s_and_b32 s6, vcc_lo, s6
	v_cmp_ne_u32_e64 s15, v12, v13
	v_cmp_ne_u32_e64 s16, v15, v12
	v_cmp_ne_u32_e64 s17, v14, v15
	v_cmp_gt_u64_e64 s1, s[28:29], v[1:2]
	v_mad_u32_u24 v1, v0, 15, 11
	s_and_b32 s0, s0, s7
	v_cmp_ne_u32_e64 s18, v17, v14
	v_cndmask_b32_e64 v53, 0, 1, s0
	v_cmp_ne_u32_e64 s20, v16, v17
	v_cmp_gt_u64_e64 s4, s[28:29], v[1:2]
	v_mad_u32_u24 v1, v0, 15, 10
	s_and_b32 s0, s1, s8
	v_cmp_ne_u32_e64 s21, v19, v16
	v_cndmask_b32_e64 v54, 0, 1, s0
	v_cmp_ne_u32_e64 s22, v18, v19
	v_cmp_gt_u64_e64 s5, s[28:29], v[1:2]
	v_mad_u32_u24 v1, v0, 15, 9
	s_and_b32 s0, s4, s10
	v_cndmask_b32_e64 v60, 0, 1, s6
	v_cndmask_b32_e64 v55, 0, 1, s0
	ds_store_b32 v3, v52
	v_cmp_gt_u64_e64 s9, s[28:29], v[1:2]
	v_mad_u32_u24 v1, v0, 15, 8
	s_and_b32 s1, s5, s11
	s_waitcnt lgkmcnt(0)
	v_cndmask_b32_e64 v56, 0, 1, s1
	s_barrier
	v_cmp_gt_u64_e64 s14, s[28:29], v[1:2]
	v_mad_u32_u24 v1, v0, 15, 7
	s_and_b32 s1, s9, s12
	buffer_gl0_inv
	v_cndmask_b32_e64 v57, 0, 1, s1
	v_cmp_gt_u64_e64 s19, s[28:29], v[1:2]
	v_mad_u32_u24 v1, v0, 15, 6
	s_and_b32 s4, s14, s13
	s_delay_alu instid0(SALU_CYCLE_1) | instskip(NEXT) | instid1(VALU_DEP_2)
	v_cndmask_b32_e64 v58, 0, 1, s4
	v_cmp_gt_u64_e64 s23, s[28:29], v[1:2]
	v_mad_u32_u24 v1, v0, 15, 5
	s_and_b32 s4, s19, s15
	s_delay_alu instid0(SALU_CYCLE_1) | instskip(NEXT) | instid1(VALU_DEP_2)
	v_cndmask_b32_e64 v59, 0, 1, s4
	v_cmp_gt_u64_e32 vcc_lo, s[28:29], v[1:2]
	v_mad_u32_u24 v1, v0, 15, 4
	s_and_b32 s5, s23, s16
	s_delay_alu instid0(SALU_CYCLE_1) | instskip(NEXT) | instid1(VALU_DEP_2)
	v_cndmask_b32_e64 v61, 0, 1, s5
	v_cmp_gt_u64_e64 s0, s[28:29], v[1:2]
	v_mad_u32_u24 v1, v0, 15, 3
	s_and_b32 s5, vcc_lo, s17
	s_delay_alu instid0(SALU_CYCLE_1) | instskip(NEXT) | instid1(VALU_DEP_2)
	v_cndmask_b32_e64 v62, 0, 1, s5
	v_cmp_gt_u64_e64 s1, s[28:29], v[1:2]
	v_mad_u32_u24 v1, v0, 15, 2
	s_and_b32 s0, s0, s18
	s_delay_alu instid0(SALU_CYCLE_1) | instskip(NEXT) | instid1(VALU_DEP_2)
	v_cndmask_b32_e64 v63, 0, 1, s0
	v_cmp_gt_u64_e64 s4, s[28:29], v[1:2]
	v_mad_u32_u24 v1, v0, 15, 1
	s_and_b32 s0, s1, s20
	s_mov_b32 s1, 1
	v_cndmask_b32_e64 v64, 0, 1, s0
	s_delay_alu instid0(VALU_DEP_2) | instskip(SKIP_1) | instid1(SALU_CYCLE_1)
	v_cmp_gt_u64_e32 vcc_lo, s[28:29], v[1:2]
	s_and_b32 s0, s4, s21
	v_cndmask_b32_e64 v65, 0, 1, s0
	s_and_b32 s0, vcc_lo, s22
	s_delay_alu instid0(SALU_CYCLE_1)
	v_cndmask_b32_e64 v66, 0, 1, s0
                                        ; implicit-def: $sgpr0
	s_and_saveexec_b32 s4, s3
	s_cbranch_execz .LBB1073_209
; %bb.152:
	v_add_nc_u32_e32 v1, -4, v3
	s_or_b32 s45, s45, exec_lo
	ds_load_b32 v3, v1
	v_mul_u32_u24_e32 v1, 15, v0
	s_delay_alu instid0(VALU_DEP_1) | instskip(SKIP_2) | instid1(VALU_DEP_1)
	v_cmp_gt_u64_e32 vcc_lo, s[28:29], v[1:2]
	s_waitcnt lgkmcnt(0)
	v_cmp_ne_u32_e64 s0, v3, v18
	s_and_b32 s0, vcc_lo, s0
	s_delay_alu instid0(SALU_CYCLE_1)
	s_and_b32 s0, s0, exec_lo
	s_or_b32 exec_lo, exec_lo, s4
	v_mov_b32_e32 v83, s1
	s_and_saveexec_b32 s1, s45
	s_cbranch_execz .LBB1073_77
	s_branch .LBB1073_76
.LBB1073_153:
	s_or_b32 exec_lo, exec_lo, s17
	s_and_saveexec_b32 s12, s14
	s_cbranch_execz .LBB1073_127
.LBB1073_154:
	v_sub_nc_u32_e32 v1, v44, v4
	s_delay_alu instid0(VALU_DEP_1)
	v_lshlrev_b32_e32 v1, 2, v1
	ds_store_b32 v1, v19
	s_or_b32 exec_lo, exec_lo, s12
	s_and_saveexec_b32 s12, s13
	s_cbranch_execnz .LBB1073_128
.LBB1073_155:
	s_or_b32 exec_lo, exec_lo, s12
	s_and_saveexec_b32 s12, s11
	s_cbranch_execz .LBB1073_129
.LBB1073_156:
	v_sub_nc_u32_e32 v1, v40, v4
	s_delay_alu instid0(VALU_DEP_1)
	v_lshlrev_b32_e32 v1, 2, v1
	ds_store_b32 v1, v17
	s_or_b32 exec_lo, exec_lo, s12
	s_and_saveexec_b32 s11, s10
	s_cbranch_execnz .LBB1073_130
.LBB1073_157:
	s_or_b32 exec_lo, exec_lo, s11
	s_and_saveexec_b32 s10, s9
	s_cbranch_execz .LBB1073_131
.LBB1073_158:
	v_sub_nc_u32_e32 v1, v26, v4
	s_delay_alu instid0(VALU_DEP_1)
	v_lshlrev_b32_e32 v1, 2, v1
	ds_store_b32 v1, v15
	s_or_b32 exec_lo, exec_lo, s10
	s_and_saveexec_b32 s9, s8
	s_cbranch_execnz .LBB1073_132
.LBB1073_159:
	s_or_b32 exec_lo, exec_lo, s9
	s_and_saveexec_b32 s8, s7
	s_cbranch_execz .LBB1073_133
.LBB1073_160:
	v_sub_nc_u32_e32 v1, v46, v4
	s_delay_alu instid0(VALU_DEP_1)
	v_lshlrev_b32_e32 v1, 2, v1
	ds_store_b32 v1, v13
	s_or_b32 exec_lo, exec_lo, s8
	s_and_saveexec_b32 s7, s6
	s_cbranch_execnz .LBB1073_134
.LBB1073_161:
	s_or_b32 exec_lo, exec_lo, s7
	s_and_saveexec_b32 s6, s5
	s_cbranch_execz .LBB1073_135
.LBB1073_162:
	v_sub_nc_u32_e32 v1, v38, v4
	s_delay_alu instid0(VALU_DEP_1)
	v_lshlrev_b32_e32 v1, 2, v1
	ds_store_b32 v1, v11
	s_or_b32 exec_lo, exec_lo, s6
	s_and_saveexec_b32 s5, s4
	s_cbranch_execnz .LBB1073_136
.LBB1073_163:
	s_or_b32 exec_lo, exec_lo, s5
	s_and_saveexec_b32 s4, s3
	s_cbranch_execz .LBB1073_137
.LBB1073_164:
	v_sub_nc_u32_e32 v1, v32, v4
	s_delay_alu instid0(VALU_DEP_1)
	v_lshlrev_b32_e32 v1, 2, v1
	ds_store_b32 v1, v9
	s_or_b32 exec_lo, exec_lo, s4
	s_and_saveexec_b32 s3, s1
	s_cbranch_execnz .LBB1073_138
.LBB1073_165:
	s_or_b32 exec_lo, exec_lo, s3
	s_and_saveexec_b32 s1, s0
	s_cbranch_execz .LBB1073_167
.LBB1073_166:
	v_sub_nc_u32_e32 v1, v30, v4
	s_delay_alu instid0(VALU_DEP_1)
	v_lshlrev_b32_e32 v1, 2, v1
	ds_store_b32 v1, v7
.LBB1073_167:
	s_or_b32 exec_lo, exec_lo, s1
	s_delay_alu instid0(SALU_CYCLE_1)
	s_and_b32 s17, vcc_lo, exec_lo
                                        ; implicit-def: $vgpr18
                                        ; implicit-def: $vgpr16
                                        ; implicit-def: $vgpr14
                                        ; implicit-def: $vgpr12
                                        ; implicit-def: $vgpr10
                                        ; implicit-def: $vgpr8
                                        ; implicit-def: $vgpr6
	s_and_not1_saveexec_b32 s0, s15
	s_cbranch_execnz .LBB1073_149
.LBB1073_168:
	s_or_b32 exec_lo, exec_lo, s0
	s_delay_alu instid0(SALU_CYCLE_1)
	s_and_b32 exec_lo, exec_lo, s17
	s_cbranch_execz .LBB1073_170
.LBB1073_169:
	v_sub_nc_u32_e32 v1, v22, v4
	s_delay_alu instid0(VALU_DEP_1)
	v_lshlrev_b32_e32 v1, 2, v1
	ds_store_b32 v1, v52
.LBB1073_170:
	s_or_b32 exec_lo, exec_lo, s16
	s_waitcnt vmcnt(0) lgkmcnt(0)
	s_barrier
	buffer_gl0_inv
.LBB1073_171:
	s_cmpk_lg_i32 s31, 0xf00
	v_mad_i32_i24 v7, v0, -15, s31
	s_cselect_b32 s0, -1, 0
	s_and_b32 s1, s2, s33
	s_and_b32 s0, s0, s30
	v_cndmask_b32_e64 v8, v83, 0, s1
	v_cndmask_b32_e64 v6, 0, 1, s0
	s_mul_hi_u32 s0, s31, 0x88888889
	v_cndmask_b32_e64 v1, 0, 1, s33
	s_lshr_b32 s0, s0, 3
	s_mov_b32 s16, -1
	v_cmp_eq_u32_e32 vcc_lo, s0, v0
	v_cmp_ne_u32_e64 s0, 0, v7
	v_sub_nc_u32_e32 v3, v2, v1
	s_waitcnt vmcnt(0)
	s_barrier
	s_and_b32 vcc_lo, vcc_lo, s30
	v_cndmask_b32_e64 v9, 1, v8, s0
	v_cmp_ne_u32_e64 s0, 1, v7
	v_mov_b32_e32 v5, 0
	buffer_gl0_inv
	v_cndmask_b32_e32 v16, v8, v9, vcc_lo
	v_cndmask_b32_e64 v10, 1, v66, s0
	v_cmp_ne_u32_e64 s0, 2, v7
	s_delay_alu instid0(VALU_DEP_3) | instskip(NEXT) | instid1(VALU_DEP_3)
	v_cmp_ne_u32_e64 s14, 0, v16
	v_cndmask_b32_e32 v17, v66, v10, vcc_lo
	s_delay_alu instid0(VALU_DEP_3) | instskip(SKIP_1) | instid1(VALU_DEP_2)
	v_cndmask_b32_e64 v11, 1, v65, s0
	v_cmp_ne_u32_e64 s0, 14, v7
	v_dual_cndmask_b32 v18, v65, v11 :: v_dual_add_nc_u32 v3, v3, v6
	s_delay_alu instid0(VALU_DEP_2) | instskip(SKIP_1) | instid1(VALU_DEP_3)
	v_cndmask_b32_e64 v12, 1, v60, s0
	v_cmp_ne_u32_e64 s0, 3, v7
	v_cmp_ne_u32_e64 s12, 0, v18
	s_delay_alu instid0(VALU_DEP_2) | instskip(SKIP_1) | instid1(VALU_DEP_1)
	v_cndmask_b32_e64 v13, 1, v64, s0
	v_cmp_ne_u32_e64 s0, 4, v7
	v_cndmask_b32_e64 v14, 1, v63, s0
	v_cmp_ne_u32_e64 s0, 5, v7
	s_delay_alu instid0(VALU_DEP_2) | instskip(NEXT) | instid1(VALU_DEP_2)
	v_dual_cndmask_b32 v15, v60, v12 :: v_dual_cndmask_b32 v14, v63, v14
	v_cndmask_b32_e64 v8, 1, v62, s0
	v_cmp_ne_u32_e64 s0, 6, v7
	s_delay_alu instid0(VALU_DEP_3) | instskip(NEXT) | instid1(VALU_DEP_3)
	v_cmp_ne_u32_e64 s10, 0, v14
	v_cndmask_b32_e32 v62, v62, v8, vcc_lo
	s_delay_alu instid0(VALU_DEP_3) | instskip(SKIP_1) | instid1(VALU_DEP_2)
	v_cndmask_b32_e64 v9, 1, v61, s0
	v_cmp_eq_u32_e64 s0, 0, v16
	v_cndmask_b32_e32 v61, v61, v9, vcc_lo
	s_delay_alu instid0(VALU_DEP_2) | instskip(SKIP_1) | instid1(VALU_DEP_3)
	v_cndmask_b32_e64 v10, 1, 2, s0
	v_cmp_eq_u32_e64 s0, 0, v17
	v_cmp_ne_u32_e64 s8, 0, v61
	s_delay_alu instid0(VALU_DEP_2) | instskip(SKIP_1) | instid1(VALU_DEP_2)
	v_cndmask_b32_e64 v12, 1, 2, s0
	v_cmp_ne_u32_e64 s0, 7, v7
	v_and_b32_e32 v10, v12, v10
	s_delay_alu instid0(VALU_DEP_2) | instskip(SKIP_1) | instid1(VALU_DEP_2)
	v_cndmask_b32_e64 v11, 1, v59, s0
	v_cmp_eq_u32_e64 s0, 0, v18
	v_cndmask_b32_e32 v59, v59, v11, vcc_lo
	s_delay_alu instid0(VALU_DEP_2) | instskip(SKIP_2) | instid1(VALU_DEP_4)
	v_cndmask_b32_e64 v12, 1, 2, s0
	v_cmp_ne_u32_e64 s0, 8, v7
	v_cndmask_b32_e32 v13, v64, v13, vcc_lo
	v_cmp_ne_u32_e64 s7, 0, v59
	s_delay_alu instid0(VALU_DEP_4) | instskip(NEXT) | instid1(VALU_DEP_4)
	v_and_b32_e32 v10, v10, v12
	v_cndmask_b32_e64 v19, 1, v58, s0
	v_cmp_ne_u32_e64 s0, 9, v7
	v_cmp_ne_u32_e64 s11, 0, v13
	s_delay_alu instid0(VALU_DEP_3) | instskip(NEXT) | instid1(VALU_DEP_3)
	v_cndmask_b32_e32 v19, v58, v19, vcc_lo
	v_cndmask_b32_e64 v52, 1, v57, s0
	v_cmp_eq_u32_e64 s0, 0, v13
	s_delay_alu instid0(VALU_DEP_3) | instskip(NEXT) | instid1(VALU_DEP_3)
	v_cmp_ne_u32_e64 s6, 0, v19
	v_cndmask_b32_e32 v52, v57, v52, vcc_lo
	s_delay_alu instid0(VALU_DEP_3) | instskip(SKIP_1) | instid1(VALU_DEP_2)
	v_cndmask_b32_e64 v12, 1, 2, s0
	v_cmp_ne_u32_e64 s0, 10, v7
	v_and_b32_e32 v8, v10, v12
	s_delay_alu instid0(VALU_DEP_2) | instskip(SKIP_1) | instid1(VALU_DEP_2)
	v_cndmask_b32_e64 v60, 1, v56, s0
	v_cmp_eq_u32_e64 s0, 0, v14
	v_cndmask_b32_e32 v56, v56, v60, vcc_lo
	s_delay_alu instid0(VALU_DEP_2) | instskip(SKIP_2) | instid1(VALU_DEP_4)
	v_cndmask_b32_e64 v10, 1, 2, s0
	v_cmp_ne_u32_e64 s0, 11, v7
	v_cmp_ne_u32_e64 s13, 0, v17
	;; [unrolled: 1-line block ×3, first 2 shown]
	s_delay_alu instid0(VALU_DEP_3) | instskip(SKIP_1) | instid1(VALU_DEP_2)
	v_cndmask_b32_e64 v12, 1, v55, s0
	v_cmp_ne_u32_e64 s0, 13, v7
	v_dual_cndmask_b32 v55, v55, v12 :: v_dual_and_b32 v8, v8, v10
	s_delay_alu instid0(VALU_DEP_2) | instskip(NEXT) | instid1(VALU_DEP_2)
	v_cndmask_b32_e64 v63, 1, v53, s0
	v_cmp_ne_u32_e64 s3, 0, v55
	s_delay_alu instid0(VALU_DEP_2) | instskip(SKIP_2) | instid1(VALU_DEP_3)
	v_cndmask_b32_e32 v53, v53, v63, vcc_lo
	v_cmp_eq_u32_e64 s0, 0, v62
	v_cmp_ne_u32_e64 s9, 0, v62
	v_cmp_ne_u32_e64 s1, 0, v53
	s_delay_alu instid0(VALU_DEP_3) | instskip(SKIP_1) | instid1(VALU_DEP_2)
	v_cndmask_b32_e64 v10, 1, 2, s0
	v_cmp_ne_u32_e64 s0, 12, v7
	v_and_b32_e32 v8, v8, v10
	s_delay_alu instid0(VALU_DEP_2) | instskip(SKIP_1) | instid1(VALU_DEP_1)
	v_cndmask_b32_e64 v7, 1, v54, s0
	v_cmp_eq_u32_e64 s0, 0, v61
	v_cndmask_b32_e64 v9, 1, 2, s0
	v_cmp_eq_u32_e64 s0, 0, v59
	s_delay_alu instid0(VALU_DEP_4) | instskip(SKIP_1) | instid1(VALU_DEP_4)
	v_cndmask_b32_e32 v54, v54, v7, vcc_lo
	v_cmp_eq_u32_e32 vcc_lo, 0, v19
	v_and_b32_e32 v11, v8, v9
	v_lshlrev_b64 v[7:8], 1, v[20:21]
	v_cndmask_b32_e64 v12, 1, 2, s0
	v_lshlrev_b64 v[9:10], 1, v[4:5]
	v_cmp_ne_u32_e64 s2, 0, v54
	v_cmp_ne_u32_e64 s0, 0, v15
	s_delay_alu instid0(VALU_DEP_4) | instskip(SKIP_4) | instid1(VALU_DEP_4)
	v_and_b32_e32 v5, v11, v12
	v_cndmask_b32_e64 v11, 1, 2, vcc_lo
	v_add_co_u32 v7, vcc_lo, s36, v7
	v_add_co_ci_u32_e32 v8, vcc_lo, s37, v8, vcc_lo
	v_cmp_eq_u32_e32 vcc_lo, 0, v52
	v_and_b32_e32 v5, v5, v11
	v_cndmask_b32_e64 v11, 1, 2, vcc_lo
	v_add_co_u32 v9, vcc_lo, v7, v9
	v_add_co_ci_u32_e32 v10, vcc_lo, v8, v10, vcc_lo
	v_lshlrev_b32_e32 v7, 1, v1
	v_cmp_eq_u32_e32 vcc_lo, 0, v56
	v_and_b32_e32 v5, v5, v11
	v_cmp_ne_u32_e64 s5, 0, v52
	v_cndmask_b32_e64 v8, 1, 2, vcc_lo
	v_add_co_u32 v7, vcc_lo, v7, v9
	v_add_co_ci_u32_e32 v12, vcc_lo, 0, v10, vcc_lo
	v_cmp_eq_u32_e32 vcc_lo, 0, v55
	s_delay_alu instid0(VALU_DEP_4)
	v_and_b32_e32 v8, v5, v8
	v_add_nc_u32_e32 v5, v4, v1
	v_cndmask_b32_e64 v57, 1, 2, vcc_lo
	v_add_co_u32 v11, vcc_lo, v7, -2
	v_add_co_ci_u32_e32 v12, vcc_lo, -1, v12, vcc_lo
	v_cmp_eq_u32_e32 vcc_lo, 0, v54
	s_delay_alu instid0(VALU_DEP_4) | instskip(SKIP_2) | instid1(VALU_DEP_2)
	v_and_b32_e32 v7, v8, v57
	v_cndmask_b32_e64 v8, 1, 2, vcc_lo
	v_cmp_eq_u32_e32 vcc_lo, 0, v53
	v_and_b32_e32 v7, v7, v8
	v_cndmask_b32_e64 v8, 1, 2, vcc_lo
	v_cmp_eq_u32_e32 vcc_lo, 0, v15
	s_delay_alu instid0(VALU_DEP_2) | instskip(SKIP_2) | instid1(VALU_DEP_2)
	v_and_b32_e32 v7, v7, v8
	v_cndmask_b32_e64 v8, 1, 2, vcc_lo
	v_cmp_gt_u32_e32 vcc_lo, 0x100, v3
	v_and_b32_e32 v7, v7, v8
	s_delay_alu instid0(VALU_DEP_1)
	v_cmp_gt_i16_e64 s15, 2, v7
	s_cbranch_vccz .LBB1073_188
; %bb.172:
	s_delay_alu instid0(VALU_DEP_1)
	s_and_saveexec_b32 s16, s15
	s_cbranch_execz .LBB1073_227
; %bb.173:
	s_mov_b32 s17, 0
	s_mov_b32 s15, exec_lo
	v_cmpx_ne_u16_e32 1, v7
	s_xor_b32 s15, exec_lo, s15
	s_cbranch_execz .LBB1073_205
; %bb.174:
	s_and_saveexec_b32 s17, s14
	s_cbranch_execz .LBB1073_210
; %bb.175:
	v_sub_nc_u32_e32 v13, v48, v5
	v_mov_b32_e32 v14, 0
	s_delay_alu instid0(VALU_DEP_1) | instskip(NEXT) | instid1(VALU_DEP_1)
	v_lshlrev_b64 v[13:14], 1, v[13:14]
	v_add_co_u32 v13, vcc_lo, v11, v13
	s_delay_alu instid0(VALU_DEP_2)
	v_add_co_ci_u32_e32 v14, vcc_lo, v12, v14, vcc_lo
	global_store_b16 v[13:14], v49, off
	s_or_b32 exec_lo, exec_lo, s17
	s_and_saveexec_b32 s17, s13
	s_cbranch_execnz .LBB1073_211
.LBB1073_176:
	s_or_b32 exec_lo, exec_lo, s17
	s_and_saveexec_b32 s17, s12
	s_cbranch_execz .LBB1073_212
.LBB1073_177:
	v_sub_nc_u32_e32 v13, v42, v5
	v_mov_b32_e32 v14, 0
	s_delay_alu instid0(VALU_DEP_1) | instskip(NEXT) | instid1(VALU_DEP_1)
	v_lshlrev_b64 v[13:14], 1, v[13:14]
	v_add_co_u32 v13, vcc_lo, v11, v13
	s_delay_alu instid0(VALU_DEP_2)
	v_add_co_ci_u32_e32 v14, vcc_lo, v12, v14, vcc_lo
	global_store_b16 v[13:14], v43, off
	s_or_b32 exec_lo, exec_lo, s17
	s_and_saveexec_b32 s17, s11
	s_cbranch_execnz .LBB1073_213
.LBB1073_178:
	s_or_b32 exec_lo, exec_lo, s17
	s_and_saveexec_b32 s17, s10
	s_cbranch_execz .LBB1073_214
.LBB1073_179:
	v_sub_nc_u32_e32 v13, v28, v5
	v_mov_b32_e32 v14, 0
	s_delay_alu instid0(VALU_DEP_1) | instskip(NEXT) | instid1(VALU_DEP_1)
	v_lshlrev_b64 v[13:14], 1, v[13:14]
	v_add_co_u32 v13, vcc_lo, v11, v13
	s_delay_alu instid0(VALU_DEP_2)
	v_add_co_ci_u32_e32 v14, vcc_lo, v12, v14, vcc_lo
	global_store_b16 v[13:14], v29, off
	s_or_b32 exec_lo, exec_lo, s17
	s_and_saveexec_b32 s17, s9
	s_cbranch_execnz .LBB1073_215
.LBB1073_180:
	s_or_b32 exec_lo, exec_lo, s17
	s_and_saveexec_b32 s17, s8
	s_cbranch_execz .LBB1073_216
.LBB1073_181:
	v_sub_nc_u32_e32 v13, v24, v5
	v_mov_b32_e32 v14, 0
	s_delay_alu instid0(VALU_DEP_1) | instskip(NEXT) | instid1(VALU_DEP_1)
	v_lshlrev_b64 v[13:14], 1, v[13:14]
	v_add_co_u32 v13, vcc_lo, v11, v13
	s_delay_alu instid0(VALU_DEP_2)
	v_add_co_ci_u32_e32 v14, vcc_lo, v12, v14, vcc_lo
	global_store_b16 v[13:14], v25, off
	s_or_b32 exec_lo, exec_lo, s17
	s_and_saveexec_b32 s17, s7
	s_cbranch_execnz .LBB1073_217
.LBB1073_182:
	s_or_b32 exec_lo, exec_lo, s17
	s_and_saveexec_b32 s17, s6
	s_cbranch_execz .LBB1073_218
.LBB1073_183:
	v_sub_nc_u32_e32 v13, v50, v5
	v_mov_b32_e32 v14, 0
	s_delay_alu instid0(VALU_DEP_1) | instskip(NEXT) | instid1(VALU_DEP_1)
	v_lshlrev_b64 v[13:14], 1, v[13:14]
	v_add_co_u32 v13, vcc_lo, v11, v13
	s_delay_alu instid0(VALU_DEP_2)
	v_add_co_ci_u32_e32 v14, vcc_lo, v12, v14, vcc_lo
	global_store_b16 v[13:14], v51, off
	s_or_b32 exec_lo, exec_lo, s17
	s_and_saveexec_b32 s17, s5
	s_cbranch_execnz .LBB1073_219
.LBB1073_184:
	s_or_b32 exec_lo, exec_lo, s17
	s_and_saveexec_b32 s17, s4
	s_cbranch_execz .LBB1073_220
.LBB1073_185:
	v_sub_nc_u32_e32 v13, v36, v5
	v_mov_b32_e32 v14, 0
	s_delay_alu instid0(VALU_DEP_1) | instskip(NEXT) | instid1(VALU_DEP_1)
	v_lshlrev_b64 v[13:14], 1, v[13:14]
	v_add_co_u32 v13, vcc_lo, v11, v13
	s_delay_alu instid0(VALU_DEP_2)
	v_add_co_ci_u32_e32 v14, vcc_lo, v12, v14, vcc_lo
	global_store_b16 v[13:14], v37, off
	s_or_b32 exec_lo, exec_lo, s17
	s_and_saveexec_b32 s17, s3
	s_cbranch_execnz .LBB1073_221
.LBB1073_186:
	s_or_b32 exec_lo, exec_lo, s17
	s_and_saveexec_b32 s17, s2
	s_cbranch_execz .LBB1073_222
.LBB1073_187:
	v_sub_nc_u32_e32 v13, v34, v5
	v_mov_b32_e32 v14, 0
	s_delay_alu instid0(VALU_DEP_1) | instskip(NEXT) | instid1(VALU_DEP_1)
	v_lshlrev_b64 v[13:14], 1, v[13:14]
	v_add_co_u32 v13, vcc_lo, v11, v13
	s_delay_alu instid0(VALU_DEP_2)
	v_add_co_ci_u32_e32 v14, vcc_lo, v12, v14, vcc_lo
	global_store_b16 v[13:14], v35, off
	s_or_b32 exec_lo, exec_lo, s17
	s_and_saveexec_b32 s17, s1
	s_cbranch_execnz .LBB1073_223
	s_branch .LBB1073_224
.LBB1073_188:
	s_and_b32 vcc_lo, exec_lo, s16
	s_cbranch_vccz .LBB1073_228
; %bb.189:
	s_mov_b32 s15, exec_lo
	v_cmpx_gt_i16_e32 2, v7
	s_cbranch_execz .LBB1073_246
; %bb.190:
	s_mov_b32 s17, 0
	s_mov_b32 s16, exec_lo
	v_cmpx_ne_u16_e32 1, v7
	s_xor_b32 s16, exec_lo, s16
	s_cbranch_execz .LBB1073_207
; %bb.191:
	s_and_saveexec_b32 s17, s14
	s_cbranch_execz .LBB1073_229
; %bb.192:
	v_sub_nc_u32_e32 v7, v48, v5
	s_delay_alu instid0(VALU_DEP_1)
	v_lshlrev_b32_e32 v7, 1, v7
	ds_store_b16 v7, v49
	s_or_b32 exec_lo, exec_lo, s17
	s_and_saveexec_b32 s14, s13
	s_cbranch_execnz .LBB1073_230
.LBB1073_193:
	s_or_b32 exec_lo, exec_lo, s14
	s_and_saveexec_b32 s13, s12
	s_cbranch_execz .LBB1073_231
.LBB1073_194:
	v_sub_nc_u32_e32 v7, v42, v5
	s_delay_alu instid0(VALU_DEP_1)
	v_lshlrev_b32_e32 v7, 1, v7
	ds_store_b16 v7, v43
	s_or_b32 exec_lo, exec_lo, s13
	s_and_saveexec_b32 s12, s11
	s_cbranch_execnz .LBB1073_232
.LBB1073_195:
	s_or_b32 exec_lo, exec_lo, s12
	s_and_saveexec_b32 s11, s10
	s_cbranch_execz .LBB1073_233
.LBB1073_196:
	v_sub_nc_u32_e32 v7, v28, v5
	s_delay_alu instid0(VALU_DEP_1)
	v_lshlrev_b32_e32 v7, 1, v7
	ds_store_b16 v7, v29
	s_or_b32 exec_lo, exec_lo, s11
	s_and_saveexec_b32 s10, s9
	s_cbranch_execnz .LBB1073_234
.LBB1073_197:
	s_or_b32 exec_lo, exec_lo, s10
	s_and_saveexec_b32 s9, s8
	s_cbranch_execz .LBB1073_235
.LBB1073_198:
	v_sub_nc_u32_e32 v7, v24, v5
	s_delay_alu instid0(VALU_DEP_1)
	v_lshlrev_b32_e32 v7, 1, v7
	ds_store_b16 v7, v25
	s_or_b32 exec_lo, exec_lo, s9
	s_and_saveexec_b32 s8, s7
	s_cbranch_execnz .LBB1073_236
.LBB1073_199:
	s_or_b32 exec_lo, exec_lo, s8
	s_and_saveexec_b32 s7, s6
	s_cbranch_execz .LBB1073_237
.LBB1073_200:
	v_sub_nc_u32_e32 v7, v50, v5
	s_delay_alu instid0(VALU_DEP_1)
	v_lshlrev_b32_e32 v7, 1, v7
	ds_store_b16 v7, v51
	s_or_b32 exec_lo, exec_lo, s7
	s_and_saveexec_b32 s6, s5
	s_cbranch_execnz .LBB1073_238
.LBB1073_201:
	s_or_b32 exec_lo, exec_lo, s6
	s_and_saveexec_b32 s5, s4
	s_cbranch_execz .LBB1073_239
.LBB1073_202:
	v_sub_nc_u32_e32 v7, v36, v5
	s_delay_alu instid0(VALU_DEP_1)
	v_lshlrev_b32_e32 v7, 1, v7
	ds_store_b16 v7, v37
	s_or_b32 exec_lo, exec_lo, s5
	s_and_saveexec_b32 s4, s3
	s_cbranch_execnz .LBB1073_240
.LBB1073_203:
	s_or_b32 exec_lo, exec_lo, s4
	s_and_saveexec_b32 s3, s2
	s_cbranch_execz .LBB1073_241
.LBB1073_204:
	v_sub_nc_u32_e32 v7, v34, v5
	s_delay_alu instid0(VALU_DEP_1)
	v_lshlrev_b32_e32 v7, 1, v7
	ds_store_b16 v7, v35
	s_or_b32 exec_lo, exec_lo, s3
	s_and_saveexec_b32 s2, s1
	s_cbranch_execnz .LBB1073_242
	s_branch .LBB1073_243
.LBB1073_205:
	s_and_not1_saveexec_b32 s15, s15
	s_cbranch_execz .LBB1073_225
.LBB1073_206:
	v_sub_nc_u32_e32 v13, v48, v5
	v_mov_b32_e32 v14, 0
	s_or_b32 s17, s17, exec_lo
	s_delay_alu instid0(VALU_DEP_1) | instskip(SKIP_1) | instid1(VALU_DEP_1)
	v_lshlrev_b64 v[15:16], 1, v[13:14]
	v_sub_nc_u32_e32 v13, v44, v5
	v_lshlrev_b64 v[17:18], 1, v[13:14]
	v_sub_nc_u32_e32 v13, v42, v5
	s_delay_alu instid0(VALU_DEP_4) | instskip(SKIP_1) | instid1(VALU_DEP_3)
	v_add_co_u32 v15, vcc_lo, v11, v15
	v_add_co_ci_u32_e32 v16, vcc_lo, v12, v16, vcc_lo
	v_lshlrev_b64 v[52:53], 1, v[13:14]
	v_sub_nc_u32_e32 v13, v40, v5
	v_add_co_u32 v17, vcc_lo, v11, v17
	v_add_co_ci_u32_e32 v18, vcc_lo, v12, v18, vcc_lo
	global_store_b16 v[15:16], v49, off
	v_lshlrev_b64 v[15:16], 1, v[13:14]
	v_sub_nc_u32_e32 v13, v28, v5
	global_store_b16 v[17:18], v45, off
	v_add_co_u32 v17, vcc_lo, v11, v52
	v_add_co_ci_u32_e32 v18, vcc_lo, v12, v53, vcc_lo
	v_lshlrev_b64 v[52:53], 1, v[13:14]
	v_sub_nc_u32_e32 v13, v26, v5
	v_add_co_u32 v15, vcc_lo, v11, v15
	v_add_co_ci_u32_e32 v16, vcc_lo, v12, v16, vcc_lo
	s_delay_alu instid0(VALU_DEP_3) | instskip(SKIP_3) | instid1(VALU_DEP_3)
	v_lshlrev_b64 v[54:55], 1, v[13:14]
	v_sub_nc_u32_e32 v13, v24, v5
	v_add_co_u32 v52, vcc_lo, v11, v52
	v_add_co_ci_u32_e32 v53, vcc_lo, v12, v53, vcc_lo
	v_lshlrev_b64 v[56:57], 1, v[13:14]
	v_sub_nc_u32_e32 v13, v46, v5
	v_add_co_u32 v54, vcc_lo, v11, v54
	v_add_co_ci_u32_e32 v55, vcc_lo, v12, v55, vcc_lo
	s_clause 0x3
	global_store_b16 v[17:18], v43, off
	global_store_b16 v[15:16], v41, off
	;; [unrolled: 1-line block ×4, first 2 shown]
	v_lshlrev_b64 v[15:16], 1, v[13:14]
	v_sub_nc_u32_e32 v13, v50, v5
	v_add_co_u32 v17, vcc_lo, v11, v56
	v_add_co_ci_u32_e32 v18, vcc_lo, v12, v57, vcc_lo
	s_delay_alu instid0(VALU_DEP_3) | instskip(SKIP_3) | instid1(VALU_DEP_3)
	v_lshlrev_b64 v[52:53], 1, v[13:14]
	v_sub_nc_u32_e32 v13, v38, v5
	v_add_co_u32 v15, vcc_lo, v11, v15
	v_add_co_ci_u32_e32 v16, vcc_lo, v12, v16, vcc_lo
	v_lshlrev_b64 v[54:55], 1, v[13:14]
	v_sub_nc_u32_e32 v13, v36, v5
	v_add_co_u32 v52, vcc_lo, v11, v52
	v_add_co_ci_u32_e32 v53, vcc_lo, v12, v53, vcc_lo
	s_delay_alu instid0(VALU_DEP_3)
	v_lshlrev_b64 v[56:57], 1, v[13:14]
	v_sub_nc_u32_e32 v13, v32, v5
	v_add_co_u32 v54, vcc_lo, v11, v54
	v_add_co_ci_u32_e32 v55, vcc_lo, v12, v55, vcc_lo
	s_clause 0x3
	global_store_b16 v[17:18], v25, off
	global_store_b16 v[15:16], v47, off
	;; [unrolled: 1-line block ×4, first 2 shown]
	v_lshlrev_b64 v[15:16], 1, v[13:14]
	v_sub_nc_u32_e32 v13, v34, v5
	v_add_co_u32 v17, vcc_lo, v11, v56
	v_add_co_ci_u32_e32 v18, vcc_lo, v12, v57, vcc_lo
	s_delay_alu instid0(VALU_DEP_3) | instskip(SKIP_3) | instid1(VALU_DEP_3)
	v_lshlrev_b64 v[52:53], 1, v[13:14]
	v_sub_nc_u32_e32 v13, v30, v5
	v_add_co_u32 v15, vcc_lo, v11, v15
	v_add_co_ci_u32_e32 v16, vcc_lo, v12, v16, vcc_lo
	v_lshlrev_b64 v[13:14], 1, v[13:14]
	v_add_co_u32 v52, vcc_lo, v11, v52
	v_add_co_ci_u32_e32 v53, vcc_lo, v12, v53, vcc_lo
	s_clause 0x2
	global_store_b16 v[17:18], v37, off
	global_store_b16 v[15:16], v33, off
	;; [unrolled: 1-line block ×3, first 2 shown]
	v_add_co_u32 v13, vcc_lo, v11, v13
	v_add_co_ci_u32_e32 v14, vcc_lo, v12, v14, vcc_lo
	global_store_b16 v[13:14], v31, off
	s_or_b32 exec_lo, exec_lo, s15
	s_delay_alu instid0(SALU_CYCLE_1)
	s_and_b32 exec_lo, exec_lo, s17
	s_cbranch_execnz .LBB1073_226
	s_branch .LBB1073_227
.LBB1073_207:
	s_and_not1_saveexec_b32 s0, s16
	s_cbranch_execz .LBB1073_244
.LBB1073_208:
	v_sub_nc_u32_e32 v7, v48, v5
	v_sub_nc_u32_e32 v8, v44, v5
	;; [unrolled: 1-line block ×5, first 2 shown]
	v_lshlrev_b32_e32 v7, 1, v7
	v_lshlrev_b32_e32 v8, 1, v8
	;; [unrolled: 1-line block ×4, first 2 shown]
	s_or_b32 s17, s17, exec_lo
	ds_store_b16 v7, v49
	ds_store_b16 v8, v45
	;; [unrolled: 1-line block ×3, first 2 shown]
	v_sub_nc_u32_e32 v7, v28, v5
	v_sub_nc_u32_e32 v8, v26, v5
	;; [unrolled: 1-line block ×3, first 2 shown]
	ds_store_b16 v14, v41
	v_sub_nc_u32_e32 v14, v46, v5
	v_lshlrev_b32_e32 v7, 1, v7
	v_lshlrev_b32_e32 v8, 1, v8
	;; [unrolled: 1-line block ×3, first 2 shown]
	s_delay_alu instid0(VALU_DEP_4)
	v_lshlrev_b32_e32 v14, 1, v14
	ds_store_b16 v7, v29
	v_lshlrev_b32_e32 v7, 1, v15
	ds_store_b16 v8, v27
	ds_store_b16 v13, v25
	;; [unrolled: 1-line block ×3, first 2 shown]
	v_sub_nc_u32_e32 v8, v38, v5
	v_sub_nc_u32_e32 v15, v30, v5
	;; [unrolled: 1-line block ×3, first 2 shown]
	ds_store_b16 v7, v51
	v_sub_nc_u32_e32 v7, v36, v5
	v_lshlrev_b32_e32 v8, 1, v8
	v_sub_nc_u32_e32 v14, v34, v5
	v_lshlrev_b32_e32 v13, 1, v13
	s_delay_alu instid0(VALU_DEP_4)
	v_lshlrev_b32_e32 v7, 1, v7
	ds_store_b16 v8, v39
	v_lshlrev_b32_e32 v8, 1, v15
	v_lshlrev_b32_e32 v14, 1, v14
	ds_store_b16 v7, v37
	ds_store_b16 v13, v33
	;; [unrolled: 1-line block ×4, first 2 shown]
	s_or_b32 exec_lo, exec_lo, s0
	s_delay_alu instid0(SALU_CYCLE_1)
	s_and_b32 exec_lo, exec_lo, s17
	s_cbranch_execnz .LBB1073_245
	s_branch .LBB1073_246
.LBB1073_209:
	s_or_b32 exec_lo, exec_lo, s4
	v_mov_b32_e32 v83, s1
	s_and_saveexec_b32 s1, s45
	s_cbranch_execnz .LBB1073_76
	s_branch .LBB1073_77
.LBB1073_210:
	s_or_b32 exec_lo, exec_lo, s17
	s_and_saveexec_b32 s17, s13
	s_cbranch_execz .LBB1073_176
.LBB1073_211:
	v_sub_nc_u32_e32 v13, v44, v5
	v_mov_b32_e32 v14, 0
	s_delay_alu instid0(VALU_DEP_1) | instskip(NEXT) | instid1(VALU_DEP_1)
	v_lshlrev_b64 v[13:14], 1, v[13:14]
	v_add_co_u32 v13, vcc_lo, v11, v13
	s_delay_alu instid0(VALU_DEP_2)
	v_add_co_ci_u32_e32 v14, vcc_lo, v12, v14, vcc_lo
	global_store_b16 v[13:14], v45, off
	s_or_b32 exec_lo, exec_lo, s17
	s_and_saveexec_b32 s17, s12
	s_cbranch_execnz .LBB1073_177
.LBB1073_212:
	s_or_b32 exec_lo, exec_lo, s17
	s_and_saveexec_b32 s17, s11
	s_cbranch_execz .LBB1073_178
.LBB1073_213:
	v_sub_nc_u32_e32 v13, v40, v5
	v_mov_b32_e32 v14, 0
	s_delay_alu instid0(VALU_DEP_1) | instskip(NEXT) | instid1(VALU_DEP_1)
	v_lshlrev_b64 v[13:14], 1, v[13:14]
	v_add_co_u32 v13, vcc_lo, v11, v13
	s_delay_alu instid0(VALU_DEP_2)
	v_add_co_ci_u32_e32 v14, vcc_lo, v12, v14, vcc_lo
	global_store_b16 v[13:14], v41, off
	s_or_b32 exec_lo, exec_lo, s17
	s_and_saveexec_b32 s17, s10
	s_cbranch_execnz .LBB1073_179
.LBB1073_214:
	s_or_b32 exec_lo, exec_lo, s17
	s_and_saveexec_b32 s17, s9
	s_cbranch_execz .LBB1073_180
.LBB1073_215:
	v_sub_nc_u32_e32 v13, v26, v5
	v_mov_b32_e32 v14, 0
	s_delay_alu instid0(VALU_DEP_1) | instskip(NEXT) | instid1(VALU_DEP_1)
	v_lshlrev_b64 v[13:14], 1, v[13:14]
	v_add_co_u32 v13, vcc_lo, v11, v13
	s_delay_alu instid0(VALU_DEP_2)
	v_add_co_ci_u32_e32 v14, vcc_lo, v12, v14, vcc_lo
	global_store_b16 v[13:14], v27, off
	s_or_b32 exec_lo, exec_lo, s17
	s_and_saveexec_b32 s17, s8
	s_cbranch_execnz .LBB1073_181
.LBB1073_216:
	s_or_b32 exec_lo, exec_lo, s17
	s_and_saveexec_b32 s17, s7
	s_cbranch_execz .LBB1073_182
.LBB1073_217:
	v_sub_nc_u32_e32 v13, v46, v5
	v_mov_b32_e32 v14, 0
	s_delay_alu instid0(VALU_DEP_1) | instskip(NEXT) | instid1(VALU_DEP_1)
	v_lshlrev_b64 v[13:14], 1, v[13:14]
	v_add_co_u32 v13, vcc_lo, v11, v13
	s_delay_alu instid0(VALU_DEP_2)
	v_add_co_ci_u32_e32 v14, vcc_lo, v12, v14, vcc_lo
	global_store_b16 v[13:14], v47, off
	s_or_b32 exec_lo, exec_lo, s17
	s_and_saveexec_b32 s17, s6
	s_cbranch_execnz .LBB1073_183
.LBB1073_218:
	s_or_b32 exec_lo, exec_lo, s17
	s_and_saveexec_b32 s17, s5
	s_cbranch_execz .LBB1073_184
.LBB1073_219:
	v_sub_nc_u32_e32 v13, v38, v5
	v_mov_b32_e32 v14, 0
	s_delay_alu instid0(VALU_DEP_1) | instskip(NEXT) | instid1(VALU_DEP_1)
	v_lshlrev_b64 v[13:14], 1, v[13:14]
	v_add_co_u32 v13, vcc_lo, v11, v13
	s_delay_alu instid0(VALU_DEP_2)
	v_add_co_ci_u32_e32 v14, vcc_lo, v12, v14, vcc_lo
	global_store_b16 v[13:14], v39, off
	s_or_b32 exec_lo, exec_lo, s17
	s_and_saveexec_b32 s17, s4
	s_cbranch_execnz .LBB1073_185
.LBB1073_220:
	s_or_b32 exec_lo, exec_lo, s17
	s_and_saveexec_b32 s17, s3
	s_cbranch_execz .LBB1073_186
.LBB1073_221:
	v_sub_nc_u32_e32 v13, v32, v5
	v_mov_b32_e32 v14, 0
	s_delay_alu instid0(VALU_DEP_1) | instskip(NEXT) | instid1(VALU_DEP_1)
	v_lshlrev_b64 v[13:14], 1, v[13:14]
	v_add_co_u32 v13, vcc_lo, v11, v13
	s_delay_alu instid0(VALU_DEP_2)
	v_add_co_ci_u32_e32 v14, vcc_lo, v12, v14, vcc_lo
	global_store_b16 v[13:14], v33, off
	s_or_b32 exec_lo, exec_lo, s17
	s_and_saveexec_b32 s17, s2
	s_cbranch_execnz .LBB1073_187
.LBB1073_222:
	s_or_b32 exec_lo, exec_lo, s17
	s_and_saveexec_b32 s17, s1
	s_cbranch_execz .LBB1073_224
.LBB1073_223:
	v_sub_nc_u32_e32 v13, v30, v5
	v_mov_b32_e32 v14, 0
	s_delay_alu instid0(VALU_DEP_1) | instskip(NEXT) | instid1(VALU_DEP_1)
	v_lshlrev_b64 v[13:14], 1, v[13:14]
	v_add_co_u32 v13, vcc_lo, v11, v13
	s_delay_alu instid0(VALU_DEP_2)
	v_add_co_ci_u32_e32 v14, vcc_lo, v12, v14, vcc_lo
	global_store_b16 v[13:14], v31, off
.LBB1073_224:
	s_or_b32 exec_lo, exec_lo, s17
	s_delay_alu instid0(SALU_CYCLE_1)
	s_and_b32 s17, s0, exec_lo
	s_and_not1_saveexec_b32 s15, s15
	s_cbranch_execnz .LBB1073_206
.LBB1073_225:
	s_or_b32 exec_lo, exec_lo, s15
	s_delay_alu instid0(SALU_CYCLE_1)
	s_and_b32 exec_lo, exec_lo, s17
	s_cbranch_execz .LBB1073_227
.LBB1073_226:
	v_sub_nc_u32_e32 v13, v22, v5
	v_mov_b32_e32 v14, 0
	s_delay_alu instid0(VALU_DEP_1) | instskip(NEXT) | instid1(VALU_DEP_1)
	v_lshlrev_b64 v[13:14], 1, v[13:14]
	v_add_co_u32 v13, vcc_lo, v11, v13
	s_delay_alu instid0(VALU_DEP_2)
	v_add_co_ci_u32_e32 v14, vcc_lo, v12, v14, vcc_lo
	global_store_b16 v[13:14], v23, off
.LBB1073_227:
	s_or_b32 exec_lo, exec_lo, s16
.LBB1073_228:
	v_cmp_eq_u32_e32 vcc_lo, 0xff, v0
	s_and_b32 s0, vcc_lo, s30
	s_delay_alu instid0(SALU_CYCLE_1)
	s_and_saveexec_b32 s1, s0
	s_cbranch_execnz .LBB1073_262
	s_branch .LBB1073_264
.LBB1073_229:
	s_or_b32 exec_lo, exec_lo, s17
	s_and_saveexec_b32 s14, s13
	s_cbranch_execz .LBB1073_193
.LBB1073_230:
	v_sub_nc_u32_e32 v7, v44, v5
	s_delay_alu instid0(VALU_DEP_1)
	v_lshlrev_b32_e32 v7, 1, v7
	ds_store_b16 v7, v45
	s_or_b32 exec_lo, exec_lo, s14
	s_and_saveexec_b32 s13, s12
	s_cbranch_execnz .LBB1073_194
.LBB1073_231:
	s_or_b32 exec_lo, exec_lo, s13
	s_and_saveexec_b32 s12, s11
	s_cbranch_execz .LBB1073_195
.LBB1073_232:
	v_sub_nc_u32_e32 v7, v40, v5
	s_delay_alu instid0(VALU_DEP_1)
	v_lshlrev_b32_e32 v7, 1, v7
	ds_store_b16 v7, v41
	s_or_b32 exec_lo, exec_lo, s12
	s_and_saveexec_b32 s11, s10
	s_cbranch_execnz .LBB1073_196
.LBB1073_233:
	s_or_b32 exec_lo, exec_lo, s11
	s_and_saveexec_b32 s10, s9
	s_cbranch_execz .LBB1073_197
.LBB1073_234:
	v_sub_nc_u32_e32 v7, v26, v5
	s_delay_alu instid0(VALU_DEP_1)
	v_lshlrev_b32_e32 v7, 1, v7
	ds_store_b16 v7, v27
	s_or_b32 exec_lo, exec_lo, s10
	s_and_saveexec_b32 s9, s8
	s_cbranch_execnz .LBB1073_198
.LBB1073_235:
	s_or_b32 exec_lo, exec_lo, s9
	s_and_saveexec_b32 s8, s7
	s_cbranch_execz .LBB1073_199
.LBB1073_236:
	v_sub_nc_u32_e32 v7, v46, v5
	s_delay_alu instid0(VALU_DEP_1)
	v_lshlrev_b32_e32 v7, 1, v7
	ds_store_b16 v7, v47
	s_or_b32 exec_lo, exec_lo, s8
	s_and_saveexec_b32 s7, s6
	s_cbranch_execnz .LBB1073_200
.LBB1073_237:
	s_or_b32 exec_lo, exec_lo, s7
	s_and_saveexec_b32 s6, s5
	s_cbranch_execz .LBB1073_201
.LBB1073_238:
	v_sub_nc_u32_e32 v7, v38, v5
	s_delay_alu instid0(VALU_DEP_1)
	v_lshlrev_b32_e32 v7, 1, v7
	ds_store_b16 v7, v39
	s_or_b32 exec_lo, exec_lo, s6
	s_and_saveexec_b32 s5, s4
	s_cbranch_execnz .LBB1073_202
.LBB1073_239:
	s_or_b32 exec_lo, exec_lo, s5
	s_and_saveexec_b32 s4, s3
	s_cbranch_execz .LBB1073_203
.LBB1073_240:
	v_sub_nc_u32_e32 v7, v32, v5
	s_delay_alu instid0(VALU_DEP_1)
	v_lshlrev_b32_e32 v7, 1, v7
	ds_store_b16 v7, v33
	s_or_b32 exec_lo, exec_lo, s4
	s_and_saveexec_b32 s3, s2
	s_cbranch_execnz .LBB1073_204
.LBB1073_241:
	s_or_b32 exec_lo, exec_lo, s3
	s_and_saveexec_b32 s2, s1
	s_cbranch_execz .LBB1073_243
.LBB1073_242:
	v_sub_nc_u32_e32 v7, v30, v5
	s_delay_alu instid0(VALU_DEP_1)
	v_lshlrev_b32_e32 v7, 1, v7
	ds_store_b16 v7, v31
.LBB1073_243:
	s_or_b32 exec_lo, exec_lo, s2
	s_delay_alu instid0(SALU_CYCLE_1)
	s_and_b32 s17, s0, exec_lo
                                        ; implicit-def: $vgpr48_vgpr49
                                        ; implicit-def: $vgpr44_vgpr45
                                        ; implicit-def: $vgpr42_vgpr43
                                        ; implicit-def: $vgpr40_vgpr41
                                        ; implicit-def: $vgpr28_vgpr29
                                        ; implicit-def: $vgpr26_vgpr27
                                        ; implicit-def: $vgpr24_vgpr25
                                        ; implicit-def: $vgpr46_vgpr47
                                        ; implicit-def: $vgpr50_vgpr51
                                        ; implicit-def: $vgpr38_vgpr39
                                        ; implicit-def: $vgpr36_vgpr37
                                        ; implicit-def: $vgpr32_vgpr33
                                        ; implicit-def: $vgpr34_vgpr35
                                        ; implicit-def: $vgpr30_vgpr31
	s_and_not1_saveexec_b32 s0, s16
	s_cbranch_execnz .LBB1073_208
.LBB1073_244:
	s_or_b32 exec_lo, exec_lo, s0
	s_delay_alu instid0(SALU_CYCLE_1)
	s_and_b32 exec_lo, exec_lo, s17
	s_cbranch_execz .LBB1073_246
.LBB1073_245:
	v_sub_nc_u32_e32 v5, v22, v5
	s_delay_alu instid0(VALU_DEP_1)
	v_lshlrev_b32_e32 v5, 1, v5
	ds_store_b16 v5, v23
.LBB1073_246:
	s_or_b32 exec_lo, exec_lo, s15
	s_delay_alu instid0(SALU_CYCLE_1)
	s_mov_b32 s1, exec_lo
	s_waitcnt lgkmcnt(0)
	s_waitcnt_vscnt null, 0x0
	s_barrier
	buffer_gl0_inv
	v_cmpx_lt_u32_e64 v0, v3
	s_cbranch_execz .LBB1073_261
; %bb.247:
	v_add_nc_u32_e32 v7, v2, v6
	s_mov_b32 s0, -1
	s_mov_b32 s3, exec_lo
	s_delay_alu instid0(VALU_DEP_1) | instskip(NEXT) | instid1(VALU_DEP_1)
	v_xad_u32 v5, v0, -1, v7
	v_sub_nc_u32_e32 v6, v5, v1
	v_mov_b32_e32 v5, v0
	s_delay_alu instid0(VALU_DEP_2)
	v_cmp_gt_u32_e64 s2, 0x1b00, v6
	v_cmpx_lt_u32_e32 0x1aff, v6
	s_cbranch_execz .LBB1073_258
; %bb.248:
	v_sub_nc_u32_e32 v5, v0, v7
	s_mov_b32 s4, exec_lo
	s_delay_alu instid0(VALU_DEP_1) | instskip(SKIP_1) | instid1(VALU_DEP_2)
	v_add_nc_u32_e32 v1, v5, v1
	v_mov_b32_e32 v5, v0
	v_or_b32_e32 v1, 0xff, v1
	s_delay_alu instid0(VALU_DEP_1)
	v_cmpx_ge_u32_e64 v1, v0
	s_cbranch_execz .LBB1073_257
; %bb.249:
	v_lshrrev_b32_e32 v13, 8, v6
	v_or_b32_e32 v1, 0x100, v0
	v_lshlrev_b32_e32 v14, 1, v0
	s_delay_alu instid0(VALU_DEP_3) | instskip(NEXT) | instid1(VALU_DEP_1)
	v_dual_mov_b32 v18, 0 :: v_dual_add_nc_u32 v5, -1, v13
	v_lshrrev_b32_e32 v6, 1, v5
	v_cmp_lt_u32_e32 vcc_lo, 13, v5
	s_delay_alu instid0(VALU_DEP_2)
	v_dual_mov_b32 v6, v1 :: v_dual_add_nc_u32 v15, 1, v6
	v_mov_b32_e32 v5, v0
	s_and_saveexec_b32 s0, vcc_lo
	s_cbranch_execz .LBB1073_253
; %bb.250:
	v_mov_b32_e32 v6, v1
	v_dual_mov_b32 v17, v14 :: v_dual_and_b32 v16, -8, v15
	v_dual_mov_b32 v8, 0 :: v_dual_mov_b32 v5, v0
	s_mov_b32 s5, 0
	s_mov_b32 s6, 0
.LBB1073_251:                           ; =>This Inner Loop Header: Depth=1
	s_delay_alu instid0(VALU_DEP_1) | instskip(NEXT) | instid1(VALU_DEP_2)
	v_dual_mov_b32 v7, v5 :: v_dual_add_nc_u32 v22, 0x200, v6
	v_dual_mov_b32 v35, v8 :: v_dual_add_nc_u32 v16, -8, v16
	v_dual_mov_b32 v23, v8 :: v_dual_add_nc_u32 v24, 0x400, v6
	s_delay_alu instid0(VALU_DEP_3) | instskip(SKIP_1) | instid1(VALU_DEP_4)
	v_lshlrev_b64 v[36:37], 1, v[7:8]
	v_dual_mov_b32 v25, v8 :: v_dual_add_nc_u32 v26, 0x600, v6
	v_cmp_eq_u32_e32 vcc_lo, 0, v16
	s_delay_alu instid0(VALU_DEP_4)
	v_lshlrev_b64 v[22:23], 1, v[22:23]
	v_dual_mov_b32 v27, v8 :: v_dual_add_nc_u32 v28, 0x800, v6
	s_add_i32 s6, s6, 16
	v_lshlrev_b64 v[24:25], 1, v[24:25]
	s_or_b32 s5, vcc_lo, s5
	v_add_co_u32 v36, vcc_lo, v11, v36
	v_dual_mov_b32 v29, v8 :: v_dual_add_nc_u32 v30, 0xa00, v6
	v_add_co_ci_u32_e32 v37, vcc_lo, v12, v37, vcc_lo
	v_lshlrev_b64 v[26:27], 1, v[26:27]
	v_add_co_u32 v22, vcc_lo, v11, v22
	v_dual_mov_b32 v31, v8 :: v_dual_add_nc_u32 v32, 0xc00, v6
	v_add_co_ci_u32_e32 v23, vcc_lo, v12, v23, vcc_lo
	v_lshlrev_b64 v[28:29], 1, v[28:29]
	;; [unrolled: 4-line block ×4, first 2 shown]
	v_add_co_u32 v28, vcc_lo, v11, v28
	ds_load_u16 v1, v17
	ds_load_u16 v19, v17 offset:512
	ds_load_u16 v42, v17 offset:1024
	;; [unrolled: 1-line block ×7, first 2 shown]
	v_add_co_ci_u32_e32 v29, vcc_lo, v12, v29, vcc_lo
	v_lshlrev_b64 v[34:35], 1, v[34:35]
	v_add_co_u32 v30, vcc_lo, v11, v30
	v_lshlrev_b64 v[38:39], 1, v[7:8]
	v_add_nc_u32_e32 v7, 0x200, v5
	v_add_co_ci_u32_e32 v31, vcc_lo, v12, v31, vcc_lo
	v_add_co_u32 v32, vcc_lo, v11, v32
	v_add_co_ci_u32_e32 v33, vcc_lo, v12, v33, vcc_lo
	v_add_co_u32 v34, vcc_lo, v11, v34
	v_lshlrev_b64 v[40:41], 1, v[7:8]
	v_add_nc_u32_e32 v7, 0x400, v5
	v_add_co_ci_u32_e32 v35, vcc_lo, v12, v35, vcc_lo
	v_add_co_u32 v38, vcc_lo, v11, v38
	ds_load_u16 v48, v17 offset:4096
	ds_load_u16 v49, v17 offset:4608
	;; [unrolled: 1-line block ×8, first 2 shown]
	v_add_co_ci_u32_e32 v39, vcc_lo, v12, v39, vcc_lo
	s_waitcnt lgkmcnt(15)
	global_store_b16 v[36:37], v1, off
	v_lshlrev_b64 v[36:37], 1, v[7:8]
	v_add_nc_u32_e32 v7, 0x600, v5
	v_add_co_u32 v40, vcc_lo, v11, v40
	v_add_co_ci_u32_e32 v41, vcc_lo, v12, v41, vcc_lo
	s_waitcnt lgkmcnt(14)
	global_store_b16 v[38:39], v19, off
	v_lshlrev_b64 v[38:39], 1, v[7:8]
	v_add_nc_u32_e32 v7, 0x800, v5
	s_waitcnt lgkmcnt(13)
	global_store_b16 v[40:41], v42, off
	s_waitcnt lgkmcnt(12)
	global_store_b16 v[22:23], v43, off
	v_add_co_u32 v22, vcc_lo, v11, v36
	v_add_co_ci_u32_e32 v23, vcc_lo, v12, v37, vcc_lo
	v_lshlrev_b64 v[36:37], 1, v[7:8]
	v_add_nc_u32_e32 v7, 0xa00, v5
	v_add_co_u32 v38, vcc_lo, v11, v38
	v_add_co_ci_u32_e32 v39, vcc_lo, v12, v39, vcc_lo
	s_waitcnt lgkmcnt(11)
	global_store_b16 v[22:23], v44, off
	s_waitcnt lgkmcnt(10)
	global_store_b16 v[24:25], v45, off
	v_lshlrev_b64 v[22:23], 1, v[7:8]
	v_add_nc_u32_e32 v7, 0xc00, v5
	v_add_co_u32 v24, vcc_lo, v11, v36
	s_waitcnt lgkmcnt(9)
	global_store_b16 v[38:39], v46, off
	s_waitcnt lgkmcnt(8)
	global_store_b16 v[26:27], v47, off
	v_add_co_ci_u32_e32 v25, vcc_lo, v12, v37, vcc_lo
	v_lshlrev_b64 v[26:27], 1, v[7:8]
	v_add_nc_u32_e32 v7, 0xe00, v5
	v_add_co_u32 v22, vcc_lo, v11, v22
	v_add_co_ci_u32_e32 v23, vcc_lo, v12, v23, vcc_lo
	s_waitcnt lgkmcnt(7)
	global_store_b16 v[24:25], v48, off
	s_waitcnt lgkmcnt(6)
	global_store_b16 v[28:29], v49, off
	v_lshlrev_b64 v[24:25], 1, v[7:8]
	v_dual_mov_b32 v18, s6 :: v_dual_add_nc_u32 v17, 0x2000, v17
	s_waitcnt lgkmcnt(5)
	global_store_b16 v[22:23], v50, off
	v_add_co_u32 v22, vcc_lo, v11, v26
	v_add_nc_u32_e32 v5, 0x1000, v5
	v_add_co_ci_u32_e32 v23, vcc_lo, v12, v27, vcc_lo
	v_add_co_u32 v24, vcc_lo, v11, v24
	v_add_co_ci_u32_e32 v25, vcc_lo, v12, v25, vcc_lo
	s_waitcnt lgkmcnt(4)
	global_store_b16 v[30:31], v51, off
	s_waitcnt lgkmcnt(3)
	global_store_b16 v[22:23], v52, off
	;; [unrolled: 2-line block ×5, first 2 shown]
	s_and_not1_b32 exec_lo, exec_lo, s5
	s_cbranch_execnz .LBB1073_251
; %bb.252:
	s_or_b32 exec_lo, exec_lo, s5
.LBB1073_253:
	s_delay_alu instid0(SALU_CYCLE_1) | instskip(SKIP_3) | instid1(VALU_DEP_1)
	s_or_b32 exec_lo, exec_lo, s0
	v_and_b32_e32 v1, 7, v15
	s_mov_b32 s6, 0
	s_mov_b32 s5, exec_lo
	v_cmpx_ne_u32_e32 0, v1
	s_cbranch_execz .LBB1073_256
; %bb.254:
	v_lshl_or_b32 v14, v18, 9, v14
	v_mov_b32_e32 v8, 0
	s_set_inst_prefetch_distance 0x1
	.p2align	6
.LBB1073_255:                           ; =>This Inner Loop Header: Depth=1
	v_mov_b32_e32 v7, v5
	ds_load_u16 v19, v14
	ds_load_u16 v22, v14 offset:512
	v_add_nc_u32_e32 v14, 0x400, v14
	v_add_nc_u32_e32 v1, -1, v1
	v_add_nc_u32_e32 v5, 0x200, v5
	v_lshlrev_b64 v[15:16], 1, v[7:8]
	v_dual_mov_b32 v7, v6 :: v_dual_add_nc_u32 v6, 0x200, v6
	s_delay_alu instid0(VALU_DEP_4) | instskip(NEXT) | instid1(VALU_DEP_2)
	v_cmp_eq_u32_e32 vcc_lo, 0, v1
	v_lshlrev_b64 v[17:18], 1, v[7:8]
	s_delay_alu instid0(VALU_DEP_4) | instskip(NEXT) | instid1(VALU_DEP_1)
	v_add_co_u32 v15, s0, v11, v15
	v_add_co_ci_u32_e64 v16, s0, v12, v16, s0
	s_or_b32 s6, vcc_lo, s6
	s_delay_alu instid0(VALU_DEP_3) | instskip(NEXT) | instid1(VALU_DEP_1)
	v_add_co_u32 v17, s0, v11, v17
	v_add_co_ci_u32_e64 v18, s0, v12, v18, s0
	s_waitcnt lgkmcnt(1)
	global_store_b16 v[15:16], v19, off
	s_waitcnt lgkmcnt(0)
	global_store_b16 v[17:18], v22, off
	s_and_not1_b32 exec_lo, exec_lo, s6
	s_cbranch_execnz .LBB1073_255
.LBB1073_256:
	s_set_inst_prefetch_distance 0x2
	s_or_b32 exec_lo, exec_lo, s5
	v_add_nc_u32_e32 v1, 1, v13
	s_delay_alu instid0(VALU_DEP_1) | instskip(NEXT) | instid1(VALU_DEP_1)
	v_and_b32_e32 v5, 0x1fffffe, v1
	v_cmp_ne_u32_e32 vcc_lo, v1, v5
	v_lshl_or_b32 v5, v5, 8, v0
	s_or_not1_b32 s0, vcc_lo, exec_lo
.LBB1073_257:
	s_or_b32 exec_lo, exec_lo, s4
	s_delay_alu instid0(SALU_CYCLE_1) | instskip(SKIP_1) | instid1(SALU_CYCLE_1)
	s_and_not1_b32 s2, s2, exec_lo
	s_and_b32 s0, s0, exec_lo
	s_or_b32 s2, s2, s0
.LBB1073_258:
	s_or_b32 exec_lo, exec_lo, s3
	s_delay_alu instid0(VALU_DEP_2) | instid1(SALU_CYCLE_1)
	s_and_b32 exec_lo, exec_lo, s2
	s_cbranch_execz .LBB1073_261
; %bb.259:
	v_dual_mov_b32 v6, 0 :: v_dual_lshlrev_b32 v1, 1, v5
	s_mov_b32 s2, 0
	.p2align	6
.LBB1073_260:                           ; =>This Inner Loop Header: Depth=1
	ds_load_u16 v13, v1
	v_lshlrev_b64 v[7:8], 1, v[5:6]
	v_add_nc_u32_e32 v5, 0x100, v5
	v_add_nc_u32_e32 v1, 0x200, v1
	s_delay_alu instid0(VALU_DEP_2) | instskip(NEXT) | instid1(VALU_DEP_4)
	v_cmp_ge_u32_e32 vcc_lo, v5, v3
	v_add_co_u32 v7, s0, v11, v7
	s_delay_alu instid0(VALU_DEP_1)
	v_add_co_ci_u32_e64 v8, s0, v12, v8, s0
	s_or_b32 s2, vcc_lo, s2
	s_waitcnt lgkmcnt(0)
	global_store_b16 v[7:8], v13, off
	s_and_not1_b32 exec_lo, exec_lo, s2
	s_cbranch_execnz .LBB1073_260
.LBB1073_261:
	s_or_b32 exec_lo, exec_lo, s1
	v_cmp_eq_u32_e32 vcc_lo, 0xff, v0
	s_and_b32 s0, vcc_lo, s30
	s_delay_alu instid0(SALU_CYCLE_1)
	s_and_saveexec_b32 s1, s0
	s_cbranch_execz .LBB1073_264
.LBB1073_262:
	v_add_co_u32 v0, s0, v2, v4
	s_delay_alu instid0(VALU_DEP_1) | instskip(SKIP_1) | instid1(VALU_DEP_3)
	v_add_co_ci_u32_e64 v1, null, 0, 0, s0
	v_mov_b32_e32 v3, 0
	v_add_co_u32 v0, vcc_lo, v0, v20
	s_delay_alu instid0(VALU_DEP_3)
	v_add_co_ci_u32_e32 v1, vcc_lo, v1, v21, vcc_lo
	s_cmpk_lg_i32 s31, 0xf00
	global_store_b64 v3, v[0:1], s[38:39]
	s_cbranch_scc1 .LBB1073_264
; %bb.263:
	v_lshlrev_b64 v[0:1], 1, v[2:3]
	s_delay_alu instid0(VALU_DEP_1) | instskip(NEXT) | instid1(VALU_DEP_2)
	v_add_co_u32 v0, vcc_lo, v9, v0
	v_add_co_ci_u32_e32 v1, vcc_lo, v10, v1, vcc_lo
	global_store_b16 v[0:1], v82, off offset:-2
	s_nop 0
	s_sendmsg sendmsg(MSG_DEALLOC_VGPRS)
	s_endpgm
.LBB1073_264:
	s_nop 0
	s_sendmsg sendmsg(MSG_DEALLOC_VGPRS)
	s_endpgm
	.section	.rodata,"a",@progbits
	.p2align	6, 0x0
	.amdhsa_kernel _ZN7rocprim17ROCPRIM_400000_NS6detail17trampoline_kernelINS0_14default_configENS1_29reduce_by_key_config_selectorIjsN6thrust23THRUST_200600_302600_NS4plusIsEEEEZZNS1_33reduce_by_key_impl_wrapped_configILNS1_25lookback_scan_determinismE0ES3_S9_NS6_6detail15normal_iteratorINS6_10device_ptrIjEEEENSD_INSE_IsEEEENS6_16discard_iteratorINS6_11use_defaultEEESI_PmS8_NS6_8equal_toIjEEEE10hipError_tPvRmT2_T3_mT4_T5_T6_T7_T8_P12ihipStream_tbENKUlT_T0_E_clISt17integral_constantIbLb1EES16_EEDaS11_S12_EUlS11_E_NS1_11comp_targetILNS1_3genE9ELNS1_11target_archE1100ELNS1_3gpuE3ELNS1_3repE0EEENS1_30default_config_static_selectorELNS0_4arch9wavefront6targetE0EEEvT1_
		.amdhsa_group_segment_fixed_size 15360
		.amdhsa_private_segment_fixed_size 0
		.amdhsa_kernarg_size 128
		.amdhsa_user_sgpr_count 15
		.amdhsa_user_sgpr_dispatch_ptr 0
		.amdhsa_user_sgpr_queue_ptr 0
		.amdhsa_user_sgpr_kernarg_segment_ptr 1
		.amdhsa_user_sgpr_dispatch_id 0
		.amdhsa_user_sgpr_private_segment_size 0
		.amdhsa_wavefront_size32 1
		.amdhsa_uses_dynamic_stack 0
		.amdhsa_enable_private_segment 0
		.amdhsa_system_sgpr_workgroup_id_x 1
		.amdhsa_system_sgpr_workgroup_id_y 0
		.amdhsa_system_sgpr_workgroup_id_z 0
		.amdhsa_system_sgpr_workgroup_info 0
		.amdhsa_system_vgpr_workitem_id 0
		.amdhsa_next_free_vgpr 89
		.amdhsa_next_free_sgpr 46
		.amdhsa_reserve_vcc 1
		.amdhsa_float_round_mode_32 0
		.amdhsa_float_round_mode_16_64 0
		.amdhsa_float_denorm_mode_32 3
		.amdhsa_float_denorm_mode_16_64 3
		.amdhsa_dx10_clamp 1
		.amdhsa_ieee_mode 1
		.amdhsa_fp16_overflow 0
		.amdhsa_workgroup_processor_mode 1
		.amdhsa_memory_ordered 1
		.amdhsa_forward_progress 0
		.amdhsa_shared_vgpr_count 0
		.amdhsa_exception_fp_ieee_invalid_op 0
		.amdhsa_exception_fp_denorm_src 0
		.amdhsa_exception_fp_ieee_div_zero 0
		.amdhsa_exception_fp_ieee_overflow 0
		.amdhsa_exception_fp_ieee_underflow 0
		.amdhsa_exception_fp_ieee_inexact 0
		.amdhsa_exception_int_div_zero 0
	.end_amdhsa_kernel
	.section	.text._ZN7rocprim17ROCPRIM_400000_NS6detail17trampoline_kernelINS0_14default_configENS1_29reduce_by_key_config_selectorIjsN6thrust23THRUST_200600_302600_NS4plusIsEEEEZZNS1_33reduce_by_key_impl_wrapped_configILNS1_25lookback_scan_determinismE0ES3_S9_NS6_6detail15normal_iteratorINS6_10device_ptrIjEEEENSD_INSE_IsEEEENS6_16discard_iteratorINS6_11use_defaultEEESI_PmS8_NS6_8equal_toIjEEEE10hipError_tPvRmT2_T3_mT4_T5_T6_T7_T8_P12ihipStream_tbENKUlT_T0_E_clISt17integral_constantIbLb1EES16_EEDaS11_S12_EUlS11_E_NS1_11comp_targetILNS1_3genE9ELNS1_11target_archE1100ELNS1_3gpuE3ELNS1_3repE0EEENS1_30default_config_static_selectorELNS0_4arch9wavefront6targetE0EEEvT1_,"axG",@progbits,_ZN7rocprim17ROCPRIM_400000_NS6detail17trampoline_kernelINS0_14default_configENS1_29reduce_by_key_config_selectorIjsN6thrust23THRUST_200600_302600_NS4plusIsEEEEZZNS1_33reduce_by_key_impl_wrapped_configILNS1_25lookback_scan_determinismE0ES3_S9_NS6_6detail15normal_iteratorINS6_10device_ptrIjEEEENSD_INSE_IsEEEENS6_16discard_iteratorINS6_11use_defaultEEESI_PmS8_NS6_8equal_toIjEEEE10hipError_tPvRmT2_T3_mT4_T5_T6_T7_T8_P12ihipStream_tbENKUlT_T0_E_clISt17integral_constantIbLb1EES16_EEDaS11_S12_EUlS11_E_NS1_11comp_targetILNS1_3genE9ELNS1_11target_archE1100ELNS1_3gpuE3ELNS1_3repE0EEENS1_30default_config_static_selectorELNS0_4arch9wavefront6targetE0EEEvT1_,comdat
.Lfunc_end1073:
	.size	_ZN7rocprim17ROCPRIM_400000_NS6detail17trampoline_kernelINS0_14default_configENS1_29reduce_by_key_config_selectorIjsN6thrust23THRUST_200600_302600_NS4plusIsEEEEZZNS1_33reduce_by_key_impl_wrapped_configILNS1_25lookback_scan_determinismE0ES3_S9_NS6_6detail15normal_iteratorINS6_10device_ptrIjEEEENSD_INSE_IsEEEENS6_16discard_iteratorINS6_11use_defaultEEESI_PmS8_NS6_8equal_toIjEEEE10hipError_tPvRmT2_T3_mT4_T5_T6_T7_T8_P12ihipStream_tbENKUlT_T0_E_clISt17integral_constantIbLb1EES16_EEDaS11_S12_EUlS11_E_NS1_11comp_targetILNS1_3genE9ELNS1_11target_archE1100ELNS1_3gpuE3ELNS1_3repE0EEENS1_30default_config_static_selectorELNS0_4arch9wavefront6targetE0EEEvT1_, .Lfunc_end1073-_ZN7rocprim17ROCPRIM_400000_NS6detail17trampoline_kernelINS0_14default_configENS1_29reduce_by_key_config_selectorIjsN6thrust23THRUST_200600_302600_NS4plusIsEEEEZZNS1_33reduce_by_key_impl_wrapped_configILNS1_25lookback_scan_determinismE0ES3_S9_NS6_6detail15normal_iteratorINS6_10device_ptrIjEEEENSD_INSE_IsEEEENS6_16discard_iteratorINS6_11use_defaultEEESI_PmS8_NS6_8equal_toIjEEEE10hipError_tPvRmT2_T3_mT4_T5_T6_T7_T8_P12ihipStream_tbENKUlT_T0_E_clISt17integral_constantIbLb1EES16_EEDaS11_S12_EUlS11_E_NS1_11comp_targetILNS1_3genE9ELNS1_11target_archE1100ELNS1_3gpuE3ELNS1_3repE0EEENS1_30default_config_static_selectorELNS0_4arch9wavefront6targetE0EEEvT1_
                                        ; -- End function
	.section	.AMDGPU.csdata,"",@progbits
; Kernel info:
; codeLenInByte = 18476
; NumSgprs: 48
; NumVgprs: 89
; ScratchSize: 0
; MemoryBound: 0
; FloatMode: 240
; IeeeMode: 1
; LDSByteSize: 15360 bytes/workgroup (compile time only)
; SGPRBlocks: 5
; VGPRBlocks: 11
; NumSGPRsForWavesPerEU: 48
; NumVGPRsForWavesPerEU: 89
; Occupancy: 16
; WaveLimiterHint : 1
; COMPUTE_PGM_RSRC2:SCRATCH_EN: 0
; COMPUTE_PGM_RSRC2:USER_SGPR: 15
; COMPUTE_PGM_RSRC2:TRAP_HANDLER: 0
; COMPUTE_PGM_RSRC2:TGID_X_EN: 1
; COMPUTE_PGM_RSRC2:TGID_Y_EN: 0
; COMPUTE_PGM_RSRC2:TGID_Z_EN: 0
; COMPUTE_PGM_RSRC2:TIDIG_COMP_CNT: 0
	.section	.text._ZN7rocprim17ROCPRIM_400000_NS6detail17trampoline_kernelINS0_14default_configENS1_29reduce_by_key_config_selectorIjsN6thrust23THRUST_200600_302600_NS4plusIsEEEEZZNS1_33reduce_by_key_impl_wrapped_configILNS1_25lookback_scan_determinismE0ES3_S9_NS6_6detail15normal_iteratorINS6_10device_ptrIjEEEENSD_INSE_IsEEEENS6_16discard_iteratorINS6_11use_defaultEEESI_PmS8_NS6_8equal_toIjEEEE10hipError_tPvRmT2_T3_mT4_T5_T6_T7_T8_P12ihipStream_tbENKUlT_T0_E_clISt17integral_constantIbLb1EES16_EEDaS11_S12_EUlS11_E_NS1_11comp_targetILNS1_3genE8ELNS1_11target_archE1030ELNS1_3gpuE2ELNS1_3repE0EEENS1_30default_config_static_selectorELNS0_4arch9wavefront6targetE0EEEvT1_,"axG",@progbits,_ZN7rocprim17ROCPRIM_400000_NS6detail17trampoline_kernelINS0_14default_configENS1_29reduce_by_key_config_selectorIjsN6thrust23THRUST_200600_302600_NS4plusIsEEEEZZNS1_33reduce_by_key_impl_wrapped_configILNS1_25lookback_scan_determinismE0ES3_S9_NS6_6detail15normal_iteratorINS6_10device_ptrIjEEEENSD_INSE_IsEEEENS6_16discard_iteratorINS6_11use_defaultEEESI_PmS8_NS6_8equal_toIjEEEE10hipError_tPvRmT2_T3_mT4_T5_T6_T7_T8_P12ihipStream_tbENKUlT_T0_E_clISt17integral_constantIbLb1EES16_EEDaS11_S12_EUlS11_E_NS1_11comp_targetILNS1_3genE8ELNS1_11target_archE1030ELNS1_3gpuE2ELNS1_3repE0EEENS1_30default_config_static_selectorELNS0_4arch9wavefront6targetE0EEEvT1_,comdat
	.protected	_ZN7rocprim17ROCPRIM_400000_NS6detail17trampoline_kernelINS0_14default_configENS1_29reduce_by_key_config_selectorIjsN6thrust23THRUST_200600_302600_NS4plusIsEEEEZZNS1_33reduce_by_key_impl_wrapped_configILNS1_25lookback_scan_determinismE0ES3_S9_NS6_6detail15normal_iteratorINS6_10device_ptrIjEEEENSD_INSE_IsEEEENS6_16discard_iteratorINS6_11use_defaultEEESI_PmS8_NS6_8equal_toIjEEEE10hipError_tPvRmT2_T3_mT4_T5_T6_T7_T8_P12ihipStream_tbENKUlT_T0_E_clISt17integral_constantIbLb1EES16_EEDaS11_S12_EUlS11_E_NS1_11comp_targetILNS1_3genE8ELNS1_11target_archE1030ELNS1_3gpuE2ELNS1_3repE0EEENS1_30default_config_static_selectorELNS0_4arch9wavefront6targetE0EEEvT1_ ; -- Begin function _ZN7rocprim17ROCPRIM_400000_NS6detail17trampoline_kernelINS0_14default_configENS1_29reduce_by_key_config_selectorIjsN6thrust23THRUST_200600_302600_NS4plusIsEEEEZZNS1_33reduce_by_key_impl_wrapped_configILNS1_25lookback_scan_determinismE0ES3_S9_NS6_6detail15normal_iteratorINS6_10device_ptrIjEEEENSD_INSE_IsEEEENS6_16discard_iteratorINS6_11use_defaultEEESI_PmS8_NS6_8equal_toIjEEEE10hipError_tPvRmT2_T3_mT4_T5_T6_T7_T8_P12ihipStream_tbENKUlT_T0_E_clISt17integral_constantIbLb1EES16_EEDaS11_S12_EUlS11_E_NS1_11comp_targetILNS1_3genE8ELNS1_11target_archE1030ELNS1_3gpuE2ELNS1_3repE0EEENS1_30default_config_static_selectorELNS0_4arch9wavefront6targetE0EEEvT1_
	.globl	_ZN7rocprim17ROCPRIM_400000_NS6detail17trampoline_kernelINS0_14default_configENS1_29reduce_by_key_config_selectorIjsN6thrust23THRUST_200600_302600_NS4plusIsEEEEZZNS1_33reduce_by_key_impl_wrapped_configILNS1_25lookback_scan_determinismE0ES3_S9_NS6_6detail15normal_iteratorINS6_10device_ptrIjEEEENSD_INSE_IsEEEENS6_16discard_iteratorINS6_11use_defaultEEESI_PmS8_NS6_8equal_toIjEEEE10hipError_tPvRmT2_T3_mT4_T5_T6_T7_T8_P12ihipStream_tbENKUlT_T0_E_clISt17integral_constantIbLb1EES16_EEDaS11_S12_EUlS11_E_NS1_11comp_targetILNS1_3genE8ELNS1_11target_archE1030ELNS1_3gpuE2ELNS1_3repE0EEENS1_30default_config_static_selectorELNS0_4arch9wavefront6targetE0EEEvT1_
	.p2align	8
	.type	_ZN7rocprim17ROCPRIM_400000_NS6detail17trampoline_kernelINS0_14default_configENS1_29reduce_by_key_config_selectorIjsN6thrust23THRUST_200600_302600_NS4plusIsEEEEZZNS1_33reduce_by_key_impl_wrapped_configILNS1_25lookback_scan_determinismE0ES3_S9_NS6_6detail15normal_iteratorINS6_10device_ptrIjEEEENSD_INSE_IsEEEENS6_16discard_iteratorINS6_11use_defaultEEESI_PmS8_NS6_8equal_toIjEEEE10hipError_tPvRmT2_T3_mT4_T5_T6_T7_T8_P12ihipStream_tbENKUlT_T0_E_clISt17integral_constantIbLb1EES16_EEDaS11_S12_EUlS11_E_NS1_11comp_targetILNS1_3genE8ELNS1_11target_archE1030ELNS1_3gpuE2ELNS1_3repE0EEENS1_30default_config_static_selectorELNS0_4arch9wavefront6targetE0EEEvT1_,@function
_ZN7rocprim17ROCPRIM_400000_NS6detail17trampoline_kernelINS0_14default_configENS1_29reduce_by_key_config_selectorIjsN6thrust23THRUST_200600_302600_NS4plusIsEEEEZZNS1_33reduce_by_key_impl_wrapped_configILNS1_25lookback_scan_determinismE0ES3_S9_NS6_6detail15normal_iteratorINS6_10device_ptrIjEEEENSD_INSE_IsEEEENS6_16discard_iteratorINS6_11use_defaultEEESI_PmS8_NS6_8equal_toIjEEEE10hipError_tPvRmT2_T3_mT4_T5_T6_T7_T8_P12ihipStream_tbENKUlT_T0_E_clISt17integral_constantIbLb1EES16_EEDaS11_S12_EUlS11_E_NS1_11comp_targetILNS1_3genE8ELNS1_11target_archE1030ELNS1_3gpuE2ELNS1_3repE0EEENS1_30default_config_static_selectorELNS0_4arch9wavefront6targetE0EEEvT1_: ; @_ZN7rocprim17ROCPRIM_400000_NS6detail17trampoline_kernelINS0_14default_configENS1_29reduce_by_key_config_selectorIjsN6thrust23THRUST_200600_302600_NS4plusIsEEEEZZNS1_33reduce_by_key_impl_wrapped_configILNS1_25lookback_scan_determinismE0ES3_S9_NS6_6detail15normal_iteratorINS6_10device_ptrIjEEEENSD_INSE_IsEEEENS6_16discard_iteratorINS6_11use_defaultEEESI_PmS8_NS6_8equal_toIjEEEE10hipError_tPvRmT2_T3_mT4_T5_T6_T7_T8_P12ihipStream_tbENKUlT_T0_E_clISt17integral_constantIbLb1EES16_EEDaS11_S12_EUlS11_E_NS1_11comp_targetILNS1_3genE8ELNS1_11target_archE1030ELNS1_3gpuE2ELNS1_3repE0EEENS1_30default_config_static_selectorELNS0_4arch9wavefront6targetE0EEEvT1_
; %bb.0:
	.section	.rodata,"a",@progbits
	.p2align	6, 0x0
	.amdhsa_kernel _ZN7rocprim17ROCPRIM_400000_NS6detail17trampoline_kernelINS0_14default_configENS1_29reduce_by_key_config_selectorIjsN6thrust23THRUST_200600_302600_NS4plusIsEEEEZZNS1_33reduce_by_key_impl_wrapped_configILNS1_25lookback_scan_determinismE0ES3_S9_NS6_6detail15normal_iteratorINS6_10device_ptrIjEEEENSD_INSE_IsEEEENS6_16discard_iteratorINS6_11use_defaultEEESI_PmS8_NS6_8equal_toIjEEEE10hipError_tPvRmT2_T3_mT4_T5_T6_T7_T8_P12ihipStream_tbENKUlT_T0_E_clISt17integral_constantIbLb1EES16_EEDaS11_S12_EUlS11_E_NS1_11comp_targetILNS1_3genE8ELNS1_11target_archE1030ELNS1_3gpuE2ELNS1_3repE0EEENS1_30default_config_static_selectorELNS0_4arch9wavefront6targetE0EEEvT1_
		.amdhsa_group_segment_fixed_size 0
		.amdhsa_private_segment_fixed_size 0
		.amdhsa_kernarg_size 128
		.amdhsa_user_sgpr_count 15
		.amdhsa_user_sgpr_dispatch_ptr 0
		.amdhsa_user_sgpr_queue_ptr 0
		.amdhsa_user_sgpr_kernarg_segment_ptr 1
		.amdhsa_user_sgpr_dispatch_id 0
		.amdhsa_user_sgpr_private_segment_size 0
		.amdhsa_wavefront_size32 1
		.amdhsa_uses_dynamic_stack 0
		.amdhsa_enable_private_segment 0
		.amdhsa_system_sgpr_workgroup_id_x 1
		.amdhsa_system_sgpr_workgroup_id_y 0
		.amdhsa_system_sgpr_workgroup_id_z 0
		.amdhsa_system_sgpr_workgroup_info 0
		.amdhsa_system_vgpr_workitem_id 0
		.amdhsa_next_free_vgpr 1
		.amdhsa_next_free_sgpr 1
		.amdhsa_reserve_vcc 0
		.amdhsa_float_round_mode_32 0
		.amdhsa_float_round_mode_16_64 0
		.amdhsa_float_denorm_mode_32 3
		.amdhsa_float_denorm_mode_16_64 3
		.amdhsa_dx10_clamp 1
		.amdhsa_ieee_mode 1
		.amdhsa_fp16_overflow 0
		.amdhsa_workgroup_processor_mode 1
		.amdhsa_memory_ordered 1
		.amdhsa_forward_progress 0
		.amdhsa_shared_vgpr_count 0
		.amdhsa_exception_fp_ieee_invalid_op 0
		.amdhsa_exception_fp_denorm_src 0
		.amdhsa_exception_fp_ieee_div_zero 0
		.amdhsa_exception_fp_ieee_overflow 0
		.amdhsa_exception_fp_ieee_underflow 0
		.amdhsa_exception_fp_ieee_inexact 0
		.amdhsa_exception_int_div_zero 0
	.end_amdhsa_kernel
	.section	.text._ZN7rocprim17ROCPRIM_400000_NS6detail17trampoline_kernelINS0_14default_configENS1_29reduce_by_key_config_selectorIjsN6thrust23THRUST_200600_302600_NS4plusIsEEEEZZNS1_33reduce_by_key_impl_wrapped_configILNS1_25lookback_scan_determinismE0ES3_S9_NS6_6detail15normal_iteratorINS6_10device_ptrIjEEEENSD_INSE_IsEEEENS6_16discard_iteratorINS6_11use_defaultEEESI_PmS8_NS6_8equal_toIjEEEE10hipError_tPvRmT2_T3_mT4_T5_T6_T7_T8_P12ihipStream_tbENKUlT_T0_E_clISt17integral_constantIbLb1EES16_EEDaS11_S12_EUlS11_E_NS1_11comp_targetILNS1_3genE8ELNS1_11target_archE1030ELNS1_3gpuE2ELNS1_3repE0EEENS1_30default_config_static_selectorELNS0_4arch9wavefront6targetE0EEEvT1_,"axG",@progbits,_ZN7rocprim17ROCPRIM_400000_NS6detail17trampoline_kernelINS0_14default_configENS1_29reduce_by_key_config_selectorIjsN6thrust23THRUST_200600_302600_NS4plusIsEEEEZZNS1_33reduce_by_key_impl_wrapped_configILNS1_25lookback_scan_determinismE0ES3_S9_NS6_6detail15normal_iteratorINS6_10device_ptrIjEEEENSD_INSE_IsEEEENS6_16discard_iteratorINS6_11use_defaultEEESI_PmS8_NS6_8equal_toIjEEEE10hipError_tPvRmT2_T3_mT4_T5_T6_T7_T8_P12ihipStream_tbENKUlT_T0_E_clISt17integral_constantIbLb1EES16_EEDaS11_S12_EUlS11_E_NS1_11comp_targetILNS1_3genE8ELNS1_11target_archE1030ELNS1_3gpuE2ELNS1_3repE0EEENS1_30default_config_static_selectorELNS0_4arch9wavefront6targetE0EEEvT1_,comdat
.Lfunc_end1074:
	.size	_ZN7rocprim17ROCPRIM_400000_NS6detail17trampoline_kernelINS0_14default_configENS1_29reduce_by_key_config_selectorIjsN6thrust23THRUST_200600_302600_NS4plusIsEEEEZZNS1_33reduce_by_key_impl_wrapped_configILNS1_25lookback_scan_determinismE0ES3_S9_NS6_6detail15normal_iteratorINS6_10device_ptrIjEEEENSD_INSE_IsEEEENS6_16discard_iteratorINS6_11use_defaultEEESI_PmS8_NS6_8equal_toIjEEEE10hipError_tPvRmT2_T3_mT4_T5_T6_T7_T8_P12ihipStream_tbENKUlT_T0_E_clISt17integral_constantIbLb1EES16_EEDaS11_S12_EUlS11_E_NS1_11comp_targetILNS1_3genE8ELNS1_11target_archE1030ELNS1_3gpuE2ELNS1_3repE0EEENS1_30default_config_static_selectorELNS0_4arch9wavefront6targetE0EEEvT1_, .Lfunc_end1074-_ZN7rocprim17ROCPRIM_400000_NS6detail17trampoline_kernelINS0_14default_configENS1_29reduce_by_key_config_selectorIjsN6thrust23THRUST_200600_302600_NS4plusIsEEEEZZNS1_33reduce_by_key_impl_wrapped_configILNS1_25lookback_scan_determinismE0ES3_S9_NS6_6detail15normal_iteratorINS6_10device_ptrIjEEEENSD_INSE_IsEEEENS6_16discard_iteratorINS6_11use_defaultEEESI_PmS8_NS6_8equal_toIjEEEE10hipError_tPvRmT2_T3_mT4_T5_T6_T7_T8_P12ihipStream_tbENKUlT_T0_E_clISt17integral_constantIbLb1EES16_EEDaS11_S12_EUlS11_E_NS1_11comp_targetILNS1_3genE8ELNS1_11target_archE1030ELNS1_3gpuE2ELNS1_3repE0EEENS1_30default_config_static_selectorELNS0_4arch9wavefront6targetE0EEEvT1_
                                        ; -- End function
	.section	.AMDGPU.csdata,"",@progbits
; Kernel info:
; codeLenInByte = 0
; NumSgprs: 0
; NumVgprs: 0
; ScratchSize: 0
; MemoryBound: 0
; FloatMode: 240
; IeeeMode: 1
; LDSByteSize: 0 bytes/workgroup (compile time only)
; SGPRBlocks: 0
; VGPRBlocks: 0
; NumSGPRsForWavesPerEU: 1
; NumVGPRsForWavesPerEU: 1
; Occupancy: 16
; WaveLimiterHint : 0
; COMPUTE_PGM_RSRC2:SCRATCH_EN: 0
; COMPUTE_PGM_RSRC2:USER_SGPR: 15
; COMPUTE_PGM_RSRC2:TRAP_HANDLER: 0
; COMPUTE_PGM_RSRC2:TGID_X_EN: 1
; COMPUTE_PGM_RSRC2:TGID_Y_EN: 0
; COMPUTE_PGM_RSRC2:TGID_Z_EN: 0
; COMPUTE_PGM_RSRC2:TIDIG_COMP_CNT: 0
	.section	.text._ZN7rocprim17ROCPRIM_400000_NS6detail17trampoline_kernelINS0_14default_configENS1_29reduce_by_key_config_selectorIjsN6thrust23THRUST_200600_302600_NS4plusIsEEEEZZNS1_33reduce_by_key_impl_wrapped_configILNS1_25lookback_scan_determinismE0ES3_S9_NS6_6detail15normal_iteratorINS6_10device_ptrIjEEEENSD_INSE_IsEEEENS6_16discard_iteratorINS6_11use_defaultEEESI_PmS8_NS6_8equal_toIjEEEE10hipError_tPvRmT2_T3_mT4_T5_T6_T7_T8_P12ihipStream_tbENKUlT_T0_E_clISt17integral_constantIbLb1EES15_IbLb0EEEEDaS11_S12_EUlS11_E_NS1_11comp_targetILNS1_3genE0ELNS1_11target_archE4294967295ELNS1_3gpuE0ELNS1_3repE0EEENS1_30default_config_static_selectorELNS0_4arch9wavefront6targetE0EEEvT1_,"axG",@progbits,_ZN7rocprim17ROCPRIM_400000_NS6detail17trampoline_kernelINS0_14default_configENS1_29reduce_by_key_config_selectorIjsN6thrust23THRUST_200600_302600_NS4plusIsEEEEZZNS1_33reduce_by_key_impl_wrapped_configILNS1_25lookback_scan_determinismE0ES3_S9_NS6_6detail15normal_iteratorINS6_10device_ptrIjEEEENSD_INSE_IsEEEENS6_16discard_iteratorINS6_11use_defaultEEESI_PmS8_NS6_8equal_toIjEEEE10hipError_tPvRmT2_T3_mT4_T5_T6_T7_T8_P12ihipStream_tbENKUlT_T0_E_clISt17integral_constantIbLb1EES15_IbLb0EEEEDaS11_S12_EUlS11_E_NS1_11comp_targetILNS1_3genE0ELNS1_11target_archE4294967295ELNS1_3gpuE0ELNS1_3repE0EEENS1_30default_config_static_selectorELNS0_4arch9wavefront6targetE0EEEvT1_,comdat
	.protected	_ZN7rocprim17ROCPRIM_400000_NS6detail17trampoline_kernelINS0_14default_configENS1_29reduce_by_key_config_selectorIjsN6thrust23THRUST_200600_302600_NS4plusIsEEEEZZNS1_33reduce_by_key_impl_wrapped_configILNS1_25lookback_scan_determinismE0ES3_S9_NS6_6detail15normal_iteratorINS6_10device_ptrIjEEEENSD_INSE_IsEEEENS6_16discard_iteratorINS6_11use_defaultEEESI_PmS8_NS6_8equal_toIjEEEE10hipError_tPvRmT2_T3_mT4_T5_T6_T7_T8_P12ihipStream_tbENKUlT_T0_E_clISt17integral_constantIbLb1EES15_IbLb0EEEEDaS11_S12_EUlS11_E_NS1_11comp_targetILNS1_3genE0ELNS1_11target_archE4294967295ELNS1_3gpuE0ELNS1_3repE0EEENS1_30default_config_static_selectorELNS0_4arch9wavefront6targetE0EEEvT1_ ; -- Begin function _ZN7rocprim17ROCPRIM_400000_NS6detail17trampoline_kernelINS0_14default_configENS1_29reduce_by_key_config_selectorIjsN6thrust23THRUST_200600_302600_NS4plusIsEEEEZZNS1_33reduce_by_key_impl_wrapped_configILNS1_25lookback_scan_determinismE0ES3_S9_NS6_6detail15normal_iteratorINS6_10device_ptrIjEEEENSD_INSE_IsEEEENS6_16discard_iteratorINS6_11use_defaultEEESI_PmS8_NS6_8equal_toIjEEEE10hipError_tPvRmT2_T3_mT4_T5_T6_T7_T8_P12ihipStream_tbENKUlT_T0_E_clISt17integral_constantIbLb1EES15_IbLb0EEEEDaS11_S12_EUlS11_E_NS1_11comp_targetILNS1_3genE0ELNS1_11target_archE4294967295ELNS1_3gpuE0ELNS1_3repE0EEENS1_30default_config_static_selectorELNS0_4arch9wavefront6targetE0EEEvT1_
	.globl	_ZN7rocprim17ROCPRIM_400000_NS6detail17trampoline_kernelINS0_14default_configENS1_29reduce_by_key_config_selectorIjsN6thrust23THRUST_200600_302600_NS4plusIsEEEEZZNS1_33reduce_by_key_impl_wrapped_configILNS1_25lookback_scan_determinismE0ES3_S9_NS6_6detail15normal_iteratorINS6_10device_ptrIjEEEENSD_INSE_IsEEEENS6_16discard_iteratorINS6_11use_defaultEEESI_PmS8_NS6_8equal_toIjEEEE10hipError_tPvRmT2_T3_mT4_T5_T6_T7_T8_P12ihipStream_tbENKUlT_T0_E_clISt17integral_constantIbLb1EES15_IbLb0EEEEDaS11_S12_EUlS11_E_NS1_11comp_targetILNS1_3genE0ELNS1_11target_archE4294967295ELNS1_3gpuE0ELNS1_3repE0EEENS1_30default_config_static_selectorELNS0_4arch9wavefront6targetE0EEEvT1_
	.p2align	8
	.type	_ZN7rocprim17ROCPRIM_400000_NS6detail17trampoline_kernelINS0_14default_configENS1_29reduce_by_key_config_selectorIjsN6thrust23THRUST_200600_302600_NS4plusIsEEEEZZNS1_33reduce_by_key_impl_wrapped_configILNS1_25lookback_scan_determinismE0ES3_S9_NS6_6detail15normal_iteratorINS6_10device_ptrIjEEEENSD_INSE_IsEEEENS6_16discard_iteratorINS6_11use_defaultEEESI_PmS8_NS6_8equal_toIjEEEE10hipError_tPvRmT2_T3_mT4_T5_T6_T7_T8_P12ihipStream_tbENKUlT_T0_E_clISt17integral_constantIbLb1EES15_IbLb0EEEEDaS11_S12_EUlS11_E_NS1_11comp_targetILNS1_3genE0ELNS1_11target_archE4294967295ELNS1_3gpuE0ELNS1_3repE0EEENS1_30default_config_static_selectorELNS0_4arch9wavefront6targetE0EEEvT1_,@function
_ZN7rocprim17ROCPRIM_400000_NS6detail17trampoline_kernelINS0_14default_configENS1_29reduce_by_key_config_selectorIjsN6thrust23THRUST_200600_302600_NS4plusIsEEEEZZNS1_33reduce_by_key_impl_wrapped_configILNS1_25lookback_scan_determinismE0ES3_S9_NS6_6detail15normal_iteratorINS6_10device_ptrIjEEEENSD_INSE_IsEEEENS6_16discard_iteratorINS6_11use_defaultEEESI_PmS8_NS6_8equal_toIjEEEE10hipError_tPvRmT2_T3_mT4_T5_T6_T7_T8_P12ihipStream_tbENKUlT_T0_E_clISt17integral_constantIbLb1EES15_IbLb0EEEEDaS11_S12_EUlS11_E_NS1_11comp_targetILNS1_3genE0ELNS1_11target_archE4294967295ELNS1_3gpuE0ELNS1_3repE0EEENS1_30default_config_static_selectorELNS0_4arch9wavefront6targetE0EEEvT1_: ; @_ZN7rocprim17ROCPRIM_400000_NS6detail17trampoline_kernelINS0_14default_configENS1_29reduce_by_key_config_selectorIjsN6thrust23THRUST_200600_302600_NS4plusIsEEEEZZNS1_33reduce_by_key_impl_wrapped_configILNS1_25lookback_scan_determinismE0ES3_S9_NS6_6detail15normal_iteratorINS6_10device_ptrIjEEEENSD_INSE_IsEEEENS6_16discard_iteratorINS6_11use_defaultEEESI_PmS8_NS6_8equal_toIjEEEE10hipError_tPvRmT2_T3_mT4_T5_T6_T7_T8_P12ihipStream_tbENKUlT_T0_E_clISt17integral_constantIbLb1EES15_IbLb0EEEEDaS11_S12_EUlS11_E_NS1_11comp_targetILNS1_3genE0ELNS1_11target_archE4294967295ELNS1_3gpuE0ELNS1_3repE0EEENS1_30default_config_static_selectorELNS0_4arch9wavefront6targetE0EEEvT1_
; %bb.0:
	.section	.rodata,"a",@progbits
	.p2align	6, 0x0
	.amdhsa_kernel _ZN7rocprim17ROCPRIM_400000_NS6detail17trampoline_kernelINS0_14default_configENS1_29reduce_by_key_config_selectorIjsN6thrust23THRUST_200600_302600_NS4plusIsEEEEZZNS1_33reduce_by_key_impl_wrapped_configILNS1_25lookback_scan_determinismE0ES3_S9_NS6_6detail15normal_iteratorINS6_10device_ptrIjEEEENSD_INSE_IsEEEENS6_16discard_iteratorINS6_11use_defaultEEESI_PmS8_NS6_8equal_toIjEEEE10hipError_tPvRmT2_T3_mT4_T5_T6_T7_T8_P12ihipStream_tbENKUlT_T0_E_clISt17integral_constantIbLb1EES15_IbLb0EEEEDaS11_S12_EUlS11_E_NS1_11comp_targetILNS1_3genE0ELNS1_11target_archE4294967295ELNS1_3gpuE0ELNS1_3repE0EEENS1_30default_config_static_selectorELNS0_4arch9wavefront6targetE0EEEvT1_
		.amdhsa_group_segment_fixed_size 0
		.amdhsa_private_segment_fixed_size 0
		.amdhsa_kernarg_size 128
		.amdhsa_user_sgpr_count 15
		.amdhsa_user_sgpr_dispatch_ptr 0
		.amdhsa_user_sgpr_queue_ptr 0
		.amdhsa_user_sgpr_kernarg_segment_ptr 1
		.amdhsa_user_sgpr_dispatch_id 0
		.amdhsa_user_sgpr_private_segment_size 0
		.amdhsa_wavefront_size32 1
		.amdhsa_uses_dynamic_stack 0
		.amdhsa_enable_private_segment 0
		.amdhsa_system_sgpr_workgroup_id_x 1
		.amdhsa_system_sgpr_workgroup_id_y 0
		.amdhsa_system_sgpr_workgroup_id_z 0
		.amdhsa_system_sgpr_workgroup_info 0
		.amdhsa_system_vgpr_workitem_id 0
		.amdhsa_next_free_vgpr 1
		.amdhsa_next_free_sgpr 1
		.amdhsa_reserve_vcc 0
		.amdhsa_float_round_mode_32 0
		.amdhsa_float_round_mode_16_64 0
		.amdhsa_float_denorm_mode_32 3
		.amdhsa_float_denorm_mode_16_64 3
		.amdhsa_dx10_clamp 1
		.amdhsa_ieee_mode 1
		.amdhsa_fp16_overflow 0
		.amdhsa_workgroup_processor_mode 1
		.amdhsa_memory_ordered 1
		.amdhsa_forward_progress 0
		.amdhsa_shared_vgpr_count 0
		.amdhsa_exception_fp_ieee_invalid_op 0
		.amdhsa_exception_fp_denorm_src 0
		.amdhsa_exception_fp_ieee_div_zero 0
		.amdhsa_exception_fp_ieee_overflow 0
		.amdhsa_exception_fp_ieee_underflow 0
		.amdhsa_exception_fp_ieee_inexact 0
		.amdhsa_exception_int_div_zero 0
	.end_amdhsa_kernel
	.section	.text._ZN7rocprim17ROCPRIM_400000_NS6detail17trampoline_kernelINS0_14default_configENS1_29reduce_by_key_config_selectorIjsN6thrust23THRUST_200600_302600_NS4plusIsEEEEZZNS1_33reduce_by_key_impl_wrapped_configILNS1_25lookback_scan_determinismE0ES3_S9_NS6_6detail15normal_iteratorINS6_10device_ptrIjEEEENSD_INSE_IsEEEENS6_16discard_iteratorINS6_11use_defaultEEESI_PmS8_NS6_8equal_toIjEEEE10hipError_tPvRmT2_T3_mT4_T5_T6_T7_T8_P12ihipStream_tbENKUlT_T0_E_clISt17integral_constantIbLb1EES15_IbLb0EEEEDaS11_S12_EUlS11_E_NS1_11comp_targetILNS1_3genE0ELNS1_11target_archE4294967295ELNS1_3gpuE0ELNS1_3repE0EEENS1_30default_config_static_selectorELNS0_4arch9wavefront6targetE0EEEvT1_,"axG",@progbits,_ZN7rocprim17ROCPRIM_400000_NS6detail17trampoline_kernelINS0_14default_configENS1_29reduce_by_key_config_selectorIjsN6thrust23THRUST_200600_302600_NS4plusIsEEEEZZNS1_33reduce_by_key_impl_wrapped_configILNS1_25lookback_scan_determinismE0ES3_S9_NS6_6detail15normal_iteratorINS6_10device_ptrIjEEEENSD_INSE_IsEEEENS6_16discard_iteratorINS6_11use_defaultEEESI_PmS8_NS6_8equal_toIjEEEE10hipError_tPvRmT2_T3_mT4_T5_T6_T7_T8_P12ihipStream_tbENKUlT_T0_E_clISt17integral_constantIbLb1EES15_IbLb0EEEEDaS11_S12_EUlS11_E_NS1_11comp_targetILNS1_3genE0ELNS1_11target_archE4294967295ELNS1_3gpuE0ELNS1_3repE0EEENS1_30default_config_static_selectorELNS0_4arch9wavefront6targetE0EEEvT1_,comdat
.Lfunc_end1075:
	.size	_ZN7rocprim17ROCPRIM_400000_NS6detail17trampoline_kernelINS0_14default_configENS1_29reduce_by_key_config_selectorIjsN6thrust23THRUST_200600_302600_NS4plusIsEEEEZZNS1_33reduce_by_key_impl_wrapped_configILNS1_25lookback_scan_determinismE0ES3_S9_NS6_6detail15normal_iteratorINS6_10device_ptrIjEEEENSD_INSE_IsEEEENS6_16discard_iteratorINS6_11use_defaultEEESI_PmS8_NS6_8equal_toIjEEEE10hipError_tPvRmT2_T3_mT4_T5_T6_T7_T8_P12ihipStream_tbENKUlT_T0_E_clISt17integral_constantIbLb1EES15_IbLb0EEEEDaS11_S12_EUlS11_E_NS1_11comp_targetILNS1_3genE0ELNS1_11target_archE4294967295ELNS1_3gpuE0ELNS1_3repE0EEENS1_30default_config_static_selectorELNS0_4arch9wavefront6targetE0EEEvT1_, .Lfunc_end1075-_ZN7rocprim17ROCPRIM_400000_NS6detail17trampoline_kernelINS0_14default_configENS1_29reduce_by_key_config_selectorIjsN6thrust23THRUST_200600_302600_NS4plusIsEEEEZZNS1_33reduce_by_key_impl_wrapped_configILNS1_25lookback_scan_determinismE0ES3_S9_NS6_6detail15normal_iteratorINS6_10device_ptrIjEEEENSD_INSE_IsEEEENS6_16discard_iteratorINS6_11use_defaultEEESI_PmS8_NS6_8equal_toIjEEEE10hipError_tPvRmT2_T3_mT4_T5_T6_T7_T8_P12ihipStream_tbENKUlT_T0_E_clISt17integral_constantIbLb1EES15_IbLb0EEEEDaS11_S12_EUlS11_E_NS1_11comp_targetILNS1_3genE0ELNS1_11target_archE4294967295ELNS1_3gpuE0ELNS1_3repE0EEENS1_30default_config_static_selectorELNS0_4arch9wavefront6targetE0EEEvT1_
                                        ; -- End function
	.section	.AMDGPU.csdata,"",@progbits
; Kernel info:
; codeLenInByte = 0
; NumSgprs: 0
; NumVgprs: 0
; ScratchSize: 0
; MemoryBound: 0
; FloatMode: 240
; IeeeMode: 1
; LDSByteSize: 0 bytes/workgroup (compile time only)
; SGPRBlocks: 0
; VGPRBlocks: 0
; NumSGPRsForWavesPerEU: 1
; NumVGPRsForWavesPerEU: 1
; Occupancy: 16
; WaveLimiterHint : 0
; COMPUTE_PGM_RSRC2:SCRATCH_EN: 0
; COMPUTE_PGM_RSRC2:USER_SGPR: 15
; COMPUTE_PGM_RSRC2:TRAP_HANDLER: 0
; COMPUTE_PGM_RSRC2:TGID_X_EN: 1
; COMPUTE_PGM_RSRC2:TGID_Y_EN: 0
; COMPUTE_PGM_RSRC2:TGID_Z_EN: 0
; COMPUTE_PGM_RSRC2:TIDIG_COMP_CNT: 0
	.section	.text._ZN7rocprim17ROCPRIM_400000_NS6detail17trampoline_kernelINS0_14default_configENS1_29reduce_by_key_config_selectorIjsN6thrust23THRUST_200600_302600_NS4plusIsEEEEZZNS1_33reduce_by_key_impl_wrapped_configILNS1_25lookback_scan_determinismE0ES3_S9_NS6_6detail15normal_iteratorINS6_10device_ptrIjEEEENSD_INSE_IsEEEENS6_16discard_iteratorINS6_11use_defaultEEESI_PmS8_NS6_8equal_toIjEEEE10hipError_tPvRmT2_T3_mT4_T5_T6_T7_T8_P12ihipStream_tbENKUlT_T0_E_clISt17integral_constantIbLb1EES15_IbLb0EEEEDaS11_S12_EUlS11_E_NS1_11comp_targetILNS1_3genE5ELNS1_11target_archE942ELNS1_3gpuE9ELNS1_3repE0EEENS1_30default_config_static_selectorELNS0_4arch9wavefront6targetE0EEEvT1_,"axG",@progbits,_ZN7rocprim17ROCPRIM_400000_NS6detail17trampoline_kernelINS0_14default_configENS1_29reduce_by_key_config_selectorIjsN6thrust23THRUST_200600_302600_NS4plusIsEEEEZZNS1_33reduce_by_key_impl_wrapped_configILNS1_25lookback_scan_determinismE0ES3_S9_NS6_6detail15normal_iteratorINS6_10device_ptrIjEEEENSD_INSE_IsEEEENS6_16discard_iteratorINS6_11use_defaultEEESI_PmS8_NS6_8equal_toIjEEEE10hipError_tPvRmT2_T3_mT4_T5_T6_T7_T8_P12ihipStream_tbENKUlT_T0_E_clISt17integral_constantIbLb1EES15_IbLb0EEEEDaS11_S12_EUlS11_E_NS1_11comp_targetILNS1_3genE5ELNS1_11target_archE942ELNS1_3gpuE9ELNS1_3repE0EEENS1_30default_config_static_selectorELNS0_4arch9wavefront6targetE0EEEvT1_,comdat
	.protected	_ZN7rocprim17ROCPRIM_400000_NS6detail17trampoline_kernelINS0_14default_configENS1_29reduce_by_key_config_selectorIjsN6thrust23THRUST_200600_302600_NS4plusIsEEEEZZNS1_33reduce_by_key_impl_wrapped_configILNS1_25lookback_scan_determinismE0ES3_S9_NS6_6detail15normal_iteratorINS6_10device_ptrIjEEEENSD_INSE_IsEEEENS6_16discard_iteratorINS6_11use_defaultEEESI_PmS8_NS6_8equal_toIjEEEE10hipError_tPvRmT2_T3_mT4_T5_T6_T7_T8_P12ihipStream_tbENKUlT_T0_E_clISt17integral_constantIbLb1EES15_IbLb0EEEEDaS11_S12_EUlS11_E_NS1_11comp_targetILNS1_3genE5ELNS1_11target_archE942ELNS1_3gpuE9ELNS1_3repE0EEENS1_30default_config_static_selectorELNS0_4arch9wavefront6targetE0EEEvT1_ ; -- Begin function _ZN7rocprim17ROCPRIM_400000_NS6detail17trampoline_kernelINS0_14default_configENS1_29reduce_by_key_config_selectorIjsN6thrust23THRUST_200600_302600_NS4plusIsEEEEZZNS1_33reduce_by_key_impl_wrapped_configILNS1_25lookback_scan_determinismE0ES3_S9_NS6_6detail15normal_iteratorINS6_10device_ptrIjEEEENSD_INSE_IsEEEENS6_16discard_iteratorINS6_11use_defaultEEESI_PmS8_NS6_8equal_toIjEEEE10hipError_tPvRmT2_T3_mT4_T5_T6_T7_T8_P12ihipStream_tbENKUlT_T0_E_clISt17integral_constantIbLb1EES15_IbLb0EEEEDaS11_S12_EUlS11_E_NS1_11comp_targetILNS1_3genE5ELNS1_11target_archE942ELNS1_3gpuE9ELNS1_3repE0EEENS1_30default_config_static_selectorELNS0_4arch9wavefront6targetE0EEEvT1_
	.globl	_ZN7rocprim17ROCPRIM_400000_NS6detail17trampoline_kernelINS0_14default_configENS1_29reduce_by_key_config_selectorIjsN6thrust23THRUST_200600_302600_NS4plusIsEEEEZZNS1_33reduce_by_key_impl_wrapped_configILNS1_25lookback_scan_determinismE0ES3_S9_NS6_6detail15normal_iteratorINS6_10device_ptrIjEEEENSD_INSE_IsEEEENS6_16discard_iteratorINS6_11use_defaultEEESI_PmS8_NS6_8equal_toIjEEEE10hipError_tPvRmT2_T3_mT4_T5_T6_T7_T8_P12ihipStream_tbENKUlT_T0_E_clISt17integral_constantIbLb1EES15_IbLb0EEEEDaS11_S12_EUlS11_E_NS1_11comp_targetILNS1_3genE5ELNS1_11target_archE942ELNS1_3gpuE9ELNS1_3repE0EEENS1_30default_config_static_selectorELNS0_4arch9wavefront6targetE0EEEvT1_
	.p2align	8
	.type	_ZN7rocprim17ROCPRIM_400000_NS6detail17trampoline_kernelINS0_14default_configENS1_29reduce_by_key_config_selectorIjsN6thrust23THRUST_200600_302600_NS4plusIsEEEEZZNS1_33reduce_by_key_impl_wrapped_configILNS1_25lookback_scan_determinismE0ES3_S9_NS6_6detail15normal_iteratorINS6_10device_ptrIjEEEENSD_INSE_IsEEEENS6_16discard_iteratorINS6_11use_defaultEEESI_PmS8_NS6_8equal_toIjEEEE10hipError_tPvRmT2_T3_mT4_T5_T6_T7_T8_P12ihipStream_tbENKUlT_T0_E_clISt17integral_constantIbLb1EES15_IbLb0EEEEDaS11_S12_EUlS11_E_NS1_11comp_targetILNS1_3genE5ELNS1_11target_archE942ELNS1_3gpuE9ELNS1_3repE0EEENS1_30default_config_static_selectorELNS0_4arch9wavefront6targetE0EEEvT1_,@function
_ZN7rocprim17ROCPRIM_400000_NS6detail17trampoline_kernelINS0_14default_configENS1_29reduce_by_key_config_selectorIjsN6thrust23THRUST_200600_302600_NS4plusIsEEEEZZNS1_33reduce_by_key_impl_wrapped_configILNS1_25lookback_scan_determinismE0ES3_S9_NS6_6detail15normal_iteratorINS6_10device_ptrIjEEEENSD_INSE_IsEEEENS6_16discard_iteratorINS6_11use_defaultEEESI_PmS8_NS6_8equal_toIjEEEE10hipError_tPvRmT2_T3_mT4_T5_T6_T7_T8_P12ihipStream_tbENKUlT_T0_E_clISt17integral_constantIbLb1EES15_IbLb0EEEEDaS11_S12_EUlS11_E_NS1_11comp_targetILNS1_3genE5ELNS1_11target_archE942ELNS1_3gpuE9ELNS1_3repE0EEENS1_30default_config_static_selectorELNS0_4arch9wavefront6targetE0EEEvT1_: ; @_ZN7rocprim17ROCPRIM_400000_NS6detail17trampoline_kernelINS0_14default_configENS1_29reduce_by_key_config_selectorIjsN6thrust23THRUST_200600_302600_NS4plusIsEEEEZZNS1_33reduce_by_key_impl_wrapped_configILNS1_25lookback_scan_determinismE0ES3_S9_NS6_6detail15normal_iteratorINS6_10device_ptrIjEEEENSD_INSE_IsEEEENS6_16discard_iteratorINS6_11use_defaultEEESI_PmS8_NS6_8equal_toIjEEEE10hipError_tPvRmT2_T3_mT4_T5_T6_T7_T8_P12ihipStream_tbENKUlT_T0_E_clISt17integral_constantIbLb1EES15_IbLb0EEEEDaS11_S12_EUlS11_E_NS1_11comp_targetILNS1_3genE5ELNS1_11target_archE942ELNS1_3gpuE9ELNS1_3repE0EEENS1_30default_config_static_selectorELNS0_4arch9wavefront6targetE0EEEvT1_
; %bb.0:
	.section	.rodata,"a",@progbits
	.p2align	6, 0x0
	.amdhsa_kernel _ZN7rocprim17ROCPRIM_400000_NS6detail17trampoline_kernelINS0_14default_configENS1_29reduce_by_key_config_selectorIjsN6thrust23THRUST_200600_302600_NS4plusIsEEEEZZNS1_33reduce_by_key_impl_wrapped_configILNS1_25lookback_scan_determinismE0ES3_S9_NS6_6detail15normal_iteratorINS6_10device_ptrIjEEEENSD_INSE_IsEEEENS6_16discard_iteratorINS6_11use_defaultEEESI_PmS8_NS6_8equal_toIjEEEE10hipError_tPvRmT2_T3_mT4_T5_T6_T7_T8_P12ihipStream_tbENKUlT_T0_E_clISt17integral_constantIbLb1EES15_IbLb0EEEEDaS11_S12_EUlS11_E_NS1_11comp_targetILNS1_3genE5ELNS1_11target_archE942ELNS1_3gpuE9ELNS1_3repE0EEENS1_30default_config_static_selectorELNS0_4arch9wavefront6targetE0EEEvT1_
		.amdhsa_group_segment_fixed_size 0
		.amdhsa_private_segment_fixed_size 0
		.amdhsa_kernarg_size 128
		.amdhsa_user_sgpr_count 15
		.amdhsa_user_sgpr_dispatch_ptr 0
		.amdhsa_user_sgpr_queue_ptr 0
		.amdhsa_user_sgpr_kernarg_segment_ptr 1
		.amdhsa_user_sgpr_dispatch_id 0
		.amdhsa_user_sgpr_private_segment_size 0
		.amdhsa_wavefront_size32 1
		.amdhsa_uses_dynamic_stack 0
		.amdhsa_enable_private_segment 0
		.amdhsa_system_sgpr_workgroup_id_x 1
		.amdhsa_system_sgpr_workgroup_id_y 0
		.amdhsa_system_sgpr_workgroup_id_z 0
		.amdhsa_system_sgpr_workgroup_info 0
		.amdhsa_system_vgpr_workitem_id 0
		.amdhsa_next_free_vgpr 1
		.amdhsa_next_free_sgpr 1
		.amdhsa_reserve_vcc 0
		.amdhsa_float_round_mode_32 0
		.amdhsa_float_round_mode_16_64 0
		.amdhsa_float_denorm_mode_32 3
		.amdhsa_float_denorm_mode_16_64 3
		.amdhsa_dx10_clamp 1
		.amdhsa_ieee_mode 1
		.amdhsa_fp16_overflow 0
		.amdhsa_workgroup_processor_mode 1
		.amdhsa_memory_ordered 1
		.amdhsa_forward_progress 0
		.amdhsa_shared_vgpr_count 0
		.amdhsa_exception_fp_ieee_invalid_op 0
		.amdhsa_exception_fp_denorm_src 0
		.amdhsa_exception_fp_ieee_div_zero 0
		.amdhsa_exception_fp_ieee_overflow 0
		.amdhsa_exception_fp_ieee_underflow 0
		.amdhsa_exception_fp_ieee_inexact 0
		.amdhsa_exception_int_div_zero 0
	.end_amdhsa_kernel
	.section	.text._ZN7rocprim17ROCPRIM_400000_NS6detail17trampoline_kernelINS0_14default_configENS1_29reduce_by_key_config_selectorIjsN6thrust23THRUST_200600_302600_NS4plusIsEEEEZZNS1_33reduce_by_key_impl_wrapped_configILNS1_25lookback_scan_determinismE0ES3_S9_NS6_6detail15normal_iteratorINS6_10device_ptrIjEEEENSD_INSE_IsEEEENS6_16discard_iteratorINS6_11use_defaultEEESI_PmS8_NS6_8equal_toIjEEEE10hipError_tPvRmT2_T3_mT4_T5_T6_T7_T8_P12ihipStream_tbENKUlT_T0_E_clISt17integral_constantIbLb1EES15_IbLb0EEEEDaS11_S12_EUlS11_E_NS1_11comp_targetILNS1_3genE5ELNS1_11target_archE942ELNS1_3gpuE9ELNS1_3repE0EEENS1_30default_config_static_selectorELNS0_4arch9wavefront6targetE0EEEvT1_,"axG",@progbits,_ZN7rocprim17ROCPRIM_400000_NS6detail17trampoline_kernelINS0_14default_configENS1_29reduce_by_key_config_selectorIjsN6thrust23THRUST_200600_302600_NS4plusIsEEEEZZNS1_33reduce_by_key_impl_wrapped_configILNS1_25lookback_scan_determinismE0ES3_S9_NS6_6detail15normal_iteratorINS6_10device_ptrIjEEEENSD_INSE_IsEEEENS6_16discard_iteratorINS6_11use_defaultEEESI_PmS8_NS6_8equal_toIjEEEE10hipError_tPvRmT2_T3_mT4_T5_T6_T7_T8_P12ihipStream_tbENKUlT_T0_E_clISt17integral_constantIbLb1EES15_IbLb0EEEEDaS11_S12_EUlS11_E_NS1_11comp_targetILNS1_3genE5ELNS1_11target_archE942ELNS1_3gpuE9ELNS1_3repE0EEENS1_30default_config_static_selectorELNS0_4arch9wavefront6targetE0EEEvT1_,comdat
.Lfunc_end1076:
	.size	_ZN7rocprim17ROCPRIM_400000_NS6detail17trampoline_kernelINS0_14default_configENS1_29reduce_by_key_config_selectorIjsN6thrust23THRUST_200600_302600_NS4plusIsEEEEZZNS1_33reduce_by_key_impl_wrapped_configILNS1_25lookback_scan_determinismE0ES3_S9_NS6_6detail15normal_iteratorINS6_10device_ptrIjEEEENSD_INSE_IsEEEENS6_16discard_iteratorINS6_11use_defaultEEESI_PmS8_NS6_8equal_toIjEEEE10hipError_tPvRmT2_T3_mT4_T5_T6_T7_T8_P12ihipStream_tbENKUlT_T0_E_clISt17integral_constantIbLb1EES15_IbLb0EEEEDaS11_S12_EUlS11_E_NS1_11comp_targetILNS1_3genE5ELNS1_11target_archE942ELNS1_3gpuE9ELNS1_3repE0EEENS1_30default_config_static_selectorELNS0_4arch9wavefront6targetE0EEEvT1_, .Lfunc_end1076-_ZN7rocprim17ROCPRIM_400000_NS6detail17trampoline_kernelINS0_14default_configENS1_29reduce_by_key_config_selectorIjsN6thrust23THRUST_200600_302600_NS4plusIsEEEEZZNS1_33reduce_by_key_impl_wrapped_configILNS1_25lookback_scan_determinismE0ES3_S9_NS6_6detail15normal_iteratorINS6_10device_ptrIjEEEENSD_INSE_IsEEEENS6_16discard_iteratorINS6_11use_defaultEEESI_PmS8_NS6_8equal_toIjEEEE10hipError_tPvRmT2_T3_mT4_T5_T6_T7_T8_P12ihipStream_tbENKUlT_T0_E_clISt17integral_constantIbLb1EES15_IbLb0EEEEDaS11_S12_EUlS11_E_NS1_11comp_targetILNS1_3genE5ELNS1_11target_archE942ELNS1_3gpuE9ELNS1_3repE0EEENS1_30default_config_static_selectorELNS0_4arch9wavefront6targetE0EEEvT1_
                                        ; -- End function
	.section	.AMDGPU.csdata,"",@progbits
; Kernel info:
; codeLenInByte = 0
; NumSgprs: 0
; NumVgprs: 0
; ScratchSize: 0
; MemoryBound: 0
; FloatMode: 240
; IeeeMode: 1
; LDSByteSize: 0 bytes/workgroup (compile time only)
; SGPRBlocks: 0
; VGPRBlocks: 0
; NumSGPRsForWavesPerEU: 1
; NumVGPRsForWavesPerEU: 1
; Occupancy: 16
; WaveLimiterHint : 0
; COMPUTE_PGM_RSRC2:SCRATCH_EN: 0
; COMPUTE_PGM_RSRC2:USER_SGPR: 15
; COMPUTE_PGM_RSRC2:TRAP_HANDLER: 0
; COMPUTE_PGM_RSRC2:TGID_X_EN: 1
; COMPUTE_PGM_RSRC2:TGID_Y_EN: 0
; COMPUTE_PGM_RSRC2:TGID_Z_EN: 0
; COMPUTE_PGM_RSRC2:TIDIG_COMP_CNT: 0
	.section	.text._ZN7rocprim17ROCPRIM_400000_NS6detail17trampoline_kernelINS0_14default_configENS1_29reduce_by_key_config_selectorIjsN6thrust23THRUST_200600_302600_NS4plusIsEEEEZZNS1_33reduce_by_key_impl_wrapped_configILNS1_25lookback_scan_determinismE0ES3_S9_NS6_6detail15normal_iteratorINS6_10device_ptrIjEEEENSD_INSE_IsEEEENS6_16discard_iteratorINS6_11use_defaultEEESI_PmS8_NS6_8equal_toIjEEEE10hipError_tPvRmT2_T3_mT4_T5_T6_T7_T8_P12ihipStream_tbENKUlT_T0_E_clISt17integral_constantIbLb1EES15_IbLb0EEEEDaS11_S12_EUlS11_E_NS1_11comp_targetILNS1_3genE4ELNS1_11target_archE910ELNS1_3gpuE8ELNS1_3repE0EEENS1_30default_config_static_selectorELNS0_4arch9wavefront6targetE0EEEvT1_,"axG",@progbits,_ZN7rocprim17ROCPRIM_400000_NS6detail17trampoline_kernelINS0_14default_configENS1_29reduce_by_key_config_selectorIjsN6thrust23THRUST_200600_302600_NS4plusIsEEEEZZNS1_33reduce_by_key_impl_wrapped_configILNS1_25lookback_scan_determinismE0ES3_S9_NS6_6detail15normal_iteratorINS6_10device_ptrIjEEEENSD_INSE_IsEEEENS6_16discard_iteratorINS6_11use_defaultEEESI_PmS8_NS6_8equal_toIjEEEE10hipError_tPvRmT2_T3_mT4_T5_T6_T7_T8_P12ihipStream_tbENKUlT_T0_E_clISt17integral_constantIbLb1EES15_IbLb0EEEEDaS11_S12_EUlS11_E_NS1_11comp_targetILNS1_3genE4ELNS1_11target_archE910ELNS1_3gpuE8ELNS1_3repE0EEENS1_30default_config_static_selectorELNS0_4arch9wavefront6targetE0EEEvT1_,comdat
	.protected	_ZN7rocprim17ROCPRIM_400000_NS6detail17trampoline_kernelINS0_14default_configENS1_29reduce_by_key_config_selectorIjsN6thrust23THRUST_200600_302600_NS4plusIsEEEEZZNS1_33reduce_by_key_impl_wrapped_configILNS1_25lookback_scan_determinismE0ES3_S9_NS6_6detail15normal_iteratorINS6_10device_ptrIjEEEENSD_INSE_IsEEEENS6_16discard_iteratorINS6_11use_defaultEEESI_PmS8_NS6_8equal_toIjEEEE10hipError_tPvRmT2_T3_mT4_T5_T6_T7_T8_P12ihipStream_tbENKUlT_T0_E_clISt17integral_constantIbLb1EES15_IbLb0EEEEDaS11_S12_EUlS11_E_NS1_11comp_targetILNS1_3genE4ELNS1_11target_archE910ELNS1_3gpuE8ELNS1_3repE0EEENS1_30default_config_static_selectorELNS0_4arch9wavefront6targetE0EEEvT1_ ; -- Begin function _ZN7rocprim17ROCPRIM_400000_NS6detail17trampoline_kernelINS0_14default_configENS1_29reduce_by_key_config_selectorIjsN6thrust23THRUST_200600_302600_NS4plusIsEEEEZZNS1_33reduce_by_key_impl_wrapped_configILNS1_25lookback_scan_determinismE0ES3_S9_NS6_6detail15normal_iteratorINS6_10device_ptrIjEEEENSD_INSE_IsEEEENS6_16discard_iteratorINS6_11use_defaultEEESI_PmS8_NS6_8equal_toIjEEEE10hipError_tPvRmT2_T3_mT4_T5_T6_T7_T8_P12ihipStream_tbENKUlT_T0_E_clISt17integral_constantIbLb1EES15_IbLb0EEEEDaS11_S12_EUlS11_E_NS1_11comp_targetILNS1_3genE4ELNS1_11target_archE910ELNS1_3gpuE8ELNS1_3repE0EEENS1_30default_config_static_selectorELNS0_4arch9wavefront6targetE0EEEvT1_
	.globl	_ZN7rocprim17ROCPRIM_400000_NS6detail17trampoline_kernelINS0_14default_configENS1_29reduce_by_key_config_selectorIjsN6thrust23THRUST_200600_302600_NS4plusIsEEEEZZNS1_33reduce_by_key_impl_wrapped_configILNS1_25lookback_scan_determinismE0ES3_S9_NS6_6detail15normal_iteratorINS6_10device_ptrIjEEEENSD_INSE_IsEEEENS6_16discard_iteratorINS6_11use_defaultEEESI_PmS8_NS6_8equal_toIjEEEE10hipError_tPvRmT2_T3_mT4_T5_T6_T7_T8_P12ihipStream_tbENKUlT_T0_E_clISt17integral_constantIbLb1EES15_IbLb0EEEEDaS11_S12_EUlS11_E_NS1_11comp_targetILNS1_3genE4ELNS1_11target_archE910ELNS1_3gpuE8ELNS1_3repE0EEENS1_30default_config_static_selectorELNS0_4arch9wavefront6targetE0EEEvT1_
	.p2align	8
	.type	_ZN7rocprim17ROCPRIM_400000_NS6detail17trampoline_kernelINS0_14default_configENS1_29reduce_by_key_config_selectorIjsN6thrust23THRUST_200600_302600_NS4plusIsEEEEZZNS1_33reduce_by_key_impl_wrapped_configILNS1_25lookback_scan_determinismE0ES3_S9_NS6_6detail15normal_iteratorINS6_10device_ptrIjEEEENSD_INSE_IsEEEENS6_16discard_iteratorINS6_11use_defaultEEESI_PmS8_NS6_8equal_toIjEEEE10hipError_tPvRmT2_T3_mT4_T5_T6_T7_T8_P12ihipStream_tbENKUlT_T0_E_clISt17integral_constantIbLb1EES15_IbLb0EEEEDaS11_S12_EUlS11_E_NS1_11comp_targetILNS1_3genE4ELNS1_11target_archE910ELNS1_3gpuE8ELNS1_3repE0EEENS1_30default_config_static_selectorELNS0_4arch9wavefront6targetE0EEEvT1_,@function
_ZN7rocprim17ROCPRIM_400000_NS6detail17trampoline_kernelINS0_14default_configENS1_29reduce_by_key_config_selectorIjsN6thrust23THRUST_200600_302600_NS4plusIsEEEEZZNS1_33reduce_by_key_impl_wrapped_configILNS1_25lookback_scan_determinismE0ES3_S9_NS6_6detail15normal_iteratorINS6_10device_ptrIjEEEENSD_INSE_IsEEEENS6_16discard_iteratorINS6_11use_defaultEEESI_PmS8_NS6_8equal_toIjEEEE10hipError_tPvRmT2_T3_mT4_T5_T6_T7_T8_P12ihipStream_tbENKUlT_T0_E_clISt17integral_constantIbLb1EES15_IbLb0EEEEDaS11_S12_EUlS11_E_NS1_11comp_targetILNS1_3genE4ELNS1_11target_archE910ELNS1_3gpuE8ELNS1_3repE0EEENS1_30default_config_static_selectorELNS0_4arch9wavefront6targetE0EEEvT1_: ; @_ZN7rocprim17ROCPRIM_400000_NS6detail17trampoline_kernelINS0_14default_configENS1_29reduce_by_key_config_selectorIjsN6thrust23THRUST_200600_302600_NS4plusIsEEEEZZNS1_33reduce_by_key_impl_wrapped_configILNS1_25lookback_scan_determinismE0ES3_S9_NS6_6detail15normal_iteratorINS6_10device_ptrIjEEEENSD_INSE_IsEEEENS6_16discard_iteratorINS6_11use_defaultEEESI_PmS8_NS6_8equal_toIjEEEE10hipError_tPvRmT2_T3_mT4_T5_T6_T7_T8_P12ihipStream_tbENKUlT_T0_E_clISt17integral_constantIbLb1EES15_IbLb0EEEEDaS11_S12_EUlS11_E_NS1_11comp_targetILNS1_3genE4ELNS1_11target_archE910ELNS1_3gpuE8ELNS1_3repE0EEENS1_30default_config_static_selectorELNS0_4arch9wavefront6targetE0EEEvT1_
; %bb.0:
	.section	.rodata,"a",@progbits
	.p2align	6, 0x0
	.amdhsa_kernel _ZN7rocprim17ROCPRIM_400000_NS6detail17trampoline_kernelINS0_14default_configENS1_29reduce_by_key_config_selectorIjsN6thrust23THRUST_200600_302600_NS4plusIsEEEEZZNS1_33reduce_by_key_impl_wrapped_configILNS1_25lookback_scan_determinismE0ES3_S9_NS6_6detail15normal_iteratorINS6_10device_ptrIjEEEENSD_INSE_IsEEEENS6_16discard_iteratorINS6_11use_defaultEEESI_PmS8_NS6_8equal_toIjEEEE10hipError_tPvRmT2_T3_mT4_T5_T6_T7_T8_P12ihipStream_tbENKUlT_T0_E_clISt17integral_constantIbLb1EES15_IbLb0EEEEDaS11_S12_EUlS11_E_NS1_11comp_targetILNS1_3genE4ELNS1_11target_archE910ELNS1_3gpuE8ELNS1_3repE0EEENS1_30default_config_static_selectorELNS0_4arch9wavefront6targetE0EEEvT1_
		.amdhsa_group_segment_fixed_size 0
		.amdhsa_private_segment_fixed_size 0
		.amdhsa_kernarg_size 128
		.amdhsa_user_sgpr_count 15
		.amdhsa_user_sgpr_dispatch_ptr 0
		.amdhsa_user_sgpr_queue_ptr 0
		.amdhsa_user_sgpr_kernarg_segment_ptr 1
		.amdhsa_user_sgpr_dispatch_id 0
		.amdhsa_user_sgpr_private_segment_size 0
		.amdhsa_wavefront_size32 1
		.amdhsa_uses_dynamic_stack 0
		.amdhsa_enable_private_segment 0
		.amdhsa_system_sgpr_workgroup_id_x 1
		.amdhsa_system_sgpr_workgroup_id_y 0
		.amdhsa_system_sgpr_workgroup_id_z 0
		.amdhsa_system_sgpr_workgroup_info 0
		.amdhsa_system_vgpr_workitem_id 0
		.amdhsa_next_free_vgpr 1
		.amdhsa_next_free_sgpr 1
		.amdhsa_reserve_vcc 0
		.amdhsa_float_round_mode_32 0
		.amdhsa_float_round_mode_16_64 0
		.amdhsa_float_denorm_mode_32 3
		.amdhsa_float_denorm_mode_16_64 3
		.amdhsa_dx10_clamp 1
		.amdhsa_ieee_mode 1
		.amdhsa_fp16_overflow 0
		.amdhsa_workgroup_processor_mode 1
		.amdhsa_memory_ordered 1
		.amdhsa_forward_progress 0
		.amdhsa_shared_vgpr_count 0
		.amdhsa_exception_fp_ieee_invalid_op 0
		.amdhsa_exception_fp_denorm_src 0
		.amdhsa_exception_fp_ieee_div_zero 0
		.amdhsa_exception_fp_ieee_overflow 0
		.amdhsa_exception_fp_ieee_underflow 0
		.amdhsa_exception_fp_ieee_inexact 0
		.amdhsa_exception_int_div_zero 0
	.end_amdhsa_kernel
	.section	.text._ZN7rocprim17ROCPRIM_400000_NS6detail17trampoline_kernelINS0_14default_configENS1_29reduce_by_key_config_selectorIjsN6thrust23THRUST_200600_302600_NS4plusIsEEEEZZNS1_33reduce_by_key_impl_wrapped_configILNS1_25lookback_scan_determinismE0ES3_S9_NS6_6detail15normal_iteratorINS6_10device_ptrIjEEEENSD_INSE_IsEEEENS6_16discard_iteratorINS6_11use_defaultEEESI_PmS8_NS6_8equal_toIjEEEE10hipError_tPvRmT2_T3_mT4_T5_T6_T7_T8_P12ihipStream_tbENKUlT_T0_E_clISt17integral_constantIbLb1EES15_IbLb0EEEEDaS11_S12_EUlS11_E_NS1_11comp_targetILNS1_3genE4ELNS1_11target_archE910ELNS1_3gpuE8ELNS1_3repE0EEENS1_30default_config_static_selectorELNS0_4arch9wavefront6targetE0EEEvT1_,"axG",@progbits,_ZN7rocprim17ROCPRIM_400000_NS6detail17trampoline_kernelINS0_14default_configENS1_29reduce_by_key_config_selectorIjsN6thrust23THRUST_200600_302600_NS4plusIsEEEEZZNS1_33reduce_by_key_impl_wrapped_configILNS1_25lookback_scan_determinismE0ES3_S9_NS6_6detail15normal_iteratorINS6_10device_ptrIjEEEENSD_INSE_IsEEEENS6_16discard_iteratorINS6_11use_defaultEEESI_PmS8_NS6_8equal_toIjEEEE10hipError_tPvRmT2_T3_mT4_T5_T6_T7_T8_P12ihipStream_tbENKUlT_T0_E_clISt17integral_constantIbLb1EES15_IbLb0EEEEDaS11_S12_EUlS11_E_NS1_11comp_targetILNS1_3genE4ELNS1_11target_archE910ELNS1_3gpuE8ELNS1_3repE0EEENS1_30default_config_static_selectorELNS0_4arch9wavefront6targetE0EEEvT1_,comdat
.Lfunc_end1077:
	.size	_ZN7rocprim17ROCPRIM_400000_NS6detail17trampoline_kernelINS0_14default_configENS1_29reduce_by_key_config_selectorIjsN6thrust23THRUST_200600_302600_NS4plusIsEEEEZZNS1_33reduce_by_key_impl_wrapped_configILNS1_25lookback_scan_determinismE0ES3_S9_NS6_6detail15normal_iteratorINS6_10device_ptrIjEEEENSD_INSE_IsEEEENS6_16discard_iteratorINS6_11use_defaultEEESI_PmS8_NS6_8equal_toIjEEEE10hipError_tPvRmT2_T3_mT4_T5_T6_T7_T8_P12ihipStream_tbENKUlT_T0_E_clISt17integral_constantIbLb1EES15_IbLb0EEEEDaS11_S12_EUlS11_E_NS1_11comp_targetILNS1_3genE4ELNS1_11target_archE910ELNS1_3gpuE8ELNS1_3repE0EEENS1_30default_config_static_selectorELNS0_4arch9wavefront6targetE0EEEvT1_, .Lfunc_end1077-_ZN7rocprim17ROCPRIM_400000_NS6detail17trampoline_kernelINS0_14default_configENS1_29reduce_by_key_config_selectorIjsN6thrust23THRUST_200600_302600_NS4plusIsEEEEZZNS1_33reduce_by_key_impl_wrapped_configILNS1_25lookback_scan_determinismE0ES3_S9_NS6_6detail15normal_iteratorINS6_10device_ptrIjEEEENSD_INSE_IsEEEENS6_16discard_iteratorINS6_11use_defaultEEESI_PmS8_NS6_8equal_toIjEEEE10hipError_tPvRmT2_T3_mT4_T5_T6_T7_T8_P12ihipStream_tbENKUlT_T0_E_clISt17integral_constantIbLb1EES15_IbLb0EEEEDaS11_S12_EUlS11_E_NS1_11comp_targetILNS1_3genE4ELNS1_11target_archE910ELNS1_3gpuE8ELNS1_3repE0EEENS1_30default_config_static_selectorELNS0_4arch9wavefront6targetE0EEEvT1_
                                        ; -- End function
	.section	.AMDGPU.csdata,"",@progbits
; Kernel info:
; codeLenInByte = 0
; NumSgprs: 0
; NumVgprs: 0
; ScratchSize: 0
; MemoryBound: 0
; FloatMode: 240
; IeeeMode: 1
; LDSByteSize: 0 bytes/workgroup (compile time only)
; SGPRBlocks: 0
; VGPRBlocks: 0
; NumSGPRsForWavesPerEU: 1
; NumVGPRsForWavesPerEU: 1
; Occupancy: 16
; WaveLimiterHint : 0
; COMPUTE_PGM_RSRC2:SCRATCH_EN: 0
; COMPUTE_PGM_RSRC2:USER_SGPR: 15
; COMPUTE_PGM_RSRC2:TRAP_HANDLER: 0
; COMPUTE_PGM_RSRC2:TGID_X_EN: 1
; COMPUTE_PGM_RSRC2:TGID_Y_EN: 0
; COMPUTE_PGM_RSRC2:TGID_Z_EN: 0
; COMPUTE_PGM_RSRC2:TIDIG_COMP_CNT: 0
	.section	.text._ZN7rocprim17ROCPRIM_400000_NS6detail17trampoline_kernelINS0_14default_configENS1_29reduce_by_key_config_selectorIjsN6thrust23THRUST_200600_302600_NS4plusIsEEEEZZNS1_33reduce_by_key_impl_wrapped_configILNS1_25lookback_scan_determinismE0ES3_S9_NS6_6detail15normal_iteratorINS6_10device_ptrIjEEEENSD_INSE_IsEEEENS6_16discard_iteratorINS6_11use_defaultEEESI_PmS8_NS6_8equal_toIjEEEE10hipError_tPvRmT2_T3_mT4_T5_T6_T7_T8_P12ihipStream_tbENKUlT_T0_E_clISt17integral_constantIbLb1EES15_IbLb0EEEEDaS11_S12_EUlS11_E_NS1_11comp_targetILNS1_3genE3ELNS1_11target_archE908ELNS1_3gpuE7ELNS1_3repE0EEENS1_30default_config_static_selectorELNS0_4arch9wavefront6targetE0EEEvT1_,"axG",@progbits,_ZN7rocprim17ROCPRIM_400000_NS6detail17trampoline_kernelINS0_14default_configENS1_29reduce_by_key_config_selectorIjsN6thrust23THRUST_200600_302600_NS4plusIsEEEEZZNS1_33reduce_by_key_impl_wrapped_configILNS1_25lookback_scan_determinismE0ES3_S9_NS6_6detail15normal_iteratorINS6_10device_ptrIjEEEENSD_INSE_IsEEEENS6_16discard_iteratorINS6_11use_defaultEEESI_PmS8_NS6_8equal_toIjEEEE10hipError_tPvRmT2_T3_mT4_T5_T6_T7_T8_P12ihipStream_tbENKUlT_T0_E_clISt17integral_constantIbLb1EES15_IbLb0EEEEDaS11_S12_EUlS11_E_NS1_11comp_targetILNS1_3genE3ELNS1_11target_archE908ELNS1_3gpuE7ELNS1_3repE0EEENS1_30default_config_static_selectorELNS0_4arch9wavefront6targetE0EEEvT1_,comdat
	.protected	_ZN7rocprim17ROCPRIM_400000_NS6detail17trampoline_kernelINS0_14default_configENS1_29reduce_by_key_config_selectorIjsN6thrust23THRUST_200600_302600_NS4plusIsEEEEZZNS1_33reduce_by_key_impl_wrapped_configILNS1_25lookback_scan_determinismE0ES3_S9_NS6_6detail15normal_iteratorINS6_10device_ptrIjEEEENSD_INSE_IsEEEENS6_16discard_iteratorINS6_11use_defaultEEESI_PmS8_NS6_8equal_toIjEEEE10hipError_tPvRmT2_T3_mT4_T5_T6_T7_T8_P12ihipStream_tbENKUlT_T0_E_clISt17integral_constantIbLb1EES15_IbLb0EEEEDaS11_S12_EUlS11_E_NS1_11comp_targetILNS1_3genE3ELNS1_11target_archE908ELNS1_3gpuE7ELNS1_3repE0EEENS1_30default_config_static_selectorELNS0_4arch9wavefront6targetE0EEEvT1_ ; -- Begin function _ZN7rocprim17ROCPRIM_400000_NS6detail17trampoline_kernelINS0_14default_configENS1_29reduce_by_key_config_selectorIjsN6thrust23THRUST_200600_302600_NS4plusIsEEEEZZNS1_33reduce_by_key_impl_wrapped_configILNS1_25lookback_scan_determinismE0ES3_S9_NS6_6detail15normal_iteratorINS6_10device_ptrIjEEEENSD_INSE_IsEEEENS6_16discard_iteratorINS6_11use_defaultEEESI_PmS8_NS6_8equal_toIjEEEE10hipError_tPvRmT2_T3_mT4_T5_T6_T7_T8_P12ihipStream_tbENKUlT_T0_E_clISt17integral_constantIbLb1EES15_IbLb0EEEEDaS11_S12_EUlS11_E_NS1_11comp_targetILNS1_3genE3ELNS1_11target_archE908ELNS1_3gpuE7ELNS1_3repE0EEENS1_30default_config_static_selectorELNS0_4arch9wavefront6targetE0EEEvT1_
	.globl	_ZN7rocprim17ROCPRIM_400000_NS6detail17trampoline_kernelINS0_14default_configENS1_29reduce_by_key_config_selectorIjsN6thrust23THRUST_200600_302600_NS4plusIsEEEEZZNS1_33reduce_by_key_impl_wrapped_configILNS1_25lookback_scan_determinismE0ES3_S9_NS6_6detail15normal_iteratorINS6_10device_ptrIjEEEENSD_INSE_IsEEEENS6_16discard_iteratorINS6_11use_defaultEEESI_PmS8_NS6_8equal_toIjEEEE10hipError_tPvRmT2_T3_mT4_T5_T6_T7_T8_P12ihipStream_tbENKUlT_T0_E_clISt17integral_constantIbLb1EES15_IbLb0EEEEDaS11_S12_EUlS11_E_NS1_11comp_targetILNS1_3genE3ELNS1_11target_archE908ELNS1_3gpuE7ELNS1_3repE0EEENS1_30default_config_static_selectorELNS0_4arch9wavefront6targetE0EEEvT1_
	.p2align	8
	.type	_ZN7rocprim17ROCPRIM_400000_NS6detail17trampoline_kernelINS0_14default_configENS1_29reduce_by_key_config_selectorIjsN6thrust23THRUST_200600_302600_NS4plusIsEEEEZZNS1_33reduce_by_key_impl_wrapped_configILNS1_25lookback_scan_determinismE0ES3_S9_NS6_6detail15normal_iteratorINS6_10device_ptrIjEEEENSD_INSE_IsEEEENS6_16discard_iteratorINS6_11use_defaultEEESI_PmS8_NS6_8equal_toIjEEEE10hipError_tPvRmT2_T3_mT4_T5_T6_T7_T8_P12ihipStream_tbENKUlT_T0_E_clISt17integral_constantIbLb1EES15_IbLb0EEEEDaS11_S12_EUlS11_E_NS1_11comp_targetILNS1_3genE3ELNS1_11target_archE908ELNS1_3gpuE7ELNS1_3repE0EEENS1_30default_config_static_selectorELNS0_4arch9wavefront6targetE0EEEvT1_,@function
_ZN7rocprim17ROCPRIM_400000_NS6detail17trampoline_kernelINS0_14default_configENS1_29reduce_by_key_config_selectorIjsN6thrust23THRUST_200600_302600_NS4plusIsEEEEZZNS1_33reduce_by_key_impl_wrapped_configILNS1_25lookback_scan_determinismE0ES3_S9_NS6_6detail15normal_iteratorINS6_10device_ptrIjEEEENSD_INSE_IsEEEENS6_16discard_iteratorINS6_11use_defaultEEESI_PmS8_NS6_8equal_toIjEEEE10hipError_tPvRmT2_T3_mT4_T5_T6_T7_T8_P12ihipStream_tbENKUlT_T0_E_clISt17integral_constantIbLb1EES15_IbLb0EEEEDaS11_S12_EUlS11_E_NS1_11comp_targetILNS1_3genE3ELNS1_11target_archE908ELNS1_3gpuE7ELNS1_3repE0EEENS1_30default_config_static_selectorELNS0_4arch9wavefront6targetE0EEEvT1_: ; @_ZN7rocprim17ROCPRIM_400000_NS6detail17trampoline_kernelINS0_14default_configENS1_29reduce_by_key_config_selectorIjsN6thrust23THRUST_200600_302600_NS4plusIsEEEEZZNS1_33reduce_by_key_impl_wrapped_configILNS1_25lookback_scan_determinismE0ES3_S9_NS6_6detail15normal_iteratorINS6_10device_ptrIjEEEENSD_INSE_IsEEEENS6_16discard_iteratorINS6_11use_defaultEEESI_PmS8_NS6_8equal_toIjEEEE10hipError_tPvRmT2_T3_mT4_T5_T6_T7_T8_P12ihipStream_tbENKUlT_T0_E_clISt17integral_constantIbLb1EES15_IbLb0EEEEDaS11_S12_EUlS11_E_NS1_11comp_targetILNS1_3genE3ELNS1_11target_archE908ELNS1_3gpuE7ELNS1_3repE0EEENS1_30default_config_static_selectorELNS0_4arch9wavefront6targetE0EEEvT1_
; %bb.0:
	.section	.rodata,"a",@progbits
	.p2align	6, 0x0
	.amdhsa_kernel _ZN7rocprim17ROCPRIM_400000_NS6detail17trampoline_kernelINS0_14default_configENS1_29reduce_by_key_config_selectorIjsN6thrust23THRUST_200600_302600_NS4plusIsEEEEZZNS1_33reduce_by_key_impl_wrapped_configILNS1_25lookback_scan_determinismE0ES3_S9_NS6_6detail15normal_iteratorINS6_10device_ptrIjEEEENSD_INSE_IsEEEENS6_16discard_iteratorINS6_11use_defaultEEESI_PmS8_NS6_8equal_toIjEEEE10hipError_tPvRmT2_T3_mT4_T5_T6_T7_T8_P12ihipStream_tbENKUlT_T0_E_clISt17integral_constantIbLb1EES15_IbLb0EEEEDaS11_S12_EUlS11_E_NS1_11comp_targetILNS1_3genE3ELNS1_11target_archE908ELNS1_3gpuE7ELNS1_3repE0EEENS1_30default_config_static_selectorELNS0_4arch9wavefront6targetE0EEEvT1_
		.amdhsa_group_segment_fixed_size 0
		.amdhsa_private_segment_fixed_size 0
		.amdhsa_kernarg_size 128
		.amdhsa_user_sgpr_count 15
		.amdhsa_user_sgpr_dispatch_ptr 0
		.amdhsa_user_sgpr_queue_ptr 0
		.amdhsa_user_sgpr_kernarg_segment_ptr 1
		.amdhsa_user_sgpr_dispatch_id 0
		.amdhsa_user_sgpr_private_segment_size 0
		.amdhsa_wavefront_size32 1
		.amdhsa_uses_dynamic_stack 0
		.amdhsa_enable_private_segment 0
		.amdhsa_system_sgpr_workgroup_id_x 1
		.amdhsa_system_sgpr_workgroup_id_y 0
		.amdhsa_system_sgpr_workgroup_id_z 0
		.amdhsa_system_sgpr_workgroup_info 0
		.amdhsa_system_vgpr_workitem_id 0
		.amdhsa_next_free_vgpr 1
		.amdhsa_next_free_sgpr 1
		.amdhsa_reserve_vcc 0
		.amdhsa_float_round_mode_32 0
		.amdhsa_float_round_mode_16_64 0
		.amdhsa_float_denorm_mode_32 3
		.amdhsa_float_denorm_mode_16_64 3
		.amdhsa_dx10_clamp 1
		.amdhsa_ieee_mode 1
		.amdhsa_fp16_overflow 0
		.amdhsa_workgroup_processor_mode 1
		.amdhsa_memory_ordered 1
		.amdhsa_forward_progress 0
		.amdhsa_shared_vgpr_count 0
		.amdhsa_exception_fp_ieee_invalid_op 0
		.amdhsa_exception_fp_denorm_src 0
		.amdhsa_exception_fp_ieee_div_zero 0
		.amdhsa_exception_fp_ieee_overflow 0
		.amdhsa_exception_fp_ieee_underflow 0
		.amdhsa_exception_fp_ieee_inexact 0
		.amdhsa_exception_int_div_zero 0
	.end_amdhsa_kernel
	.section	.text._ZN7rocprim17ROCPRIM_400000_NS6detail17trampoline_kernelINS0_14default_configENS1_29reduce_by_key_config_selectorIjsN6thrust23THRUST_200600_302600_NS4plusIsEEEEZZNS1_33reduce_by_key_impl_wrapped_configILNS1_25lookback_scan_determinismE0ES3_S9_NS6_6detail15normal_iteratorINS6_10device_ptrIjEEEENSD_INSE_IsEEEENS6_16discard_iteratorINS6_11use_defaultEEESI_PmS8_NS6_8equal_toIjEEEE10hipError_tPvRmT2_T3_mT4_T5_T6_T7_T8_P12ihipStream_tbENKUlT_T0_E_clISt17integral_constantIbLb1EES15_IbLb0EEEEDaS11_S12_EUlS11_E_NS1_11comp_targetILNS1_3genE3ELNS1_11target_archE908ELNS1_3gpuE7ELNS1_3repE0EEENS1_30default_config_static_selectorELNS0_4arch9wavefront6targetE0EEEvT1_,"axG",@progbits,_ZN7rocprim17ROCPRIM_400000_NS6detail17trampoline_kernelINS0_14default_configENS1_29reduce_by_key_config_selectorIjsN6thrust23THRUST_200600_302600_NS4plusIsEEEEZZNS1_33reduce_by_key_impl_wrapped_configILNS1_25lookback_scan_determinismE0ES3_S9_NS6_6detail15normal_iteratorINS6_10device_ptrIjEEEENSD_INSE_IsEEEENS6_16discard_iteratorINS6_11use_defaultEEESI_PmS8_NS6_8equal_toIjEEEE10hipError_tPvRmT2_T3_mT4_T5_T6_T7_T8_P12ihipStream_tbENKUlT_T0_E_clISt17integral_constantIbLb1EES15_IbLb0EEEEDaS11_S12_EUlS11_E_NS1_11comp_targetILNS1_3genE3ELNS1_11target_archE908ELNS1_3gpuE7ELNS1_3repE0EEENS1_30default_config_static_selectorELNS0_4arch9wavefront6targetE0EEEvT1_,comdat
.Lfunc_end1078:
	.size	_ZN7rocprim17ROCPRIM_400000_NS6detail17trampoline_kernelINS0_14default_configENS1_29reduce_by_key_config_selectorIjsN6thrust23THRUST_200600_302600_NS4plusIsEEEEZZNS1_33reduce_by_key_impl_wrapped_configILNS1_25lookback_scan_determinismE0ES3_S9_NS6_6detail15normal_iteratorINS6_10device_ptrIjEEEENSD_INSE_IsEEEENS6_16discard_iteratorINS6_11use_defaultEEESI_PmS8_NS6_8equal_toIjEEEE10hipError_tPvRmT2_T3_mT4_T5_T6_T7_T8_P12ihipStream_tbENKUlT_T0_E_clISt17integral_constantIbLb1EES15_IbLb0EEEEDaS11_S12_EUlS11_E_NS1_11comp_targetILNS1_3genE3ELNS1_11target_archE908ELNS1_3gpuE7ELNS1_3repE0EEENS1_30default_config_static_selectorELNS0_4arch9wavefront6targetE0EEEvT1_, .Lfunc_end1078-_ZN7rocprim17ROCPRIM_400000_NS6detail17trampoline_kernelINS0_14default_configENS1_29reduce_by_key_config_selectorIjsN6thrust23THRUST_200600_302600_NS4plusIsEEEEZZNS1_33reduce_by_key_impl_wrapped_configILNS1_25lookback_scan_determinismE0ES3_S9_NS6_6detail15normal_iteratorINS6_10device_ptrIjEEEENSD_INSE_IsEEEENS6_16discard_iteratorINS6_11use_defaultEEESI_PmS8_NS6_8equal_toIjEEEE10hipError_tPvRmT2_T3_mT4_T5_T6_T7_T8_P12ihipStream_tbENKUlT_T0_E_clISt17integral_constantIbLb1EES15_IbLb0EEEEDaS11_S12_EUlS11_E_NS1_11comp_targetILNS1_3genE3ELNS1_11target_archE908ELNS1_3gpuE7ELNS1_3repE0EEENS1_30default_config_static_selectorELNS0_4arch9wavefront6targetE0EEEvT1_
                                        ; -- End function
	.section	.AMDGPU.csdata,"",@progbits
; Kernel info:
; codeLenInByte = 0
; NumSgprs: 0
; NumVgprs: 0
; ScratchSize: 0
; MemoryBound: 0
; FloatMode: 240
; IeeeMode: 1
; LDSByteSize: 0 bytes/workgroup (compile time only)
; SGPRBlocks: 0
; VGPRBlocks: 0
; NumSGPRsForWavesPerEU: 1
; NumVGPRsForWavesPerEU: 1
; Occupancy: 16
; WaveLimiterHint : 0
; COMPUTE_PGM_RSRC2:SCRATCH_EN: 0
; COMPUTE_PGM_RSRC2:USER_SGPR: 15
; COMPUTE_PGM_RSRC2:TRAP_HANDLER: 0
; COMPUTE_PGM_RSRC2:TGID_X_EN: 1
; COMPUTE_PGM_RSRC2:TGID_Y_EN: 0
; COMPUTE_PGM_RSRC2:TGID_Z_EN: 0
; COMPUTE_PGM_RSRC2:TIDIG_COMP_CNT: 0
	.section	.text._ZN7rocprim17ROCPRIM_400000_NS6detail17trampoline_kernelINS0_14default_configENS1_29reduce_by_key_config_selectorIjsN6thrust23THRUST_200600_302600_NS4plusIsEEEEZZNS1_33reduce_by_key_impl_wrapped_configILNS1_25lookback_scan_determinismE0ES3_S9_NS6_6detail15normal_iteratorINS6_10device_ptrIjEEEENSD_INSE_IsEEEENS6_16discard_iteratorINS6_11use_defaultEEESI_PmS8_NS6_8equal_toIjEEEE10hipError_tPvRmT2_T3_mT4_T5_T6_T7_T8_P12ihipStream_tbENKUlT_T0_E_clISt17integral_constantIbLb1EES15_IbLb0EEEEDaS11_S12_EUlS11_E_NS1_11comp_targetILNS1_3genE2ELNS1_11target_archE906ELNS1_3gpuE6ELNS1_3repE0EEENS1_30default_config_static_selectorELNS0_4arch9wavefront6targetE0EEEvT1_,"axG",@progbits,_ZN7rocprim17ROCPRIM_400000_NS6detail17trampoline_kernelINS0_14default_configENS1_29reduce_by_key_config_selectorIjsN6thrust23THRUST_200600_302600_NS4plusIsEEEEZZNS1_33reduce_by_key_impl_wrapped_configILNS1_25lookback_scan_determinismE0ES3_S9_NS6_6detail15normal_iteratorINS6_10device_ptrIjEEEENSD_INSE_IsEEEENS6_16discard_iteratorINS6_11use_defaultEEESI_PmS8_NS6_8equal_toIjEEEE10hipError_tPvRmT2_T3_mT4_T5_T6_T7_T8_P12ihipStream_tbENKUlT_T0_E_clISt17integral_constantIbLb1EES15_IbLb0EEEEDaS11_S12_EUlS11_E_NS1_11comp_targetILNS1_3genE2ELNS1_11target_archE906ELNS1_3gpuE6ELNS1_3repE0EEENS1_30default_config_static_selectorELNS0_4arch9wavefront6targetE0EEEvT1_,comdat
	.protected	_ZN7rocprim17ROCPRIM_400000_NS6detail17trampoline_kernelINS0_14default_configENS1_29reduce_by_key_config_selectorIjsN6thrust23THRUST_200600_302600_NS4plusIsEEEEZZNS1_33reduce_by_key_impl_wrapped_configILNS1_25lookback_scan_determinismE0ES3_S9_NS6_6detail15normal_iteratorINS6_10device_ptrIjEEEENSD_INSE_IsEEEENS6_16discard_iteratorINS6_11use_defaultEEESI_PmS8_NS6_8equal_toIjEEEE10hipError_tPvRmT2_T3_mT4_T5_T6_T7_T8_P12ihipStream_tbENKUlT_T0_E_clISt17integral_constantIbLb1EES15_IbLb0EEEEDaS11_S12_EUlS11_E_NS1_11comp_targetILNS1_3genE2ELNS1_11target_archE906ELNS1_3gpuE6ELNS1_3repE0EEENS1_30default_config_static_selectorELNS0_4arch9wavefront6targetE0EEEvT1_ ; -- Begin function _ZN7rocprim17ROCPRIM_400000_NS6detail17trampoline_kernelINS0_14default_configENS1_29reduce_by_key_config_selectorIjsN6thrust23THRUST_200600_302600_NS4plusIsEEEEZZNS1_33reduce_by_key_impl_wrapped_configILNS1_25lookback_scan_determinismE0ES3_S9_NS6_6detail15normal_iteratorINS6_10device_ptrIjEEEENSD_INSE_IsEEEENS6_16discard_iteratorINS6_11use_defaultEEESI_PmS8_NS6_8equal_toIjEEEE10hipError_tPvRmT2_T3_mT4_T5_T6_T7_T8_P12ihipStream_tbENKUlT_T0_E_clISt17integral_constantIbLb1EES15_IbLb0EEEEDaS11_S12_EUlS11_E_NS1_11comp_targetILNS1_3genE2ELNS1_11target_archE906ELNS1_3gpuE6ELNS1_3repE0EEENS1_30default_config_static_selectorELNS0_4arch9wavefront6targetE0EEEvT1_
	.globl	_ZN7rocprim17ROCPRIM_400000_NS6detail17trampoline_kernelINS0_14default_configENS1_29reduce_by_key_config_selectorIjsN6thrust23THRUST_200600_302600_NS4plusIsEEEEZZNS1_33reduce_by_key_impl_wrapped_configILNS1_25lookback_scan_determinismE0ES3_S9_NS6_6detail15normal_iteratorINS6_10device_ptrIjEEEENSD_INSE_IsEEEENS6_16discard_iteratorINS6_11use_defaultEEESI_PmS8_NS6_8equal_toIjEEEE10hipError_tPvRmT2_T3_mT4_T5_T6_T7_T8_P12ihipStream_tbENKUlT_T0_E_clISt17integral_constantIbLb1EES15_IbLb0EEEEDaS11_S12_EUlS11_E_NS1_11comp_targetILNS1_3genE2ELNS1_11target_archE906ELNS1_3gpuE6ELNS1_3repE0EEENS1_30default_config_static_selectorELNS0_4arch9wavefront6targetE0EEEvT1_
	.p2align	8
	.type	_ZN7rocprim17ROCPRIM_400000_NS6detail17trampoline_kernelINS0_14default_configENS1_29reduce_by_key_config_selectorIjsN6thrust23THRUST_200600_302600_NS4plusIsEEEEZZNS1_33reduce_by_key_impl_wrapped_configILNS1_25lookback_scan_determinismE0ES3_S9_NS6_6detail15normal_iteratorINS6_10device_ptrIjEEEENSD_INSE_IsEEEENS6_16discard_iteratorINS6_11use_defaultEEESI_PmS8_NS6_8equal_toIjEEEE10hipError_tPvRmT2_T3_mT4_T5_T6_T7_T8_P12ihipStream_tbENKUlT_T0_E_clISt17integral_constantIbLb1EES15_IbLb0EEEEDaS11_S12_EUlS11_E_NS1_11comp_targetILNS1_3genE2ELNS1_11target_archE906ELNS1_3gpuE6ELNS1_3repE0EEENS1_30default_config_static_selectorELNS0_4arch9wavefront6targetE0EEEvT1_,@function
_ZN7rocprim17ROCPRIM_400000_NS6detail17trampoline_kernelINS0_14default_configENS1_29reduce_by_key_config_selectorIjsN6thrust23THRUST_200600_302600_NS4plusIsEEEEZZNS1_33reduce_by_key_impl_wrapped_configILNS1_25lookback_scan_determinismE0ES3_S9_NS6_6detail15normal_iteratorINS6_10device_ptrIjEEEENSD_INSE_IsEEEENS6_16discard_iteratorINS6_11use_defaultEEESI_PmS8_NS6_8equal_toIjEEEE10hipError_tPvRmT2_T3_mT4_T5_T6_T7_T8_P12ihipStream_tbENKUlT_T0_E_clISt17integral_constantIbLb1EES15_IbLb0EEEEDaS11_S12_EUlS11_E_NS1_11comp_targetILNS1_3genE2ELNS1_11target_archE906ELNS1_3gpuE6ELNS1_3repE0EEENS1_30default_config_static_selectorELNS0_4arch9wavefront6targetE0EEEvT1_: ; @_ZN7rocprim17ROCPRIM_400000_NS6detail17trampoline_kernelINS0_14default_configENS1_29reduce_by_key_config_selectorIjsN6thrust23THRUST_200600_302600_NS4plusIsEEEEZZNS1_33reduce_by_key_impl_wrapped_configILNS1_25lookback_scan_determinismE0ES3_S9_NS6_6detail15normal_iteratorINS6_10device_ptrIjEEEENSD_INSE_IsEEEENS6_16discard_iteratorINS6_11use_defaultEEESI_PmS8_NS6_8equal_toIjEEEE10hipError_tPvRmT2_T3_mT4_T5_T6_T7_T8_P12ihipStream_tbENKUlT_T0_E_clISt17integral_constantIbLb1EES15_IbLb0EEEEDaS11_S12_EUlS11_E_NS1_11comp_targetILNS1_3genE2ELNS1_11target_archE906ELNS1_3gpuE6ELNS1_3repE0EEENS1_30default_config_static_selectorELNS0_4arch9wavefront6targetE0EEEvT1_
; %bb.0:
	.section	.rodata,"a",@progbits
	.p2align	6, 0x0
	.amdhsa_kernel _ZN7rocprim17ROCPRIM_400000_NS6detail17trampoline_kernelINS0_14default_configENS1_29reduce_by_key_config_selectorIjsN6thrust23THRUST_200600_302600_NS4plusIsEEEEZZNS1_33reduce_by_key_impl_wrapped_configILNS1_25lookback_scan_determinismE0ES3_S9_NS6_6detail15normal_iteratorINS6_10device_ptrIjEEEENSD_INSE_IsEEEENS6_16discard_iteratorINS6_11use_defaultEEESI_PmS8_NS6_8equal_toIjEEEE10hipError_tPvRmT2_T3_mT4_T5_T6_T7_T8_P12ihipStream_tbENKUlT_T0_E_clISt17integral_constantIbLb1EES15_IbLb0EEEEDaS11_S12_EUlS11_E_NS1_11comp_targetILNS1_3genE2ELNS1_11target_archE906ELNS1_3gpuE6ELNS1_3repE0EEENS1_30default_config_static_selectorELNS0_4arch9wavefront6targetE0EEEvT1_
		.amdhsa_group_segment_fixed_size 0
		.amdhsa_private_segment_fixed_size 0
		.amdhsa_kernarg_size 128
		.amdhsa_user_sgpr_count 15
		.amdhsa_user_sgpr_dispatch_ptr 0
		.amdhsa_user_sgpr_queue_ptr 0
		.amdhsa_user_sgpr_kernarg_segment_ptr 1
		.amdhsa_user_sgpr_dispatch_id 0
		.amdhsa_user_sgpr_private_segment_size 0
		.amdhsa_wavefront_size32 1
		.amdhsa_uses_dynamic_stack 0
		.amdhsa_enable_private_segment 0
		.amdhsa_system_sgpr_workgroup_id_x 1
		.amdhsa_system_sgpr_workgroup_id_y 0
		.amdhsa_system_sgpr_workgroup_id_z 0
		.amdhsa_system_sgpr_workgroup_info 0
		.amdhsa_system_vgpr_workitem_id 0
		.amdhsa_next_free_vgpr 1
		.amdhsa_next_free_sgpr 1
		.amdhsa_reserve_vcc 0
		.amdhsa_float_round_mode_32 0
		.amdhsa_float_round_mode_16_64 0
		.amdhsa_float_denorm_mode_32 3
		.amdhsa_float_denorm_mode_16_64 3
		.amdhsa_dx10_clamp 1
		.amdhsa_ieee_mode 1
		.amdhsa_fp16_overflow 0
		.amdhsa_workgroup_processor_mode 1
		.amdhsa_memory_ordered 1
		.amdhsa_forward_progress 0
		.amdhsa_shared_vgpr_count 0
		.amdhsa_exception_fp_ieee_invalid_op 0
		.amdhsa_exception_fp_denorm_src 0
		.amdhsa_exception_fp_ieee_div_zero 0
		.amdhsa_exception_fp_ieee_overflow 0
		.amdhsa_exception_fp_ieee_underflow 0
		.amdhsa_exception_fp_ieee_inexact 0
		.amdhsa_exception_int_div_zero 0
	.end_amdhsa_kernel
	.section	.text._ZN7rocprim17ROCPRIM_400000_NS6detail17trampoline_kernelINS0_14default_configENS1_29reduce_by_key_config_selectorIjsN6thrust23THRUST_200600_302600_NS4plusIsEEEEZZNS1_33reduce_by_key_impl_wrapped_configILNS1_25lookback_scan_determinismE0ES3_S9_NS6_6detail15normal_iteratorINS6_10device_ptrIjEEEENSD_INSE_IsEEEENS6_16discard_iteratorINS6_11use_defaultEEESI_PmS8_NS6_8equal_toIjEEEE10hipError_tPvRmT2_T3_mT4_T5_T6_T7_T8_P12ihipStream_tbENKUlT_T0_E_clISt17integral_constantIbLb1EES15_IbLb0EEEEDaS11_S12_EUlS11_E_NS1_11comp_targetILNS1_3genE2ELNS1_11target_archE906ELNS1_3gpuE6ELNS1_3repE0EEENS1_30default_config_static_selectorELNS0_4arch9wavefront6targetE0EEEvT1_,"axG",@progbits,_ZN7rocprim17ROCPRIM_400000_NS6detail17trampoline_kernelINS0_14default_configENS1_29reduce_by_key_config_selectorIjsN6thrust23THRUST_200600_302600_NS4plusIsEEEEZZNS1_33reduce_by_key_impl_wrapped_configILNS1_25lookback_scan_determinismE0ES3_S9_NS6_6detail15normal_iteratorINS6_10device_ptrIjEEEENSD_INSE_IsEEEENS6_16discard_iteratorINS6_11use_defaultEEESI_PmS8_NS6_8equal_toIjEEEE10hipError_tPvRmT2_T3_mT4_T5_T6_T7_T8_P12ihipStream_tbENKUlT_T0_E_clISt17integral_constantIbLb1EES15_IbLb0EEEEDaS11_S12_EUlS11_E_NS1_11comp_targetILNS1_3genE2ELNS1_11target_archE906ELNS1_3gpuE6ELNS1_3repE0EEENS1_30default_config_static_selectorELNS0_4arch9wavefront6targetE0EEEvT1_,comdat
.Lfunc_end1079:
	.size	_ZN7rocprim17ROCPRIM_400000_NS6detail17trampoline_kernelINS0_14default_configENS1_29reduce_by_key_config_selectorIjsN6thrust23THRUST_200600_302600_NS4plusIsEEEEZZNS1_33reduce_by_key_impl_wrapped_configILNS1_25lookback_scan_determinismE0ES3_S9_NS6_6detail15normal_iteratorINS6_10device_ptrIjEEEENSD_INSE_IsEEEENS6_16discard_iteratorINS6_11use_defaultEEESI_PmS8_NS6_8equal_toIjEEEE10hipError_tPvRmT2_T3_mT4_T5_T6_T7_T8_P12ihipStream_tbENKUlT_T0_E_clISt17integral_constantIbLb1EES15_IbLb0EEEEDaS11_S12_EUlS11_E_NS1_11comp_targetILNS1_3genE2ELNS1_11target_archE906ELNS1_3gpuE6ELNS1_3repE0EEENS1_30default_config_static_selectorELNS0_4arch9wavefront6targetE0EEEvT1_, .Lfunc_end1079-_ZN7rocprim17ROCPRIM_400000_NS6detail17trampoline_kernelINS0_14default_configENS1_29reduce_by_key_config_selectorIjsN6thrust23THRUST_200600_302600_NS4plusIsEEEEZZNS1_33reduce_by_key_impl_wrapped_configILNS1_25lookback_scan_determinismE0ES3_S9_NS6_6detail15normal_iteratorINS6_10device_ptrIjEEEENSD_INSE_IsEEEENS6_16discard_iteratorINS6_11use_defaultEEESI_PmS8_NS6_8equal_toIjEEEE10hipError_tPvRmT2_T3_mT4_T5_T6_T7_T8_P12ihipStream_tbENKUlT_T0_E_clISt17integral_constantIbLb1EES15_IbLb0EEEEDaS11_S12_EUlS11_E_NS1_11comp_targetILNS1_3genE2ELNS1_11target_archE906ELNS1_3gpuE6ELNS1_3repE0EEENS1_30default_config_static_selectorELNS0_4arch9wavefront6targetE0EEEvT1_
                                        ; -- End function
	.section	.AMDGPU.csdata,"",@progbits
; Kernel info:
; codeLenInByte = 0
; NumSgprs: 0
; NumVgprs: 0
; ScratchSize: 0
; MemoryBound: 0
; FloatMode: 240
; IeeeMode: 1
; LDSByteSize: 0 bytes/workgroup (compile time only)
; SGPRBlocks: 0
; VGPRBlocks: 0
; NumSGPRsForWavesPerEU: 1
; NumVGPRsForWavesPerEU: 1
; Occupancy: 16
; WaveLimiterHint : 0
; COMPUTE_PGM_RSRC2:SCRATCH_EN: 0
; COMPUTE_PGM_RSRC2:USER_SGPR: 15
; COMPUTE_PGM_RSRC2:TRAP_HANDLER: 0
; COMPUTE_PGM_RSRC2:TGID_X_EN: 1
; COMPUTE_PGM_RSRC2:TGID_Y_EN: 0
; COMPUTE_PGM_RSRC2:TGID_Z_EN: 0
; COMPUTE_PGM_RSRC2:TIDIG_COMP_CNT: 0
	.section	.text._ZN7rocprim17ROCPRIM_400000_NS6detail17trampoline_kernelINS0_14default_configENS1_29reduce_by_key_config_selectorIjsN6thrust23THRUST_200600_302600_NS4plusIsEEEEZZNS1_33reduce_by_key_impl_wrapped_configILNS1_25lookback_scan_determinismE0ES3_S9_NS6_6detail15normal_iteratorINS6_10device_ptrIjEEEENSD_INSE_IsEEEENS6_16discard_iteratorINS6_11use_defaultEEESI_PmS8_NS6_8equal_toIjEEEE10hipError_tPvRmT2_T3_mT4_T5_T6_T7_T8_P12ihipStream_tbENKUlT_T0_E_clISt17integral_constantIbLb1EES15_IbLb0EEEEDaS11_S12_EUlS11_E_NS1_11comp_targetILNS1_3genE10ELNS1_11target_archE1201ELNS1_3gpuE5ELNS1_3repE0EEENS1_30default_config_static_selectorELNS0_4arch9wavefront6targetE0EEEvT1_,"axG",@progbits,_ZN7rocprim17ROCPRIM_400000_NS6detail17trampoline_kernelINS0_14default_configENS1_29reduce_by_key_config_selectorIjsN6thrust23THRUST_200600_302600_NS4plusIsEEEEZZNS1_33reduce_by_key_impl_wrapped_configILNS1_25lookback_scan_determinismE0ES3_S9_NS6_6detail15normal_iteratorINS6_10device_ptrIjEEEENSD_INSE_IsEEEENS6_16discard_iteratorINS6_11use_defaultEEESI_PmS8_NS6_8equal_toIjEEEE10hipError_tPvRmT2_T3_mT4_T5_T6_T7_T8_P12ihipStream_tbENKUlT_T0_E_clISt17integral_constantIbLb1EES15_IbLb0EEEEDaS11_S12_EUlS11_E_NS1_11comp_targetILNS1_3genE10ELNS1_11target_archE1201ELNS1_3gpuE5ELNS1_3repE0EEENS1_30default_config_static_selectorELNS0_4arch9wavefront6targetE0EEEvT1_,comdat
	.protected	_ZN7rocprim17ROCPRIM_400000_NS6detail17trampoline_kernelINS0_14default_configENS1_29reduce_by_key_config_selectorIjsN6thrust23THRUST_200600_302600_NS4plusIsEEEEZZNS1_33reduce_by_key_impl_wrapped_configILNS1_25lookback_scan_determinismE0ES3_S9_NS6_6detail15normal_iteratorINS6_10device_ptrIjEEEENSD_INSE_IsEEEENS6_16discard_iteratorINS6_11use_defaultEEESI_PmS8_NS6_8equal_toIjEEEE10hipError_tPvRmT2_T3_mT4_T5_T6_T7_T8_P12ihipStream_tbENKUlT_T0_E_clISt17integral_constantIbLb1EES15_IbLb0EEEEDaS11_S12_EUlS11_E_NS1_11comp_targetILNS1_3genE10ELNS1_11target_archE1201ELNS1_3gpuE5ELNS1_3repE0EEENS1_30default_config_static_selectorELNS0_4arch9wavefront6targetE0EEEvT1_ ; -- Begin function _ZN7rocprim17ROCPRIM_400000_NS6detail17trampoline_kernelINS0_14default_configENS1_29reduce_by_key_config_selectorIjsN6thrust23THRUST_200600_302600_NS4plusIsEEEEZZNS1_33reduce_by_key_impl_wrapped_configILNS1_25lookback_scan_determinismE0ES3_S9_NS6_6detail15normal_iteratorINS6_10device_ptrIjEEEENSD_INSE_IsEEEENS6_16discard_iteratorINS6_11use_defaultEEESI_PmS8_NS6_8equal_toIjEEEE10hipError_tPvRmT2_T3_mT4_T5_T6_T7_T8_P12ihipStream_tbENKUlT_T0_E_clISt17integral_constantIbLb1EES15_IbLb0EEEEDaS11_S12_EUlS11_E_NS1_11comp_targetILNS1_3genE10ELNS1_11target_archE1201ELNS1_3gpuE5ELNS1_3repE0EEENS1_30default_config_static_selectorELNS0_4arch9wavefront6targetE0EEEvT1_
	.globl	_ZN7rocprim17ROCPRIM_400000_NS6detail17trampoline_kernelINS0_14default_configENS1_29reduce_by_key_config_selectorIjsN6thrust23THRUST_200600_302600_NS4plusIsEEEEZZNS1_33reduce_by_key_impl_wrapped_configILNS1_25lookback_scan_determinismE0ES3_S9_NS6_6detail15normal_iteratorINS6_10device_ptrIjEEEENSD_INSE_IsEEEENS6_16discard_iteratorINS6_11use_defaultEEESI_PmS8_NS6_8equal_toIjEEEE10hipError_tPvRmT2_T3_mT4_T5_T6_T7_T8_P12ihipStream_tbENKUlT_T0_E_clISt17integral_constantIbLb1EES15_IbLb0EEEEDaS11_S12_EUlS11_E_NS1_11comp_targetILNS1_3genE10ELNS1_11target_archE1201ELNS1_3gpuE5ELNS1_3repE0EEENS1_30default_config_static_selectorELNS0_4arch9wavefront6targetE0EEEvT1_
	.p2align	8
	.type	_ZN7rocprim17ROCPRIM_400000_NS6detail17trampoline_kernelINS0_14default_configENS1_29reduce_by_key_config_selectorIjsN6thrust23THRUST_200600_302600_NS4plusIsEEEEZZNS1_33reduce_by_key_impl_wrapped_configILNS1_25lookback_scan_determinismE0ES3_S9_NS6_6detail15normal_iteratorINS6_10device_ptrIjEEEENSD_INSE_IsEEEENS6_16discard_iteratorINS6_11use_defaultEEESI_PmS8_NS6_8equal_toIjEEEE10hipError_tPvRmT2_T3_mT4_T5_T6_T7_T8_P12ihipStream_tbENKUlT_T0_E_clISt17integral_constantIbLb1EES15_IbLb0EEEEDaS11_S12_EUlS11_E_NS1_11comp_targetILNS1_3genE10ELNS1_11target_archE1201ELNS1_3gpuE5ELNS1_3repE0EEENS1_30default_config_static_selectorELNS0_4arch9wavefront6targetE0EEEvT1_,@function
_ZN7rocprim17ROCPRIM_400000_NS6detail17trampoline_kernelINS0_14default_configENS1_29reduce_by_key_config_selectorIjsN6thrust23THRUST_200600_302600_NS4plusIsEEEEZZNS1_33reduce_by_key_impl_wrapped_configILNS1_25lookback_scan_determinismE0ES3_S9_NS6_6detail15normal_iteratorINS6_10device_ptrIjEEEENSD_INSE_IsEEEENS6_16discard_iteratorINS6_11use_defaultEEESI_PmS8_NS6_8equal_toIjEEEE10hipError_tPvRmT2_T3_mT4_T5_T6_T7_T8_P12ihipStream_tbENKUlT_T0_E_clISt17integral_constantIbLb1EES15_IbLb0EEEEDaS11_S12_EUlS11_E_NS1_11comp_targetILNS1_3genE10ELNS1_11target_archE1201ELNS1_3gpuE5ELNS1_3repE0EEENS1_30default_config_static_selectorELNS0_4arch9wavefront6targetE0EEEvT1_: ; @_ZN7rocprim17ROCPRIM_400000_NS6detail17trampoline_kernelINS0_14default_configENS1_29reduce_by_key_config_selectorIjsN6thrust23THRUST_200600_302600_NS4plusIsEEEEZZNS1_33reduce_by_key_impl_wrapped_configILNS1_25lookback_scan_determinismE0ES3_S9_NS6_6detail15normal_iteratorINS6_10device_ptrIjEEEENSD_INSE_IsEEEENS6_16discard_iteratorINS6_11use_defaultEEESI_PmS8_NS6_8equal_toIjEEEE10hipError_tPvRmT2_T3_mT4_T5_T6_T7_T8_P12ihipStream_tbENKUlT_T0_E_clISt17integral_constantIbLb1EES15_IbLb0EEEEDaS11_S12_EUlS11_E_NS1_11comp_targetILNS1_3genE10ELNS1_11target_archE1201ELNS1_3gpuE5ELNS1_3repE0EEENS1_30default_config_static_selectorELNS0_4arch9wavefront6targetE0EEEvT1_
; %bb.0:
	.section	.rodata,"a",@progbits
	.p2align	6, 0x0
	.amdhsa_kernel _ZN7rocprim17ROCPRIM_400000_NS6detail17trampoline_kernelINS0_14default_configENS1_29reduce_by_key_config_selectorIjsN6thrust23THRUST_200600_302600_NS4plusIsEEEEZZNS1_33reduce_by_key_impl_wrapped_configILNS1_25lookback_scan_determinismE0ES3_S9_NS6_6detail15normal_iteratorINS6_10device_ptrIjEEEENSD_INSE_IsEEEENS6_16discard_iteratorINS6_11use_defaultEEESI_PmS8_NS6_8equal_toIjEEEE10hipError_tPvRmT2_T3_mT4_T5_T6_T7_T8_P12ihipStream_tbENKUlT_T0_E_clISt17integral_constantIbLb1EES15_IbLb0EEEEDaS11_S12_EUlS11_E_NS1_11comp_targetILNS1_3genE10ELNS1_11target_archE1201ELNS1_3gpuE5ELNS1_3repE0EEENS1_30default_config_static_selectorELNS0_4arch9wavefront6targetE0EEEvT1_
		.amdhsa_group_segment_fixed_size 0
		.amdhsa_private_segment_fixed_size 0
		.amdhsa_kernarg_size 128
		.amdhsa_user_sgpr_count 15
		.amdhsa_user_sgpr_dispatch_ptr 0
		.amdhsa_user_sgpr_queue_ptr 0
		.amdhsa_user_sgpr_kernarg_segment_ptr 1
		.amdhsa_user_sgpr_dispatch_id 0
		.amdhsa_user_sgpr_private_segment_size 0
		.amdhsa_wavefront_size32 1
		.amdhsa_uses_dynamic_stack 0
		.amdhsa_enable_private_segment 0
		.amdhsa_system_sgpr_workgroup_id_x 1
		.amdhsa_system_sgpr_workgroup_id_y 0
		.amdhsa_system_sgpr_workgroup_id_z 0
		.amdhsa_system_sgpr_workgroup_info 0
		.amdhsa_system_vgpr_workitem_id 0
		.amdhsa_next_free_vgpr 1
		.amdhsa_next_free_sgpr 1
		.amdhsa_reserve_vcc 0
		.amdhsa_float_round_mode_32 0
		.amdhsa_float_round_mode_16_64 0
		.amdhsa_float_denorm_mode_32 3
		.amdhsa_float_denorm_mode_16_64 3
		.amdhsa_dx10_clamp 1
		.amdhsa_ieee_mode 1
		.amdhsa_fp16_overflow 0
		.amdhsa_workgroup_processor_mode 1
		.amdhsa_memory_ordered 1
		.amdhsa_forward_progress 0
		.amdhsa_shared_vgpr_count 0
		.amdhsa_exception_fp_ieee_invalid_op 0
		.amdhsa_exception_fp_denorm_src 0
		.amdhsa_exception_fp_ieee_div_zero 0
		.amdhsa_exception_fp_ieee_overflow 0
		.amdhsa_exception_fp_ieee_underflow 0
		.amdhsa_exception_fp_ieee_inexact 0
		.amdhsa_exception_int_div_zero 0
	.end_amdhsa_kernel
	.section	.text._ZN7rocprim17ROCPRIM_400000_NS6detail17trampoline_kernelINS0_14default_configENS1_29reduce_by_key_config_selectorIjsN6thrust23THRUST_200600_302600_NS4plusIsEEEEZZNS1_33reduce_by_key_impl_wrapped_configILNS1_25lookback_scan_determinismE0ES3_S9_NS6_6detail15normal_iteratorINS6_10device_ptrIjEEEENSD_INSE_IsEEEENS6_16discard_iteratorINS6_11use_defaultEEESI_PmS8_NS6_8equal_toIjEEEE10hipError_tPvRmT2_T3_mT4_T5_T6_T7_T8_P12ihipStream_tbENKUlT_T0_E_clISt17integral_constantIbLb1EES15_IbLb0EEEEDaS11_S12_EUlS11_E_NS1_11comp_targetILNS1_3genE10ELNS1_11target_archE1201ELNS1_3gpuE5ELNS1_3repE0EEENS1_30default_config_static_selectorELNS0_4arch9wavefront6targetE0EEEvT1_,"axG",@progbits,_ZN7rocprim17ROCPRIM_400000_NS6detail17trampoline_kernelINS0_14default_configENS1_29reduce_by_key_config_selectorIjsN6thrust23THRUST_200600_302600_NS4plusIsEEEEZZNS1_33reduce_by_key_impl_wrapped_configILNS1_25lookback_scan_determinismE0ES3_S9_NS6_6detail15normal_iteratorINS6_10device_ptrIjEEEENSD_INSE_IsEEEENS6_16discard_iteratorINS6_11use_defaultEEESI_PmS8_NS6_8equal_toIjEEEE10hipError_tPvRmT2_T3_mT4_T5_T6_T7_T8_P12ihipStream_tbENKUlT_T0_E_clISt17integral_constantIbLb1EES15_IbLb0EEEEDaS11_S12_EUlS11_E_NS1_11comp_targetILNS1_3genE10ELNS1_11target_archE1201ELNS1_3gpuE5ELNS1_3repE0EEENS1_30default_config_static_selectorELNS0_4arch9wavefront6targetE0EEEvT1_,comdat
.Lfunc_end1080:
	.size	_ZN7rocprim17ROCPRIM_400000_NS6detail17trampoline_kernelINS0_14default_configENS1_29reduce_by_key_config_selectorIjsN6thrust23THRUST_200600_302600_NS4plusIsEEEEZZNS1_33reduce_by_key_impl_wrapped_configILNS1_25lookback_scan_determinismE0ES3_S9_NS6_6detail15normal_iteratorINS6_10device_ptrIjEEEENSD_INSE_IsEEEENS6_16discard_iteratorINS6_11use_defaultEEESI_PmS8_NS6_8equal_toIjEEEE10hipError_tPvRmT2_T3_mT4_T5_T6_T7_T8_P12ihipStream_tbENKUlT_T0_E_clISt17integral_constantIbLb1EES15_IbLb0EEEEDaS11_S12_EUlS11_E_NS1_11comp_targetILNS1_3genE10ELNS1_11target_archE1201ELNS1_3gpuE5ELNS1_3repE0EEENS1_30default_config_static_selectorELNS0_4arch9wavefront6targetE0EEEvT1_, .Lfunc_end1080-_ZN7rocprim17ROCPRIM_400000_NS6detail17trampoline_kernelINS0_14default_configENS1_29reduce_by_key_config_selectorIjsN6thrust23THRUST_200600_302600_NS4plusIsEEEEZZNS1_33reduce_by_key_impl_wrapped_configILNS1_25lookback_scan_determinismE0ES3_S9_NS6_6detail15normal_iteratorINS6_10device_ptrIjEEEENSD_INSE_IsEEEENS6_16discard_iteratorINS6_11use_defaultEEESI_PmS8_NS6_8equal_toIjEEEE10hipError_tPvRmT2_T3_mT4_T5_T6_T7_T8_P12ihipStream_tbENKUlT_T0_E_clISt17integral_constantIbLb1EES15_IbLb0EEEEDaS11_S12_EUlS11_E_NS1_11comp_targetILNS1_3genE10ELNS1_11target_archE1201ELNS1_3gpuE5ELNS1_3repE0EEENS1_30default_config_static_selectorELNS0_4arch9wavefront6targetE0EEEvT1_
                                        ; -- End function
	.section	.AMDGPU.csdata,"",@progbits
; Kernel info:
; codeLenInByte = 0
; NumSgprs: 0
; NumVgprs: 0
; ScratchSize: 0
; MemoryBound: 0
; FloatMode: 240
; IeeeMode: 1
; LDSByteSize: 0 bytes/workgroup (compile time only)
; SGPRBlocks: 0
; VGPRBlocks: 0
; NumSGPRsForWavesPerEU: 1
; NumVGPRsForWavesPerEU: 1
; Occupancy: 16
; WaveLimiterHint : 0
; COMPUTE_PGM_RSRC2:SCRATCH_EN: 0
; COMPUTE_PGM_RSRC2:USER_SGPR: 15
; COMPUTE_PGM_RSRC2:TRAP_HANDLER: 0
; COMPUTE_PGM_RSRC2:TGID_X_EN: 1
; COMPUTE_PGM_RSRC2:TGID_Y_EN: 0
; COMPUTE_PGM_RSRC2:TGID_Z_EN: 0
; COMPUTE_PGM_RSRC2:TIDIG_COMP_CNT: 0
	.section	.text._ZN7rocprim17ROCPRIM_400000_NS6detail17trampoline_kernelINS0_14default_configENS1_29reduce_by_key_config_selectorIjsN6thrust23THRUST_200600_302600_NS4plusIsEEEEZZNS1_33reduce_by_key_impl_wrapped_configILNS1_25lookback_scan_determinismE0ES3_S9_NS6_6detail15normal_iteratorINS6_10device_ptrIjEEEENSD_INSE_IsEEEENS6_16discard_iteratorINS6_11use_defaultEEESI_PmS8_NS6_8equal_toIjEEEE10hipError_tPvRmT2_T3_mT4_T5_T6_T7_T8_P12ihipStream_tbENKUlT_T0_E_clISt17integral_constantIbLb1EES15_IbLb0EEEEDaS11_S12_EUlS11_E_NS1_11comp_targetILNS1_3genE10ELNS1_11target_archE1200ELNS1_3gpuE4ELNS1_3repE0EEENS1_30default_config_static_selectorELNS0_4arch9wavefront6targetE0EEEvT1_,"axG",@progbits,_ZN7rocprim17ROCPRIM_400000_NS6detail17trampoline_kernelINS0_14default_configENS1_29reduce_by_key_config_selectorIjsN6thrust23THRUST_200600_302600_NS4plusIsEEEEZZNS1_33reduce_by_key_impl_wrapped_configILNS1_25lookback_scan_determinismE0ES3_S9_NS6_6detail15normal_iteratorINS6_10device_ptrIjEEEENSD_INSE_IsEEEENS6_16discard_iteratorINS6_11use_defaultEEESI_PmS8_NS6_8equal_toIjEEEE10hipError_tPvRmT2_T3_mT4_T5_T6_T7_T8_P12ihipStream_tbENKUlT_T0_E_clISt17integral_constantIbLb1EES15_IbLb0EEEEDaS11_S12_EUlS11_E_NS1_11comp_targetILNS1_3genE10ELNS1_11target_archE1200ELNS1_3gpuE4ELNS1_3repE0EEENS1_30default_config_static_selectorELNS0_4arch9wavefront6targetE0EEEvT1_,comdat
	.protected	_ZN7rocprim17ROCPRIM_400000_NS6detail17trampoline_kernelINS0_14default_configENS1_29reduce_by_key_config_selectorIjsN6thrust23THRUST_200600_302600_NS4plusIsEEEEZZNS1_33reduce_by_key_impl_wrapped_configILNS1_25lookback_scan_determinismE0ES3_S9_NS6_6detail15normal_iteratorINS6_10device_ptrIjEEEENSD_INSE_IsEEEENS6_16discard_iteratorINS6_11use_defaultEEESI_PmS8_NS6_8equal_toIjEEEE10hipError_tPvRmT2_T3_mT4_T5_T6_T7_T8_P12ihipStream_tbENKUlT_T0_E_clISt17integral_constantIbLb1EES15_IbLb0EEEEDaS11_S12_EUlS11_E_NS1_11comp_targetILNS1_3genE10ELNS1_11target_archE1200ELNS1_3gpuE4ELNS1_3repE0EEENS1_30default_config_static_selectorELNS0_4arch9wavefront6targetE0EEEvT1_ ; -- Begin function _ZN7rocprim17ROCPRIM_400000_NS6detail17trampoline_kernelINS0_14default_configENS1_29reduce_by_key_config_selectorIjsN6thrust23THRUST_200600_302600_NS4plusIsEEEEZZNS1_33reduce_by_key_impl_wrapped_configILNS1_25lookback_scan_determinismE0ES3_S9_NS6_6detail15normal_iteratorINS6_10device_ptrIjEEEENSD_INSE_IsEEEENS6_16discard_iteratorINS6_11use_defaultEEESI_PmS8_NS6_8equal_toIjEEEE10hipError_tPvRmT2_T3_mT4_T5_T6_T7_T8_P12ihipStream_tbENKUlT_T0_E_clISt17integral_constantIbLb1EES15_IbLb0EEEEDaS11_S12_EUlS11_E_NS1_11comp_targetILNS1_3genE10ELNS1_11target_archE1200ELNS1_3gpuE4ELNS1_3repE0EEENS1_30default_config_static_selectorELNS0_4arch9wavefront6targetE0EEEvT1_
	.globl	_ZN7rocprim17ROCPRIM_400000_NS6detail17trampoline_kernelINS0_14default_configENS1_29reduce_by_key_config_selectorIjsN6thrust23THRUST_200600_302600_NS4plusIsEEEEZZNS1_33reduce_by_key_impl_wrapped_configILNS1_25lookback_scan_determinismE0ES3_S9_NS6_6detail15normal_iteratorINS6_10device_ptrIjEEEENSD_INSE_IsEEEENS6_16discard_iteratorINS6_11use_defaultEEESI_PmS8_NS6_8equal_toIjEEEE10hipError_tPvRmT2_T3_mT4_T5_T6_T7_T8_P12ihipStream_tbENKUlT_T0_E_clISt17integral_constantIbLb1EES15_IbLb0EEEEDaS11_S12_EUlS11_E_NS1_11comp_targetILNS1_3genE10ELNS1_11target_archE1200ELNS1_3gpuE4ELNS1_3repE0EEENS1_30default_config_static_selectorELNS0_4arch9wavefront6targetE0EEEvT1_
	.p2align	8
	.type	_ZN7rocprim17ROCPRIM_400000_NS6detail17trampoline_kernelINS0_14default_configENS1_29reduce_by_key_config_selectorIjsN6thrust23THRUST_200600_302600_NS4plusIsEEEEZZNS1_33reduce_by_key_impl_wrapped_configILNS1_25lookback_scan_determinismE0ES3_S9_NS6_6detail15normal_iteratorINS6_10device_ptrIjEEEENSD_INSE_IsEEEENS6_16discard_iteratorINS6_11use_defaultEEESI_PmS8_NS6_8equal_toIjEEEE10hipError_tPvRmT2_T3_mT4_T5_T6_T7_T8_P12ihipStream_tbENKUlT_T0_E_clISt17integral_constantIbLb1EES15_IbLb0EEEEDaS11_S12_EUlS11_E_NS1_11comp_targetILNS1_3genE10ELNS1_11target_archE1200ELNS1_3gpuE4ELNS1_3repE0EEENS1_30default_config_static_selectorELNS0_4arch9wavefront6targetE0EEEvT1_,@function
_ZN7rocprim17ROCPRIM_400000_NS6detail17trampoline_kernelINS0_14default_configENS1_29reduce_by_key_config_selectorIjsN6thrust23THRUST_200600_302600_NS4plusIsEEEEZZNS1_33reduce_by_key_impl_wrapped_configILNS1_25lookback_scan_determinismE0ES3_S9_NS6_6detail15normal_iteratorINS6_10device_ptrIjEEEENSD_INSE_IsEEEENS6_16discard_iteratorINS6_11use_defaultEEESI_PmS8_NS6_8equal_toIjEEEE10hipError_tPvRmT2_T3_mT4_T5_T6_T7_T8_P12ihipStream_tbENKUlT_T0_E_clISt17integral_constantIbLb1EES15_IbLb0EEEEDaS11_S12_EUlS11_E_NS1_11comp_targetILNS1_3genE10ELNS1_11target_archE1200ELNS1_3gpuE4ELNS1_3repE0EEENS1_30default_config_static_selectorELNS0_4arch9wavefront6targetE0EEEvT1_: ; @_ZN7rocprim17ROCPRIM_400000_NS6detail17trampoline_kernelINS0_14default_configENS1_29reduce_by_key_config_selectorIjsN6thrust23THRUST_200600_302600_NS4plusIsEEEEZZNS1_33reduce_by_key_impl_wrapped_configILNS1_25lookback_scan_determinismE0ES3_S9_NS6_6detail15normal_iteratorINS6_10device_ptrIjEEEENSD_INSE_IsEEEENS6_16discard_iteratorINS6_11use_defaultEEESI_PmS8_NS6_8equal_toIjEEEE10hipError_tPvRmT2_T3_mT4_T5_T6_T7_T8_P12ihipStream_tbENKUlT_T0_E_clISt17integral_constantIbLb1EES15_IbLb0EEEEDaS11_S12_EUlS11_E_NS1_11comp_targetILNS1_3genE10ELNS1_11target_archE1200ELNS1_3gpuE4ELNS1_3repE0EEENS1_30default_config_static_selectorELNS0_4arch9wavefront6targetE0EEEvT1_
; %bb.0:
	.section	.rodata,"a",@progbits
	.p2align	6, 0x0
	.amdhsa_kernel _ZN7rocprim17ROCPRIM_400000_NS6detail17trampoline_kernelINS0_14default_configENS1_29reduce_by_key_config_selectorIjsN6thrust23THRUST_200600_302600_NS4plusIsEEEEZZNS1_33reduce_by_key_impl_wrapped_configILNS1_25lookback_scan_determinismE0ES3_S9_NS6_6detail15normal_iteratorINS6_10device_ptrIjEEEENSD_INSE_IsEEEENS6_16discard_iteratorINS6_11use_defaultEEESI_PmS8_NS6_8equal_toIjEEEE10hipError_tPvRmT2_T3_mT4_T5_T6_T7_T8_P12ihipStream_tbENKUlT_T0_E_clISt17integral_constantIbLb1EES15_IbLb0EEEEDaS11_S12_EUlS11_E_NS1_11comp_targetILNS1_3genE10ELNS1_11target_archE1200ELNS1_3gpuE4ELNS1_3repE0EEENS1_30default_config_static_selectorELNS0_4arch9wavefront6targetE0EEEvT1_
		.amdhsa_group_segment_fixed_size 0
		.amdhsa_private_segment_fixed_size 0
		.amdhsa_kernarg_size 128
		.amdhsa_user_sgpr_count 15
		.amdhsa_user_sgpr_dispatch_ptr 0
		.amdhsa_user_sgpr_queue_ptr 0
		.amdhsa_user_sgpr_kernarg_segment_ptr 1
		.amdhsa_user_sgpr_dispatch_id 0
		.amdhsa_user_sgpr_private_segment_size 0
		.amdhsa_wavefront_size32 1
		.amdhsa_uses_dynamic_stack 0
		.amdhsa_enable_private_segment 0
		.amdhsa_system_sgpr_workgroup_id_x 1
		.amdhsa_system_sgpr_workgroup_id_y 0
		.amdhsa_system_sgpr_workgroup_id_z 0
		.amdhsa_system_sgpr_workgroup_info 0
		.amdhsa_system_vgpr_workitem_id 0
		.amdhsa_next_free_vgpr 1
		.amdhsa_next_free_sgpr 1
		.amdhsa_reserve_vcc 0
		.amdhsa_float_round_mode_32 0
		.amdhsa_float_round_mode_16_64 0
		.amdhsa_float_denorm_mode_32 3
		.amdhsa_float_denorm_mode_16_64 3
		.amdhsa_dx10_clamp 1
		.amdhsa_ieee_mode 1
		.amdhsa_fp16_overflow 0
		.amdhsa_workgroup_processor_mode 1
		.amdhsa_memory_ordered 1
		.amdhsa_forward_progress 0
		.amdhsa_shared_vgpr_count 0
		.amdhsa_exception_fp_ieee_invalid_op 0
		.amdhsa_exception_fp_denorm_src 0
		.amdhsa_exception_fp_ieee_div_zero 0
		.amdhsa_exception_fp_ieee_overflow 0
		.amdhsa_exception_fp_ieee_underflow 0
		.amdhsa_exception_fp_ieee_inexact 0
		.amdhsa_exception_int_div_zero 0
	.end_amdhsa_kernel
	.section	.text._ZN7rocprim17ROCPRIM_400000_NS6detail17trampoline_kernelINS0_14default_configENS1_29reduce_by_key_config_selectorIjsN6thrust23THRUST_200600_302600_NS4plusIsEEEEZZNS1_33reduce_by_key_impl_wrapped_configILNS1_25lookback_scan_determinismE0ES3_S9_NS6_6detail15normal_iteratorINS6_10device_ptrIjEEEENSD_INSE_IsEEEENS6_16discard_iteratorINS6_11use_defaultEEESI_PmS8_NS6_8equal_toIjEEEE10hipError_tPvRmT2_T3_mT4_T5_T6_T7_T8_P12ihipStream_tbENKUlT_T0_E_clISt17integral_constantIbLb1EES15_IbLb0EEEEDaS11_S12_EUlS11_E_NS1_11comp_targetILNS1_3genE10ELNS1_11target_archE1200ELNS1_3gpuE4ELNS1_3repE0EEENS1_30default_config_static_selectorELNS0_4arch9wavefront6targetE0EEEvT1_,"axG",@progbits,_ZN7rocprim17ROCPRIM_400000_NS6detail17trampoline_kernelINS0_14default_configENS1_29reduce_by_key_config_selectorIjsN6thrust23THRUST_200600_302600_NS4plusIsEEEEZZNS1_33reduce_by_key_impl_wrapped_configILNS1_25lookback_scan_determinismE0ES3_S9_NS6_6detail15normal_iteratorINS6_10device_ptrIjEEEENSD_INSE_IsEEEENS6_16discard_iteratorINS6_11use_defaultEEESI_PmS8_NS6_8equal_toIjEEEE10hipError_tPvRmT2_T3_mT4_T5_T6_T7_T8_P12ihipStream_tbENKUlT_T0_E_clISt17integral_constantIbLb1EES15_IbLb0EEEEDaS11_S12_EUlS11_E_NS1_11comp_targetILNS1_3genE10ELNS1_11target_archE1200ELNS1_3gpuE4ELNS1_3repE0EEENS1_30default_config_static_selectorELNS0_4arch9wavefront6targetE0EEEvT1_,comdat
.Lfunc_end1081:
	.size	_ZN7rocprim17ROCPRIM_400000_NS6detail17trampoline_kernelINS0_14default_configENS1_29reduce_by_key_config_selectorIjsN6thrust23THRUST_200600_302600_NS4plusIsEEEEZZNS1_33reduce_by_key_impl_wrapped_configILNS1_25lookback_scan_determinismE0ES3_S9_NS6_6detail15normal_iteratorINS6_10device_ptrIjEEEENSD_INSE_IsEEEENS6_16discard_iteratorINS6_11use_defaultEEESI_PmS8_NS6_8equal_toIjEEEE10hipError_tPvRmT2_T3_mT4_T5_T6_T7_T8_P12ihipStream_tbENKUlT_T0_E_clISt17integral_constantIbLb1EES15_IbLb0EEEEDaS11_S12_EUlS11_E_NS1_11comp_targetILNS1_3genE10ELNS1_11target_archE1200ELNS1_3gpuE4ELNS1_3repE0EEENS1_30default_config_static_selectorELNS0_4arch9wavefront6targetE0EEEvT1_, .Lfunc_end1081-_ZN7rocprim17ROCPRIM_400000_NS6detail17trampoline_kernelINS0_14default_configENS1_29reduce_by_key_config_selectorIjsN6thrust23THRUST_200600_302600_NS4plusIsEEEEZZNS1_33reduce_by_key_impl_wrapped_configILNS1_25lookback_scan_determinismE0ES3_S9_NS6_6detail15normal_iteratorINS6_10device_ptrIjEEEENSD_INSE_IsEEEENS6_16discard_iteratorINS6_11use_defaultEEESI_PmS8_NS6_8equal_toIjEEEE10hipError_tPvRmT2_T3_mT4_T5_T6_T7_T8_P12ihipStream_tbENKUlT_T0_E_clISt17integral_constantIbLb1EES15_IbLb0EEEEDaS11_S12_EUlS11_E_NS1_11comp_targetILNS1_3genE10ELNS1_11target_archE1200ELNS1_3gpuE4ELNS1_3repE0EEENS1_30default_config_static_selectorELNS0_4arch9wavefront6targetE0EEEvT1_
                                        ; -- End function
	.section	.AMDGPU.csdata,"",@progbits
; Kernel info:
; codeLenInByte = 0
; NumSgprs: 0
; NumVgprs: 0
; ScratchSize: 0
; MemoryBound: 0
; FloatMode: 240
; IeeeMode: 1
; LDSByteSize: 0 bytes/workgroup (compile time only)
; SGPRBlocks: 0
; VGPRBlocks: 0
; NumSGPRsForWavesPerEU: 1
; NumVGPRsForWavesPerEU: 1
; Occupancy: 16
; WaveLimiterHint : 0
; COMPUTE_PGM_RSRC2:SCRATCH_EN: 0
; COMPUTE_PGM_RSRC2:USER_SGPR: 15
; COMPUTE_PGM_RSRC2:TRAP_HANDLER: 0
; COMPUTE_PGM_RSRC2:TGID_X_EN: 1
; COMPUTE_PGM_RSRC2:TGID_Y_EN: 0
; COMPUTE_PGM_RSRC2:TGID_Z_EN: 0
; COMPUTE_PGM_RSRC2:TIDIG_COMP_CNT: 0
	.section	.text._ZN7rocprim17ROCPRIM_400000_NS6detail17trampoline_kernelINS0_14default_configENS1_29reduce_by_key_config_selectorIjsN6thrust23THRUST_200600_302600_NS4plusIsEEEEZZNS1_33reduce_by_key_impl_wrapped_configILNS1_25lookback_scan_determinismE0ES3_S9_NS6_6detail15normal_iteratorINS6_10device_ptrIjEEEENSD_INSE_IsEEEENS6_16discard_iteratorINS6_11use_defaultEEESI_PmS8_NS6_8equal_toIjEEEE10hipError_tPvRmT2_T3_mT4_T5_T6_T7_T8_P12ihipStream_tbENKUlT_T0_E_clISt17integral_constantIbLb1EES15_IbLb0EEEEDaS11_S12_EUlS11_E_NS1_11comp_targetILNS1_3genE9ELNS1_11target_archE1100ELNS1_3gpuE3ELNS1_3repE0EEENS1_30default_config_static_selectorELNS0_4arch9wavefront6targetE0EEEvT1_,"axG",@progbits,_ZN7rocprim17ROCPRIM_400000_NS6detail17trampoline_kernelINS0_14default_configENS1_29reduce_by_key_config_selectorIjsN6thrust23THRUST_200600_302600_NS4plusIsEEEEZZNS1_33reduce_by_key_impl_wrapped_configILNS1_25lookback_scan_determinismE0ES3_S9_NS6_6detail15normal_iteratorINS6_10device_ptrIjEEEENSD_INSE_IsEEEENS6_16discard_iteratorINS6_11use_defaultEEESI_PmS8_NS6_8equal_toIjEEEE10hipError_tPvRmT2_T3_mT4_T5_T6_T7_T8_P12ihipStream_tbENKUlT_T0_E_clISt17integral_constantIbLb1EES15_IbLb0EEEEDaS11_S12_EUlS11_E_NS1_11comp_targetILNS1_3genE9ELNS1_11target_archE1100ELNS1_3gpuE3ELNS1_3repE0EEENS1_30default_config_static_selectorELNS0_4arch9wavefront6targetE0EEEvT1_,comdat
	.protected	_ZN7rocprim17ROCPRIM_400000_NS6detail17trampoline_kernelINS0_14default_configENS1_29reduce_by_key_config_selectorIjsN6thrust23THRUST_200600_302600_NS4plusIsEEEEZZNS1_33reduce_by_key_impl_wrapped_configILNS1_25lookback_scan_determinismE0ES3_S9_NS6_6detail15normal_iteratorINS6_10device_ptrIjEEEENSD_INSE_IsEEEENS6_16discard_iteratorINS6_11use_defaultEEESI_PmS8_NS6_8equal_toIjEEEE10hipError_tPvRmT2_T3_mT4_T5_T6_T7_T8_P12ihipStream_tbENKUlT_T0_E_clISt17integral_constantIbLb1EES15_IbLb0EEEEDaS11_S12_EUlS11_E_NS1_11comp_targetILNS1_3genE9ELNS1_11target_archE1100ELNS1_3gpuE3ELNS1_3repE0EEENS1_30default_config_static_selectorELNS0_4arch9wavefront6targetE0EEEvT1_ ; -- Begin function _ZN7rocprim17ROCPRIM_400000_NS6detail17trampoline_kernelINS0_14default_configENS1_29reduce_by_key_config_selectorIjsN6thrust23THRUST_200600_302600_NS4plusIsEEEEZZNS1_33reduce_by_key_impl_wrapped_configILNS1_25lookback_scan_determinismE0ES3_S9_NS6_6detail15normal_iteratorINS6_10device_ptrIjEEEENSD_INSE_IsEEEENS6_16discard_iteratorINS6_11use_defaultEEESI_PmS8_NS6_8equal_toIjEEEE10hipError_tPvRmT2_T3_mT4_T5_T6_T7_T8_P12ihipStream_tbENKUlT_T0_E_clISt17integral_constantIbLb1EES15_IbLb0EEEEDaS11_S12_EUlS11_E_NS1_11comp_targetILNS1_3genE9ELNS1_11target_archE1100ELNS1_3gpuE3ELNS1_3repE0EEENS1_30default_config_static_selectorELNS0_4arch9wavefront6targetE0EEEvT1_
	.globl	_ZN7rocprim17ROCPRIM_400000_NS6detail17trampoline_kernelINS0_14default_configENS1_29reduce_by_key_config_selectorIjsN6thrust23THRUST_200600_302600_NS4plusIsEEEEZZNS1_33reduce_by_key_impl_wrapped_configILNS1_25lookback_scan_determinismE0ES3_S9_NS6_6detail15normal_iteratorINS6_10device_ptrIjEEEENSD_INSE_IsEEEENS6_16discard_iteratorINS6_11use_defaultEEESI_PmS8_NS6_8equal_toIjEEEE10hipError_tPvRmT2_T3_mT4_T5_T6_T7_T8_P12ihipStream_tbENKUlT_T0_E_clISt17integral_constantIbLb1EES15_IbLb0EEEEDaS11_S12_EUlS11_E_NS1_11comp_targetILNS1_3genE9ELNS1_11target_archE1100ELNS1_3gpuE3ELNS1_3repE0EEENS1_30default_config_static_selectorELNS0_4arch9wavefront6targetE0EEEvT1_
	.p2align	8
	.type	_ZN7rocprim17ROCPRIM_400000_NS6detail17trampoline_kernelINS0_14default_configENS1_29reduce_by_key_config_selectorIjsN6thrust23THRUST_200600_302600_NS4plusIsEEEEZZNS1_33reduce_by_key_impl_wrapped_configILNS1_25lookback_scan_determinismE0ES3_S9_NS6_6detail15normal_iteratorINS6_10device_ptrIjEEEENSD_INSE_IsEEEENS6_16discard_iteratorINS6_11use_defaultEEESI_PmS8_NS6_8equal_toIjEEEE10hipError_tPvRmT2_T3_mT4_T5_T6_T7_T8_P12ihipStream_tbENKUlT_T0_E_clISt17integral_constantIbLb1EES15_IbLb0EEEEDaS11_S12_EUlS11_E_NS1_11comp_targetILNS1_3genE9ELNS1_11target_archE1100ELNS1_3gpuE3ELNS1_3repE0EEENS1_30default_config_static_selectorELNS0_4arch9wavefront6targetE0EEEvT1_,@function
_ZN7rocprim17ROCPRIM_400000_NS6detail17trampoline_kernelINS0_14default_configENS1_29reduce_by_key_config_selectorIjsN6thrust23THRUST_200600_302600_NS4plusIsEEEEZZNS1_33reduce_by_key_impl_wrapped_configILNS1_25lookback_scan_determinismE0ES3_S9_NS6_6detail15normal_iteratorINS6_10device_ptrIjEEEENSD_INSE_IsEEEENS6_16discard_iteratorINS6_11use_defaultEEESI_PmS8_NS6_8equal_toIjEEEE10hipError_tPvRmT2_T3_mT4_T5_T6_T7_T8_P12ihipStream_tbENKUlT_T0_E_clISt17integral_constantIbLb1EES15_IbLb0EEEEDaS11_S12_EUlS11_E_NS1_11comp_targetILNS1_3genE9ELNS1_11target_archE1100ELNS1_3gpuE3ELNS1_3repE0EEENS1_30default_config_static_selectorELNS0_4arch9wavefront6targetE0EEEvT1_: ; @_ZN7rocprim17ROCPRIM_400000_NS6detail17trampoline_kernelINS0_14default_configENS1_29reduce_by_key_config_selectorIjsN6thrust23THRUST_200600_302600_NS4plusIsEEEEZZNS1_33reduce_by_key_impl_wrapped_configILNS1_25lookback_scan_determinismE0ES3_S9_NS6_6detail15normal_iteratorINS6_10device_ptrIjEEEENSD_INSE_IsEEEENS6_16discard_iteratorINS6_11use_defaultEEESI_PmS8_NS6_8equal_toIjEEEE10hipError_tPvRmT2_T3_mT4_T5_T6_T7_T8_P12ihipStream_tbENKUlT_T0_E_clISt17integral_constantIbLb1EES15_IbLb0EEEEDaS11_S12_EUlS11_E_NS1_11comp_targetILNS1_3genE9ELNS1_11target_archE1100ELNS1_3gpuE3ELNS1_3repE0EEENS1_30default_config_static_selectorELNS0_4arch9wavefront6targetE0EEEvT1_
; %bb.0:
	s_clause 0x2
	s_load_b128 s[4:7], s[0:1], 0x0
	s_load_b256 s[24:31], s[0:1], 0x40
	s_load_b64 s[8:9], s[0:1], 0x10
	s_mov_b32 s3, 0
	s_clause 0x1
	s_load_b64 s[34:35], s[0:1], 0x70
	s_load_b128 s[36:39], s[0:1], 0x60
	s_mul_i32 s2, s15, 0xf00
	s_waitcnt lgkmcnt(0)
	s_lshl_b64 s[10:11], s[6:7], 2
	s_mul_i32 s12, s28, s27
	s_add_u32 s10, s4, s10
	s_addc_u32 s11, s5, s11
	s_lshl_b64 s[4:5], s[6:7], 1
	s_mul_hi_u32 s13, s28, s26
	s_add_u32 s7, s8, s4
	s_mul_i32 s6, s29, s26
	s_addc_u32 s8, s9, s5
	s_add_i32 s9, s13, s12
	s_lshl_b64 s[4:5], s[2:3], 2
	s_add_i32 s9, s9, s6
	s_add_u32 s20, s10, s4
	s_addc_u32 s17, s11, s5
	s_lshl_b64 s[4:5], s[2:3], 1
	s_mul_i32 s2, s28, s26
	s_add_u32 s22, s7, s4
	s_addc_u32 s28, s8, s5
	s_add_u32 s18, s2, s15
	s_addc_u32 s19, s9, 0
	s_add_u32 s4, s30, -1
	s_addc_u32 s5, s31, -1
	s_mul_i32 s33, s4, 0xfffff100
	s_cmp_eq_u64 s[18:19], s[4:5]
	s_cselect_b32 s23, -1, 0
	s_cmp_lg_u64 s[18:19], s[4:5]
	s_cselect_b32 s21, -1, 0
	s_and_b32 vcc_lo, exec_lo, s23
	s_cbranch_vccnz .LBB1082_2
; %bb.1:
	v_lshlrev_b32_e32 v5, 2, v0
	v_mad_u32_u24 v29, v0, 15, 1
	v_mad_u32_u24 v24, v0, 15, 2
	;; [unrolled: 1-line block ×4, first 2 shown]
	v_add_co_u32 v1, s2, s20, v5
	s_delay_alu instid0(VALU_DEP_1) | instskip(SKIP_1) | instid1(VALU_DEP_3)
	v_add_co_ci_u32_e64 v2, null, s17, 0, s2
	v_mad_u32_u24 v23, v0, 56, v5
	v_add_co_u32 v3, vcc_lo, 0x1000, v1
	s_delay_alu instid0(VALU_DEP_3)
	v_add_co_ci_u32_e32 v4, vcc_lo, 0, v2, vcc_lo
	s_clause 0x7
	flat_load_b32 v6, v[1:2]
	flat_load_b32 v7, v[1:2] offset:1024
	flat_load_b32 v8, v[1:2] offset:2048
	;; [unrolled: 1-line block ×3, first 2 shown]
	flat_load_b32 v10, v[3:4]
	flat_load_b32 v11, v[3:4] offset:1024
	flat_load_b32 v12, v[3:4] offset:2048
	flat_load_b32 v13, v[3:4] offset:3072
	v_add_co_u32 v3, vcc_lo, 0x2000, v1
	v_add_co_ci_u32_e32 v4, vcc_lo, 0, v2, vcc_lo
	v_add_co_u32 v1, vcc_lo, 0x3000, v1
	v_add_co_ci_u32_e32 v2, vcc_lo, 0, v2, vcc_lo
	s_clause 0x6
	flat_load_b32 v14, v[3:4]
	flat_load_b32 v15, v[3:4] offset:1024
	flat_load_b32 v16, v[3:4] offset:2048
	;; [unrolled: 1-line block ×3, first 2 shown]
	flat_load_b32 v18, v[1:2]
	flat_load_b32 v19, v[1:2] offset:1024
	flat_load_b32 v20, v[1:2] offset:2048
	v_lshlrev_b32_e32 v1, 1, v0
	v_mad_u32_u24 v27, v0, 15, 5
	v_mad_u32_u24 v21, v0, 15, 6
	;; [unrolled: 1-line block ×4, first 2 shown]
	v_add_co_u32 v1, s2, s22, v1
	s_delay_alu instid0(VALU_DEP_1) | instskip(SKIP_1) | instid1(VALU_DEP_3)
	v_add_co_ci_u32_e64 v2, null, s28, 0, s2
	v_mad_u32_u24 v25, v0, 15, 12
	v_add_co_u32 v3, vcc_lo, 0x1000, v1
	s_delay_alu instid0(VALU_DEP_3)
	v_add_co_ci_u32_e32 v4, vcc_lo, 0, v2, vcc_lo
	s_waitcnt vmcnt(13) lgkmcnt(13)
	ds_store_2addr_stride64_b32 v5, v6, v7 offset1:4
	s_waitcnt vmcnt(11) lgkmcnt(12)
	ds_store_2addr_stride64_b32 v5, v8, v9 offset0:8 offset1:12
	s_waitcnt vmcnt(9) lgkmcnt(11)
	ds_store_2addr_stride64_b32 v5, v10, v11 offset0:16 offset1:20
	;; [unrolled: 2-line block ×6, first 2 shown]
	s_waitcnt vmcnt(0) lgkmcnt(7)
	ds_store_b32 v5, v20 offset:14336
	s_waitcnt lgkmcnt(0)
	s_barrier
	buffer_gl0_inv
	ds_load_2addr_b32 v[18:19], v23 offset1:1
	ds_load_2addr_b32 v[16:17], v23 offset0:2 offset1:3
	ds_load_2addr_b32 v[14:15], v23 offset0:4 offset1:5
	;; [unrolled: 1-line block ×6, first 2 shown]
	ds_load_b32 v52, v23 offset:56
	s_waitcnt lgkmcnt(0)
	s_barrier
	buffer_gl0_inv
	s_clause 0xe
	flat_load_u16 v31, v[1:2]
	flat_load_u16 v32, v[1:2] offset:512
	flat_load_u16 v33, v[1:2] offset:1024
	flat_load_u16 v34, v[1:2] offset:1536
	flat_load_u16 v35, v[1:2] offset:2048
	flat_load_u16 v36, v[1:2] offset:2560
	flat_load_u16 v37, v[1:2] offset:3072
	flat_load_u16 v38, v[1:2] offset:3584
	flat_load_u16 v39, v[3:4]
	flat_load_u16 v40, v[3:4] offset:512
	flat_load_u16 v41, v[3:4] offset:1024
	;; [unrolled: 1-line block ×6, first 2 shown]
	v_mul_u32_u24_e32 v1, 15, v0
	v_mad_u32_u24 v3, v0, 15, 8
	v_mad_u32_u24 v5, v0, 15, 9
	;; [unrolled: 1-line block ×3, first 2 shown]
	v_mad_i32_i24 v23, 0xffffffc6, v0, v23
	v_mad_u32_u24 v20, v0, 15, 13
	v_mad_u32_u24 v4, v0, 15, 14
	s_waitcnt vmcnt(14) lgkmcnt(14)
	ds_store_b16 v23, v31
	s_waitcnt vmcnt(13) lgkmcnt(14)
	ds_store_b16 v23, v32 offset:512
	s_waitcnt vmcnt(12) lgkmcnt(14)
	ds_store_b16 v23, v33 offset:1024
	;; [unrolled: 2-line block ×14, first 2 shown]
	s_waitcnt lgkmcnt(0)
	s_barrier
	s_and_not1_b32 vcc_lo, exec_lo, s3
	s_add_i32 s33, s33, s36
	s_cbranch_vccz .LBB1082_3
	s_branch .LBB1082_64
.LBB1082_2:
                                        ; implicit-def: $vgpr4
                                        ; implicit-def: $vgpr20
                                        ; implicit-def: $vgpr25
                                        ; implicit-def: $vgpr30
                                        ; implicit-def: $vgpr2
                                        ; implicit-def: $vgpr5
                                        ; implicit-def: $vgpr3
                                        ; implicit-def: $vgpr26
                                        ; implicit-def: $vgpr21
                                        ; implicit-def: $vgpr27
                                        ; implicit-def: $vgpr22
                                        ; implicit-def: $vgpr28
                                        ; implicit-def: $vgpr24
                                        ; implicit-def: $vgpr29
                                        ; implicit-def: $vgpr1
                                        ; implicit-def: $vgpr18
                                        ; implicit-def: $vgpr16
                                        ; implicit-def: $vgpr14
                                        ; implicit-def: $vgpr12
                                        ; implicit-def: $vgpr10
                                        ; implicit-def: $vgpr8
                                        ; implicit-def: $vgpr6
                                        ; implicit-def: $vgpr52
	s_add_i32 s33, s33, s36
.LBB1082_3:
	s_delay_alu instid0(SALU_CYCLE_1)
	v_cmp_gt_u32_e32 vcc_lo, s33, v0
                                        ; implicit-def: $vgpr4
	s_and_saveexec_b32 s2, vcc_lo
	s_cbranch_execz .LBB1082_5
; %bb.4:
	v_lshlrev_b32_e32 v1, 2, v0
	s_delay_alu instid0(VALU_DEP_1) | instskip(NEXT) | instid1(VALU_DEP_1)
	v_add_co_u32 v1, s3, s20, v1
	v_add_co_ci_u32_e64 v2, null, s17, 0, s3
	flat_load_b32 v4, v[1:2]
.LBB1082_5:
	s_or_b32 exec_lo, exec_lo, s2
	v_or_b32_e32 v1, 0x100, v0
                                        ; implicit-def: $vgpr6
	s_delay_alu instid0(VALU_DEP_1) | instskip(NEXT) | instid1(VALU_DEP_1)
	v_cmp_gt_u32_e64 s2, s33, v1
	s_and_saveexec_b32 s3, s2
	s_cbranch_execz .LBB1082_7
; %bb.6:
	v_lshlrev_b32_e32 v1, 2, v0
	s_delay_alu instid0(VALU_DEP_1) | instskip(NEXT) | instid1(VALU_DEP_1)
	v_add_co_u32 v1, s4, s20, v1
	v_add_co_ci_u32_e64 v2, null, s17, 0, s4
	flat_load_b32 v6, v[1:2] offset:1024
.LBB1082_7:
	s_or_b32 exec_lo, exec_lo, s3
	v_or_b32_e32 v1, 0x200, v0
                                        ; implicit-def: $vgpr7
	s_delay_alu instid0(VALU_DEP_1) | instskip(NEXT) | instid1(VALU_DEP_1)
	v_cmp_gt_u32_e64 s3, s33, v1
	s_and_saveexec_b32 s4, s3
	s_cbranch_execz .LBB1082_9
; %bb.8:
	v_lshlrev_b32_e32 v1, 2, v0
	s_delay_alu instid0(VALU_DEP_1) | instskip(NEXT) | instid1(VALU_DEP_1)
	v_add_co_u32 v1, s5, s20, v1
	v_add_co_ci_u32_e64 v2, null, s17, 0, s5
	flat_load_b32 v7, v[1:2] offset:2048
.LBB1082_9:
	s_or_b32 exec_lo, exec_lo, s4
	v_or_b32_e32 v1, 0x300, v0
                                        ; implicit-def: $vgpr8
	s_delay_alu instid0(VALU_DEP_1) | instskip(NEXT) | instid1(VALU_DEP_1)
	v_cmp_gt_u32_e64 s4, s33, v1
	s_and_saveexec_b32 s5, s4
	s_cbranch_execz .LBB1082_11
; %bb.10:
	v_lshlrev_b32_e32 v1, 2, v0
	s_delay_alu instid0(VALU_DEP_1) | instskip(NEXT) | instid1(VALU_DEP_1)
	v_add_co_u32 v1, s6, s20, v1
	v_add_co_ci_u32_e64 v2, null, s17, 0, s6
	flat_load_b32 v8, v[1:2] offset:3072
.LBB1082_11:
	s_or_b32 exec_lo, exec_lo, s5
	v_or_b32_e32 v1, 0x400, v0
                                        ; implicit-def: $vgpr9
	s_delay_alu instid0(VALU_DEP_1) | instskip(NEXT) | instid1(VALU_DEP_1)
	v_cmp_gt_u32_e64 s5, s33, v1
	s_and_saveexec_b32 s6, s5
	s_cbranch_execz .LBB1082_13
; %bb.12:
	v_lshlrev_b32_e32 v1, 2, v1
	s_delay_alu instid0(VALU_DEP_1) | instskip(NEXT) | instid1(VALU_DEP_1)
	v_add_co_u32 v1, s7, s20, v1
	v_add_co_ci_u32_e64 v2, null, s17, 0, s7
	flat_load_b32 v9, v[1:2]
.LBB1082_13:
	s_or_b32 exec_lo, exec_lo, s6
	v_or_b32_e32 v1, 0x500, v0
                                        ; implicit-def: $vgpr10
	s_delay_alu instid0(VALU_DEP_1) | instskip(NEXT) | instid1(VALU_DEP_1)
	v_cmp_gt_u32_e64 s6, s33, v1
	s_and_saveexec_b32 s7, s6
	s_cbranch_execz .LBB1082_15
; %bb.14:
	v_lshlrev_b32_e32 v1, 2, v1
	s_delay_alu instid0(VALU_DEP_1) | instskip(NEXT) | instid1(VALU_DEP_1)
	v_add_co_u32 v1, s8, s20, v1
	v_add_co_ci_u32_e64 v2, null, s17, 0, s8
	flat_load_b32 v10, v[1:2]
.LBB1082_15:
	s_or_b32 exec_lo, exec_lo, s7
	v_or_b32_e32 v1, 0x600, v0
                                        ; implicit-def: $vgpr11
	s_delay_alu instid0(VALU_DEP_1) | instskip(NEXT) | instid1(VALU_DEP_1)
	v_cmp_gt_u32_e64 s7, s33, v1
	s_and_saveexec_b32 s8, s7
	s_cbranch_execz .LBB1082_17
; %bb.16:
	v_lshlrev_b32_e32 v1, 2, v1
	s_delay_alu instid0(VALU_DEP_1) | instskip(NEXT) | instid1(VALU_DEP_1)
	v_add_co_u32 v1, s9, s20, v1
	v_add_co_ci_u32_e64 v2, null, s17, 0, s9
	flat_load_b32 v11, v[1:2]
.LBB1082_17:
	s_or_b32 exec_lo, exec_lo, s8
	v_or_b32_e32 v1, 0x700, v0
                                        ; implicit-def: $vgpr12
	s_delay_alu instid0(VALU_DEP_1) | instskip(NEXT) | instid1(VALU_DEP_1)
	v_cmp_gt_u32_e64 s8, s33, v1
	s_and_saveexec_b32 s9, s8
	s_cbranch_execz .LBB1082_19
; %bb.18:
	v_lshlrev_b32_e32 v1, 2, v1
	s_delay_alu instid0(VALU_DEP_1) | instskip(NEXT) | instid1(VALU_DEP_1)
	v_add_co_u32 v1, s10, s20, v1
	v_add_co_ci_u32_e64 v2, null, s17, 0, s10
	flat_load_b32 v12, v[1:2]
.LBB1082_19:
	s_or_b32 exec_lo, exec_lo, s9
	v_or_b32_e32 v1, 0x800, v0
                                        ; implicit-def: $vgpr13
	s_delay_alu instid0(VALU_DEP_1) | instskip(NEXT) | instid1(VALU_DEP_1)
	v_cmp_gt_u32_e64 s9, s33, v1
	s_and_saveexec_b32 s10, s9
	s_cbranch_execz .LBB1082_21
; %bb.20:
	v_lshlrev_b32_e32 v2, 2, v1
	s_delay_alu instid0(VALU_DEP_1) | instskip(NEXT) | instid1(VALU_DEP_1)
	v_add_co_u32 v2, s11, s20, v2
	v_add_co_ci_u32_e64 v3, null, s17, 0, s11
	flat_load_b32 v13, v[2:3]
.LBB1082_21:
	s_or_b32 exec_lo, exec_lo, s10
	v_or_b32_e32 v2, 0x900, v0
                                        ; implicit-def: $vgpr14
	s_delay_alu instid0(VALU_DEP_1) | instskip(NEXT) | instid1(VALU_DEP_1)
	v_cmp_gt_u32_e64 s10, s33, v2
	s_and_saveexec_b32 s11, s10
	s_cbranch_execz .LBB1082_23
; %bb.22:
	v_lshlrev_b32_e32 v3, 2, v2
	s_delay_alu instid0(VALU_DEP_1) | instskip(NEXT) | instid1(VALU_DEP_1)
	v_add_co_u32 v14, s12, s20, v3
	v_add_co_ci_u32_e64 v15, null, s17, 0, s12
	flat_load_b32 v14, v[14:15]
.LBB1082_23:
	s_or_b32 exec_lo, exec_lo, s11
	v_or_b32_e32 v3, 0xa00, v0
                                        ; implicit-def: $vgpr15
	s_delay_alu instid0(VALU_DEP_1) | instskip(NEXT) | instid1(VALU_DEP_1)
	v_cmp_gt_u32_e64 s11, s33, v3
	s_and_saveexec_b32 s12, s11
	s_cbranch_execz .LBB1082_25
; %bb.24:
	v_lshlrev_b32_e32 v5, 2, v3
	s_delay_alu instid0(VALU_DEP_1) | instskip(NEXT) | instid1(VALU_DEP_1)
	v_add_co_u32 v15, s13, s20, v5
	v_add_co_ci_u32_e64 v16, null, s17, 0, s13
	flat_load_b32 v15, v[15:16]
.LBB1082_25:
	s_or_b32 exec_lo, exec_lo, s12
	v_or_b32_e32 v5, 0xb00, v0
                                        ; implicit-def: $vgpr16
	s_delay_alu instid0(VALU_DEP_1) | instskip(NEXT) | instid1(VALU_DEP_1)
	v_cmp_gt_u32_e64 s12, s33, v5
	s_and_saveexec_b32 s13, s12
	s_cbranch_execz .LBB1082_27
; %bb.26:
	v_lshlrev_b32_e32 v16, 2, v5
	s_delay_alu instid0(VALU_DEP_1) | instskip(NEXT) | instid1(VALU_DEP_1)
	v_add_co_u32 v16, s14, s20, v16
	v_add_co_ci_u32_e64 v17, null, s17, 0, s14
	flat_load_b32 v16, v[16:17]
.LBB1082_27:
	s_or_b32 exec_lo, exec_lo, s13
	v_or_b32_e32 v20, 0xc00, v0
                                        ; implicit-def: $vgpr17
	s_delay_alu instid0(VALU_DEP_1) | instskip(NEXT) | instid1(VALU_DEP_1)
	v_cmp_gt_u32_e64 s13, s33, v20
	s_and_saveexec_b32 s14, s13
	s_cbranch_execz .LBB1082_29
; %bb.28:
	v_lshlrev_b32_e32 v17, 2, v20
	s_delay_alu instid0(VALU_DEP_1) | instskip(NEXT) | instid1(VALU_DEP_1)
	v_add_co_u32 v17, s16, s20, v17
	v_add_co_ci_u32_e64 v18, null, s17, 0, s16
	flat_load_b32 v17, v[17:18]
.LBB1082_29:
	s_or_b32 exec_lo, exec_lo, s14
	v_or_b32_e32 v21, 0xd00, v0
                                        ; implicit-def: $vgpr18
	s_delay_alu instid0(VALU_DEP_1) | instskip(NEXT) | instid1(VALU_DEP_1)
	v_cmp_gt_u32_e64 s14, s33, v21
	s_and_saveexec_b32 s16, s14
	s_cbranch_execz .LBB1082_31
; %bb.30:
	v_lshlrev_b32_e32 v18, 2, v21
	s_delay_alu instid0(VALU_DEP_1) | instskip(NEXT) | instid1(VALU_DEP_1)
	v_add_co_u32 v18, s29, s20, v18
	v_add_co_ci_u32_e64 v19, null, s17, 0, s29
	flat_load_b32 v18, v[18:19]
.LBB1082_31:
	s_or_b32 exec_lo, exec_lo, s16
	v_or_b32_e32 v22, 0xe00, v0
                                        ; implicit-def: $vgpr19
	s_delay_alu instid0(VALU_DEP_1) | instskip(NEXT) | instid1(VALU_DEP_1)
	v_cmp_gt_u32_e64 s16, s33, v22
	s_and_saveexec_b32 s29, s16
	s_cbranch_execz .LBB1082_33
; %bb.32:
	v_lshlrev_b32_e32 v19, 2, v22
	s_delay_alu instid0(VALU_DEP_1) | instskip(NEXT) | instid1(VALU_DEP_1)
	v_add_co_u32 v23, s30, s20, v19
	v_add_co_ci_u32_e64 v24, null, s17, 0, s30
	flat_load_b32 v19, v[23:24]
.LBB1082_33:
	s_or_b32 exec_lo, exec_lo, s29
	v_lshlrev_b32_e32 v23, 2, v0
	s_waitcnt vmcnt(0) lgkmcnt(0)
	ds_store_2addr_stride64_b32 v23, v4, v6 offset1:4
	ds_store_2addr_stride64_b32 v23, v7, v8 offset0:8 offset1:12
	ds_store_2addr_stride64_b32 v23, v9, v10 offset0:16 offset1:20
	;; [unrolled: 1-line block ×6, first 2 shown]
	v_mad_u32_u24 v4, v0, 56, v23
	ds_store_b32 v23, v19 offset:14336
	s_waitcnt lgkmcnt(0)
	s_barrier
	buffer_gl0_inv
	ds_load_2addr_b32 v[18:19], v4 offset1:1
	ds_load_2addr_b32 v[16:17], v4 offset0:2 offset1:3
	ds_load_2addr_b32 v[14:15], v4 offset0:4 offset1:5
	ds_load_2addr_b32 v[12:13], v4 offset0:6 offset1:7
	ds_load_2addr_b32 v[10:11], v4 offset0:8 offset1:9
	ds_load_2addr_b32 v[8:9], v4 offset0:10 offset1:11
	ds_load_2addr_b32 v[6:7], v4 offset0:12 offset1:13
	ds_load_b32 v52, v4 offset:56
	s_waitcnt lgkmcnt(0)
	s_barrier
	buffer_gl0_inv
                                        ; implicit-def: $vgpr23
	s_and_saveexec_b32 s29, vcc_lo
	s_cbranch_execz .LBB1082_47
; %bb.34:
	v_lshlrev_b32_e32 v23, 1, v0
	s_delay_alu instid0(VALU_DEP_1) | instskip(NEXT) | instid1(VALU_DEP_1)
	v_add_co_u32 v23, s30, s22, v23
	v_add_co_ci_u32_e64 v24, null, s28, 0, s30
	flat_load_u16 v23, v[23:24]
	s_or_b32 exec_lo, exec_lo, s29
                                        ; implicit-def: $vgpr31
	s_and_saveexec_b32 s29, s2
	s_cbranch_execnz .LBB1082_48
.LBB1082_35:
	s_or_b32 exec_lo, exec_lo, s29
                                        ; implicit-def: $vgpr32
	s_and_saveexec_b32 s2, s3
	s_cbranch_execz .LBB1082_49
.LBB1082_36:
	v_lshlrev_b32_e32 v24, 1, v0
	s_delay_alu instid0(VALU_DEP_1) | instskip(NEXT) | instid1(VALU_DEP_1)
	v_add_co_u32 v24, s3, s22, v24
	v_add_co_ci_u32_e64 v25, null, s28, 0, s3
	flat_load_u16 v32, v[24:25] offset:1024
	s_or_b32 exec_lo, exec_lo, s2
                                        ; implicit-def: $vgpr33
	s_and_saveexec_b32 s2, s4
	s_cbranch_execnz .LBB1082_50
.LBB1082_37:
	s_or_b32 exec_lo, exec_lo, s2
                                        ; implicit-def: $vgpr34
	s_and_saveexec_b32 s2, s5
	s_cbranch_execz .LBB1082_51
.LBB1082_38:
	v_lshlrev_b32_e32 v24, 1, v0
	s_delay_alu instid0(VALU_DEP_1) | instskip(NEXT) | instid1(VALU_DEP_1)
	v_add_co_u32 v24, s3, s22, v24
	v_add_co_ci_u32_e64 v25, null, s28, 0, s3
	flat_load_u16 v34, v[24:25] offset:2048
	s_or_b32 exec_lo, exec_lo, s2
                                        ; implicit-def: $vgpr35
	s_and_saveexec_b32 s2, s6
	s_cbranch_execnz .LBB1082_52
.LBB1082_39:
	s_or_b32 exec_lo, exec_lo, s2
                                        ; implicit-def: $vgpr36
	s_and_saveexec_b32 s2, s7
	s_cbranch_execz .LBB1082_53
.LBB1082_40:
	v_lshlrev_b32_e32 v24, 1, v0
	s_delay_alu instid0(VALU_DEP_1) | instskip(NEXT) | instid1(VALU_DEP_1)
	v_add_co_u32 v24, s3, s22, v24
	v_add_co_ci_u32_e64 v25, null, s28, 0, s3
	flat_load_u16 v36, v[24:25] offset:3072
	s_or_b32 exec_lo, exec_lo, s2
                                        ; implicit-def: $vgpr37
	s_and_saveexec_b32 s2, s8
	s_cbranch_execnz .LBB1082_54
.LBB1082_41:
	s_or_b32 exec_lo, exec_lo, s2
                                        ; implicit-def: $vgpr38
	s_and_saveexec_b32 s2, s9
	s_cbranch_execz .LBB1082_55
.LBB1082_42:
	v_lshlrev_b32_e32 v1, 1, v1
	s_delay_alu instid0(VALU_DEP_1) | instskip(NEXT) | instid1(VALU_DEP_1)
	v_add_co_u32 v24, s3, s22, v1
	v_add_co_ci_u32_e64 v25, null, s28, 0, s3
	flat_load_u16 v38, v[24:25]
	s_or_b32 exec_lo, exec_lo, s2
                                        ; implicit-def: $vgpr39
	s_and_saveexec_b32 s2, s10
	s_cbranch_execnz .LBB1082_56
.LBB1082_43:
	s_or_b32 exec_lo, exec_lo, s2
                                        ; implicit-def: $vgpr40
	s_and_saveexec_b32 s2, s11
	s_cbranch_execz .LBB1082_57
.LBB1082_44:
	v_lshlrev_b32_e32 v1, 1, v3
	s_delay_alu instid0(VALU_DEP_1) | instskip(NEXT) | instid1(VALU_DEP_1)
	v_add_co_u32 v1, s3, s22, v1
	v_add_co_ci_u32_e64 v2, null, s28, 0, s3
	flat_load_u16 v40, v[1:2]
	s_or_b32 exec_lo, exec_lo, s2
                                        ; implicit-def: $vgpr41
	s_and_saveexec_b32 s2, s12
	s_cbranch_execnz .LBB1082_58
.LBB1082_45:
	s_or_b32 exec_lo, exec_lo, s2
                                        ; implicit-def: $vgpr42
	s_and_saveexec_b32 s2, s13
	s_cbranch_execz .LBB1082_59
.LBB1082_46:
	v_lshlrev_b32_e32 v1, 1, v20
	s_delay_alu instid0(VALU_DEP_1) | instskip(NEXT) | instid1(VALU_DEP_1)
	v_add_co_u32 v1, s3, s22, v1
	v_add_co_ci_u32_e64 v2, null, s28, 0, s3
	flat_load_u16 v42, v[1:2]
	s_or_b32 exec_lo, exec_lo, s2
                                        ; implicit-def: $vgpr43
	s_and_saveexec_b32 s2, s14
	s_cbranch_execz .LBB1082_61
	s_branch .LBB1082_60
.LBB1082_47:
	s_or_b32 exec_lo, exec_lo, s29
                                        ; implicit-def: $vgpr31
	s_and_saveexec_b32 s29, s2
	s_cbranch_execz .LBB1082_35
.LBB1082_48:
	v_lshlrev_b32_e32 v24, 1, v0
	s_delay_alu instid0(VALU_DEP_1) | instskip(NEXT) | instid1(VALU_DEP_1)
	v_add_co_u32 v24, s2, s22, v24
	v_add_co_ci_u32_e64 v25, null, s28, 0, s2
	flat_load_u16 v31, v[24:25] offset:512
	s_or_b32 exec_lo, exec_lo, s29
                                        ; implicit-def: $vgpr32
	s_and_saveexec_b32 s2, s3
	s_cbranch_execnz .LBB1082_36
.LBB1082_49:
	s_or_b32 exec_lo, exec_lo, s2
                                        ; implicit-def: $vgpr33
	s_and_saveexec_b32 s2, s4
	s_cbranch_execz .LBB1082_37
.LBB1082_50:
	v_lshlrev_b32_e32 v24, 1, v0
	s_delay_alu instid0(VALU_DEP_1) | instskip(NEXT) | instid1(VALU_DEP_1)
	v_add_co_u32 v24, s3, s22, v24
	v_add_co_ci_u32_e64 v25, null, s28, 0, s3
	flat_load_u16 v33, v[24:25] offset:1536
	s_or_b32 exec_lo, exec_lo, s2
                                        ; implicit-def: $vgpr34
	s_and_saveexec_b32 s2, s5
	s_cbranch_execnz .LBB1082_38
.LBB1082_51:
	s_or_b32 exec_lo, exec_lo, s2
                                        ; implicit-def: $vgpr35
	s_and_saveexec_b32 s2, s6
	s_cbranch_execz .LBB1082_39
.LBB1082_52:
	v_lshlrev_b32_e32 v24, 1, v0
	s_delay_alu instid0(VALU_DEP_1) | instskip(NEXT) | instid1(VALU_DEP_1)
	v_add_co_u32 v24, s3, s22, v24
	v_add_co_ci_u32_e64 v25, null, s28, 0, s3
	flat_load_u16 v35, v[24:25] offset:2560
	s_or_b32 exec_lo, exec_lo, s2
                                        ; implicit-def: $vgpr36
	s_and_saveexec_b32 s2, s7
	s_cbranch_execnz .LBB1082_40
.LBB1082_53:
	s_or_b32 exec_lo, exec_lo, s2
                                        ; implicit-def: $vgpr37
	s_and_saveexec_b32 s2, s8
	s_cbranch_execz .LBB1082_41
.LBB1082_54:
	v_lshlrev_b32_e32 v24, 1, v0
	s_delay_alu instid0(VALU_DEP_1) | instskip(NEXT) | instid1(VALU_DEP_1)
	v_add_co_u32 v24, s3, s22, v24
	v_add_co_ci_u32_e64 v25, null, s28, 0, s3
	flat_load_u16 v37, v[24:25] offset:3584
	s_or_b32 exec_lo, exec_lo, s2
                                        ; implicit-def: $vgpr38
	s_and_saveexec_b32 s2, s9
	s_cbranch_execnz .LBB1082_42
.LBB1082_55:
	s_or_b32 exec_lo, exec_lo, s2
                                        ; implicit-def: $vgpr39
	s_and_saveexec_b32 s2, s10
	s_cbranch_execz .LBB1082_43
.LBB1082_56:
	v_lshlrev_b32_e32 v1, 1, v2
	s_delay_alu instid0(VALU_DEP_1) | instskip(NEXT) | instid1(VALU_DEP_1)
	v_add_co_u32 v1, s3, s22, v1
	v_add_co_ci_u32_e64 v2, null, s28, 0, s3
	flat_load_u16 v39, v[1:2]
	s_or_b32 exec_lo, exec_lo, s2
                                        ; implicit-def: $vgpr40
	s_and_saveexec_b32 s2, s11
	s_cbranch_execnz .LBB1082_44
.LBB1082_57:
	s_or_b32 exec_lo, exec_lo, s2
                                        ; implicit-def: $vgpr41
	s_and_saveexec_b32 s2, s12
	s_cbranch_execz .LBB1082_45
.LBB1082_58:
	v_lshlrev_b32_e32 v1, 1, v5
	s_delay_alu instid0(VALU_DEP_1) | instskip(NEXT) | instid1(VALU_DEP_1)
	v_add_co_u32 v1, s3, s22, v1
	v_add_co_ci_u32_e64 v2, null, s28, 0, s3
	flat_load_u16 v41, v[1:2]
	s_or_b32 exec_lo, exec_lo, s2
                                        ; implicit-def: $vgpr42
	s_and_saveexec_b32 s2, s13
	s_cbranch_execnz .LBB1082_46
.LBB1082_59:
	s_or_b32 exec_lo, exec_lo, s2
                                        ; implicit-def: $vgpr43
	s_and_saveexec_b32 s2, s14
	s_cbranch_execz .LBB1082_61
.LBB1082_60:
	v_lshlrev_b32_e32 v1, 1, v21
	s_delay_alu instid0(VALU_DEP_1) | instskip(NEXT) | instid1(VALU_DEP_1)
	v_add_co_u32 v1, s3, s22, v1
	v_add_co_ci_u32_e64 v2, null, s28, 0, s3
	flat_load_u16 v43, v[1:2]
.LBB1082_61:
	s_or_b32 exec_lo, exec_lo, s2
	v_mul_u32_u24_e32 v1, 15, v0
                                        ; implicit-def: $vgpr44
	s_and_saveexec_b32 s2, s16
	s_cbranch_execz .LBB1082_63
; %bb.62:
	v_lshlrev_b32_e32 v2, 1, v22
	s_delay_alu instid0(VALU_DEP_1) | instskip(NEXT) | instid1(VALU_DEP_1)
	v_add_co_u32 v2, s3, s22, v2
	v_add_co_ci_u32_e64 v3, null, s28, 0, s3
	flat_load_u16 v44, v[2:3]
.LBB1082_63:
	s_or_b32 exec_lo, exec_lo, s2
	s_delay_alu instid0(VALU_DEP_1)
	v_add_nc_u32_e32 v29, 1, v1
	v_add_nc_u32_e32 v24, 2, v1
	;; [unrolled: 1-line block ×10, first 2 shown]
	v_mad_i32_i24 v45, 0xffffffc6, v0, v4
	v_add_nc_u32_e32 v30, 11, v1
	v_add_nc_u32_e32 v25, 12, v1
	;; [unrolled: 1-line block ×4, first 2 shown]
	s_waitcnt vmcnt(0) lgkmcnt(0)
	ds_store_b16 v45, v23
	ds_store_b16 v45, v31 offset:512
	ds_store_b16 v45, v32 offset:1024
	ds_store_b16 v45, v33 offset:1536
	ds_store_b16 v45, v34 offset:2048
	ds_store_b16 v45, v35 offset:2560
	ds_store_b16 v45, v36 offset:3072
	ds_store_b16 v45, v37 offset:3584
	ds_store_b16 v45, v38 offset:4096
	ds_store_b16 v45, v39 offset:4608
	ds_store_b16 v45, v40 offset:5120
	ds_store_b16 v45, v41 offset:5632
	ds_store_b16 v45, v42 offset:6144
	ds_store_b16 v45, v43 offset:6656
	ds_store_b16 v45, v44 offset:7168
	s_waitcnt lgkmcnt(0)
	s_barrier
.LBB1082_64:
	v_lshlrev_b32_e32 v1, 1, v1
	v_lshlrev_b32_e32 v23, 1, v29
	;; [unrolled: 1-line block ×5, first 2 shown]
	buffer_gl0_inv
	v_lshlrev_b32_e32 v27, 1, v27
	v_lshlrev_b32_e32 v21, 1, v21
	v_lshlrev_b32_e32 v26, 1, v26
	ds_load_u16 v80, v1
	ds_load_u16 v79, v23
	ds_load_u16 v78, v24
	ds_load_u16 v77, v28
	ds_load_u16 v76, v22
	ds_load_u16 v75, v27
	ds_load_u16 v73, v21
	ds_load_u16 v71, v26
	v_lshlrev_b32_e32 v1, 1, v3
	v_lshlrev_b32_e32 v3, 1, v5
	;; [unrolled: 1-line block ×7, first 2 shown]
	ds_load_u16 v74, v1
	ds_load_u16 v72, v3
	;; [unrolled: 1-line block ×7, first 2 shown]
	s_load_b128 s[28:31], s[0:1], 0x28
	s_cmp_eq_u64 s[18:19], 0
	s_waitcnt lgkmcnt(0)
	s_cselect_b32 s40, -1, 0
	s_cmp_lg_u64 s[18:19], 0
	s_barrier
	s_cselect_b32 s14, -1, 0
	s_and_b32 vcc_lo, exec_lo, s21
	buffer_gl0_inv
	s_cbranch_vccz .LBB1082_70
; %bb.65:
	s_and_b32 vcc_lo, exec_lo, s14
	s_cbranch_vccz .LBB1082_135
; %bb.66:
	v_add_co_u32 v1, s0, -4, s20
	s_delay_alu instid0(VALU_DEP_1)
	v_add_co_ci_u32_e64 v2, null, -1, s17, s0
	v_cmp_ne_u32_e32 vcc_lo, v7, v52
	v_cmp_ne_u32_e64 s0, v6, v7
	v_cmp_ne_u32_e64 s1, v9, v6
	flat_load_b32 v1, v[1:2]
	v_lshlrev_b32_e32 v2, 2, v0
	v_cmp_ne_u32_e64 s2, v8, v9
	v_cmp_ne_u32_e64 s3, v11, v8
	;; [unrolled: 1-line block ×11, first 2 shown]
	s_mov_b32 s41, -1
	s_mov_b32 s16, 0
	s_mov_b32 s21, exec_lo
	ds_store_b32 v2, v52
	s_waitcnt vmcnt(0) lgkmcnt(0)
	s_barrier
	buffer_gl0_inv
	v_cmpx_ne_u32_e32 0, v0
	s_cbranch_execz .LBB1082_68
; %bb.67:
	v_add_nc_u32_e32 v1, -4, v2
	ds_load_b32 v1, v1
.LBB1082_68:
	s_or_b32 exec_lo, exec_lo, s21
	v_cndmask_b32_e64 v60, 0, 1, vcc_lo
	v_cndmask_b32_e64 v53, 0, 1, s0
	v_cndmask_b32_e64 v54, 0, 1, s1
	;; [unrolled: 1-line block ×13, first 2 shown]
	s_waitcnt lgkmcnt(0)
	v_cmp_ne_u32_e64 s0, v1, v18
	s_and_b32 vcc_lo, exec_lo, s16
	s_cbranch_vccnz .LBB1082_136
.LBB1082_69:
                                        ; implicit-def: $sgpr1
	s_branch .LBB1082_71
.LBB1082_70:
	s_mov_b32 s41, 0
                                        ; implicit-def: $sgpr0
                                        ; implicit-def: $vgpr60
                                        ; implicit-def: $vgpr53
                                        ; implicit-def: $vgpr54
                                        ; implicit-def: $vgpr55
                                        ; implicit-def: $vgpr56
                                        ; implicit-def: $vgpr57
                                        ; implicit-def: $vgpr58
                                        ; implicit-def: $vgpr59
                                        ; implicit-def: $vgpr61
                                        ; implicit-def: $vgpr62
                                        ; implicit-def: $vgpr63
                                        ; implicit-def: $vgpr64
                                        ; implicit-def: $vgpr65
                                        ; implicit-def: $vgpr66
                                        ; implicit-def: $sgpr1
	s_cbranch_execnz .LBB1082_139
.LBB1082_71:
	v_mov_b32_e32 v83, s1
	s_and_saveexec_b32 s1, s41
.LBB1082_72:
	v_cndmask_b32_e64 v83, 0, 1, s0
.LBB1082_73:
	s_or_b32 exec_lo, exec_lo, s1
	s_delay_alu instid0(VALU_DEP_1)
	v_add3_u32 v1, v66, v83, v65
	v_cmp_eq_u32_e64 s12, 0, v66
	v_cmp_eq_u32_e64 s11, 0, v65
	;; [unrolled: 1-line block ×4, first 2 shown]
	v_add3_u32 v87, v1, v64, v63
	v_cmp_eq_u32_e64 s8, 0, v62
	v_cmp_eq_u32_e64 s7, 0, v61
	;; [unrolled: 1-line block ×9, first 2 shown]
	v_cmp_eq_u32_e32 vcc_lo, 0, v60
	v_mbcnt_lo_u32_b32 v84, -1, 0
	v_lshrrev_b32_e32 v85, 5, v0
	v_or_b32_e32 v86, 31, v0
	s_cmp_eq_u64 s[26:27], 0
	s_cselect_b32 s16, -1, 0
	s_cmp_lg_u32 s15, 0
	s_cbranch_scc0 .LBB1082_104
; %bb.74:
	v_cndmask_b32_e64 v1, 0, v80, s12
	v_add3_u32 v2, v87, v62, v61
	v_and_b32_e32 v5, 15, v84
	s_delay_alu instid0(VALU_DEP_3) | instskip(NEXT) | instid1(VALU_DEP_3)
	v_add_nc_u16 v1, v1, v79
	v_add3_u32 v2, v2, v59, v58
	s_delay_alu instid0(VALU_DEP_2) | instskip(NEXT) | instid1(VALU_DEP_2)
	v_cndmask_b32_e64 v1, 0, v1, s11
	v_add3_u32 v2, v2, v57, v56
	s_delay_alu instid0(VALU_DEP_2) | instskip(NEXT) | instid1(VALU_DEP_2)
	v_add_nc_u16 v1, v1, v78
	v_add3_u32 v2, v2, v55, v54
	s_delay_alu instid0(VALU_DEP_2) | instskip(NEXT) | instid1(VALU_DEP_2)
	v_cndmask_b32_e64 v1, 0, v1, s10
	v_add3_u32 v2, v2, v53, v60
	s_delay_alu instid0(VALU_DEP_2) | instskip(NEXT) | instid1(VALU_DEP_2)
	v_add_nc_u16 v1, v1, v77
	v_mov_b32_dpp v20, v2 row_shr:1 row_mask:0xf bank_mask:0xf
	s_delay_alu instid0(VALU_DEP_2) | instskip(NEXT) | instid1(VALU_DEP_1)
	v_cndmask_b32_e64 v1, 0, v1, s9
	v_add_nc_u16 v1, v1, v76
	s_delay_alu instid0(VALU_DEP_1) | instskip(NEXT) | instid1(VALU_DEP_1)
	v_cndmask_b32_e64 v1, 0, v1, s8
	v_add_nc_u16 v1, v1, v75
	s_delay_alu instid0(VALU_DEP_1) | instskip(NEXT) | instid1(VALU_DEP_1)
	;; [unrolled: 3-line block ×9, first 2 shown]
	v_cndmask_b32_e64 v1, 0, v1, s0
	v_add_nc_u16 v1, v1, v67
	s_delay_alu instid0(VALU_DEP_1) | instskip(SKIP_1) | instid1(VALU_DEP_2)
	v_cndmask_b32_e32 v1, 0, v1, vcc_lo
	v_cmp_eq_u32_e32 vcc_lo, 0, v2
	v_add_nc_u16 v1, v1, v81
	s_delay_alu instid0(VALU_DEP_1) | instskip(NEXT) | instid1(VALU_DEP_1)
	v_and_b32_e32 v3, 0xffff, v1
	v_mov_b32_dpp v4, v3 row_shr:1 row_mask:0xf bank_mask:0xf
	s_delay_alu instid0(VALU_DEP_1) | instskip(SKIP_1) | instid1(VALU_DEP_2)
	v_cndmask_b32_e32 v4, 0, v4, vcc_lo
	v_cmp_eq_u32_e32 vcc_lo, 0, v5
	v_add_nc_u16 v4, v4, v1
	v_cndmask_b32_e64 v20, v20, 0, vcc_lo
	s_delay_alu instid0(VALU_DEP_2) | instskip(SKIP_1) | instid1(VALU_DEP_2)
	v_and_b32_e32 v21, 0xffff, v4
	v_cndmask_b32_e32 v1, v4, v1, vcc_lo
	v_dual_cndmask_b32 v3, v21, v3 :: v_dual_add_nc_u32 v2, v20, v2
	s_delay_alu instid0(VALU_DEP_1) | instskip(NEXT) | instid1(VALU_DEP_2)
	v_cmp_eq_u32_e32 vcc_lo, 0, v2
	v_mov_b32_dpp v20, v3 row_shr:2 row_mask:0xf bank_mask:0xf
	s_delay_alu instid0(VALU_DEP_1) | instskip(SKIP_2) | instid1(VALU_DEP_3)
	v_cndmask_b32_e32 v4, 0, v20, vcc_lo
	v_mov_b32_dpp v20, v2 row_shr:2 row_mask:0xf bank_mask:0xf
	v_cmp_lt_u32_e32 vcc_lo, 1, v5
	v_add_nc_u16 v4, v4, v1
	s_delay_alu instid0(VALU_DEP_1) | instskip(SKIP_1) | instid1(VALU_DEP_2)
	v_and_b32_e32 v21, 0xffff, v4
	v_cndmask_b32_e32 v1, v1, v4, vcc_lo
	v_dual_cndmask_b32 v4, 0, v20 :: v_dual_cndmask_b32 v3, v3, v21
	s_delay_alu instid0(VALU_DEP_1) | instskip(NEXT) | instid1(VALU_DEP_2)
	v_add_nc_u32_e32 v2, v2, v4
	v_mov_b32_dpp v4, v3 row_shr:4 row_mask:0xf bank_mask:0xf
	s_delay_alu instid0(VALU_DEP_2) | instskip(SKIP_1) | instid1(VALU_DEP_3)
	v_cmp_eq_u32_e32 vcc_lo, 0, v2
	v_mov_b32_dpp v20, v2 row_shr:4 row_mask:0xf bank_mask:0xf
	v_cndmask_b32_e32 v4, 0, v4, vcc_lo
	v_cmp_lt_u32_e32 vcc_lo, 3, v5
	s_delay_alu instid0(VALU_DEP_2) | instskip(NEXT) | instid1(VALU_DEP_1)
	v_add_nc_u16 v4, v4, v1
	v_and_b32_e32 v21, 0xffff, v4
	v_cndmask_b32_e32 v1, v1, v4, vcc_lo
	s_delay_alu instid0(VALU_DEP_2) | instskip(NEXT) | instid1(VALU_DEP_1)
	v_dual_cndmask_b32 v4, 0, v20 :: v_dual_cndmask_b32 v3, v3, v21
	v_add_nc_u32_e32 v2, v4, v2
	s_delay_alu instid0(VALU_DEP_2) | instskip(NEXT) | instid1(VALU_DEP_2)
	v_mov_b32_dpp v4, v3 row_shr:8 row_mask:0xf bank_mask:0xf
	v_cmp_eq_u32_e32 vcc_lo, 0, v2
	v_mov_b32_dpp v20, v2 row_shr:8 row_mask:0xf bank_mask:0xf
	s_delay_alu instid0(VALU_DEP_3) | instskip(SKIP_1) | instid1(VALU_DEP_2)
	v_cndmask_b32_e32 v4, 0, v4, vcc_lo
	v_cmp_lt_u32_e32 vcc_lo, 7, v5
	v_add_nc_u16 v4, v4, v1
	s_delay_alu instid0(VALU_DEP_4) | instskip(SKIP_1) | instid1(VALU_DEP_3)
	v_cndmask_b32_e32 v5, 0, v20, vcc_lo
	v_bfe_i32 v20, v84, 4, 1
	v_cndmask_b32_e32 v1, v1, v4, vcc_lo
	v_and_b32_e32 v4, 0xffff, v4
	s_delay_alu instid0(VALU_DEP_4) | instskip(SKIP_1) | instid1(VALU_DEP_3)
	v_add_nc_u32_e32 v2, v5, v2
	v_and_b32_e32 v5, 16, v84
	v_cndmask_b32_e32 v3, v3, v4, vcc_lo
	ds_swizzle_b32 v4, v2 offset:swizzle(BROADCAST,32,15)
	v_cmp_ne_u32_e32 vcc_lo, 0, v5
	v_cmp_eq_u32_e64 s13, 0, v2
	ds_swizzle_b32 v3, v3 offset:swizzle(BROADCAST,32,15)
	s_and_b32 vcc_lo, vcc_lo, s13
	s_mov_b32 s13, exec_lo
	s_waitcnt lgkmcnt(0)
	v_dual_cndmask_b32 v3, 0, v3 :: v_dual_and_b32 v4, v20, v4
	s_delay_alu instid0(VALU_DEP_1) | instskip(NEXT) | instid1(VALU_DEP_2)
	v_add_nc_u32_e32 v2, v4, v2
	v_add_nc_u16 v1, v3, v1
	v_lshlrev_b32_e32 v3, 3, v85
	v_cmpx_eq_u32_e64 v86, v0
	s_cbranch_execz .LBB1082_76
; %bb.75:
	ds_store_b32 v3, v2 offset:2064
	ds_store_b16 v3, v1 offset:2068
.LBB1082_76:
	s_or_b32 exec_lo, exec_lo, s13
	s_delay_alu instid0(SALU_CYCLE_1)
	s_mov_b32 s14, exec_lo
	s_waitcnt lgkmcnt(0)
	s_barrier
	buffer_gl0_inv
	v_cmpx_gt_u32_e32 8, v0
	s_cbranch_execz .LBB1082_78
; %bb.77:
	v_lshlrev_b32_e32 v20, 3, v0
	ds_load_b64 v[4:5], v20 offset:2064
	s_waitcnt lgkmcnt(0)
	v_mov_b32_dpp v21, v5 row_shr:1 row_mask:0xf bank_mask:0xf
	v_cmp_eq_u32_e32 vcc_lo, 0, v4
	v_and_b32_e32 v22, 0xffff0000, v5
	v_mov_b32_dpp v25, v4 row_shr:1 row_mask:0xf bank_mask:0xf
	s_delay_alu instid0(VALU_DEP_4) | instskip(NEXT) | instid1(VALU_DEP_1)
	v_cndmask_b32_e32 v21, 0, v21, vcc_lo
	v_add_nc_u16 v21, v21, v5
	s_delay_alu instid0(VALU_DEP_1) | instskip(NEXT) | instid1(VALU_DEP_1)
	v_and_b32_e32 v23, 0xffff, v21
	v_or_b32_e32 v23, v22, v23
	v_and_b32_e32 v24, 7, v84
	s_delay_alu instid0(VALU_DEP_1) | instskip(NEXT) | instid1(VALU_DEP_3)
	v_cmp_eq_u32_e32 vcc_lo, 0, v24
	v_cndmask_b32_e32 v23, v23, v5, vcc_lo
	v_cndmask_b32_e64 v25, v25, 0, vcc_lo
	v_cndmask_b32_e32 v5, v21, v5, vcc_lo
	v_cmp_lt_u32_e64 s13, 3, v24
	s_delay_alu instid0(VALU_DEP_3) | instskip(SKIP_1) | instid1(VALU_DEP_2)
	v_add_nc_u32_e32 v4, v25, v4
	v_mov_b32_dpp v25, v23 row_shr:2 row_mask:0xf bank_mask:0xf
	v_cmp_eq_u32_e32 vcc_lo, 0, v4
	s_delay_alu instid0(VALU_DEP_2) | instskip(SKIP_2) | instid1(VALU_DEP_3)
	v_cndmask_b32_e32 v21, 0, v25, vcc_lo
	v_mov_b32_dpp v25, v4 row_shr:2 row_mask:0xf bank_mask:0xf
	v_cmp_lt_u32_e32 vcc_lo, 1, v24
	v_add_nc_u16 v21, v21, v5
	s_delay_alu instid0(VALU_DEP_1) | instskip(SKIP_2) | instid1(VALU_DEP_3)
	v_and_b32_e32 v26, 0xffff, v21
	v_cndmask_b32_e32 v5, v5, v21, vcc_lo
	v_cndmask_b32_e32 v21, 0, v25, vcc_lo
	v_or_b32_e32 v22, v22, v26
	s_delay_alu instid0(VALU_DEP_1) | instskip(NEXT) | instid1(VALU_DEP_1)
	v_dual_cndmask_b32 v21, v23, v22 :: v_dual_add_nc_u32 v4, v21, v4
	v_cmp_eq_u32_e32 vcc_lo, 0, v4
	s_delay_alu instid0(VALU_DEP_2) | instskip(SKIP_1) | instid1(VALU_DEP_1)
	v_mov_b32_dpp v21, v21 row_shr:4 row_mask:0xf bank_mask:0xf
	s_and_b32 vcc_lo, s13, vcc_lo
	v_cndmask_b32_e32 v21, 0, v21, vcc_lo
	v_mov_b32_dpp v22, v4 row_shr:4 row_mask:0xf bank_mask:0xf
	s_delay_alu instid0(VALU_DEP_2) | instskip(NEXT) | instid1(VALU_DEP_2)
	v_add_nc_u16 v5, v5, v21
	v_cndmask_b32_e64 v22, 0, v22, s13
	s_delay_alu instid0(VALU_DEP_1)
	v_add_nc_u32_e32 v4, v22, v4
	ds_store_b32 v20, v4 offset:2064
	ds_store_b16 v20, v5 offset:2068
.LBB1082_78:
	s_or_b32 exec_lo, exec_lo, s14
	v_cmp_gt_u32_e32 vcc_lo, 32, v0
	v_dual_mov_b32 v25, 0 :: v_dual_mov_b32 v24, 0
	s_mov_b32 s14, exec_lo
	s_waitcnt lgkmcnt(0)
	s_barrier
	buffer_gl0_inv
	v_cmpx_lt_u32_e32 31, v0
	s_cbranch_execz .LBB1082_80
; %bb.79:
	ds_load_u16 v24, v3 offset:2060
	ds_load_b32 v25, v3 offset:2056
	v_cmp_eq_u32_e64 s13, 0, v2
	s_waitcnt lgkmcnt(1)
	s_delay_alu instid0(VALU_DEP_1) | instskip(SKIP_2) | instid1(VALU_DEP_2)
	v_cndmask_b32_e64 v3, 0, v24, s13
	s_waitcnt lgkmcnt(0)
	v_add_nc_u32_e32 v2, v25, v2
	v_add_nc_u16 v1, v3, v1
.LBB1082_80:
	s_or_b32 exec_lo, exec_lo, s14
	v_add_nc_u32_e32 v3, -1, v84
	s_delay_alu instid0(VALU_DEP_2) | instskip(NEXT) | instid1(VALU_DEP_2)
	v_and_b32_e32 v1, 0xffff, v1
	v_cmp_gt_i32_e64 s13, 0, v3
	s_delay_alu instid0(VALU_DEP_1) | instskip(SKIP_1) | instid1(VALU_DEP_2)
	v_cndmask_b32_e64 v3, v3, v84, s13
	v_cmp_eq_u32_e64 s13, 0, v84
	v_lshlrev_b32_e32 v3, 2, v3
	ds_bpermute_b32 v26, v3, v2
	ds_bpermute_b32 v27, v3, v1
	s_and_saveexec_b32 s17, vcc_lo
	s_cbranch_execz .LBB1082_103
; %bb.81:
	v_mov_b32_e32 v4, 0
	ds_load_b64 v[1:2], v4 offset:2120
	s_waitcnt lgkmcnt(0)
	v_readfirstlane_b32 s18, v2
	s_and_saveexec_b32 s14, s13
	s_cbranch_execz .LBB1082_83
; %bb.82:
	s_add_i32 s20, s15, 32
	s_mov_b32 s21, 0
	v_mov_b32_e32 v3, 1
	s_lshl_b64 s[26:27], s[20:21], 4
	s_mov_b32 s36, s21
	s_add_u32 s26, s24, s26
	s_addc_u32 s27, s25, s27
	s_and_b32 s37, s18, 0xff000000
	s_and_b32 s43, s18, 0xff0000
	s_mov_b32 s42, s21
	v_dual_mov_b32 v20, s26 :: v_dual_mov_b32 v21, s27
	s_or_b64 s[36:37], s[42:43], s[36:37]
	s_and_b32 s43, s18, 0xff00
	s_delay_alu instid0(SALU_CYCLE_1) | instskip(SKIP_1) | instid1(SALU_CYCLE_1)
	s_or_b64 s[36:37], s[36:37], s[42:43]
	s_and_b32 s43, s18, 0xff
	s_or_b64 s[20:21], s[36:37], s[42:43]
	s_delay_alu instid0(SALU_CYCLE_1)
	v_mov_b32_e32 v2, s21
	;;#ASMSTART
	global_store_dwordx4 v[20:21], v[1:4] off	
s_waitcnt vmcnt(0)
	;;#ASMEND
.LBB1082_83:
	s_or_b32 exec_lo, exec_lo, s14
	v_xad_u32 v20, v84, -1, s15
	s_mov_b32 s19, 0
	s_mov_b32 s14, exec_lo
	s_delay_alu instid0(VALU_DEP_1) | instskip(NEXT) | instid1(VALU_DEP_1)
	v_add_nc_u32_e32 v3, 32, v20
	v_lshlrev_b64 v[2:3], 4, v[3:4]
	s_delay_alu instid0(VALU_DEP_1) | instskip(NEXT) | instid1(VALU_DEP_2)
	v_add_co_u32 v21, vcc_lo, s24, v2
	v_add_co_ci_u32_e32 v22, vcc_lo, s25, v3, vcc_lo
	;;#ASMSTART
	global_load_dwordx4 v[2:5], v[21:22] off glc	
s_waitcnt vmcnt(0)
	;;#ASMEND
	v_and_b32_e32 v5, 0xffffff, v2
	v_and_b32_e32 v2, 0xff000000, v2
	;; [unrolled: 1-line block ×4, first 2 shown]
	s_delay_alu instid0(VALU_DEP_3) | instskip(SKIP_1) | instid1(VALU_DEP_3)
	v_or_b32_e32 v2, v5, v2
	v_and_b32_e32 v5, 0xff, v4
	v_or3_b32 v3, 0, v23, v3
	s_delay_alu instid0(VALU_DEP_3) | instskip(NEXT) | instid1(VALU_DEP_3)
	v_or3_b32 v2, v2, 0, 0
	v_cmpx_eq_u16_e32 0, v5
	s_cbranch_execz .LBB1082_89
; %bb.84:
	s_mov_b32 s20, 1
	.p2align	6
.LBB1082_85:                            ; =>This Loop Header: Depth=1
                                        ;     Child Loop BB1082_86 Depth 2
	s_delay_alu instid0(SALU_CYCLE_1)
	s_max_u32 s21, s20, 1
.LBB1082_86:                            ;   Parent Loop BB1082_85 Depth=1
                                        ; =>  This Inner Loop Header: Depth=2
	s_delay_alu instid0(SALU_CYCLE_1)
	s_add_i32 s21, s21, -1
	s_sleep 1
	s_cmp_eq_u32 s21, 0
	s_cbranch_scc0 .LBB1082_86
; %bb.87:                               ;   in Loop: Header=BB1082_85 Depth=1
	;;#ASMSTART
	global_load_dwordx4 v[2:5], v[21:22] off glc	
s_waitcnt vmcnt(0)
	;;#ASMEND
	v_and_b32_e32 v5, 0xff, v4
	s_cmp_lt_u32 s20, 32
	s_cselect_b32 s21, -1, 0
	s_delay_alu instid0(SALU_CYCLE_1) | instskip(NEXT) | instid1(VALU_DEP_1)
	s_cmp_lg_u32 s21, 0
	v_cmp_ne_u16_e32 vcc_lo, 0, v5
	s_addc_u32 s20, s20, 0
	s_or_b32 s19, vcc_lo, s19
	s_delay_alu instid0(SALU_CYCLE_1)
	s_and_not1_b32 exec_lo, exec_lo, s19
	s_cbranch_execnz .LBB1082_85
; %bb.88:
	s_or_b32 exec_lo, exec_lo, s19
	v_and_b32_e32 v3, 0xffff, v3
.LBB1082_89:
	s_or_b32 exec_lo, exec_lo, s14
	v_cmp_ne_u32_e32 vcc_lo, 31, v84
	v_and_b32_e32 v21, 0xff, v4
	v_lshlrev_b32_e64 v29, v84, -1
	v_cmp_eq_u32_e64 s14, 0, v2
	v_add_nc_u32_e32 v37, 8, v84
	v_add_co_ci_u32_e32 v5, vcc_lo, 0, v84, vcc_lo
	v_cmp_eq_u16_e32 vcc_lo, 2, v21
	v_add_nc_u32_e32 v39, 16, v84
	v_and_or_b32 v21, vcc_lo, v29, 0x80000000
	v_cmp_gt_u32_e32 vcc_lo, 30, v84
	s_delay_alu instid0(VALU_DEP_2) | instskip(SKIP_1) | instid1(VALU_DEP_2)
	v_ctz_i32_b32_e32 v21, v21
	v_cndmask_b32_e64 v22, 0, 1, vcc_lo
	v_cmp_lt_u32_e32 vcc_lo, v84, v21
	v_lshlrev_b32_e32 v28, 2, v5
	ds_bpermute_b32 v5, v28, v3
	s_waitcnt lgkmcnt(0)
	v_cndmask_b32_e64 v5, 0, v5, s14
	s_delay_alu instid0(VALU_DEP_1) | instskip(SKIP_1) | instid1(VALU_DEP_2)
	v_add_nc_u16 v5, v5, v3
	v_lshlrev_b32_e32 v22, 1, v22
	v_and_b32_e32 v31, 0xffff, v5
	v_cndmask_b32_e32 v5, v3, v5, vcc_lo
	s_delay_alu instid0(VALU_DEP_3) | instskip(NEXT) | instid1(VALU_DEP_3)
	v_add_lshl_u32 v30, v22, v84, 2
	v_cndmask_b32_e32 v3, v3, v31, vcc_lo
	ds_bpermute_b32 v23, v28, v2
	v_add_nc_u32_e32 v31, 2, v84
	ds_bpermute_b32 v22, v30, v3
	s_waitcnt lgkmcnt(1)
	v_cndmask_b32_e32 v23, 0, v23, vcc_lo
	s_delay_alu instid0(VALU_DEP_1) | instskip(NEXT) | instid1(VALU_DEP_1)
	v_add_nc_u32_e32 v2, v23, v2
	v_cmp_eq_u32_e32 vcc_lo, 0, v2
	s_waitcnt lgkmcnt(0)
	v_cndmask_b32_e32 v22, 0, v22, vcc_lo
	v_cmp_gt_u32_e32 vcc_lo, 28, v84
	s_delay_alu instid0(VALU_DEP_2) | instskip(SKIP_2) | instid1(VALU_DEP_3)
	v_add_nc_u16 v22, v22, v5
	v_cndmask_b32_e64 v23, 0, 1, vcc_lo
	v_cmp_gt_u32_e32 vcc_lo, v31, v21
	v_and_b32_e32 v34, 0xffff, v22
	s_delay_alu instid0(VALU_DEP_3)
	v_lshlrev_b32_e32 v23, 2, v23
	v_cndmask_b32_e32 v5, v22, v5, vcc_lo
	ds_bpermute_b32 v33, v30, v2
	v_cndmask_b32_e32 v3, v34, v3, vcc_lo
	v_add_lshl_u32 v32, v23, v84, 2
	ds_bpermute_b32 v22, v32, v3
	s_waitcnt lgkmcnt(1)
	v_cndmask_b32_e64 v23, v33, 0, vcc_lo
	v_add_nc_u32_e32 v33, 4, v84
	s_delay_alu instid0(VALU_DEP_2) | instskip(NEXT) | instid1(VALU_DEP_1)
	v_add_nc_u32_e32 v2, v2, v23
	v_cmp_eq_u32_e32 vcc_lo, 0, v2
	ds_bpermute_b32 v34, v32, v2
	s_waitcnt lgkmcnt(1)
	v_cndmask_b32_e32 v22, 0, v22, vcc_lo
	v_cmp_gt_u32_e32 vcc_lo, 24, v84
	s_delay_alu instid0(VALU_DEP_2) | instskip(SKIP_2) | instid1(VALU_DEP_3)
	v_add_nc_u16 v22, v5, v22
	v_cndmask_b32_e64 v23, 0, 1, vcc_lo
	v_cmp_gt_u32_e32 vcc_lo, v33, v21
	v_and_b32_e32 v36, 0xffff, v22
	s_delay_alu instid0(VALU_DEP_3) | instskip(SKIP_1) | instid1(VALU_DEP_3)
	v_lshlrev_b32_e32 v23, 3, v23
	v_cndmask_b32_e32 v5, v22, v5, vcc_lo
	v_cndmask_b32_e32 v3, v36, v3, vcc_lo
	s_delay_alu instid0(VALU_DEP_3) | instskip(SKIP_4) | instid1(VALU_DEP_1)
	v_add_lshl_u32 v35, v23, v84, 2
	s_waitcnt lgkmcnt(0)
	v_cndmask_b32_e64 v23, v34, 0, vcc_lo
	ds_bpermute_b32 v22, v35, v3
	v_add_nc_u32_e32 v2, v2, v23
	v_cmp_eq_u32_e32 vcc_lo, 0, v2
	ds_bpermute_b32 v23, v35, v2
	s_waitcnt lgkmcnt(1)
	v_cndmask_b32_e32 v22, 0, v22, vcc_lo
	v_cmp_gt_u32_e32 vcc_lo, 16, v84
	v_cndmask_b32_e64 v34, 0, 1, vcc_lo
	v_cmp_gt_u32_e32 vcc_lo, v37, v21
	s_delay_alu instid0(VALU_DEP_2) | instskip(SKIP_1) | instid1(VALU_DEP_2)
	v_lshlrev_b32_e32 v34, 4, v34
	v_add_nc_u16 v22, v5, v22
	v_add_lshl_u32 v38, v34, v84, 2
	s_delay_alu instid0(VALU_DEP_2) | instskip(SKIP_2) | instid1(VALU_DEP_1)
	v_dual_cndmask_b32 v5, v22, v5 :: v_dual_and_b32 v36, 0xffff, v22
	s_waitcnt lgkmcnt(0)
	v_cndmask_b32_e64 v22, v23, 0, vcc_lo
	v_dual_cndmask_b32 v3, v36, v3 :: v_dual_add_nc_u32 v2, v2, v22
	ds_bpermute_b32 v3, v38, v3
	ds_bpermute_b32 v22, v38, v2
	v_cmp_eq_u32_e32 vcc_lo, 0, v2
	s_waitcnt lgkmcnt(1)
	v_cndmask_b32_e32 v3, 0, v3, vcc_lo
	v_cmp_gt_u32_e32 vcc_lo, v39, v21
	s_delay_alu instid0(VALU_DEP_2) | instskip(SKIP_2) | instid1(VALU_DEP_1)
	v_cndmask_b32_e64 v3, v3, 0, vcc_lo
	s_waitcnt lgkmcnt(0)
	v_cndmask_b32_e64 v21, v22, 0, vcc_lo
	v_add_nc_u32_e32 v2, v21, v2
	s_delay_alu instid0(VALU_DEP_3)
	v_add_nc_u16 v3, v5, v3
	v_mov_b32_e32 v21, 0
	s_branch .LBB1082_91
.LBB1082_90:                            ;   in Loop: Header=BB1082_91 Depth=1
	s_or_b32 exec_lo, exec_lo, s14
	ds_bpermute_b32 v5, v28, v3
	v_cmp_eq_u32_e64 s14, 0, v2
	ds_bpermute_b32 v23, v28, v2
	v_subrev_nc_u32_e32 v20, 32, v20
	s_waitcnt lgkmcnt(1)
	v_cndmask_b32_e64 v5, 0, v5, s14
	s_delay_alu instid0(VALU_DEP_1) | instskip(SKIP_1) | instid1(VALU_DEP_1)
	v_add_nc_u16 v5, v5, v3
	v_and_b32_e32 v22, 0xff, v4
	v_cmp_eq_u16_e32 vcc_lo, 2, v22
	v_and_or_b32 v22, vcc_lo, v29, 0x80000000
	s_delay_alu instid0(VALU_DEP_1) | instskip(NEXT) | instid1(VALU_DEP_1)
	v_ctz_i32_b32_e32 v22, v22
	v_cmp_lt_u32_e32 vcc_lo, v84, v22
	s_waitcnt lgkmcnt(0)
	v_dual_cndmask_b32 v23, 0, v23 :: v_dual_and_b32 v40, 0xffff, v5
	v_cndmask_b32_e32 v5, v3, v5, vcc_lo
	s_delay_alu instid0(VALU_DEP_2) | instskip(SKIP_2) | instid1(VALU_DEP_1)
	v_cndmask_b32_e32 v3, v3, v40, vcc_lo
	ds_bpermute_b32 v40, v30, v3
	v_add_nc_u32_e32 v2, v23, v2
	v_cmp_eq_u32_e32 vcc_lo, 0, v2
	s_waitcnt lgkmcnt(0)
	v_cndmask_b32_e32 v23, 0, v40, vcc_lo
	ds_bpermute_b32 v40, v30, v2
	v_cmp_gt_u32_e32 vcc_lo, v31, v22
	v_add_nc_u16 v23, v23, v5
	s_delay_alu instid0(VALU_DEP_1) | instskip(SKIP_2) | instid1(VALU_DEP_1)
	v_and_b32_e32 v41, 0xffff, v23
	s_waitcnt lgkmcnt(0)
	v_cndmask_b32_e64 v40, v40, 0, vcc_lo
	v_dual_cndmask_b32 v5, v23, v5 :: v_dual_add_nc_u32 v2, v2, v40
	s_delay_alu instid0(VALU_DEP_3)
	v_cndmask_b32_e32 v3, v41, v3, vcc_lo
	ds_bpermute_b32 v40, v32, v2
	ds_bpermute_b32 v23, v32, v3
	v_cmp_eq_u32_e32 vcc_lo, 0, v2
	s_waitcnt lgkmcnt(0)
	v_cndmask_b32_e32 v23, 0, v23, vcc_lo
	v_cmp_gt_u32_e32 vcc_lo, v33, v22
	s_delay_alu instid0(VALU_DEP_2) | instskip(SKIP_1) | instid1(VALU_DEP_2)
	v_add_nc_u16 v23, v5, v23
	v_cndmask_b32_e64 v40, v40, 0, vcc_lo
	v_and_b32_e32 v41, 0xffff, v23
	s_delay_alu instid0(VALU_DEP_2) | instskip(NEXT) | instid1(VALU_DEP_2)
	v_dual_cndmask_b32 v5, v23, v5 :: v_dual_add_nc_u32 v2, v2, v40
	v_cndmask_b32_e32 v3, v41, v3, vcc_lo
	s_delay_alu instid0(VALU_DEP_2)
	v_cmp_eq_u32_e32 vcc_lo, 0, v2
	ds_bpermute_b32 v40, v35, v2
	ds_bpermute_b32 v23, v35, v3
	s_waitcnt lgkmcnt(0)
	v_cndmask_b32_e32 v23, 0, v23, vcc_lo
	v_cmp_gt_u32_e32 vcc_lo, v37, v22
	s_delay_alu instid0(VALU_DEP_2) | instskip(NEXT) | instid1(VALU_DEP_1)
	v_add_nc_u16 v23, v5, v23
	v_and_b32_e32 v41, 0xffff, v23
	v_cndmask_b32_e32 v5, v23, v5, vcc_lo
	v_cndmask_b32_e64 v23, v40, 0, vcc_lo
	s_delay_alu instid0(VALU_DEP_3) | instskip(NEXT) | instid1(VALU_DEP_2)
	v_cndmask_b32_e32 v3, v41, v3, vcc_lo
	v_add_nc_u32_e32 v2, v2, v23
	ds_bpermute_b32 v3, v38, v3
	ds_bpermute_b32 v23, v38, v2
	v_cmp_eq_u32_e32 vcc_lo, 0, v2
	s_waitcnt lgkmcnt(1)
	v_cndmask_b32_e32 v3, 0, v3, vcc_lo
	v_cmp_gt_u32_e32 vcc_lo, v39, v22
	s_delay_alu instid0(VALU_DEP_2) | instskip(NEXT) | instid1(VALU_DEP_1)
	v_cndmask_b32_e64 v3, v3, 0, vcc_lo
	v_add_nc_u16 v3, v5, v3
	s_waitcnt lgkmcnt(0)
	v_cndmask_b32_e64 v5, v23, 0, vcc_lo
	v_cmp_eq_u32_e32 vcc_lo, 0, v36
	s_delay_alu instid0(VALU_DEP_2) | instskip(SKIP_1) | instid1(VALU_DEP_1)
	v_add3_u32 v2, v2, v36, v5
	v_cndmask_b32_e32 v3, 0, v3, vcc_lo
	v_add_nc_u16 v3, v3, v34
.LBB1082_91:                            ; =>This Loop Header: Depth=1
                                        ;     Child Loop BB1082_94 Depth 2
                                        ;       Child Loop BB1082_95 Depth 3
	v_and_b32_e32 v4, 0xff, v4
	s_delay_alu instid0(VALU_DEP_2) | instskip(SKIP_1) | instid1(VALU_DEP_3)
	v_mov_b32_e32 v34, v3
	v_mov_b32_e32 v36, v2
	v_cmp_ne_u16_e32 vcc_lo, 2, v4
	v_cndmask_b32_e64 v4, 0, 1, vcc_lo
	;;#ASMSTART
	;;#ASMEND
	s_delay_alu instid0(VALU_DEP_1)
	v_cmp_ne_u32_e32 vcc_lo, 0, v4
	s_cmp_lg_u32 vcc_lo, exec_lo
	s_cbranch_scc1 .LBB1082_98
; %bb.92:                               ;   in Loop: Header=BB1082_91 Depth=1
	v_lshlrev_b64 v[2:3], 4, v[20:21]
	s_mov_b32 s14, exec_lo
	s_delay_alu instid0(VALU_DEP_1) | instskip(NEXT) | instid1(VALU_DEP_2)
	v_add_co_u32 v22, vcc_lo, s24, v2
	v_add_co_ci_u32_e32 v23, vcc_lo, s25, v3, vcc_lo
	;;#ASMSTART
	global_load_dwordx4 v[2:5], v[22:23] off glc	
s_waitcnt vmcnt(0)
	;;#ASMEND
	v_and_b32_e32 v5, 0xffffff, v2
	v_and_b32_e32 v2, 0xff000000, v2
	;; [unrolled: 1-line block ×4, first 2 shown]
	s_delay_alu instid0(VALU_DEP_3) | instskip(SKIP_1) | instid1(VALU_DEP_3)
	v_or_b32_e32 v2, v5, v2
	v_and_b32_e32 v5, 0xff, v4
	v_or3_b32 v3, 0, v40, v3
	s_delay_alu instid0(VALU_DEP_3) | instskip(NEXT) | instid1(VALU_DEP_3)
	v_or3_b32 v2, v2, 0, 0
	v_cmpx_eq_u16_e32 0, v5
	s_cbranch_execz .LBB1082_90
; %bb.93:                               ;   in Loop: Header=BB1082_91 Depth=1
	s_mov_b32 s20, 1
	s_mov_b32 s19, 0
	.p2align	6
.LBB1082_94:                            ;   Parent Loop BB1082_91 Depth=1
                                        ; =>  This Loop Header: Depth=2
                                        ;       Child Loop BB1082_95 Depth 3
	s_max_u32 s21, s20, 1
.LBB1082_95:                            ;   Parent Loop BB1082_91 Depth=1
                                        ;     Parent Loop BB1082_94 Depth=2
                                        ; =>    This Inner Loop Header: Depth=3
	s_delay_alu instid0(SALU_CYCLE_1)
	s_add_i32 s21, s21, -1
	s_sleep 1
	s_cmp_eq_u32 s21, 0
	s_cbranch_scc0 .LBB1082_95
; %bb.96:                               ;   in Loop: Header=BB1082_94 Depth=2
	;;#ASMSTART
	global_load_dwordx4 v[2:5], v[22:23] off glc	
s_waitcnt vmcnt(0)
	;;#ASMEND
	v_and_b32_e32 v5, 0xff, v4
	s_cmp_lt_u32 s20, 32
	s_cselect_b32 s21, -1, 0
	s_delay_alu instid0(SALU_CYCLE_1) | instskip(NEXT) | instid1(VALU_DEP_1)
	s_cmp_lg_u32 s21, 0
	v_cmp_ne_u16_e32 vcc_lo, 0, v5
	s_addc_u32 s20, s20, 0
	s_or_b32 s19, vcc_lo, s19
	s_delay_alu instid0(SALU_CYCLE_1)
	s_and_not1_b32 exec_lo, exec_lo, s19
	s_cbranch_execnz .LBB1082_94
; %bb.97:                               ;   in Loop: Header=BB1082_91 Depth=1
	s_or_b32 exec_lo, exec_lo, s19
	v_and_b32_e32 v3, 0xffff, v3
	s_branch .LBB1082_90
.LBB1082_98:                            ;   in Loop: Header=BB1082_91 Depth=1
                                        ; implicit-def: $vgpr3
                                        ; implicit-def: $vgpr2
                                        ; implicit-def: $vgpr4
	s_cbranch_execz .LBB1082_91
; %bb.99:
	s_and_saveexec_b32 s14, s13
	s_cbranch_execz .LBB1082_101
; %bb.100:
	v_cmp_eq_u32_e32 vcc_lo, 0, v1
	s_mov_b32 s21, 0
	s_add_i32 s20, s15, 32
	v_add_nc_u32_e64 v22, 0x800, 0
	s_lshl_b64 s[20:21], s[20:21], 4
	v_dual_cndmask_b32 v2, 0, v34 :: v_dual_mov_b32 v5, 0
	s_add_u32 s20, s24, s20
	s_addc_u32 s21, s25, s21
	v_mov_b32_e32 v4, 2
	s_delay_alu instid0(VALU_DEP_2) | instskip(SKIP_1) | instid1(VALU_DEP_2)
	v_add_nc_u16 v3, v2, s18
	v_dual_mov_b32 v23, s18 :: v_dual_add_nc_u32 v2, v36, v1
	v_and_b32_e32 v20, 0xff00, v3
	v_and_b32_e32 v3, 0xff, v3
	s_delay_alu instid0(VALU_DEP_1)
	v_or_b32_e32 v3, v20, v3
	v_dual_mov_b32 v20, s20 :: v_dual_mov_b32 v21, s21
	;;#ASMSTART
	global_store_dwordx4 v[20:21], v[2:5] off	
s_waitcnt vmcnt(0)
	;;#ASMEND
	ds_store_2addr_b32 v22, v1, v36 offset1:2
	ds_store_b16 v5, v23 offset:2052
	ds_store_b16 v5, v34 offset:2060
.LBB1082_101:
	s_or_b32 exec_lo, exec_lo, s14
	v_cmp_eq_u32_e32 vcc_lo, 0, v0
	s_and_b32 exec_lo, exec_lo, vcc_lo
	s_cbranch_execz .LBB1082_103
; %bb.102:
	v_mov_b32_e32 v1, 0
	ds_store_b32 v1, v36 offset:2120
	ds_store_b16 v1, v34 offset:2124
.LBB1082_103:
	s_or_b32 exec_lo, exec_lo, s17
	s_waitcnt lgkmcnt(1)
	v_cndmask_b32_e64 v4, v26, v25, s13
	s_waitcnt lgkmcnt(0)
	s_barrier
	buffer_gl0_inv
	v_cndmask_b32_e64 v5, v27, v24, s13
	v_cmp_eq_u32_e32 vcc_lo, 0, v4
	v_mov_b32_e32 v3, 0
	v_cmp_eq_u32_e64 s13, 0, v83
	ds_load_b64 v[1:2], v3 offset:2120
	s_waitcnt lgkmcnt(0)
	s_barrier
	buffer_gl0_inv
	v_cndmask_b32_e32 v20, 0, v2, vcc_lo
	v_cmp_eq_u32_e32 vcc_lo, 0, v0
	s_delay_alu instid0(VALU_DEP_2) | instskip(NEXT) | instid1(VALU_DEP_1)
	v_add_nc_u16 v5, v20, v5
	v_cndmask_b32_e32 v20, v5, v2, vcc_lo
	s_delay_alu instid0(VALU_DEP_1) | instskip(NEXT) | instid1(VALU_DEP_1)
	v_cndmask_b32_e64 v2, 0, v20, s13
	v_add_nc_u16 v21, v2, v80
	s_delay_alu instid0(VALU_DEP_1) | instskip(SKIP_1) | instid1(VALU_DEP_2)
	v_cndmask_b32_e64 v2, 0, v21, s12
	v_and_b32_e32 v43, 0xffff, v21
	v_add_nc_u16 v22, v2, v79
	s_delay_alu instid0(VALU_DEP_1) | instskip(SKIP_1) | instid1(VALU_DEP_2)
	v_cndmask_b32_e64 v2, 0, v22, s11
	v_and_b32_e32 v45, 0xffff, v22
	;; [unrolled: 4-line block ×3, first 2 shown]
	v_add_nc_u16 v25, v2, v77
	s_delay_alu instid0(VALU_DEP_1) | instskip(NEXT) | instid1(VALU_DEP_1)
	v_cndmask_b32_e64 v2, 0, v25, s9
	v_add_nc_u16 v27, v2, v76
	s_delay_alu instid0(VALU_DEP_1) | instskip(NEXT) | instid1(VALU_DEP_1)
	v_cndmask_b32_e64 v2, 0, v27, s8
	v_add_nc_u16 v31, v2, v75
	v_cndmask_b32_e64 v2, v4, 0, vcc_lo
	s_delay_alu instid0(VALU_DEP_2) | instskip(NEXT) | instid1(VALU_DEP_2)
	v_cndmask_b32_e64 v4, 0, v31, s7
	v_add_nc_u32_e32 v48, v1, v2
	s_delay_alu instid0(VALU_DEP_2) | instskip(NEXT) | instid1(VALU_DEP_2)
	v_add_nc_u16 v1, v4, v73
	v_add_nc_u32_e32 v42, v48, v83
	s_delay_alu instid0(VALU_DEP_2) | instskip(NEXT) | instid1(VALU_DEP_2)
	v_cndmask_b32_e64 v2, 0, v1, s6
	v_add_nc_u32_e32 v44, v42, v66
	v_and_b32_e32 v47, 0xffff, v1
	s_delay_alu instid0(VALU_DEP_3) | instskip(NEXT) | instid1(VALU_DEP_3)
	v_add_nc_u16 v33, v2, v71
	v_add_nc_u32_e32 v40, v44, v65
	s_delay_alu instid0(VALU_DEP_2) | instskip(NEXT) | instid1(VALU_DEP_2)
	v_cndmask_b32_e64 v2, 0, v33, s5
	v_add_nc_u32_e32 v28, v40, v64
	v_and_b32_e32 v51, 0xffff, v33
	s_delay_alu instid0(VALU_DEP_3) | instskip(NEXT) | instid1(VALU_DEP_3)
	v_add_nc_u16 v35, v2, v74
	v_add_nc_u32_e32 v24, v28, v63
	s_delay_alu instid0(VALU_DEP_2) | instskip(NEXT) | instid1(VALU_DEP_2)
	v_cndmask_b32_e64 v2, 0, v35, s4
	v_add_nc_u32_e32 v26, v24, v62
	v_and_b32_e32 v39, 0xffff, v35
	s_delay_alu instid0(VALU_DEP_3) | instskip(SKIP_4) | instid1(VALU_DEP_3)
	v_add_nc_u16 v37, v2, v72
	ds_load_b128 v[2:5], v3 offset:2048
	v_add_nc_u32_e32 v46, v26, v61
	v_cndmask_b32_e64 v29, 0, v37, s3
	v_and_b32_e32 v37, 0xffff, v37
	v_add_nc_u32_e32 v50, v46, v59
	s_delay_alu instid0(VALU_DEP_3) | instskip(NEXT) | instid1(VALU_DEP_2)
	v_add_nc_u16 v82, v29, v70
	v_add_nc_u32_e32 v38, v50, v58
	s_delay_alu instid0(VALU_DEP_2) | instskip(NEXT) | instid1(VALU_DEP_2)
	v_cndmask_b32_e64 v29, 0, v82, s2
	v_add_nc_u32_e32 v36, v38, v57
	s_delay_alu instid0(VALU_DEP_2) | instskip(SKIP_2) | instid1(VALU_DEP_3)
	v_add_nc_u16 v88, v29, v69
	s_waitcnt lgkmcnt(0)
	v_cmp_eq_u32_e32 vcc_lo, 0, v2
	v_add_nc_u32_e32 v30, v36, v56
	v_and_b32_e32 v29, 0xffff, v25
	v_and_b32_e32 v25, 0xffff, v27
	v_and_b32_e32 v27, 0xffff, v31
	v_cndmask_b32_e32 v5, 0, v5, vcc_lo
	v_and_b32_e32 v49, 0xffff, v20
	v_cndmask_b32_e64 v20, 0, v88, s1
	v_add_nc_u32_e32 v34, v30, v55
	v_and_b32_e32 v31, 0xffff, v82
	v_and_b32_e32 v35, 0xffff, v88
	v_add_nc_u32_e32 v82, v5, v3
	v_add_nc_u16 v20, v20, v68
	v_add_nc_u32_e32 v32, v34, v54
	s_delay_alu instid0(VALU_DEP_2) | instskip(NEXT) | instid1(VALU_DEP_2)
	v_cndmask_b32_e64 v21, 0, v20, s0
	v_add_nc_u32_e32 v22, v32, v53
	v_and_b32_e32 v33, 0xffff, v20
	s_delay_alu instid0(VALU_DEP_3) | instskip(NEXT) | instid1(VALU_DEP_1)
	v_add_nc_u16 v1, v21, v67
	v_and_b32_e32 v23, 0xffff, v1
	s_branch .LBB1082_116
.LBB1082_104:
                                        ; implicit-def: $vgpr2
                                        ; implicit-def: $vgpr82
                                        ; implicit-def: $vgpr48_vgpr49
                                        ; implicit-def: $vgpr42_vgpr43
                                        ; implicit-def: $vgpr44_vgpr45
                                        ; implicit-def: $vgpr40_vgpr41
                                        ; implicit-def: $vgpr28_vgpr29
                                        ; implicit-def: $vgpr24_vgpr25
                                        ; implicit-def: $vgpr26_vgpr27
                                        ; implicit-def: $vgpr46_vgpr47
                                        ; implicit-def: $vgpr50_vgpr51
                                        ; implicit-def: $vgpr38_vgpr39
                                        ; implicit-def: $vgpr36_vgpr37
                                        ; implicit-def: $vgpr30_vgpr31
                                        ; implicit-def: $vgpr34_vgpr35
                                        ; implicit-def: $vgpr32_vgpr33
                                        ; implicit-def: $vgpr22_vgpr23
	s_cbranch_execz .LBB1082_116
; %bb.105:
	s_and_b32 s0, s16, exec_lo
	v_mov_b32_e32 v1, v80
	s_cselect_b32 s1, 0, s35
	s_cselect_b32 s0, 0, s34
	s_delay_alu instid0(SALU_CYCLE_1)
	s_cmp_eq_u64 s[0:1], 0
	s_cbranch_scc1 .LBB1082_107
; %bb.106:
	v_mov_b32_e32 v1, 0
	global_load_u16 v1, v1, s[0:1]
.LBB1082_107:
	v_cmp_eq_u32_e64 s11, 0, v66
	v_cmp_eq_u32_e64 s10, 0, v65
	;; [unrolled: 1-line block ×5, first 2 shown]
	v_cndmask_b32_e64 v2, 0, v80, s11
	v_cmp_eq_u32_e64 s7, 0, v61
	v_cmp_eq_u32_e64 s5, 0, v59
	;; [unrolled: 1-line block ×4, first 2 shown]
	v_add_nc_u16 v2, v2, v79
	v_cmp_eq_u32_e64 s2, 0, v56
	v_cmp_eq_u32_e64 s1, 0, v55
	v_add3_u32 v3, v87, v62, v61
	v_cmp_eq_u32_e64 s0, 0, v54
	v_cndmask_b32_e64 v2, 0, v2, s10
	v_cmp_eq_u32_e32 vcc_lo, 0, v53
	v_cmp_eq_u32_e64 s12, 0, v60
	v_add3_u32 v3, v3, v59, v58
	v_and_b32_e32 v20, 15, v84
	v_add_nc_u16 v2, v2, v78
	s_delay_alu instid0(VALU_DEP_3) | instskip(NEXT) | instid1(VALU_DEP_2)
	v_add3_u32 v3, v3, v57, v56
	v_cndmask_b32_e64 v2, 0, v2, s9
	s_delay_alu instid0(VALU_DEP_2) | instskip(NEXT) | instid1(VALU_DEP_2)
	v_add3_u32 v3, v3, v55, v54
	v_add_nc_u16 v2, v2, v77
	s_delay_alu instid0(VALU_DEP_2) | instskip(NEXT) | instid1(VALU_DEP_2)
	v_add3_u32 v3, v3, v53, v60
	v_cndmask_b32_e64 v2, 0, v2, s8
	s_delay_alu instid0(VALU_DEP_2) | instskip(NEXT) | instid1(VALU_DEP_2)
	v_mov_b32_dpp v21, v3 row_shr:1 row_mask:0xf bank_mask:0xf
	v_add_nc_u16 v2, v2, v76
	s_delay_alu instid0(VALU_DEP_1) | instskip(NEXT) | instid1(VALU_DEP_1)
	v_cndmask_b32_e64 v2, 0, v2, s6
	v_add_nc_u16 v2, v2, v75
	s_delay_alu instid0(VALU_DEP_1) | instskip(NEXT) | instid1(VALU_DEP_1)
	v_cndmask_b32_e64 v2, 0, v2, s7
	;; [unrolled: 3-line block ×8, first 2 shown]
	v_add_nc_u16 v2, v2, v68
	s_delay_alu instid0(VALU_DEP_1) | instskip(NEXT) | instid1(VALU_DEP_1)
	v_cndmask_b32_e32 v2, 0, v2, vcc_lo
	v_add_nc_u16 v2, v2, v67
	s_delay_alu instid0(VALU_DEP_1) | instskip(SKIP_1) | instid1(VALU_DEP_2)
	v_cndmask_b32_e64 v2, 0, v2, s12
	v_cmp_eq_u32_e64 s12, 0, v3
	v_add_nc_u16 v2, v2, v81
	s_delay_alu instid0(VALU_DEP_1) | instskip(NEXT) | instid1(VALU_DEP_1)
	v_and_b32_e32 v4, 0xffff, v2
	v_mov_b32_dpp v5, v4 row_shr:1 row_mask:0xf bank_mask:0xf
	s_delay_alu instid0(VALU_DEP_1) | instskip(SKIP_1) | instid1(VALU_DEP_2)
	v_cndmask_b32_e64 v5, 0, v5, s12
	v_cmp_eq_u32_e64 s12, 0, v20
	v_add_nc_u16 v5, v5, v2
	s_delay_alu instid0(VALU_DEP_2) | instskip(NEXT) | instid1(VALU_DEP_2)
	v_cndmask_b32_e64 v21, v21, 0, s12
	v_and_b32_e32 v22, 0xffff, v5
	s_delay_alu instid0(VALU_DEP_2) | instskip(SKIP_1) | instid1(VALU_DEP_3)
	v_add_nc_u32_e32 v3, v21, v3
	v_cndmask_b32_e64 v2, v5, v2, s12
	v_cndmask_b32_e64 v4, v22, v4, s12
	s_delay_alu instid0(VALU_DEP_3) | instskip(NEXT) | instid1(VALU_DEP_2)
	v_cmp_eq_u32_e64 s12, 0, v3
	v_mov_b32_dpp v21, v4 row_shr:2 row_mask:0xf bank_mask:0xf
	s_delay_alu instid0(VALU_DEP_1) | instskip(SKIP_2) | instid1(VALU_DEP_3)
	v_cndmask_b32_e64 v5, 0, v21, s12
	v_mov_b32_dpp v21, v3 row_shr:2 row_mask:0xf bank_mask:0xf
	v_cmp_lt_u32_e64 s12, 1, v20
	v_add_nc_u16 v5, v5, v2
	s_delay_alu instid0(VALU_DEP_1) | instskip(NEXT) | instid1(VALU_DEP_3)
	v_and_b32_e32 v22, 0xffff, v5
	v_cndmask_b32_e64 v2, v2, v5, s12
	v_cndmask_b32_e64 v5, 0, v21, s12
	s_delay_alu instid0(VALU_DEP_3) | instskip(NEXT) | instid1(VALU_DEP_2)
	v_cndmask_b32_e64 v4, v4, v22, s12
	v_add_nc_u32_e32 v3, v3, v5
	s_delay_alu instid0(VALU_DEP_2) | instskip(NEXT) | instid1(VALU_DEP_2)
	v_mov_b32_dpp v5, v4 row_shr:4 row_mask:0xf bank_mask:0xf
	v_cmp_eq_u32_e64 s12, 0, v3
	v_mov_b32_dpp v21, v3 row_shr:4 row_mask:0xf bank_mask:0xf
	s_delay_alu instid0(VALU_DEP_2) | instskip(SKIP_1) | instid1(VALU_DEP_2)
	v_cndmask_b32_e64 v5, 0, v5, s12
	v_cmp_lt_u32_e64 s12, 3, v20
	v_add_nc_u16 v5, v5, v2
	s_delay_alu instid0(VALU_DEP_1) | instskip(NEXT) | instid1(VALU_DEP_3)
	v_and_b32_e32 v22, 0xffff, v5
	v_cndmask_b32_e64 v2, v2, v5, s12
	v_cndmask_b32_e64 v5, 0, v21, s12
	s_delay_alu instid0(VALU_DEP_3) | instskip(NEXT) | instid1(VALU_DEP_2)
	v_cndmask_b32_e64 v4, v4, v22, s12
	v_add_nc_u32_e32 v3, v5, v3
	s_delay_alu instid0(VALU_DEP_2) | instskip(NEXT) | instid1(VALU_DEP_2)
	v_mov_b32_dpp v5, v4 row_shr:8 row_mask:0xf bank_mask:0xf
	v_cmp_eq_u32_e64 s12, 0, v3
	v_mov_b32_dpp v21, v3 row_shr:8 row_mask:0xf bank_mask:0xf
	s_delay_alu instid0(VALU_DEP_2) | instskip(SKIP_1) | instid1(VALU_DEP_2)
	v_cndmask_b32_e64 v5, 0, v5, s12
	v_cmp_lt_u32_e64 s12, 7, v20
	v_add_nc_u16 v5, v5, v2
	s_delay_alu instid0(VALU_DEP_1) | instskip(SKIP_3) | instid1(VALU_DEP_3)
	v_cndmask_b32_e64 v20, v2, v5, s12
	v_cndmask_b32_e64 v2, 0, v21, s12
	v_and_b32_e32 v5, 0xffff, v5
	v_bfe_i32 v21, v84, 4, 1
	v_add_nc_u32_e32 v2, v2, v3
	s_delay_alu instid0(VALU_DEP_3)
	v_cndmask_b32_e64 v3, v4, v5, s12
	v_and_b32_e32 v5, 16, v84
	ds_swizzle_b32 v4, v2 offset:swizzle(BROADCAST,32,15)
	ds_swizzle_b32 v3, v3 offset:swizzle(BROADCAST,32,15)
	v_cmp_ne_u32_e64 s12, 0, v5
	v_cmp_eq_u32_e64 s13, 0, v2
	s_delay_alu instid0(VALU_DEP_1)
	s_and_b32 s12, s12, s13
	s_mov_b32 s13, exec_lo
	s_waitcnt lgkmcnt(1)
	v_and_b32_e32 v4, v21, v4
	s_waitcnt lgkmcnt(0)
	v_cndmask_b32_e64 v3, 0, v3, s12
	s_delay_alu instid0(VALU_DEP_2) | instskip(NEXT) | instid1(VALU_DEP_2)
	v_add_nc_u32_e32 v2, v4, v2
	v_add_nc_u16 v4, v3, v20
	v_cmpx_eq_u32_e64 v86, v0
	s_cbranch_execz .LBB1082_109
; %bb.108:
	v_lshlrev_b32_e32 v3, 3, v85
	ds_store_b32 v3, v2 offset:2064
	ds_store_b16 v3, v4 offset:2068
.LBB1082_109:
	s_or_b32 exec_lo, exec_lo, s13
	s_delay_alu instid0(SALU_CYCLE_1)
	s_mov_b32 s14, exec_lo
	s_waitcnt vmcnt(0) lgkmcnt(0)
	s_barrier
	buffer_gl0_inv
	v_cmpx_gt_u32_e32 8, v0
	s_cbranch_execz .LBB1082_111
; %bb.110:
	v_lshlrev_b32_e32 v3, 3, v0
	v_and_b32_e32 v24, 7, v84
	ds_load_b64 v[20:21], v3 offset:2064
	v_cmp_lt_u32_e64 s13, 3, v24
	s_waitcnt lgkmcnt(0)
	v_mov_b32_dpp v5, v21 row_shr:1 row_mask:0xf bank_mask:0xf
	v_cmp_eq_u32_e64 s12, 0, v20
	v_and_b32_e32 v22, 0xffff0000, v21
	v_mov_b32_dpp v25, v20 row_shr:1 row_mask:0xf bank_mask:0xf
	s_delay_alu instid0(VALU_DEP_3) | instskip(SKIP_1) | instid1(VALU_DEP_2)
	v_cndmask_b32_e64 v5, 0, v5, s12
	v_cmp_eq_u32_e64 s12, 0, v24
	v_add_nc_u16 v5, v5, v21
	s_delay_alu instid0(VALU_DEP_2) | instskip(NEXT) | instid1(VALU_DEP_2)
	v_cndmask_b32_e64 v25, v25, 0, s12
	v_and_b32_e32 v23, 0xffff, v5
	s_delay_alu instid0(VALU_DEP_2) | instskip(SKIP_1) | instid1(VALU_DEP_3)
	v_add_nc_u32_e32 v20, v25, v20
	v_cndmask_b32_e64 v5, v5, v21, s12
	v_or_b32_e32 v23, v22, v23
	s_delay_alu instid0(VALU_DEP_1) | instskip(NEXT) | instid1(VALU_DEP_4)
	v_cndmask_b32_e64 v23, v23, v21, s12
	v_cmp_eq_u32_e64 s12, 0, v20
	s_delay_alu instid0(VALU_DEP_2) | instskip(NEXT) | instid1(VALU_DEP_1)
	v_mov_b32_dpp v25, v23 row_shr:2 row_mask:0xf bank_mask:0xf
	v_cndmask_b32_e64 v21, 0, v25, s12
	v_mov_b32_dpp v25, v20 row_shr:2 row_mask:0xf bank_mask:0xf
	v_cmp_lt_u32_e64 s12, 1, v24
	s_delay_alu instid0(VALU_DEP_3) | instskip(NEXT) | instid1(VALU_DEP_1)
	v_add_nc_u16 v21, v21, v5
	v_and_b32_e32 v26, 0xffff, v21
	s_delay_alu instid0(VALU_DEP_3) | instskip(SKIP_1) | instid1(VALU_DEP_3)
	v_cndmask_b32_e64 v5, v5, v21, s12
	v_cndmask_b32_e64 v21, 0, v25, s12
	v_or_b32_e32 v22, v22, v26
	s_delay_alu instid0(VALU_DEP_2) | instskip(NEXT) | instid1(VALU_DEP_2)
	v_add_nc_u32_e32 v20, v21, v20
	v_cndmask_b32_e64 v21, v23, v22, s12
	s_delay_alu instid0(VALU_DEP_2) | instskip(SKIP_1) | instid1(VALU_DEP_3)
	v_cmp_eq_u32_e64 s12, 0, v20
	v_mov_b32_dpp v22, v20 row_shr:4 row_mask:0xf bank_mask:0xf
	v_mov_b32_dpp v21, v21 row_shr:4 row_mask:0xf bank_mask:0xf
	s_delay_alu instid0(VALU_DEP_3) | instskip(NEXT) | instid1(VALU_DEP_2)
	s_and_b32 s12, s13, s12
	v_cndmask_b32_e64 v22, 0, v22, s13
	s_delay_alu instid0(VALU_DEP_2) | instskip(NEXT) | instid1(VALU_DEP_2)
	v_cndmask_b32_e64 v21, 0, v21, s12
	v_add_nc_u32_e32 v20, v22, v20
	s_delay_alu instid0(VALU_DEP_2)
	v_add_nc_u16 v5, v5, v21
	ds_store_b32 v3, v20 offset:2064
	ds_store_b16 v3, v5 offset:2068
.LBB1082_111:
	s_or_b32 exec_lo, exec_lo, s14
	v_dual_mov_b32 v3, 0 :: v_dual_mov_b32 v20, v1
	v_mov_b32_e32 v5, 0
	s_mov_b32 s13, exec_lo
	s_waitcnt lgkmcnt(0)
	s_barrier
	buffer_gl0_inv
	v_cmpx_lt_u32_e32 31, v0
	s_cbranch_execz .LBB1082_113
; %bb.112:
	v_lshlrev_b32_e32 v20, 3, v85
	ds_load_b32 v5, v20 offset:2056
	ds_load_u16 v20, v20 offset:2060
	s_waitcnt lgkmcnt(1)
	v_cmp_eq_u32_e64 s12, 0, v5
	s_delay_alu instid0(VALU_DEP_1) | instskip(SKIP_1) | instid1(VALU_DEP_1)
	v_cndmask_b32_e64 v21, 0, v1, s12
	s_waitcnt lgkmcnt(0)
	v_add_nc_u16 v20, v21, v20
.LBB1082_113:
	s_or_b32 exec_lo, exec_lo, s13
	v_add_nc_u32_e32 v21, -1, v84
	v_cmp_eq_u32_e64 s12, 0, v2
	v_add_nc_u32_e32 v2, v5, v2
	v_cmp_eq_u32_e64 s13, 0, v83
	s_delay_alu instid0(VALU_DEP_3) | instskip(SKIP_1) | instid1(VALU_DEP_2)
	v_cndmask_b32_e64 v22, 0, v20, s12
	v_cmp_gt_i32_e64 s12, 0, v21
	v_add_nc_u16 v4, v22, v4
	s_delay_alu instid0(VALU_DEP_2) | instskip(SKIP_1) | instid1(VALU_DEP_3)
	v_cndmask_b32_e64 v21, v21, v84, s12
	v_cmp_eq_u32_e64 s12, 0, v84
	v_and_b32_e32 v4, 0xffff, v4
	s_delay_alu instid0(VALU_DEP_3)
	v_lshlrev_b32_e32 v21, 2, v21
	ds_bpermute_b32 v2, v21, v2
	ds_bpermute_b32 v4, v21, v4
	s_waitcnt lgkmcnt(1)
	v_cndmask_b32_e64 v2, v2, v5, s12
	s_waitcnt lgkmcnt(0)
	v_cndmask_b32_e64 v4, v4, v20, s12
	v_cmp_eq_u32_e64 s12, 0, v0
	s_delay_alu instid0(VALU_DEP_1) | instskip(SKIP_1) | instid1(VALU_DEP_2)
	v_cndmask_b32_e64 v4, v4, v1, s12
	v_cndmask_b32_e64 v48, v2, 0, s12
	;; [unrolled: 1-line block ×3, first 2 shown]
	s_delay_alu instid0(VALU_DEP_2) | instskip(SKIP_1) | instid1(VALU_DEP_3)
	v_add_nc_u32_e32 v42, v48, v83
	v_and_b32_e32 v49, 0xffff, v4
	v_add_nc_u16 v5, v5, v80
	s_delay_alu instid0(VALU_DEP_3) | instskip(NEXT) | instid1(VALU_DEP_2)
	v_add_nc_u32_e32 v44, v42, v66
	v_cndmask_b32_e64 v20, 0, v5, s11
	s_delay_alu instid0(VALU_DEP_2) | instskip(SKIP_1) | instid1(VALU_DEP_3)
	v_add_nc_u32_e32 v40, v44, v65
	v_and_b32_e32 v43, 0xffff, v5
	v_add_nc_u16 v20, v20, v79
	s_delay_alu instid0(VALU_DEP_3) | instskip(NEXT) | instid1(VALU_DEP_2)
	v_add_nc_u32_e32 v28, v40, v64
	v_cndmask_b32_e64 v21, 0, v20, s10
	v_and_b32_e32 v45, 0xffff, v20
	s_delay_alu instid0(VALU_DEP_2) | instskip(NEXT) | instid1(VALU_DEP_1)
	v_add_nc_u16 v21, v21, v78
	v_cndmask_b32_e64 v22, 0, v21, s9
	v_and_b32_e32 v41, 0xffff, v21
	s_delay_alu instid0(VALU_DEP_2) | instskip(NEXT) | instid1(VALU_DEP_1)
	v_add_nc_u16 v22, v22, v77
	;; [unrolled: 4-line block ×3, first 2 shown]
	v_cndmask_b32_e64 v24, 0, v23, s6
	s_delay_alu instid0(VALU_DEP_1) | instskip(NEXT) | instid1(VALU_DEP_1)
	v_add_nc_u16 v27, v24, v75
	v_cndmask_b32_e64 v24, 0, v27, s7
	v_and_b32_e32 v27, 0xffff, v27
	s_delay_alu instid0(VALU_DEP_2) | instskip(SKIP_1) | instid1(VALU_DEP_2)
	v_add_nc_u16 v31, v24, v73
	v_add_nc_u32_e32 v24, v28, v63
	v_cndmask_b32_e64 v2, 0, v31, s5
	s_delay_alu instid0(VALU_DEP_2) | instskip(SKIP_1) | instid1(VALU_DEP_3)
	v_add_nc_u32_e32 v26, v24, v62
	v_and_b32_e32 v47, 0xffff, v31
	v_add_nc_u16 v33, v2, v71
	s_delay_alu instid0(VALU_DEP_3) | instskip(NEXT) | instid1(VALU_DEP_2)
	v_add_nc_u32_e32 v46, v26, v61
	v_cndmask_b32_e64 v2, 0, v33, s4
	s_delay_alu instid0(VALU_DEP_2) | instskip(SKIP_1) | instid1(VALU_DEP_3)
	v_add_nc_u32_e32 v50, v46, v59
	v_and_b32_e32 v51, 0xffff, v33
	v_add_nc_u16 v35, v2, v74
	s_delay_alu instid0(VALU_DEP_3) | instskip(NEXT) | instid1(VALU_DEP_2)
	v_add_nc_u32_e32 v38, v50, v58
	v_cndmask_b32_e64 v2, 0, v35, s3
	s_delay_alu instid0(VALU_DEP_2) | instskip(SKIP_1) | instid1(VALU_DEP_3)
	v_add_nc_u32_e32 v36, v38, v57
	v_and_b32_e32 v39, 0xffff, v35
	v_add_nc_u16 v37, v2, v72
	ds_load_b32 v2, v3 offset:2120
	ds_load_u16 v3, v3 offset:2124
	v_add_nc_u32_e32 v30, v36, v56
	v_cndmask_b32_e64 v25, 0, v37, s2
	v_and_b32_e32 v37, 0xffff, v37
	s_delay_alu instid0(VALU_DEP_3) | instskip(NEXT) | instid1(VALU_DEP_3)
	v_add_nc_u32_e32 v34, v30, v55
	v_add_nc_u16 v70, v25, v70
	s_delay_alu instid0(VALU_DEP_2) | instskip(NEXT) | instid1(VALU_DEP_2)
	v_add_nc_u32_e32 v32, v34, v54
	v_cndmask_b32_e64 v25, 0, v70, s1
	v_and_b32_e32 v31, 0xffff, v70
	s_delay_alu instid0(VALU_DEP_3) | instskip(NEXT) | instid1(VALU_DEP_3)
	v_add_nc_u32_e32 v22, v32, v53
	v_add_nc_u16 v69, v25, v69
	s_waitcnt lgkmcnt(1)
	v_cmp_eq_u32_e64 s1, 0, v2
	v_and_b32_e32 v25, 0xffff, v23
	s_delay_alu instid0(VALU_DEP_3) | instskip(NEXT) | instid1(VALU_DEP_3)
	v_cndmask_b32_e64 v4, 0, v69, s0
	v_cndmask_b32_e64 v1, 0, v1, s1
	v_and_b32_e32 v35, 0xffff, v69
	s_delay_alu instid0(VALU_DEP_3) | instskip(SKIP_1) | instid1(VALU_DEP_3)
	v_add_nc_u16 v4, v4, v68
	s_waitcnt lgkmcnt(0)
	v_add_nc_u16 v82, v1, v3
	s_delay_alu instid0(VALU_DEP_2) | instskip(SKIP_1) | instid1(VALU_DEP_2)
	v_cndmask_b32_e32 v5, 0, v4, vcc_lo
	v_and_b32_e32 v33, 0xffff, v4
	v_add_nc_u16 v5, v5, v67
	s_delay_alu instid0(VALU_DEP_1)
	v_and_b32_e32 v23, 0xffff, v5
	s_and_saveexec_b32 s0, s12
	s_cbranch_execz .LBB1082_115
; %bb.114:
	s_add_u32 s2, s24, 0x200
	v_dual_mov_b32 v4, 2 :: v_dual_and_b32 v1, 0xff00, v82
	s_addc_u32 s3, s25, 0
	v_and_b32_e32 v3, 0xff, v82
	v_dual_mov_b32 v21, s3 :: v_dual_mov_b32 v20, s2
	v_mov_b32_e32 v5, 0
	s_delay_alu instid0(VALU_DEP_3)
	v_or_b32_e32 v3, v1, v3
	;;#ASMSTART
	global_store_dwordx4 v[20:21], v[2:5] off	
s_waitcnt vmcnt(0)
	;;#ASMEND
.LBB1082_115:
	s_or_b32 exec_lo, exec_lo, s0
	v_mov_b32_e32 v4, 0
.LBB1082_116:
	v_mov_b32_e32 v20, 0
	s_and_b32 s0, s16, exec_lo
	v_mov_b32_e32 v21, 0
	s_cselect_b32 s1, 0, s39
	s_cselect_b32 s0, 0, s38
	s_delay_alu instid0(SALU_CYCLE_1)
	s_cmp_eq_u64 s[0:1], 0
	s_barrier
	buffer_gl0_inv
	s_cbranch_scc1 .LBB1082_118
; %bb.117:
	v_mov_b32_e32 v1, 0
	global_load_b64 v[20:21], v1, s[0:1]
.LBB1082_118:
	v_cmp_gt_u32_e32 vcc_lo, 0x100, v2
	s_cbranch_vccnz .LBB1082_167
; %bb.119:
	v_cmp_eq_u32_e32 vcc_lo, 0, v66
	v_cmp_eq_u32_e64 s0, 0, v54
	v_cmp_eq_u32_e64 s1, 0, v53
	v_cmp_ne_u32_e64 s11, 0, v83
	v_cmp_ne_u32_e64 s2, 0, v55
	v_cndmask_b32_e64 v1, 1, 2, vcc_lo
	v_cmp_eq_u32_e32 vcc_lo, 0, v83
	v_cndmask_b32_e64 v67, 1, 2, s1
	v_cmp_ne_u32_e64 s1, 0, v54
	v_cmp_ne_u32_e64 s3, 0, v56
	;; [unrolled: 1-line block ×3, first 2 shown]
	v_cndmask_b32_e64 v3, 1, 2, vcc_lo
	v_cmp_eq_u32_e32 vcc_lo, 0, v65
	v_cmp_ne_u32_e64 s5, 0, v58
	v_cmp_ne_u32_e64 s6, 0, v59
	;; [unrolled: 1-line block ×3, first 2 shown]
	v_and_b32_e32 v1, v1, v3
	v_cndmask_b32_e64 v5, 1, 2, vcc_lo
	v_cmp_eq_u32_e32 vcc_lo, 0, v64
	v_cmp_ne_u32_e64 s8, 0, v62
	v_cmp_ne_u32_e64 s9, 0, v63
	;; [unrolled: 1-line block ×3, first 2 shown]
	v_and_b32_e32 v1, v1, v5
	v_cndmask_b32_e64 v3, 1, 2, vcc_lo
	v_cmp_eq_u32_e32 vcc_lo, 0, v63
	v_cmp_ne_u32_e64 s12, 0, v65
	v_cmp_ne_u32_e64 s13, 0, v66
	s_mov_b32 s16, 0
	v_and_b32_e32 v1, v1, v3
	v_cndmask_b32_e64 v5, 1, 2, vcc_lo
	v_cmp_eq_u32_e32 vcc_lo, 0, v62
	s_mov_b32 s15, exec_lo
	s_delay_alu instid0(VALU_DEP_2) | instskip(SKIP_2) | instid1(VALU_DEP_2)
	v_and_b32_e32 v1, v1, v5
	v_cndmask_b32_e64 v3, 1, 2, vcc_lo
	v_cmp_eq_u32_e32 vcc_lo, 0, v61
	v_and_b32_e32 v1, v1, v3
	v_cndmask_b32_e64 v5, 1, 2, vcc_lo
	v_cmp_eq_u32_e32 vcc_lo, 0, v59
	s_delay_alu instid0(VALU_DEP_2) | instskip(SKIP_2) | instid1(VALU_DEP_2)
	v_and_b32_e32 v1, v1, v5
	v_cndmask_b32_e64 v3, 1, 2, vcc_lo
	v_cmp_eq_u32_e32 vcc_lo, 0, v58
	v_and_b32_e32 v1, v1, v3
	v_cndmask_b32_e64 v5, 1, 2, vcc_lo
	v_cmp_eq_u32_e32 vcc_lo, 0, v57
	;; [unrolled: 7-line block ×3, first 2 shown]
	s_delay_alu instid0(VALU_DEP_2) | instskip(SKIP_4) | instid1(VALU_DEP_4)
	v_and_b32_e32 v1, v1, v5
	v_cndmask_b32_e64 v3, 1, 2, vcc_lo
	v_cndmask_b32_e64 v5, 1, 2, s0
	v_cmp_eq_u32_e64 s0, 0, v60
	v_cmp_ne_u32_e32 vcc_lo, 0, v60
	v_and_b32_e32 v1, v1, v3
	s_delay_alu instid0(VALU_DEP_3) | instskip(SKIP_1) | instid1(VALU_DEP_3)
	v_cndmask_b32_e64 v3, 1, 2, s0
	v_cmp_ne_u32_e64 s0, 0, v53
	v_and_b32_e32 v1, v1, v5
	s_delay_alu instid0(VALU_DEP_1) | instskip(NEXT) | instid1(VALU_DEP_1)
	v_and_b32_e32 v1, v1, v67
	v_and_b32_e32 v1, v1, v3
	s_delay_alu instid0(VALU_DEP_1)
	v_cmpx_gt_i16_e32 2, v1
	s_cbranch_execz .LBB1082_166
; %bb.120:
	v_cmp_ne_u16_e64 s14, 1, v1
	s_delay_alu instid0(VALU_DEP_1) | instskip(NEXT) | instid1(SALU_CYCLE_1)
	s_and_saveexec_b32 s17, s14
	s_xor_b32 s14, exec_lo, s17
	s_cbranch_execz .LBB1082_144
; %bb.121:
	s_and_saveexec_b32 s16, s11
	s_cbranch_execz .LBB1082_149
; %bb.122:
	v_sub_nc_u32_e32 v1, v48, v4
	s_delay_alu instid0(VALU_DEP_1)
	v_lshlrev_b32_e32 v1, 2, v1
	ds_store_b32 v1, v18
	s_or_b32 exec_lo, exec_lo, s16
	s_and_saveexec_b32 s11, s13
	s_cbranch_execnz .LBB1082_150
.LBB1082_123:
	s_or_b32 exec_lo, exec_lo, s11
	s_and_saveexec_b32 s11, s12
	s_cbranch_execz .LBB1082_151
.LBB1082_124:
	v_sub_nc_u32_e32 v1, v44, v4
	s_delay_alu instid0(VALU_DEP_1)
	v_lshlrev_b32_e32 v1, 2, v1
	ds_store_b32 v1, v16
	s_or_b32 exec_lo, exec_lo, s11
	s_and_saveexec_b32 s11, s10
	s_cbranch_execnz .LBB1082_152
.LBB1082_125:
	s_or_b32 exec_lo, exec_lo, s11
	s_and_saveexec_b32 s10, s9
	s_cbranch_execz .LBB1082_153
.LBB1082_126:
	v_sub_nc_u32_e32 v1, v28, v4
	s_delay_alu instid0(VALU_DEP_1)
	v_lshlrev_b32_e32 v1, 2, v1
	ds_store_b32 v1, v14
	s_or_b32 exec_lo, exec_lo, s10
	s_and_saveexec_b32 s9, s8
	s_cbranch_execnz .LBB1082_154
.LBB1082_127:
	s_or_b32 exec_lo, exec_lo, s9
	s_and_saveexec_b32 s8, s7
	s_cbranch_execz .LBB1082_155
.LBB1082_128:
	v_sub_nc_u32_e32 v1, v26, v4
	s_delay_alu instid0(VALU_DEP_1)
	v_lshlrev_b32_e32 v1, 2, v1
	ds_store_b32 v1, v12
	s_or_b32 exec_lo, exec_lo, s8
	s_and_saveexec_b32 s7, s6
	s_cbranch_execnz .LBB1082_156
.LBB1082_129:
	s_or_b32 exec_lo, exec_lo, s7
	s_and_saveexec_b32 s6, s5
	s_cbranch_execz .LBB1082_157
.LBB1082_130:
	v_sub_nc_u32_e32 v1, v50, v4
	s_delay_alu instid0(VALU_DEP_1)
	v_lshlrev_b32_e32 v1, 2, v1
	ds_store_b32 v1, v10
	s_or_b32 exec_lo, exec_lo, s6
	s_and_saveexec_b32 s5, s4
	s_cbranch_execnz .LBB1082_158
.LBB1082_131:
	s_or_b32 exec_lo, exec_lo, s5
	s_and_saveexec_b32 s4, s3
	s_cbranch_execz .LBB1082_159
.LBB1082_132:
	v_sub_nc_u32_e32 v1, v36, v4
	s_delay_alu instid0(VALU_DEP_1)
	v_lshlrev_b32_e32 v1, 2, v1
	ds_store_b32 v1, v8
	s_or_b32 exec_lo, exec_lo, s4
	s_and_saveexec_b32 s3, s2
	s_cbranch_execnz .LBB1082_160
.LBB1082_133:
	s_or_b32 exec_lo, exec_lo, s3
	s_and_saveexec_b32 s2, s1
	s_cbranch_execz .LBB1082_161
.LBB1082_134:
	v_sub_nc_u32_e32 v1, v34, v4
	s_delay_alu instid0(VALU_DEP_1)
	v_lshlrev_b32_e32 v1, 2, v1
	ds_store_b32 v1, v6
	s_or_b32 exec_lo, exec_lo, s2
	s_and_saveexec_b32 s1, s0
	s_cbranch_execnz .LBB1082_162
	s_branch .LBB1082_163
.LBB1082_135:
	s_mov_b32 s41, 0
                                        ; implicit-def: $sgpr0
                                        ; implicit-def: $vgpr60
                                        ; implicit-def: $vgpr53
                                        ; implicit-def: $vgpr54
                                        ; implicit-def: $vgpr55
                                        ; implicit-def: $vgpr56
                                        ; implicit-def: $vgpr57
                                        ; implicit-def: $vgpr58
                                        ; implicit-def: $vgpr59
                                        ; implicit-def: $vgpr61
                                        ; implicit-def: $vgpr62
                                        ; implicit-def: $vgpr63
                                        ; implicit-def: $vgpr64
                                        ; implicit-def: $vgpr65
                                        ; implicit-def: $vgpr66
	s_cbranch_execz .LBB1082_69
.LBB1082_136:
	v_cmp_ne_u32_e32 vcc_lo, v7, v52
	v_lshlrev_b32_e32 v1, 2, v0
	s_mov_b32 s1, exec_lo
                                        ; implicit-def: $sgpr0
	v_cndmask_b32_e64 v60, 0, 1, vcc_lo
	v_cmp_ne_u32_e32 vcc_lo, v6, v7
	ds_store_b32 v1, v52
	s_waitcnt lgkmcnt(0)
	s_barrier
	buffer_gl0_inv
	v_cndmask_b32_e64 v53, 0, 1, vcc_lo
	v_cmp_ne_u32_e32 vcc_lo, v9, v6
	v_cndmask_b32_e64 v54, 0, 1, vcc_lo
	v_cmp_ne_u32_e32 vcc_lo, v8, v9
	;; [unrolled: 2-line block ×12, first 2 shown]
	v_cndmask_b32_e64 v66, 0, 1, vcc_lo
	v_cmpx_ne_u32_e32 0, v0
	s_xor_b32 s1, exec_lo, s1
	s_cbranch_execz .LBB1082_138
; %bb.137:
	v_add_nc_u32_e32 v1, -4, v1
	s_or_b32 s41, s41, exec_lo
	ds_load_b32 v1, v1
	s_waitcnt lgkmcnt(0)
	v_cmp_ne_u32_e32 vcc_lo, v1, v18
	s_and_b32 s0, vcc_lo, exec_lo
.LBB1082_138:
	s_or_b32 exec_lo, exec_lo, s1
	s_mov_b32 s1, 1
	s_branch .LBB1082_71
.LBB1082_139:
	s_mul_hi_u32 s0, s18, 0xfffff100
	s_mul_i32 s1, s19, 0xfffff100
	s_sub_i32 s0, s0, s18
	s_mul_i32 s2, s18, 0xfffff100
	s_add_i32 s0, s0, s1
	s_add_u32 s36, s2, s36
	s_addc_u32 s37, s0, s37
	s_and_b32 vcc_lo, exec_lo, s14
	s_cbranch_vccz .LBB1082_146
; %bb.140:
	v_add_co_u32 v1, s0, -4, s20
	s_delay_alu instid0(VALU_DEP_1)
	v_add_co_ci_u32_e64 v2, null, -1, s17, s0
	v_cmp_ne_u32_e64 s6, v7, v52
	v_cmp_ne_u32_e64 s8, v6, v7
	v_lshlrev_b32_e32 v4, 2, v0
	flat_load_b32 v5, v[1:2]
	v_mad_u32_u24 v1, v0, 15, 14
	v_mov_b32_e32 v2, 0
	v_mul_u32_u24_e32 v3, 15, v0
	s_mov_b32 s41, -1
	s_mov_b32 s10, 0
	ds_store_b32 v4, v52
	v_cmp_gt_u64_e32 vcc_lo, s[36:37], v[1:2]
	v_mad_u32_u24 v1, v0, 15, 13
	s_waitcnt vmcnt(0) lgkmcnt(0)
	s_barrier
	buffer_gl0_inv
	v_cmp_gt_u64_e64 s0, s[36:37], v[1:2]
	v_mad_u32_u24 v1, v0, 15, 12
	s_and_b32 s11, vcc_lo, s6
	v_cmp_ne_u32_e64 s6, v8, v9
	s_delay_alu instid0(VALU_DEP_2) | instskip(SKIP_4) | instid1(VALU_DEP_3)
	v_cmp_gt_u64_e64 s1, s[36:37], v[1:2]
	v_mad_u32_u24 v1, v0, 15, 11
	s_and_b32 s12, s0, s8
	v_cmp_ne_u32_e64 s0, v9, v6
	v_cmp_ne_u32_e64 s8, v11, v8
	v_cmp_gt_u64_e64 s2, s[36:37], v[1:2]
	v_mad_u32_u24 v1, v0, 15, 10
	s_delay_alu instid0(VALU_DEP_4) | instskip(SKIP_1) | instid1(VALU_DEP_2)
	s_and_b32 s13, s1, s0
	v_cmp_ne_u32_e64 s0, v10, v11
	v_cmp_gt_u64_e64 s3, s[36:37], v[1:2]
	v_mad_u32_u24 v1, v0, 15, 9
	s_and_b32 s14, s2, s6
	v_cmp_ne_u32_e64 s2, v12, v13
	v_cmp_ne_u32_e64 s6, v18, v19
	s_delay_alu instid0(VALU_DEP_3) | instskip(SKIP_3) | instid1(VALU_DEP_2)
	v_cmp_gt_u64_e64 s4, s[36:37], v[1:2]
	v_mad_u32_u24 v1, v0, 15, 8
	s_and_b32 s8, s3, s8
	v_cmp_ne_u32_e64 s3, v15, v12
	v_cmp_gt_u64_e64 s5, s[36:37], v[1:2]
	v_mad_u32_u24 v1, v0, 15, 7
	s_and_b32 s16, s4, s0
	v_cmp_ne_u32_e64 s0, v13, v10
	s_delay_alu instid0(VALU_DEP_2) | instskip(SKIP_1) | instid1(VALU_DEP_3)
	v_cmp_gt_u64_e64 s7, s[36:37], v[1:2]
	v_mad_u32_u24 v1, v0, 15, 6
	s_and_b32 s17, s5, s0
	v_cmp_ne_u32_e64 s0, v14, v15
	s_delay_alu instid0(VALU_DEP_2) | instskip(SKIP_3) | instid1(VALU_DEP_2)
	v_cmp_gt_u64_e32 vcc_lo, s[36:37], v[1:2]
	v_mad_u32_u24 v1, v0, 15, 5
	s_and_b32 s18, s7, s2
	v_cmp_ne_u32_e64 s2, v16, v17
	v_cmp_gt_u64_e64 s9, s[36:37], v[1:2]
	v_mad_u32_u24 v1, v0, 15, 4
	s_and_b32 s7, vcc_lo, s3
	v_cmp_ne_u32_e64 s3, v19, v16
	s_delay_alu instid0(VALU_DEP_2) | instskip(SKIP_3) | instid1(VALU_DEP_2)
	v_cmp_gt_u64_e64 s1, s[36:37], v[1:2]
	v_mad_u32_u24 v1, v0, 15, 3
	s_and_b32 s9, s9, s0
	v_cmp_ne_u32_e64 s0, v17, v14
	v_cmp_gt_u64_e64 s4, s[36:37], v[1:2]
	v_mad_u32_u24 v1, v0, 15, 2
	s_delay_alu instid0(VALU_DEP_3) | instskip(NEXT) | instid1(VALU_DEP_1)
	s_and_b32 s0, s1, s0
	v_cmp_gt_u64_e32 vcc_lo, s[36:37], v[1:2]
	v_mad_u32_u24 v1, v0, 15, 1
	s_delay_alu instid0(VALU_DEP_4) | instskip(SKIP_1) | instid1(VALU_DEP_1)
	s_and_b32 s2, s4, s2
	s_mov_b32 s4, exec_lo
	v_cmp_gt_u64_e64 s5, s[36:37], v[1:2]
	s_and_b32 s1, vcc_lo, s3
	s_delay_alu instid0(VALU_DEP_1)
	s_and_b32 s3, s5, s6
	v_cmpx_ne_u32_e32 0, v0
	s_cbranch_execz .LBB1082_142
; %bb.141:
	v_add_nc_u32_e32 v1, -4, v4
	ds_load_b32 v5, v1
.LBB1082_142:
	s_or_b32 exec_lo, exec_lo, s4
	v_mov_b32_e32 v4, v2
	v_cndmask_b32_e64 v63, 0, 1, s0
	s_waitcnt lgkmcnt(0)
	v_cmp_ne_u32_e64 s0, v5, v18
	v_cndmask_b32_e64 v60, 0, 1, s11
	v_cndmask_b32_e64 v53, 0, 1, s12
	v_cmp_gt_u64_e32 vcc_lo, s[36:37], v[3:4]
	v_cndmask_b32_e64 v54, 0, 1, s13
	v_cndmask_b32_e64 v55, 0, 1, s14
	;; [unrolled: 1-line block ×11, first 2 shown]
	s_and_b32 s0, vcc_lo, s0
	s_and_b32 vcc_lo, exec_lo, s10
	s_cbranch_vccnz .LBB1082_147
.LBB1082_143:
                                        ; implicit-def: $sgpr1
	v_mov_b32_e32 v83, s1
	s_and_saveexec_b32 s1, s41
	s_cbranch_execnz .LBB1082_72
	s_branch .LBB1082_73
.LBB1082_144:
	s_and_not1_saveexec_b32 s0, s14
	s_cbranch_execz .LBB1082_164
.LBB1082_145:
	v_sub_nc_u32_e32 v1, v48, v4
	v_sub_nc_u32_e32 v3, v42, v4
	;; [unrolled: 1-line block ×4, first 2 shown]
	s_or_b32 s16, s16, exec_lo
	v_lshlrev_b32_e32 v1, 2, v1
	v_lshlrev_b32_e32 v3, 2, v3
	;; [unrolled: 1-line block ×4, first 2 shown]
	ds_store_b32 v1, v18
	ds_store_b32 v3, v19
	;; [unrolled: 1-line block ×3, first 2 shown]
	v_sub_nc_u32_e32 v1, v28, v4
	v_sub_nc_u32_e32 v3, v24, v4
	;; [unrolled: 1-line block ×4, first 2 shown]
	ds_store_b32 v67, v17
	v_lshlrev_b32_e32 v1, 2, v1
	v_sub_nc_u32_e32 v17, v50, v4
	v_lshlrev_b32_e32 v3, 2, v3
	v_lshlrev_b32_e32 v5, 2, v5
	v_lshlrev_b32_e32 v16, 2, v16
	ds_store_b32 v1, v14
	v_lshlrev_b32_e32 v1, 2, v17
	ds_store_b32 v3, v15
	ds_store_b32 v5, v12
	;; [unrolled: 1-line block ×3, first 2 shown]
	v_sub_nc_u32_e32 v3, v38, v4
	v_sub_nc_u32_e32 v12, v32, v4
	;; [unrolled: 1-line block ×3, first 2 shown]
	ds_store_b32 v1, v10
	v_sub_nc_u32_e32 v1, v36, v4
	v_lshlrev_b32_e32 v3, 2, v3
	v_sub_nc_u32_e32 v10, v34, v4
	v_lshlrev_b32_e32 v5, 2, v5
	s_delay_alu instid0(VALU_DEP_4)
	v_lshlrev_b32_e32 v1, 2, v1
	ds_store_b32 v3, v11
	v_lshlrev_b32_e32 v3, 2, v12
	v_lshlrev_b32_e32 v10, 2, v10
	ds_store_b32 v1, v8
	ds_store_b32 v5, v9
	;; [unrolled: 1-line block ×4, first 2 shown]
	s_or_b32 exec_lo, exec_lo, s0
	s_delay_alu instid0(SALU_CYCLE_1)
	s_and_b32 exec_lo, exec_lo, s16
	s_cbranch_execnz .LBB1082_165
	s_branch .LBB1082_166
.LBB1082_146:
                                        ; implicit-def: $sgpr0
                                        ; implicit-def: $vgpr60
                                        ; implicit-def: $vgpr53
                                        ; implicit-def: $vgpr54
                                        ; implicit-def: $vgpr55
                                        ; implicit-def: $vgpr56
                                        ; implicit-def: $vgpr57
                                        ; implicit-def: $vgpr58
                                        ; implicit-def: $vgpr59
                                        ; implicit-def: $vgpr61
                                        ; implicit-def: $vgpr62
                                        ; implicit-def: $vgpr63
                                        ; implicit-def: $vgpr64
                                        ; implicit-def: $vgpr65
                                        ; implicit-def: $vgpr66
	s_cbranch_execz .LBB1082_143
.LBB1082_147:
	v_mad_u32_u24 v1, v0, 15, 14
	v_dual_mov_b32 v2, 0 :: v_dual_lshlrev_b32 v3, 2, v0
	v_cmp_ne_u32_e64 s5, v6, v7
	v_cmp_ne_u32_e64 s4, v7, v52
	;; [unrolled: 1-line block ×3, first 2 shown]
	s_delay_alu instid0(VALU_DEP_4)
	v_cmp_gt_u64_e32 vcc_lo, s[36:37], v[1:2]
	v_mad_u32_u24 v1, v0, 15, 13
	v_cmp_ne_u32_e64 s8, v8, v9
	v_cmp_ne_u32_e64 s9, v11, v8
	;; [unrolled: 1-line block ×4, first 2 shown]
	v_cmp_gt_u64_e64 s0, s[36:37], v[1:2]
	v_mad_u32_u24 v1, v0, 15, 12
	s_and_b32 s4, vcc_lo, s4
	v_cmp_ne_u32_e64 s13, v12, v13
	v_cmp_ne_u32_e64 s14, v15, v12
	;; [unrolled: 1-line block ×3, first 2 shown]
	v_cmp_gt_u64_e64 s1, s[36:37], v[1:2]
	v_mad_u32_u24 v1, v0, 15, 11
	s_and_b32 s0, s0, s5
	v_cmp_ne_u32_e64 s17, v17, v14
	v_cndmask_b32_e64 v53, 0, 1, s0
	v_cmp_ne_u32_e64 s19, v16, v17
	v_cmp_gt_u64_e64 s2, s[36:37], v[1:2]
	v_mad_u32_u24 v1, v0, 15, 10
	s_and_b32 s0, s1, s6
	v_cmp_ne_u32_e64 s20, v19, v16
	v_cndmask_b32_e64 v54, 0, 1, s0
	v_cmp_ne_u32_e64 s21, v18, v19
	v_cmp_gt_u64_e64 s3, s[36:37], v[1:2]
	v_mad_u32_u24 v1, v0, 15, 9
	s_and_b32 s0, s2, s8
	v_cndmask_b32_e64 v60, 0, 1, s4
	v_cndmask_b32_e64 v55, 0, 1, s0
	ds_store_b32 v3, v52
	v_cmp_gt_u64_e64 s7, s[36:37], v[1:2]
	v_mad_u32_u24 v1, v0, 15, 8
	s_and_b32 s1, s3, s9
	s_waitcnt lgkmcnt(0)
	v_cndmask_b32_e64 v56, 0, 1, s1
	s_barrier
	v_cmp_gt_u64_e64 s12, s[36:37], v[1:2]
	v_mad_u32_u24 v1, v0, 15, 7
	s_and_b32 s1, s7, s10
	buffer_gl0_inv
	v_cndmask_b32_e64 v57, 0, 1, s1
	v_cmp_gt_u64_e64 s18, s[36:37], v[1:2]
	v_mad_u32_u24 v1, v0, 15, 6
	s_and_b32 s2, s12, s11
	s_delay_alu instid0(SALU_CYCLE_1) | instskip(NEXT) | instid1(VALU_DEP_2)
	v_cndmask_b32_e64 v58, 0, 1, s2
	v_cmp_gt_u64_e64 s22, s[36:37], v[1:2]
	v_mad_u32_u24 v1, v0, 15, 5
	s_and_b32 s2, s18, s13
	s_delay_alu instid0(SALU_CYCLE_1) | instskip(NEXT) | instid1(VALU_DEP_2)
	v_cndmask_b32_e64 v59, 0, 1, s2
	v_cmp_gt_u64_e32 vcc_lo, s[36:37], v[1:2]
	v_mad_u32_u24 v1, v0, 15, 4
	s_and_b32 s3, s22, s14
	s_delay_alu instid0(SALU_CYCLE_1) | instskip(NEXT) | instid1(VALU_DEP_2)
	v_cndmask_b32_e64 v61, 0, 1, s3
	v_cmp_gt_u64_e64 s0, s[36:37], v[1:2]
	v_mad_u32_u24 v1, v0, 15, 3
	s_and_b32 s3, vcc_lo, s16
	s_delay_alu instid0(SALU_CYCLE_1) | instskip(NEXT) | instid1(VALU_DEP_2)
	v_cndmask_b32_e64 v62, 0, 1, s3
	v_cmp_gt_u64_e64 s1, s[36:37], v[1:2]
	v_mad_u32_u24 v1, v0, 15, 2
	s_and_b32 s0, s0, s17
	s_delay_alu instid0(SALU_CYCLE_1) | instskip(NEXT) | instid1(VALU_DEP_2)
	v_cndmask_b32_e64 v63, 0, 1, s0
	v_cmp_gt_u64_e64 s2, s[36:37], v[1:2]
	v_mad_u32_u24 v1, v0, 15, 1
	s_and_b32 s0, s1, s19
	s_mov_b32 s1, 1
	v_cndmask_b32_e64 v64, 0, 1, s0
	s_delay_alu instid0(VALU_DEP_2) | instskip(SKIP_4) | instid1(SALU_CYCLE_1)
	v_cmp_gt_u64_e32 vcc_lo, s[36:37], v[1:2]
	s_and_b32 s0, s2, s20
	s_mov_b32 s2, exec_lo
	v_cndmask_b32_e64 v65, 0, 1, s0
	s_and_b32 s0, vcc_lo, s21
	v_cndmask_b32_e64 v66, 0, 1, s0
                                        ; implicit-def: $sgpr0
	v_cmpx_ne_u32_e32 0, v0
	s_cbranch_execz .LBB1082_205
; %bb.148:
	v_add_nc_u32_e32 v1, -4, v3
	s_or_b32 s41, s41, exec_lo
	ds_load_b32 v3, v1
	v_mul_u32_u24_e32 v1, 15, v0
	s_delay_alu instid0(VALU_DEP_1) | instskip(SKIP_2) | instid1(VALU_DEP_1)
	v_cmp_gt_u64_e32 vcc_lo, s[36:37], v[1:2]
	s_waitcnt lgkmcnt(0)
	v_cmp_ne_u32_e64 s0, v3, v18
	s_and_b32 s0, vcc_lo, s0
	s_delay_alu instid0(SALU_CYCLE_1)
	s_and_b32 s0, s0, exec_lo
	s_or_b32 exec_lo, exec_lo, s2
	v_mov_b32_e32 v83, s1
	s_and_saveexec_b32 s1, s41
	s_cbranch_execz .LBB1082_73
	s_branch .LBB1082_72
.LBB1082_149:
	s_or_b32 exec_lo, exec_lo, s16
	s_and_saveexec_b32 s11, s13
	s_cbranch_execz .LBB1082_123
.LBB1082_150:
	v_sub_nc_u32_e32 v1, v42, v4
	s_delay_alu instid0(VALU_DEP_1)
	v_lshlrev_b32_e32 v1, 2, v1
	ds_store_b32 v1, v19
	s_or_b32 exec_lo, exec_lo, s11
	s_and_saveexec_b32 s11, s12
	s_cbranch_execnz .LBB1082_124
.LBB1082_151:
	s_or_b32 exec_lo, exec_lo, s11
	s_and_saveexec_b32 s11, s10
	s_cbranch_execz .LBB1082_125
.LBB1082_152:
	v_sub_nc_u32_e32 v1, v40, v4
	s_delay_alu instid0(VALU_DEP_1)
	v_lshlrev_b32_e32 v1, 2, v1
	ds_store_b32 v1, v17
	s_or_b32 exec_lo, exec_lo, s11
	s_and_saveexec_b32 s10, s9
	s_cbranch_execnz .LBB1082_126
.LBB1082_153:
	s_or_b32 exec_lo, exec_lo, s10
	s_and_saveexec_b32 s9, s8
	s_cbranch_execz .LBB1082_127
.LBB1082_154:
	v_sub_nc_u32_e32 v1, v24, v4
	s_delay_alu instid0(VALU_DEP_1)
	v_lshlrev_b32_e32 v1, 2, v1
	ds_store_b32 v1, v15
	s_or_b32 exec_lo, exec_lo, s9
	s_and_saveexec_b32 s8, s7
	s_cbranch_execnz .LBB1082_128
.LBB1082_155:
	s_or_b32 exec_lo, exec_lo, s8
	s_and_saveexec_b32 s7, s6
	s_cbranch_execz .LBB1082_129
.LBB1082_156:
	v_sub_nc_u32_e32 v1, v46, v4
	s_delay_alu instid0(VALU_DEP_1)
	v_lshlrev_b32_e32 v1, 2, v1
	ds_store_b32 v1, v13
	s_or_b32 exec_lo, exec_lo, s7
	s_and_saveexec_b32 s6, s5
	s_cbranch_execnz .LBB1082_130
.LBB1082_157:
	s_or_b32 exec_lo, exec_lo, s6
	s_and_saveexec_b32 s5, s4
	s_cbranch_execz .LBB1082_131
.LBB1082_158:
	v_sub_nc_u32_e32 v1, v38, v4
	s_delay_alu instid0(VALU_DEP_1)
	v_lshlrev_b32_e32 v1, 2, v1
	ds_store_b32 v1, v11
	s_or_b32 exec_lo, exec_lo, s5
	s_and_saveexec_b32 s4, s3
	s_cbranch_execnz .LBB1082_132
.LBB1082_159:
	s_or_b32 exec_lo, exec_lo, s4
	s_and_saveexec_b32 s3, s2
	s_cbranch_execz .LBB1082_133
.LBB1082_160:
	v_sub_nc_u32_e32 v1, v30, v4
	s_delay_alu instid0(VALU_DEP_1)
	v_lshlrev_b32_e32 v1, 2, v1
	ds_store_b32 v1, v9
	s_or_b32 exec_lo, exec_lo, s3
	s_and_saveexec_b32 s2, s1
	s_cbranch_execnz .LBB1082_134
.LBB1082_161:
	s_or_b32 exec_lo, exec_lo, s2
	s_and_saveexec_b32 s1, s0
	s_cbranch_execz .LBB1082_163
.LBB1082_162:
	v_sub_nc_u32_e32 v1, v32, v4
	s_delay_alu instid0(VALU_DEP_1)
	v_lshlrev_b32_e32 v1, 2, v1
	ds_store_b32 v1, v7
.LBB1082_163:
	s_or_b32 exec_lo, exec_lo, s1
	s_delay_alu instid0(SALU_CYCLE_1)
	s_and_b32 s16, vcc_lo, exec_lo
                                        ; implicit-def: $vgpr18
                                        ; implicit-def: $vgpr16
                                        ; implicit-def: $vgpr14
                                        ; implicit-def: $vgpr12
                                        ; implicit-def: $vgpr10
                                        ; implicit-def: $vgpr8
                                        ; implicit-def: $vgpr6
	s_and_not1_saveexec_b32 s0, s14
	s_cbranch_execnz .LBB1082_145
.LBB1082_164:
	s_or_b32 exec_lo, exec_lo, s0
	s_delay_alu instid0(SALU_CYCLE_1)
	s_and_b32 exec_lo, exec_lo, s16
	s_cbranch_execz .LBB1082_166
.LBB1082_165:
	v_sub_nc_u32_e32 v1, v22, v4
	s_delay_alu instid0(VALU_DEP_1)
	v_lshlrev_b32_e32 v1, 2, v1
	ds_store_b32 v1, v52
.LBB1082_166:
	s_or_b32 exec_lo, exec_lo, s15
	s_waitcnt vmcnt(0) lgkmcnt(0)
	s_barrier
	buffer_gl0_inv
.LBB1082_167:
	s_cmpk_lg_i32 s33, 0xf00
	v_cmp_eq_u32_e32 vcc_lo, 0, v0
	s_cselect_b32 s0, -1, 0
	v_mad_i32_i24 v7, v0, -15, s33
	s_and_b32 s0, s23, s0
	v_cndmask_b32_e64 v1, 0, 1, s40
	v_cndmask_b32_e64 v6, 0, 1, s0
	s_mul_hi_u32 s0, s33, 0x88888889
	s_and_b32 s1, vcc_lo, s40
	s_lshr_b32 s0, s0, 3
	v_cndmask_b32_e64 v8, v83, 0, s1
	v_cmp_eq_u32_e32 vcc_lo, s0, v0
	v_cmp_ne_u32_e64 s0, 0, v7
	v_sub_nc_u32_e32 v3, v2, v1
	s_mov_b32 s16, -1
	s_waitcnt vmcnt(0)
	s_and_b32 vcc_lo, s23, vcc_lo
	v_cndmask_b32_e64 v9, 1, v8, s0
	v_cmp_ne_u32_e64 s0, 1, v7
	v_mov_b32_e32 v5, 0
	s_barrier
	buffer_gl0_inv
	v_cndmask_b32_e32 v16, v8, v9, vcc_lo
	v_cndmask_b32_e64 v10, 1, v66, s0
	v_cmp_ne_u32_e64 s0, 2, v7
	s_delay_alu instid0(VALU_DEP_3) | instskip(NEXT) | instid1(VALU_DEP_3)
	v_cmp_ne_u32_e64 s14, 0, v16
	v_cndmask_b32_e32 v17, v66, v10, vcc_lo
	s_delay_alu instid0(VALU_DEP_3) | instskip(SKIP_1) | instid1(VALU_DEP_2)
	v_cndmask_b32_e64 v11, 1, v65, s0
	v_cmp_ne_u32_e64 s0, 14, v7
	v_dual_cndmask_b32 v18, v65, v11 :: v_dual_add_nc_u32 v3, v3, v6
	s_delay_alu instid0(VALU_DEP_2) | instskip(SKIP_1) | instid1(VALU_DEP_3)
	v_cndmask_b32_e64 v12, 1, v60, s0
	v_cmp_ne_u32_e64 s0, 3, v7
	v_cmp_ne_u32_e64 s12, 0, v18
	s_delay_alu instid0(VALU_DEP_2) | instskip(SKIP_1) | instid1(VALU_DEP_1)
	v_cndmask_b32_e64 v13, 1, v64, s0
	v_cmp_ne_u32_e64 s0, 4, v7
	v_cndmask_b32_e64 v14, 1, v63, s0
	v_cmp_ne_u32_e64 s0, 5, v7
	s_delay_alu instid0(VALU_DEP_2) | instskip(NEXT) | instid1(VALU_DEP_2)
	v_dual_cndmask_b32 v15, v60, v12 :: v_dual_cndmask_b32 v14, v63, v14
	v_cndmask_b32_e64 v8, 1, v62, s0
	v_cmp_ne_u32_e64 s0, 6, v7
	s_delay_alu instid0(VALU_DEP_3) | instskip(NEXT) | instid1(VALU_DEP_3)
	v_cmp_ne_u32_e64 s10, 0, v14
	v_cndmask_b32_e32 v62, v62, v8, vcc_lo
	s_delay_alu instid0(VALU_DEP_3) | instskip(SKIP_1) | instid1(VALU_DEP_2)
	v_cndmask_b32_e64 v9, 1, v61, s0
	v_cmp_eq_u32_e64 s0, 0, v16
	v_cndmask_b32_e32 v61, v61, v9, vcc_lo
	s_delay_alu instid0(VALU_DEP_2) | instskip(SKIP_1) | instid1(VALU_DEP_3)
	v_cndmask_b32_e64 v10, 1, 2, s0
	v_cmp_eq_u32_e64 s0, 0, v17
	v_cmp_ne_u32_e64 s8, 0, v61
	s_delay_alu instid0(VALU_DEP_2) | instskip(SKIP_1) | instid1(VALU_DEP_2)
	v_cndmask_b32_e64 v12, 1, 2, s0
	v_cmp_ne_u32_e64 s0, 7, v7
	v_and_b32_e32 v10, v12, v10
	s_delay_alu instid0(VALU_DEP_2) | instskip(SKIP_1) | instid1(VALU_DEP_2)
	v_cndmask_b32_e64 v11, 1, v59, s0
	v_cmp_eq_u32_e64 s0, 0, v18
	v_cndmask_b32_e32 v59, v59, v11, vcc_lo
	s_delay_alu instid0(VALU_DEP_2) | instskip(SKIP_2) | instid1(VALU_DEP_4)
	v_cndmask_b32_e64 v12, 1, 2, s0
	v_cmp_ne_u32_e64 s0, 8, v7
	v_cndmask_b32_e32 v13, v64, v13, vcc_lo
	v_cmp_ne_u32_e64 s7, 0, v59
	s_delay_alu instid0(VALU_DEP_4) | instskip(NEXT) | instid1(VALU_DEP_4)
	v_and_b32_e32 v10, v10, v12
	v_cndmask_b32_e64 v19, 1, v58, s0
	v_cmp_ne_u32_e64 s0, 9, v7
	v_cmp_ne_u32_e64 s11, 0, v13
	s_delay_alu instid0(VALU_DEP_3) | instskip(NEXT) | instid1(VALU_DEP_3)
	v_cndmask_b32_e32 v19, v58, v19, vcc_lo
	v_cndmask_b32_e64 v52, 1, v57, s0
	v_cmp_eq_u32_e64 s0, 0, v13
	s_delay_alu instid0(VALU_DEP_3) | instskip(NEXT) | instid1(VALU_DEP_3)
	v_cmp_ne_u32_e64 s6, 0, v19
	v_cndmask_b32_e32 v52, v57, v52, vcc_lo
	s_delay_alu instid0(VALU_DEP_3) | instskip(SKIP_1) | instid1(VALU_DEP_2)
	v_cndmask_b32_e64 v12, 1, 2, s0
	v_cmp_ne_u32_e64 s0, 10, v7
	v_and_b32_e32 v8, v10, v12
	s_delay_alu instid0(VALU_DEP_2) | instskip(SKIP_1) | instid1(VALU_DEP_2)
	v_cndmask_b32_e64 v60, 1, v56, s0
	v_cmp_eq_u32_e64 s0, 0, v14
	v_cndmask_b32_e32 v56, v56, v60, vcc_lo
	s_delay_alu instid0(VALU_DEP_2) | instskip(SKIP_2) | instid1(VALU_DEP_4)
	v_cndmask_b32_e64 v10, 1, 2, s0
	v_cmp_ne_u32_e64 s0, 11, v7
	v_cmp_ne_u32_e64 s13, 0, v17
	;; [unrolled: 1-line block ×3, first 2 shown]
	s_delay_alu instid0(VALU_DEP_3) | instskip(SKIP_1) | instid1(VALU_DEP_2)
	v_cndmask_b32_e64 v12, 1, v55, s0
	v_cmp_ne_u32_e64 s0, 13, v7
	v_dual_cndmask_b32 v55, v55, v12 :: v_dual_and_b32 v8, v8, v10
	s_delay_alu instid0(VALU_DEP_2) | instskip(NEXT) | instid1(VALU_DEP_2)
	v_cndmask_b32_e64 v63, 1, v53, s0
	v_cmp_ne_u32_e64 s3, 0, v55
	s_delay_alu instid0(VALU_DEP_2) | instskip(SKIP_2) | instid1(VALU_DEP_3)
	v_cndmask_b32_e32 v53, v53, v63, vcc_lo
	v_cmp_eq_u32_e64 s0, 0, v62
	v_cmp_ne_u32_e64 s9, 0, v62
	v_cmp_ne_u32_e64 s1, 0, v53
	s_delay_alu instid0(VALU_DEP_3) | instskip(SKIP_1) | instid1(VALU_DEP_2)
	v_cndmask_b32_e64 v10, 1, 2, s0
	v_cmp_ne_u32_e64 s0, 12, v7
	v_and_b32_e32 v8, v8, v10
	s_delay_alu instid0(VALU_DEP_2) | instskip(SKIP_1) | instid1(VALU_DEP_1)
	v_cndmask_b32_e64 v7, 1, v54, s0
	v_cmp_eq_u32_e64 s0, 0, v61
	v_cndmask_b32_e64 v9, 1, 2, s0
	v_cmp_eq_u32_e64 s0, 0, v59
	s_delay_alu instid0(VALU_DEP_4) | instskip(SKIP_1) | instid1(VALU_DEP_4)
	v_cndmask_b32_e32 v54, v54, v7, vcc_lo
	v_cmp_eq_u32_e32 vcc_lo, 0, v19
	v_and_b32_e32 v11, v8, v9
	v_lshlrev_b64 v[7:8], 1, v[20:21]
	v_cndmask_b32_e64 v12, 1, 2, s0
	v_lshlrev_b64 v[9:10], 1, v[4:5]
	v_cmp_ne_u32_e64 s2, 0, v54
	v_cmp_ne_u32_e64 s0, 0, v15
	s_delay_alu instid0(VALU_DEP_4) | instskip(SKIP_4) | instid1(VALU_DEP_4)
	v_and_b32_e32 v5, v11, v12
	v_cndmask_b32_e64 v11, 1, 2, vcc_lo
	v_add_co_u32 v7, vcc_lo, s28, v7
	v_add_co_ci_u32_e32 v8, vcc_lo, s29, v8, vcc_lo
	v_cmp_eq_u32_e32 vcc_lo, 0, v52
	v_and_b32_e32 v5, v5, v11
	v_cndmask_b32_e64 v11, 1, 2, vcc_lo
	v_add_co_u32 v9, vcc_lo, v7, v9
	v_add_co_ci_u32_e32 v10, vcc_lo, v8, v10, vcc_lo
	v_lshlrev_b32_e32 v7, 1, v1
	v_cmp_eq_u32_e32 vcc_lo, 0, v56
	v_and_b32_e32 v5, v5, v11
	v_cmp_ne_u32_e64 s5, 0, v52
	v_cndmask_b32_e64 v8, 1, 2, vcc_lo
	v_add_co_u32 v7, vcc_lo, v7, v9
	v_add_co_ci_u32_e32 v12, vcc_lo, 0, v10, vcc_lo
	v_cmp_eq_u32_e32 vcc_lo, 0, v55
	s_delay_alu instid0(VALU_DEP_4)
	v_and_b32_e32 v8, v5, v8
	v_add_nc_u32_e32 v5, v4, v1
	v_cndmask_b32_e64 v57, 1, 2, vcc_lo
	v_add_co_u32 v11, vcc_lo, v7, -2
	v_add_co_ci_u32_e32 v12, vcc_lo, -1, v12, vcc_lo
	v_cmp_eq_u32_e32 vcc_lo, 0, v54
	s_delay_alu instid0(VALU_DEP_4) | instskip(SKIP_2) | instid1(VALU_DEP_2)
	v_and_b32_e32 v7, v8, v57
	v_cndmask_b32_e64 v8, 1, 2, vcc_lo
	v_cmp_eq_u32_e32 vcc_lo, 0, v53
	v_and_b32_e32 v7, v7, v8
	v_cndmask_b32_e64 v8, 1, 2, vcc_lo
	v_cmp_eq_u32_e32 vcc_lo, 0, v15
	s_delay_alu instid0(VALU_DEP_2) | instskip(SKIP_2) | instid1(VALU_DEP_2)
	v_and_b32_e32 v7, v7, v8
	v_cndmask_b32_e64 v8, 1, 2, vcc_lo
	v_cmp_gt_u32_e32 vcc_lo, 0x100, v3
	v_and_b32_e32 v7, v7, v8
	s_delay_alu instid0(VALU_DEP_1)
	v_cmp_gt_i16_e64 s15, 2, v7
	s_cbranch_vccz .LBB1082_184
; %bb.168:
	s_delay_alu instid0(VALU_DEP_1)
	s_and_saveexec_b32 s16, s15
	s_cbranch_execz .LBB1082_223
; %bb.169:
	s_mov_b32 s17, 0
	s_mov_b32 s15, exec_lo
	v_cmpx_ne_u16_e32 1, v7
	s_xor_b32 s15, exec_lo, s15
	s_cbranch_execz .LBB1082_201
; %bb.170:
	s_and_saveexec_b32 s17, s14
	s_cbranch_execz .LBB1082_206
; %bb.171:
	v_sub_nc_u32_e32 v13, v48, v5
	v_mov_b32_e32 v14, 0
	s_delay_alu instid0(VALU_DEP_1) | instskip(NEXT) | instid1(VALU_DEP_1)
	v_lshlrev_b64 v[13:14], 1, v[13:14]
	v_add_co_u32 v13, vcc_lo, v11, v13
	s_delay_alu instid0(VALU_DEP_2)
	v_add_co_ci_u32_e32 v14, vcc_lo, v12, v14, vcc_lo
	global_store_b16 v[13:14], v49, off
	s_or_b32 exec_lo, exec_lo, s17
	s_and_saveexec_b32 s17, s13
	s_cbranch_execnz .LBB1082_207
.LBB1082_172:
	s_or_b32 exec_lo, exec_lo, s17
	s_and_saveexec_b32 s17, s12
	s_cbranch_execz .LBB1082_208
.LBB1082_173:
	v_sub_nc_u32_e32 v13, v44, v5
	v_mov_b32_e32 v14, 0
	s_delay_alu instid0(VALU_DEP_1) | instskip(NEXT) | instid1(VALU_DEP_1)
	v_lshlrev_b64 v[13:14], 1, v[13:14]
	v_add_co_u32 v13, vcc_lo, v11, v13
	s_delay_alu instid0(VALU_DEP_2)
	v_add_co_ci_u32_e32 v14, vcc_lo, v12, v14, vcc_lo
	global_store_b16 v[13:14], v45, off
	s_or_b32 exec_lo, exec_lo, s17
	s_and_saveexec_b32 s17, s11
	s_cbranch_execnz .LBB1082_209
.LBB1082_174:
	s_or_b32 exec_lo, exec_lo, s17
	s_and_saveexec_b32 s17, s10
	s_cbranch_execz .LBB1082_210
.LBB1082_175:
	v_sub_nc_u32_e32 v13, v28, v5
	v_mov_b32_e32 v14, 0
	s_delay_alu instid0(VALU_DEP_1) | instskip(NEXT) | instid1(VALU_DEP_1)
	v_lshlrev_b64 v[13:14], 1, v[13:14]
	v_add_co_u32 v13, vcc_lo, v11, v13
	s_delay_alu instid0(VALU_DEP_2)
	v_add_co_ci_u32_e32 v14, vcc_lo, v12, v14, vcc_lo
	global_store_b16 v[13:14], v29, off
	s_or_b32 exec_lo, exec_lo, s17
	s_and_saveexec_b32 s17, s9
	s_cbranch_execnz .LBB1082_211
.LBB1082_176:
	s_or_b32 exec_lo, exec_lo, s17
	s_and_saveexec_b32 s17, s8
	s_cbranch_execz .LBB1082_212
.LBB1082_177:
	v_sub_nc_u32_e32 v13, v26, v5
	v_mov_b32_e32 v14, 0
	s_delay_alu instid0(VALU_DEP_1) | instskip(NEXT) | instid1(VALU_DEP_1)
	v_lshlrev_b64 v[13:14], 1, v[13:14]
	v_add_co_u32 v13, vcc_lo, v11, v13
	s_delay_alu instid0(VALU_DEP_2)
	v_add_co_ci_u32_e32 v14, vcc_lo, v12, v14, vcc_lo
	global_store_b16 v[13:14], v27, off
	s_or_b32 exec_lo, exec_lo, s17
	s_and_saveexec_b32 s17, s7
	s_cbranch_execnz .LBB1082_213
.LBB1082_178:
	s_or_b32 exec_lo, exec_lo, s17
	s_and_saveexec_b32 s17, s6
	s_cbranch_execz .LBB1082_214
.LBB1082_179:
	v_sub_nc_u32_e32 v13, v50, v5
	v_mov_b32_e32 v14, 0
	s_delay_alu instid0(VALU_DEP_1) | instskip(NEXT) | instid1(VALU_DEP_1)
	v_lshlrev_b64 v[13:14], 1, v[13:14]
	v_add_co_u32 v13, vcc_lo, v11, v13
	s_delay_alu instid0(VALU_DEP_2)
	v_add_co_ci_u32_e32 v14, vcc_lo, v12, v14, vcc_lo
	global_store_b16 v[13:14], v51, off
	s_or_b32 exec_lo, exec_lo, s17
	s_and_saveexec_b32 s17, s5
	s_cbranch_execnz .LBB1082_215
.LBB1082_180:
	s_or_b32 exec_lo, exec_lo, s17
	s_and_saveexec_b32 s17, s4
	s_cbranch_execz .LBB1082_216
.LBB1082_181:
	v_sub_nc_u32_e32 v13, v36, v5
	v_mov_b32_e32 v14, 0
	s_delay_alu instid0(VALU_DEP_1) | instskip(NEXT) | instid1(VALU_DEP_1)
	v_lshlrev_b64 v[13:14], 1, v[13:14]
	v_add_co_u32 v13, vcc_lo, v11, v13
	s_delay_alu instid0(VALU_DEP_2)
	v_add_co_ci_u32_e32 v14, vcc_lo, v12, v14, vcc_lo
	global_store_b16 v[13:14], v37, off
	s_or_b32 exec_lo, exec_lo, s17
	s_and_saveexec_b32 s17, s3
	s_cbranch_execnz .LBB1082_217
.LBB1082_182:
	s_or_b32 exec_lo, exec_lo, s17
	s_and_saveexec_b32 s17, s2
	s_cbranch_execz .LBB1082_218
.LBB1082_183:
	v_sub_nc_u32_e32 v13, v34, v5
	v_mov_b32_e32 v14, 0
	s_delay_alu instid0(VALU_DEP_1) | instskip(NEXT) | instid1(VALU_DEP_1)
	v_lshlrev_b64 v[13:14], 1, v[13:14]
	v_add_co_u32 v13, vcc_lo, v11, v13
	s_delay_alu instid0(VALU_DEP_2)
	v_add_co_ci_u32_e32 v14, vcc_lo, v12, v14, vcc_lo
	global_store_b16 v[13:14], v35, off
	s_or_b32 exec_lo, exec_lo, s17
	s_and_saveexec_b32 s17, s1
	s_cbranch_execnz .LBB1082_219
	s_branch .LBB1082_220
.LBB1082_184:
	s_and_b32 vcc_lo, exec_lo, s16
	s_cbranch_vccz .LBB1082_224
; %bb.185:
	s_mov_b32 s15, exec_lo
	v_cmpx_gt_i16_e32 2, v7
	s_cbranch_execz .LBB1082_242
; %bb.186:
	s_mov_b32 s17, 0
	s_mov_b32 s16, exec_lo
	v_cmpx_ne_u16_e32 1, v7
	s_xor_b32 s16, exec_lo, s16
	s_cbranch_execz .LBB1082_203
; %bb.187:
	s_and_saveexec_b32 s17, s14
	s_cbranch_execz .LBB1082_225
; %bb.188:
	v_sub_nc_u32_e32 v7, v48, v5
	s_delay_alu instid0(VALU_DEP_1)
	v_lshlrev_b32_e32 v7, 1, v7
	ds_store_b16 v7, v49
	s_or_b32 exec_lo, exec_lo, s17
	s_and_saveexec_b32 s14, s13
	s_cbranch_execnz .LBB1082_226
.LBB1082_189:
	s_or_b32 exec_lo, exec_lo, s14
	s_and_saveexec_b32 s13, s12
	s_cbranch_execz .LBB1082_227
.LBB1082_190:
	v_sub_nc_u32_e32 v7, v44, v5
	s_delay_alu instid0(VALU_DEP_1)
	v_lshlrev_b32_e32 v7, 1, v7
	ds_store_b16 v7, v45
	s_or_b32 exec_lo, exec_lo, s13
	s_and_saveexec_b32 s12, s11
	s_cbranch_execnz .LBB1082_228
.LBB1082_191:
	s_or_b32 exec_lo, exec_lo, s12
	s_and_saveexec_b32 s11, s10
	s_cbranch_execz .LBB1082_229
.LBB1082_192:
	v_sub_nc_u32_e32 v7, v28, v5
	s_delay_alu instid0(VALU_DEP_1)
	v_lshlrev_b32_e32 v7, 1, v7
	ds_store_b16 v7, v29
	s_or_b32 exec_lo, exec_lo, s11
	s_and_saveexec_b32 s10, s9
	s_cbranch_execnz .LBB1082_230
.LBB1082_193:
	s_or_b32 exec_lo, exec_lo, s10
	s_and_saveexec_b32 s9, s8
	s_cbranch_execz .LBB1082_231
.LBB1082_194:
	v_sub_nc_u32_e32 v7, v26, v5
	s_delay_alu instid0(VALU_DEP_1)
	v_lshlrev_b32_e32 v7, 1, v7
	ds_store_b16 v7, v27
	s_or_b32 exec_lo, exec_lo, s9
	s_and_saveexec_b32 s8, s7
	s_cbranch_execnz .LBB1082_232
.LBB1082_195:
	s_or_b32 exec_lo, exec_lo, s8
	s_and_saveexec_b32 s7, s6
	s_cbranch_execz .LBB1082_233
.LBB1082_196:
	v_sub_nc_u32_e32 v7, v50, v5
	s_delay_alu instid0(VALU_DEP_1)
	v_lshlrev_b32_e32 v7, 1, v7
	ds_store_b16 v7, v51
	s_or_b32 exec_lo, exec_lo, s7
	s_and_saveexec_b32 s6, s5
	s_cbranch_execnz .LBB1082_234
.LBB1082_197:
	s_or_b32 exec_lo, exec_lo, s6
	s_and_saveexec_b32 s5, s4
	s_cbranch_execz .LBB1082_235
.LBB1082_198:
	v_sub_nc_u32_e32 v7, v36, v5
	s_delay_alu instid0(VALU_DEP_1)
	v_lshlrev_b32_e32 v7, 1, v7
	ds_store_b16 v7, v37
	s_or_b32 exec_lo, exec_lo, s5
	s_and_saveexec_b32 s4, s3
	s_cbranch_execnz .LBB1082_236
.LBB1082_199:
	s_or_b32 exec_lo, exec_lo, s4
	s_and_saveexec_b32 s3, s2
	s_cbranch_execz .LBB1082_237
.LBB1082_200:
	v_sub_nc_u32_e32 v7, v34, v5
	s_delay_alu instid0(VALU_DEP_1)
	v_lshlrev_b32_e32 v7, 1, v7
	ds_store_b16 v7, v35
	s_or_b32 exec_lo, exec_lo, s3
	s_and_saveexec_b32 s2, s1
	s_cbranch_execnz .LBB1082_238
	s_branch .LBB1082_239
.LBB1082_201:
	s_and_not1_saveexec_b32 s15, s15
	s_cbranch_execz .LBB1082_221
.LBB1082_202:
	v_sub_nc_u32_e32 v13, v48, v5
	v_mov_b32_e32 v14, 0
	s_or_b32 s17, s17, exec_lo
	s_delay_alu instid0(VALU_DEP_1) | instskip(SKIP_1) | instid1(VALU_DEP_1)
	v_lshlrev_b64 v[15:16], 1, v[13:14]
	v_sub_nc_u32_e32 v13, v42, v5
	v_lshlrev_b64 v[17:18], 1, v[13:14]
	v_sub_nc_u32_e32 v13, v44, v5
	s_delay_alu instid0(VALU_DEP_4) | instskip(SKIP_1) | instid1(VALU_DEP_3)
	v_add_co_u32 v15, vcc_lo, v11, v15
	v_add_co_ci_u32_e32 v16, vcc_lo, v12, v16, vcc_lo
	v_lshlrev_b64 v[52:53], 1, v[13:14]
	v_sub_nc_u32_e32 v13, v40, v5
	v_add_co_u32 v17, vcc_lo, v11, v17
	v_add_co_ci_u32_e32 v18, vcc_lo, v12, v18, vcc_lo
	global_store_b16 v[15:16], v49, off
	v_lshlrev_b64 v[15:16], 1, v[13:14]
	v_sub_nc_u32_e32 v13, v28, v5
	global_store_b16 v[17:18], v43, off
	v_add_co_u32 v17, vcc_lo, v11, v52
	v_add_co_ci_u32_e32 v18, vcc_lo, v12, v53, vcc_lo
	v_lshlrev_b64 v[52:53], 1, v[13:14]
	v_sub_nc_u32_e32 v13, v24, v5
	v_add_co_u32 v15, vcc_lo, v11, v15
	v_add_co_ci_u32_e32 v16, vcc_lo, v12, v16, vcc_lo
	s_delay_alu instid0(VALU_DEP_3) | instskip(SKIP_3) | instid1(VALU_DEP_3)
	v_lshlrev_b64 v[54:55], 1, v[13:14]
	v_sub_nc_u32_e32 v13, v26, v5
	v_add_co_u32 v52, vcc_lo, v11, v52
	v_add_co_ci_u32_e32 v53, vcc_lo, v12, v53, vcc_lo
	v_lshlrev_b64 v[56:57], 1, v[13:14]
	v_sub_nc_u32_e32 v13, v46, v5
	v_add_co_u32 v54, vcc_lo, v11, v54
	v_add_co_ci_u32_e32 v55, vcc_lo, v12, v55, vcc_lo
	s_clause 0x3
	global_store_b16 v[17:18], v45, off
	global_store_b16 v[15:16], v41, off
	global_store_b16 v[52:53], v29, off
	global_store_b16 v[54:55], v25, off
	v_lshlrev_b64 v[15:16], 1, v[13:14]
	v_sub_nc_u32_e32 v13, v50, v5
	v_add_co_u32 v17, vcc_lo, v11, v56
	v_add_co_ci_u32_e32 v18, vcc_lo, v12, v57, vcc_lo
	s_delay_alu instid0(VALU_DEP_3) | instskip(SKIP_3) | instid1(VALU_DEP_3)
	v_lshlrev_b64 v[52:53], 1, v[13:14]
	v_sub_nc_u32_e32 v13, v38, v5
	v_add_co_u32 v15, vcc_lo, v11, v15
	v_add_co_ci_u32_e32 v16, vcc_lo, v12, v16, vcc_lo
	v_lshlrev_b64 v[54:55], 1, v[13:14]
	v_sub_nc_u32_e32 v13, v36, v5
	v_add_co_u32 v52, vcc_lo, v11, v52
	v_add_co_ci_u32_e32 v53, vcc_lo, v12, v53, vcc_lo
	s_delay_alu instid0(VALU_DEP_3)
	v_lshlrev_b64 v[56:57], 1, v[13:14]
	v_sub_nc_u32_e32 v13, v30, v5
	v_add_co_u32 v54, vcc_lo, v11, v54
	v_add_co_ci_u32_e32 v55, vcc_lo, v12, v55, vcc_lo
	s_clause 0x3
	global_store_b16 v[17:18], v27, off
	global_store_b16 v[15:16], v47, off
	;; [unrolled: 1-line block ×4, first 2 shown]
	v_lshlrev_b64 v[15:16], 1, v[13:14]
	v_sub_nc_u32_e32 v13, v34, v5
	v_add_co_u32 v17, vcc_lo, v11, v56
	v_add_co_ci_u32_e32 v18, vcc_lo, v12, v57, vcc_lo
	s_delay_alu instid0(VALU_DEP_3) | instskip(SKIP_3) | instid1(VALU_DEP_3)
	v_lshlrev_b64 v[52:53], 1, v[13:14]
	v_sub_nc_u32_e32 v13, v32, v5
	v_add_co_u32 v15, vcc_lo, v11, v15
	v_add_co_ci_u32_e32 v16, vcc_lo, v12, v16, vcc_lo
	v_lshlrev_b64 v[13:14], 1, v[13:14]
	v_add_co_u32 v52, vcc_lo, v11, v52
	v_add_co_ci_u32_e32 v53, vcc_lo, v12, v53, vcc_lo
	s_clause 0x2
	global_store_b16 v[17:18], v37, off
	global_store_b16 v[15:16], v31, off
	;; [unrolled: 1-line block ×3, first 2 shown]
	v_add_co_u32 v13, vcc_lo, v11, v13
	v_add_co_ci_u32_e32 v14, vcc_lo, v12, v14, vcc_lo
	global_store_b16 v[13:14], v33, off
	s_or_b32 exec_lo, exec_lo, s15
	s_delay_alu instid0(SALU_CYCLE_1)
	s_and_b32 exec_lo, exec_lo, s17
	s_cbranch_execnz .LBB1082_222
	s_branch .LBB1082_223
.LBB1082_203:
	s_and_not1_saveexec_b32 s0, s16
	s_cbranch_execz .LBB1082_240
.LBB1082_204:
	v_sub_nc_u32_e32 v7, v48, v5
	v_sub_nc_u32_e32 v8, v42, v5
	;; [unrolled: 1-line block ×5, first 2 shown]
	v_lshlrev_b32_e32 v7, 1, v7
	v_lshlrev_b32_e32 v8, 1, v8
	;; [unrolled: 1-line block ×4, first 2 shown]
	s_or_b32 s17, s17, exec_lo
	ds_store_b16 v7, v49
	ds_store_b16 v8, v43
	;; [unrolled: 1-line block ×3, first 2 shown]
	v_sub_nc_u32_e32 v7, v28, v5
	v_sub_nc_u32_e32 v8, v24, v5
	;; [unrolled: 1-line block ×3, first 2 shown]
	ds_store_b16 v14, v41
	v_sub_nc_u32_e32 v14, v46, v5
	v_lshlrev_b32_e32 v7, 1, v7
	v_lshlrev_b32_e32 v8, 1, v8
	;; [unrolled: 1-line block ×3, first 2 shown]
	s_delay_alu instid0(VALU_DEP_4)
	v_lshlrev_b32_e32 v14, 1, v14
	ds_store_b16 v7, v29
	v_lshlrev_b32_e32 v7, 1, v15
	ds_store_b16 v8, v25
	ds_store_b16 v13, v27
	;; [unrolled: 1-line block ×3, first 2 shown]
	v_sub_nc_u32_e32 v8, v38, v5
	v_sub_nc_u32_e32 v15, v32, v5
	;; [unrolled: 1-line block ×3, first 2 shown]
	ds_store_b16 v7, v51
	v_sub_nc_u32_e32 v7, v36, v5
	v_lshlrev_b32_e32 v8, 1, v8
	v_sub_nc_u32_e32 v14, v34, v5
	v_lshlrev_b32_e32 v13, 1, v13
	s_delay_alu instid0(VALU_DEP_4)
	v_lshlrev_b32_e32 v7, 1, v7
	ds_store_b16 v8, v39
	v_lshlrev_b32_e32 v8, 1, v15
	v_lshlrev_b32_e32 v14, 1, v14
	ds_store_b16 v7, v37
	ds_store_b16 v13, v31
	;; [unrolled: 1-line block ×4, first 2 shown]
	s_or_b32 exec_lo, exec_lo, s0
	s_delay_alu instid0(SALU_CYCLE_1)
	s_and_b32 exec_lo, exec_lo, s17
	s_cbranch_execnz .LBB1082_241
	s_branch .LBB1082_242
.LBB1082_205:
	s_or_b32 exec_lo, exec_lo, s2
	v_mov_b32_e32 v83, s1
	s_and_saveexec_b32 s1, s41
	s_cbranch_execnz .LBB1082_72
	s_branch .LBB1082_73
.LBB1082_206:
	s_or_b32 exec_lo, exec_lo, s17
	s_and_saveexec_b32 s17, s13
	s_cbranch_execz .LBB1082_172
.LBB1082_207:
	v_sub_nc_u32_e32 v13, v42, v5
	v_mov_b32_e32 v14, 0
	s_delay_alu instid0(VALU_DEP_1) | instskip(NEXT) | instid1(VALU_DEP_1)
	v_lshlrev_b64 v[13:14], 1, v[13:14]
	v_add_co_u32 v13, vcc_lo, v11, v13
	s_delay_alu instid0(VALU_DEP_2)
	v_add_co_ci_u32_e32 v14, vcc_lo, v12, v14, vcc_lo
	global_store_b16 v[13:14], v43, off
	s_or_b32 exec_lo, exec_lo, s17
	s_and_saveexec_b32 s17, s12
	s_cbranch_execnz .LBB1082_173
.LBB1082_208:
	s_or_b32 exec_lo, exec_lo, s17
	s_and_saveexec_b32 s17, s11
	s_cbranch_execz .LBB1082_174
.LBB1082_209:
	v_sub_nc_u32_e32 v13, v40, v5
	v_mov_b32_e32 v14, 0
	s_delay_alu instid0(VALU_DEP_1) | instskip(NEXT) | instid1(VALU_DEP_1)
	v_lshlrev_b64 v[13:14], 1, v[13:14]
	v_add_co_u32 v13, vcc_lo, v11, v13
	s_delay_alu instid0(VALU_DEP_2)
	v_add_co_ci_u32_e32 v14, vcc_lo, v12, v14, vcc_lo
	global_store_b16 v[13:14], v41, off
	s_or_b32 exec_lo, exec_lo, s17
	s_and_saveexec_b32 s17, s10
	s_cbranch_execnz .LBB1082_175
.LBB1082_210:
	s_or_b32 exec_lo, exec_lo, s17
	s_and_saveexec_b32 s17, s9
	s_cbranch_execz .LBB1082_176
.LBB1082_211:
	v_sub_nc_u32_e32 v13, v24, v5
	v_mov_b32_e32 v14, 0
	s_delay_alu instid0(VALU_DEP_1) | instskip(NEXT) | instid1(VALU_DEP_1)
	v_lshlrev_b64 v[13:14], 1, v[13:14]
	v_add_co_u32 v13, vcc_lo, v11, v13
	s_delay_alu instid0(VALU_DEP_2)
	v_add_co_ci_u32_e32 v14, vcc_lo, v12, v14, vcc_lo
	global_store_b16 v[13:14], v25, off
	s_or_b32 exec_lo, exec_lo, s17
	s_and_saveexec_b32 s17, s8
	s_cbranch_execnz .LBB1082_177
.LBB1082_212:
	s_or_b32 exec_lo, exec_lo, s17
	s_and_saveexec_b32 s17, s7
	s_cbranch_execz .LBB1082_178
.LBB1082_213:
	v_sub_nc_u32_e32 v13, v46, v5
	v_mov_b32_e32 v14, 0
	s_delay_alu instid0(VALU_DEP_1) | instskip(NEXT) | instid1(VALU_DEP_1)
	v_lshlrev_b64 v[13:14], 1, v[13:14]
	v_add_co_u32 v13, vcc_lo, v11, v13
	s_delay_alu instid0(VALU_DEP_2)
	v_add_co_ci_u32_e32 v14, vcc_lo, v12, v14, vcc_lo
	global_store_b16 v[13:14], v47, off
	s_or_b32 exec_lo, exec_lo, s17
	s_and_saveexec_b32 s17, s6
	s_cbranch_execnz .LBB1082_179
.LBB1082_214:
	s_or_b32 exec_lo, exec_lo, s17
	s_and_saveexec_b32 s17, s5
	s_cbranch_execz .LBB1082_180
.LBB1082_215:
	v_sub_nc_u32_e32 v13, v38, v5
	v_mov_b32_e32 v14, 0
	s_delay_alu instid0(VALU_DEP_1) | instskip(NEXT) | instid1(VALU_DEP_1)
	v_lshlrev_b64 v[13:14], 1, v[13:14]
	v_add_co_u32 v13, vcc_lo, v11, v13
	s_delay_alu instid0(VALU_DEP_2)
	v_add_co_ci_u32_e32 v14, vcc_lo, v12, v14, vcc_lo
	global_store_b16 v[13:14], v39, off
	s_or_b32 exec_lo, exec_lo, s17
	s_and_saveexec_b32 s17, s4
	s_cbranch_execnz .LBB1082_181
.LBB1082_216:
	s_or_b32 exec_lo, exec_lo, s17
	s_and_saveexec_b32 s17, s3
	s_cbranch_execz .LBB1082_182
.LBB1082_217:
	v_sub_nc_u32_e32 v13, v30, v5
	v_mov_b32_e32 v14, 0
	s_delay_alu instid0(VALU_DEP_1) | instskip(NEXT) | instid1(VALU_DEP_1)
	v_lshlrev_b64 v[13:14], 1, v[13:14]
	v_add_co_u32 v13, vcc_lo, v11, v13
	s_delay_alu instid0(VALU_DEP_2)
	v_add_co_ci_u32_e32 v14, vcc_lo, v12, v14, vcc_lo
	global_store_b16 v[13:14], v31, off
	s_or_b32 exec_lo, exec_lo, s17
	s_and_saveexec_b32 s17, s2
	s_cbranch_execnz .LBB1082_183
.LBB1082_218:
	s_or_b32 exec_lo, exec_lo, s17
	s_and_saveexec_b32 s17, s1
	s_cbranch_execz .LBB1082_220
.LBB1082_219:
	v_sub_nc_u32_e32 v13, v32, v5
	v_mov_b32_e32 v14, 0
	s_delay_alu instid0(VALU_DEP_1) | instskip(NEXT) | instid1(VALU_DEP_1)
	v_lshlrev_b64 v[13:14], 1, v[13:14]
	v_add_co_u32 v13, vcc_lo, v11, v13
	s_delay_alu instid0(VALU_DEP_2)
	v_add_co_ci_u32_e32 v14, vcc_lo, v12, v14, vcc_lo
	global_store_b16 v[13:14], v33, off
.LBB1082_220:
	s_or_b32 exec_lo, exec_lo, s17
	s_delay_alu instid0(SALU_CYCLE_1)
	s_and_b32 s17, s0, exec_lo
	s_and_not1_saveexec_b32 s15, s15
	s_cbranch_execnz .LBB1082_202
.LBB1082_221:
	s_or_b32 exec_lo, exec_lo, s15
	s_delay_alu instid0(SALU_CYCLE_1)
	s_and_b32 exec_lo, exec_lo, s17
	s_cbranch_execz .LBB1082_223
.LBB1082_222:
	v_sub_nc_u32_e32 v13, v22, v5
	v_mov_b32_e32 v14, 0
	s_delay_alu instid0(VALU_DEP_1) | instskip(NEXT) | instid1(VALU_DEP_1)
	v_lshlrev_b64 v[13:14], 1, v[13:14]
	v_add_co_u32 v13, vcc_lo, v11, v13
	s_delay_alu instid0(VALU_DEP_2)
	v_add_co_ci_u32_e32 v14, vcc_lo, v12, v14, vcc_lo
	global_store_b16 v[13:14], v23, off
.LBB1082_223:
	s_or_b32 exec_lo, exec_lo, s16
.LBB1082_224:
	v_cmp_eq_u32_e32 vcc_lo, 0xff, v0
	s_and_b32 s0, vcc_lo, s23
	s_delay_alu instid0(SALU_CYCLE_1)
	s_and_saveexec_b32 s1, s0
	s_cbranch_execnz .LBB1082_258
	s_branch .LBB1082_260
.LBB1082_225:
	s_or_b32 exec_lo, exec_lo, s17
	s_and_saveexec_b32 s14, s13
	s_cbranch_execz .LBB1082_189
.LBB1082_226:
	v_sub_nc_u32_e32 v7, v42, v5
	s_delay_alu instid0(VALU_DEP_1)
	v_lshlrev_b32_e32 v7, 1, v7
	ds_store_b16 v7, v43
	s_or_b32 exec_lo, exec_lo, s14
	s_and_saveexec_b32 s13, s12
	s_cbranch_execnz .LBB1082_190
.LBB1082_227:
	s_or_b32 exec_lo, exec_lo, s13
	s_and_saveexec_b32 s12, s11
	s_cbranch_execz .LBB1082_191
.LBB1082_228:
	v_sub_nc_u32_e32 v7, v40, v5
	s_delay_alu instid0(VALU_DEP_1)
	v_lshlrev_b32_e32 v7, 1, v7
	ds_store_b16 v7, v41
	s_or_b32 exec_lo, exec_lo, s12
	s_and_saveexec_b32 s11, s10
	s_cbranch_execnz .LBB1082_192
.LBB1082_229:
	s_or_b32 exec_lo, exec_lo, s11
	s_and_saveexec_b32 s10, s9
	s_cbranch_execz .LBB1082_193
.LBB1082_230:
	v_sub_nc_u32_e32 v7, v24, v5
	s_delay_alu instid0(VALU_DEP_1)
	v_lshlrev_b32_e32 v7, 1, v7
	ds_store_b16 v7, v25
	s_or_b32 exec_lo, exec_lo, s10
	s_and_saveexec_b32 s9, s8
	s_cbranch_execnz .LBB1082_194
.LBB1082_231:
	s_or_b32 exec_lo, exec_lo, s9
	s_and_saveexec_b32 s8, s7
	s_cbranch_execz .LBB1082_195
.LBB1082_232:
	v_sub_nc_u32_e32 v7, v46, v5
	s_delay_alu instid0(VALU_DEP_1)
	v_lshlrev_b32_e32 v7, 1, v7
	ds_store_b16 v7, v47
	s_or_b32 exec_lo, exec_lo, s8
	s_and_saveexec_b32 s7, s6
	s_cbranch_execnz .LBB1082_196
.LBB1082_233:
	s_or_b32 exec_lo, exec_lo, s7
	s_and_saveexec_b32 s6, s5
	s_cbranch_execz .LBB1082_197
.LBB1082_234:
	v_sub_nc_u32_e32 v7, v38, v5
	s_delay_alu instid0(VALU_DEP_1)
	v_lshlrev_b32_e32 v7, 1, v7
	ds_store_b16 v7, v39
	s_or_b32 exec_lo, exec_lo, s6
	s_and_saveexec_b32 s5, s4
	s_cbranch_execnz .LBB1082_198
.LBB1082_235:
	s_or_b32 exec_lo, exec_lo, s5
	s_and_saveexec_b32 s4, s3
	s_cbranch_execz .LBB1082_199
.LBB1082_236:
	v_sub_nc_u32_e32 v7, v30, v5
	s_delay_alu instid0(VALU_DEP_1)
	v_lshlrev_b32_e32 v7, 1, v7
	ds_store_b16 v7, v31
	s_or_b32 exec_lo, exec_lo, s4
	s_and_saveexec_b32 s3, s2
	s_cbranch_execnz .LBB1082_200
.LBB1082_237:
	s_or_b32 exec_lo, exec_lo, s3
	s_and_saveexec_b32 s2, s1
	s_cbranch_execz .LBB1082_239
.LBB1082_238:
	v_sub_nc_u32_e32 v7, v32, v5
	s_delay_alu instid0(VALU_DEP_1)
	v_lshlrev_b32_e32 v7, 1, v7
	ds_store_b16 v7, v33
.LBB1082_239:
	s_or_b32 exec_lo, exec_lo, s2
	s_delay_alu instid0(SALU_CYCLE_1)
	s_and_b32 s17, s0, exec_lo
                                        ; implicit-def: $vgpr48_vgpr49
                                        ; implicit-def: $vgpr42_vgpr43
                                        ; implicit-def: $vgpr44_vgpr45
                                        ; implicit-def: $vgpr40_vgpr41
                                        ; implicit-def: $vgpr28_vgpr29
                                        ; implicit-def: $vgpr24_vgpr25
                                        ; implicit-def: $vgpr26_vgpr27
                                        ; implicit-def: $vgpr46_vgpr47
                                        ; implicit-def: $vgpr50_vgpr51
                                        ; implicit-def: $vgpr38_vgpr39
                                        ; implicit-def: $vgpr36_vgpr37
                                        ; implicit-def: $vgpr30_vgpr31
                                        ; implicit-def: $vgpr34_vgpr35
                                        ; implicit-def: $vgpr32_vgpr33
	s_and_not1_saveexec_b32 s0, s16
	s_cbranch_execnz .LBB1082_204
.LBB1082_240:
	s_or_b32 exec_lo, exec_lo, s0
	s_delay_alu instid0(SALU_CYCLE_1)
	s_and_b32 exec_lo, exec_lo, s17
	s_cbranch_execz .LBB1082_242
.LBB1082_241:
	v_sub_nc_u32_e32 v5, v22, v5
	s_delay_alu instid0(VALU_DEP_1)
	v_lshlrev_b32_e32 v5, 1, v5
	ds_store_b16 v5, v23
.LBB1082_242:
	s_or_b32 exec_lo, exec_lo, s15
	s_delay_alu instid0(SALU_CYCLE_1)
	s_mov_b32 s1, exec_lo
	s_waitcnt lgkmcnt(0)
	s_waitcnt_vscnt null, 0x0
	s_barrier
	buffer_gl0_inv
	v_cmpx_lt_u32_e64 v0, v3
	s_cbranch_execz .LBB1082_257
; %bb.243:
	v_add_nc_u32_e32 v7, v2, v6
	s_mov_b32 s0, -1
	s_mov_b32 s3, exec_lo
	s_delay_alu instid0(VALU_DEP_1) | instskip(NEXT) | instid1(VALU_DEP_1)
	v_xad_u32 v5, v0, -1, v7
	v_sub_nc_u32_e32 v6, v5, v1
	v_mov_b32_e32 v5, v0
	s_delay_alu instid0(VALU_DEP_2)
	v_cmp_gt_u32_e64 s2, 0x1b00, v6
	v_cmpx_lt_u32_e32 0x1aff, v6
	s_cbranch_execz .LBB1082_254
; %bb.244:
	v_sub_nc_u32_e32 v5, v0, v7
	s_mov_b32 s4, exec_lo
	s_delay_alu instid0(VALU_DEP_1) | instskip(SKIP_1) | instid1(VALU_DEP_2)
	v_add_nc_u32_e32 v1, v5, v1
	v_mov_b32_e32 v5, v0
	v_or_b32_e32 v1, 0xff, v1
	s_delay_alu instid0(VALU_DEP_1)
	v_cmpx_ge_u32_e64 v1, v0
	s_cbranch_execz .LBB1082_253
; %bb.245:
	v_lshrrev_b32_e32 v13, 8, v6
	v_or_b32_e32 v1, 0x100, v0
	v_lshlrev_b32_e32 v14, 1, v0
	s_delay_alu instid0(VALU_DEP_3) | instskip(NEXT) | instid1(VALU_DEP_1)
	v_dual_mov_b32 v18, 0 :: v_dual_add_nc_u32 v5, -1, v13
	v_lshrrev_b32_e32 v6, 1, v5
	v_cmp_lt_u32_e32 vcc_lo, 13, v5
	s_delay_alu instid0(VALU_DEP_2)
	v_dual_mov_b32 v6, v1 :: v_dual_add_nc_u32 v15, 1, v6
	v_mov_b32_e32 v5, v0
	s_and_saveexec_b32 s0, vcc_lo
	s_cbranch_execz .LBB1082_249
; %bb.246:
	v_mov_b32_e32 v6, v1
	v_dual_mov_b32 v17, v14 :: v_dual_and_b32 v16, -8, v15
	v_dual_mov_b32 v8, 0 :: v_dual_mov_b32 v5, v0
	s_mov_b32 s5, 0
	s_mov_b32 s6, 0
.LBB1082_247:                           ; =>This Inner Loop Header: Depth=1
	s_delay_alu instid0(VALU_DEP_1) | instskip(NEXT) | instid1(VALU_DEP_2)
	v_dual_mov_b32 v7, v5 :: v_dual_add_nc_u32 v22, 0x200, v6
	v_dual_mov_b32 v35, v8 :: v_dual_add_nc_u32 v16, -8, v16
	v_dual_mov_b32 v23, v8 :: v_dual_add_nc_u32 v24, 0x400, v6
	s_delay_alu instid0(VALU_DEP_3) | instskip(SKIP_1) | instid1(VALU_DEP_4)
	v_lshlrev_b64 v[36:37], 1, v[7:8]
	v_dual_mov_b32 v25, v8 :: v_dual_add_nc_u32 v26, 0x600, v6
	v_cmp_eq_u32_e32 vcc_lo, 0, v16
	s_delay_alu instid0(VALU_DEP_4)
	v_lshlrev_b64 v[22:23], 1, v[22:23]
	v_dual_mov_b32 v27, v8 :: v_dual_add_nc_u32 v28, 0x800, v6
	s_add_i32 s6, s6, 16
	v_lshlrev_b64 v[24:25], 1, v[24:25]
	s_or_b32 s5, vcc_lo, s5
	v_add_co_u32 v36, vcc_lo, v11, v36
	v_dual_mov_b32 v29, v8 :: v_dual_add_nc_u32 v30, 0xa00, v6
	v_add_co_ci_u32_e32 v37, vcc_lo, v12, v37, vcc_lo
	v_lshlrev_b64 v[26:27], 1, v[26:27]
	v_add_co_u32 v22, vcc_lo, v11, v22
	v_dual_mov_b32 v31, v8 :: v_dual_add_nc_u32 v32, 0xc00, v6
	v_add_co_ci_u32_e32 v23, vcc_lo, v12, v23, vcc_lo
	v_lshlrev_b64 v[28:29], 1, v[28:29]
	;; [unrolled: 4-line block ×4, first 2 shown]
	v_add_co_u32 v28, vcc_lo, v11, v28
	ds_load_u16 v1, v17
	ds_load_u16 v19, v17 offset:512
	ds_load_u16 v42, v17 offset:1024
	;; [unrolled: 1-line block ×7, first 2 shown]
	v_add_co_ci_u32_e32 v29, vcc_lo, v12, v29, vcc_lo
	v_lshlrev_b64 v[34:35], 1, v[34:35]
	v_add_co_u32 v30, vcc_lo, v11, v30
	v_lshlrev_b64 v[38:39], 1, v[7:8]
	v_add_nc_u32_e32 v7, 0x200, v5
	v_add_co_ci_u32_e32 v31, vcc_lo, v12, v31, vcc_lo
	v_add_co_u32 v32, vcc_lo, v11, v32
	v_add_co_ci_u32_e32 v33, vcc_lo, v12, v33, vcc_lo
	v_add_co_u32 v34, vcc_lo, v11, v34
	v_lshlrev_b64 v[40:41], 1, v[7:8]
	v_add_nc_u32_e32 v7, 0x400, v5
	v_add_co_ci_u32_e32 v35, vcc_lo, v12, v35, vcc_lo
	v_add_co_u32 v38, vcc_lo, v11, v38
	ds_load_u16 v48, v17 offset:4096
	ds_load_u16 v49, v17 offset:4608
	ds_load_u16 v50, v17 offset:5120
	ds_load_u16 v51, v17 offset:5632
	ds_load_u16 v52, v17 offset:6144
	ds_load_u16 v53, v17 offset:6656
	ds_load_u16 v54, v17 offset:7168
	ds_load_u16 v55, v17 offset:7680
	v_add_co_ci_u32_e32 v39, vcc_lo, v12, v39, vcc_lo
	s_waitcnt lgkmcnt(15)
	global_store_b16 v[36:37], v1, off
	v_lshlrev_b64 v[36:37], 1, v[7:8]
	v_add_nc_u32_e32 v7, 0x600, v5
	v_add_co_u32 v40, vcc_lo, v11, v40
	v_add_co_ci_u32_e32 v41, vcc_lo, v12, v41, vcc_lo
	s_waitcnt lgkmcnt(14)
	global_store_b16 v[38:39], v19, off
	v_lshlrev_b64 v[38:39], 1, v[7:8]
	v_add_nc_u32_e32 v7, 0x800, v5
	s_waitcnt lgkmcnt(13)
	global_store_b16 v[40:41], v42, off
	s_waitcnt lgkmcnt(12)
	global_store_b16 v[22:23], v43, off
	v_add_co_u32 v22, vcc_lo, v11, v36
	v_add_co_ci_u32_e32 v23, vcc_lo, v12, v37, vcc_lo
	v_lshlrev_b64 v[36:37], 1, v[7:8]
	v_add_nc_u32_e32 v7, 0xa00, v5
	v_add_co_u32 v38, vcc_lo, v11, v38
	v_add_co_ci_u32_e32 v39, vcc_lo, v12, v39, vcc_lo
	s_waitcnt lgkmcnt(11)
	global_store_b16 v[22:23], v44, off
	s_waitcnt lgkmcnt(10)
	global_store_b16 v[24:25], v45, off
	v_lshlrev_b64 v[22:23], 1, v[7:8]
	v_add_nc_u32_e32 v7, 0xc00, v5
	v_add_co_u32 v24, vcc_lo, v11, v36
	s_waitcnt lgkmcnt(9)
	global_store_b16 v[38:39], v46, off
	s_waitcnt lgkmcnt(8)
	global_store_b16 v[26:27], v47, off
	v_add_co_ci_u32_e32 v25, vcc_lo, v12, v37, vcc_lo
	v_lshlrev_b64 v[26:27], 1, v[7:8]
	v_add_nc_u32_e32 v7, 0xe00, v5
	v_add_co_u32 v22, vcc_lo, v11, v22
	v_add_co_ci_u32_e32 v23, vcc_lo, v12, v23, vcc_lo
	s_waitcnt lgkmcnt(7)
	global_store_b16 v[24:25], v48, off
	s_waitcnt lgkmcnt(6)
	global_store_b16 v[28:29], v49, off
	v_lshlrev_b64 v[24:25], 1, v[7:8]
	v_dual_mov_b32 v18, s6 :: v_dual_add_nc_u32 v17, 0x2000, v17
	s_waitcnt lgkmcnt(5)
	global_store_b16 v[22:23], v50, off
	v_add_co_u32 v22, vcc_lo, v11, v26
	v_add_nc_u32_e32 v5, 0x1000, v5
	v_add_co_ci_u32_e32 v23, vcc_lo, v12, v27, vcc_lo
	v_add_co_u32 v24, vcc_lo, v11, v24
	v_add_co_ci_u32_e32 v25, vcc_lo, v12, v25, vcc_lo
	s_waitcnt lgkmcnt(4)
	global_store_b16 v[30:31], v51, off
	s_waitcnt lgkmcnt(3)
	global_store_b16 v[22:23], v52, off
	;; [unrolled: 2-line block ×5, first 2 shown]
	s_and_not1_b32 exec_lo, exec_lo, s5
	s_cbranch_execnz .LBB1082_247
; %bb.248:
	s_or_b32 exec_lo, exec_lo, s5
.LBB1082_249:
	s_delay_alu instid0(SALU_CYCLE_1) | instskip(SKIP_3) | instid1(VALU_DEP_1)
	s_or_b32 exec_lo, exec_lo, s0
	v_and_b32_e32 v1, 7, v15
	s_mov_b32 s6, 0
	s_mov_b32 s5, exec_lo
	v_cmpx_ne_u32_e32 0, v1
	s_cbranch_execz .LBB1082_252
; %bb.250:
	v_lshl_or_b32 v14, v18, 9, v14
	v_mov_b32_e32 v8, 0
	s_set_inst_prefetch_distance 0x1
	.p2align	6
.LBB1082_251:                           ; =>This Inner Loop Header: Depth=1
	v_mov_b32_e32 v7, v5
	ds_load_u16 v19, v14
	ds_load_u16 v22, v14 offset:512
	v_add_nc_u32_e32 v14, 0x400, v14
	v_add_nc_u32_e32 v1, -1, v1
	v_add_nc_u32_e32 v5, 0x200, v5
	v_lshlrev_b64 v[15:16], 1, v[7:8]
	v_dual_mov_b32 v7, v6 :: v_dual_add_nc_u32 v6, 0x200, v6
	s_delay_alu instid0(VALU_DEP_4) | instskip(NEXT) | instid1(VALU_DEP_2)
	v_cmp_eq_u32_e32 vcc_lo, 0, v1
	v_lshlrev_b64 v[17:18], 1, v[7:8]
	s_delay_alu instid0(VALU_DEP_4) | instskip(NEXT) | instid1(VALU_DEP_1)
	v_add_co_u32 v15, s0, v11, v15
	v_add_co_ci_u32_e64 v16, s0, v12, v16, s0
	s_or_b32 s6, vcc_lo, s6
	s_delay_alu instid0(VALU_DEP_3) | instskip(NEXT) | instid1(VALU_DEP_1)
	v_add_co_u32 v17, s0, v11, v17
	v_add_co_ci_u32_e64 v18, s0, v12, v18, s0
	s_waitcnt lgkmcnt(1)
	global_store_b16 v[15:16], v19, off
	s_waitcnt lgkmcnt(0)
	global_store_b16 v[17:18], v22, off
	s_and_not1_b32 exec_lo, exec_lo, s6
	s_cbranch_execnz .LBB1082_251
.LBB1082_252:
	s_set_inst_prefetch_distance 0x2
	s_or_b32 exec_lo, exec_lo, s5
	v_add_nc_u32_e32 v1, 1, v13
	s_delay_alu instid0(VALU_DEP_1) | instskip(NEXT) | instid1(VALU_DEP_1)
	v_and_b32_e32 v5, 0x1fffffe, v1
	v_cmp_ne_u32_e32 vcc_lo, v1, v5
	v_lshl_or_b32 v5, v5, 8, v0
	s_or_not1_b32 s0, vcc_lo, exec_lo
.LBB1082_253:
	s_or_b32 exec_lo, exec_lo, s4
	s_delay_alu instid0(SALU_CYCLE_1) | instskip(SKIP_1) | instid1(SALU_CYCLE_1)
	s_and_not1_b32 s2, s2, exec_lo
	s_and_b32 s0, s0, exec_lo
	s_or_b32 s2, s2, s0
.LBB1082_254:
	s_or_b32 exec_lo, exec_lo, s3
	s_delay_alu instid0(VALU_DEP_2) | instid1(SALU_CYCLE_1)
	s_and_b32 exec_lo, exec_lo, s2
	s_cbranch_execz .LBB1082_257
; %bb.255:
	v_dual_mov_b32 v6, 0 :: v_dual_lshlrev_b32 v1, 1, v5
	s_mov_b32 s2, 0
	.p2align	6
.LBB1082_256:                           ; =>This Inner Loop Header: Depth=1
	ds_load_u16 v13, v1
	v_lshlrev_b64 v[7:8], 1, v[5:6]
	v_add_nc_u32_e32 v5, 0x100, v5
	v_add_nc_u32_e32 v1, 0x200, v1
	s_delay_alu instid0(VALU_DEP_2) | instskip(NEXT) | instid1(VALU_DEP_4)
	v_cmp_ge_u32_e32 vcc_lo, v5, v3
	v_add_co_u32 v7, s0, v11, v7
	s_delay_alu instid0(VALU_DEP_1)
	v_add_co_ci_u32_e64 v8, s0, v12, v8, s0
	s_or_b32 s2, vcc_lo, s2
	s_waitcnt lgkmcnt(0)
	global_store_b16 v[7:8], v13, off
	s_and_not1_b32 exec_lo, exec_lo, s2
	s_cbranch_execnz .LBB1082_256
.LBB1082_257:
	s_or_b32 exec_lo, exec_lo, s1
	v_cmp_eq_u32_e32 vcc_lo, 0xff, v0
	s_and_b32 s0, vcc_lo, s23
	s_delay_alu instid0(SALU_CYCLE_1)
	s_and_saveexec_b32 s1, s0
	s_cbranch_execz .LBB1082_260
.LBB1082_258:
	v_add_co_u32 v0, s0, v2, v4
	s_delay_alu instid0(VALU_DEP_1) | instskip(SKIP_1) | instid1(VALU_DEP_3)
	v_add_co_ci_u32_e64 v1, null, 0, 0, s0
	v_mov_b32_e32 v3, 0
	v_add_co_u32 v0, vcc_lo, v0, v20
	s_delay_alu instid0(VALU_DEP_3)
	v_add_co_ci_u32_e32 v1, vcc_lo, v1, v21, vcc_lo
	s_cmpk_lg_i32 s33, 0xf00
	global_store_b64 v3, v[0:1], s[30:31]
	s_cbranch_scc1 .LBB1082_260
; %bb.259:
	v_lshlrev_b64 v[0:1], 1, v[2:3]
	s_delay_alu instid0(VALU_DEP_1) | instskip(NEXT) | instid1(VALU_DEP_2)
	v_add_co_u32 v0, vcc_lo, v9, v0
	v_add_co_ci_u32_e32 v1, vcc_lo, v10, v1, vcc_lo
	global_store_b16 v[0:1], v82, off offset:-2
	s_nop 0
	s_sendmsg sendmsg(MSG_DEALLOC_VGPRS)
	s_endpgm
.LBB1082_260:
	s_nop 0
	s_sendmsg sendmsg(MSG_DEALLOC_VGPRS)
	s_endpgm
	.section	.rodata,"a",@progbits
	.p2align	6, 0x0
	.amdhsa_kernel _ZN7rocprim17ROCPRIM_400000_NS6detail17trampoline_kernelINS0_14default_configENS1_29reduce_by_key_config_selectorIjsN6thrust23THRUST_200600_302600_NS4plusIsEEEEZZNS1_33reduce_by_key_impl_wrapped_configILNS1_25lookback_scan_determinismE0ES3_S9_NS6_6detail15normal_iteratorINS6_10device_ptrIjEEEENSD_INSE_IsEEEENS6_16discard_iteratorINS6_11use_defaultEEESI_PmS8_NS6_8equal_toIjEEEE10hipError_tPvRmT2_T3_mT4_T5_T6_T7_T8_P12ihipStream_tbENKUlT_T0_E_clISt17integral_constantIbLb1EES15_IbLb0EEEEDaS11_S12_EUlS11_E_NS1_11comp_targetILNS1_3genE9ELNS1_11target_archE1100ELNS1_3gpuE3ELNS1_3repE0EEENS1_30default_config_static_selectorELNS0_4arch9wavefront6targetE0EEEvT1_
		.amdhsa_group_segment_fixed_size 15360
		.amdhsa_private_segment_fixed_size 0
		.amdhsa_kernarg_size 128
		.amdhsa_user_sgpr_count 15
		.amdhsa_user_sgpr_dispatch_ptr 0
		.amdhsa_user_sgpr_queue_ptr 0
		.amdhsa_user_sgpr_kernarg_segment_ptr 1
		.amdhsa_user_sgpr_dispatch_id 0
		.amdhsa_user_sgpr_private_segment_size 0
		.amdhsa_wavefront_size32 1
		.amdhsa_uses_dynamic_stack 0
		.amdhsa_enable_private_segment 0
		.amdhsa_system_sgpr_workgroup_id_x 1
		.amdhsa_system_sgpr_workgroup_id_y 0
		.amdhsa_system_sgpr_workgroup_id_z 0
		.amdhsa_system_sgpr_workgroup_info 0
		.amdhsa_system_vgpr_workitem_id 0
		.amdhsa_next_free_vgpr 89
		.amdhsa_next_free_sgpr 44
		.amdhsa_reserve_vcc 1
		.amdhsa_float_round_mode_32 0
		.amdhsa_float_round_mode_16_64 0
		.amdhsa_float_denorm_mode_32 3
		.amdhsa_float_denorm_mode_16_64 3
		.amdhsa_dx10_clamp 1
		.amdhsa_ieee_mode 1
		.amdhsa_fp16_overflow 0
		.amdhsa_workgroup_processor_mode 1
		.amdhsa_memory_ordered 1
		.amdhsa_forward_progress 0
		.amdhsa_shared_vgpr_count 0
		.amdhsa_exception_fp_ieee_invalid_op 0
		.amdhsa_exception_fp_denorm_src 0
		.amdhsa_exception_fp_ieee_div_zero 0
		.amdhsa_exception_fp_ieee_overflow 0
		.amdhsa_exception_fp_ieee_underflow 0
		.amdhsa_exception_fp_ieee_inexact 0
		.amdhsa_exception_int_div_zero 0
	.end_amdhsa_kernel
	.section	.text._ZN7rocprim17ROCPRIM_400000_NS6detail17trampoline_kernelINS0_14default_configENS1_29reduce_by_key_config_selectorIjsN6thrust23THRUST_200600_302600_NS4plusIsEEEEZZNS1_33reduce_by_key_impl_wrapped_configILNS1_25lookback_scan_determinismE0ES3_S9_NS6_6detail15normal_iteratorINS6_10device_ptrIjEEEENSD_INSE_IsEEEENS6_16discard_iteratorINS6_11use_defaultEEESI_PmS8_NS6_8equal_toIjEEEE10hipError_tPvRmT2_T3_mT4_T5_T6_T7_T8_P12ihipStream_tbENKUlT_T0_E_clISt17integral_constantIbLb1EES15_IbLb0EEEEDaS11_S12_EUlS11_E_NS1_11comp_targetILNS1_3genE9ELNS1_11target_archE1100ELNS1_3gpuE3ELNS1_3repE0EEENS1_30default_config_static_selectorELNS0_4arch9wavefront6targetE0EEEvT1_,"axG",@progbits,_ZN7rocprim17ROCPRIM_400000_NS6detail17trampoline_kernelINS0_14default_configENS1_29reduce_by_key_config_selectorIjsN6thrust23THRUST_200600_302600_NS4plusIsEEEEZZNS1_33reduce_by_key_impl_wrapped_configILNS1_25lookback_scan_determinismE0ES3_S9_NS6_6detail15normal_iteratorINS6_10device_ptrIjEEEENSD_INSE_IsEEEENS6_16discard_iteratorINS6_11use_defaultEEESI_PmS8_NS6_8equal_toIjEEEE10hipError_tPvRmT2_T3_mT4_T5_T6_T7_T8_P12ihipStream_tbENKUlT_T0_E_clISt17integral_constantIbLb1EES15_IbLb0EEEEDaS11_S12_EUlS11_E_NS1_11comp_targetILNS1_3genE9ELNS1_11target_archE1100ELNS1_3gpuE3ELNS1_3repE0EEENS1_30default_config_static_selectorELNS0_4arch9wavefront6targetE0EEEvT1_,comdat
.Lfunc_end1082:
	.size	_ZN7rocprim17ROCPRIM_400000_NS6detail17trampoline_kernelINS0_14default_configENS1_29reduce_by_key_config_selectorIjsN6thrust23THRUST_200600_302600_NS4plusIsEEEEZZNS1_33reduce_by_key_impl_wrapped_configILNS1_25lookback_scan_determinismE0ES3_S9_NS6_6detail15normal_iteratorINS6_10device_ptrIjEEEENSD_INSE_IsEEEENS6_16discard_iteratorINS6_11use_defaultEEESI_PmS8_NS6_8equal_toIjEEEE10hipError_tPvRmT2_T3_mT4_T5_T6_T7_T8_P12ihipStream_tbENKUlT_T0_E_clISt17integral_constantIbLb1EES15_IbLb0EEEEDaS11_S12_EUlS11_E_NS1_11comp_targetILNS1_3genE9ELNS1_11target_archE1100ELNS1_3gpuE3ELNS1_3repE0EEENS1_30default_config_static_selectorELNS0_4arch9wavefront6targetE0EEEvT1_, .Lfunc_end1082-_ZN7rocprim17ROCPRIM_400000_NS6detail17trampoline_kernelINS0_14default_configENS1_29reduce_by_key_config_selectorIjsN6thrust23THRUST_200600_302600_NS4plusIsEEEEZZNS1_33reduce_by_key_impl_wrapped_configILNS1_25lookback_scan_determinismE0ES3_S9_NS6_6detail15normal_iteratorINS6_10device_ptrIjEEEENSD_INSE_IsEEEENS6_16discard_iteratorINS6_11use_defaultEEESI_PmS8_NS6_8equal_toIjEEEE10hipError_tPvRmT2_T3_mT4_T5_T6_T7_T8_P12ihipStream_tbENKUlT_T0_E_clISt17integral_constantIbLb1EES15_IbLb0EEEEDaS11_S12_EUlS11_E_NS1_11comp_targetILNS1_3genE9ELNS1_11target_archE1100ELNS1_3gpuE3ELNS1_3repE0EEENS1_30default_config_static_selectorELNS0_4arch9wavefront6targetE0EEEvT1_
                                        ; -- End function
	.section	.AMDGPU.csdata,"",@progbits
; Kernel info:
; codeLenInByte = 18420
; NumSgprs: 46
; NumVgprs: 89
; ScratchSize: 0
; MemoryBound: 0
; FloatMode: 240
; IeeeMode: 1
; LDSByteSize: 15360 bytes/workgroup (compile time only)
; SGPRBlocks: 5
; VGPRBlocks: 11
; NumSGPRsForWavesPerEU: 46
; NumVGPRsForWavesPerEU: 89
; Occupancy: 16
; WaveLimiterHint : 1
; COMPUTE_PGM_RSRC2:SCRATCH_EN: 0
; COMPUTE_PGM_RSRC2:USER_SGPR: 15
; COMPUTE_PGM_RSRC2:TRAP_HANDLER: 0
; COMPUTE_PGM_RSRC2:TGID_X_EN: 1
; COMPUTE_PGM_RSRC2:TGID_Y_EN: 0
; COMPUTE_PGM_RSRC2:TGID_Z_EN: 0
; COMPUTE_PGM_RSRC2:TIDIG_COMP_CNT: 0
	.section	.text._ZN7rocprim17ROCPRIM_400000_NS6detail17trampoline_kernelINS0_14default_configENS1_29reduce_by_key_config_selectorIjsN6thrust23THRUST_200600_302600_NS4plusIsEEEEZZNS1_33reduce_by_key_impl_wrapped_configILNS1_25lookback_scan_determinismE0ES3_S9_NS6_6detail15normal_iteratorINS6_10device_ptrIjEEEENSD_INSE_IsEEEENS6_16discard_iteratorINS6_11use_defaultEEESI_PmS8_NS6_8equal_toIjEEEE10hipError_tPvRmT2_T3_mT4_T5_T6_T7_T8_P12ihipStream_tbENKUlT_T0_E_clISt17integral_constantIbLb1EES15_IbLb0EEEEDaS11_S12_EUlS11_E_NS1_11comp_targetILNS1_3genE8ELNS1_11target_archE1030ELNS1_3gpuE2ELNS1_3repE0EEENS1_30default_config_static_selectorELNS0_4arch9wavefront6targetE0EEEvT1_,"axG",@progbits,_ZN7rocprim17ROCPRIM_400000_NS6detail17trampoline_kernelINS0_14default_configENS1_29reduce_by_key_config_selectorIjsN6thrust23THRUST_200600_302600_NS4plusIsEEEEZZNS1_33reduce_by_key_impl_wrapped_configILNS1_25lookback_scan_determinismE0ES3_S9_NS6_6detail15normal_iteratorINS6_10device_ptrIjEEEENSD_INSE_IsEEEENS6_16discard_iteratorINS6_11use_defaultEEESI_PmS8_NS6_8equal_toIjEEEE10hipError_tPvRmT2_T3_mT4_T5_T6_T7_T8_P12ihipStream_tbENKUlT_T0_E_clISt17integral_constantIbLb1EES15_IbLb0EEEEDaS11_S12_EUlS11_E_NS1_11comp_targetILNS1_3genE8ELNS1_11target_archE1030ELNS1_3gpuE2ELNS1_3repE0EEENS1_30default_config_static_selectorELNS0_4arch9wavefront6targetE0EEEvT1_,comdat
	.protected	_ZN7rocprim17ROCPRIM_400000_NS6detail17trampoline_kernelINS0_14default_configENS1_29reduce_by_key_config_selectorIjsN6thrust23THRUST_200600_302600_NS4plusIsEEEEZZNS1_33reduce_by_key_impl_wrapped_configILNS1_25lookback_scan_determinismE0ES3_S9_NS6_6detail15normal_iteratorINS6_10device_ptrIjEEEENSD_INSE_IsEEEENS6_16discard_iteratorINS6_11use_defaultEEESI_PmS8_NS6_8equal_toIjEEEE10hipError_tPvRmT2_T3_mT4_T5_T6_T7_T8_P12ihipStream_tbENKUlT_T0_E_clISt17integral_constantIbLb1EES15_IbLb0EEEEDaS11_S12_EUlS11_E_NS1_11comp_targetILNS1_3genE8ELNS1_11target_archE1030ELNS1_3gpuE2ELNS1_3repE0EEENS1_30default_config_static_selectorELNS0_4arch9wavefront6targetE0EEEvT1_ ; -- Begin function _ZN7rocprim17ROCPRIM_400000_NS6detail17trampoline_kernelINS0_14default_configENS1_29reduce_by_key_config_selectorIjsN6thrust23THRUST_200600_302600_NS4plusIsEEEEZZNS1_33reduce_by_key_impl_wrapped_configILNS1_25lookback_scan_determinismE0ES3_S9_NS6_6detail15normal_iteratorINS6_10device_ptrIjEEEENSD_INSE_IsEEEENS6_16discard_iteratorINS6_11use_defaultEEESI_PmS8_NS6_8equal_toIjEEEE10hipError_tPvRmT2_T3_mT4_T5_T6_T7_T8_P12ihipStream_tbENKUlT_T0_E_clISt17integral_constantIbLb1EES15_IbLb0EEEEDaS11_S12_EUlS11_E_NS1_11comp_targetILNS1_3genE8ELNS1_11target_archE1030ELNS1_3gpuE2ELNS1_3repE0EEENS1_30default_config_static_selectorELNS0_4arch9wavefront6targetE0EEEvT1_
	.globl	_ZN7rocprim17ROCPRIM_400000_NS6detail17trampoline_kernelINS0_14default_configENS1_29reduce_by_key_config_selectorIjsN6thrust23THRUST_200600_302600_NS4plusIsEEEEZZNS1_33reduce_by_key_impl_wrapped_configILNS1_25lookback_scan_determinismE0ES3_S9_NS6_6detail15normal_iteratorINS6_10device_ptrIjEEEENSD_INSE_IsEEEENS6_16discard_iteratorINS6_11use_defaultEEESI_PmS8_NS6_8equal_toIjEEEE10hipError_tPvRmT2_T3_mT4_T5_T6_T7_T8_P12ihipStream_tbENKUlT_T0_E_clISt17integral_constantIbLb1EES15_IbLb0EEEEDaS11_S12_EUlS11_E_NS1_11comp_targetILNS1_3genE8ELNS1_11target_archE1030ELNS1_3gpuE2ELNS1_3repE0EEENS1_30default_config_static_selectorELNS0_4arch9wavefront6targetE0EEEvT1_
	.p2align	8
	.type	_ZN7rocprim17ROCPRIM_400000_NS6detail17trampoline_kernelINS0_14default_configENS1_29reduce_by_key_config_selectorIjsN6thrust23THRUST_200600_302600_NS4plusIsEEEEZZNS1_33reduce_by_key_impl_wrapped_configILNS1_25lookback_scan_determinismE0ES3_S9_NS6_6detail15normal_iteratorINS6_10device_ptrIjEEEENSD_INSE_IsEEEENS6_16discard_iteratorINS6_11use_defaultEEESI_PmS8_NS6_8equal_toIjEEEE10hipError_tPvRmT2_T3_mT4_T5_T6_T7_T8_P12ihipStream_tbENKUlT_T0_E_clISt17integral_constantIbLb1EES15_IbLb0EEEEDaS11_S12_EUlS11_E_NS1_11comp_targetILNS1_3genE8ELNS1_11target_archE1030ELNS1_3gpuE2ELNS1_3repE0EEENS1_30default_config_static_selectorELNS0_4arch9wavefront6targetE0EEEvT1_,@function
_ZN7rocprim17ROCPRIM_400000_NS6detail17trampoline_kernelINS0_14default_configENS1_29reduce_by_key_config_selectorIjsN6thrust23THRUST_200600_302600_NS4plusIsEEEEZZNS1_33reduce_by_key_impl_wrapped_configILNS1_25lookback_scan_determinismE0ES3_S9_NS6_6detail15normal_iteratorINS6_10device_ptrIjEEEENSD_INSE_IsEEEENS6_16discard_iteratorINS6_11use_defaultEEESI_PmS8_NS6_8equal_toIjEEEE10hipError_tPvRmT2_T3_mT4_T5_T6_T7_T8_P12ihipStream_tbENKUlT_T0_E_clISt17integral_constantIbLb1EES15_IbLb0EEEEDaS11_S12_EUlS11_E_NS1_11comp_targetILNS1_3genE8ELNS1_11target_archE1030ELNS1_3gpuE2ELNS1_3repE0EEENS1_30default_config_static_selectorELNS0_4arch9wavefront6targetE0EEEvT1_: ; @_ZN7rocprim17ROCPRIM_400000_NS6detail17trampoline_kernelINS0_14default_configENS1_29reduce_by_key_config_selectorIjsN6thrust23THRUST_200600_302600_NS4plusIsEEEEZZNS1_33reduce_by_key_impl_wrapped_configILNS1_25lookback_scan_determinismE0ES3_S9_NS6_6detail15normal_iteratorINS6_10device_ptrIjEEEENSD_INSE_IsEEEENS6_16discard_iteratorINS6_11use_defaultEEESI_PmS8_NS6_8equal_toIjEEEE10hipError_tPvRmT2_T3_mT4_T5_T6_T7_T8_P12ihipStream_tbENKUlT_T0_E_clISt17integral_constantIbLb1EES15_IbLb0EEEEDaS11_S12_EUlS11_E_NS1_11comp_targetILNS1_3genE8ELNS1_11target_archE1030ELNS1_3gpuE2ELNS1_3repE0EEENS1_30default_config_static_selectorELNS0_4arch9wavefront6targetE0EEEvT1_
; %bb.0:
	.section	.rodata,"a",@progbits
	.p2align	6, 0x0
	.amdhsa_kernel _ZN7rocprim17ROCPRIM_400000_NS6detail17trampoline_kernelINS0_14default_configENS1_29reduce_by_key_config_selectorIjsN6thrust23THRUST_200600_302600_NS4plusIsEEEEZZNS1_33reduce_by_key_impl_wrapped_configILNS1_25lookback_scan_determinismE0ES3_S9_NS6_6detail15normal_iteratorINS6_10device_ptrIjEEEENSD_INSE_IsEEEENS6_16discard_iteratorINS6_11use_defaultEEESI_PmS8_NS6_8equal_toIjEEEE10hipError_tPvRmT2_T3_mT4_T5_T6_T7_T8_P12ihipStream_tbENKUlT_T0_E_clISt17integral_constantIbLb1EES15_IbLb0EEEEDaS11_S12_EUlS11_E_NS1_11comp_targetILNS1_3genE8ELNS1_11target_archE1030ELNS1_3gpuE2ELNS1_3repE0EEENS1_30default_config_static_selectorELNS0_4arch9wavefront6targetE0EEEvT1_
		.amdhsa_group_segment_fixed_size 0
		.amdhsa_private_segment_fixed_size 0
		.amdhsa_kernarg_size 128
		.amdhsa_user_sgpr_count 15
		.amdhsa_user_sgpr_dispatch_ptr 0
		.amdhsa_user_sgpr_queue_ptr 0
		.amdhsa_user_sgpr_kernarg_segment_ptr 1
		.amdhsa_user_sgpr_dispatch_id 0
		.amdhsa_user_sgpr_private_segment_size 0
		.amdhsa_wavefront_size32 1
		.amdhsa_uses_dynamic_stack 0
		.amdhsa_enable_private_segment 0
		.amdhsa_system_sgpr_workgroup_id_x 1
		.amdhsa_system_sgpr_workgroup_id_y 0
		.amdhsa_system_sgpr_workgroup_id_z 0
		.amdhsa_system_sgpr_workgroup_info 0
		.amdhsa_system_vgpr_workitem_id 0
		.amdhsa_next_free_vgpr 1
		.amdhsa_next_free_sgpr 1
		.amdhsa_reserve_vcc 0
		.amdhsa_float_round_mode_32 0
		.amdhsa_float_round_mode_16_64 0
		.amdhsa_float_denorm_mode_32 3
		.amdhsa_float_denorm_mode_16_64 3
		.amdhsa_dx10_clamp 1
		.amdhsa_ieee_mode 1
		.amdhsa_fp16_overflow 0
		.amdhsa_workgroup_processor_mode 1
		.amdhsa_memory_ordered 1
		.amdhsa_forward_progress 0
		.amdhsa_shared_vgpr_count 0
		.amdhsa_exception_fp_ieee_invalid_op 0
		.amdhsa_exception_fp_denorm_src 0
		.amdhsa_exception_fp_ieee_div_zero 0
		.amdhsa_exception_fp_ieee_overflow 0
		.amdhsa_exception_fp_ieee_underflow 0
		.amdhsa_exception_fp_ieee_inexact 0
		.amdhsa_exception_int_div_zero 0
	.end_amdhsa_kernel
	.section	.text._ZN7rocprim17ROCPRIM_400000_NS6detail17trampoline_kernelINS0_14default_configENS1_29reduce_by_key_config_selectorIjsN6thrust23THRUST_200600_302600_NS4plusIsEEEEZZNS1_33reduce_by_key_impl_wrapped_configILNS1_25lookback_scan_determinismE0ES3_S9_NS6_6detail15normal_iteratorINS6_10device_ptrIjEEEENSD_INSE_IsEEEENS6_16discard_iteratorINS6_11use_defaultEEESI_PmS8_NS6_8equal_toIjEEEE10hipError_tPvRmT2_T3_mT4_T5_T6_T7_T8_P12ihipStream_tbENKUlT_T0_E_clISt17integral_constantIbLb1EES15_IbLb0EEEEDaS11_S12_EUlS11_E_NS1_11comp_targetILNS1_3genE8ELNS1_11target_archE1030ELNS1_3gpuE2ELNS1_3repE0EEENS1_30default_config_static_selectorELNS0_4arch9wavefront6targetE0EEEvT1_,"axG",@progbits,_ZN7rocprim17ROCPRIM_400000_NS6detail17trampoline_kernelINS0_14default_configENS1_29reduce_by_key_config_selectorIjsN6thrust23THRUST_200600_302600_NS4plusIsEEEEZZNS1_33reduce_by_key_impl_wrapped_configILNS1_25lookback_scan_determinismE0ES3_S9_NS6_6detail15normal_iteratorINS6_10device_ptrIjEEEENSD_INSE_IsEEEENS6_16discard_iteratorINS6_11use_defaultEEESI_PmS8_NS6_8equal_toIjEEEE10hipError_tPvRmT2_T3_mT4_T5_T6_T7_T8_P12ihipStream_tbENKUlT_T0_E_clISt17integral_constantIbLb1EES15_IbLb0EEEEDaS11_S12_EUlS11_E_NS1_11comp_targetILNS1_3genE8ELNS1_11target_archE1030ELNS1_3gpuE2ELNS1_3repE0EEENS1_30default_config_static_selectorELNS0_4arch9wavefront6targetE0EEEvT1_,comdat
.Lfunc_end1083:
	.size	_ZN7rocprim17ROCPRIM_400000_NS6detail17trampoline_kernelINS0_14default_configENS1_29reduce_by_key_config_selectorIjsN6thrust23THRUST_200600_302600_NS4plusIsEEEEZZNS1_33reduce_by_key_impl_wrapped_configILNS1_25lookback_scan_determinismE0ES3_S9_NS6_6detail15normal_iteratorINS6_10device_ptrIjEEEENSD_INSE_IsEEEENS6_16discard_iteratorINS6_11use_defaultEEESI_PmS8_NS6_8equal_toIjEEEE10hipError_tPvRmT2_T3_mT4_T5_T6_T7_T8_P12ihipStream_tbENKUlT_T0_E_clISt17integral_constantIbLb1EES15_IbLb0EEEEDaS11_S12_EUlS11_E_NS1_11comp_targetILNS1_3genE8ELNS1_11target_archE1030ELNS1_3gpuE2ELNS1_3repE0EEENS1_30default_config_static_selectorELNS0_4arch9wavefront6targetE0EEEvT1_, .Lfunc_end1083-_ZN7rocprim17ROCPRIM_400000_NS6detail17trampoline_kernelINS0_14default_configENS1_29reduce_by_key_config_selectorIjsN6thrust23THRUST_200600_302600_NS4plusIsEEEEZZNS1_33reduce_by_key_impl_wrapped_configILNS1_25lookback_scan_determinismE0ES3_S9_NS6_6detail15normal_iteratorINS6_10device_ptrIjEEEENSD_INSE_IsEEEENS6_16discard_iteratorINS6_11use_defaultEEESI_PmS8_NS6_8equal_toIjEEEE10hipError_tPvRmT2_T3_mT4_T5_T6_T7_T8_P12ihipStream_tbENKUlT_T0_E_clISt17integral_constantIbLb1EES15_IbLb0EEEEDaS11_S12_EUlS11_E_NS1_11comp_targetILNS1_3genE8ELNS1_11target_archE1030ELNS1_3gpuE2ELNS1_3repE0EEENS1_30default_config_static_selectorELNS0_4arch9wavefront6targetE0EEEvT1_
                                        ; -- End function
	.section	.AMDGPU.csdata,"",@progbits
; Kernel info:
; codeLenInByte = 0
; NumSgprs: 0
; NumVgprs: 0
; ScratchSize: 0
; MemoryBound: 0
; FloatMode: 240
; IeeeMode: 1
; LDSByteSize: 0 bytes/workgroup (compile time only)
; SGPRBlocks: 0
; VGPRBlocks: 0
; NumSGPRsForWavesPerEU: 1
; NumVGPRsForWavesPerEU: 1
; Occupancy: 16
; WaveLimiterHint : 0
; COMPUTE_PGM_RSRC2:SCRATCH_EN: 0
; COMPUTE_PGM_RSRC2:USER_SGPR: 15
; COMPUTE_PGM_RSRC2:TRAP_HANDLER: 0
; COMPUTE_PGM_RSRC2:TGID_X_EN: 1
; COMPUTE_PGM_RSRC2:TGID_Y_EN: 0
; COMPUTE_PGM_RSRC2:TGID_Z_EN: 0
; COMPUTE_PGM_RSRC2:TIDIG_COMP_CNT: 0
	.section	.text._ZN7rocprim17ROCPRIM_400000_NS6detail17trampoline_kernelINS0_14default_configENS1_29reduce_by_key_config_selectorIjsN6thrust23THRUST_200600_302600_NS4plusIsEEEEZZNS1_33reduce_by_key_impl_wrapped_configILNS1_25lookback_scan_determinismE0ES3_S9_NS6_6detail15normal_iteratorINS6_10device_ptrIjEEEENSD_INSE_IsEEEENS6_16discard_iteratorINS6_11use_defaultEEESI_PmS8_NS6_8equal_toIjEEEE10hipError_tPvRmT2_T3_mT4_T5_T6_T7_T8_P12ihipStream_tbENKUlT_T0_E_clISt17integral_constantIbLb0EES15_IbLb1EEEEDaS11_S12_EUlS11_E_NS1_11comp_targetILNS1_3genE0ELNS1_11target_archE4294967295ELNS1_3gpuE0ELNS1_3repE0EEENS1_30default_config_static_selectorELNS0_4arch9wavefront6targetE0EEEvT1_,"axG",@progbits,_ZN7rocprim17ROCPRIM_400000_NS6detail17trampoline_kernelINS0_14default_configENS1_29reduce_by_key_config_selectorIjsN6thrust23THRUST_200600_302600_NS4plusIsEEEEZZNS1_33reduce_by_key_impl_wrapped_configILNS1_25lookback_scan_determinismE0ES3_S9_NS6_6detail15normal_iteratorINS6_10device_ptrIjEEEENSD_INSE_IsEEEENS6_16discard_iteratorINS6_11use_defaultEEESI_PmS8_NS6_8equal_toIjEEEE10hipError_tPvRmT2_T3_mT4_T5_T6_T7_T8_P12ihipStream_tbENKUlT_T0_E_clISt17integral_constantIbLb0EES15_IbLb1EEEEDaS11_S12_EUlS11_E_NS1_11comp_targetILNS1_3genE0ELNS1_11target_archE4294967295ELNS1_3gpuE0ELNS1_3repE0EEENS1_30default_config_static_selectorELNS0_4arch9wavefront6targetE0EEEvT1_,comdat
	.protected	_ZN7rocprim17ROCPRIM_400000_NS6detail17trampoline_kernelINS0_14default_configENS1_29reduce_by_key_config_selectorIjsN6thrust23THRUST_200600_302600_NS4plusIsEEEEZZNS1_33reduce_by_key_impl_wrapped_configILNS1_25lookback_scan_determinismE0ES3_S9_NS6_6detail15normal_iteratorINS6_10device_ptrIjEEEENSD_INSE_IsEEEENS6_16discard_iteratorINS6_11use_defaultEEESI_PmS8_NS6_8equal_toIjEEEE10hipError_tPvRmT2_T3_mT4_T5_T6_T7_T8_P12ihipStream_tbENKUlT_T0_E_clISt17integral_constantIbLb0EES15_IbLb1EEEEDaS11_S12_EUlS11_E_NS1_11comp_targetILNS1_3genE0ELNS1_11target_archE4294967295ELNS1_3gpuE0ELNS1_3repE0EEENS1_30default_config_static_selectorELNS0_4arch9wavefront6targetE0EEEvT1_ ; -- Begin function _ZN7rocprim17ROCPRIM_400000_NS6detail17trampoline_kernelINS0_14default_configENS1_29reduce_by_key_config_selectorIjsN6thrust23THRUST_200600_302600_NS4plusIsEEEEZZNS1_33reduce_by_key_impl_wrapped_configILNS1_25lookback_scan_determinismE0ES3_S9_NS6_6detail15normal_iteratorINS6_10device_ptrIjEEEENSD_INSE_IsEEEENS6_16discard_iteratorINS6_11use_defaultEEESI_PmS8_NS6_8equal_toIjEEEE10hipError_tPvRmT2_T3_mT4_T5_T6_T7_T8_P12ihipStream_tbENKUlT_T0_E_clISt17integral_constantIbLb0EES15_IbLb1EEEEDaS11_S12_EUlS11_E_NS1_11comp_targetILNS1_3genE0ELNS1_11target_archE4294967295ELNS1_3gpuE0ELNS1_3repE0EEENS1_30default_config_static_selectorELNS0_4arch9wavefront6targetE0EEEvT1_
	.globl	_ZN7rocprim17ROCPRIM_400000_NS6detail17trampoline_kernelINS0_14default_configENS1_29reduce_by_key_config_selectorIjsN6thrust23THRUST_200600_302600_NS4plusIsEEEEZZNS1_33reduce_by_key_impl_wrapped_configILNS1_25lookback_scan_determinismE0ES3_S9_NS6_6detail15normal_iteratorINS6_10device_ptrIjEEEENSD_INSE_IsEEEENS6_16discard_iteratorINS6_11use_defaultEEESI_PmS8_NS6_8equal_toIjEEEE10hipError_tPvRmT2_T3_mT4_T5_T6_T7_T8_P12ihipStream_tbENKUlT_T0_E_clISt17integral_constantIbLb0EES15_IbLb1EEEEDaS11_S12_EUlS11_E_NS1_11comp_targetILNS1_3genE0ELNS1_11target_archE4294967295ELNS1_3gpuE0ELNS1_3repE0EEENS1_30default_config_static_selectorELNS0_4arch9wavefront6targetE0EEEvT1_
	.p2align	8
	.type	_ZN7rocprim17ROCPRIM_400000_NS6detail17trampoline_kernelINS0_14default_configENS1_29reduce_by_key_config_selectorIjsN6thrust23THRUST_200600_302600_NS4plusIsEEEEZZNS1_33reduce_by_key_impl_wrapped_configILNS1_25lookback_scan_determinismE0ES3_S9_NS6_6detail15normal_iteratorINS6_10device_ptrIjEEEENSD_INSE_IsEEEENS6_16discard_iteratorINS6_11use_defaultEEESI_PmS8_NS6_8equal_toIjEEEE10hipError_tPvRmT2_T3_mT4_T5_T6_T7_T8_P12ihipStream_tbENKUlT_T0_E_clISt17integral_constantIbLb0EES15_IbLb1EEEEDaS11_S12_EUlS11_E_NS1_11comp_targetILNS1_3genE0ELNS1_11target_archE4294967295ELNS1_3gpuE0ELNS1_3repE0EEENS1_30default_config_static_selectorELNS0_4arch9wavefront6targetE0EEEvT1_,@function
_ZN7rocprim17ROCPRIM_400000_NS6detail17trampoline_kernelINS0_14default_configENS1_29reduce_by_key_config_selectorIjsN6thrust23THRUST_200600_302600_NS4plusIsEEEEZZNS1_33reduce_by_key_impl_wrapped_configILNS1_25lookback_scan_determinismE0ES3_S9_NS6_6detail15normal_iteratorINS6_10device_ptrIjEEEENSD_INSE_IsEEEENS6_16discard_iteratorINS6_11use_defaultEEESI_PmS8_NS6_8equal_toIjEEEE10hipError_tPvRmT2_T3_mT4_T5_T6_T7_T8_P12ihipStream_tbENKUlT_T0_E_clISt17integral_constantIbLb0EES15_IbLb1EEEEDaS11_S12_EUlS11_E_NS1_11comp_targetILNS1_3genE0ELNS1_11target_archE4294967295ELNS1_3gpuE0ELNS1_3repE0EEENS1_30default_config_static_selectorELNS0_4arch9wavefront6targetE0EEEvT1_: ; @_ZN7rocprim17ROCPRIM_400000_NS6detail17trampoline_kernelINS0_14default_configENS1_29reduce_by_key_config_selectorIjsN6thrust23THRUST_200600_302600_NS4plusIsEEEEZZNS1_33reduce_by_key_impl_wrapped_configILNS1_25lookback_scan_determinismE0ES3_S9_NS6_6detail15normal_iteratorINS6_10device_ptrIjEEEENSD_INSE_IsEEEENS6_16discard_iteratorINS6_11use_defaultEEESI_PmS8_NS6_8equal_toIjEEEE10hipError_tPvRmT2_T3_mT4_T5_T6_T7_T8_P12ihipStream_tbENKUlT_T0_E_clISt17integral_constantIbLb0EES15_IbLb1EEEEDaS11_S12_EUlS11_E_NS1_11comp_targetILNS1_3genE0ELNS1_11target_archE4294967295ELNS1_3gpuE0ELNS1_3repE0EEENS1_30default_config_static_selectorELNS0_4arch9wavefront6targetE0EEEvT1_
; %bb.0:
	.section	.rodata,"a",@progbits
	.p2align	6, 0x0
	.amdhsa_kernel _ZN7rocprim17ROCPRIM_400000_NS6detail17trampoline_kernelINS0_14default_configENS1_29reduce_by_key_config_selectorIjsN6thrust23THRUST_200600_302600_NS4plusIsEEEEZZNS1_33reduce_by_key_impl_wrapped_configILNS1_25lookback_scan_determinismE0ES3_S9_NS6_6detail15normal_iteratorINS6_10device_ptrIjEEEENSD_INSE_IsEEEENS6_16discard_iteratorINS6_11use_defaultEEESI_PmS8_NS6_8equal_toIjEEEE10hipError_tPvRmT2_T3_mT4_T5_T6_T7_T8_P12ihipStream_tbENKUlT_T0_E_clISt17integral_constantIbLb0EES15_IbLb1EEEEDaS11_S12_EUlS11_E_NS1_11comp_targetILNS1_3genE0ELNS1_11target_archE4294967295ELNS1_3gpuE0ELNS1_3repE0EEENS1_30default_config_static_selectorELNS0_4arch9wavefront6targetE0EEEvT1_
		.amdhsa_group_segment_fixed_size 0
		.amdhsa_private_segment_fixed_size 0
		.amdhsa_kernarg_size 128
		.amdhsa_user_sgpr_count 15
		.amdhsa_user_sgpr_dispatch_ptr 0
		.amdhsa_user_sgpr_queue_ptr 0
		.amdhsa_user_sgpr_kernarg_segment_ptr 1
		.amdhsa_user_sgpr_dispatch_id 0
		.amdhsa_user_sgpr_private_segment_size 0
		.amdhsa_wavefront_size32 1
		.amdhsa_uses_dynamic_stack 0
		.amdhsa_enable_private_segment 0
		.amdhsa_system_sgpr_workgroup_id_x 1
		.amdhsa_system_sgpr_workgroup_id_y 0
		.amdhsa_system_sgpr_workgroup_id_z 0
		.amdhsa_system_sgpr_workgroup_info 0
		.amdhsa_system_vgpr_workitem_id 0
		.amdhsa_next_free_vgpr 1
		.amdhsa_next_free_sgpr 1
		.amdhsa_reserve_vcc 0
		.amdhsa_float_round_mode_32 0
		.amdhsa_float_round_mode_16_64 0
		.amdhsa_float_denorm_mode_32 3
		.amdhsa_float_denorm_mode_16_64 3
		.amdhsa_dx10_clamp 1
		.amdhsa_ieee_mode 1
		.amdhsa_fp16_overflow 0
		.amdhsa_workgroup_processor_mode 1
		.amdhsa_memory_ordered 1
		.amdhsa_forward_progress 0
		.amdhsa_shared_vgpr_count 0
		.amdhsa_exception_fp_ieee_invalid_op 0
		.amdhsa_exception_fp_denorm_src 0
		.amdhsa_exception_fp_ieee_div_zero 0
		.amdhsa_exception_fp_ieee_overflow 0
		.amdhsa_exception_fp_ieee_underflow 0
		.amdhsa_exception_fp_ieee_inexact 0
		.amdhsa_exception_int_div_zero 0
	.end_amdhsa_kernel
	.section	.text._ZN7rocprim17ROCPRIM_400000_NS6detail17trampoline_kernelINS0_14default_configENS1_29reduce_by_key_config_selectorIjsN6thrust23THRUST_200600_302600_NS4plusIsEEEEZZNS1_33reduce_by_key_impl_wrapped_configILNS1_25lookback_scan_determinismE0ES3_S9_NS6_6detail15normal_iteratorINS6_10device_ptrIjEEEENSD_INSE_IsEEEENS6_16discard_iteratorINS6_11use_defaultEEESI_PmS8_NS6_8equal_toIjEEEE10hipError_tPvRmT2_T3_mT4_T5_T6_T7_T8_P12ihipStream_tbENKUlT_T0_E_clISt17integral_constantIbLb0EES15_IbLb1EEEEDaS11_S12_EUlS11_E_NS1_11comp_targetILNS1_3genE0ELNS1_11target_archE4294967295ELNS1_3gpuE0ELNS1_3repE0EEENS1_30default_config_static_selectorELNS0_4arch9wavefront6targetE0EEEvT1_,"axG",@progbits,_ZN7rocprim17ROCPRIM_400000_NS6detail17trampoline_kernelINS0_14default_configENS1_29reduce_by_key_config_selectorIjsN6thrust23THRUST_200600_302600_NS4plusIsEEEEZZNS1_33reduce_by_key_impl_wrapped_configILNS1_25lookback_scan_determinismE0ES3_S9_NS6_6detail15normal_iteratorINS6_10device_ptrIjEEEENSD_INSE_IsEEEENS6_16discard_iteratorINS6_11use_defaultEEESI_PmS8_NS6_8equal_toIjEEEE10hipError_tPvRmT2_T3_mT4_T5_T6_T7_T8_P12ihipStream_tbENKUlT_T0_E_clISt17integral_constantIbLb0EES15_IbLb1EEEEDaS11_S12_EUlS11_E_NS1_11comp_targetILNS1_3genE0ELNS1_11target_archE4294967295ELNS1_3gpuE0ELNS1_3repE0EEENS1_30default_config_static_selectorELNS0_4arch9wavefront6targetE0EEEvT1_,comdat
.Lfunc_end1084:
	.size	_ZN7rocprim17ROCPRIM_400000_NS6detail17trampoline_kernelINS0_14default_configENS1_29reduce_by_key_config_selectorIjsN6thrust23THRUST_200600_302600_NS4plusIsEEEEZZNS1_33reduce_by_key_impl_wrapped_configILNS1_25lookback_scan_determinismE0ES3_S9_NS6_6detail15normal_iteratorINS6_10device_ptrIjEEEENSD_INSE_IsEEEENS6_16discard_iteratorINS6_11use_defaultEEESI_PmS8_NS6_8equal_toIjEEEE10hipError_tPvRmT2_T3_mT4_T5_T6_T7_T8_P12ihipStream_tbENKUlT_T0_E_clISt17integral_constantIbLb0EES15_IbLb1EEEEDaS11_S12_EUlS11_E_NS1_11comp_targetILNS1_3genE0ELNS1_11target_archE4294967295ELNS1_3gpuE0ELNS1_3repE0EEENS1_30default_config_static_selectorELNS0_4arch9wavefront6targetE0EEEvT1_, .Lfunc_end1084-_ZN7rocprim17ROCPRIM_400000_NS6detail17trampoline_kernelINS0_14default_configENS1_29reduce_by_key_config_selectorIjsN6thrust23THRUST_200600_302600_NS4plusIsEEEEZZNS1_33reduce_by_key_impl_wrapped_configILNS1_25lookback_scan_determinismE0ES3_S9_NS6_6detail15normal_iteratorINS6_10device_ptrIjEEEENSD_INSE_IsEEEENS6_16discard_iteratorINS6_11use_defaultEEESI_PmS8_NS6_8equal_toIjEEEE10hipError_tPvRmT2_T3_mT4_T5_T6_T7_T8_P12ihipStream_tbENKUlT_T0_E_clISt17integral_constantIbLb0EES15_IbLb1EEEEDaS11_S12_EUlS11_E_NS1_11comp_targetILNS1_3genE0ELNS1_11target_archE4294967295ELNS1_3gpuE0ELNS1_3repE0EEENS1_30default_config_static_selectorELNS0_4arch9wavefront6targetE0EEEvT1_
                                        ; -- End function
	.section	.AMDGPU.csdata,"",@progbits
; Kernel info:
; codeLenInByte = 0
; NumSgprs: 0
; NumVgprs: 0
; ScratchSize: 0
; MemoryBound: 0
; FloatMode: 240
; IeeeMode: 1
; LDSByteSize: 0 bytes/workgroup (compile time only)
; SGPRBlocks: 0
; VGPRBlocks: 0
; NumSGPRsForWavesPerEU: 1
; NumVGPRsForWavesPerEU: 1
; Occupancy: 16
; WaveLimiterHint : 0
; COMPUTE_PGM_RSRC2:SCRATCH_EN: 0
; COMPUTE_PGM_RSRC2:USER_SGPR: 15
; COMPUTE_PGM_RSRC2:TRAP_HANDLER: 0
; COMPUTE_PGM_RSRC2:TGID_X_EN: 1
; COMPUTE_PGM_RSRC2:TGID_Y_EN: 0
; COMPUTE_PGM_RSRC2:TGID_Z_EN: 0
; COMPUTE_PGM_RSRC2:TIDIG_COMP_CNT: 0
	.section	.text._ZN7rocprim17ROCPRIM_400000_NS6detail17trampoline_kernelINS0_14default_configENS1_29reduce_by_key_config_selectorIjsN6thrust23THRUST_200600_302600_NS4plusIsEEEEZZNS1_33reduce_by_key_impl_wrapped_configILNS1_25lookback_scan_determinismE0ES3_S9_NS6_6detail15normal_iteratorINS6_10device_ptrIjEEEENSD_INSE_IsEEEENS6_16discard_iteratorINS6_11use_defaultEEESI_PmS8_NS6_8equal_toIjEEEE10hipError_tPvRmT2_T3_mT4_T5_T6_T7_T8_P12ihipStream_tbENKUlT_T0_E_clISt17integral_constantIbLb0EES15_IbLb1EEEEDaS11_S12_EUlS11_E_NS1_11comp_targetILNS1_3genE5ELNS1_11target_archE942ELNS1_3gpuE9ELNS1_3repE0EEENS1_30default_config_static_selectorELNS0_4arch9wavefront6targetE0EEEvT1_,"axG",@progbits,_ZN7rocprim17ROCPRIM_400000_NS6detail17trampoline_kernelINS0_14default_configENS1_29reduce_by_key_config_selectorIjsN6thrust23THRUST_200600_302600_NS4plusIsEEEEZZNS1_33reduce_by_key_impl_wrapped_configILNS1_25lookback_scan_determinismE0ES3_S9_NS6_6detail15normal_iteratorINS6_10device_ptrIjEEEENSD_INSE_IsEEEENS6_16discard_iteratorINS6_11use_defaultEEESI_PmS8_NS6_8equal_toIjEEEE10hipError_tPvRmT2_T3_mT4_T5_T6_T7_T8_P12ihipStream_tbENKUlT_T0_E_clISt17integral_constantIbLb0EES15_IbLb1EEEEDaS11_S12_EUlS11_E_NS1_11comp_targetILNS1_3genE5ELNS1_11target_archE942ELNS1_3gpuE9ELNS1_3repE0EEENS1_30default_config_static_selectorELNS0_4arch9wavefront6targetE0EEEvT1_,comdat
	.protected	_ZN7rocprim17ROCPRIM_400000_NS6detail17trampoline_kernelINS0_14default_configENS1_29reduce_by_key_config_selectorIjsN6thrust23THRUST_200600_302600_NS4plusIsEEEEZZNS1_33reduce_by_key_impl_wrapped_configILNS1_25lookback_scan_determinismE0ES3_S9_NS6_6detail15normal_iteratorINS6_10device_ptrIjEEEENSD_INSE_IsEEEENS6_16discard_iteratorINS6_11use_defaultEEESI_PmS8_NS6_8equal_toIjEEEE10hipError_tPvRmT2_T3_mT4_T5_T6_T7_T8_P12ihipStream_tbENKUlT_T0_E_clISt17integral_constantIbLb0EES15_IbLb1EEEEDaS11_S12_EUlS11_E_NS1_11comp_targetILNS1_3genE5ELNS1_11target_archE942ELNS1_3gpuE9ELNS1_3repE0EEENS1_30default_config_static_selectorELNS0_4arch9wavefront6targetE0EEEvT1_ ; -- Begin function _ZN7rocprim17ROCPRIM_400000_NS6detail17trampoline_kernelINS0_14default_configENS1_29reduce_by_key_config_selectorIjsN6thrust23THRUST_200600_302600_NS4plusIsEEEEZZNS1_33reduce_by_key_impl_wrapped_configILNS1_25lookback_scan_determinismE0ES3_S9_NS6_6detail15normal_iteratorINS6_10device_ptrIjEEEENSD_INSE_IsEEEENS6_16discard_iteratorINS6_11use_defaultEEESI_PmS8_NS6_8equal_toIjEEEE10hipError_tPvRmT2_T3_mT4_T5_T6_T7_T8_P12ihipStream_tbENKUlT_T0_E_clISt17integral_constantIbLb0EES15_IbLb1EEEEDaS11_S12_EUlS11_E_NS1_11comp_targetILNS1_3genE5ELNS1_11target_archE942ELNS1_3gpuE9ELNS1_3repE0EEENS1_30default_config_static_selectorELNS0_4arch9wavefront6targetE0EEEvT1_
	.globl	_ZN7rocprim17ROCPRIM_400000_NS6detail17trampoline_kernelINS0_14default_configENS1_29reduce_by_key_config_selectorIjsN6thrust23THRUST_200600_302600_NS4plusIsEEEEZZNS1_33reduce_by_key_impl_wrapped_configILNS1_25lookback_scan_determinismE0ES3_S9_NS6_6detail15normal_iteratorINS6_10device_ptrIjEEEENSD_INSE_IsEEEENS6_16discard_iteratorINS6_11use_defaultEEESI_PmS8_NS6_8equal_toIjEEEE10hipError_tPvRmT2_T3_mT4_T5_T6_T7_T8_P12ihipStream_tbENKUlT_T0_E_clISt17integral_constantIbLb0EES15_IbLb1EEEEDaS11_S12_EUlS11_E_NS1_11comp_targetILNS1_3genE5ELNS1_11target_archE942ELNS1_3gpuE9ELNS1_3repE0EEENS1_30default_config_static_selectorELNS0_4arch9wavefront6targetE0EEEvT1_
	.p2align	8
	.type	_ZN7rocprim17ROCPRIM_400000_NS6detail17trampoline_kernelINS0_14default_configENS1_29reduce_by_key_config_selectorIjsN6thrust23THRUST_200600_302600_NS4plusIsEEEEZZNS1_33reduce_by_key_impl_wrapped_configILNS1_25lookback_scan_determinismE0ES3_S9_NS6_6detail15normal_iteratorINS6_10device_ptrIjEEEENSD_INSE_IsEEEENS6_16discard_iteratorINS6_11use_defaultEEESI_PmS8_NS6_8equal_toIjEEEE10hipError_tPvRmT2_T3_mT4_T5_T6_T7_T8_P12ihipStream_tbENKUlT_T0_E_clISt17integral_constantIbLb0EES15_IbLb1EEEEDaS11_S12_EUlS11_E_NS1_11comp_targetILNS1_3genE5ELNS1_11target_archE942ELNS1_3gpuE9ELNS1_3repE0EEENS1_30default_config_static_selectorELNS0_4arch9wavefront6targetE0EEEvT1_,@function
_ZN7rocprim17ROCPRIM_400000_NS6detail17trampoline_kernelINS0_14default_configENS1_29reduce_by_key_config_selectorIjsN6thrust23THRUST_200600_302600_NS4plusIsEEEEZZNS1_33reduce_by_key_impl_wrapped_configILNS1_25lookback_scan_determinismE0ES3_S9_NS6_6detail15normal_iteratorINS6_10device_ptrIjEEEENSD_INSE_IsEEEENS6_16discard_iteratorINS6_11use_defaultEEESI_PmS8_NS6_8equal_toIjEEEE10hipError_tPvRmT2_T3_mT4_T5_T6_T7_T8_P12ihipStream_tbENKUlT_T0_E_clISt17integral_constantIbLb0EES15_IbLb1EEEEDaS11_S12_EUlS11_E_NS1_11comp_targetILNS1_3genE5ELNS1_11target_archE942ELNS1_3gpuE9ELNS1_3repE0EEENS1_30default_config_static_selectorELNS0_4arch9wavefront6targetE0EEEvT1_: ; @_ZN7rocprim17ROCPRIM_400000_NS6detail17trampoline_kernelINS0_14default_configENS1_29reduce_by_key_config_selectorIjsN6thrust23THRUST_200600_302600_NS4plusIsEEEEZZNS1_33reduce_by_key_impl_wrapped_configILNS1_25lookback_scan_determinismE0ES3_S9_NS6_6detail15normal_iteratorINS6_10device_ptrIjEEEENSD_INSE_IsEEEENS6_16discard_iteratorINS6_11use_defaultEEESI_PmS8_NS6_8equal_toIjEEEE10hipError_tPvRmT2_T3_mT4_T5_T6_T7_T8_P12ihipStream_tbENKUlT_T0_E_clISt17integral_constantIbLb0EES15_IbLb1EEEEDaS11_S12_EUlS11_E_NS1_11comp_targetILNS1_3genE5ELNS1_11target_archE942ELNS1_3gpuE9ELNS1_3repE0EEENS1_30default_config_static_selectorELNS0_4arch9wavefront6targetE0EEEvT1_
; %bb.0:
	.section	.rodata,"a",@progbits
	.p2align	6, 0x0
	.amdhsa_kernel _ZN7rocprim17ROCPRIM_400000_NS6detail17trampoline_kernelINS0_14default_configENS1_29reduce_by_key_config_selectorIjsN6thrust23THRUST_200600_302600_NS4plusIsEEEEZZNS1_33reduce_by_key_impl_wrapped_configILNS1_25lookback_scan_determinismE0ES3_S9_NS6_6detail15normal_iteratorINS6_10device_ptrIjEEEENSD_INSE_IsEEEENS6_16discard_iteratorINS6_11use_defaultEEESI_PmS8_NS6_8equal_toIjEEEE10hipError_tPvRmT2_T3_mT4_T5_T6_T7_T8_P12ihipStream_tbENKUlT_T0_E_clISt17integral_constantIbLb0EES15_IbLb1EEEEDaS11_S12_EUlS11_E_NS1_11comp_targetILNS1_3genE5ELNS1_11target_archE942ELNS1_3gpuE9ELNS1_3repE0EEENS1_30default_config_static_selectorELNS0_4arch9wavefront6targetE0EEEvT1_
		.amdhsa_group_segment_fixed_size 0
		.amdhsa_private_segment_fixed_size 0
		.amdhsa_kernarg_size 128
		.amdhsa_user_sgpr_count 15
		.amdhsa_user_sgpr_dispatch_ptr 0
		.amdhsa_user_sgpr_queue_ptr 0
		.amdhsa_user_sgpr_kernarg_segment_ptr 1
		.amdhsa_user_sgpr_dispatch_id 0
		.amdhsa_user_sgpr_private_segment_size 0
		.amdhsa_wavefront_size32 1
		.amdhsa_uses_dynamic_stack 0
		.amdhsa_enable_private_segment 0
		.amdhsa_system_sgpr_workgroup_id_x 1
		.amdhsa_system_sgpr_workgroup_id_y 0
		.amdhsa_system_sgpr_workgroup_id_z 0
		.amdhsa_system_sgpr_workgroup_info 0
		.amdhsa_system_vgpr_workitem_id 0
		.amdhsa_next_free_vgpr 1
		.amdhsa_next_free_sgpr 1
		.amdhsa_reserve_vcc 0
		.amdhsa_float_round_mode_32 0
		.amdhsa_float_round_mode_16_64 0
		.amdhsa_float_denorm_mode_32 3
		.amdhsa_float_denorm_mode_16_64 3
		.amdhsa_dx10_clamp 1
		.amdhsa_ieee_mode 1
		.amdhsa_fp16_overflow 0
		.amdhsa_workgroup_processor_mode 1
		.amdhsa_memory_ordered 1
		.amdhsa_forward_progress 0
		.amdhsa_shared_vgpr_count 0
		.amdhsa_exception_fp_ieee_invalid_op 0
		.amdhsa_exception_fp_denorm_src 0
		.amdhsa_exception_fp_ieee_div_zero 0
		.amdhsa_exception_fp_ieee_overflow 0
		.amdhsa_exception_fp_ieee_underflow 0
		.amdhsa_exception_fp_ieee_inexact 0
		.amdhsa_exception_int_div_zero 0
	.end_amdhsa_kernel
	.section	.text._ZN7rocprim17ROCPRIM_400000_NS6detail17trampoline_kernelINS0_14default_configENS1_29reduce_by_key_config_selectorIjsN6thrust23THRUST_200600_302600_NS4plusIsEEEEZZNS1_33reduce_by_key_impl_wrapped_configILNS1_25lookback_scan_determinismE0ES3_S9_NS6_6detail15normal_iteratorINS6_10device_ptrIjEEEENSD_INSE_IsEEEENS6_16discard_iteratorINS6_11use_defaultEEESI_PmS8_NS6_8equal_toIjEEEE10hipError_tPvRmT2_T3_mT4_T5_T6_T7_T8_P12ihipStream_tbENKUlT_T0_E_clISt17integral_constantIbLb0EES15_IbLb1EEEEDaS11_S12_EUlS11_E_NS1_11comp_targetILNS1_3genE5ELNS1_11target_archE942ELNS1_3gpuE9ELNS1_3repE0EEENS1_30default_config_static_selectorELNS0_4arch9wavefront6targetE0EEEvT1_,"axG",@progbits,_ZN7rocprim17ROCPRIM_400000_NS6detail17trampoline_kernelINS0_14default_configENS1_29reduce_by_key_config_selectorIjsN6thrust23THRUST_200600_302600_NS4plusIsEEEEZZNS1_33reduce_by_key_impl_wrapped_configILNS1_25lookback_scan_determinismE0ES3_S9_NS6_6detail15normal_iteratorINS6_10device_ptrIjEEEENSD_INSE_IsEEEENS6_16discard_iteratorINS6_11use_defaultEEESI_PmS8_NS6_8equal_toIjEEEE10hipError_tPvRmT2_T3_mT4_T5_T6_T7_T8_P12ihipStream_tbENKUlT_T0_E_clISt17integral_constantIbLb0EES15_IbLb1EEEEDaS11_S12_EUlS11_E_NS1_11comp_targetILNS1_3genE5ELNS1_11target_archE942ELNS1_3gpuE9ELNS1_3repE0EEENS1_30default_config_static_selectorELNS0_4arch9wavefront6targetE0EEEvT1_,comdat
.Lfunc_end1085:
	.size	_ZN7rocprim17ROCPRIM_400000_NS6detail17trampoline_kernelINS0_14default_configENS1_29reduce_by_key_config_selectorIjsN6thrust23THRUST_200600_302600_NS4plusIsEEEEZZNS1_33reduce_by_key_impl_wrapped_configILNS1_25lookback_scan_determinismE0ES3_S9_NS6_6detail15normal_iteratorINS6_10device_ptrIjEEEENSD_INSE_IsEEEENS6_16discard_iteratorINS6_11use_defaultEEESI_PmS8_NS6_8equal_toIjEEEE10hipError_tPvRmT2_T3_mT4_T5_T6_T7_T8_P12ihipStream_tbENKUlT_T0_E_clISt17integral_constantIbLb0EES15_IbLb1EEEEDaS11_S12_EUlS11_E_NS1_11comp_targetILNS1_3genE5ELNS1_11target_archE942ELNS1_3gpuE9ELNS1_3repE0EEENS1_30default_config_static_selectorELNS0_4arch9wavefront6targetE0EEEvT1_, .Lfunc_end1085-_ZN7rocprim17ROCPRIM_400000_NS6detail17trampoline_kernelINS0_14default_configENS1_29reduce_by_key_config_selectorIjsN6thrust23THRUST_200600_302600_NS4plusIsEEEEZZNS1_33reduce_by_key_impl_wrapped_configILNS1_25lookback_scan_determinismE0ES3_S9_NS6_6detail15normal_iteratorINS6_10device_ptrIjEEEENSD_INSE_IsEEEENS6_16discard_iteratorINS6_11use_defaultEEESI_PmS8_NS6_8equal_toIjEEEE10hipError_tPvRmT2_T3_mT4_T5_T6_T7_T8_P12ihipStream_tbENKUlT_T0_E_clISt17integral_constantIbLb0EES15_IbLb1EEEEDaS11_S12_EUlS11_E_NS1_11comp_targetILNS1_3genE5ELNS1_11target_archE942ELNS1_3gpuE9ELNS1_3repE0EEENS1_30default_config_static_selectorELNS0_4arch9wavefront6targetE0EEEvT1_
                                        ; -- End function
	.section	.AMDGPU.csdata,"",@progbits
; Kernel info:
; codeLenInByte = 0
; NumSgprs: 0
; NumVgprs: 0
; ScratchSize: 0
; MemoryBound: 0
; FloatMode: 240
; IeeeMode: 1
; LDSByteSize: 0 bytes/workgroup (compile time only)
; SGPRBlocks: 0
; VGPRBlocks: 0
; NumSGPRsForWavesPerEU: 1
; NumVGPRsForWavesPerEU: 1
; Occupancy: 16
; WaveLimiterHint : 0
; COMPUTE_PGM_RSRC2:SCRATCH_EN: 0
; COMPUTE_PGM_RSRC2:USER_SGPR: 15
; COMPUTE_PGM_RSRC2:TRAP_HANDLER: 0
; COMPUTE_PGM_RSRC2:TGID_X_EN: 1
; COMPUTE_PGM_RSRC2:TGID_Y_EN: 0
; COMPUTE_PGM_RSRC2:TGID_Z_EN: 0
; COMPUTE_PGM_RSRC2:TIDIG_COMP_CNT: 0
	.section	.text._ZN7rocprim17ROCPRIM_400000_NS6detail17trampoline_kernelINS0_14default_configENS1_29reduce_by_key_config_selectorIjsN6thrust23THRUST_200600_302600_NS4plusIsEEEEZZNS1_33reduce_by_key_impl_wrapped_configILNS1_25lookback_scan_determinismE0ES3_S9_NS6_6detail15normal_iteratorINS6_10device_ptrIjEEEENSD_INSE_IsEEEENS6_16discard_iteratorINS6_11use_defaultEEESI_PmS8_NS6_8equal_toIjEEEE10hipError_tPvRmT2_T3_mT4_T5_T6_T7_T8_P12ihipStream_tbENKUlT_T0_E_clISt17integral_constantIbLb0EES15_IbLb1EEEEDaS11_S12_EUlS11_E_NS1_11comp_targetILNS1_3genE4ELNS1_11target_archE910ELNS1_3gpuE8ELNS1_3repE0EEENS1_30default_config_static_selectorELNS0_4arch9wavefront6targetE0EEEvT1_,"axG",@progbits,_ZN7rocprim17ROCPRIM_400000_NS6detail17trampoline_kernelINS0_14default_configENS1_29reduce_by_key_config_selectorIjsN6thrust23THRUST_200600_302600_NS4plusIsEEEEZZNS1_33reduce_by_key_impl_wrapped_configILNS1_25lookback_scan_determinismE0ES3_S9_NS6_6detail15normal_iteratorINS6_10device_ptrIjEEEENSD_INSE_IsEEEENS6_16discard_iteratorINS6_11use_defaultEEESI_PmS8_NS6_8equal_toIjEEEE10hipError_tPvRmT2_T3_mT4_T5_T6_T7_T8_P12ihipStream_tbENKUlT_T0_E_clISt17integral_constantIbLb0EES15_IbLb1EEEEDaS11_S12_EUlS11_E_NS1_11comp_targetILNS1_3genE4ELNS1_11target_archE910ELNS1_3gpuE8ELNS1_3repE0EEENS1_30default_config_static_selectorELNS0_4arch9wavefront6targetE0EEEvT1_,comdat
	.protected	_ZN7rocprim17ROCPRIM_400000_NS6detail17trampoline_kernelINS0_14default_configENS1_29reduce_by_key_config_selectorIjsN6thrust23THRUST_200600_302600_NS4plusIsEEEEZZNS1_33reduce_by_key_impl_wrapped_configILNS1_25lookback_scan_determinismE0ES3_S9_NS6_6detail15normal_iteratorINS6_10device_ptrIjEEEENSD_INSE_IsEEEENS6_16discard_iteratorINS6_11use_defaultEEESI_PmS8_NS6_8equal_toIjEEEE10hipError_tPvRmT2_T3_mT4_T5_T6_T7_T8_P12ihipStream_tbENKUlT_T0_E_clISt17integral_constantIbLb0EES15_IbLb1EEEEDaS11_S12_EUlS11_E_NS1_11comp_targetILNS1_3genE4ELNS1_11target_archE910ELNS1_3gpuE8ELNS1_3repE0EEENS1_30default_config_static_selectorELNS0_4arch9wavefront6targetE0EEEvT1_ ; -- Begin function _ZN7rocprim17ROCPRIM_400000_NS6detail17trampoline_kernelINS0_14default_configENS1_29reduce_by_key_config_selectorIjsN6thrust23THRUST_200600_302600_NS4plusIsEEEEZZNS1_33reduce_by_key_impl_wrapped_configILNS1_25lookback_scan_determinismE0ES3_S9_NS6_6detail15normal_iteratorINS6_10device_ptrIjEEEENSD_INSE_IsEEEENS6_16discard_iteratorINS6_11use_defaultEEESI_PmS8_NS6_8equal_toIjEEEE10hipError_tPvRmT2_T3_mT4_T5_T6_T7_T8_P12ihipStream_tbENKUlT_T0_E_clISt17integral_constantIbLb0EES15_IbLb1EEEEDaS11_S12_EUlS11_E_NS1_11comp_targetILNS1_3genE4ELNS1_11target_archE910ELNS1_3gpuE8ELNS1_3repE0EEENS1_30default_config_static_selectorELNS0_4arch9wavefront6targetE0EEEvT1_
	.globl	_ZN7rocprim17ROCPRIM_400000_NS6detail17trampoline_kernelINS0_14default_configENS1_29reduce_by_key_config_selectorIjsN6thrust23THRUST_200600_302600_NS4plusIsEEEEZZNS1_33reduce_by_key_impl_wrapped_configILNS1_25lookback_scan_determinismE0ES3_S9_NS6_6detail15normal_iteratorINS6_10device_ptrIjEEEENSD_INSE_IsEEEENS6_16discard_iteratorINS6_11use_defaultEEESI_PmS8_NS6_8equal_toIjEEEE10hipError_tPvRmT2_T3_mT4_T5_T6_T7_T8_P12ihipStream_tbENKUlT_T0_E_clISt17integral_constantIbLb0EES15_IbLb1EEEEDaS11_S12_EUlS11_E_NS1_11comp_targetILNS1_3genE4ELNS1_11target_archE910ELNS1_3gpuE8ELNS1_3repE0EEENS1_30default_config_static_selectorELNS0_4arch9wavefront6targetE0EEEvT1_
	.p2align	8
	.type	_ZN7rocprim17ROCPRIM_400000_NS6detail17trampoline_kernelINS0_14default_configENS1_29reduce_by_key_config_selectorIjsN6thrust23THRUST_200600_302600_NS4plusIsEEEEZZNS1_33reduce_by_key_impl_wrapped_configILNS1_25lookback_scan_determinismE0ES3_S9_NS6_6detail15normal_iteratorINS6_10device_ptrIjEEEENSD_INSE_IsEEEENS6_16discard_iteratorINS6_11use_defaultEEESI_PmS8_NS6_8equal_toIjEEEE10hipError_tPvRmT2_T3_mT4_T5_T6_T7_T8_P12ihipStream_tbENKUlT_T0_E_clISt17integral_constantIbLb0EES15_IbLb1EEEEDaS11_S12_EUlS11_E_NS1_11comp_targetILNS1_3genE4ELNS1_11target_archE910ELNS1_3gpuE8ELNS1_3repE0EEENS1_30default_config_static_selectorELNS0_4arch9wavefront6targetE0EEEvT1_,@function
_ZN7rocprim17ROCPRIM_400000_NS6detail17trampoline_kernelINS0_14default_configENS1_29reduce_by_key_config_selectorIjsN6thrust23THRUST_200600_302600_NS4plusIsEEEEZZNS1_33reduce_by_key_impl_wrapped_configILNS1_25lookback_scan_determinismE0ES3_S9_NS6_6detail15normal_iteratorINS6_10device_ptrIjEEEENSD_INSE_IsEEEENS6_16discard_iteratorINS6_11use_defaultEEESI_PmS8_NS6_8equal_toIjEEEE10hipError_tPvRmT2_T3_mT4_T5_T6_T7_T8_P12ihipStream_tbENKUlT_T0_E_clISt17integral_constantIbLb0EES15_IbLb1EEEEDaS11_S12_EUlS11_E_NS1_11comp_targetILNS1_3genE4ELNS1_11target_archE910ELNS1_3gpuE8ELNS1_3repE0EEENS1_30default_config_static_selectorELNS0_4arch9wavefront6targetE0EEEvT1_: ; @_ZN7rocprim17ROCPRIM_400000_NS6detail17trampoline_kernelINS0_14default_configENS1_29reduce_by_key_config_selectorIjsN6thrust23THRUST_200600_302600_NS4plusIsEEEEZZNS1_33reduce_by_key_impl_wrapped_configILNS1_25lookback_scan_determinismE0ES3_S9_NS6_6detail15normal_iteratorINS6_10device_ptrIjEEEENSD_INSE_IsEEEENS6_16discard_iteratorINS6_11use_defaultEEESI_PmS8_NS6_8equal_toIjEEEE10hipError_tPvRmT2_T3_mT4_T5_T6_T7_T8_P12ihipStream_tbENKUlT_T0_E_clISt17integral_constantIbLb0EES15_IbLb1EEEEDaS11_S12_EUlS11_E_NS1_11comp_targetILNS1_3genE4ELNS1_11target_archE910ELNS1_3gpuE8ELNS1_3repE0EEENS1_30default_config_static_selectorELNS0_4arch9wavefront6targetE0EEEvT1_
; %bb.0:
	.section	.rodata,"a",@progbits
	.p2align	6, 0x0
	.amdhsa_kernel _ZN7rocprim17ROCPRIM_400000_NS6detail17trampoline_kernelINS0_14default_configENS1_29reduce_by_key_config_selectorIjsN6thrust23THRUST_200600_302600_NS4plusIsEEEEZZNS1_33reduce_by_key_impl_wrapped_configILNS1_25lookback_scan_determinismE0ES3_S9_NS6_6detail15normal_iteratorINS6_10device_ptrIjEEEENSD_INSE_IsEEEENS6_16discard_iteratorINS6_11use_defaultEEESI_PmS8_NS6_8equal_toIjEEEE10hipError_tPvRmT2_T3_mT4_T5_T6_T7_T8_P12ihipStream_tbENKUlT_T0_E_clISt17integral_constantIbLb0EES15_IbLb1EEEEDaS11_S12_EUlS11_E_NS1_11comp_targetILNS1_3genE4ELNS1_11target_archE910ELNS1_3gpuE8ELNS1_3repE0EEENS1_30default_config_static_selectorELNS0_4arch9wavefront6targetE0EEEvT1_
		.amdhsa_group_segment_fixed_size 0
		.amdhsa_private_segment_fixed_size 0
		.amdhsa_kernarg_size 128
		.amdhsa_user_sgpr_count 15
		.amdhsa_user_sgpr_dispatch_ptr 0
		.amdhsa_user_sgpr_queue_ptr 0
		.amdhsa_user_sgpr_kernarg_segment_ptr 1
		.amdhsa_user_sgpr_dispatch_id 0
		.amdhsa_user_sgpr_private_segment_size 0
		.amdhsa_wavefront_size32 1
		.amdhsa_uses_dynamic_stack 0
		.amdhsa_enable_private_segment 0
		.amdhsa_system_sgpr_workgroup_id_x 1
		.amdhsa_system_sgpr_workgroup_id_y 0
		.amdhsa_system_sgpr_workgroup_id_z 0
		.amdhsa_system_sgpr_workgroup_info 0
		.amdhsa_system_vgpr_workitem_id 0
		.amdhsa_next_free_vgpr 1
		.amdhsa_next_free_sgpr 1
		.amdhsa_reserve_vcc 0
		.amdhsa_float_round_mode_32 0
		.amdhsa_float_round_mode_16_64 0
		.amdhsa_float_denorm_mode_32 3
		.amdhsa_float_denorm_mode_16_64 3
		.amdhsa_dx10_clamp 1
		.amdhsa_ieee_mode 1
		.amdhsa_fp16_overflow 0
		.amdhsa_workgroup_processor_mode 1
		.amdhsa_memory_ordered 1
		.amdhsa_forward_progress 0
		.amdhsa_shared_vgpr_count 0
		.amdhsa_exception_fp_ieee_invalid_op 0
		.amdhsa_exception_fp_denorm_src 0
		.amdhsa_exception_fp_ieee_div_zero 0
		.amdhsa_exception_fp_ieee_overflow 0
		.amdhsa_exception_fp_ieee_underflow 0
		.amdhsa_exception_fp_ieee_inexact 0
		.amdhsa_exception_int_div_zero 0
	.end_amdhsa_kernel
	.section	.text._ZN7rocprim17ROCPRIM_400000_NS6detail17trampoline_kernelINS0_14default_configENS1_29reduce_by_key_config_selectorIjsN6thrust23THRUST_200600_302600_NS4plusIsEEEEZZNS1_33reduce_by_key_impl_wrapped_configILNS1_25lookback_scan_determinismE0ES3_S9_NS6_6detail15normal_iteratorINS6_10device_ptrIjEEEENSD_INSE_IsEEEENS6_16discard_iteratorINS6_11use_defaultEEESI_PmS8_NS6_8equal_toIjEEEE10hipError_tPvRmT2_T3_mT4_T5_T6_T7_T8_P12ihipStream_tbENKUlT_T0_E_clISt17integral_constantIbLb0EES15_IbLb1EEEEDaS11_S12_EUlS11_E_NS1_11comp_targetILNS1_3genE4ELNS1_11target_archE910ELNS1_3gpuE8ELNS1_3repE0EEENS1_30default_config_static_selectorELNS0_4arch9wavefront6targetE0EEEvT1_,"axG",@progbits,_ZN7rocprim17ROCPRIM_400000_NS6detail17trampoline_kernelINS0_14default_configENS1_29reduce_by_key_config_selectorIjsN6thrust23THRUST_200600_302600_NS4plusIsEEEEZZNS1_33reduce_by_key_impl_wrapped_configILNS1_25lookback_scan_determinismE0ES3_S9_NS6_6detail15normal_iteratorINS6_10device_ptrIjEEEENSD_INSE_IsEEEENS6_16discard_iteratorINS6_11use_defaultEEESI_PmS8_NS6_8equal_toIjEEEE10hipError_tPvRmT2_T3_mT4_T5_T6_T7_T8_P12ihipStream_tbENKUlT_T0_E_clISt17integral_constantIbLb0EES15_IbLb1EEEEDaS11_S12_EUlS11_E_NS1_11comp_targetILNS1_3genE4ELNS1_11target_archE910ELNS1_3gpuE8ELNS1_3repE0EEENS1_30default_config_static_selectorELNS0_4arch9wavefront6targetE0EEEvT1_,comdat
.Lfunc_end1086:
	.size	_ZN7rocprim17ROCPRIM_400000_NS6detail17trampoline_kernelINS0_14default_configENS1_29reduce_by_key_config_selectorIjsN6thrust23THRUST_200600_302600_NS4plusIsEEEEZZNS1_33reduce_by_key_impl_wrapped_configILNS1_25lookback_scan_determinismE0ES3_S9_NS6_6detail15normal_iteratorINS6_10device_ptrIjEEEENSD_INSE_IsEEEENS6_16discard_iteratorINS6_11use_defaultEEESI_PmS8_NS6_8equal_toIjEEEE10hipError_tPvRmT2_T3_mT4_T5_T6_T7_T8_P12ihipStream_tbENKUlT_T0_E_clISt17integral_constantIbLb0EES15_IbLb1EEEEDaS11_S12_EUlS11_E_NS1_11comp_targetILNS1_3genE4ELNS1_11target_archE910ELNS1_3gpuE8ELNS1_3repE0EEENS1_30default_config_static_selectorELNS0_4arch9wavefront6targetE0EEEvT1_, .Lfunc_end1086-_ZN7rocprim17ROCPRIM_400000_NS6detail17trampoline_kernelINS0_14default_configENS1_29reduce_by_key_config_selectorIjsN6thrust23THRUST_200600_302600_NS4plusIsEEEEZZNS1_33reduce_by_key_impl_wrapped_configILNS1_25lookback_scan_determinismE0ES3_S9_NS6_6detail15normal_iteratorINS6_10device_ptrIjEEEENSD_INSE_IsEEEENS6_16discard_iteratorINS6_11use_defaultEEESI_PmS8_NS6_8equal_toIjEEEE10hipError_tPvRmT2_T3_mT4_T5_T6_T7_T8_P12ihipStream_tbENKUlT_T0_E_clISt17integral_constantIbLb0EES15_IbLb1EEEEDaS11_S12_EUlS11_E_NS1_11comp_targetILNS1_3genE4ELNS1_11target_archE910ELNS1_3gpuE8ELNS1_3repE0EEENS1_30default_config_static_selectorELNS0_4arch9wavefront6targetE0EEEvT1_
                                        ; -- End function
	.section	.AMDGPU.csdata,"",@progbits
; Kernel info:
; codeLenInByte = 0
; NumSgprs: 0
; NumVgprs: 0
; ScratchSize: 0
; MemoryBound: 0
; FloatMode: 240
; IeeeMode: 1
; LDSByteSize: 0 bytes/workgroup (compile time only)
; SGPRBlocks: 0
; VGPRBlocks: 0
; NumSGPRsForWavesPerEU: 1
; NumVGPRsForWavesPerEU: 1
; Occupancy: 16
; WaveLimiterHint : 0
; COMPUTE_PGM_RSRC2:SCRATCH_EN: 0
; COMPUTE_PGM_RSRC2:USER_SGPR: 15
; COMPUTE_PGM_RSRC2:TRAP_HANDLER: 0
; COMPUTE_PGM_RSRC2:TGID_X_EN: 1
; COMPUTE_PGM_RSRC2:TGID_Y_EN: 0
; COMPUTE_PGM_RSRC2:TGID_Z_EN: 0
; COMPUTE_PGM_RSRC2:TIDIG_COMP_CNT: 0
	.section	.text._ZN7rocprim17ROCPRIM_400000_NS6detail17trampoline_kernelINS0_14default_configENS1_29reduce_by_key_config_selectorIjsN6thrust23THRUST_200600_302600_NS4plusIsEEEEZZNS1_33reduce_by_key_impl_wrapped_configILNS1_25lookback_scan_determinismE0ES3_S9_NS6_6detail15normal_iteratorINS6_10device_ptrIjEEEENSD_INSE_IsEEEENS6_16discard_iteratorINS6_11use_defaultEEESI_PmS8_NS6_8equal_toIjEEEE10hipError_tPvRmT2_T3_mT4_T5_T6_T7_T8_P12ihipStream_tbENKUlT_T0_E_clISt17integral_constantIbLb0EES15_IbLb1EEEEDaS11_S12_EUlS11_E_NS1_11comp_targetILNS1_3genE3ELNS1_11target_archE908ELNS1_3gpuE7ELNS1_3repE0EEENS1_30default_config_static_selectorELNS0_4arch9wavefront6targetE0EEEvT1_,"axG",@progbits,_ZN7rocprim17ROCPRIM_400000_NS6detail17trampoline_kernelINS0_14default_configENS1_29reduce_by_key_config_selectorIjsN6thrust23THRUST_200600_302600_NS4plusIsEEEEZZNS1_33reduce_by_key_impl_wrapped_configILNS1_25lookback_scan_determinismE0ES3_S9_NS6_6detail15normal_iteratorINS6_10device_ptrIjEEEENSD_INSE_IsEEEENS6_16discard_iteratorINS6_11use_defaultEEESI_PmS8_NS6_8equal_toIjEEEE10hipError_tPvRmT2_T3_mT4_T5_T6_T7_T8_P12ihipStream_tbENKUlT_T0_E_clISt17integral_constantIbLb0EES15_IbLb1EEEEDaS11_S12_EUlS11_E_NS1_11comp_targetILNS1_3genE3ELNS1_11target_archE908ELNS1_3gpuE7ELNS1_3repE0EEENS1_30default_config_static_selectorELNS0_4arch9wavefront6targetE0EEEvT1_,comdat
	.protected	_ZN7rocprim17ROCPRIM_400000_NS6detail17trampoline_kernelINS0_14default_configENS1_29reduce_by_key_config_selectorIjsN6thrust23THRUST_200600_302600_NS4plusIsEEEEZZNS1_33reduce_by_key_impl_wrapped_configILNS1_25lookback_scan_determinismE0ES3_S9_NS6_6detail15normal_iteratorINS6_10device_ptrIjEEEENSD_INSE_IsEEEENS6_16discard_iteratorINS6_11use_defaultEEESI_PmS8_NS6_8equal_toIjEEEE10hipError_tPvRmT2_T3_mT4_T5_T6_T7_T8_P12ihipStream_tbENKUlT_T0_E_clISt17integral_constantIbLb0EES15_IbLb1EEEEDaS11_S12_EUlS11_E_NS1_11comp_targetILNS1_3genE3ELNS1_11target_archE908ELNS1_3gpuE7ELNS1_3repE0EEENS1_30default_config_static_selectorELNS0_4arch9wavefront6targetE0EEEvT1_ ; -- Begin function _ZN7rocprim17ROCPRIM_400000_NS6detail17trampoline_kernelINS0_14default_configENS1_29reduce_by_key_config_selectorIjsN6thrust23THRUST_200600_302600_NS4plusIsEEEEZZNS1_33reduce_by_key_impl_wrapped_configILNS1_25lookback_scan_determinismE0ES3_S9_NS6_6detail15normal_iteratorINS6_10device_ptrIjEEEENSD_INSE_IsEEEENS6_16discard_iteratorINS6_11use_defaultEEESI_PmS8_NS6_8equal_toIjEEEE10hipError_tPvRmT2_T3_mT4_T5_T6_T7_T8_P12ihipStream_tbENKUlT_T0_E_clISt17integral_constantIbLb0EES15_IbLb1EEEEDaS11_S12_EUlS11_E_NS1_11comp_targetILNS1_3genE3ELNS1_11target_archE908ELNS1_3gpuE7ELNS1_3repE0EEENS1_30default_config_static_selectorELNS0_4arch9wavefront6targetE0EEEvT1_
	.globl	_ZN7rocprim17ROCPRIM_400000_NS6detail17trampoline_kernelINS0_14default_configENS1_29reduce_by_key_config_selectorIjsN6thrust23THRUST_200600_302600_NS4plusIsEEEEZZNS1_33reduce_by_key_impl_wrapped_configILNS1_25lookback_scan_determinismE0ES3_S9_NS6_6detail15normal_iteratorINS6_10device_ptrIjEEEENSD_INSE_IsEEEENS6_16discard_iteratorINS6_11use_defaultEEESI_PmS8_NS6_8equal_toIjEEEE10hipError_tPvRmT2_T3_mT4_T5_T6_T7_T8_P12ihipStream_tbENKUlT_T0_E_clISt17integral_constantIbLb0EES15_IbLb1EEEEDaS11_S12_EUlS11_E_NS1_11comp_targetILNS1_3genE3ELNS1_11target_archE908ELNS1_3gpuE7ELNS1_3repE0EEENS1_30default_config_static_selectorELNS0_4arch9wavefront6targetE0EEEvT1_
	.p2align	8
	.type	_ZN7rocprim17ROCPRIM_400000_NS6detail17trampoline_kernelINS0_14default_configENS1_29reduce_by_key_config_selectorIjsN6thrust23THRUST_200600_302600_NS4plusIsEEEEZZNS1_33reduce_by_key_impl_wrapped_configILNS1_25lookback_scan_determinismE0ES3_S9_NS6_6detail15normal_iteratorINS6_10device_ptrIjEEEENSD_INSE_IsEEEENS6_16discard_iteratorINS6_11use_defaultEEESI_PmS8_NS6_8equal_toIjEEEE10hipError_tPvRmT2_T3_mT4_T5_T6_T7_T8_P12ihipStream_tbENKUlT_T0_E_clISt17integral_constantIbLb0EES15_IbLb1EEEEDaS11_S12_EUlS11_E_NS1_11comp_targetILNS1_3genE3ELNS1_11target_archE908ELNS1_3gpuE7ELNS1_3repE0EEENS1_30default_config_static_selectorELNS0_4arch9wavefront6targetE0EEEvT1_,@function
_ZN7rocprim17ROCPRIM_400000_NS6detail17trampoline_kernelINS0_14default_configENS1_29reduce_by_key_config_selectorIjsN6thrust23THRUST_200600_302600_NS4plusIsEEEEZZNS1_33reduce_by_key_impl_wrapped_configILNS1_25lookback_scan_determinismE0ES3_S9_NS6_6detail15normal_iteratorINS6_10device_ptrIjEEEENSD_INSE_IsEEEENS6_16discard_iteratorINS6_11use_defaultEEESI_PmS8_NS6_8equal_toIjEEEE10hipError_tPvRmT2_T3_mT4_T5_T6_T7_T8_P12ihipStream_tbENKUlT_T0_E_clISt17integral_constantIbLb0EES15_IbLb1EEEEDaS11_S12_EUlS11_E_NS1_11comp_targetILNS1_3genE3ELNS1_11target_archE908ELNS1_3gpuE7ELNS1_3repE0EEENS1_30default_config_static_selectorELNS0_4arch9wavefront6targetE0EEEvT1_: ; @_ZN7rocprim17ROCPRIM_400000_NS6detail17trampoline_kernelINS0_14default_configENS1_29reduce_by_key_config_selectorIjsN6thrust23THRUST_200600_302600_NS4plusIsEEEEZZNS1_33reduce_by_key_impl_wrapped_configILNS1_25lookback_scan_determinismE0ES3_S9_NS6_6detail15normal_iteratorINS6_10device_ptrIjEEEENSD_INSE_IsEEEENS6_16discard_iteratorINS6_11use_defaultEEESI_PmS8_NS6_8equal_toIjEEEE10hipError_tPvRmT2_T3_mT4_T5_T6_T7_T8_P12ihipStream_tbENKUlT_T0_E_clISt17integral_constantIbLb0EES15_IbLb1EEEEDaS11_S12_EUlS11_E_NS1_11comp_targetILNS1_3genE3ELNS1_11target_archE908ELNS1_3gpuE7ELNS1_3repE0EEENS1_30default_config_static_selectorELNS0_4arch9wavefront6targetE0EEEvT1_
; %bb.0:
	.section	.rodata,"a",@progbits
	.p2align	6, 0x0
	.amdhsa_kernel _ZN7rocprim17ROCPRIM_400000_NS6detail17trampoline_kernelINS0_14default_configENS1_29reduce_by_key_config_selectorIjsN6thrust23THRUST_200600_302600_NS4plusIsEEEEZZNS1_33reduce_by_key_impl_wrapped_configILNS1_25lookback_scan_determinismE0ES3_S9_NS6_6detail15normal_iteratorINS6_10device_ptrIjEEEENSD_INSE_IsEEEENS6_16discard_iteratorINS6_11use_defaultEEESI_PmS8_NS6_8equal_toIjEEEE10hipError_tPvRmT2_T3_mT4_T5_T6_T7_T8_P12ihipStream_tbENKUlT_T0_E_clISt17integral_constantIbLb0EES15_IbLb1EEEEDaS11_S12_EUlS11_E_NS1_11comp_targetILNS1_3genE3ELNS1_11target_archE908ELNS1_3gpuE7ELNS1_3repE0EEENS1_30default_config_static_selectorELNS0_4arch9wavefront6targetE0EEEvT1_
		.amdhsa_group_segment_fixed_size 0
		.amdhsa_private_segment_fixed_size 0
		.amdhsa_kernarg_size 128
		.amdhsa_user_sgpr_count 15
		.amdhsa_user_sgpr_dispatch_ptr 0
		.amdhsa_user_sgpr_queue_ptr 0
		.amdhsa_user_sgpr_kernarg_segment_ptr 1
		.amdhsa_user_sgpr_dispatch_id 0
		.amdhsa_user_sgpr_private_segment_size 0
		.amdhsa_wavefront_size32 1
		.amdhsa_uses_dynamic_stack 0
		.amdhsa_enable_private_segment 0
		.amdhsa_system_sgpr_workgroup_id_x 1
		.amdhsa_system_sgpr_workgroup_id_y 0
		.amdhsa_system_sgpr_workgroup_id_z 0
		.amdhsa_system_sgpr_workgroup_info 0
		.amdhsa_system_vgpr_workitem_id 0
		.amdhsa_next_free_vgpr 1
		.amdhsa_next_free_sgpr 1
		.amdhsa_reserve_vcc 0
		.amdhsa_float_round_mode_32 0
		.amdhsa_float_round_mode_16_64 0
		.amdhsa_float_denorm_mode_32 3
		.amdhsa_float_denorm_mode_16_64 3
		.amdhsa_dx10_clamp 1
		.amdhsa_ieee_mode 1
		.amdhsa_fp16_overflow 0
		.amdhsa_workgroup_processor_mode 1
		.amdhsa_memory_ordered 1
		.amdhsa_forward_progress 0
		.amdhsa_shared_vgpr_count 0
		.amdhsa_exception_fp_ieee_invalid_op 0
		.amdhsa_exception_fp_denorm_src 0
		.amdhsa_exception_fp_ieee_div_zero 0
		.amdhsa_exception_fp_ieee_overflow 0
		.amdhsa_exception_fp_ieee_underflow 0
		.amdhsa_exception_fp_ieee_inexact 0
		.amdhsa_exception_int_div_zero 0
	.end_amdhsa_kernel
	.section	.text._ZN7rocprim17ROCPRIM_400000_NS6detail17trampoline_kernelINS0_14default_configENS1_29reduce_by_key_config_selectorIjsN6thrust23THRUST_200600_302600_NS4plusIsEEEEZZNS1_33reduce_by_key_impl_wrapped_configILNS1_25lookback_scan_determinismE0ES3_S9_NS6_6detail15normal_iteratorINS6_10device_ptrIjEEEENSD_INSE_IsEEEENS6_16discard_iteratorINS6_11use_defaultEEESI_PmS8_NS6_8equal_toIjEEEE10hipError_tPvRmT2_T3_mT4_T5_T6_T7_T8_P12ihipStream_tbENKUlT_T0_E_clISt17integral_constantIbLb0EES15_IbLb1EEEEDaS11_S12_EUlS11_E_NS1_11comp_targetILNS1_3genE3ELNS1_11target_archE908ELNS1_3gpuE7ELNS1_3repE0EEENS1_30default_config_static_selectorELNS0_4arch9wavefront6targetE0EEEvT1_,"axG",@progbits,_ZN7rocprim17ROCPRIM_400000_NS6detail17trampoline_kernelINS0_14default_configENS1_29reduce_by_key_config_selectorIjsN6thrust23THRUST_200600_302600_NS4plusIsEEEEZZNS1_33reduce_by_key_impl_wrapped_configILNS1_25lookback_scan_determinismE0ES3_S9_NS6_6detail15normal_iteratorINS6_10device_ptrIjEEEENSD_INSE_IsEEEENS6_16discard_iteratorINS6_11use_defaultEEESI_PmS8_NS6_8equal_toIjEEEE10hipError_tPvRmT2_T3_mT4_T5_T6_T7_T8_P12ihipStream_tbENKUlT_T0_E_clISt17integral_constantIbLb0EES15_IbLb1EEEEDaS11_S12_EUlS11_E_NS1_11comp_targetILNS1_3genE3ELNS1_11target_archE908ELNS1_3gpuE7ELNS1_3repE0EEENS1_30default_config_static_selectorELNS0_4arch9wavefront6targetE0EEEvT1_,comdat
.Lfunc_end1087:
	.size	_ZN7rocprim17ROCPRIM_400000_NS6detail17trampoline_kernelINS0_14default_configENS1_29reduce_by_key_config_selectorIjsN6thrust23THRUST_200600_302600_NS4plusIsEEEEZZNS1_33reduce_by_key_impl_wrapped_configILNS1_25lookback_scan_determinismE0ES3_S9_NS6_6detail15normal_iteratorINS6_10device_ptrIjEEEENSD_INSE_IsEEEENS6_16discard_iteratorINS6_11use_defaultEEESI_PmS8_NS6_8equal_toIjEEEE10hipError_tPvRmT2_T3_mT4_T5_T6_T7_T8_P12ihipStream_tbENKUlT_T0_E_clISt17integral_constantIbLb0EES15_IbLb1EEEEDaS11_S12_EUlS11_E_NS1_11comp_targetILNS1_3genE3ELNS1_11target_archE908ELNS1_3gpuE7ELNS1_3repE0EEENS1_30default_config_static_selectorELNS0_4arch9wavefront6targetE0EEEvT1_, .Lfunc_end1087-_ZN7rocprim17ROCPRIM_400000_NS6detail17trampoline_kernelINS0_14default_configENS1_29reduce_by_key_config_selectorIjsN6thrust23THRUST_200600_302600_NS4plusIsEEEEZZNS1_33reduce_by_key_impl_wrapped_configILNS1_25lookback_scan_determinismE0ES3_S9_NS6_6detail15normal_iteratorINS6_10device_ptrIjEEEENSD_INSE_IsEEEENS6_16discard_iteratorINS6_11use_defaultEEESI_PmS8_NS6_8equal_toIjEEEE10hipError_tPvRmT2_T3_mT4_T5_T6_T7_T8_P12ihipStream_tbENKUlT_T0_E_clISt17integral_constantIbLb0EES15_IbLb1EEEEDaS11_S12_EUlS11_E_NS1_11comp_targetILNS1_3genE3ELNS1_11target_archE908ELNS1_3gpuE7ELNS1_3repE0EEENS1_30default_config_static_selectorELNS0_4arch9wavefront6targetE0EEEvT1_
                                        ; -- End function
	.section	.AMDGPU.csdata,"",@progbits
; Kernel info:
; codeLenInByte = 0
; NumSgprs: 0
; NumVgprs: 0
; ScratchSize: 0
; MemoryBound: 0
; FloatMode: 240
; IeeeMode: 1
; LDSByteSize: 0 bytes/workgroup (compile time only)
; SGPRBlocks: 0
; VGPRBlocks: 0
; NumSGPRsForWavesPerEU: 1
; NumVGPRsForWavesPerEU: 1
; Occupancy: 16
; WaveLimiterHint : 0
; COMPUTE_PGM_RSRC2:SCRATCH_EN: 0
; COMPUTE_PGM_RSRC2:USER_SGPR: 15
; COMPUTE_PGM_RSRC2:TRAP_HANDLER: 0
; COMPUTE_PGM_RSRC2:TGID_X_EN: 1
; COMPUTE_PGM_RSRC2:TGID_Y_EN: 0
; COMPUTE_PGM_RSRC2:TGID_Z_EN: 0
; COMPUTE_PGM_RSRC2:TIDIG_COMP_CNT: 0
	.section	.text._ZN7rocprim17ROCPRIM_400000_NS6detail17trampoline_kernelINS0_14default_configENS1_29reduce_by_key_config_selectorIjsN6thrust23THRUST_200600_302600_NS4plusIsEEEEZZNS1_33reduce_by_key_impl_wrapped_configILNS1_25lookback_scan_determinismE0ES3_S9_NS6_6detail15normal_iteratorINS6_10device_ptrIjEEEENSD_INSE_IsEEEENS6_16discard_iteratorINS6_11use_defaultEEESI_PmS8_NS6_8equal_toIjEEEE10hipError_tPvRmT2_T3_mT4_T5_T6_T7_T8_P12ihipStream_tbENKUlT_T0_E_clISt17integral_constantIbLb0EES15_IbLb1EEEEDaS11_S12_EUlS11_E_NS1_11comp_targetILNS1_3genE2ELNS1_11target_archE906ELNS1_3gpuE6ELNS1_3repE0EEENS1_30default_config_static_selectorELNS0_4arch9wavefront6targetE0EEEvT1_,"axG",@progbits,_ZN7rocprim17ROCPRIM_400000_NS6detail17trampoline_kernelINS0_14default_configENS1_29reduce_by_key_config_selectorIjsN6thrust23THRUST_200600_302600_NS4plusIsEEEEZZNS1_33reduce_by_key_impl_wrapped_configILNS1_25lookback_scan_determinismE0ES3_S9_NS6_6detail15normal_iteratorINS6_10device_ptrIjEEEENSD_INSE_IsEEEENS6_16discard_iteratorINS6_11use_defaultEEESI_PmS8_NS6_8equal_toIjEEEE10hipError_tPvRmT2_T3_mT4_T5_T6_T7_T8_P12ihipStream_tbENKUlT_T0_E_clISt17integral_constantIbLb0EES15_IbLb1EEEEDaS11_S12_EUlS11_E_NS1_11comp_targetILNS1_3genE2ELNS1_11target_archE906ELNS1_3gpuE6ELNS1_3repE0EEENS1_30default_config_static_selectorELNS0_4arch9wavefront6targetE0EEEvT1_,comdat
	.protected	_ZN7rocprim17ROCPRIM_400000_NS6detail17trampoline_kernelINS0_14default_configENS1_29reduce_by_key_config_selectorIjsN6thrust23THRUST_200600_302600_NS4plusIsEEEEZZNS1_33reduce_by_key_impl_wrapped_configILNS1_25lookback_scan_determinismE0ES3_S9_NS6_6detail15normal_iteratorINS6_10device_ptrIjEEEENSD_INSE_IsEEEENS6_16discard_iteratorINS6_11use_defaultEEESI_PmS8_NS6_8equal_toIjEEEE10hipError_tPvRmT2_T3_mT4_T5_T6_T7_T8_P12ihipStream_tbENKUlT_T0_E_clISt17integral_constantIbLb0EES15_IbLb1EEEEDaS11_S12_EUlS11_E_NS1_11comp_targetILNS1_3genE2ELNS1_11target_archE906ELNS1_3gpuE6ELNS1_3repE0EEENS1_30default_config_static_selectorELNS0_4arch9wavefront6targetE0EEEvT1_ ; -- Begin function _ZN7rocprim17ROCPRIM_400000_NS6detail17trampoline_kernelINS0_14default_configENS1_29reduce_by_key_config_selectorIjsN6thrust23THRUST_200600_302600_NS4plusIsEEEEZZNS1_33reduce_by_key_impl_wrapped_configILNS1_25lookback_scan_determinismE0ES3_S9_NS6_6detail15normal_iteratorINS6_10device_ptrIjEEEENSD_INSE_IsEEEENS6_16discard_iteratorINS6_11use_defaultEEESI_PmS8_NS6_8equal_toIjEEEE10hipError_tPvRmT2_T3_mT4_T5_T6_T7_T8_P12ihipStream_tbENKUlT_T0_E_clISt17integral_constantIbLb0EES15_IbLb1EEEEDaS11_S12_EUlS11_E_NS1_11comp_targetILNS1_3genE2ELNS1_11target_archE906ELNS1_3gpuE6ELNS1_3repE0EEENS1_30default_config_static_selectorELNS0_4arch9wavefront6targetE0EEEvT1_
	.globl	_ZN7rocprim17ROCPRIM_400000_NS6detail17trampoline_kernelINS0_14default_configENS1_29reduce_by_key_config_selectorIjsN6thrust23THRUST_200600_302600_NS4plusIsEEEEZZNS1_33reduce_by_key_impl_wrapped_configILNS1_25lookback_scan_determinismE0ES3_S9_NS6_6detail15normal_iteratorINS6_10device_ptrIjEEEENSD_INSE_IsEEEENS6_16discard_iteratorINS6_11use_defaultEEESI_PmS8_NS6_8equal_toIjEEEE10hipError_tPvRmT2_T3_mT4_T5_T6_T7_T8_P12ihipStream_tbENKUlT_T0_E_clISt17integral_constantIbLb0EES15_IbLb1EEEEDaS11_S12_EUlS11_E_NS1_11comp_targetILNS1_3genE2ELNS1_11target_archE906ELNS1_3gpuE6ELNS1_3repE0EEENS1_30default_config_static_selectorELNS0_4arch9wavefront6targetE0EEEvT1_
	.p2align	8
	.type	_ZN7rocprim17ROCPRIM_400000_NS6detail17trampoline_kernelINS0_14default_configENS1_29reduce_by_key_config_selectorIjsN6thrust23THRUST_200600_302600_NS4plusIsEEEEZZNS1_33reduce_by_key_impl_wrapped_configILNS1_25lookback_scan_determinismE0ES3_S9_NS6_6detail15normal_iteratorINS6_10device_ptrIjEEEENSD_INSE_IsEEEENS6_16discard_iteratorINS6_11use_defaultEEESI_PmS8_NS6_8equal_toIjEEEE10hipError_tPvRmT2_T3_mT4_T5_T6_T7_T8_P12ihipStream_tbENKUlT_T0_E_clISt17integral_constantIbLb0EES15_IbLb1EEEEDaS11_S12_EUlS11_E_NS1_11comp_targetILNS1_3genE2ELNS1_11target_archE906ELNS1_3gpuE6ELNS1_3repE0EEENS1_30default_config_static_selectorELNS0_4arch9wavefront6targetE0EEEvT1_,@function
_ZN7rocprim17ROCPRIM_400000_NS6detail17trampoline_kernelINS0_14default_configENS1_29reduce_by_key_config_selectorIjsN6thrust23THRUST_200600_302600_NS4plusIsEEEEZZNS1_33reduce_by_key_impl_wrapped_configILNS1_25lookback_scan_determinismE0ES3_S9_NS6_6detail15normal_iteratorINS6_10device_ptrIjEEEENSD_INSE_IsEEEENS6_16discard_iteratorINS6_11use_defaultEEESI_PmS8_NS6_8equal_toIjEEEE10hipError_tPvRmT2_T3_mT4_T5_T6_T7_T8_P12ihipStream_tbENKUlT_T0_E_clISt17integral_constantIbLb0EES15_IbLb1EEEEDaS11_S12_EUlS11_E_NS1_11comp_targetILNS1_3genE2ELNS1_11target_archE906ELNS1_3gpuE6ELNS1_3repE0EEENS1_30default_config_static_selectorELNS0_4arch9wavefront6targetE0EEEvT1_: ; @_ZN7rocprim17ROCPRIM_400000_NS6detail17trampoline_kernelINS0_14default_configENS1_29reduce_by_key_config_selectorIjsN6thrust23THRUST_200600_302600_NS4plusIsEEEEZZNS1_33reduce_by_key_impl_wrapped_configILNS1_25lookback_scan_determinismE0ES3_S9_NS6_6detail15normal_iteratorINS6_10device_ptrIjEEEENSD_INSE_IsEEEENS6_16discard_iteratorINS6_11use_defaultEEESI_PmS8_NS6_8equal_toIjEEEE10hipError_tPvRmT2_T3_mT4_T5_T6_T7_T8_P12ihipStream_tbENKUlT_T0_E_clISt17integral_constantIbLb0EES15_IbLb1EEEEDaS11_S12_EUlS11_E_NS1_11comp_targetILNS1_3genE2ELNS1_11target_archE906ELNS1_3gpuE6ELNS1_3repE0EEENS1_30default_config_static_selectorELNS0_4arch9wavefront6targetE0EEEvT1_
; %bb.0:
	.section	.rodata,"a",@progbits
	.p2align	6, 0x0
	.amdhsa_kernel _ZN7rocprim17ROCPRIM_400000_NS6detail17trampoline_kernelINS0_14default_configENS1_29reduce_by_key_config_selectorIjsN6thrust23THRUST_200600_302600_NS4plusIsEEEEZZNS1_33reduce_by_key_impl_wrapped_configILNS1_25lookback_scan_determinismE0ES3_S9_NS6_6detail15normal_iteratorINS6_10device_ptrIjEEEENSD_INSE_IsEEEENS6_16discard_iteratorINS6_11use_defaultEEESI_PmS8_NS6_8equal_toIjEEEE10hipError_tPvRmT2_T3_mT4_T5_T6_T7_T8_P12ihipStream_tbENKUlT_T0_E_clISt17integral_constantIbLb0EES15_IbLb1EEEEDaS11_S12_EUlS11_E_NS1_11comp_targetILNS1_3genE2ELNS1_11target_archE906ELNS1_3gpuE6ELNS1_3repE0EEENS1_30default_config_static_selectorELNS0_4arch9wavefront6targetE0EEEvT1_
		.amdhsa_group_segment_fixed_size 0
		.amdhsa_private_segment_fixed_size 0
		.amdhsa_kernarg_size 128
		.amdhsa_user_sgpr_count 15
		.amdhsa_user_sgpr_dispatch_ptr 0
		.amdhsa_user_sgpr_queue_ptr 0
		.amdhsa_user_sgpr_kernarg_segment_ptr 1
		.amdhsa_user_sgpr_dispatch_id 0
		.amdhsa_user_sgpr_private_segment_size 0
		.amdhsa_wavefront_size32 1
		.amdhsa_uses_dynamic_stack 0
		.amdhsa_enable_private_segment 0
		.amdhsa_system_sgpr_workgroup_id_x 1
		.amdhsa_system_sgpr_workgroup_id_y 0
		.amdhsa_system_sgpr_workgroup_id_z 0
		.amdhsa_system_sgpr_workgroup_info 0
		.amdhsa_system_vgpr_workitem_id 0
		.amdhsa_next_free_vgpr 1
		.amdhsa_next_free_sgpr 1
		.amdhsa_reserve_vcc 0
		.amdhsa_float_round_mode_32 0
		.amdhsa_float_round_mode_16_64 0
		.amdhsa_float_denorm_mode_32 3
		.amdhsa_float_denorm_mode_16_64 3
		.amdhsa_dx10_clamp 1
		.amdhsa_ieee_mode 1
		.amdhsa_fp16_overflow 0
		.amdhsa_workgroup_processor_mode 1
		.amdhsa_memory_ordered 1
		.amdhsa_forward_progress 0
		.amdhsa_shared_vgpr_count 0
		.amdhsa_exception_fp_ieee_invalid_op 0
		.amdhsa_exception_fp_denorm_src 0
		.amdhsa_exception_fp_ieee_div_zero 0
		.amdhsa_exception_fp_ieee_overflow 0
		.amdhsa_exception_fp_ieee_underflow 0
		.amdhsa_exception_fp_ieee_inexact 0
		.amdhsa_exception_int_div_zero 0
	.end_amdhsa_kernel
	.section	.text._ZN7rocprim17ROCPRIM_400000_NS6detail17trampoline_kernelINS0_14default_configENS1_29reduce_by_key_config_selectorIjsN6thrust23THRUST_200600_302600_NS4plusIsEEEEZZNS1_33reduce_by_key_impl_wrapped_configILNS1_25lookback_scan_determinismE0ES3_S9_NS6_6detail15normal_iteratorINS6_10device_ptrIjEEEENSD_INSE_IsEEEENS6_16discard_iteratorINS6_11use_defaultEEESI_PmS8_NS6_8equal_toIjEEEE10hipError_tPvRmT2_T3_mT4_T5_T6_T7_T8_P12ihipStream_tbENKUlT_T0_E_clISt17integral_constantIbLb0EES15_IbLb1EEEEDaS11_S12_EUlS11_E_NS1_11comp_targetILNS1_3genE2ELNS1_11target_archE906ELNS1_3gpuE6ELNS1_3repE0EEENS1_30default_config_static_selectorELNS0_4arch9wavefront6targetE0EEEvT1_,"axG",@progbits,_ZN7rocprim17ROCPRIM_400000_NS6detail17trampoline_kernelINS0_14default_configENS1_29reduce_by_key_config_selectorIjsN6thrust23THRUST_200600_302600_NS4plusIsEEEEZZNS1_33reduce_by_key_impl_wrapped_configILNS1_25lookback_scan_determinismE0ES3_S9_NS6_6detail15normal_iteratorINS6_10device_ptrIjEEEENSD_INSE_IsEEEENS6_16discard_iteratorINS6_11use_defaultEEESI_PmS8_NS6_8equal_toIjEEEE10hipError_tPvRmT2_T3_mT4_T5_T6_T7_T8_P12ihipStream_tbENKUlT_T0_E_clISt17integral_constantIbLb0EES15_IbLb1EEEEDaS11_S12_EUlS11_E_NS1_11comp_targetILNS1_3genE2ELNS1_11target_archE906ELNS1_3gpuE6ELNS1_3repE0EEENS1_30default_config_static_selectorELNS0_4arch9wavefront6targetE0EEEvT1_,comdat
.Lfunc_end1088:
	.size	_ZN7rocprim17ROCPRIM_400000_NS6detail17trampoline_kernelINS0_14default_configENS1_29reduce_by_key_config_selectorIjsN6thrust23THRUST_200600_302600_NS4plusIsEEEEZZNS1_33reduce_by_key_impl_wrapped_configILNS1_25lookback_scan_determinismE0ES3_S9_NS6_6detail15normal_iteratorINS6_10device_ptrIjEEEENSD_INSE_IsEEEENS6_16discard_iteratorINS6_11use_defaultEEESI_PmS8_NS6_8equal_toIjEEEE10hipError_tPvRmT2_T3_mT4_T5_T6_T7_T8_P12ihipStream_tbENKUlT_T0_E_clISt17integral_constantIbLb0EES15_IbLb1EEEEDaS11_S12_EUlS11_E_NS1_11comp_targetILNS1_3genE2ELNS1_11target_archE906ELNS1_3gpuE6ELNS1_3repE0EEENS1_30default_config_static_selectorELNS0_4arch9wavefront6targetE0EEEvT1_, .Lfunc_end1088-_ZN7rocprim17ROCPRIM_400000_NS6detail17trampoline_kernelINS0_14default_configENS1_29reduce_by_key_config_selectorIjsN6thrust23THRUST_200600_302600_NS4plusIsEEEEZZNS1_33reduce_by_key_impl_wrapped_configILNS1_25lookback_scan_determinismE0ES3_S9_NS6_6detail15normal_iteratorINS6_10device_ptrIjEEEENSD_INSE_IsEEEENS6_16discard_iteratorINS6_11use_defaultEEESI_PmS8_NS6_8equal_toIjEEEE10hipError_tPvRmT2_T3_mT4_T5_T6_T7_T8_P12ihipStream_tbENKUlT_T0_E_clISt17integral_constantIbLb0EES15_IbLb1EEEEDaS11_S12_EUlS11_E_NS1_11comp_targetILNS1_3genE2ELNS1_11target_archE906ELNS1_3gpuE6ELNS1_3repE0EEENS1_30default_config_static_selectorELNS0_4arch9wavefront6targetE0EEEvT1_
                                        ; -- End function
	.section	.AMDGPU.csdata,"",@progbits
; Kernel info:
; codeLenInByte = 0
; NumSgprs: 0
; NumVgprs: 0
; ScratchSize: 0
; MemoryBound: 0
; FloatMode: 240
; IeeeMode: 1
; LDSByteSize: 0 bytes/workgroup (compile time only)
; SGPRBlocks: 0
; VGPRBlocks: 0
; NumSGPRsForWavesPerEU: 1
; NumVGPRsForWavesPerEU: 1
; Occupancy: 16
; WaveLimiterHint : 0
; COMPUTE_PGM_RSRC2:SCRATCH_EN: 0
; COMPUTE_PGM_RSRC2:USER_SGPR: 15
; COMPUTE_PGM_RSRC2:TRAP_HANDLER: 0
; COMPUTE_PGM_RSRC2:TGID_X_EN: 1
; COMPUTE_PGM_RSRC2:TGID_Y_EN: 0
; COMPUTE_PGM_RSRC2:TGID_Z_EN: 0
; COMPUTE_PGM_RSRC2:TIDIG_COMP_CNT: 0
	.section	.text._ZN7rocprim17ROCPRIM_400000_NS6detail17trampoline_kernelINS0_14default_configENS1_29reduce_by_key_config_selectorIjsN6thrust23THRUST_200600_302600_NS4plusIsEEEEZZNS1_33reduce_by_key_impl_wrapped_configILNS1_25lookback_scan_determinismE0ES3_S9_NS6_6detail15normal_iteratorINS6_10device_ptrIjEEEENSD_INSE_IsEEEENS6_16discard_iteratorINS6_11use_defaultEEESI_PmS8_NS6_8equal_toIjEEEE10hipError_tPvRmT2_T3_mT4_T5_T6_T7_T8_P12ihipStream_tbENKUlT_T0_E_clISt17integral_constantIbLb0EES15_IbLb1EEEEDaS11_S12_EUlS11_E_NS1_11comp_targetILNS1_3genE10ELNS1_11target_archE1201ELNS1_3gpuE5ELNS1_3repE0EEENS1_30default_config_static_selectorELNS0_4arch9wavefront6targetE0EEEvT1_,"axG",@progbits,_ZN7rocprim17ROCPRIM_400000_NS6detail17trampoline_kernelINS0_14default_configENS1_29reduce_by_key_config_selectorIjsN6thrust23THRUST_200600_302600_NS4plusIsEEEEZZNS1_33reduce_by_key_impl_wrapped_configILNS1_25lookback_scan_determinismE0ES3_S9_NS6_6detail15normal_iteratorINS6_10device_ptrIjEEEENSD_INSE_IsEEEENS6_16discard_iteratorINS6_11use_defaultEEESI_PmS8_NS6_8equal_toIjEEEE10hipError_tPvRmT2_T3_mT4_T5_T6_T7_T8_P12ihipStream_tbENKUlT_T0_E_clISt17integral_constantIbLb0EES15_IbLb1EEEEDaS11_S12_EUlS11_E_NS1_11comp_targetILNS1_3genE10ELNS1_11target_archE1201ELNS1_3gpuE5ELNS1_3repE0EEENS1_30default_config_static_selectorELNS0_4arch9wavefront6targetE0EEEvT1_,comdat
	.protected	_ZN7rocprim17ROCPRIM_400000_NS6detail17trampoline_kernelINS0_14default_configENS1_29reduce_by_key_config_selectorIjsN6thrust23THRUST_200600_302600_NS4plusIsEEEEZZNS1_33reduce_by_key_impl_wrapped_configILNS1_25lookback_scan_determinismE0ES3_S9_NS6_6detail15normal_iteratorINS6_10device_ptrIjEEEENSD_INSE_IsEEEENS6_16discard_iteratorINS6_11use_defaultEEESI_PmS8_NS6_8equal_toIjEEEE10hipError_tPvRmT2_T3_mT4_T5_T6_T7_T8_P12ihipStream_tbENKUlT_T0_E_clISt17integral_constantIbLb0EES15_IbLb1EEEEDaS11_S12_EUlS11_E_NS1_11comp_targetILNS1_3genE10ELNS1_11target_archE1201ELNS1_3gpuE5ELNS1_3repE0EEENS1_30default_config_static_selectorELNS0_4arch9wavefront6targetE0EEEvT1_ ; -- Begin function _ZN7rocprim17ROCPRIM_400000_NS6detail17trampoline_kernelINS0_14default_configENS1_29reduce_by_key_config_selectorIjsN6thrust23THRUST_200600_302600_NS4plusIsEEEEZZNS1_33reduce_by_key_impl_wrapped_configILNS1_25lookback_scan_determinismE0ES3_S9_NS6_6detail15normal_iteratorINS6_10device_ptrIjEEEENSD_INSE_IsEEEENS6_16discard_iteratorINS6_11use_defaultEEESI_PmS8_NS6_8equal_toIjEEEE10hipError_tPvRmT2_T3_mT4_T5_T6_T7_T8_P12ihipStream_tbENKUlT_T0_E_clISt17integral_constantIbLb0EES15_IbLb1EEEEDaS11_S12_EUlS11_E_NS1_11comp_targetILNS1_3genE10ELNS1_11target_archE1201ELNS1_3gpuE5ELNS1_3repE0EEENS1_30default_config_static_selectorELNS0_4arch9wavefront6targetE0EEEvT1_
	.globl	_ZN7rocprim17ROCPRIM_400000_NS6detail17trampoline_kernelINS0_14default_configENS1_29reduce_by_key_config_selectorIjsN6thrust23THRUST_200600_302600_NS4plusIsEEEEZZNS1_33reduce_by_key_impl_wrapped_configILNS1_25lookback_scan_determinismE0ES3_S9_NS6_6detail15normal_iteratorINS6_10device_ptrIjEEEENSD_INSE_IsEEEENS6_16discard_iteratorINS6_11use_defaultEEESI_PmS8_NS6_8equal_toIjEEEE10hipError_tPvRmT2_T3_mT4_T5_T6_T7_T8_P12ihipStream_tbENKUlT_T0_E_clISt17integral_constantIbLb0EES15_IbLb1EEEEDaS11_S12_EUlS11_E_NS1_11comp_targetILNS1_3genE10ELNS1_11target_archE1201ELNS1_3gpuE5ELNS1_3repE0EEENS1_30default_config_static_selectorELNS0_4arch9wavefront6targetE0EEEvT1_
	.p2align	8
	.type	_ZN7rocprim17ROCPRIM_400000_NS6detail17trampoline_kernelINS0_14default_configENS1_29reduce_by_key_config_selectorIjsN6thrust23THRUST_200600_302600_NS4plusIsEEEEZZNS1_33reduce_by_key_impl_wrapped_configILNS1_25lookback_scan_determinismE0ES3_S9_NS6_6detail15normal_iteratorINS6_10device_ptrIjEEEENSD_INSE_IsEEEENS6_16discard_iteratorINS6_11use_defaultEEESI_PmS8_NS6_8equal_toIjEEEE10hipError_tPvRmT2_T3_mT4_T5_T6_T7_T8_P12ihipStream_tbENKUlT_T0_E_clISt17integral_constantIbLb0EES15_IbLb1EEEEDaS11_S12_EUlS11_E_NS1_11comp_targetILNS1_3genE10ELNS1_11target_archE1201ELNS1_3gpuE5ELNS1_3repE0EEENS1_30default_config_static_selectorELNS0_4arch9wavefront6targetE0EEEvT1_,@function
_ZN7rocprim17ROCPRIM_400000_NS6detail17trampoline_kernelINS0_14default_configENS1_29reduce_by_key_config_selectorIjsN6thrust23THRUST_200600_302600_NS4plusIsEEEEZZNS1_33reduce_by_key_impl_wrapped_configILNS1_25lookback_scan_determinismE0ES3_S9_NS6_6detail15normal_iteratorINS6_10device_ptrIjEEEENSD_INSE_IsEEEENS6_16discard_iteratorINS6_11use_defaultEEESI_PmS8_NS6_8equal_toIjEEEE10hipError_tPvRmT2_T3_mT4_T5_T6_T7_T8_P12ihipStream_tbENKUlT_T0_E_clISt17integral_constantIbLb0EES15_IbLb1EEEEDaS11_S12_EUlS11_E_NS1_11comp_targetILNS1_3genE10ELNS1_11target_archE1201ELNS1_3gpuE5ELNS1_3repE0EEENS1_30default_config_static_selectorELNS0_4arch9wavefront6targetE0EEEvT1_: ; @_ZN7rocprim17ROCPRIM_400000_NS6detail17trampoline_kernelINS0_14default_configENS1_29reduce_by_key_config_selectorIjsN6thrust23THRUST_200600_302600_NS4plusIsEEEEZZNS1_33reduce_by_key_impl_wrapped_configILNS1_25lookback_scan_determinismE0ES3_S9_NS6_6detail15normal_iteratorINS6_10device_ptrIjEEEENSD_INSE_IsEEEENS6_16discard_iteratorINS6_11use_defaultEEESI_PmS8_NS6_8equal_toIjEEEE10hipError_tPvRmT2_T3_mT4_T5_T6_T7_T8_P12ihipStream_tbENKUlT_T0_E_clISt17integral_constantIbLb0EES15_IbLb1EEEEDaS11_S12_EUlS11_E_NS1_11comp_targetILNS1_3genE10ELNS1_11target_archE1201ELNS1_3gpuE5ELNS1_3repE0EEENS1_30default_config_static_selectorELNS0_4arch9wavefront6targetE0EEEvT1_
; %bb.0:
	.section	.rodata,"a",@progbits
	.p2align	6, 0x0
	.amdhsa_kernel _ZN7rocprim17ROCPRIM_400000_NS6detail17trampoline_kernelINS0_14default_configENS1_29reduce_by_key_config_selectorIjsN6thrust23THRUST_200600_302600_NS4plusIsEEEEZZNS1_33reduce_by_key_impl_wrapped_configILNS1_25lookback_scan_determinismE0ES3_S9_NS6_6detail15normal_iteratorINS6_10device_ptrIjEEEENSD_INSE_IsEEEENS6_16discard_iteratorINS6_11use_defaultEEESI_PmS8_NS6_8equal_toIjEEEE10hipError_tPvRmT2_T3_mT4_T5_T6_T7_T8_P12ihipStream_tbENKUlT_T0_E_clISt17integral_constantIbLb0EES15_IbLb1EEEEDaS11_S12_EUlS11_E_NS1_11comp_targetILNS1_3genE10ELNS1_11target_archE1201ELNS1_3gpuE5ELNS1_3repE0EEENS1_30default_config_static_selectorELNS0_4arch9wavefront6targetE0EEEvT1_
		.amdhsa_group_segment_fixed_size 0
		.amdhsa_private_segment_fixed_size 0
		.amdhsa_kernarg_size 128
		.amdhsa_user_sgpr_count 15
		.amdhsa_user_sgpr_dispatch_ptr 0
		.amdhsa_user_sgpr_queue_ptr 0
		.amdhsa_user_sgpr_kernarg_segment_ptr 1
		.amdhsa_user_sgpr_dispatch_id 0
		.amdhsa_user_sgpr_private_segment_size 0
		.amdhsa_wavefront_size32 1
		.amdhsa_uses_dynamic_stack 0
		.amdhsa_enable_private_segment 0
		.amdhsa_system_sgpr_workgroup_id_x 1
		.amdhsa_system_sgpr_workgroup_id_y 0
		.amdhsa_system_sgpr_workgroup_id_z 0
		.amdhsa_system_sgpr_workgroup_info 0
		.amdhsa_system_vgpr_workitem_id 0
		.amdhsa_next_free_vgpr 1
		.amdhsa_next_free_sgpr 1
		.amdhsa_reserve_vcc 0
		.amdhsa_float_round_mode_32 0
		.amdhsa_float_round_mode_16_64 0
		.amdhsa_float_denorm_mode_32 3
		.amdhsa_float_denorm_mode_16_64 3
		.amdhsa_dx10_clamp 1
		.amdhsa_ieee_mode 1
		.amdhsa_fp16_overflow 0
		.amdhsa_workgroup_processor_mode 1
		.amdhsa_memory_ordered 1
		.amdhsa_forward_progress 0
		.amdhsa_shared_vgpr_count 0
		.amdhsa_exception_fp_ieee_invalid_op 0
		.amdhsa_exception_fp_denorm_src 0
		.amdhsa_exception_fp_ieee_div_zero 0
		.amdhsa_exception_fp_ieee_overflow 0
		.amdhsa_exception_fp_ieee_underflow 0
		.amdhsa_exception_fp_ieee_inexact 0
		.amdhsa_exception_int_div_zero 0
	.end_amdhsa_kernel
	.section	.text._ZN7rocprim17ROCPRIM_400000_NS6detail17trampoline_kernelINS0_14default_configENS1_29reduce_by_key_config_selectorIjsN6thrust23THRUST_200600_302600_NS4plusIsEEEEZZNS1_33reduce_by_key_impl_wrapped_configILNS1_25lookback_scan_determinismE0ES3_S9_NS6_6detail15normal_iteratorINS6_10device_ptrIjEEEENSD_INSE_IsEEEENS6_16discard_iteratorINS6_11use_defaultEEESI_PmS8_NS6_8equal_toIjEEEE10hipError_tPvRmT2_T3_mT4_T5_T6_T7_T8_P12ihipStream_tbENKUlT_T0_E_clISt17integral_constantIbLb0EES15_IbLb1EEEEDaS11_S12_EUlS11_E_NS1_11comp_targetILNS1_3genE10ELNS1_11target_archE1201ELNS1_3gpuE5ELNS1_3repE0EEENS1_30default_config_static_selectorELNS0_4arch9wavefront6targetE0EEEvT1_,"axG",@progbits,_ZN7rocprim17ROCPRIM_400000_NS6detail17trampoline_kernelINS0_14default_configENS1_29reduce_by_key_config_selectorIjsN6thrust23THRUST_200600_302600_NS4plusIsEEEEZZNS1_33reduce_by_key_impl_wrapped_configILNS1_25lookback_scan_determinismE0ES3_S9_NS6_6detail15normal_iteratorINS6_10device_ptrIjEEEENSD_INSE_IsEEEENS6_16discard_iteratorINS6_11use_defaultEEESI_PmS8_NS6_8equal_toIjEEEE10hipError_tPvRmT2_T3_mT4_T5_T6_T7_T8_P12ihipStream_tbENKUlT_T0_E_clISt17integral_constantIbLb0EES15_IbLb1EEEEDaS11_S12_EUlS11_E_NS1_11comp_targetILNS1_3genE10ELNS1_11target_archE1201ELNS1_3gpuE5ELNS1_3repE0EEENS1_30default_config_static_selectorELNS0_4arch9wavefront6targetE0EEEvT1_,comdat
.Lfunc_end1089:
	.size	_ZN7rocprim17ROCPRIM_400000_NS6detail17trampoline_kernelINS0_14default_configENS1_29reduce_by_key_config_selectorIjsN6thrust23THRUST_200600_302600_NS4plusIsEEEEZZNS1_33reduce_by_key_impl_wrapped_configILNS1_25lookback_scan_determinismE0ES3_S9_NS6_6detail15normal_iteratorINS6_10device_ptrIjEEEENSD_INSE_IsEEEENS6_16discard_iteratorINS6_11use_defaultEEESI_PmS8_NS6_8equal_toIjEEEE10hipError_tPvRmT2_T3_mT4_T5_T6_T7_T8_P12ihipStream_tbENKUlT_T0_E_clISt17integral_constantIbLb0EES15_IbLb1EEEEDaS11_S12_EUlS11_E_NS1_11comp_targetILNS1_3genE10ELNS1_11target_archE1201ELNS1_3gpuE5ELNS1_3repE0EEENS1_30default_config_static_selectorELNS0_4arch9wavefront6targetE0EEEvT1_, .Lfunc_end1089-_ZN7rocprim17ROCPRIM_400000_NS6detail17trampoline_kernelINS0_14default_configENS1_29reduce_by_key_config_selectorIjsN6thrust23THRUST_200600_302600_NS4plusIsEEEEZZNS1_33reduce_by_key_impl_wrapped_configILNS1_25lookback_scan_determinismE0ES3_S9_NS6_6detail15normal_iteratorINS6_10device_ptrIjEEEENSD_INSE_IsEEEENS6_16discard_iteratorINS6_11use_defaultEEESI_PmS8_NS6_8equal_toIjEEEE10hipError_tPvRmT2_T3_mT4_T5_T6_T7_T8_P12ihipStream_tbENKUlT_T0_E_clISt17integral_constantIbLb0EES15_IbLb1EEEEDaS11_S12_EUlS11_E_NS1_11comp_targetILNS1_3genE10ELNS1_11target_archE1201ELNS1_3gpuE5ELNS1_3repE0EEENS1_30default_config_static_selectorELNS0_4arch9wavefront6targetE0EEEvT1_
                                        ; -- End function
	.section	.AMDGPU.csdata,"",@progbits
; Kernel info:
; codeLenInByte = 0
; NumSgprs: 0
; NumVgprs: 0
; ScratchSize: 0
; MemoryBound: 0
; FloatMode: 240
; IeeeMode: 1
; LDSByteSize: 0 bytes/workgroup (compile time only)
; SGPRBlocks: 0
; VGPRBlocks: 0
; NumSGPRsForWavesPerEU: 1
; NumVGPRsForWavesPerEU: 1
; Occupancy: 16
; WaveLimiterHint : 0
; COMPUTE_PGM_RSRC2:SCRATCH_EN: 0
; COMPUTE_PGM_RSRC2:USER_SGPR: 15
; COMPUTE_PGM_RSRC2:TRAP_HANDLER: 0
; COMPUTE_PGM_RSRC2:TGID_X_EN: 1
; COMPUTE_PGM_RSRC2:TGID_Y_EN: 0
; COMPUTE_PGM_RSRC2:TGID_Z_EN: 0
; COMPUTE_PGM_RSRC2:TIDIG_COMP_CNT: 0
	.section	.text._ZN7rocprim17ROCPRIM_400000_NS6detail17trampoline_kernelINS0_14default_configENS1_29reduce_by_key_config_selectorIjsN6thrust23THRUST_200600_302600_NS4plusIsEEEEZZNS1_33reduce_by_key_impl_wrapped_configILNS1_25lookback_scan_determinismE0ES3_S9_NS6_6detail15normal_iteratorINS6_10device_ptrIjEEEENSD_INSE_IsEEEENS6_16discard_iteratorINS6_11use_defaultEEESI_PmS8_NS6_8equal_toIjEEEE10hipError_tPvRmT2_T3_mT4_T5_T6_T7_T8_P12ihipStream_tbENKUlT_T0_E_clISt17integral_constantIbLb0EES15_IbLb1EEEEDaS11_S12_EUlS11_E_NS1_11comp_targetILNS1_3genE10ELNS1_11target_archE1200ELNS1_3gpuE4ELNS1_3repE0EEENS1_30default_config_static_selectorELNS0_4arch9wavefront6targetE0EEEvT1_,"axG",@progbits,_ZN7rocprim17ROCPRIM_400000_NS6detail17trampoline_kernelINS0_14default_configENS1_29reduce_by_key_config_selectorIjsN6thrust23THRUST_200600_302600_NS4plusIsEEEEZZNS1_33reduce_by_key_impl_wrapped_configILNS1_25lookback_scan_determinismE0ES3_S9_NS6_6detail15normal_iteratorINS6_10device_ptrIjEEEENSD_INSE_IsEEEENS6_16discard_iteratorINS6_11use_defaultEEESI_PmS8_NS6_8equal_toIjEEEE10hipError_tPvRmT2_T3_mT4_T5_T6_T7_T8_P12ihipStream_tbENKUlT_T0_E_clISt17integral_constantIbLb0EES15_IbLb1EEEEDaS11_S12_EUlS11_E_NS1_11comp_targetILNS1_3genE10ELNS1_11target_archE1200ELNS1_3gpuE4ELNS1_3repE0EEENS1_30default_config_static_selectorELNS0_4arch9wavefront6targetE0EEEvT1_,comdat
	.protected	_ZN7rocprim17ROCPRIM_400000_NS6detail17trampoline_kernelINS0_14default_configENS1_29reduce_by_key_config_selectorIjsN6thrust23THRUST_200600_302600_NS4plusIsEEEEZZNS1_33reduce_by_key_impl_wrapped_configILNS1_25lookback_scan_determinismE0ES3_S9_NS6_6detail15normal_iteratorINS6_10device_ptrIjEEEENSD_INSE_IsEEEENS6_16discard_iteratorINS6_11use_defaultEEESI_PmS8_NS6_8equal_toIjEEEE10hipError_tPvRmT2_T3_mT4_T5_T6_T7_T8_P12ihipStream_tbENKUlT_T0_E_clISt17integral_constantIbLb0EES15_IbLb1EEEEDaS11_S12_EUlS11_E_NS1_11comp_targetILNS1_3genE10ELNS1_11target_archE1200ELNS1_3gpuE4ELNS1_3repE0EEENS1_30default_config_static_selectorELNS0_4arch9wavefront6targetE0EEEvT1_ ; -- Begin function _ZN7rocprim17ROCPRIM_400000_NS6detail17trampoline_kernelINS0_14default_configENS1_29reduce_by_key_config_selectorIjsN6thrust23THRUST_200600_302600_NS4plusIsEEEEZZNS1_33reduce_by_key_impl_wrapped_configILNS1_25lookback_scan_determinismE0ES3_S9_NS6_6detail15normal_iteratorINS6_10device_ptrIjEEEENSD_INSE_IsEEEENS6_16discard_iteratorINS6_11use_defaultEEESI_PmS8_NS6_8equal_toIjEEEE10hipError_tPvRmT2_T3_mT4_T5_T6_T7_T8_P12ihipStream_tbENKUlT_T0_E_clISt17integral_constantIbLb0EES15_IbLb1EEEEDaS11_S12_EUlS11_E_NS1_11comp_targetILNS1_3genE10ELNS1_11target_archE1200ELNS1_3gpuE4ELNS1_3repE0EEENS1_30default_config_static_selectorELNS0_4arch9wavefront6targetE0EEEvT1_
	.globl	_ZN7rocprim17ROCPRIM_400000_NS6detail17trampoline_kernelINS0_14default_configENS1_29reduce_by_key_config_selectorIjsN6thrust23THRUST_200600_302600_NS4plusIsEEEEZZNS1_33reduce_by_key_impl_wrapped_configILNS1_25lookback_scan_determinismE0ES3_S9_NS6_6detail15normal_iteratorINS6_10device_ptrIjEEEENSD_INSE_IsEEEENS6_16discard_iteratorINS6_11use_defaultEEESI_PmS8_NS6_8equal_toIjEEEE10hipError_tPvRmT2_T3_mT4_T5_T6_T7_T8_P12ihipStream_tbENKUlT_T0_E_clISt17integral_constantIbLb0EES15_IbLb1EEEEDaS11_S12_EUlS11_E_NS1_11comp_targetILNS1_3genE10ELNS1_11target_archE1200ELNS1_3gpuE4ELNS1_3repE0EEENS1_30default_config_static_selectorELNS0_4arch9wavefront6targetE0EEEvT1_
	.p2align	8
	.type	_ZN7rocprim17ROCPRIM_400000_NS6detail17trampoline_kernelINS0_14default_configENS1_29reduce_by_key_config_selectorIjsN6thrust23THRUST_200600_302600_NS4plusIsEEEEZZNS1_33reduce_by_key_impl_wrapped_configILNS1_25lookback_scan_determinismE0ES3_S9_NS6_6detail15normal_iteratorINS6_10device_ptrIjEEEENSD_INSE_IsEEEENS6_16discard_iteratorINS6_11use_defaultEEESI_PmS8_NS6_8equal_toIjEEEE10hipError_tPvRmT2_T3_mT4_T5_T6_T7_T8_P12ihipStream_tbENKUlT_T0_E_clISt17integral_constantIbLb0EES15_IbLb1EEEEDaS11_S12_EUlS11_E_NS1_11comp_targetILNS1_3genE10ELNS1_11target_archE1200ELNS1_3gpuE4ELNS1_3repE0EEENS1_30default_config_static_selectorELNS0_4arch9wavefront6targetE0EEEvT1_,@function
_ZN7rocprim17ROCPRIM_400000_NS6detail17trampoline_kernelINS0_14default_configENS1_29reduce_by_key_config_selectorIjsN6thrust23THRUST_200600_302600_NS4plusIsEEEEZZNS1_33reduce_by_key_impl_wrapped_configILNS1_25lookback_scan_determinismE0ES3_S9_NS6_6detail15normal_iteratorINS6_10device_ptrIjEEEENSD_INSE_IsEEEENS6_16discard_iteratorINS6_11use_defaultEEESI_PmS8_NS6_8equal_toIjEEEE10hipError_tPvRmT2_T3_mT4_T5_T6_T7_T8_P12ihipStream_tbENKUlT_T0_E_clISt17integral_constantIbLb0EES15_IbLb1EEEEDaS11_S12_EUlS11_E_NS1_11comp_targetILNS1_3genE10ELNS1_11target_archE1200ELNS1_3gpuE4ELNS1_3repE0EEENS1_30default_config_static_selectorELNS0_4arch9wavefront6targetE0EEEvT1_: ; @_ZN7rocprim17ROCPRIM_400000_NS6detail17trampoline_kernelINS0_14default_configENS1_29reduce_by_key_config_selectorIjsN6thrust23THRUST_200600_302600_NS4plusIsEEEEZZNS1_33reduce_by_key_impl_wrapped_configILNS1_25lookback_scan_determinismE0ES3_S9_NS6_6detail15normal_iteratorINS6_10device_ptrIjEEEENSD_INSE_IsEEEENS6_16discard_iteratorINS6_11use_defaultEEESI_PmS8_NS6_8equal_toIjEEEE10hipError_tPvRmT2_T3_mT4_T5_T6_T7_T8_P12ihipStream_tbENKUlT_T0_E_clISt17integral_constantIbLb0EES15_IbLb1EEEEDaS11_S12_EUlS11_E_NS1_11comp_targetILNS1_3genE10ELNS1_11target_archE1200ELNS1_3gpuE4ELNS1_3repE0EEENS1_30default_config_static_selectorELNS0_4arch9wavefront6targetE0EEEvT1_
; %bb.0:
	.section	.rodata,"a",@progbits
	.p2align	6, 0x0
	.amdhsa_kernel _ZN7rocprim17ROCPRIM_400000_NS6detail17trampoline_kernelINS0_14default_configENS1_29reduce_by_key_config_selectorIjsN6thrust23THRUST_200600_302600_NS4plusIsEEEEZZNS1_33reduce_by_key_impl_wrapped_configILNS1_25lookback_scan_determinismE0ES3_S9_NS6_6detail15normal_iteratorINS6_10device_ptrIjEEEENSD_INSE_IsEEEENS6_16discard_iteratorINS6_11use_defaultEEESI_PmS8_NS6_8equal_toIjEEEE10hipError_tPvRmT2_T3_mT4_T5_T6_T7_T8_P12ihipStream_tbENKUlT_T0_E_clISt17integral_constantIbLb0EES15_IbLb1EEEEDaS11_S12_EUlS11_E_NS1_11comp_targetILNS1_3genE10ELNS1_11target_archE1200ELNS1_3gpuE4ELNS1_3repE0EEENS1_30default_config_static_selectorELNS0_4arch9wavefront6targetE0EEEvT1_
		.amdhsa_group_segment_fixed_size 0
		.amdhsa_private_segment_fixed_size 0
		.amdhsa_kernarg_size 128
		.amdhsa_user_sgpr_count 15
		.amdhsa_user_sgpr_dispatch_ptr 0
		.amdhsa_user_sgpr_queue_ptr 0
		.amdhsa_user_sgpr_kernarg_segment_ptr 1
		.amdhsa_user_sgpr_dispatch_id 0
		.amdhsa_user_sgpr_private_segment_size 0
		.amdhsa_wavefront_size32 1
		.amdhsa_uses_dynamic_stack 0
		.amdhsa_enable_private_segment 0
		.amdhsa_system_sgpr_workgroup_id_x 1
		.amdhsa_system_sgpr_workgroup_id_y 0
		.amdhsa_system_sgpr_workgroup_id_z 0
		.amdhsa_system_sgpr_workgroup_info 0
		.amdhsa_system_vgpr_workitem_id 0
		.amdhsa_next_free_vgpr 1
		.amdhsa_next_free_sgpr 1
		.amdhsa_reserve_vcc 0
		.amdhsa_float_round_mode_32 0
		.amdhsa_float_round_mode_16_64 0
		.amdhsa_float_denorm_mode_32 3
		.amdhsa_float_denorm_mode_16_64 3
		.amdhsa_dx10_clamp 1
		.amdhsa_ieee_mode 1
		.amdhsa_fp16_overflow 0
		.amdhsa_workgroup_processor_mode 1
		.amdhsa_memory_ordered 1
		.amdhsa_forward_progress 0
		.amdhsa_shared_vgpr_count 0
		.amdhsa_exception_fp_ieee_invalid_op 0
		.amdhsa_exception_fp_denorm_src 0
		.amdhsa_exception_fp_ieee_div_zero 0
		.amdhsa_exception_fp_ieee_overflow 0
		.amdhsa_exception_fp_ieee_underflow 0
		.amdhsa_exception_fp_ieee_inexact 0
		.amdhsa_exception_int_div_zero 0
	.end_amdhsa_kernel
	.section	.text._ZN7rocprim17ROCPRIM_400000_NS6detail17trampoline_kernelINS0_14default_configENS1_29reduce_by_key_config_selectorIjsN6thrust23THRUST_200600_302600_NS4plusIsEEEEZZNS1_33reduce_by_key_impl_wrapped_configILNS1_25lookback_scan_determinismE0ES3_S9_NS6_6detail15normal_iteratorINS6_10device_ptrIjEEEENSD_INSE_IsEEEENS6_16discard_iteratorINS6_11use_defaultEEESI_PmS8_NS6_8equal_toIjEEEE10hipError_tPvRmT2_T3_mT4_T5_T6_T7_T8_P12ihipStream_tbENKUlT_T0_E_clISt17integral_constantIbLb0EES15_IbLb1EEEEDaS11_S12_EUlS11_E_NS1_11comp_targetILNS1_3genE10ELNS1_11target_archE1200ELNS1_3gpuE4ELNS1_3repE0EEENS1_30default_config_static_selectorELNS0_4arch9wavefront6targetE0EEEvT1_,"axG",@progbits,_ZN7rocprim17ROCPRIM_400000_NS6detail17trampoline_kernelINS0_14default_configENS1_29reduce_by_key_config_selectorIjsN6thrust23THRUST_200600_302600_NS4plusIsEEEEZZNS1_33reduce_by_key_impl_wrapped_configILNS1_25lookback_scan_determinismE0ES3_S9_NS6_6detail15normal_iteratorINS6_10device_ptrIjEEEENSD_INSE_IsEEEENS6_16discard_iteratorINS6_11use_defaultEEESI_PmS8_NS6_8equal_toIjEEEE10hipError_tPvRmT2_T3_mT4_T5_T6_T7_T8_P12ihipStream_tbENKUlT_T0_E_clISt17integral_constantIbLb0EES15_IbLb1EEEEDaS11_S12_EUlS11_E_NS1_11comp_targetILNS1_3genE10ELNS1_11target_archE1200ELNS1_3gpuE4ELNS1_3repE0EEENS1_30default_config_static_selectorELNS0_4arch9wavefront6targetE0EEEvT1_,comdat
.Lfunc_end1090:
	.size	_ZN7rocprim17ROCPRIM_400000_NS6detail17trampoline_kernelINS0_14default_configENS1_29reduce_by_key_config_selectorIjsN6thrust23THRUST_200600_302600_NS4plusIsEEEEZZNS1_33reduce_by_key_impl_wrapped_configILNS1_25lookback_scan_determinismE0ES3_S9_NS6_6detail15normal_iteratorINS6_10device_ptrIjEEEENSD_INSE_IsEEEENS6_16discard_iteratorINS6_11use_defaultEEESI_PmS8_NS6_8equal_toIjEEEE10hipError_tPvRmT2_T3_mT4_T5_T6_T7_T8_P12ihipStream_tbENKUlT_T0_E_clISt17integral_constantIbLb0EES15_IbLb1EEEEDaS11_S12_EUlS11_E_NS1_11comp_targetILNS1_3genE10ELNS1_11target_archE1200ELNS1_3gpuE4ELNS1_3repE0EEENS1_30default_config_static_selectorELNS0_4arch9wavefront6targetE0EEEvT1_, .Lfunc_end1090-_ZN7rocprim17ROCPRIM_400000_NS6detail17trampoline_kernelINS0_14default_configENS1_29reduce_by_key_config_selectorIjsN6thrust23THRUST_200600_302600_NS4plusIsEEEEZZNS1_33reduce_by_key_impl_wrapped_configILNS1_25lookback_scan_determinismE0ES3_S9_NS6_6detail15normal_iteratorINS6_10device_ptrIjEEEENSD_INSE_IsEEEENS6_16discard_iteratorINS6_11use_defaultEEESI_PmS8_NS6_8equal_toIjEEEE10hipError_tPvRmT2_T3_mT4_T5_T6_T7_T8_P12ihipStream_tbENKUlT_T0_E_clISt17integral_constantIbLb0EES15_IbLb1EEEEDaS11_S12_EUlS11_E_NS1_11comp_targetILNS1_3genE10ELNS1_11target_archE1200ELNS1_3gpuE4ELNS1_3repE0EEENS1_30default_config_static_selectorELNS0_4arch9wavefront6targetE0EEEvT1_
                                        ; -- End function
	.section	.AMDGPU.csdata,"",@progbits
; Kernel info:
; codeLenInByte = 0
; NumSgprs: 0
; NumVgprs: 0
; ScratchSize: 0
; MemoryBound: 0
; FloatMode: 240
; IeeeMode: 1
; LDSByteSize: 0 bytes/workgroup (compile time only)
; SGPRBlocks: 0
; VGPRBlocks: 0
; NumSGPRsForWavesPerEU: 1
; NumVGPRsForWavesPerEU: 1
; Occupancy: 16
; WaveLimiterHint : 0
; COMPUTE_PGM_RSRC2:SCRATCH_EN: 0
; COMPUTE_PGM_RSRC2:USER_SGPR: 15
; COMPUTE_PGM_RSRC2:TRAP_HANDLER: 0
; COMPUTE_PGM_RSRC2:TGID_X_EN: 1
; COMPUTE_PGM_RSRC2:TGID_Y_EN: 0
; COMPUTE_PGM_RSRC2:TGID_Z_EN: 0
; COMPUTE_PGM_RSRC2:TIDIG_COMP_CNT: 0
	.section	.text._ZN7rocprim17ROCPRIM_400000_NS6detail17trampoline_kernelINS0_14default_configENS1_29reduce_by_key_config_selectorIjsN6thrust23THRUST_200600_302600_NS4plusIsEEEEZZNS1_33reduce_by_key_impl_wrapped_configILNS1_25lookback_scan_determinismE0ES3_S9_NS6_6detail15normal_iteratorINS6_10device_ptrIjEEEENSD_INSE_IsEEEENS6_16discard_iteratorINS6_11use_defaultEEESI_PmS8_NS6_8equal_toIjEEEE10hipError_tPvRmT2_T3_mT4_T5_T6_T7_T8_P12ihipStream_tbENKUlT_T0_E_clISt17integral_constantIbLb0EES15_IbLb1EEEEDaS11_S12_EUlS11_E_NS1_11comp_targetILNS1_3genE9ELNS1_11target_archE1100ELNS1_3gpuE3ELNS1_3repE0EEENS1_30default_config_static_selectorELNS0_4arch9wavefront6targetE0EEEvT1_,"axG",@progbits,_ZN7rocprim17ROCPRIM_400000_NS6detail17trampoline_kernelINS0_14default_configENS1_29reduce_by_key_config_selectorIjsN6thrust23THRUST_200600_302600_NS4plusIsEEEEZZNS1_33reduce_by_key_impl_wrapped_configILNS1_25lookback_scan_determinismE0ES3_S9_NS6_6detail15normal_iteratorINS6_10device_ptrIjEEEENSD_INSE_IsEEEENS6_16discard_iteratorINS6_11use_defaultEEESI_PmS8_NS6_8equal_toIjEEEE10hipError_tPvRmT2_T3_mT4_T5_T6_T7_T8_P12ihipStream_tbENKUlT_T0_E_clISt17integral_constantIbLb0EES15_IbLb1EEEEDaS11_S12_EUlS11_E_NS1_11comp_targetILNS1_3genE9ELNS1_11target_archE1100ELNS1_3gpuE3ELNS1_3repE0EEENS1_30default_config_static_selectorELNS0_4arch9wavefront6targetE0EEEvT1_,comdat
	.protected	_ZN7rocprim17ROCPRIM_400000_NS6detail17trampoline_kernelINS0_14default_configENS1_29reduce_by_key_config_selectorIjsN6thrust23THRUST_200600_302600_NS4plusIsEEEEZZNS1_33reduce_by_key_impl_wrapped_configILNS1_25lookback_scan_determinismE0ES3_S9_NS6_6detail15normal_iteratorINS6_10device_ptrIjEEEENSD_INSE_IsEEEENS6_16discard_iteratorINS6_11use_defaultEEESI_PmS8_NS6_8equal_toIjEEEE10hipError_tPvRmT2_T3_mT4_T5_T6_T7_T8_P12ihipStream_tbENKUlT_T0_E_clISt17integral_constantIbLb0EES15_IbLb1EEEEDaS11_S12_EUlS11_E_NS1_11comp_targetILNS1_3genE9ELNS1_11target_archE1100ELNS1_3gpuE3ELNS1_3repE0EEENS1_30default_config_static_selectorELNS0_4arch9wavefront6targetE0EEEvT1_ ; -- Begin function _ZN7rocprim17ROCPRIM_400000_NS6detail17trampoline_kernelINS0_14default_configENS1_29reduce_by_key_config_selectorIjsN6thrust23THRUST_200600_302600_NS4plusIsEEEEZZNS1_33reduce_by_key_impl_wrapped_configILNS1_25lookback_scan_determinismE0ES3_S9_NS6_6detail15normal_iteratorINS6_10device_ptrIjEEEENSD_INSE_IsEEEENS6_16discard_iteratorINS6_11use_defaultEEESI_PmS8_NS6_8equal_toIjEEEE10hipError_tPvRmT2_T3_mT4_T5_T6_T7_T8_P12ihipStream_tbENKUlT_T0_E_clISt17integral_constantIbLb0EES15_IbLb1EEEEDaS11_S12_EUlS11_E_NS1_11comp_targetILNS1_3genE9ELNS1_11target_archE1100ELNS1_3gpuE3ELNS1_3repE0EEENS1_30default_config_static_selectorELNS0_4arch9wavefront6targetE0EEEvT1_
	.globl	_ZN7rocprim17ROCPRIM_400000_NS6detail17trampoline_kernelINS0_14default_configENS1_29reduce_by_key_config_selectorIjsN6thrust23THRUST_200600_302600_NS4plusIsEEEEZZNS1_33reduce_by_key_impl_wrapped_configILNS1_25lookback_scan_determinismE0ES3_S9_NS6_6detail15normal_iteratorINS6_10device_ptrIjEEEENSD_INSE_IsEEEENS6_16discard_iteratorINS6_11use_defaultEEESI_PmS8_NS6_8equal_toIjEEEE10hipError_tPvRmT2_T3_mT4_T5_T6_T7_T8_P12ihipStream_tbENKUlT_T0_E_clISt17integral_constantIbLb0EES15_IbLb1EEEEDaS11_S12_EUlS11_E_NS1_11comp_targetILNS1_3genE9ELNS1_11target_archE1100ELNS1_3gpuE3ELNS1_3repE0EEENS1_30default_config_static_selectorELNS0_4arch9wavefront6targetE0EEEvT1_
	.p2align	8
	.type	_ZN7rocprim17ROCPRIM_400000_NS6detail17trampoline_kernelINS0_14default_configENS1_29reduce_by_key_config_selectorIjsN6thrust23THRUST_200600_302600_NS4plusIsEEEEZZNS1_33reduce_by_key_impl_wrapped_configILNS1_25lookback_scan_determinismE0ES3_S9_NS6_6detail15normal_iteratorINS6_10device_ptrIjEEEENSD_INSE_IsEEEENS6_16discard_iteratorINS6_11use_defaultEEESI_PmS8_NS6_8equal_toIjEEEE10hipError_tPvRmT2_T3_mT4_T5_T6_T7_T8_P12ihipStream_tbENKUlT_T0_E_clISt17integral_constantIbLb0EES15_IbLb1EEEEDaS11_S12_EUlS11_E_NS1_11comp_targetILNS1_3genE9ELNS1_11target_archE1100ELNS1_3gpuE3ELNS1_3repE0EEENS1_30default_config_static_selectorELNS0_4arch9wavefront6targetE0EEEvT1_,@function
_ZN7rocprim17ROCPRIM_400000_NS6detail17trampoline_kernelINS0_14default_configENS1_29reduce_by_key_config_selectorIjsN6thrust23THRUST_200600_302600_NS4plusIsEEEEZZNS1_33reduce_by_key_impl_wrapped_configILNS1_25lookback_scan_determinismE0ES3_S9_NS6_6detail15normal_iteratorINS6_10device_ptrIjEEEENSD_INSE_IsEEEENS6_16discard_iteratorINS6_11use_defaultEEESI_PmS8_NS6_8equal_toIjEEEE10hipError_tPvRmT2_T3_mT4_T5_T6_T7_T8_P12ihipStream_tbENKUlT_T0_E_clISt17integral_constantIbLb0EES15_IbLb1EEEEDaS11_S12_EUlS11_E_NS1_11comp_targetILNS1_3genE9ELNS1_11target_archE1100ELNS1_3gpuE3ELNS1_3repE0EEENS1_30default_config_static_selectorELNS0_4arch9wavefront6targetE0EEEvT1_: ; @_ZN7rocprim17ROCPRIM_400000_NS6detail17trampoline_kernelINS0_14default_configENS1_29reduce_by_key_config_selectorIjsN6thrust23THRUST_200600_302600_NS4plusIsEEEEZZNS1_33reduce_by_key_impl_wrapped_configILNS1_25lookback_scan_determinismE0ES3_S9_NS6_6detail15normal_iteratorINS6_10device_ptrIjEEEENSD_INSE_IsEEEENS6_16discard_iteratorINS6_11use_defaultEEESI_PmS8_NS6_8equal_toIjEEEE10hipError_tPvRmT2_T3_mT4_T5_T6_T7_T8_P12ihipStream_tbENKUlT_T0_E_clISt17integral_constantIbLb0EES15_IbLb1EEEEDaS11_S12_EUlS11_E_NS1_11comp_targetILNS1_3genE9ELNS1_11target_archE1100ELNS1_3gpuE3ELNS1_3repE0EEENS1_30default_config_static_selectorELNS0_4arch9wavefront6targetE0EEEvT1_
; %bb.0:
	s_clause 0x4
	s_load_b128 s[4:7], s[0:1], 0x0
	s_load_b64 s[8:9], s[0:1], 0x10
	s_load_b64 s[18:19], s[0:1], 0x70
	s_load_b128 s[36:39], s[0:1], 0x60
	s_load_b256 s[20:27], s[0:1], 0x40
	v_cmp_ne_u32_e64 s3, 0, v0
	v_cmp_eq_u32_e64 s2, 0, v0
	s_delay_alu instid0(VALU_DEP_1)
	s_and_saveexec_b32 s10, s2
	s_cbranch_execz .LBB1091_4
; %bb.1:
	s_mov_b32 s12, exec_lo
	s_mov_b32 s11, exec_lo
	v_mbcnt_lo_u32_b32 v1, s12, 0
                                        ; implicit-def: $vgpr2
	s_delay_alu instid0(VALU_DEP_1)
	v_cmpx_eq_u32_e32 0, v1
	s_cbranch_execz .LBB1091_3
; %bb.2:
	s_load_b64 s[14:15], s[0:1], 0x78
	s_bcnt1_i32_b32 s12, s12
	s_delay_alu instid0(SALU_CYCLE_1)
	v_dual_mov_b32 v2, 0 :: v_dual_mov_b32 v3, s12
	s_waitcnt lgkmcnt(0)
	global_atomic_add_u32 v2, v2, v3, s[14:15] glc
.LBB1091_3:
	s_or_b32 exec_lo, exec_lo, s11
	s_waitcnt vmcnt(0)
	v_readfirstlane_b32 s11, v2
	s_delay_alu instid0(VALU_DEP_1)
	v_dual_mov_b32 v2, 0 :: v_dual_add_nc_u32 v1, s11, v1
	ds_store_b32 v2, v1
.LBB1091_4:
	s_or_b32 exec_lo, exec_lo, s10
	v_mov_b32_e32 v2, 0
	s_waitcnt lgkmcnt(0)
	s_barrier
	buffer_gl0_inv
	s_load_b128 s[28:31], s[0:1], 0x28
	ds_load_b32 v1, v2
	s_lshl_b64 s[0:1], s[6:7], 2
	s_mul_i32 s10, s24, s23
	s_add_u32 s14, s4, s0
	s_addc_u32 s1, s5, s1
	s_lshl_b64 s[4:5], s[6:7], 1
	s_mul_hi_u32 s11, s24, s22
	s_add_u32 s6, s8, s4
	s_mul_i32 s12, s25, s22
	s_addc_u32 s7, s9, s5
	s_add_i32 s4, s11, s10
	s_mul_i32 s13, s24, s22
	s_add_i32 s4, s4, s12
	v_mad_u32_u24 v3, v0, 15, 1
	v_mad_u32_u24 v20, v0, 15, 2
	;; [unrolled: 1-line block ×7, first 2 shown]
	s_waitcnt lgkmcnt(0)
	v_readfirstlane_b32 s33, v1
	v_mul_lo_u32 v1, 0xf00, v1
	v_mad_u32_u24 v32, v0, 15, 8
	v_mad_u32_u24 v34, v0, 15, 9
	;; [unrolled: 1-line block ×3, first 2 shown]
	s_add_u32 s24, s13, s33
	s_addc_u32 s25, s4, 0
	s_add_u32 s4, s26, -1
	s_addc_u32 s5, s27, -1
	v_lshlrev_b64 v[4:5], 2, v[1:2]
	v_lshlrev_b64 v[6:7], 1, v[1:2]
	s_cmp_eq_u64 s[24:25], s[4:5]
	v_mad_u32_u24 v38, v0, 15, 11
	v_mad_u32_u24 v40, v0, 15, 12
	;; [unrolled: 1-line block ×3, first 2 shown]
	v_add_co_u32 v4, vcc_lo, s14, v4
	v_add_co_ci_u32_e32 v2, vcc_lo, s1, v5, vcc_lo
	v_lshlrev_b32_e32 v5, 2, v0
	v_add_co_u32 v21, vcc_lo, s6, v6
	v_add_co_ci_u32_e32 v23, vcc_lo, s7, v7, vcc_lo
	v_mad_u32_u24 v1, v0, 15, 14
	s_cselect_b32 s17, -1, 0
	s_cmp_lg_u64 s[24:25], s[4:5]
	s_mov_b32 s0, 0
	s_cselect_b32 s34, -1, 0
	s_and_b32 vcc_lo, exec_lo, s17
	s_mul_i32 s26, s4, 0xfffff100
	s_barrier
	buffer_gl0_inv
	s_cbranch_vccnz .LBB1091_6
; %bb.5:
	v_add_co_u32 v6, vcc_lo, v4, v5
	v_add_co_ci_u32_e32 v7, vcc_lo, 0, v2, vcc_lo
	v_mad_u32_u24 v29, v0, 56, v5
	s_delay_alu instid0(VALU_DEP_3) | instskip(NEXT) | instid1(VALU_DEP_3)
	v_add_co_u32 v8, vcc_lo, 0x1000, v6
	v_add_co_ci_u32_e32 v9, vcc_lo, 0, v7, vcc_lo
	s_clause 0x7
	flat_load_b32 v10, v[6:7]
	flat_load_b32 v11, v[6:7] offset:1024
	flat_load_b32 v12, v[6:7] offset:2048
	flat_load_b32 v13, v[6:7] offset:3072
	flat_load_b32 v14, v[8:9]
	flat_load_b32 v15, v[8:9] offset:1024
	flat_load_b32 v16, v[8:9] offset:2048
	;; [unrolled: 1-line block ×3, first 2 shown]
	v_add_co_u32 v8, vcc_lo, 0x2000, v6
	v_add_co_ci_u32_e32 v9, vcc_lo, 0, v7, vcc_lo
	v_add_co_u32 v6, vcc_lo, 0x3000, v6
	v_add_co_ci_u32_e32 v7, vcc_lo, 0, v7, vcc_lo
	s_clause 0x6
	flat_load_b32 v18, v[8:9]
	flat_load_b32 v19, v[8:9] offset:1024
	flat_load_b32 v25, v[8:9] offset:2048
	;; [unrolled: 1-line block ×3, first 2 shown]
	flat_load_b32 v9, v[6:7]
	flat_load_b32 v27, v[6:7] offset:1024
	flat_load_b32 v6, v[6:7] offset:2048
	v_lshlrev_b32_e32 v7, 1, v0
	s_waitcnt vmcnt(13) lgkmcnt(13)
	ds_store_2addr_stride64_b32 v5, v10, v11 offset1:4
	s_waitcnt vmcnt(11) lgkmcnt(12)
	ds_store_2addr_stride64_b32 v5, v12, v13 offset0:8 offset1:12
	s_waitcnt vmcnt(9) lgkmcnt(11)
	ds_store_2addr_stride64_b32 v5, v14, v15 offset0:16 offset1:20
	;; [unrolled: 2-line block ×6, first 2 shown]
	s_waitcnt vmcnt(0) lgkmcnt(7)
	ds_store_b32 v5, v6 offset:14336
	v_add_co_u32 v43, vcc_lo, v21, v7
	v_add_co_ci_u32_e32 v44, vcc_lo, 0, v23, vcc_lo
	s_waitcnt lgkmcnt(0)
	s_delay_alu instid0(VALU_DEP_2) | instskip(NEXT) | instid1(VALU_DEP_2)
	v_add_co_u32 v45, vcc_lo, 0x1000, v43
	v_add_co_ci_u32_e32 v46, vcc_lo, 0, v44, vcc_lo
	s_barrier
	buffer_gl0_inv
	ds_load_2addr_b32 v[18:19], v29 offset1:1
	ds_load_2addr_b32 v[16:17], v29 offset0:2 offset1:3
	ds_load_2addr_b32 v[14:15], v29 offset0:4 offset1:5
	;; [unrolled: 1-line block ×6, first 2 shown]
	ds_load_b32 v52, v29 offset:56
	s_waitcnt lgkmcnt(0)
	s_barrier
	buffer_gl0_inv
	s_clause 0xe
	flat_load_u16 v27, v[43:44]
	flat_load_u16 v31, v[43:44] offset:512
	flat_load_u16 v33, v[43:44] offset:1024
	;; [unrolled: 1-line block ×7, first 2 shown]
	flat_load_u16 v44, v[45:46]
	flat_load_u16 v47, v[45:46] offset:512
	flat_load_u16 v48, v[45:46] offset:1024
	;; [unrolled: 1-line block ×6, first 2 shown]
	v_mad_i32_i24 v29, 0xffffffc6, v0, v29
	v_mul_u32_u24_e32 v25, 15, v0
	s_waitcnt vmcnt(14) lgkmcnt(14)
	ds_store_b16 v29, v27
	s_waitcnt vmcnt(13) lgkmcnt(14)
	ds_store_b16 v29, v31 offset:512
	s_waitcnt vmcnt(12) lgkmcnt(14)
	ds_store_b16 v29, v33 offset:1024
	s_waitcnt vmcnt(11) lgkmcnt(14)
	ds_store_b16 v29, v35 offset:1536
	s_waitcnt vmcnt(10) lgkmcnt(14)
	ds_store_b16 v29, v37 offset:2048
	s_waitcnt vmcnt(9) lgkmcnt(14)
	ds_store_b16 v29, v39 offset:2560
	s_waitcnt vmcnt(8) lgkmcnt(14)
	ds_store_b16 v29, v41 offset:3072
	s_waitcnt vmcnt(7) lgkmcnt(14)
	ds_store_b16 v29, v43 offset:3584
	s_waitcnt vmcnt(6) lgkmcnt(14)
	ds_store_b16 v29, v44 offset:4096
	s_waitcnt vmcnt(5) lgkmcnt(14)
	ds_store_b16 v29, v47 offset:4608
	s_waitcnt vmcnt(4) lgkmcnt(14)
	ds_store_b16 v29, v48 offset:5120
	s_waitcnt vmcnt(3) lgkmcnt(14)
	ds_store_b16 v29, v49 offset:5632
	s_waitcnt vmcnt(2) lgkmcnt(14)
	ds_store_b16 v29, v50 offset:6144
	s_waitcnt vmcnt(1) lgkmcnt(14)
	ds_store_b16 v29, v51 offset:6656
	s_waitcnt vmcnt(0) lgkmcnt(14)
	ds_store_b16 v29, v45 offset:7168
	s_waitcnt lgkmcnt(0)
	s_barrier
	s_branch .LBB1091_7
.LBB1091_6:
	s_mov_b32 s0, -1
                                        ; implicit-def: $vgpr25
                                        ; implicit-def: $vgpr18
                                        ; implicit-def: $vgpr16
                                        ; implicit-def: $vgpr14
                                        ; implicit-def: $vgpr12
                                        ; implicit-def: $vgpr10
                                        ; implicit-def: $vgpr8
                                        ; implicit-def: $vgpr6
                                        ; implicit-def: $vgpr52
.LBB1091_7:
	v_dual_mov_b32 v27, v1 :: v_dual_mov_b32 v54, v26
	v_dual_mov_b32 v29, v42 :: v_dual_mov_b32 v58, v3
	v_dual_mov_b32 v37, v40 :: v_dual_mov_b32 v56, v22
	v_mov_b32_e32 v39, v38
	v_mov_b32_e32 v31, v36
	;; [unrolled: 1-line block ×8, first 2 shown]
	s_and_not1_b32 vcc_lo, exec_lo, s0
	s_add_i32 s26, s26, s36
	s_cbranch_vccnz .LBB1091_69
; %bb.8:
	v_cmp_gt_u32_e32 vcc_lo, s26, v0
                                        ; implicit-def: $vgpr6
	s_and_saveexec_b32 s1, vcc_lo
	s_cbranch_execz .LBB1091_10
; %bb.9:
	v_add_co_u32 v6, s0, v4, v5
	s_delay_alu instid0(VALU_DEP_1)
	v_add_co_ci_u32_e64 v7, s0, 0, v2, s0
	flat_load_b32 v6, v[6:7]
.LBB1091_10:
	s_or_b32 exec_lo, exec_lo, s1
	v_or_b32_e32 v7, 0x100, v0
	s_delay_alu instid0(VALU_DEP_1) | instskip(NEXT) | instid1(VALU_DEP_1)
	v_cmp_gt_u32_e64 s0, s26, v7
                                        ; implicit-def: $vgpr7
	s_and_saveexec_b32 s4, s0
	s_cbranch_execz .LBB1091_12
; %bb.11:
	v_add_co_u32 v7, s1, v4, v5
	s_delay_alu instid0(VALU_DEP_1)
	v_add_co_ci_u32_e64 v8, s1, 0, v2, s1
	flat_load_b32 v7, v[7:8] offset:1024
.LBB1091_12:
	s_or_b32 exec_lo, exec_lo, s4
	v_or_b32_e32 v8, 0x200, v0
	s_delay_alu instid0(VALU_DEP_1) | instskip(NEXT) | instid1(VALU_DEP_1)
	v_cmp_gt_u32_e64 s1, s26, v8
                                        ; implicit-def: $vgpr8
	s_and_saveexec_b32 s5, s1
	s_cbranch_execz .LBB1091_14
; %bb.13:
	v_add_co_u32 v8, s4, v4, v5
	s_delay_alu instid0(VALU_DEP_1)
	v_add_co_ci_u32_e64 v9, s4, 0, v2, s4
	flat_load_b32 v8, v[8:9] offset:2048
.LBB1091_14:
	s_or_b32 exec_lo, exec_lo, s5
	v_or_b32_e32 v9, 0x300, v0
	s_delay_alu instid0(VALU_DEP_1) | instskip(NEXT) | instid1(VALU_DEP_1)
	v_cmp_gt_u32_e64 s4, s26, v9
                                        ; implicit-def: $vgpr9
	s_and_saveexec_b32 s6, s4
	s_cbranch_execz .LBB1091_16
; %bb.15:
	v_add_co_u32 v9, s5, v4, v5
	s_delay_alu instid0(VALU_DEP_1)
	v_add_co_ci_u32_e64 v10, s5, 0, v2, s5
	flat_load_b32 v9, v[9:10] offset:3072
.LBB1091_16:
	s_or_b32 exec_lo, exec_lo, s6
	v_or_b32_e32 v11, 0x400, v0
                                        ; implicit-def: $vgpr10
	s_delay_alu instid0(VALU_DEP_1) | instskip(NEXT) | instid1(VALU_DEP_1)
	v_cmp_gt_u32_e64 s5, s26, v11
	s_and_saveexec_b32 s7, s5
	s_cbranch_execz .LBB1091_18
; %bb.17:
	v_lshlrev_b32_e32 v10, 2, v11
	s_delay_alu instid0(VALU_DEP_1) | instskip(NEXT) | instid1(VALU_DEP_1)
	v_add_co_u32 v10, s6, v4, v10
	v_add_co_ci_u32_e64 v11, s6, 0, v2, s6
	flat_load_b32 v10, v[10:11]
.LBB1091_18:
	s_or_b32 exec_lo, exec_lo, s7
	v_or_b32_e32 v12, 0x500, v0
                                        ; implicit-def: $vgpr11
	s_delay_alu instid0(VALU_DEP_1) | instskip(NEXT) | instid1(VALU_DEP_1)
	v_cmp_gt_u32_e64 s6, s26, v12
	s_and_saveexec_b32 s8, s6
	s_cbranch_execz .LBB1091_20
; %bb.19:
	v_lshlrev_b32_e32 v11, 2, v12
	s_delay_alu instid0(VALU_DEP_1) | instskip(NEXT) | instid1(VALU_DEP_1)
	v_add_co_u32 v11, s7, v4, v11
	v_add_co_ci_u32_e64 v12, s7, 0, v2, s7
	flat_load_b32 v11, v[11:12]
.LBB1091_20:
	s_or_b32 exec_lo, exec_lo, s8
	v_or_b32_e32 v13, 0x600, v0
                                        ; implicit-def: $vgpr12
	s_delay_alu instid0(VALU_DEP_1) | instskip(NEXT) | instid1(VALU_DEP_1)
	v_cmp_gt_u32_e64 s7, s26, v13
	s_and_saveexec_b32 s9, s7
	s_cbranch_execz .LBB1091_22
; %bb.21:
	v_lshlrev_b32_e32 v12, 2, v13
	s_delay_alu instid0(VALU_DEP_1) | instskip(NEXT) | instid1(VALU_DEP_1)
	v_add_co_u32 v12, s8, v4, v12
	v_add_co_ci_u32_e64 v13, s8, 0, v2, s8
	flat_load_b32 v12, v[12:13]
.LBB1091_22:
	s_or_b32 exec_lo, exec_lo, s9
	v_or_b32_e32 v14, 0x700, v0
                                        ; implicit-def: $vgpr13
	s_delay_alu instid0(VALU_DEP_1) | instskip(NEXT) | instid1(VALU_DEP_1)
	v_cmp_gt_u32_e64 s8, s26, v14
	s_and_saveexec_b32 s10, s8
	s_cbranch_execz .LBB1091_24
; %bb.23:
	v_lshlrev_b32_e32 v13, 2, v14
	s_delay_alu instid0(VALU_DEP_1) | instskip(NEXT) | instid1(VALU_DEP_1)
	v_add_co_u32 v13, s9, v4, v13
	v_add_co_ci_u32_e64 v14, s9, 0, v2, s9
	flat_load_b32 v13, v[13:14]
.LBB1091_24:
	s_or_b32 exec_lo, exec_lo, s10
	v_or_b32_e32 v25, 0x800, v0
                                        ; implicit-def: $vgpr14
	s_delay_alu instid0(VALU_DEP_1) | instskip(NEXT) | instid1(VALU_DEP_1)
	v_cmp_gt_u32_e64 s9, s26, v25
	s_and_saveexec_b32 s11, s9
	s_cbranch_execz .LBB1091_26
; %bb.25:
	v_lshlrev_b32_e32 v14, 2, v25
	s_delay_alu instid0(VALU_DEP_1) | instskip(NEXT) | instid1(VALU_DEP_1)
	v_add_co_u32 v14, s10, v4, v14
	v_add_co_ci_u32_e64 v15, s10, 0, v2, s10
	flat_load_b32 v14, v[14:15]
.LBB1091_26:
	s_or_b32 exec_lo, exec_lo, s11
	v_or_b32_e32 v27, 0x900, v0
                                        ; implicit-def: $vgpr15
	s_delay_alu instid0(VALU_DEP_1) | instskip(NEXT) | instid1(VALU_DEP_1)
	v_cmp_gt_u32_e64 s10, s26, v27
	s_and_saveexec_b32 s12, s10
	s_cbranch_execz .LBB1091_28
; %bb.27:
	v_lshlrev_b32_e32 v15, 2, v27
	s_delay_alu instid0(VALU_DEP_1) | instskip(NEXT) | instid1(VALU_DEP_1)
	v_add_co_u32 v15, s11, v4, v15
	v_add_co_ci_u32_e64 v16, s11, 0, v2, s11
	flat_load_b32 v15, v[15:16]
.LBB1091_28:
	s_or_b32 exec_lo, exec_lo, s12
	v_or_b32_e32 v31, 0xa00, v0
                                        ; implicit-def: $vgpr16
	s_delay_alu instid0(VALU_DEP_1) | instskip(NEXT) | instid1(VALU_DEP_1)
	v_cmp_gt_u32_e64 s11, s26, v31
	s_and_saveexec_b32 s13, s11
	s_cbranch_execz .LBB1091_30
; %bb.29:
	v_lshlrev_b32_e32 v16, 2, v31
	s_delay_alu instid0(VALU_DEP_1) | instskip(NEXT) | instid1(VALU_DEP_1)
	v_add_co_u32 v16, s12, v4, v16
	v_add_co_ci_u32_e64 v17, s12, 0, v2, s12
	flat_load_b32 v16, v[16:17]
.LBB1091_30:
	s_or_b32 exec_lo, exec_lo, s13
	v_or_b32_e32 v33, 0xb00, v0
                                        ; implicit-def: $vgpr17
	s_delay_alu instid0(VALU_DEP_1) | instskip(NEXT) | instid1(VALU_DEP_1)
	v_cmp_gt_u32_e64 s12, s26, v33
	s_and_saveexec_b32 s14, s12
	s_cbranch_execz .LBB1091_32
; %bb.31:
	v_lshlrev_b32_e32 v17, 2, v33
	s_delay_alu instid0(VALU_DEP_1) | instskip(NEXT) | instid1(VALU_DEP_1)
	v_add_co_u32 v17, s13, v4, v17
	v_add_co_ci_u32_e64 v18, s13, 0, v2, s13
	flat_load_b32 v17, v[17:18]
.LBB1091_32:
	s_or_b32 exec_lo, exec_lo, s14
	v_or_b32_e32 v35, 0xc00, v0
                                        ; implicit-def: $vgpr18
	s_delay_alu instid0(VALU_DEP_1) | instskip(NEXT) | instid1(VALU_DEP_1)
	v_cmp_gt_u32_e64 s13, s26, v35
	s_and_saveexec_b32 s15, s13
	s_cbranch_execz .LBB1091_34
; %bb.33:
	v_lshlrev_b32_e32 v18, 2, v35
	s_delay_alu instid0(VALU_DEP_1) | instskip(NEXT) | instid1(VALU_DEP_1)
	v_add_co_u32 v18, s14, v4, v18
	v_add_co_ci_u32_e64 v19, s14, 0, v2, s14
	flat_load_b32 v18, v[18:19]
.LBB1091_34:
	s_or_b32 exec_lo, exec_lo, s15
	v_or_b32_e32 v37, 0xd00, v0
                                        ; implicit-def: $vgpr19
	s_delay_alu instid0(VALU_DEP_1) | instskip(NEXT) | instid1(VALU_DEP_1)
	v_cmp_gt_u32_e64 s14, s26, v37
	s_and_saveexec_b32 s16, s14
	s_cbranch_execz .LBB1091_36
; %bb.35:
	v_lshlrev_b32_e32 v19, 2, v37
	s_delay_alu instid0(VALU_DEP_1) | instskip(NEXT) | instid1(VALU_DEP_1)
	v_add_co_u32 v43, s15, v4, v19
	v_add_co_ci_u32_e64 v44, s15, 0, v2, s15
	flat_load_b32 v19, v[43:44]
.LBB1091_36:
	s_or_b32 exec_lo, exec_lo, s16
	v_or_b32_e32 v39, 0xe00, v0
                                        ; implicit-def: $vgpr41
	s_delay_alu instid0(VALU_DEP_1) | instskip(NEXT) | instid1(VALU_DEP_1)
	v_cmp_gt_u32_e64 s15, s26, v39
	s_and_saveexec_b32 s27, s15
	s_cbranch_execz .LBB1091_38
; %bb.37:
	v_lshlrev_b32_e32 v29, 2, v39
	s_delay_alu instid0(VALU_DEP_1) | instskip(NEXT) | instid1(VALU_DEP_1)
	v_add_co_u32 v43, s16, v4, v29
	v_add_co_ci_u32_e64 v44, s16, 0, v2, s16
	flat_load_b32 v41, v[43:44]
.LBB1091_38:
	s_or_b32 exec_lo, exec_lo, s27
	v_mad_u32_u24 v29, v0, 56, v5
	s_waitcnt vmcnt(0) lgkmcnt(0)
	ds_store_2addr_stride64_b32 v5, v6, v7 offset1:4
	ds_store_2addr_stride64_b32 v5, v8, v9 offset0:8 offset1:12
	ds_store_2addr_stride64_b32 v5, v10, v11 offset0:16 offset1:20
	;; [unrolled: 1-line block ×6, first 2 shown]
	ds_store_b32 v5, v41 offset:14336
	s_waitcnt lgkmcnt(0)
	s_barrier
	buffer_gl0_inv
	ds_load_2addr_b32 v[18:19], v29 offset1:1
	ds_load_2addr_b32 v[16:17], v29 offset0:2 offset1:3
	ds_load_2addr_b32 v[14:15], v29 offset0:4 offset1:5
	ds_load_2addr_b32 v[12:13], v29 offset0:6 offset1:7
	ds_load_2addr_b32 v[10:11], v29 offset0:8 offset1:9
	ds_load_2addr_b32 v[8:9], v29 offset0:10 offset1:11
	ds_load_2addr_b32 v[6:7], v29 offset0:12 offset1:13
	ds_load_b32 v52, v29 offset:56
	s_waitcnt lgkmcnt(0)
	s_barrier
	buffer_gl0_inv
                                        ; implicit-def: $vgpr41
	s_and_saveexec_b32 s16, vcc_lo
	s_cbranch_execz .LBB1091_52
; %bb.39:
	v_lshlrev_b32_e32 v41, 1, v0
	s_delay_alu instid0(VALU_DEP_1)
	v_add_co_u32 v43, vcc_lo, v21, v41
	v_add_co_ci_u32_e32 v44, vcc_lo, 0, v23, vcc_lo
	flat_load_u16 v41, v[43:44]
	s_or_b32 exec_lo, exec_lo, s16
                                        ; implicit-def: $vgpr43
	s_and_saveexec_b32 s16, s0
	s_cbranch_execnz .LBB1091_53
.LBB1091_40:
	s_or_b32 exec_lo, exec_lo, s16
                                        ; implicit-def: $vgpr44
	s_and_saveexec_b32 s0, s1
	s_cbranch_execz .LBB1091_54
.LBB1091_41:
	v_lshlrev_b32_e32 v44, 1, v0
	s_delay_alu instid0(VALU_DEP_1)
	v_add_co_u32 v44, vcc_lo, v21, v44
	v_add_co_ci_u32_e32 v45, vcc_lo, 0, v23, vcc_lo
	flat_load_u16 v44, v[44:45] offset:1024
	s_or_b32 exec_lo, exec_lo, s0
                                        ; implicit-def: $vgpr45
	s_and_saveexec_b32 s0, s4
	s_cbranch_execnz .LBB1091_55
.LBB1091_42:
	s_or_b32 exec_lo, exec_lo, s0
                                        ; implicit-def: $vgpr46
	s_and_saveexec_b32 s0, s5
	s_cbranch_execz .LBB1091_56
.LBB1091_43:
	v_lshlrev_b32_e32 v46, 1, v0
	s_delay_alu instid0(VALU_DEP_1)
	v_add_co_u32 v46, vcc_lo, v21, v46
	v_add_co_ci_u32_e32 v47, vcc_lo, 0, v23, vcc_lo
	flat_load_u16 v46, v[46:47] offset:2048
	s_or_b32 exec_lo, exec_lo, s0
                                        ; implicit-def: $vgpr47
	s_and_saveexec_b32 s0, s6
	s_cbranch_execnz .LBB1091_57
.LBB1091_44:
	s_or_b32 exec_lo, exec_lo, s0
                                        ; implicit-def: $vgpr48
	s_and_saveexec_b32 s0, s7
	s_cbranch_execz .LBB1091_58
.LBB1091_45:
	v_lshlrev_b32_e32 v48, 1, v0
	s_delay_alu instid0(VALU_DEP_1)
	v_add_co_u32 v48, vcc_lo, v21, v48
	v_add_co_ci_u32_e32 v49, vcc_lo, 0, v23, vcc_lo
	flat_load_u16 v48, v[48:49] offset:3072
	s_or_b32 exec_lo, exec_lo, s0
                                        ; implicit-def: $vgpr49
	s_and_saveexec_b32 s0, s8
	s_cbranch_execnz .LBB1091_59
.LBB1091_46:
	s_or_b32 exec_lo, exec_lo, s0
                                        ; implicit-def: $vgpr50
	s_and_saveexec_b32 s0, s9
	s_cbranch_execz .LBB1091_60
.LBB1091_47:
	v_lshlrev_b32_e32 v25, 1, v25
	s_delay_alu instid0(VALU_DEP_1)
	v_add_co_u32 v50, vcc_lo, v21, v25
	v_add_co_ci_u32_e32 v51, vcc_lo, 0, v23, vcc_lo
	flat_load_u16 v50, v[50:51]
	s_or_b32 exec_lo, exec_lo, s0
                                        ; implicit-def: $vgpr59
	s_and_saveexec_b32 s0, s10
	s_cbranch_execnz .LBB1091_61
.LBB1091_48:
	s_or_b32 exec_lo, exec_lo, s0
                                        ; implicit-def: $vgpr60
	s_and_saveexec_b32 s0, s11
	s_cbranch_execz .LBB1091_62
.LBB1091_49:
	v_lshlrev_b32_e32 v25, 1, v31
	s_delay_alu instid0(VALU_DEP_1)
	v_add_co_u32 v53, vcc_lo, v21, v25
	v_add_co_ci_u32_e32 v54, vcc_lo, 0, v23, vcc_lo
	flat_load_u16 v60, v[53:54]
	s_or_b32 exec_lo, exec_lo, s0
                                        ; implicit-def: $vgpr61
	s_and_saveexec_b32 s0, s12
	s_cbranch_execnz .LBB1091_63
.LBB1091_50:
	s_or_b32 exec_lo, exec_lo, s0
                                        ; implicit-def: $vgpr62
	s_and_saveexec_b32 s0, s13
	s_cbranch_execz .LBB1091_64
.LBB1091_51:
	v_lshlrev_b32_e32 v25, 1, v35
	s_delay_alu instid0(VALU_DEP_1)
	v_add_co_u32 v53, vcc_lo, v21, v25
	v_add_co_ci_u32_e32 v54, vcc_lo, 0, v23, vcc_lo
	flat_load_u16 v62, v[53:54]
	s_or_b32 exec_lo, exec_lo, s0
                                        ; implicit-def: $vgpr63
	s_and_saveexec_b32 s0, s14
	s_cbranch_execz .LBB1091_66
	s_branch .LBB1091_65
.LBB1091_52:
	s_or_b32 exec_lo, exec_lo, s16
                                        ; implicit-def: $vgpr43
	s_and_saveexec_b32 s16, s0
	s_cbranch_execz .LBB1091_40
.LBB1091_53:
	v_lshlrev_b32_e32 v43, 1, v0
	s_delay_alu instid0(VALU_DEP_1)
	v_add_co_u32 v43, vcc_lo, v21, v43
	v_add_co_ci_u32_e32 v44, vcc_lo, 0, v23, vcc_lo
	flat_load_u16 v43, v[43:44] offset:512
	s_or_b32 exec_lo, exec_lo, s16
                                        ; implicit-def: $vgpr44
	s_and_saveexec_b32 s0, s1
	s_cbranch_execnz .LBB1091_41
.LBB1091_54:
	s_or_b32 exec_lo, exec_lo, s0
                                        ; implicit-def: $vgpr45
	s_and_saveexec_b32 s0, s4
	s_cbranch_execz .LBB1091_42
.LBB1091_55:
	v_lshlrev_b32_e32 v45, 1, v0
	s_delay_alu instid0(VALU_DEP_1)
	v_add_co_u32 v45, vcc_lo, v21, v45
	v_add_co_ci_u32_e32 v46, vcc_lo, 0, v23, vcc_lo
	flat_load_u16 v45, v[45:46] offset:1536
	s_or_b32 exec_lo, exec_lo, s0
                                        ; implicit-def: $vgpr46
	s_and_saveexec_b32 s0, s5
	s_cbranch_execnz .LBB1091_43
.LBB1091_56:
	s_or_b32 exec_lo, exec_lo, s0
                                        ; implicit-def: $vgpr47
	s_and_saveexec_b32 s0, s6
	s_cbranch_execz .LBB1091_44
.LBB1091_57:
	v_lshlrev_b32_e32 v47, 1, v0
	s_delay_alu instid0(VALU_DEP_1)
	v_add_co_u32 v47, vcc_lo, v21, v47
	v_add_co_ci_u32_e32 v48, vcc_lo, 0, v23, vcc_lo
	flat_load_u16 v47, v[47:48] offset:2560
	s_or_b32 exec_lo, exec_lo, s0
                                        ; implicit-def: $vgpr48
	s_and_saveexec_b32 s0, s7
	s_cbranch_execnz .LBB1091_45
.LBB1091_58:
	s_or_b32 exec_lo, exec_lo, s0
                                        ; implicit-def: $vgpr49
	s_and_saveexec_b32 s0, s8
	s_cbranch_execz .LBB1091_46
.LBB1091_59:
	v_lshlrev_b32_e32 v49, 1, v0
	s_delay_alu instid0(VALU_DEP_1)
	v_add_co_u32 v49, vcc_lo, v21, v49
	v_add_co_ci_u32_e32 v50, vcc_lo, 0, v23, vcc_lo
	flat_load_u16 v49, v[49:50] offset:3584
	s_or_b32 exec_lo, exec_lo, s0
                                        ; implicit-def: $vgpr50
	s_and_saveexec_b32 s0, s9
	s_cbranch_execnz .LBB1091_47
.LBB1091_60:
	s_or_b32 exec_lo, exec_lo, s0
                                        ; implicit-def: $vgpr59
	s_and_saveexec_b32 s0, s10
	s_cbranch_execz .LBB1091_48
.LBB1091_61:
	v_lshlrev_b32_e32 v25, 1, v27
	s_delay_alu instid0(VALU_DEP_1)
	v_add_co_u32 v53, vcc_lo, v21, v25
	v_add_co_ci_u32_e32 v54, vcc_lo, 0, v23, vcc_lo
	flat_load_u16 v59, v[53:54]
	s_or_b32 exec_lo, exec_lo, s0
                                        ; implicit-def: $vgpr60
	s_and_saveexec_b32 s0, s11
	s_cbranch_execnz .LBB1091_49
.LBB1091_62:
	s_or_b32 exec_lo, exec_lo, s0
                                        ; implicit-def: $vgpr61
	s_and_saveexec_b32 s0, s12
	s_cbranch_execz .LBB1091_50
.LBB1091_63:
	v_lshlrev_b32_e32 v25, 1, v33
	s_delay_alu instid0(VALU_DEP_1)
	v_add_co_u32 v53, vcc_lo, v21, v25
	v_add_co_ci_u32_e32 v54, vcc_lo, 0, v23, vcc_lo
	flat_load_u16 v61, v[53:54]
	s_or_b32 exec_lo, exec_lo, s0
                                        ; implicit-def: $vgpr62
	s_and_saveexec_b32 s0, s13
	s_cbranch_execnz .LBB1091_51
.LBB1091_64:
	s_or_b32 exec_lo, exec_lo, s0
                                        ; implicit-def: $vgpr63
	s_and_saveexec_b32 s0, s14
	s_cbranch_execz .LBB1091_66
.LBB1091_65:
	v_lshlrev_b32_e32 v25, 1, v37
	s_delay_alu instid0(VALU_DEP_1)
	v_add_co_u32 v53, vcc_lo, v21, v25
	v_add_co_ci_u32_e32 v54, vcc_lo, 0, v23, vcc_lo
	flat_load_u16 v63, v[53:54]
.LBB1091_66:
	s_or_b32 exec_lo, exec_lo, s0
	v_mul_u32_u24_e32 v25, 15, v0
                                        ; implicit-def: $vgpr64
	s_and_saveexec_b32 s0, s15
	s_cbranch_execz .LBB1091_68
; %bb.67:
	v_lshlrev_b32_e32 v27, 1, v39
	s_delay_alu instid0(VALU_DEP_1)
	v_add_co_u32 v53, vcc_lo, v21, v27
	v_add_co_ci_u32_e32 v54, vcc_lo, 0, v23, vcc_lo
	flat_load_u16 v64, v[53:54]
.LBB1091_68:
	s_or_b32 exec_lo, exec_lo, s0
	s_delay_alu instid0(VALU_DEP_1)
	v_add_nc_u32_e32 v58, 1, v25
	v_add_nc_u32_e32 v57, 2, v25
	;; [unrolled: 1-line block ×10, first 2 shown]
	v_mad_i32_i24 v21, 0xffffffc6, v0, v29
	v_add_nc_u32_e32 v39, 11, v25
	v_add_nc_u32_e32 v37, 12, v25
	;; [unrolled: 1-line block ×4, first 2 shown]
	s_waitcnt vmcnt(0) lgkmcnt(0)
	ds_store_b16 v21, v41
	ds_store_b16 v21, v43 offset:512
	ds_store_b16 v21, v44 offset:1024
	;; [unrolled: 1-line block ×14, first 2 shown]
	s_waitcnt lgkmcnt(0)
	s_barrier
.LBB1091_69:
	v_lshlrev_b32_e32 v21, 1, v25
	v_lshlrev_b32_e32 v23, 1, v58
	v_lshlrev_b32_e32 v25, 1, v57
	v_lshlrev_b32_e32 v41, 1, v56
	v_lshlrev_b32_e32 v43, 1, v55
	buffer_gl0_inv
	v_lshlrev_b32_e32 v44, 1, v54
	v_lshlrev_b32_e32 v45, 1, v53
	;; [unrolled: 1-line block ×3, first 2 shown]
	ds_load_u16 v80, v21
	ds_load_u16 v79, v23
	;; [unrolled: 1-line block ×8, first 2 shown]
	v_lshlrev_b32_e32 v21, 1, v35
	v_lshlrev_b32_e32 v23, 1, v33
	;; [unrolled: 1-line block ×7, first 2 shown]
	ds_load_u16 v74, v21
	ds_load_u16 v72, v23
	;; [unrolled: 1-line block ×7, first 2 shown]
	s_cmp_eq_u64 s[24:25], 0
	s_waitcnt lgkmcnt(0)
	s_cselect_b32 s27, -1, 0
	s_cmp_lg_u64 s[24:25], 0
	s_barrier
	s_cselect_b32 s15, -1, 0
	s_and_b32 vcc_lo, exec_lo, s34
	buffer_gl0_inv
	s_cbranch_vccz .LBB1091_75
; %bb.70:
	s_and_b32 vcc_lo, exec_lo, s15
	s_cbranch_vccz .LBB1091_135
; %bb.71:
	v_add_co_u32 v43, vcc_lo, -4, v4
	v_add_co_ci_u32_e32 v44, vcc_lo, -1, v2, vcc_lo
	v_cmp_ne_u32_e32 vcc_lo, v7, v52
	v_cmp_ne_u32_e64 s0, v6, v7
	v_cmp_ne_u32_e64 s1, v9, v6
	flat_load_b32 v21, v[43:44]
	v_cmp_ne_u32_e64 s4, v8, v9
	v_cmp_ne_u32_e64 s5, v11, v8
	;; [unrolled: 1-line block ×11, first 2 shown]
	s_mov_b32 s34, -1
	ds_store_b32 v5, v52
	s_waitcnt vmcnt(0) lgkmcnt(0)
	s_barrier
	buffer_gl0_inv
	s_and_saveexec_b32 s16, s3
	s_cbranch_execz .LBB1091_73
; %bb.72:
	v_add_nc_u32_e32 v21, -4, v5
	ds_load_b32 v21, v21
.LBB1091_73:
	s_or_b32 exec_lo, exec_lo, s16
	v_cndmask_b32_e64 v59, 0, 1, vcc_lo
	v_cndmask_b32_e64 v53, 0, 1, s0
	v_cndmask_b32_e64 v54, 0, 1, s1
	;; [unrolled: 1-line block ×13, first 2 shown]
	s_waitcnt lgkmcnt(0)
	v_cmp_ne_u32_e64 s0, v21, v18
.LBB1091_74:
                                        ; implicit-def: $sgpr1
	s_branch .LBB1091_76
.LBB1091_75:
	s_mov_b32 s34, 0
                                        ; implicit-def: $sgpr0
                                        ; implicit-def: $vgpr59
                                        ; implicit-def: $vgpr53
                                        ; implicit-def: $vgpr54
                                        ; implicit-def: $vgpr55
                                        ; implicit-def: $vgpr56
                                        ; implicit-def: $vgpr57
                                        ; implicit-def: $vgpr58
                                        ; implicit-def: $vgpr60
                                        ; implicit-def: $vgpr61
                                        ; implicit-def: $vgpr62
                                        ; implicit-def: $vgpr63
                                        ; implicit-def: $vgpr64
                                        ; implicit-def: $vgpr65
                                        ; implicit-def: $vgpr66
                                        ; implicit-def: $sgpr1
	s_cbranch_execnz .LBB1091_139
.LBB1091_76:
	v_mov_b32_e32 v83, s1
	s_and_saveexec_b32 s1, s34
.LBB1091_77:
	s_delay_alu instid0(VALU_DEP_2)
	v_cndmask_b32_e64 v83, 0, 1, s0
.LBB1091_78:
	s_or_b32 exec_lo, exec_lo, s1
	s_delay_alu instid0(VALU_DEP_1)
	v_add3_u32 v1, v66, v83, v65
	v_cmp_eq_u32_e64 s13, 0, v66
	v_cmp_eq_u32_e64 s12, 0, v65
	;; [unrolled: 1-line block ×4, first 2 shown]
	v_add3_u32 v87, v1, v64, v63
	v_cmp_eq_u32_e64 s9, 0, v62
	v_cmp_eq_u32_e64 s8, 0, v61
	;; [unrolled: 1-line block ×9, first 2 shown]
	v_cmp_eq_u32_e32 vcc_lo, 0, v59
	v_mbcnt_lo_u32_b32 v84, -1, 0
	v_lshrrev_b32_e32 v85, 5, v0
	v_or_b32_e32 v86, 31, v0
	s_cmp_eq_u64 s[22:23], 0
	s_cselect_b32 s16, -1, 0
	s_cmp_lg_u32 s33, 0
	s_cbranch_scc0 .LBB1091_104
; %bb.79:
	v_cndmask_b32_e64 v1, 0, v80, s13
	v_add3_u32 v2, v87, v62, v61
	v_and_b32_e32 v5, 15, v84
	s_delay_alu instid0(VALU_DEP_3) | instskip(NEXT) | instid1(VALU_DEP_3)
	v_add_nc_u16 v1, v1, v79
	v_add3_u32 v2, v2, v60, v58
	s_delay_alu instid0(VALU_DEP_2) | instskip(NEXT) | instid1(VALU_DEP_2)
	v_cndmask_b32_e64 v1, 0, v1, s12
	v_add3_u32 v2, v2, v57, v56
	s_delay_alu instid0(VALU_DEP_2) | instskip(NEXT) | instid1(VALU_DEP_2)
	v_add_nc_u16 v1, v1, v78
	v_add3_u32 v2, v2, v55, v54
	s_delay_alu instid0(VALU_DEP_2) | instskip(NEXT) | instid1(VALU_DEP_2)
	v_cndmask_b32_e64 v1, 0, v1, s11
	v_add3_u32 v2, v2, v53, v59
	s_delay_alu instid0(VALU_DEP_2) | instskip(NEXT) | instid1(VALU_DEP_2)
	v_add_nc_u16 v1, v1, v77
	v_mov_b32_dpp v20, v2 row_shr:1 row_mask:0xf bank_mask:0xf
	s_delay_alu instid0(VALU_DEP_2) | instskip(NEXT) | instid1(VALU_DEP_1)
	v_cndmask_b32_e64 v1, 0, v1, s10
	v_add_nc_u16 v1, v1, v76
	s_delay_alu instid0(VALU_DEP_1) | instskip(NEXT) | instid1(VALU_DEP_1)
	v_cndmask_b32_e64 v1, 0, v1, s9
	v_add_nc_u16 v1, v1, v75
	s_delay_alu instid0(VALU_DEP_1) | instskip(NEXT) | instid1(VALU_DEP_1)
	;; [unrolled: 3-line block ×9, first 2 shown]
	v_cndmask_b32_e64 v1, 0, v1, s0
	v_add_nc_u16 v1, v1, v67
	s_delay_alu instid0(VALU_DEP_1) | instskip(SKIP_1) | instid1(VALU_DEP_2)
	v_cndmask_b32_e32 v1, 0, v1, vcc_lo
	v_cmp_eq_u32_e32 vcc_lo, 0, v2
	v_add_nc_u16 v1, v1, v81
	s_delay_alu instid0(VALU_DEP_1) | instskip(NEXT) | instid1(VALU_DEP_1)
	v_and_b32_e32 v3, 0xffff, v1
	v_mov_b32_dpp v4, v3 row_shr:1 row_mask:0xf bank_mask:0xf
	s_delay_alu instid0(VALU_DEP_1) | instskip(SKIP_1) | instid1(VALU_DEP_2)
	v_cndmask_b32_e32 v4, 0, v4, vcc_lo
	v_cmp_eq_u32_e32 vcc_lo, 0, v5
	v_add_nc_u16 v4, v4, v1
	v_cndmask_b32_e64 v20, v20, 0, vcc_lo
	s_delay_alu instid0(VALU_DEP_2) | instskip(SKIP_1) | instid1(VALU_DEP_2)
	v_and_b32_e32 v21, 0xffff, v4
	v_cndmask_b32_e32 v1, v4, v1, vcc_lo
	v_dual_cndmask_b32 v3, v21, v3 :: v_dual_add_nc_u32 v2, v20, v2
	s_delay_alu instid0(VALU_DEP_1) | instskip(NEXT) | instid1(VALU_DEP_2)
	v_cmp_eq_u32_e32 vcc_lo, 0, v2
	v_mov_b32_dpp v20, v3 row_shr:2 row_mask:0xf bank_mask:0xf
	s_delay_alu instid0(VALU_DEP_1) | instskip(SKIP_2) | instid1(VALU_DEP_3)
	v_cndmask_b32_e32 v4, 0, v20, vcc_lo
	v_mov_b32_dpp v20, v2 row_shr:2 row_mask:0xf bank_mask:0xf
	v_cmp_lt_u32_e32 vcc_lo, 1, v5
	v_add_nc_u16 v4, v4, v1
	s_delay_alu instid0(VALU_DEP_1) | instskip(SKIP_1) | instid1(VALU_DEP_2)
	v_and_b32_e32 v21, 0xffff, v4
	v_cndmask_b32_e32 v1, v1, v4, vcc_lo
	v_dual_cndmask_b32 v4, 0, v20 :: v_dual_cndmask_b32 v3, v3, v21
	s_delay_alu instid0(VALU_DEP_1) | instskip(NEXT) | instid1(VALU_DEP_2)
	v_add_nc_u32_e32 v2, v2, v4
	v_mov_b32_dpp v4, v3 row_shr:4 row_mask:0xf bank_mask:0xf
	s_delay_alu instid0(VALU_DEP_2) | instskip(SKIP_1) | instid1(VALU_DEP_3)
	v_cmp_eq_u32_e32 vcc_lo, 0, v2
	v_mov_b32_dpp v20, v2 row_shr:4 row_mask:0xf bank_mask:0xf
	v_cndmask_b32_e32 v4, 0, v4, vcc_lo
	v_cmp_lt_u32_e32 vcc_lo, 3, v5
	s_delay_alu instid0(VALU_DEP_2) | instskip(NEXT) | instid1(VALU_DEP_1)
	v_add_nc_u16 v4, v4, v1
	v_and_b32_e32 v21, 0xffff, v4
	v_cndmask_b32_e32 v1, v1, v4, vcc_lo
	s_delay_alu instid0(VALU_DEP_2) | instskip(NEXT) | instid1(VALU_DEP_1)
	v_dual_cndmask_b32 v4, 0, v20 :: v_dual_cndmask_b32 v3, v3, v21
	v_add_nc_u32_e32 v2, v4, v2
	s_delay_alu instid0(VALU_DEP_2) | instskip(NEXT) | instid1(VALU_DEP_2)
	v_mov_b32_dpp v4, v3 row_shr:8 row_mask:0xf bank_mask:0xf
	v_cmp_eq_u32_e32 vcc_lo, 0, v2
	v_mov_b32_dpp v20, v2 row_shr:8 row_mask:0xf bank_mask:0xf
	s_delay_alu instid0(VALU_DEP_3) | instskip(SKIP_1) | instid1(VALU_DEP_2)
	v_cndmask_b32_e32 v4, 0, v4, vcc_lo
	v_cmp_lt_u32_e32 vcc_lo, 7, v5
	v_add_nc_u16 v4, v4, v1
	s_delay_alu instid0(VALU_DEP_4) | instskip(SKIP_1) | instid1(VALU_DEP_3)
	v_cndmask_b32_e32 v5, 0, v20, vcc_lo
	v_bfe_i32 v20, v84, 4, 1
	v_cndmask_b32_e32 v1, v1, v4, vcc_lo
	v_and_b32_e32 v4, 0xffff, v4
	s_delay_alu instid0(VALU_DEP_4) | instskip(SKIP_1) | instid1(VALU_DEP_3)
	v_add_nc_u32_e32 v2, v5, v2
	v_and_b32_e32 v5, 16, v84
	v_cndmask_b32_e32 v3, v3, v4, vcc_lo
	ds_swizzle_b32 v4, v2 offset:swizzle(BROADCAST,32,15)
	v_cmp_ne_u32_e32 vcc_lo, 0, v5
	v_cmp_eq_u32_e64 s14, 0, v2
	ds_swizzle_b32 v3, v3 offset:swizzle(BROADCAST,32,15)
	s_and_b32 vcc_lo, vcc_lo, s14
	s_mov_b32 s14, exec_lo
	s_waitcnt lgkmcnt(0)
	v_dual_cndmask_b32 v3, 0, v3 :: v_dual_and_b32 v4, v20, v4
	s_delay_alu instid0(VALU_DEP_1) | instskip(NEXT) | instid1(VALU_DEP_2)
	v_add_nc_u32_e32 v2, v4, v2
	v_add_nc_u16 v1, v3, v1
	v_lshlrev_b32_e32 v3, 3, v85
	v_cmpx_eq_u32_e64 v86, v0
	s_cbranch_execz .LBB1091_81
; %bb.80:
	ds_store_b32 v3, v2 offset:2064
	ds_store_b16 v3, v1 offset:2068
.LBB1091_81:
	s_or_b32 exec_lo, exec_lo, s14
	s_delay_alu instid0(SALU_CYCLE_1)
	s_mov_b32 s15, exec_lo
	s_waitcnt lgkmcnt(0)
	s_barrier
	buffer_gl0_inv
	v_cmpx_gt_u32_e32 8, v0
	s_cbranch_execz .LBB1091_83
; %bb.82:
	v_lshlrev_b32_e32 v20, 3, v0
	ds_load_b64 v[4:5], v20 offset:2064
	s_waitcnt lgkmcnt(0)
	v_mov_b32_dpp v21, v5 row_shr:1 row_mask:0xf bank_mask:0xf
	v_cmp_eq_u32_e32 vcc_lo, 0, v4
	v_and_b32_e32 v22, 0xffff0000, v5
	v_mov_b32_dpp v25, v4 row_shr:1 row_mask:0xf bank_mask:0xf
	s_delay_alu instid0(VALU_DEP_4) | instskip(NEXT) | instid1(VALU_DEP_1)
	v_cndmask_b32_e32 v21, 0, v21, vcc_lo
	v_add_nc_u16 v21, v21, v5
	s_delay_alu instid0(VALU_DEP_1) | instskip(NEXT) | instid1(VALU_DEP_1)
	v_and_b32_e32 v23, 0xffff, v21
	v_or_b32_e32 v23, v22, v23
	v_and_b32_e32 v24, 7, v84
	s_delay_alu instid0(VALU_DEP_1) | instskip(NEXT) | instid1(VALU_DEP_3)
	v_cmp_eq_u32_e32 vcc_lo, 0, v24
	v_cndmask_b32_e32 v23, v23, v5, vcc_lo
	v_cndmask_b32_e64 v25, v25, 0, vcc_lo
	v_cndmask_b32_e32 v5, v21, v5, vcc_lo
	v_cmp_lt_u32_e64 s14, 3, v24
	s_delay_alu instid0(VALU_DEP_3) | instskip(SKIP_1) | instid1(VALU_DEP_2)
	v_add_nc_u32_e32 v4, v25, v4
	v_mov_b32_dpp v25, v23 row_shr:2 row_mask:0xf bank_mask:0xf
	v_cmp_eq_u32_e32 vcc_lo, 0, v4
	s_delay_alu instid0(VALU_DEP_2) | instskip(SKIP_2) | instid1(VALU_DEP_3)
	v_cndmask_b32_e32 v21, 0, v25, vcc_lo
	v_mov_b32_dpp v25, v4 row_shr:2 row_mask:0xf bank_mask:0xf
	v_cmp_lt_u32_e32 vcc_lo, 1, v24
	v_add_nc_u16 v21, v21, v5
	s_delay_alu instid0(VALU_DEP_1) | instskip(SKIP_2) | instid1(VALU_DEP_3)
	v_and_b32_e32 v26, 0xffff, v21
	v_cndmask_b32_e32 v5, v5, v21, vcc_lo
	v_cndmask_b32_e32 v21, 0, v25, vcc_lo
	v_or_b32_e32 v22, v22, v26
	s_delay_alu instid0(VALU_DEP_1) | instskip(NEXT) | instid1(VALU_DEP_1)
	v_dual_cndmask_b32 v21, v23, v22 :: v_dual_add_nc_u32 v4, v21, v4
	v_cmp_eq_u32_e32 vcc_lo, 0, v4
	s_delay_alu instid0(VALU_DEP_2) | instskip(SKIP_1) | instid1(VALU_DEP_1)
	v_mov_b32_dpp v21, v21 row_shr:4 row_mask:0xf bank_mask:0xf
	s_and_b32 vcc_lo, s14, vcc_lo
	v_cndmask_b32_e32 v21, 0, v21, vcc_lo
	v_mov_b32_dpp v22, v4 row_shr:4 row_mask:0xf bank_mask:0xf
	s_delay_alu instid0(VALU_DEP_2) | instskip(NEXT) | instid1(VALU_DEP_2)
	v_add_nc_u16 v5, v5, v21
	v_cndmask_b32_e64 v22, 0, v22, s14
	s_delay_alu instid0(VALU_DEP_1)
	v_add_nc_u32_e32 v4, v22, v4
	ds_store_b32 v20, v4 offset:2064
	ds_store_b16 v20, v5 offset:2068
.LBB1091_83:
	s_or_b32 exec_lo, exec_lo, s15
	v_cmp_gt_u32_e32 vcc_lo, 32, v0
	v_dual_mov_b32 v25, 0 :: v_dual_mov_b32 v24, 0
	s_mov_b32 s15, exec_lo
	s_waitcnt lgkmcnt(0)
	s_barrier
	buffer_gl0_inv
	v_cmpx_lt_u32_e32 31, v0
	s_cbranch_execz .LBB1091_85
; %bb.84:
	ds_load_u16 v24, v3 offset:2060
	ds_load_b32 v25, v3 offset:2056
	v_cmp_eq_u32_e64 s14, 0, v2
	s_waitcnt lgkmcnt(1)
	s_delay_alu instid0(VALU_DEP_1) | instskip(SKIP_2) | instid1(VALU_DEP_2)
	v_cndmask_b32_e64 v3, 0, v24, s14
	s_waitcnt lgkmcnt(0)
	v_add_nc_u32_e32 v2, v25, v2
	v_add_nc_u16 v1, v3, v1
.LBB1091_85:
	s_or_b32 exec_lo, exec_lo, s15
	v_add_nc_u32_e32 v3, -1, v84
	s_delay_alu instid0(VALU_DEP_2) | instskip(NEXT) | instid1(VALU_DEP_2)
	v_and_b32_e32 v1, 0xffff, v1
	v_cmp_gt_i32_e64 s14, 0, v3
	s_delay_alu instid0(VALU_DEP_1) | instskip(SKIP_1) | instid1(VALU_DEP_2)
	v_cndmask_b32_e64 v3, v3, v84, s14
	v_cmp_eq_u32_e64 s14, 0, v84
	v_lshlrev_b32_e32 v3, 2, v3
	ds_bpermute_b32 v26, v3, v2
	ds_bpermute_b32 v27, v3, v1
	s_and_saveexec_b32 s22, vcc_lo
	s_cbranch_execz .LBB1091_103
; %bb.86:
	v_mov_b32_e32 v4, 0
	ds_load_b64 v[1:2], v4 offset:2120
	s_waitcnt lgkmcnt(0)
	v_readfirstlane_b32 s23, v2
	s_and_saveexec_b32 s15, s14
	s_cbranch_execz .LBB1091_88
; %bb.87:
	s_add_i32 s24, s33, 32
	s_mov_b32 s25, 0
	v_mov_b32_e32 v3, 1
	s_lshl_b64 s[34:35], s[24:25], 4
	s_mov_b32 s36, s25
	s_add_u32 s34, s20, s34
	s_addc_u32 s35, s21, s35
	s_and_b32 s37, s23, 0xff000000
	s_and_b32 s41, s23, 0xff0000
	s_mov_b32 s40, s25
	v_dual_mov_b32 v20, s34 :: v_dual_mov_b32 v21, s35
	s_or_b64 s[36:37], s[40:41], s[36:37]
	s_and_b32 s41, s23, 0xff00
	s_delay_alu instid0(SALU_CYCLE_1) | instskip(SKIP_1) | instid1(SALU_CYCLE_1)
	s_or_b64 s[36:37], s[36:37], s[40:41]
	s_and_b32 s41, s23, 0xff
	s_or_b64 s[24:25], s[36:37], s[40:41]
	s_delay_alu instid0(SALU_CYCLE_1)
	v_mov_b32_e32 v2, s25
	;;#ASMSTART
	global_store_dwordx4 v[20:21], v[1:4] off	
s_waitcnt vmcnt(0)
	;;#ASMEND
.LBB1091_88:
	s_or_b32 exec_lo, exec_lo, s15
	v_xad_u32 v20, v84, -1, s33
	s_mov_b32 s24, 0
	s_mov_b32 s15, exec_lo
	s_delay_alu instid0(VALU_DEP_1) | instskip(NEXT) | instid1(VALU_DEP_1)
	v_add_nc_u32_e32 v3, 32, v20
	v_lshlrev_b64 v[2:3], 4, v[3:4]
	s_delay_alu instid0(VALU_DEP_1) | instskip(NEXT) | instid1(VALU_DEP_2)
	v_add_co_u32 v21, vcc_lo, s20, v2
	v_add_co_ci_u32_e32 v22, vcc_lo, s21, v3, vcc_lo
	;;#ASMSTART
	global_load_dwordx4 v[2:5], v[21:22] off glc	
s_waitcnt vmcnt(0)
	;;#ASMEND
	v_and_b32_e32 v5, 0xffffff, v2
	v_and_b32_e32 v2, 0xff000000, v2
	;; [unrolled: 1-line block ×4, first 2 shown]
	s_delay_alu instid0(VALU_DEP_3) | instskip(SKIP_1) | instid1(VALU_DEP_3)
	v_or_b32_e32 v2, v5, v2
	v_and_b32_e32 v5, 0xff, v4
	v_or3_b32 v3, 0, v23, v3
	s_delay_alu instid0(VALU_DEP_3) | instskip(NEXT) | instid1(VALU_DEP_3)
	v_or3_b32 v2, v2, 0, 0
	v_cmpx_eq_u16_e32 0, v5
	s_cbranch_execz .LBB1091_91
.LBB1091_89:                            ; =>This Inner Loop Header: Depth=1
	;;#ASMSTART
	global_load_dwordx4 v[2:5], v[21:22] off glc	
s_waitcnt vmcnt(0)
	;;#ASMEND
	v_and_b32_e32 v5, 0xff, v4
	s_delay_alu instid0(VALU_DEP_1) | instskip(SKIP_1) | instid1(SALU_CYCLE_1)
	v_cmp_ne_u16_e32 vcc_lo, 0, v5
	s_or_b32 s24, vcc_lo, s24
	s_and_not1_b32 exec_lo, exec_lo, s24
	s_cbranch_execnz .LBB1091_89
; %bb.90:
	s_or_b32 exec_lo, exec_lo, s24
	v_and_b32_e32 v3, 0xffff, v3
.LBB1091_91:
	s_or_b32 exec_lo, exec_lo, s15
	v_cmp_ne_u32_e32 vcc_lo, 31, v84
	v_and_b32_e32 v21, 0xff, v4
	v_lshlrev_b32_e64 v29, v84, -1
	v_cmp_eq_u32_e64 s15, 0, v2
	v_add_nc_u32_e32 v37, 8, v84
	v_add_co_ci_u32_e32 v5, vcc_lo, 0, v84, vcc_lo
	v_cmp_eq_u16_e32 vcc_lo, 2, v21
	v_add_nc_u32_e32 v39, 16, v84
	v_and_or_b32 v21, vcc_lo, v29, 0x80000000
	v_cmp_gt_u32_e32 vcc_lo, 30, v84
	s_delay_alu instid0(VALU_DEP_2) | instskip(SKIP_1) | instid1(VALU_DEP_2)
	v_ctz_i32_b32_e32 v21, v21
	v_cndmask_b32_e64 v22, 0, 1, vcc_lo
	v_cmp_lt_u32_e32 vcc_lo, v84, v21
	v_lshlrev_b32_e32 v28, 2, v5
	ds_bpermute_b32 v5, v28, v3
	s_waitcnt lgkmcnt(0)
	v_cndmask_b32_e64 v5, 0, v5, s15
	s_delay_alu instid0(VALU_DEP_1) | instskip(SKIP_1) | instid1(VALU_DEP_2)
	v_add_nc_u16 v5, v5, v3
	v_lshlrev_b32_e32 v22, 1, v22
	v_and_b32_e32 v31, 0xffff, v5
	v_cndmask_b32_e32 v5, v3, v5, vcc_lo
	s_delay_alu instid0(VALU_DEP_3) | instskip(NEXT) | instid1(VALU_DEP_3)
	v_add_lshl_u32 v30, v22, v84, 2
	v_cndmask_b32_e32 v3, v3, v31, vcc_lo
	ds_bpermute_b32 v23, v28, v2
	v_add_nc_u32_e32 v31, 2, v84
	ds_bpermute_b32 v22, v30, v3
	s_waitcnt lgkmcnt(1)
	v_cndmask_b32_e32 v23, 0, v23, vcc_lo
	s_delay_alu instid0(VALU_DEP_1) | instskip(NEXT) | instid1(VALU_DEP_1)
	v_add_nc_u32_e32 v2, v23, v2
	v_cmp_eq_u32_e32 vcc_lo, 0, v2
	s_waitcnt lgkmcnt(0)
	v_cndmask_b32_e32 v22, 0, v22, vcc_lo
	v_cmp_gt_u32_e32 vcc_lo, 28, v84
	s_delay_alu instid0(VALU_DEP_2) | instskip(SKIP_2) | instid1(VALU_DEP_3)
	v_add_nc_u16 v22, v22, v5
	v_cndmask_b32_e64 v23, 0, 1, vcc_lo
	v_cmp_gt_u32_e32 vcc_lo, v31, v21
	v_and_b32_e32 v34, 0xffff, v22
	s_delay_alu instid0(VALU_DEP_3)
	v_lshlrev_b32_e32 v23, 2, v23
	v_cndmask_b32_e32 v5, v22, v5, vcc_lo
	ds_bpermute_b32 v33, v30, v2
	v_cndmask_b32_e32 v3, v34, v3, vcc_lo
	v_add_lshl_u32 v32, v23, v84, 2
	ds_bpermute_b32 v22, v32, v3
	s_waitcnt lgkmcnt(1)
	v_cndmask_b32_e64 v23, v33, 0, vcc_lo
	v_add_nc_u32_e32 v33, 4, v84
	s_delay_alu instid0(VALU_DEP_2) | instskip(NEXT) | instid1(VALU_DEP_1)
	v_add_nc_u32_e32 v2, v2, v23
	v_cmp_eq_u32_e32 vcc_lo, 0, v2
	ds_bpermute_b32 v35, v32, v2
	s_waitcnt lgkmcnt(1)
	v_cndmask_b32_e32 v22, 0, v22, vcc_lo
	v_cmp_gt_u32_e32 vcc_lo, 24, v84
	s_delay_alu instid0(VALU_DEP_2) | instskip(SKIP_2) | instid1(VALU_DEP_3)
	v_add_nc_u16 v22, v5, v22
	v_cndmask_b32_e64 v23, 0, 1, vcc_lo
	v_cmp_gt_u32_e32 vcc_lo, v33, v21
	v_and_b32_e32 v36, 0xffff, v22
	s_delay_alu instid0(VALU_DEP_3) | instskip(SKIP_1) | instid1(VALU_DEP_2)
	v_lshlrev_b32_e32 v23, 3, v23
	v_cndmask_b32_e32 v5, v22, v5, vcc_lo
	v_add_lshl_u32 v34, v23, v84, 2
	s_waitcnt lgkmcnt(0)
	v_cndmask_b32_e64 v23, v35, 0, vcc_lo
	s_delay_alu instid0(VALU_DEP_1)
	v_add_nc_u32_e32 v2, v2, v23
	v_cndmask_b32_e32 v3, v36, v3, vcc_lo
	ds_bpermute_b32 v23, v34, v2
	ds_bpermute_b32 v22, v34, v3
	v_cmp_eq_u32_e32 vcc_lo, 0, v2
	s_waitcnt lgkmcnt(0)
	v_cndmask_b32_e32 v22, 0, v22, vcc_lo
	v_cmp_gt_u32_e32 vcc_lo, 16, v84
	s_delay_alu instid0(VALU_DEP_2) | instskip(SKIP_2) | instid1(VALU_DEP_3)
	v_add_nc_u16 v22, v5, v22
	v_cndmask_b32_e64 v35, 0, 1, vcc_lo
	v_cmp_gt_u32_e32 vcc_lo, v37, v21
	v_and_b32_e32 v36, 0xffff, v22
	s_delay_alu instid0(VALU_DEP_3) | instskip(SKIP_2) | instid1(VALU_DEP_3)
	v_lshlrev_b32_e32 v35, 4, v35
	v_cndmask_b32_e32 v5, v22, v5, vcc_lo
	v_cndmask_b32_e64 v22, v23, 0, vcc_lo
	v_add_lshl_u32 v38, v35, v84, 2
	s_delay_alu instid0(VALU_DEP_2)
	v_dual_cndmask_b32 v3, v36, v3 :: v_dual_add_nc_u32 v2, v2, v22
	ds_bpermute_b32 v22, v38, v2
	ds_bpermute_b32 v3, v38, v3
	v_cmp_eq_u32_e32 vcc_lo, 0, v2
	s_waitcnt lgkmcnt(0)
	v_cndmask_b32_e32 v3, 0, v3, vcc_lo
	v_cmp_gt_u32_e32 vcc_lo, v39, v21
	s_delay_alu instid0(VALU_DEP_2) | instskip(SKIP_1) | instid1(VALU_DEP_1)
	v_cndmask_b32_e64 v3, v3, 0, vcc_lo
	v_cndmask_b32_e64 v21, v22, 0, vcc_lo
	v_add_nc_u32_e32 v2, v21, v2
	s_delay_alu instid0(VALU_DEP_3)
	v_add_nc_u16 v3, v5, v3
	v_mov_b32_e32 v21, 0
	s_branch .LBB1091_93
.LBB1091_92:                            ;   in Loop: Header=BB1091_93 Depth=1
	s_or_b32 exec_lo, exec_lo, s15
	ds_bpermute_b32 v5, v28, v3
	v_cmp_eq_u32_e64 s15, 0, v2
	ds_bpermute_b32 v23, v28, v2
	v_subrev_nc_u32_e32 v20, 32, v20
	s_waitcnt lgkmcnt(1)
	v_cndmask_b32_e64 v5, 0, v5, s15
	s_delay_alu instid0(VALU_DEP_1) | instskip(SKIP_1) | instid1(VALU_DEP_1)
	v_add_nc_u16 v5, v5, v3
	v_and_b32_e32 v22, 0xff, v4
	v_cmp_eq_u16_e32 vcc_lo, 2, v22
	v_and_or_b32 v22, vcc_lo, v29, 0x80000000
	s_delay_alu instid0(VALU_DEP_1) | instskip(NEXT) | instid1(VALU_DEP_1)
	v_ctz_i32_b32_e32 v22, v22
	v_cmp_lt_u32_e32 vcc_lo, v84, v22
	s_waitcnt lgkmcnt(0)
	v_dual_cndmask_b32 v23, 0, v23 :: v_dual_and_b32 v40, 0xffff, v5
	v_cndmask_b32_e32 v5, v3, v5, vcc_lo
	s_delay_alu instid0(VALU_DEP_2) | instskip(SKIP_2) | instid1(VALU_DEP_1)
	v_cndmask_b32_e32 v3, v3, v40, vcc_lo
	ds_bpermute_b32 v40, v30, v3
	v_add_nc_u32_e32 v2, v23, v2
	v_cmp_eq_u32_e32 vcc_lo, 0, v2
	s_waitcnt lgkmcnt(0)
	v_cndmask_b32_e32 v23, 0, v40, vcc_lo
	ds_bpermute_b32 v40, v30, v2
	v_cmp_gt_u32_e32 vcc_lo, v31, v22
	v_add_nc_u16 v23, v23, v5
	s_delay_alu instid0(VALU_DEP_1) | instskip(SKIP_2) | instid1(VALU_DEP_1)
	v_and_b32_e32 v41, 0xffff, v23
	s_waitcnt lgkmcnt(0)
	v_cndmask_b32_e64 v40, v40, 0, vcc_lo
	v_dual_cndmask_b32 v5, v23, v5 :: v_dual_add_nc_u32 v2, v2, v40
	s_delay_alu instid0(VALU_DEP_3)
	v_cndmask_b32_e32 v3, v41, v3, vcc_lo
	ds_bpermute_b32 v40, v32, v2
	ds_bpermute_b32 v23, v32, v3
	v_cmp_eq_u32_e32 vcc_lo, 0, v2
	s_waitcnt lgkmcnt(0)
	v_cndmask_b32_e32 v23, 0, v23, vcc_lo
	v_cmp_gt_u32_e32 vcc_lo, v33, v22
	s_delay_alu instid0(VALU_DEP_2) | instskip(SKIP_1) | instid1(VALU_DEP_2)
	v_add_nc_u16 v23, v5, v23
	v_cndmask_b32_e64 v40, v40, 0, vcc_lo
	v_and_b32_e32 v41, 0xffff, v23
	s_delay_alu instid0(VALU_DEP_2) | instskip(NEXT) | instid1(VALU_DEP_2)
	v_dual_cndmask_b32 v5, v23, v5 :: v_dual_add_nc_u32 v2, v2, v40
	v_cndmask_b32_e32 v3, v41, v3, vcc_lo
	s_delay_alu instid0(VALU_DEP_2)
	v_cmp_eq_u32_e32 vcc_lo, 0, v2
	ds_bpermute_b32 v40, v34, v2
	ds_bpermute_b32 v23, v34, v3
	s_waitcnt lgkmcnt(0)
	v_cndmask_b32_e32 v23, 0, v23, vcc_lo
	v_cmp_gt_u32_e32 vcc_lo, v37, v22
	s_delay_alu instid0(VALU_DEP_2) | instskip(NEXT) | instid1(VALU_DEP_1)
	v_add_nc_u16 v23, v5, v23
	v_and_b32_e32 v41, 0xffff, v23
	v_cndmask_b32_e32 v5, v23, v5, vcc_lo
	v_cndmask_b32_e64 v23, v40, 0, vcc_lo
	s_delay_alu instid0(VALU_DEP_3) | instskip(NEXT) | instid1(VALU_DEP_2)
	v_cndmask_b32_e32 v3, v41, v3, vcc_lo
	v_add_nc_u32_e32 v2, v2, v23
	ds_bpermute_b32 v3, v38, v3
	ds_bpermute_b32 v23, v38, v2
	v_cmp_eq_u32_e32 vcc_lo, 0, v2
	s_waitcnt lgkmcnt(1)
	v_cndmask_b32_e32 v3, 0, v3, vcc_lo
	v_cmp_gt_u32_e32 vcc_lo, v39, v22
	s_delay_alu instid0(VALU_DEP_2) | instskip(NEXT) | instid1(VALU_DEP_1)
	v_cndmask_b32_e64 v3, v3, 0, vcc_lo
	v_add_nc_u16 v3, v5, v3
	s_waitcnt lgkmcnt(0)
	v_cndmask_b32_e64 v5, v23, 0, vcc_lo
	v_cmp_eq_u32_e32 vcc_lo, 0, v36
	s_delay_alu instid0(VALU_DEP_2) | instskip(SKIP_1) | instid1(VALU_DEP_1)
	v_add3_u32 v2, v2, v36, v5
	v_cndmask_b32_e32 v3, 0, v3, vcc_lo
	v_add_nc_u16 v3, v3, v35
.LBB1091_93:                            ; =>This Loop Header: Depth=1
                                        ;     Child Loop BB1091_96 Depth 2
	s_delay_alu instid0(VALU_DEP_1) | instskip(NEXT) | instid1(VALU_DEP_4)
	v_dual_mov_b32 v35, v3 :: v_dual_and_b32 v4, 0xff, v4
	v_mov_b32_e32 v36, v2
	s_delay_alu instid0(VALU_DEP_2) | instskip(SKIP_2) | instid1(VALU_DEP_1)
	v_cmp_ne_u16_e32 vcc_lo, 2, v4
	v_cndmask_b32_e64 v4, 0, 1, vcc_lo
	;;#ASMSTART
	;;#ASMEND
	v_cmp_ne_u32_e32 vcc_lo, 0, v4
	s_cmp_lg_u32 vcc_lo, exec_lo
	s_cbranch_scc1 .LBB1091_98
; %bb.94:                               ;   in Loop: Header=BB1091_93 Depth=1
	v_lshlrev_b64 v[2:3], 4, v[20:21]
	s_mov_b32 s15, exec_lo
	s_delay_alu instid0(VALU_DEP_1) | instskip(NEXT) | instid1(VALU_DEP_2)
	v_add_co_u32 v22, vcc_lo, s20, v2
	v_add_co_ci_u32_e32 v23, vcc_lo, s21, v3, vcc_lo
	;;#ASMSTART
	global_load_dwordx4 v[2:5], v[22:23] off glc	
s_waitcnt vmcnt(0)
	;;#ASMEND
	v_and_b32_e32 v5, 0xffffff, v2
	v_and_b32_e32 v2, 0xff000000, v2
	;; [unrolled: 1-line block ×4, first 2 shown]
	s_delay_alu instid0(VALU_DEP_3) | instskip(SKIP_1) | instid1(VALU_DEP_3)
	v_or_b32_e32 v2, v5, v2
	v_and_b32_e32 v5, 0xff, v4
	v_or3_b32 v3, 0, v40, v3
	s_delay_alu instid0(VALU_DEP_3) | instskip(NEXT) | instid1(VALU_DEP_3)
	v_or3_b32 v2, v2, 0, 0
	v_cmpx_eq_u16_e32 0, v5
	s_cbranch_execz .LBB1091_92
; %bb.95:                               ;   in Loop: Header=BB1091_93 Depth=1
	s_mov_b32 s24, 0
.LBB1091_96:                            ;   Parent Loop BB1091_93 Depth=1
                                        ; =>  This Inner Loop Header: Depth=2
	;;#ASMSTART
	global_load_dwordx4 v[2:5], v[22:23] off glc	
s_waitcnt vmcnt(0)
	;;#ASMEND
	v_and_b32_e32 v5, 0xff, v4
	s_delay_alu instid0(VALU_DEP_1) | instskip(SKIP_1) | instid1(SALU_CYCLE_1)
	v_cmp_ne_u16_e32 vcc_lo, 0, v5
	s_or_b32 s24, vcc_lo, s24
	s_and_not1_b32 exec_lo, exec_lo, s24
	s_cbranch_execnz .LBB1091_96
; %bb.97:                               ;   in Loop: Header=BB1091_93 Depth=1
	s_or_b32 exec_lo, exec_lo, s24
	v_and_b32_e32 v3, 0xffff, v3
	s_branch .LBB1091_92
.LBB1091_98:                            ;   in Loop: Header=BB1091_93 Depth=1
                                        ; implicit-def: $vgpr3
                                        ; implicit-def: $vgpr2
                                        ; implicit-def: $vgpr4
	s_cbranch_execz .LBB1091_93
; %bb.99:
	s_and_saveexec_b32 s15, s14
	s_cbranch_execz .LBB1091_101
; %bb.100:
	v_cmp_eq_u32_e32 vcc_lo, 0, v1
	s_mov_b32 s25, 0
	s_add_i32 s24, s33, 32
	v_add_nc_u32_e64 v22, 0x800, 0
	s_lshl_b64 s[24:25], s[24:25], 4
	v_dual_cndmask_b32 v2, 0, v35 :: v_dual_mov_b32 v5, 0
	s_add_u32 s24, s20, s24
	s_addc_u32 s25, s21, s25
	v_mov_b32_e32 v4, 2
	s_delay_alu instid0(VALU_DEP_2) | instskip(SKIP_1) | instid1(VALU_DEP_2)
	v_add_nc_u16 v3, v2, s23
	v_dual_mov_b32 v23, s23 :: v_dual_add_nc_u32 v2, v36, v1
	v_and_b32_e32 v20, 0xff00, v3
	v_and_b32_e32 v3, 0xff, v3
	s_delay_alu instid0(VALU_DEP_1)
	v_or_b32_e32 v3, v20, v3
	v_dual_mov_b32 v20, s24 :: v_dual_mov_b32 v21, s25
	;;#ASMSTART
	global_store_dwordx4 v[20:21], v[2:5] off	
s_waitcnt vmcnt(0)
	;;#ASMEND
	ds_store_2addr_b32 v22, v1, v36 offset1:2
	ds_store_b16 v5, v23 offset:2052
	ds_store_b16 v5, v35 offset:2060
.LBB1091_101:
	s_or_b32 exec_lo, exec_lo, s15
	s_delay_alu instid0(SALU_CYCLE_1)
	s_and_b32 exec_lo, exec_lo, s2
	s_cbranch_execz .LBB1091_103
; %bb.102:
	v_mov_b32_e32 v1, 0
	ds_store_b32 v1, v36 offset:2120
	ds_store_b16 v1, v35 offset:2124
.LBB1091_103:
	s_or_b32 exec_lo, exec_lo, s22
	s_waitcnt lgkmcnt(1)
	v_cndmask_b32_e64 v4, v26, v25, s14
	s_waitcnt lgkmcnt(0)
	s_barrier
	buffer_gl0_inv
	v_cndmask_b32_e64 v5, v27, v24, s14
	v_cmp_eq_u32_e32 vcc_lo, 0, v4
	v_mov_b32_e32 v3, 0
	v_cndmask_b32_e64 v4, v4, 0, s2
	ds_load_b64 v[1:2], v3 offset:2120
	s_waitcnt lgkmcnt(0)
	s_barrier
	buffer_gl0_inv
	v_cndmask_b32_e32 v20, 0, v2, vcc_lo
	v_cmp_eq_u32_e32 vcc_lo, 0, v83
	v_add_nc_u32_e32 v48, v1, v4
	s_delay_alu instid0(VALU_DEP_3) | instskip(NEXT) | instid1(VALU_DEP_2)
	v_add_nc_u16 v5, v20, v5
	v_add_nc_u32_e32 v44, v48, v83
	s_delay_alu instid0(VALU_DEP_2) | instskip(NEXT) | instid1(VALU_DEP_2)
	v_cndmask_b32_e64 v20, v5, v2, s2
	v_add_nc_u32_e32 v42, v44, v66
	s_delay_alu instid0(VALU_DEP_2) | instskip(SKIP_1) | instid1(VALU_DEP_3)
	v_cndmask_b32_e32 v2, 0, v20, vcc_lo
	v_and_b32_e32 v49, 0xffff, v20
	v_add_nc_u32_e32 v40, v42, v65
	s_delay_alu instid0(VALU_DEP_3) | instskip(NEXT) | instid1(VALU_DEP_2)
	v_add_nc_u16 v21, v2, v80
	v_add_nc_u32_e32 v28, v40, v64
	s_delay_alu instid0(VALU_DEP_2) | instskip(SKIP_1) | instid1(VALU_DEP_3)
	v_cndmask_b32_e64 v2, 0, v21, s13
	v_and_b32_e32 v45, 0xffff, v21
	v_add_nc_u32_e32 v26, v28, v63
	s_delay_alu instid0(VALU_DEP_3) | instskip(NEXT) | instid1(VALU_DEP_2)
	v_add_nc_u16 v22, v2, v79
	v_add_nc_u32_e32 v24, v26, v62
	s_delay_alu instid0(VALU_DEP_2) | instskip(SKIP_1) | instid1(VALU_DEP_3)
	v_cndmask_b32_e64 v2, 0, v22, s12
	;; [unrolled: 7-line block ×3, first 2 shown]
	v_and_b32_e32 v41, 0xffff, v23
	v_add_nc_u32_e32 v38, v50, v58
	s_delay_alu instid0(VALU_DEP_3) | instskip(NEXT) | instid1(VALU_DEP_2)
	v_add_nc_u16 v25, v2, v77
	v_add_nc_u32_e32 v36, v38, v57
	s_delay_alu instid0(VALU_DEP_2) | instskip(NEXT) | instid1(VALU_DEP_2)
	v_cndmask_b32_e64 v2, 0, v25, s10
	v_add_nc_u32_e32 v32, v36, v56
	s_delay_alu instid0(VALU_DEP_2) | instskip(NEXT) | instid1(VALU_DEP_2)
	v_add_nc_u16 v27, v2, v76
	v_add_nc_u32_e32 v34, v32, v55
	s_delay_alu instid0(VALU_DEP_2) | instskip(SKIP_1) | instid1(VALU_DEP_3)
	v_cndmask_b32_e64 v2, 0, v27, s9
	v_and_b32_e32 v27, 0xffff, v27
	v_add_nc_u32_e32 v30, v34, v54
	s_delay_alu instid0(VALU_DEP_3) | instskip(NEXT) | instid1(VALU_DEP_2)
	v_add_nc_u16 v31, v2, v75
	v_add_nc_u32_e32 v22, v30, v53
	s_delay_alu instid0(VALU_DEP_2) | instskip(NEXT) | instid1(VALU_DEP_1)
	v_cndmask_b32_e64 v1, 0, v31, s8
	v_add_nc_u16 v1, v1, v73
	s_delay_alu instid0(VALU_DEP_1) | instskip(SKIP_1) | instid1(VALU_DEP_2)
	v_cndmask_b32_e64 v2, 0, v1, s7
	v_and_b32_e32 v47, 0xffff, v1
	v_add_nc_u16 v33, v2, v71
	s_delay_alu instid0(VALU_DEP_1) | instskip(SKIP_1) | instid1(VALU_DEP_2)
	v_cndmask_b32_e64 v2, 0, v33, s6
	v_and_b32_e32 v51, 0xffff, v33
	;; [unrolled: 4-line block ×3, first 2 shown]
	v_add_nc_u16 v37, v2, v72
	ds_load_b128 v[2:5], v3 offset:2048
	v_cndmask_b32_e64 v29, 0, v37, s4
	v_and_b32_e32 v37, 0xffff, v37
	s_delay_alu instid0(VALU_DEP_2) | instskip(NEXT) | instid1(VALU_DEP_1)
	v_add_nc_u16 v82, v29, v70
	v_cndmask_b32_e64 v29, 0, v82, s3
	v_and_b32_e32 v33, 0xffff, v82
	s_delay_alu instid0(VALU_DEP_2) | instskip(SKIP_2) | instid1(VALU_DEP_2)
	v_add_nc_u16 v88, v29, v69
	s_waitcnt lgkmcnt(0)
	v_cmp_eq_u32_e32 vcc_lo, 0, v2
	v_cndmask_b32_e64 v29, 0, v88, s1
	v_cndmask_b32_e32 v5, 0, v5, vcc_lo
	v_and_b32_e32 v35, 0xffff, v88
	s_delay_alu instid0(VALU_DEP_3) | instskip(SKIP_3) | instid1(VALU_DEP_4)
	v_add_nc_u16 v20, v29, v68
	v_and_b32_e32 v29, 0xffff, v25
	v_and_b32_e32 v25, 0xffff, v31
	v_add_nc_u32_e32 v82, v5, v3
	v_cndmask_b32_e64 v21, 0, v20, s0
	v_and_b32_e32 v31, 0xffff, v20
	s_delay_alu instid0(VALU_DEP_2) | instskip(NEXT) | instid1(VALU_DEP_1)
	v_add_nc_u16 v1, v21, v67
	v_and_b32_e32 v23, 0xffff, v1
	s_branch .LBB1091_116
.LBB1091_104:
                                        ; implicit-def: $vgpr2
                                        ; implicit-def: $vgpr82
                                        ; implicit-def: $vgpr48_vgpr49
                                        ; implicit-def: $vgpr44_vgpr45
                                        ; implicit-def: $vgpr42_vgpr43
                                        ; implicit-def: $vgpr40_vgpr41
                                        ; implicit-def: $vgpr28_vgpr29
                                        ; implicit-def: $vgpr26_vgpr27
                                        ; implicit-def: $vgpr24_vgpr25
                                        ; implicit-def: $vgpr46_vgpr47
                                        ; implicit-def: $vgpr50_vgpr51
                                        ; implicit-def: $vgpr38_vgpr39
                                        ; implicit-def: $vgpr36_vgpr37
                                        ; implicit-def: $vgpr32_vgpr33
                                        ; implicit-def: $vgpr34_vgpr35
                                        ; implicit-def: $vgpr30_vgpr31
                                        ; implicit-def: $vgpr22_vgpr23
	s_cbranch_execz .LBB1091_116
; %bb.105:
	s_and_b32 s0, s16, exec_lo
	v_mov_b32_e32 v1, v80
	s_cselect_b32 s1, 0, s19
	s_cselect_b32 s0, 0, s18
	s_delay_alu instid0(SALU_CYCLE_1)
	s_cmp_eq_u64 s[0:1], 0
	s_cbranch_scc1 .LBB1091_107
; %bb.106:
	v_mov_b32_e32 v1, 0
	global_load_u16 v1, v1, s[0:1]
.LBB1091_107:
	v_cmp_eq_u32_e64 s12, 0, v66
	v_cmp_eq_u32_e64 s11, 0, v65
	v_cmp_eq_u32_e64 s10, 0, v64
	v_cmp_eq_u32_e64 s9, 0, v63
	v_cmp_eq_u32_e64 s7, 0, v62
	v_cndmask_b32_e64 v2, 0, v80, s12
	v_cmp_eq_u32_e64 s8, 0, v61
	v_cmp_eq_u32_e64 s6, 0, v60
	;; [unrolled: 1-line block ×4, first 2 shown]
	v_add_nc_u16 v2, v2, v79
	v_cmp_eq_u32_e64 s3, 0, v56
	v_cmp_eq_u32_e64 s1, 0, v55
	v_add3_u32 v3, v87, v62, v61
	v_cmp_eq_u32_e64 s0, 0, v54
	v_cndmask_b32_e64 v2, 0, v2, s11
	v_cmp_eq_u32_e32 vcc_lo, 0, v53
	v_cmp_eq_u32_e64 s13, 0, v59
	v_add3_u32 v3, v3, v60, v58
	v_and_b32_e32 v20, 15, v84
	v_add_nc_u16 v2, v2, v78
	s_delay_alu instid0(VALU_DEP_3) | instskip(NEXT) | instid1(VALU_DEP_2)
	v_add3_u32 v3, v3, v57, v56
	v_cndmask_b32_e64 v2, 0, v2, s10
	s_delay_alu instid0(VALU_DEP_2) | instskip(NEXT) | instid1(VALU_DEP_2)
	v_add3_u32 v3, v3, v55, v54
	v_add_nc_u16 v2, v2, v77
	s_delay_alu instid0(VALU_DEP_2) | instskip(NEXT) | instid1(VALU_DEP_2)
	v_add3_u32 v3, v3, v53, v59
	v_cndmask_b32_e64 v2, 0, v2, s9
	s_delay_alu instid0(VALU_DEP_2) | instskip(NEXT) | instid1(VALU_DEP_2)
	v_mov_b32_dpp v21, v3 row_shr:1 row_mask:0xf bank_mask:0xf
	v_add_nc_u16 v2, v2, v76
	s_delay_alu instid0(VALU_DEP_1) | instskip(NEXT) | instid1(VALU_DEP_1)
	v_cndmask_b32_e64 v2, 0, v2, s7
	v_add_nc_u16 v2, v2, v75
	s_delay_alu instid0(VALU_DEP_1) | instskip(NEXT) | instid1(VALU_DEP_1)
	v_cndmask_b32_e64 v2, 0, v2, s8
	;; [unrolled: 3-line block ×8, first 2 shown]
	v_add_nc_u16 v2, v2, v68
	s_delay_alu instid0(VALU_DEP_1) | instskip(NEXT) | instid1(VALU_DEP_1)
	v_cndmask_b32_e32 v2, 0, v2, vcc_lo
	v_add_nc_u16 v2, v2, v67
	s_delay_alu instid0(VALU_DEP_1) | instskip(SKIP_1) | instid1(VALU_DEP_2)
	v_cndmask_b32_e64 v2, 0, v2, s13
	v_cmp_eq_u32_e64 s13, 0, v3
	v_add_nc_u16 v2, v2, v81
	s_delay_alu instid0(VALU_DEP_1) | instskip(NEXT) | instid1(VALU_DEP_1)
	v_and_b32_e32 v4, 0xffff, v2
	v_mov_b32_dpp v5, v4 row_shr:1 row_mask:0xf bank_mask:0xf
	s_delay_alu instid0(VALU_DEP_1) | instskip(SKIP_1) | instid1(VALU_DEP_2)
	v_cndmask_b32_e64 v5, 0, v5, s13
	v_cmp_eq_u32_e64 s13, 0, v20
	v_add_nc_u16 v5, v5, v2
	s_delay_alu instid0(VALU_DEP_2) | instskip(NEXT) | instid1(VALU_DEP_2)
	v_cndmask_b32_e64 v21, v21, 0, s13
	v_and_b32_e32 v22, 0xffff, v5
	s_delay_alu instid0(VALU_DEP_2) | instskip(SKIP_1) | instid1(VALU_DEP_3)
	v_add_nc_u32_e32 v3, v21, v3
	v_cndmask_b32_e64 v2, v5, v2, s13
	v_cndmask_b32_e64 v4, v22, v4, s13
	s_delay_alu instid0(VALU_DEP_3) | instskip(NEXT) | instid1(VALU_DEP_2)
	v_cmp_eq_u32_e64 s13, 0, v3
	v_mov_b32_dpp v21, v4 row_shr:2 row_mask:0xf bank_mask:0xf
	s_delay_alu instid0(VALU_DEP_1) | instskip(SKIP_2) | instid1(VALU_DEP_3)
	v_cndmask_b32_e64 v5, 0, v21, s13
	v_mov_b32_dpp v21, v3 row_shr:2 row_mask:0xf bank_mask:0xf
	v_cmp_lt_u32_e64 s13, 1, v20
	v_add_nc_u16 v5, v5, v2
	s_delay_alu instid0(VALU_DEP_1) | instskip(NEXT) | instid1(VALU_DEP_3)
	v_and_b32_e32 v22, 0xffff, v5
	v_cndmask_b32_e64 v2, v2, v5, s13
	v_cndmask_b32_e64 v5, 0, v21, s13
	s_delay_alu instid0(VALU_DEP_3) | instskip(NEXT) | instid1(VALU_DEP_2)
	v_cndmask_b32_e64 v4, v4, v22, s13
	v_add_nc_u32_e32 v3, v3, v5
	s_delay_alu instid0(VALU_DEP_2) | instskip(NEXT) | instid1(VALU_DEP_2)
	v_mov_b32_dpp v5, v4 row_shr:4 row_mask:0xf bank_mask:0xf
	v_cmp_eq_u32_e64 s13, 0, v3
	v_mov_b32_dpp v21, v3 row_shr:4 row_mask:0xf bank_mask:0xf
	s_delay_alu instid0(VALU_DEP_2) | instskip(SKIP_1) | instid1(VALU_DEP_2)
	v_cndmask_b32_e64 v5, 0, v5, s13
	v_cmp_lt_u32_e64 s13, 3, v20
	v_add_nc_u16 v5, v5, v2
	s_delay_alu instid0(VALU_DEP_1) | instskip(NEXT) | instid1(VALU_DEP_3)
	v_and_b32_e32 v22, 0xffff, v5
	v_cndmask_b32_e64 v2, v2, v5, s13
	v_cndmask_b32_e64 v5, 0, v21, s13
	s_delay_alu instid0(VALU_DEP_3) | instskip(NEXT) | instid1(VALU_DEP_2)
	v_cndmask_b32_e64 v4, v4, v22, s13
	v_add_nc_u32_e32 v3, v5, v3
	s_delay_alu instid0(VALU_DEP_2) | instskip(NEXT) | instid1(VALU_DEP_2)
	v_mov_b32_dpp v5, v4 row_shr:8 row_mask:0xf bank_mask:0xf
	v_cmp_eq_u32_e64 s13, 0, v3
	v_mov_b32_dpp v21, v3 row_shr:8 row_mask:0xf bank_mask:0xf
	s_delay_alu instid0(VALU_DEP_2) | instskip(SKIP_1) | instid1(VALU_DEP_2)
	v_cndmask_b32_e64 v5, 0, v5, s13
	v_cmp_lt_u32_e64 s13, 7, v20
	v_add_nc_u16 v5, v5, v2
	s_delay_alu instid0(VALU_DEP_1) | instskip(SKIP_3) | instid1(VALU_DEP_3)
	v_cndmask_b32_e64 v20, v2, v5, s13
	v_cndmask_b32_e64 v2, 0, v21, s13
	v_and_b32_e32 v5, 0xffff, v5
	v_bfe_i32 v21, v84, 4, 1
	v_add_nc_u32_e32 v2, v2, v3
	s_delay_alu instid0(VALU_DEP_3)
	v_cndmask_b32_e64 v3, v4, v5, s13
	v_and_b32_e32 v5, 16, v84
	ds_swizzle_b32 v4, v2 offset:swizzle(BROADCAST,32,15)
	ds_swizzle_b32 v3, v3 offset:swizzle(BROADCAST,32,15)
	v_cmp_ne_u32_e64 s13, 0, v5
	v_cmp_eq_u32_e64 s14, 0, v2
	v_lshlrev_b32_e32 v5, 3, v85
	s_delay_alu instid0(VALU_DEP_2)
	s_and_b32 s13, s13, s14
	s_mov_b32 s14, exec_lo
	s_waitcnt lgkmcnt(1)
	v_and_b32_e32 v4, v21, v4
	s_waitcnt lgkmcnt(0)
	v_cndmask_b32_e64 v3, 0, v3, s13
	s_delay_alu instid0(VALU_DEP_2) | instskip(NEXT) | instid1(VALU_DEP_2)
	v_add_nc_u32_e32 v2, v4, v2
	v_add_nc_u16 v4, v3, v20
	v_cmpx_eq_u32_e64 v86, v0
	s_cbranch_execz .LBB1091_109
; %bb.108:
	ds_store_b32 v5, v2 offset:2064
	ds_store_b16 v5, v4 offset:2068
.LBB1091_109:
	s_or_b32 exec_lo, exec_lo, s14
	s_delay_alu instid0(SALU_CYCLE_1)
	s_mov_b32 s15, exec_lo
	s_waitcnt vmcnt(0) lgkmcnt(0)
	s_barrier
	buffer_gl0_inv
	v_cmpx_gt_u32_e32 8, v0
	s_cbranch_execz .LBB1091_111
; %bb.110:
	v_lshlrev_b32_e32 v3, 3, v0
	v_and_b32_e32 v25, 7, v84
	ds_load_b64 v[20:21], v3 offset:2064
	v_cmp_lt_u32_e64 s14, 3, v25
	s_waitcnt lgkmcnt(0)
	v_mov_b32_dpp v22, v21 row_shr:1 row_mask:0xf bank_mask:0xf
	v_cmp_eq_u32_e64 s13, 0, v20
	v_and_b32_e32 v23, 0xffff0000, v21
	v_mov_b32_dpp v26, v20 row_shr:1 row_mask:0xf bank_mask:0xf
	s_delay_alu instid0(VALU_DEP_3) | instskip(SKIP_1) | instid1(VALU_DEP_2)
	v_cndmask_b32_e64 v22, 0, v22, s13
	v_cmp_eq_u32_e64 s13, 0, v25
	v_add_nc_u16 v22, v22, v21
	s_delay_alu instid0(VALU_DEP_2) | instskip(NEXT) | instid1(VALU_DEP_2)
	v_cndmask_b32_e64 v26, v26, 0, s13
	v_and_b32_e32 v24, 0xffff, v22
	s_delay_alu instid0(VALU_DEP_2) | instskip(NEXT) | instid1(VALU_DEP_2)
	v_add_nc_u32_e32 v20, v26, v20
	v_or_b32_e32 v24, v23, v24
	s_delay_alu instid0(VALU_DEP_1) | instskip(SKIP_1) | instid1(VALU_DEP_4)
	v_cndmask_b32_e64 v24, v24, v21, s13
	v_cndmask_b32_e64 v21, v22, v21, s13
	v_cmp_eq_u32_e64 s13, 0, v20
	s_delay_alu instid0(VALU_DEP_3) | instskip(NEXT) | instid1(VALU_DEP_1)
	v_mov_b32_dpp v26, v24 row_shr:2 row_mask:0xf bank_mask:0xf
	v_cndmask_b32_e64 v22, 0, v26, s13
	v_mov_b32_dpp v26, v20 row_shr:2 row_mask:0xf bank_mask:0xf
	v_cmp_lt_u32_e64 s13, 1, v25
	s_delay_alu instid0(VALU_DEP_3) | instskip(NEXT) | instid1(VALU_DEP_1)
	v_add_nc_u16 v22, v22, v21
	v_and_b32_e32 v27, 0xffff, v22
	s_delay_alu instid0(VALU_DEP_3) | instskip(SKIP_1) | instid1(VALU_DEP_3)
	v_cndmask_b32_e64 v21, v21, v22, s13
	v_cndmask_b32_e64 v22, 0, v26, s13
	v_or_b32_e32 v23, v23, v27
	s_delay_alu instid0(VALU_DEP_2) | instskip(NEXT) | instid1(VALU_DEP_2)
	v_add_nc_u32_e32 v20, v22, v20
	v_cndmask_b32_e64 v22, v24, v23, s13
	s_delay_alu instid0(VALU_DEP_2) | instskip(SKIP_1) | instid1(VALU_DEP_3)
	v_cmp_eq_u32_e64 s13, 0, v20
	v_mov_b32_dpp v23, v20 row_shr:4 row_mask:0xf bank_mask:0xf
	v_mov_b32_dpp v22, v22 row_shr:4 row_mask:0xf bank_mask:0xf
	s_delay_alu instid0(VALU_DEP_3) | instskip(NEXT) | instid1(VALU_DEP_2)
	s_and_b32 s13, s14, s13
	v_cndmask_b32_e64 v23, 0, v23, s14
	s_delay_alu instid0(VALU_DEP_2) | instskip(NEXT) | instid1(VALU_DEP_2)
	v_cndmask_b32_e64 v22, 0, v22, s13
	v_add_nc_u32_e32 v20, v23, v20
	s_delay_alu instid0(VALU_DEP_2)
	v_add_nc_u16 v21, v21, v22
	ds_store_b32 v3, v20 offset:2064
	ds_store_b16 v3, v21 offset:2068
.LBB1091_111:
	s_or_b32 exec_lo, exec_lo, s15
	v_dual_mov_b32 v3, 0 :: v_dual_mov_b32 v20, 0
	v_mov_b32_e32 v21, v1
	s_mov_b32 s14, exec_lo
	s_waitcnt lgkmcnt(0)
	s_barrier
	buffer_gl0_inv
	v_cmpx_lt_u32_e32 31, v0
	s_cbranch_execz .LBB1091_113
; %bb.112:
	ds_load_b32 v20, v5 offset:2056
	ds_load_u16 v5, v5 offset:2060
	s_waitcnt lgkmcnt(1)
	v_cmp_eq_u32_e64 s13, 0, v20
	s_delay_alu instid0(VALU_DEP_1) | instskip(SKIP_1) | instid1(VALU_DEP_1)
	v_cndmask_b32_e64 v21, 0, v1, s13
	s_waitcnt lgkmcnt(0)
	v_add_nc_u16 v21, v21, v5
.LBB1091_113:
	s_or_b32 exec_lo, exec_lo, s14
	v_add_nc_u32_e32 v5, -1, v84
	v_cmp_eq_u32_e64 s13, 0, v2
	v_add_nc_u32_e32 v2, v20, v2
	s_delay_alu instid0(VALU_DEP_2) | instskip(NEXT) | instid1(VALU_DEP_4)
	v_cndmask_b32_e64 v22, 0, v21, s13
	v_cmp_gt_i32_e64 s13, 0, v5
	s_delay_alu instid0(VALU_DEP_2) | instskip(NEXT) | instid1(VALU_DEP_2)
	v_add_nc_u16 v4, v22, v4
	v_cndmask_b32_e64 v5, v5, v84, s13
	v_cmp_eq_u32_e64 s13, 0, v84
	s_delay_alu instid0(VALU_DEP_3) | instskip(NEXT) | instid1(VALU_DEP_3)
	v_and_b32_e32 v4, 0xffff, v4
	v_lshlrev_b32_e32 v5, 2, v5
	ds_bpermute_b32 v4, v5, v4
	ds_bpermute_b32 v2, v5, v2
	s_waitcnt lgkmcnt(1)
	v_cndmask_b32_e64 v4, v4, v21, s13
	s_waitcnt lgkmcnt(0)
	v_cndmask_b32_e64 v2, v2, v20, s13
	v_cmp_eq_u32_e64 s13, 0, v83
	s_delay_alu instid0(VALU_DEP_3) | instskip(NEXT) | instid1(VALU_DEP_3)
	v_cndmask_b32_e64 v4, v4, v1, s2
	v_cndmask_b32_e64 v48, v2, 0, s2
	s_delay_alu instid0(VALU_DEP_2) | instskip(NEXT) | instid1(VALU_DEP_2)
	v_cndmask_b32_e64 v5, 0, v4, s13
	v_add_nc_u32_e32 v44, v48, v83
	v_and_b32_e32 v49, 0xffff, v4
	s_delay_alu instid0(VALU_DEP_3) | instskip(NEXT) | instid1(VALU_DEP_3)
	v_add_nc_u16 v5, v5, v80
	v_add_nc_u32_e32 v42, v44, v66
	s_delay_alu instid0(VALU_DEP_2) | instskip(NEXT) | instid1(VALU_DEP_2)
	v_cndmask_b32_e64 v20, 0, v5, s12
	v_add_nc_u32_e32 v40, v42, v65
	v_and_b32_e32 v45, 0xffff, v5
	s_delay_alu instid0(VALU_DEP_3) | instskip(NEXT) | instid1(VALU_DEP_3)
	v_add_nc_u16 v20, v20, v79
	v_add_nc_u32_e32 v28, v40, v64
	s_delay_alu instid0(VALU_DEP_2) | instskip(NEXT) | instid1(VALU_DEP_2)
	v_cndmask_b32_e64 v21, 0, v20, s11
	v_add_nc_u32_e32 v26, v28, v63
	v_and_b32_e32 v43, 0xffff, v20
	s_delay_alu instid0(VALU_DEP_3) | instskip(NEXT) | instid1(VALU_DEP_1)
	v_add_nc_u16 v21, v21, v78
	v_cndmask_b32_e64 v22, 0, v21, s10
	v_and_b32_e32 v41, 0xffff, v21
	s_delay_alu instid0(VALU_DEP_2) | instskip(NEXT) | instid1(VALU_DEP_1)
	v_add_nc_u16 v22, v22, v77
	v_cndmask_b32_e64 v23, 0, v22, s9
	v_and_b32_e32 v29, 0xffff, v22
	s_delay_alu instid0(VALU_DEP_2) | instskip(NEXT) | instid1(VALU_DEP_1)
	v_add_nc_u16 v23, v23, v76
	v_cndmask_b32_e64 v24, 0, v23, s7
	s_delay_alu instid0(VALU_DEP_1) | instskip(NEXT) | instid1(VALU_DEP_1)
	v_add_nc_u16 v25, v24, v75
	v_cndmask_b32_e64 v24, 0, v25, s8
	v_and_b32_e32 v25, 0xffff, v25
	s_delay_alu instid0(VALU_DEP_2) | instskip(SKIP_1) | instid1(VALU_DEP_2)
	v_add_nc_u16 v31, v24, v73
	v_add_nc_u32_e32 v24, v26, v62
	v_cndmask_b32_e64 v2, 0, v31, s6
	s_delay_alu instid0(VALU_DEP_2) | instskip(SKIP_1) | instid1(VALU_DEP_3)
	v_add_nc_u32_e32 v46, v24, v61
	v_and_b32_e32 v47, 0xffff, v31
	v_add_nc_u16 v33, v2, v71
	s_delay_alu instid0(VALU_DEP_3) | instskip(NEXT) | instid1(VALU_DEP_2)
	v_add_nc_u32_e32 v50, v46, v60
	v_cndmask_b32_e64 v2, 0, v33, s5
	s_delay_alu instid0(VALU_DEP_2) | instskip(SKIP_1) | instid1(VALU_DEP_3)
	v_add_nc_u32_e32 v38, v50, v58
	v_and_b32_e32 v51, 0xffff, v33
	v_add_nc_u16 v35, v2, v74
	s_delay_alu instid0(VALU_DEP_3) | instskip(NEXT) | instid1(VALU_DEP_2)
	v_add_nc_u32_e32 v36, v38, v57
	v_cndmask_b32_e64 v2, 0, v35, s4
	s_delay_alu instid0(VALU_DEP_2) | instskip(SKIP_1) | instid1(VALU_DEP_3)
	v_add_nc_u32_e32 v32, v36, v56
	v_and_b32_e32 v39, 0xffff, v35
	v_add_nc_u16 v37, v2, v72
	ds_load_b32 v2, v3 offset:2120
	ds_load_u16 v3, v3 offset:2124
	v_add_nc_u32_e32 v34, v32, v55
	v_cndmask_b32_e64 v27, 0, v37, s3
	v_and_b32_e32 v37, 0xffff, v37
	s_delay_alu instid0(VALU_DEP_3) | instskip(NEXT) | instid1(VALU_DEP_3)
	v_add_nc_u32_e32 v30, v34, v54
	v_add_nc_u16 v70, v27, v70
	s_delay_alu instid0(VALU_DEP_2) | instskip(NEXT) | instid1(VALU_DEP_2)
	v_add_nc_u32_e32 v22, v30, v53
	v_cndmask_b32_e64 v27, 0, v70, s1
	v_and_b32_e32 v33, 0xffff, v70
	s_delay_alu instid0(VALU_DEP_2) | instskip(SKIP_3) | instid1(VALU_DEP_3)
	v_add_nc_u16 v69, v27, v69
	s_waitcnt lgkmcnt(1)
	v_cmp_eq_u32_e64 s1, 0, v2
	v_and_b32_e32 v27, 0xffff, v23
	v_cndmask_b32_e64 v4, 0, v69, s0
	s_delay_alu instid0(VALU_DEP_3) | instskip(SKIP_1) | instid1(VALU_DEP_3)
	v_cndmask_b32_e64 v1, 0, v1, s1
	v_and_b32_e32 v35, 0xffff, v69
	v_add_nc_u16 v4, v4, v68
	s_waitcnt lgkmcnt(0)
	s_delay_alu instid0(VALU_DEP_3) | instskip(NEXT) | instid1(VALU_DEP_2)
	v_add_nc_u16 v82, v1, v3
	v_cndmask_b32_e32 v5, 0, v4, vcc_lo
	v_and_b32_e32 v31, 0xffff, v4
	s_delay_alu instid0(VALU_DEP_2) | instskip(NEXT) | instid1(VALU_DEP_1)
	v_add_nc_u16 v5, v5, v67
	v_and_b32_e32 v23, 0xffff, v5
	s_and_saveexec_b32 s0, s2
	s_cbranch_execz .LBB1091_115
; %bb.114:
	s_add_u32 s4, s20, 0x200
	v_dual_mov_b32 v4, 2 :: v_dual_and_b32 v1, 0xff00, v82
	s_addc_u32 s5, s21, 0
	v_and_b32_e32 v3, 0xff, v82
	v_dual_mov_b32 v21, s5 :: v_dual_mov_b32 v20, s4
	v_mov_b32_e32 v5, 0
	s_delay_alu instid0(VALU_DEP_3)
	v_or_b32_e32 v3, v1, v3
	;;#ASMSTART
	global_store_dwordx4 v[20:21], v[2:5] off	
s_waitcnt vmcnt(0)
	;;#ASMEND
.LBB1091_115:
	s_or_b32 exec_lo, exec_lo, s0
	v_mov_b32_e32 v4, 0
.LBB1091_116:
	v_mov_b32_e32 v20, 0
	s_and_b32 s0, s16, exec_lo
	v_mov_b32_e32 v21, 0
	s_cselect_b32 s1, 0, s39
	s_cselect_b32 s0, 0, s38
	s_delay_alu instid0(SALU_CYCLE_1)
	s_cmp_eq_u64 s[0:1], 0
	s_barrier
	buffer_gl0_inv
	s_cbranch_scc1 .LBB1091_118
; %bb.117:
	v_mov_b32_e32 v1, 0
	global_load_b64 v[20:21], v1, s[0:1]
.LBB1091_118:
	v_cmp_gt_u32_e32 vcc_lo, 0x100, v2
	s_cbranch_vccnz .LBB1091_167
; %bb.119:
	v_cmp_eq_u32_e32 vcc_lo, 0, v66
	v_cmp_eq_u32_e64 s0, 0, v54
	v_cmp_eq_u32_e64 s1, 0, v53
	v_cmp_ne_u32_e64 s12, 0, v83
	v_cmp_ne_u32_e64 s3, 0, v55
	v_cndmask_b32_e64 v1, 1, 2, vcc_lo
	v_cmp_eq_u32_e32 vcc_lo, 0, v83
	v_cndmask_b32_e64 v67, 1, 2, s1
	v_cmp_ne_u32_e64 s1, 0, v54
	v_cmp_ne_u32_e64 s4, 0, v56
	;; [unrolled: 1-line block ×3, first 2 shown]
	v_cndmask_b32_e64 v3, 1, 2, vcc_lo
	v_cmp_eq_u32_e32 vcc_lo, 0, v65
	v_cmp_ne_u32_e64 s6, 0, v58
	v_cmp_ne_u32_e64 s7, 0, v60
	;; [unrolled: 1-line block ×3, first 2 shown]
	v_and_b32_e32 v1, v1, v3
	v_cndmask_b32_e64 v5, 1, 2, vcc_lo
	v_cmp_eq_u32_e32 vcc_lo, 0, v64
	v_cmp_ne_u32_e64 s9, 0, v62
	v_cmp_ne_u32_e64 s10, 0, v63
	;; [unrolled: 1-line block ×3, first 2 shown]
	v_and_b32_e32 v1, v1, v5
	v_cndmask_b32_e64 v3, 1, 2, vcc_lo
	v_cmp_eq_u32_e32 vcc_lo, 0, v63
	v_cmp_ne_u32_e64 s13, 0, v65
	v_cmp_ne_u32_e64 s14, 0, v66
	s_mov_b32 s18, 0
	v_and_b32_e32 v1, v1, v3
	v_cndmask_b32_e64 v5, 1, 2, vcc_lo
	v_cmp_eq_u32_e32 vcc_lo, 0, v62
	s_mov_b32 s16, exec_lo
	s_delay_alu instid0(VALU_DEP_2) | instskip(SKIP_2) | instid1(VALU_DEP_2)
	v_and_b32_e32 v1, v1, v5
	v_cndmask_b32_e64 v3, 1, 2, vcc_lo
	v_cmp_eq_u32_e32 vcc_lo, 0, v61
	v_and_b32_e32 v1, v1, v3
	v_cndmask_b32_e64 v5, 1, 2, vcc_lo
	v_cmp_eq_u32_e32 vcc_lo, 0, v60
	s_delay_alu instid0(VALU_DEP_2) | instskip(SKIP_2) | instid1(VALU_DEP_2)
	v_and_b32_e32 v1, v1, v5
	v_cndmask_b32_e64 v3, 1, 2, vcc_lo
	v_cmp_eq_u32_e32 vcc_lo, 0, v58
	v_and_b32_e32 v1, v1, v3
	v_cndmask_b32_e64 v5, 1, 2, vcc_lo
	v_cmp_eq_u32_e32 vcc_lo, 0, v57
	;; [unrolled: 7-line block ×3, first 2 shown]
	s_delay_alu instid0(VALU_DEP_2) | instskip(SKIP_4) | instid1(VALU_DEP_4)
	v_and_b32_e32 v1, v1, v5
	v_cndmask_b32_e64 v3, 1, 2, vcc_lo
	v_cndmask_b32_e64 v5, 1, 2, s0
	v_cmp_eq_u32_e64 s0, 0, v59
	v_cmp_ne_u32_e32 vcc_lo, 0, v59
	v_and_b32_e32 v1, v1, v3
	s_delay_alu instid0(VALU_DEP_3) | instskip(SKIP_1) | instid1(VALU_DEP_3)
	v_cndmask_b32_e64 v3, 1, 2, s0
	v_cmp_ne_u32_e64 s0, 0, v53
	v_and_b32_e32 v1, v1, v5
	s_delay_alu instid0(VALU_DEP_1) | instskip(NEXT) | instid1(VALU_DEP_1)
	v_and_b32_e32 v1, v1, v67
	v_and_b32_e32 v1, v1, v3
	s_delay_alu instid0(VALU_DEP_1)
	v_cmpx_gt_i16_e32 2, v1
	s_cbranch_execz .LBB1091_166
; %bb.120:
	v_cmp_ne_u16_e64 s15, 1, v1
	s_delay_alu instid0(VALU_DEP_1) | instskip(NEXT) | instid1(SALU_CYCLE_1)
	s_and_saveexec_b32 s19, s15
	s_xor_b32 s15, exec_lo, s19
	s_cbranch_execz .LBB1091_144
; %bb.121:
	s_and_saveexec_b32 s18, s12
	s_cbranch_execz .LBB1091_149
; %bb.122:
	v_sub_nc_u32_e32 v1, v48, v4
	s_delay_alu instid0(VALU_DEP_1)
	v_lshlrev_b32_e32 v1, 2, v1
	ds_store_b32 v1, v18
	s_or_b32 exec_lo, exec_lo, s18
	s_and_saveexec_b32 s12, s14
	s_cbranch_execnz .LBB1091_150
.LBB1091_123:
	s_or_b32 exec_lo, exec_lo, s12
	s_and_saveexec_b32 s12, s13
	s_cbranch_execz .LBB1091_151
.LBB1091_124:
	v_sub_nc_u32_e32 v1, v42, v4
	s_delay_alu instid0(VALU_DEP_1)
	v_lshlrev_b32_e32 v1, 2, v1
	ds_store_b32 v1, v16
	s_or_b32 exec_lo, exec_lo, s12
	s_and_saveexec_b32 s12, s11
	s_cbranch_execnz .LBB1091_152
.LBB1091_125:
	s_or_b32 exec_lo, exec_lo, s12
	s_and_saveexec_b32 s11, s10
	s_cbranch_execz .LBB1091_153
.LBB1091_126:
	v_sub_nc_u32_e32 v1, v28, v4
	s_delay_alu instid0(VALU_DEP_1)
	v_lshlrev_b32_e32 v1, 2, v1
	ds_store_b32 v1, v14
	s_or_b32 exec_lo, exec_lo, s11
	s_and_saveexec_b32 s10, s9
	s_cbranch_execnz .LBB1091_154
.LBB1091_127:
	s_or_b32 exec_lo, exec_lo, s10
	s_and_saveexec_b32 s9, s8
	s_cbranch_execz .LBB1091_155
.LBB1091_128:
	v_sub_nc_u32_e32 v1, v24, v4
	s_delay_alu instid0(VALU_DEP_1)
	v_lshlrev_b32_e32 v1, 2, v1
	ds_store_b32 v1, v12
	s_or_b32 exec_lo, exec_lo, s9
	s_and_saveexec_b32 s8, s7
	s_cbranch_execnz .LBB1091_156
.LBB1091_129:
	s_or_b32 exec_lo, exec_lo, s8
	s_and_saveexec_b32 s7, s6
	s_cbranch_execz .LBB1091_157
.LBB1091_130:
	v_sub_nc_u32_e32 v1, v50, v4
	s_delay_alu instid0(VALU_DEP_1)
	v_lshlrev_b32_e32 v1, 2, v1
	ds_store_b32 v1, v10
	s_or_b32 exec_lo, exec_lo, s7
	s_and_saveexec_b32 s6, s5
	s_cbranch_execnz .LBB1091_158
.LBB1091_131:
	s_or_b32 exec_lo, exec_lo, s6
	s_and_saveexec_b32 s5, s4
	s_cbranch_execz .LBB1091_159
.LBB1091_132:
	v_sub_nc_u32_e32 v1, v36, v4
	s_delay_alu instid0(VALU_DEP_1)
	v_lshlrev_b32_e32 v1, 2, v1
	ds_store_b32 v1, v8
	s_or_b32 exec_lo, exec_lo, s5
	s_and_saveexec_b32 s4, s3
	s_cbranch_execnz .LBB1091_160
.LBB1091_133:
	s_or_b32 exec_lo, exec_lo, s4
	s_and_saveexec_b32 s3, s1
	s_cbranch_execz .LBB1091_161
.LBB1091_134:
	v_sub_nc_u32_e32 v1, v34, v4
	s_delay_alu instid0(VALU_DEP_1)
	v_lshlrev_b32_e32 v1, 2, v1
	ds_store_b32 v1, v6
	s_or_b32 exec_lo, exec_lo, s3
	s_and_saveexec_b32 s1, s0
	s_cbranch_execnz .LBB1091_162
	s_branch .LBB1091_163
.LBB1091_135:
	s_mov_b32 s34, 0
                                        ; implicit-def: $sgpr0
                                        ; implicit-def: $vgpr59
                                        ; implicit-def: $vgpr53
                                        ; implicit-def: $vgpr54
                                        ; implicit-def: $vgpr55
                                        ; implicit-def: $vgpr56
                                        ; implicit-def: $vgpr57
                                        ; implicit-def: $vgpr58
                                        ; implicit-def: $vgpr60
                                        ; implicit-def: $vgpr61
                                        ; implicit-def: $vgpr62
                                        ; implicit-def: $vgpr63
                                        ; implicit-def: $vgpr64
                                        ; implicit-def: $vgpr65
                                        ; implicit-def: $vgpr66
	s_cbranch_execz .LBB1091_74
; %bb.136:
	v_cmp_ne_u32_e32 vcc_lo, v7, v52
	ds_store_b32 v5, v52
	s_waitcnt lgkmcnt(0)
	s_barrier
	buffer_gl0_inv
	v_cndmask_b32_e64 v59, 0, 1, vcc_lo
	v_cmp_ne_u32_e32 vcc_lo, v6, v7
                                        ; implicit-def: $sgpr0
	v_cndmask_b32_e64 v53, 0, 1, vcc_lo
	v_cmp_ne_u32_e32 vcc_lo, v9, v6
	v_cndmask_b32_e64 v54, 0, 1, vcc_lo
	v_cmp_ne_u32_e32 vcc_lo, v8, v9
	;; [unrolled: 2-line block ×12, first 2 shown]
	v_cndmask_b32_e64 v66, 0, 1, vcc_lo
	s_and_saveexec_b32 s1, s3
	s_delay_alu instid0(SALU_CYCLE_1)
	s_xor_b32 s1, exec_lo, s1
	s_cbranch_execz .LBB1091_138
; %bb.137:
	v_add_nc_u32_e32 v21, -4, v5
	s_or_b32 s34, s34, exec_lo
	ds_load_b32 v21, v21
	s_waitcnt lgkmcnt(0)
	v_cmp_ne_u32_e32 vcc_lo, v21, v18
	s_and_b32 s0, vcc_lo, exec_lo
.LBB1091_138:
	s_or_b32 exec_lo, exec_lo, s1
	s_mov_b32 s1, 1
	s_branch .LBB1091_76
.LBB1091_139:
	s_mul_hi_u32 s0, s24, 0xfffff100
	s_mul_i32 s1, s25, 0xfffff100
	s_sub_i32 s0, s0, s24
	s_mul_i32 s4, s24, 0xfffff100
	s_add_i32 s0, s0, s1
	s_add_u32 s24, s4, s36
	s_addc_u32 s25, s0, s37
	s_and_b32 vcc_lo, exec_lo, s15
	v_cmp_ne_u32_e64 s14, v7, v52
	v_cmp_ne_u32_e64 s15, v6, v7
	;; [unrolled: 1-line block ×14, first 2 shown]
	s_cbranch_vccz .LBB1091_146
; %bb.140:
	v_add_co_u32 v43, vcc_lo, -4, v4
	v_add_co_ci_u32_e32 v44, vcc_lo, -1, v2, vcc_lo
	v_mov_b32_e32 v2, 0
	s_mov_b32 s34, -1
	s_mov_b32 s35, 0
	flat_load_b32 v45, v[43:44]
	ds_store_b32 v5, v52
	v_cmp_gt_u64_e32 vcc_lo, s[24:25], v[1:2]
	v_mov_b32_e32 v43, v2
	v_mov_b32_e32 v41, v2
	;; [unrolled: 1-line block ×5, first 2 shown]
	v_cmp_gt_u64_e64 s16, s[24:25], v[42:43]
	s_and_b32 s36, vcc_lo, s14
	v_cmp_gt_u64_e32 vcc_lo, s[24:25], v[40:41]
	v_mov_b32_e32 v33, v2
	v_mov_b32_e32 v31, v2
	v_cmp_gt_u64_e64 s14, s[24:25], v[38:39]
	s_and_b32 s37, s16, s15
	v_mov_b32_e32 v29, v2
	s_and_b32 s40, vcc_lo, s13
	v_cmp_gt_u64_e32 vcc_lo, s[24:25], v[36:37]
	v_cmp_gt_u64_e64 s13, s[24:25], v[34:35]
	v_cmp_gt_u64_e64 s15, s[24:25], v[32:33]
	;; [unrolled: 1-line block ×3, first 2 shown]
	v_mov_b32_e32 v27, v2
	v_mov_b32_e32 v25, v2
	;; [unrolled: 1-line block ×5, first 2 shown]
	s_and_b32 s14, s14, s12
	s_and_b32 s41, vcc_lo, s8
	s_and_b32 s13, s13, s9
	s_and_b32 s15, s15, s10
	;; [unrolled: 1-line block ×3, first 2 shown]
	v_cmp_gt_u64_e32 vcc_lo, s[24:25], v[28:29]
	v_cmp_gt_u64_e64 s8, s[24:25], v[26:27]
	v_cmp_gt_u64_e64 s9, s[24:25], v[24:25]
	;; [unrolled: 1-line block ×5, first 2 shown]
	v_mul_u32_u24_e32 v43, 15, v0
	s_and_b32 s0, vcc_lo, s0
	s_and_b32 s8, s8, s1
	s_and_b32 s9, s9, s4
	;; [unrolled: 1-line block ×5, first 2 shown]
	s_waitcnt vmcnt(0) lgkmcnt(0)
	s_barrier
	buffer_gl0_inv
	s_and_saveexec_b32 s6, s3
	s_cbranch_execz .LBB1091_142
; %bb.141:
	v_add_nc_u32_e32 v4, -4, v5
	ds_load_b32 v45, v4
.LBB1091_142:
	s_or_b32 exec_lo, exec_lo, s6
	v_mov_b32_e32 v44, v2
	v_cndmask_b32_e64 v61, 0, 1, s0
	s_waitcnt lgkmcnt(0)
	v_cmp_ne_u32_e64 s0, v45, v18
	v_cndmask_b32_e64 v59, 0, 1, s36
	v_cndmask_b32_e64 v53, 0, 1, s37
	v_cmp_gt_u64_e32 vcc_lo, s[24:25], v[43:44]
	v_cndmask_b32_e64 v54, 0, 1, s40
	v_cndmask_b32_e64 v55, 0, 1, s14
	;; [unrolled: 1-line block ×11, first 2 shown]
	s_and_b32 s0, vcc_lo, s0
	s_and_b32 vcc_lo, exec_lo, s35
	s_cbranch_vccnz .LBB1091_147
.LBB1091_143:
                                        ; implicit-def: $sgpr1
	v_mov_b32_e32 v83, s1
	s_and_saveexec_b32 s1, s34
	s_cbranch_execnz .LBB1091_77
	s_branch .LBB1091_78
.LBB1091_144:
	s_and_not1_saveexec_b32 s0, s15
	s_cbranch_execz .LBB1091_164
.LBB1091_145:
	v_sub_nc_u32_e32 v1, v48, v4
	v_sub_nc_u32_e32 v3, v44, v4
	;; [unrolled: 1-line block ×4, first 2 shown]
	s_or_b32 s18, s18, exec_lo
	v_lshlrev_b32_e32 v1, 2, v1
	v_lshlrev_b32_e32 v3, 2, v3
	;; [unrolled: 1-line block ×4, first 2 shown]
	ds_store_b32 v1, v18
	ds_store_b32 v3, v19
	;; [unrolled: 1-line block ×3, first 2 shown]
	v_sub_nc_u32_e32 v1, v28, v4
	v_sub_nc_u32_e32 v3, v26, v4
	;; [unrolled: 1-line block ×4, first 2 shown]
	ds_store_b32 v67, v17
	v_lshlrev_b32_e32 v1, 2, v1
	v_sub_nc_u32_e32 v17, v50, v4
	v_lshlrev_b32_e32 v3, 2, v3
	v_lshlrev_b32_e32 v5, 2, v5
	;; [unrolled: 1-line block ×3, first 2 shown]
	ds_store_b32 v1, v14
	v_lshlrev_b32_e32 v1, 2, v17
	ds_store_b32 v3, v15
	ds_store_b32 v5, v12
	;; [unrolled: 1-line block ×3, first 2 shown]
	v_sub_nc_u32_e32 v3, v38, v4
	v_sub_nc_u32_e32 v12, v30, v4
	;; [unrolled: 1-line block ×3, first 2 shown]
	ds_store_b32 v1, v10
	v_sub_nc_u32_e32 v1, v36, v4
	v_lshlrev_b32_e32 v3, 2, v3
	v_sub_nc_u32_e32 v10, v34, v4
	v_lshlrev_b32_e32 v5, 2, v5
	s_delay_alu instid0(VALU_DEP_4)
	v_lshlrev_b32_e32 v1, 2, v1
	ds_store_b32 v3, v11
	v_lshlrev_b32_e32 v3, 2, v12
	v_lshlrev_b32_e32 v10, 2, v10
	ds_store_b32 v1, v8
	ds_store_b32 v5, v9
	;; [unrolled: 1-line block ×4, first 2 shown]
	s_or_b32 exec_lo, exec_lo, s0
	s_delay_alu instid0(SALU_CYCLE_1)
	s_and_b32 exec_lo, exec_lo, s18
	s_cbranch_execnz .LBB1091_165
	s_branch .LBB1091_166
.LBB1091_146:
                                        ; implicit-def: $sgpr0
                                        ; implicit-def: $vgpr59
                                        ; implicit-def: $vgpr53
                                        ; implicit-def: $vgpr54
                                        ; implicit-def: $vgpr55
                                        ; implicit-def: $vgpr56
                                        ; implicit-def: $vgpr57
                                        ; implicit-def: $vgpr58
                                        ; implicit-def: $vgpr60
                                        ; implicit-def: $vgpr61
                                        ; implicit-def: $vgpr62
                                        ; implicit-def: $vgpr63
                                        ; implicit-def: $vgpr64
                                        ; implicit-def: $vgpr65
                                        ; implicit-def: $vgpr66
	s_cbranch_execz .LBB1091_143
.LBB1091_147:
	v_mov_b32_e32 v2, 0
	v_cmp_ne_u32_e64 s0, v6, v7
	v_cmp_ne_u32_e64 s4, v9, v6
	v_cmp_ne_u32_e32 vcc_lo, v7, v52
	ds_store_b32 v5, v52
	v_mov_b32_e32 v43, v2
	v_mov_b32_e32 v41, v2
	v_cmp_gt_u64_e64 s1, s[24:25], v[1:2]
	v_mov_b32_e32 v37, v2
	v_mov_b32_e32 v39, v2
	v_cmp_gt_u64_e64 s5, s[24:25], v[42:43]
	v_cmp_gt_u64_e64 s6, s[24:25], v[40:41]
	v_mov_b32_e32 v33, v2
	s_and_b32 s1, s1, vcc_lo
	v_cmp_gt_u64_e64 s7, s[24:25], v[38:39]
	v_cndmask_b32_e64 v59, 0, 1, s1
	s_and_b32 s0, s5, s0
	v_cmp_ne_u32_e64 s1, v11, v8
	v_cndmask_b32_e64 v53, 0, 1, s0
	s_and_b32 s0, s6, s4
	v_cmp_ne_u32_e32 vcc_lo, v8, v9
	v_cndmask_b32_e64 v54, 0, 1, s0
	v_cmp_gt_u64_e64 s0, s[24:25], v[36:37]
	v_mov_b32_e32 v35, v2
	v_mov_b32_e32 v29, v2
	s_and_b32 s4, s7, vcc_lo
	v_mov_b32_e32 v31, v2
	v_cndmask_b32_e64 v55, 0, 1, s4
	s_and_b32 s0, s0, s1
	v_cmp_ne_u32_e64 s1, v13, v10
	v_cndmask_b32_e64 v56, 0, 1, s0
	v_cmp_gt_u64_e64 s0, s[24:25], v[32:33]
	v_cmp_gt_u64_e32 vcc_lo, s[24:25], v[34:35]
	v_cmp_ne_u32_e64 s4, v10, v11
	v_mov_b32_e32 v25, v2
	v_mov_b32_e32 v27, v2
	;; [unrolled: 1-line block ×3, first 2 shown]
	s_and_b32 s0, s0, s1
	s_and_b32 s4, vcc_lo, s4
	v_cndmask_b32_e64 v58, 0, 1, s0
	v_cmp_gt_u64_e64 s0, s[24:25], v[28:29]
	v_cmp_ne_u32_e64 s1, v15, v12
	v_cmp_gt_u64_e32 vcc_lo, s[24:25], v[30:31]
	v_cndmask_b32_e64 v57, 0, 1, s4
	v_cmp_ne_u32_e64 s4, v12, v13
	v_mov_b32_e32 v21, v2
	s_and_b32 s0, s0, s1
	v_cmp_ne_u32_e64 s1, v17, v14
	v_cndmask_b32_e64 v61, 0, 1, s0
	s_and_b32 s4, vcc_lo, s4
	v_cmp_gt_u64_e64 s0, s[24:25], v[24:25]
	v_cmp_gt_u64_e32 vcc_lo, s[24:25], v[26:27]
	v_cndmask_b32_e64 v60, 0, 1, s4
	v_cmp_ne_u32_e64 s4, v14, v15
	v_mov_b32_e32 v4, v2
	v_cmp_ne_u32_e64 s6, v18, v19
	s_and_b32 s0, s0, s1
	v_cmp_gt_u64_e64 s1, s[24:25], v[20:21]
	s_and_b32 s4, vcc_lo, s4
	v_cmp_gt_u64_e32 vcc_lo, s[24:25], v[22:23]
	v_cndmask_b32_e64 v63, 0, 1, s0
	v_cmp_ne_u32_e64 s0, v16, v17
	v_cndmask_b32_e64 v62, 0, 1, s4
	v_cmp_ne_u32_e64 s4, v19, v16
	v_cmp_gt_u64_e64 s5, s[24:25], v[3:4]
	s_waitcnt lgkmcnt(0)
	s_and_b32 s0, vcc_lo, s0
	s_barrier
	v_cndmask_b32_e64 v64, 0, 1, s0
	s_and_b32 s0, s1, s4
	s_mov_b32 s1, 1
	v_cndmask_b32_e64 v65, 0, 1, s0
	s_and_b32 s0, s5, s6
	buffer_gl0_inv
	v_cndmask_b32_e64 v66, 0, 1, s0
                                        ; implicit-def: $sgpr0
	s_and_saveexec_b32 s4, s3
	s_cbranch_execz .LBB1091_205
; %bb.148:
	v_add_nc_u32_e32 v1, -4, v5
	s_or_b32 s34, s34, exec_lo
	ds_load_b32 v3, v1
	v_mul_u32_u24_e32 v1, 15, v0
	s_delay_alu instid0(VALU_DEP_1) | instskip(SKIP_2) | instid1(VALU_DEP_1)
	v_cmp_gt_u64_e32 vcc_lo, s[24:25], v[1:2]
	s_waitcnt lgkmcnt(0)
	v_cmp_ne_u32_e64 s0, v3, v18
	s_and_b32 s0, vcc_lo, s0
	s_delay_alu instid0(SALU_CYCLE_1)
	s_and_b32 s0, s0, exec_lo
	s_or_b32 exec_lo, exec_lo, s4
	v_mov_b32_e32 v83, s1
	s_and_saveexec_b32 s1, s34
	s_cbranch_execz .LBB1091_78
	s_branch .LBB1091_77
.LBB1091_149:
	s_or_b32 exec_lo, exec_lo, s18
	s_and_saveexec_b32 s12, s14
	s_cbranch_execz .LBB1091_123
.LBB1091_150:
	v_sub_nc_u32_e32 v1, v44, v4
	s_delay_alu instid0(VALU_DEP_1)
	v_lshlrev_b32_e32 v1, 2, v1
	ds_store_b32 v1, v19
	s_or_b32 exec_lo, exec_lo, s12
	s_and_saveexec_b32 s12, s13
	s_cbranch_execnz .LBB1091_124
.LBB1091_151:
	s_or_b32 exec_lo, exec_lo, s12
	s_and_saveexec_b32 s12, s11
	s_cbranch_execz .LBB1091_125
.LBB1091_152:
	v_sub_nc_u32_e32 v1, v40, v4
	s_delay_alu instid0(VALU_DEP_1)
	v_lshlrev_b32_e32 v1, 2, v1
	ds_store_b32 v1, v17
	s_or_b32 exec_lo, exec_lo, s12
	s_and_saveexec_b32 s11, s10
	s_cbranch_execnz .LBB1091_126
.LBB1091_153:
	s_or_b32 exec_lo, exec_lo, s11
	s_and_saveexec_b32 s10, s9
	s_cbranch_execz .LBB1091_127
.LBB1091_154:
	v_sub_nc_u32_e32 v1, v26, v4
	s_delay_alu instid0(VALU_DEP_1)
	v_lshlrev_b32_e32 v1, 2, v1
	ds_store_b32 v1, v15
	s_or_b32 exec_lo, exec_lo, s10
	s_and_saveexec_b32 s9, s8
	s_cbranch_execnz .LBB1091_128
.LBB1091_155:
	s_or_b32 exec_lo, exec_lo, s9
	s_and_saveexec_b32 s8, s7
	s_cbranch_execz .LBB1091_129
.LBB1091_156:
	v_sub_nc_u32_e32 v1, v46, v4
	s_delay_alu instid0(VALU_DEP_1)
	v_lshlrev_b32_e32 v1, 2, v1
	ds_store_b32 v1, v13
	s_or_b32 exec_lo, exec_lo, s8
	s_and_saveexec_b32 s7, s6
	s_cbranch_execnz .LBB1091_130
.LBB1091_157:
	s_or_b32 exec_lo, exec_lo, s7
	s_and_saveexec_b32 s6, s5
	s_cbranch_execz .LBB1091_131
.LBB1091_158:
	v_sub_nc_u32_e32 v1, v38, v4
	s_delay_alu instid0(VALU_DEP_1)
	v_lshlrev_b32_e32 v1, 2, v1
	ds_store_b32 v1, v11
	s_or_b32 exec_lo, exec_lo, s6
	s_and_saveexec_b32 s5, s4
	s_cbranch_execnz .LBB1091_132
.LBB1091_159:
	s_or_b32 exec_lo, exec_lo, s5
	s_and_saveexec_b32 s4, s3
	s_cbranch_execz .LBB1091_133
.LBB1091_160:
	v_sub_nc_u32_e32 v1, v32, v4
	s_delay_alu instid0(VALU_DEP_1)
	v_lshlrev_b32_e32 v1, 2, v1
	ds_store_b32 v1, v9
	s_or_b32 exec_lo, exec_lo, s4
	s_and_saveexec_b32 s3, s1
	s_cbranch_execnz .LBB1091_134
.LBB1091_161:
	s_or_b32 exec_lo, exec_lo, s3
	s_and_saveexec_b32 s1, s0
	s_cbranch_execz .LBB1091_163
.LBB1091_162:
	v_sub_nc_u32_e32 v1, v30, v4
	s_delay_alu instid0(VALU_DEP_1)
	v_lshlrev_b32_e32 v1, 2, v1
	ds_store_b32 v1, v7
.LBB1091_163:
	s_or_b32 exec_lo, exec_lo, s1
	s_delay_alu instid0(SALU_CYCLE_1)
	s_and_b32 s18, vcc_lo, exec_lo
                                        ; implicit-def: $vgpr18
                                        ; implicit-def: $vgpr16
                                        ; implicit-def: $vgpr14
                                        ; implicit-def: $vgpr12
                                        ; implicit-def: $vgpr10
                                        ; implicit-def: $vgpr8
                                        ; implicit-def: $vgpr6
	s_and_not1_saveexec_b32 s0, s15
	s_cbranch_execnz .LBB1091_145
.LBB1091_164:
	s_or_b32 exec_lo, exec_lo, s0
	s_delay_alu instid0(SALU_CYCLE_1)
	s_and_b32 exec_lo, exec_lo, s18
	s_cbranch_execz .LBB1091_166
.LBB1091_165:
	v_sub_nc_u32_e32 v1, v22, v4
	s_delay_alu instid0(VALU_DEP_1)
	v_lshlrev_b32_e32 v1, 2, v1
	ds_store_b32 v1, v52
.LBB1091_166:
	s_or_b32 exec_lo, exec_lo, s16
	s_waitcnt vmcnt(0) lgkmcnt(0)
	s_barrier
	buffer_gl0_inv
.LBB1091_167:
	s_cmpk_lg_i32 s26, 0xf00
	v_mad_i32_i24 v7, v0, -15, s26
	s_cselect_b32 s0, -1, 0
	s_and_b32 s1, s2, s27
	s_and_b32 s0, s0, s17
	v_cndmask_b32_e64 v8, v83, 0, s1
	v_cndmask_b32_e64 v6, 0, 1, s0
	s_mul_hi_u32 s0, s26, 0x88888889
	v_cndmask_b32_e64 v1, 0, 1, s27
	s_lshr_b32 s0, s0, 3
	s_mov_b32 s16, -1
	v_cmp_eq_u32_e32 vcc_lo, s0, v0
	v_cmp_ne_u32_e64 s0, 0, v7
	v_sub_nc_u32_e32 v3, v2, v1
	s_waitcnt vmcnt(0)
	s_barrier
	s_and_b32 vcc_lo, vcc_lo, s17
	v_cndmask_b32_e64 v9, 1, v8, s0
	v_cmp_ne_u32_e64 s0, 1, v7
	v_mov_b32_e32 v5, 0
	buffer_gl0_inv
	v_cndmask_b32_e32 v16, v8, v9, vcc_lo
	v_cndmask_b32_e64 v10, 1, v66, s0
	v_cmp_ne_u32_e64 s0, 2, v7
	s_delay_alu instid0(VALU_DEP_3) | instskip(NEXT) | instid1(VALU_DEP_3)
	v_cmp_ne_u32_e64 s14, 0, v16
	v_cndmask_b32_e32 v17, v66, v10, vcc_lo
	s_delay_alu instid0(VALU_DEP_3) | instskip(SKIP_1) | instid1(VALU_DEP_2)
	v_cndmask_b32_e64 v11, 1, v65, s0
	v_cmp_ne_u32_e64 s0, 14, v7
	v_dual_cndmask_b32 v18, v65, v11 :: v_dual_add_nc_u32 v3, v3, v6
	s_delay_alu instid0(VALU_DEP_2) | instskip(SKIP_1) | instid1(VALU_DEP_3)
	v_cndmask_b32_e64 v12, 1, v59, s0
	v_cmp_ne_u32_e64 s0, 3, v7
	v_cmp_ne_u32_e64 s12, 0, v18
	s_delay_alu instid0(VALU_DEP_2) | instskip(SKIP_1) | instid1(VALU_DEP_1)
	v_cndmask_b32_e64 v13, 1, v64, s0
	v_cmp_ne_u32_e64 s0, 4, v7
	v_cndmask_b32_e64 v14, 1, v63, s0
	v_cmp_ne_u32_e64 s0, 5, v7
	s_delay_alu instid0(VALU_DEP_1) | instskip(SKIP_1) | instid1(VALU_DEP_2)
	v_cndmask_b32_e64 v8, 1, v62, s0
	v_cmp_ne_u32_e64 s0, 6, v7
	v_cndmask_b32_e32 v62, v62, v8, vcc_lo
	s_delay_alu instid0(VALU_DEP_2) | instskip(SKIP_1) | instid1(VALU_DEP_2)
	v_cndmask_b32_e64 v9, 1, v61, s0
	v_cmp_eq_u32_e64 s0, 0, v16
	v_dual_cndmask_b32 v14, v63, v14 :: v_dual_cndmask_b32 v61, v61, v9
	s_delay_alu instid0(VALU_DEP_2) | instskip(SKIP_2) | instid1(VALU_DEP_4)
	v_cndmask_b32_e64 v10, 1, 2, s0
	v_cmp_eq_u32_e64 s0, 0, v17
	v_cndmask_b32_e32 v15, v59, v12, vcc_lo
	v_cmp_ne_u32_e64 s10, 0, v14
	v_cmp_ne_u32_e64 s8, 0, v61
	s_delay_alu instid0(VALU_DEP_4) | instskip(SKIP_1) | instid1(VALU_DEP_2)
	v_cndmask_b32_e64 v12, 1, 2, s0
	v_cmp_ne_u32_e64 s0, 7, v7
	v_and_b32_e32 v10, v12, v10
	s_delay_alu instid0(VALU_DEP_2) | instskip(SKIP_1) | instid1(VALU_DEP_2)
	v_cndmask_b32_e64 v11, 1, v60, s0
	v_cmp_eq_u32_e64 s0, 0, v18
	v_cndmask_b32_e32 v60, v60, v11, vcc_lo
	s_delay_alu instid0(VALU_DEP_2)
	v_cndmask_b32_e64 v12, 1, 2, s0
	v_cmp_ne_u32_e64 s0, 8, v7
	v_cndmask_b32_e32 v13, v64, v13, vcc_lo
	v_cmp_ne_u32_e64 s13, 0, v17
	v_cmp_ne_u32_e64 s7, 0, v60
	v_and_b32_e32 v10, v10, v12
	v_cndmask_b32_e64 v19, 1, v58, s0
	v_cmp_ne_u32_e64 s0, 9, v7
	v_cmp_ne_u32_e64 s11, 0, v13
	s_delay_alu instid0(VALU_DEP_3) | instskip(NEXT) | instid1(VALU_DEP_3)
	v_cndmask_b32_e32 v19, v58, v19, vcc_lo
	v_cndmask_b32_e64 v52, 1, v57, s0
	v_cmp_eq_u32_e64 s0, 0, v13
	s_delay_alu instid0(VALU_DEP_3) | instskip(NEXT) | instid1(VALU_DEP_3)
	v_cmp_ne_u32_e64 s6, 0, v19
	v_cndmask_b32_e32 v52, v57, v52, vcc_lo
	s_delay_alu instid0(VALU_DEP_3) | instskip(SKIP_1) | instid1(VALU_DEP_2)
	v_cndmask_b32_e64 v12, 1, 2, s0
	v_cmp_ne_u32_e64 s0, 10, v7
	v_and_b32_e32 v8, v10, v12
	s_delay_alu instid0(VALU_DEP_2) | instskip(SKIP_1) | instid1(VALU_DEP_1)
	v_cndmask_b32_e64 v59, 1, v56, s0
	v_cmp_eq_u32_e64 s0, 0, v14
	v_cndmask_b32_e64 v10, 1, 2, s0
	v_cmp_ne_u32_e64 s0, 11, v7
	s_delay_alu instid0(VALU_DEP_1) | instskip(SKIP_1) | instid1(VALU_DEP_2)
	v_cndmask_b32_e64 v12, 1, v55, s0
	v_cmp_ne_u32_e64 s0, 13, v7
	v_dual_cndmask_b32 v55, v55, v12 :: v_dual_and_b32 v8, v8, v10
	s_delay_alu instid0(VALU_DEP_2) | instskip(NEXT) | instid1(VALU_DEP_2)
	v_cndmask_b32_e64 v63, 1, v53, s0
	v_cmp_ne_u32_e64 s3, 0, v55
	s_delay_alu instid0(VALU_DEP_2) | instskip(SKIP_2) | instid1(VALU_DEP_3)
	v_cndmask_b32_e32 v53, v53, v63, vcc_lo
	v_cmp_eq_u32_e64 s0, 0, v62
	v_cmp_ne_u32_e64 s9, 0, v62
	v_cmp_ne_u32_e64 s1, 0, v53
	s_delay_alu instid0(VALU_DEP_3) | instskip(SKIP_1) | instid1(VALU_DEP_2)
	v_cndmask_b32_e64 v10, 1, 2, s0
	v_cmp_ne_u32_e64 s0, 12, v7
	v_and_b32_e32 v8, v8, v10
	s_delay_alu instid0(VALU_DEP_2) | instskip(SKIP_1) | instid1(VALU_DEP_1)
	v_cndmask_b32_e64 v7, 1, v54, s0
	v_cmp_eq_u32_e64 s0, 0, v61
	v_cndmask_b32_e64 v9, 1, 2, s0
	v_cmp_eq_u32_e64 s0, 0, v60
	s_delay_alu instid0(VALU_DEP_2) | instskip(SKIP_1) | instid1(VALU_DEP_3)
	v_dual_cndmask_b32 v54, v54, v7 :: v_dual_and_b32 v11, v8, v9
	v_lshlrev_b64 v[7:8], 1, v[20:21]
	v_cndmask_b32_e64 v12, 1, 2, s0
	v_cndmask_b32_e32 v56, v56, v59, vcc_lo
	v_cmp_eq_u32_e32 vcc_lo, 0, v19
	v_lshlrev_b64 v[9:10], 1, v[4:5]
	v_cmp_ne_u32_e64 s2, 0, v54
	v_and_b32_e32 v5, v11, v12
	v_cmp_ne_u32_e64 s4, 0, v56
	v_cndmask_b32_e64 v11, 1, 2, vcc_lo
	v_add_co_u32 v7, vcc_lo, s28, v7
	v_add_co_ci_u32_e32 v8, vcc_lo, s29, v8, vcc_lo
	v_cmp_eq_u32_e32 vcc_lo, 0, v52
	s_delay_alu instid0(VALU_DEP_4)
	v_and_b32_e32 v5, v5, v11
	v_cmp_ne_u32_e64 s0, 0, v15
	v_cndmask_b32_e64 v11, 1, 2, vcc_lo
	v_add_co_u32 v9, vcc_lo, v7, v9
	v_add_co_ci_u32_e32 v10, vcc_lo, v8, v10, vcc_lo
	v_lshlrev_b32_e32 v7, 1, v1
	v_cmp_eq_u32_e32 vcc_lo, 0, v56
	v_and_b32_e32 v5, v5, v11
	v_cmp_ne_u32_e64 s5, 0, v52
	v_cndmask_b32_e64 v8, 1, 2, vcc_lo
	v_add_co_u32 v7, vcc_lo, v7, v9
	v_add_co_ci_u32_e32 v12, vcc_lo, 0, v10, vcc_lo
	v_cmp_eq_u32_e32 vcc_lo, 0, v55
	s_delay_alu instid0(VALU_DEP_4)
	v_and_b32_e32 v8, v5, v8
	v_add_nc_u32_e32 v5, v4, v1
	v_cndmask_b32_e64 v57, 1, 2, vcc_lo
	v_add_co_u32 v11, vcc_lo, v7, -2
	v_add_co_ci_u32_e32 v12, vcc_lo, -1, v12, vcc_lo
	v_cmp_eq_u32_e32 vcc_lo, 0, v54
	s_delay_alu instid0(VALU_DEP_4) | instskip(SKIP_2) | instid1(VALU_DEP_2)
	v_and_b32_e32 v7, v8, v57
	v_cndmask_b32_e64 v8, 1, 2, vcc_lo
	v_cmp_eq_u32_e32 vcc_lo, 0, v53
	v_and_b32_e32 v7, v7, v8
	v_cndmask_b32_e64 v8, 1, 2, vcc_lo
	v_cmp_eq_u32_e32 vcc_lo, 0, v15
	s_delay_alu instid0(VALU_DEP_2) | instskip(SKIP_2) | instid1(VALU_DEP_2)
	v_and_b32_e32 v7, v7, v8
	v_cndmask_b32_e64 v8, 1, 2, vcc_lo
	v_cmp_gt_u32_e32 vcc_lo, 0x100, v3
	v_and_b32_e32 v7, v7, v8
	s_delay_alu instid0(VALU_DEP_1)
	v_cmp_gt_i16_e64 s15, 2, v7
	s_cbranch_vccz .LBB1091_184
; %bb.168:
	s_delay_alu instid0(VALU_DEP_1)
	s_and_saveexec_b32 s16, s15
	s_cbranch_execz .LBB1091_223
; %bb.169:
	s_mov_b32 s18, 0
	s_mov_b32 s15, exec_lo
	v_cmpx_ne_u16_e32 1, v7
	s_xor_b32 s15, exec_lo, s15
	s_cbranch_execz .LBB1091_201
; %bb.170:
	s_and_saveexec_b32 s18, s14
	s_cbranch_execz .LBB1091_206
; %bb.171:
	v_sub_nc_u32_e32 v13, v48, v5
	v_mov_b32_e32 v14, 0
	s_delay_alu instid0(VALU_DEP_1) | instskip(NEXT) | instid1(VALU_DEP_1)
	v_lshlrev_b64 v[13:14], 1, v[13:14]
	v_add_co_u32 v13, vcc_lo, v11, v13
	s_delay_alu instid0(VALU_DEP_2)
	v_add_co_ci_u32_e32 v14, vcc_lo, v12, v14, vcc_lo
	global_store_b16 v[13:14], v49, off
	s_or_b32 exec_lo, exec_lo, s18
	s_and_saveexec_b32 s18, s13
	s_cbranch_execnz .LBB1091_207
.LBB1091_172:
	s_or_b32 exec_lo, exec_lo, s18
	s_and_saveexec_b32 s18, s12
	s_cbranch_execz .LBB1091_208
.LBB1091_173:
	v_sub_nc_u32_e32 v13, v42, v5
	v_mov_b32_e32 v14, 0
	s_delay_alu instid0(VALU_DEP_1) | instskip(NEXT) | instid1(VALU_DEP_1)
	v_lshlrev_b64 v[13:14], 1, v[13:14]
	v_add_co_u32 v13, vcc_lo, v11, v13
	s_delay_alu instid0(VALU_DEP_2)
	v_add_co_ci_u32_e32 v14, vcc_lo, v12, v14, vcc_lo
	global_store_b16 v[13:14], v43, off
	s_or_b32 exec_lo, exec_lo, s18
	s_and_saveexec_b32 s18, s11
	s_cbranch_execnz .LBB1091_209
.LBB1091_174:
	s_or_b32 exec_lo, exec_lo, s18
	s_and_saveexec_b32 s18, s10
	s_cbranch_execz .LBB1091_210
.LBB1091_175:
	v_sub_nc_u32_e32 v13, v28, v5
	v_mov_b32_e32 v14, 0
	s_delay_alu instid0(VALU_DEP_1) | instskip(NEXT) | instid1(VALU_DEP_1)
	v_lshlrev_b64 v[13:14], 1, v[13:14]
	v_add_co_u32 v13, vcc_lo, v11, v13
	s_delay_alu instid0(VALU_DEP_2)
	v_add_co_ci_u32_e32 v14, vcc_lo, v12, v14, vcc_lo
	global_store_b16 v[13:14], v29, off
	s_or_b32 exec_lo, exec_lo, s18
	s_and_saveexec_b32 s18, s9
	s_cbranch_execnz .LBB1091_211
.LBB1091_176:
	s_or_b32 exec_lo, exec_lo, s18
	s_and_saveexec_b32 s18, s8
	s_cbranch_execz .LBB1091_212
.LBB1091_177:
	v_sub_nc_u32_e32 v13, v24, v5
	v_mov_b32_e32 v14, 0
	s_delay_alu instid0(VALU_DEP_1) | instskip(NEXT) | instid1(VALU_DEP_1)
	v_lshlrev_b64 v[13:14], 1, v[13:14]
	v_add_co_u32 v13, vcc_lo, v11, v13
	s_delay_alu instid0(VALU_DEP_2)
	v_add_co_ci_u32_e32 v14, vcc_lo, v12, v14, vcc_lo
	global_store_b16 v[13:14], v25, off
	s_or_b32 exec_lo, exec_lo, s18
	s_and_saveexec_b32 s18, s7
	s_cbranch_execnz .LBB1091_213
.LBB1091_178:
	s_or_b32 exec_lo, exec_lo, s18
	s_and_saveexec_b32 s18, s6
	s_cbranch_execz .LBB1091_214
.LBB1091_179:
	v_sub_nc_u32_e32 v13, v50, v5
	v_mov_b32_e32 v14, 0
	s_delay_alu instid0(VALU_DEP_1) | instskip(NEXT) | instid1(VALU_DEP_1)
	v_lshlrev_b64 v[13:14], 1, v[13:14]
	v_add_co_u32 v13, vcc_lo, v11, v13
	s_delay_alu instid0(VALU_DEP_2)
	v_add_co_ci_u32_e32 v14, vcc_lo, v12, v14, vcc_lo
	global_store_b16 v[13:14], v51, off
	s_or_b32 exec_lo, exec_lo, s18
	s_and_saveexec_b32 s18, s5
	s_cbranch_execnz .LBB1091_215
.LBB1091_180:
	s_or_b32 exec_lo, exec_lo, s18
	s_and_saveexec_b32 s18, s4
	s_cbranch_execz .LBB1091_216
.LBB1091_181:
	v_sub_nc_u32_e32 v13, v36, v5
	v_mov_b32_e32 v14, 0
	s_delay_alu instid0(VALU_DEP_1) | instskip(NEXT) | instid1(VALU_DEP_1)
	v_lshlrev_b64 v[13:14], 1, v[13:14]
	v_add_co_u32 v13, vcc_lo, v11, v13
	s_delay_alu instid0(VALU_DEP_2)
	v_add_co_ci_u32_e32 v14, vcc_lo, v12, v14, vcc_lo
	global_store_b16 v[13:14], v37, off
	s_or_b32 exec_lo, exec_lo, s18
	s_and_saveexec_b32 s18, s3
	s_cbranch_execnz .LBB1091_217
.LBB1091_182:
	s_or_b32 exec_lo, exec_lo, s18
	s_and_saveexec_b32 s18, s2
	s_cbranch_execz .LBB1091_218
.LBB1091_183:
	v_sub_nc_u32_e32 v13, v34, v5
	v_mov_b32_e32 v14, 0
	s_delay_alu instid0(VALU_DEP_1) | instskip(NEXT) | instid1(VALU_DEP_1)
	v_lshlrev_b64 v[13:14], 1, v[13:14]
	v_add_co_u32 v13, vcc_lo, v11, v13
	s_delay_alu instid0(VALU_DEP_2)
	v_add_co_ci_u32_e32 v14, vcc_lo, v12, v14, vcc_lo
	global_store_b16 v[13:14], v35, off
	s_or_b32 exec_lo, exec_lo, s18
	s_and_saveexec_b32 s18, s1
	s_cbranch_execnz .LBB1091_219
	s_branch .LBB1091_220
.LBB1091_184:
	s_and_b32 vcc_lo, exec_lo, s16
	s_cbranch_vccz .LBB1091_224
; %bb.185:
	s_mov_b32 s15, exec_lo
	v_cmpx_gt_i16_e32 2, v7
	s_cbranch_execz .LBB1091_242
; %bb.186:
	s_mov_b32 s18, 0
	s_mov_b32 s16, exec_lo
	v_cmpx_ne_u16_e32 1, v7
	s_xor_b32 s16, exec_lo, s16
	s_cbranch_execz .LBB1091_203
; %bb.187:
	s_and_saveexec_b32 s18, s14
	s_cbranch_execz .LBB1091_225
; %bb.188:
	v_sub_nc_u32_e32 v7, v48, v5
	s_delay_alu instid0(VALU_DEP_1)
	v_lshlrev_b32_e32 v7, 1, v7
	ds_store_b16 v7, v49
	s_or_b32 exec_lo, exec_lo, s18
	s_and_saveexec_b32 s14, s13
	s_cbranch_execnz .LBB1091_226
.LBB1091_189:
	s_or_b32 exec_lo, exec_lo, s14
	s_and_saveexec_b32 s13, s12
	s_cbranch_execz .LBB1091_227
.LBB1091_190:
	v_sub_nc_u32_e32 v7, v42, v5
	s_delay_alu instid0(VALU_DEP_1)
	v_lshlrev_b32_e32 v7, 1, v7
	ds_store_b16 v7, v43
	s_or_b32 exec_lo, exec_lo, s13
	s_and_saveexec_b32 s12, s11
	s_cbranch_execnz .LBB1091_228
.LBB1091_191:
	s_or_b32 exec_lo, exec_lo, s12
	s_and_saveexec_b32 s11, s10
	s_cbranch_execz .LBB1091_229
.LBB1091_192:
	v_sub_nc_u32_e32 v7, v28, v5
	s_delay_alu instid0(VALU_DEP_1)
	v_lshlrev_b32_e32 v7, 1, v7
	ds_store_b16 v7, v29
	s_or_b32 exec_lo, exec_lo, s11
	s_and_saveexec_b32 s10, s9
	s_cbranch_execnz .LBB1091_230
.LBB1091_193:
	s_or_b32 exec_lo, exec_lo, s10
	s_and_saveexec_b32 s9, s8
	s_cbranch_execz .LBB1091_231
.LBB1091_194:
	v_sub_nc_u32_e32 v7, v24, v5
	s_delay_alu instid0(VALU_DEP_1)
	v_lshlrev_b32_e32 v7, 1, v7
	ds_store_b16 v7, v25
	s_or_b32 exec_lo, exec_lo, s9
	s_and_saveexec_b32 s8, s7
	s_cbranch_execnz .LBB1091_232
.LBB1091_195:
	s_or_b32 exec_lo, exec_lo, s8
	s_and_saveexec_b32 s7, s6
	s_cbranch_execz .LBB1091_233
.LBB1091_196:
	v_sub_nc_u32_e32 v7, v50, v5
	s_delay_alu instid0(VALU_DEP_1)
	v_lshlrev_b32_e32 v7, 1, v7
	ds_store_b16 v7, v51
	s_or_b32 exec_lo, exec_lo, s7
	s_and_saveexec_b32 s6, s5
	s_cbranch_execnz .LBB1091_234
.LBB1091_197:
	s_or_b32 exec_lo, exec_lo, s6
	s_and_saveexec_b32 s5, s4
	s_cbranch_execz .LBB1091_235
.LBB1091_198:
	v_sub_nc_u32_e32 v7, v36, v5
	s_delay_alu instid0(VALU_DEP_1)
	v_lshlrev_b32_e32 v7, 1, v7
	ds_store_b16 v7, v37
	s_or_b32 exec_lo, exec_lo, s5
	s_and_saveexec_b32 s4, s3
	s_cbranch_execnz .LBB1091_236
.LBB1091_199:
	s_or_b32 exec_lo, exec_lo, s4
	s_and_saveexec_b32 s3, s2
	s_cbranch_execz .LBB1091_237
.LBB1091_200:
	v_sub_nc_u32_e32 v7, v34, v5
	s_delay_alu instid0(VALU_DEP_1)
	v_lshlrev_b32_e32 v7, 1, v7
	ds_store_b16 v7, v35
	s_or_b32 exec_lo, exec_lo, s3
	s_and_saveexec_b32 s2, s1
	s_cbranch_execnz .LBB1091_238
	s_branch .LBB1091_239
.LBB1091_201:
	s_and_not1_saveexec_b32 s15, s15
	s_cbranch_execz .LBB1091_221
.LBB1091_202:
	v_sub_nc_u32_e32 v13, v48, v5
	v_mov_b32_e32 v14, 0
	s_or_b32 s18, s18, exec_lo
	s_delay_alu instid0(VALU_DEP_1) | instskip(SKIP_1) | instid1(VALU_DEP_1)
	v_lshlrev_b64 v[15:16], 1, v[13:14]
	v_sub_nc_u32_e32 v13, v44, v5
	v_lshlrev_b64 v[17:18], 1, v[13:14]
	v_sub_nc_u32_e32 v13, v42, v5
	s_delay_alu instid0(VALU_DEP_4) | instskip(SKIP_1) | instid1(VALU_DEP_3)
	v_add_co_u32 v15, vcc_lo, v11, v15
	v_add_co_ci_u32_e32 v16, vcc_lo, v12, v16, vcc_lo
	v_lshlrev_b64 v[52:53], 1, v[13:14]
	v_sub_nc_u32_e32 v13, v40, v5
	v_add_co_u32 v17, vcc_lo, v11, v17
	v_add_co_ci_u32_e32 v18, vcc_lo, v12, v18, vcc_lo
	global_store_b16 v[15:16], v49, off
	v_lshlrev_b64 v[15:16], 1, v[13:14]
	v_sub_nc_u32_e32 v13, v28, v5
	global_store_b16 v[17:18], v45, off
	v_add_co_u32 v17, vcc_lo, v11, v52
	v_add_co_ci_u32_e32 v18, vcc_lo, v12, v53, vcc_lo
	v_lshlrev_b64 v[52:53], 1, v[13:14]
	v_sub_nc_u32_e32 v13, v26, v5
	v_add_co_u32 v15, vcc_lo, v11, v15
	v_add_co_ci_u32_e32 v16, vcc_lo, v12, v16, vcc_lo
	s_delay_alu instid0(VALU_DEP_3) | instskip(SKIP_3) | instid1(VALU_DEP_3)
	v_lshlrev_b64 v[54:55], 1, v[13:14]
	v_sub_nc_u32_e32 v13, v24, v5
	v_add_co_u32 v52, vcc_lo, v11, v52
	v_add_co_ci_u32_e32 v53, vcc_lo, v12, v53, vcc_lo
	v_lshlrev_b64 v[56:57], 1, v[13:14]
	v_sub_nc_u32_e32 v13, v46, v5
	v_add_co_u32 v54, vcc_lo, v11, v54
	v_add_co_ci_u32_e32 v55, vcc_lo, v12, v55, vcc_lo
	s_clause 0x3
	global_store_b16 v[17:18], v43, off
	global_store_b16 v[15:16], v41, off
	;; [unrolled: 1-line block ×4, first 2 shown]
	v_lshlrev_b64 v[15:16], 1, v[13:14]
	v_sub_nc_u32_e32 v13, v50, v5
	v_add_co_u32 v17, vcc_lo, v11, v56
	v_add_co_ci_u32_e32 v18, vcc_lo, v12, v57, vcc_lo
	s_delay_alu instid0(VALU_DEP_3) | instskip(SKIP_3) | instid1(VALU_DEP_3)
	v_lshlrev_b64 v[52:53], 1, v[13:14]
	v_sub_nc_u32_e32 v13, v38, v5
	v_add_co_u32 v15, vcc_lo, v11, v15
	v_add_co_ci_u32_e32 v16, vcc_lo, v12, v16, vcc_lo
	v_lshlrev_b64 v[54:55], 1, v[13:14]
	v_sub_nc_u32_e32 v13, v36, v5
	v_add_co_u32 v52, vcc_lo, v11, v52
	v_add_co_ci_u32_e32 v53, vcc_lo, v12, v53, vcc_lo
	s_delay_alu instid0(VALU_DEP_3)
	v_lshlrev_b64 v[56:57], 1, v[13:14]
	v_sub_nc_u32_e32 v13, v32, v5
	v_add_co_u32 v54, vcc_lo, v11, v54
	v_add_co_ci_u32_e32 v55, vcc_lo, v12, v55, vcc_lo
	s_clause 0x3
	global_store_b16 v[17:18], v25, off
	global_store_b16 v[15:16], v47, off
	;; [unrolled: 1-line block ×4, first 2 shown]
	v_lshlrev_b64 v[15:16], 1, v[13:14]
	v_sub_nc_u32_e32 v13, v34, v5
	v_add_co_u32 v17, vcc_lo, v11, v56
	v_add_co_ci_u32_e32 v18, vcc_lo, v12, v57, vcc_lo
	s_delay_alu instid0(VALU_DEP_3) | instskip(SKIP_3) | instid1(VALU_DEP_3)
	v_lshlrev_b64 v[52:53], 1, v[13:14]
	v_sub_nc_u32_e32 v13, v30, v5
	v_add_co_u32 v15, vcc_lo, v11, v15
	v_add_co_ci_u32_e32 v16, vcc_lo, v12, v16, vcc_lo
	v_lshlrev_b64 v[13:14], 1, v[13:14]
	v_add_co_u32 v52, vcc_lo, v11, v52
	v_add_co_ci_u32_e32 v53, vcc_lo, v12, v53, vcc_lo
	s_clause 0x2
	global_store_b16 v[17:18], v37, off
	global_store_b16 v[15:16], v33, off
	;; [unrolled: 1-line block ×3, first 2 shown]
	v_add_co_u32 v13, vcc_lo, v11, v13
	v_add_co_ci_u32_e32 v14, vcc_lo, v12, v14, vcc_lo
	global_store_b16 v[13:14], v31, off
	s_or_b32 exec_lo, exec_lo, s15
	s_delay_alu instid0(SALU_CYCLE_1)
	s_and_b32 exec_lo, exec_lo, s18
	s_cbranch_execnz .LBB1091_222
	s_branch .LBB1091_223
.LBB1091_203:
	s_and_not1_saveexec_b32 s0, s16
	s_cbranch_execz .LBB1091_240
.LBB1091_204:
	v_sub_nc_u32_e32 v7, v48, v5
	v_sub_nc_u32_e32 v8, v44, v5
	;; [unrolled: 1-line block ×5, first 2 shown]
	v_lshlrev_b32_e32 v7, 1, v7
	v_lshlrev_b32_e32 v8, 1, v8
	;; [unrolled: 1-line block ×4, first 2 shown]
	s_or_b32 s18, s18, exec_lo
	ds_store_b16 v7, v49
	ds_store_b16 v8, v45
	;; [unrolled: 1-line block ×3, first 2 shown]
	v_sub_nc_u32_e32 v7, v28, v5
	v_sub_nc_u32_e32 v8, v26, v5
	;; [unrolled: 1-line block ×3, first 2 shown]
	ds_store_b16 v14, v41
	v_sub_nc_u32_e32 v14, v46, v5
	v_lshlrev_b32_e32 v7, 1, v7
	v_lshlrev_b32_e32 v8, 1, v8
	v_lshlrev_b32_e32 v13, 1, v13
	s_delay_alu instid0(VALU_DEP_4)
	v_lshlrev_b32_e32 v14, 1, v14
	ds_store_b16 v7, v29
	v_lshlrev_b32_e32 v7, 1, v15
	ds_store_b16 v8, v27
	ds_store_b16 v13, v25
	;; [unrolled: 1-line block ×3, first 2 shown]
	v_sub_nc_u32_e32 v8, v38, v5
	v_sub_nc_u32_e32 v15, v30, v5
	;; [unrolled: 1-line block ×3, first 2 shown]
	ds_store_b16 v7, v51
	v_sub_nc_u32_e32 v7, v36, v5
	v_lshlrev_b32_e32 v8, 1, v8
	v_sub_nc_u32_e32 v14, v34, v5
	v_lshlrev_b32_e32 v13, 1, v13
	s_delay_alu instid0(VALU_DEP_4)
	v_lshlrev_b32_e32 v7, 1, v7
	ds_store_b16 v8, v39
	v_lshlrev_b32_e32 v8, 1, v15
	v_lshlrev_b32_e32 v14, 1, v14
	ds_store_b16 v7, v37
	ds_store_b16 v13, v33
	;; [unrolled: 1-line block ×4, first 2 shown]
	s_or_b32 exec_lo, exec_lo, s0
	s_delay_alu instid0(SALU_CYCLE_1)
	s_and_b32 exec_lo, exec_lo, s18
	s_cbranch_execnz .LBB1091_241
	s_branch .LBB1091_242
.LBB1091_205:
	s_or_b32 exec_lo, exec_lo, s4
	v_mov_b32_e32 v83, s1
	s_and_saveexec_b32 s1, s34
	s_cbranch_execnz .LBB1091_77
	s_branch .LBB1091_78
.LBB1091_206:
	s_or_b32 exec_lo, exec_lo, s18
	s_and_saveexec_b32 s18, s13
	s_cbranch_execz .LBB1091_172
.LBB1091_207:
	v_sub_nc_u32_e32 v13, v44, v5
	v_mov_b32_e32 v14, 0
	s_delay_alu instid0(VALU_DEP_1) | instskip(NEXT) | instid1(VALU_DEP_1)
	v_lshlrev_b64 v[13:14], 1, v[13:14]
	v_add_co_u32 v13, vcc_lo, v11, v13
	s_delay_alu instid0(VALU_DEP_2)
	v_add_co_ci_u32_e32 v14, vcc_lo, v12, v14, vcc_lo
	global_store_b16 v[13:14], v45, off
	s_or_b32 exec_lo, exec_lo, s18
	s_and_saveexec_b32 s18, s12
	s_cbranch_execnz .LBB1091_173
.LBB1091_208:
	s_or_b32 exec_lo, exec_lo, s18
	s_and_saveexec_b32 s18, s11
	s_cbranch_execz .LBB1091_174
.LBB1091_209:
	v_sub_nc_u32_e32 v13, v40, v5
	v_mov_b32_e32 v14, 0
	s_delay_alu instid0(VALU_DEP_1) | instskip(NEXT) | instid1(VALU_DEP_1)
	v_lshlrev_b64 v[13:14], 1, v[13:14]
	v_add_co_u32 v13, vcc_lo, v11, v13
	s_delay_alu instid0(VALU_DEP_2)
	v_add_co_ci_u32_e32 v14, vcc_lo, v12, v14, vcc_lo
	global_store_b16 v[13:14], v41, off
	s_or_b32 exec_lo, exec_lo, s18
	s_and_saveexec_b32 s18, s10
	s_cbranch_execnz .LBB1091_175
.LBB1091_210:
	s_or_b32 exec_lo, exec_lo, s18
	s_and_saveexec_b32 s18, s9
	s_cbranch_execz .LBB1091_176
.LBB1091_211:
	v_sub_nc_u32_e32 v13, v26, v5
	v_mov_b32_e32 v14, 0
	s_delay_alu instid0(VALU_DEP_1) | instskip(NEXT) | instid1(VALU_DEP_1)
	v_lshlrev_b64 v[13:14], 1, v[13:14]
	v_add_co_u32 v13, vcc_lo, v11, v13
	s_delay_alu instid0(VALU_DEP_2)
	v_add_co_ci_u32_e32 v14, vcc_lo, v12, v14, vcc_lo
	global_store_b16 v[13:14], v27, off
	s_or_b32 exec_lo, exec_lo, s18
	s_and_saveexec_b32 s18, s8
	s_cbranch_execnz .LBB1091_177
.LBB1091_212:
	s_or_b32 exec_lo, exec_lo, s18
	s_and_saveexec_b32 s18, s7
	s_cbranch_execz .LBB1091_178
.LBB1091_213:
	v_sub_nc_u32_e32 v13, v46, v5
	v_mov_b32_e32 v14, 0
	s_delay_alu instid0(VALU_DEP_1) | instskip(NEXT) | instid1(VALU_DEP_1)
	v_lshlrev_b64 v[13:14], 1, v[13:14]
	v_add_co_u32 v13, vcc_lo, v11, v13
	s_delay_alu instid0(VALU_DEP_2)
	v_add_co_ci_u32_e32 v14, vcc_lo, v12, v14, vcc_lo
	global_store_b16 v[13:14], v47, off
	s_or_b32 exec_lo, exec_lo, s18
	s_and_saveexec_b32 s18, s6
	s_cbranch_execnz .LBB1091_179
.LBB1091_214:
	s_or_b32 exec_lo, exec_lo, s18
	s_and_saveexec_b32 s18, s5
	s_cbranch_execz .LBB1091_180
.LBB1091_215:
	v_sub_nc_u32_e32 v13, v38, v5
	v_mov_b32_e32 v14, 0
	s_delay_alu instid0(VALU_DEP_1) | instskip(NEXT) | instid1(VALU_DEP_1)
	v_lshlrev_b64 v[13:14], 1, v[13:14]
	v_add_co_u32 v13, vcc_lo, v11, v13
	s_delay_alu instid0(VALU_DEP_2)
	v_add_co_ci_u32_e32 v14, vcc_lo, v12, v14, vcc_lo
	global_store_b16 v[13:14], v39, off
	s_or_b32 exec_lo, exec_lo, s18
	s_and_saveexec_b32 s18, s4
	s_cbranch_execnz .LBB1091_181
.LBB1091_216:
	s_or_b32 exec_lo, exec_lo, s18
	s_and_saveexec_b32 s18, s3
	s_cbranch_execz .LBB1091_182
.LBB1091_217:
	v_sub_nc_u32_e32 v13, v32, v5
	v_mov_b32_e32 v14, 0
	s_delay_alu instid0(VALU_DEP_1) | instskip(NEXT) | instid1(VALU_DEP_1)
	v_lshlrev_b64 v[13:14], 1, v[13:14]
	v_add_co_u32 v13, vcc_lo, v11, v13
	s_delay_alu instid0(VALU_DEP_2)
	v_add_co_ci_u32_e32 v14, vcc_lo, v12, v14, vcc_lo
	global_store_b16 v[13:14], v33, off
	s_or_b32 exec_lo, exec_lo, s18
	s_and_saveexec_b32 s18, s2
	s_cbranch_execnz .LBB1091_183
.LBB1091_218:
	s_or_b32 exec_lo, exec_lo, s18
	s_and_saveexec_b32 s18, s1
	s_cbranch_execz .LBB1091_220
.LBB1091_219:
	v_sub_nc_u32_e32 v13, v30, v5
	v_mov_b32_e32 v14, 0
	s_delay_alu instid0(VALU_DEP_1) | instskip(NEXT) | instid1(VALU_DEP_1)
	v_lshlrev_b64 v[13:14], 1, v[13:14]
	v_add_co_u32 v13, vcc_lo, v11, v13
	s_delay_alu instid0(VALU_DEP_2)
	v_add_co_ci_u32_e32 v14, vcc_lo, v12, v14, vcc_lo
	global_store_b16 v[13:14], v31, off
.LBB1091_220:
	s_or_b32 exec_lo, exec_lo, s18
	s_delay_alu instid0(SALU_CYCLE_1)
	s_and_b32 s18, s0, exec_lo
	s_and_not1_saveexec_b32 s15, s15
	s_cbranch_execnz .LBB1091_202
.LBB1091_221:
	s_or_b32 exec_lo, exec_lo, s15
	s_delay_alu instid0(SALU_CYCLE_1)
	s_and_b32 exec_lo, exec_lo, s18
	s_cbranch_execz .LBB1091_223
.LBB1091_222:
	v_sub_nc_u32_e32 v13, v22, v5
	v_mov_b32_e32 v14, 0
	s_delay_alu instid0(VALU_DEP_1) | instskip(NEXT) | instid1(VALU_DEP_1)
	v_lshlrev_b64 v[13:14], 1, v[13:14]
	v_add_co_u32 v13, vcc_lo, v11, v13
	s_delay_alu instid0(VALU_DEP_2)
	v_add_co_ci_u32_e32 v14, vcc_lo, v12, v14, vcc_lo
	global_store_b16 v[13:14], v23, off
.LBB1091_223:
	s_or_b32 exec_lo, exec_lo, s16
.LBB1091_224:
	v_cmp_eq_u32_e32 vcc_lo, 0xff, v0
	s_and_b32 s0, vcc_lo, s17
	s_delay_alu instid0(SALU_CYCLE_1)
	s_and_saveexec_b32 s1, s0
	s_cbranch_execnz .LBB1091_258
	s_branch .LBB1091_260
.LBB1091_225:
	s_or_b32 exec_lo, exec_lo, s18
	s_and_saveexec_b32 s14, s13
	s_cbranch_execz .LBB1091_189
.LBB1091_226:
	v_sub_nc_u32_e32 v7, v44, v5
	s_delay_alu instid0(VALU_DEP_1)
	v_lshlrev_b32_e32 v7, 1, v7
	ds_store_b16 v7, v45
	s_or_b32 exec_lo, exec_lo, s14
	s_and_saveexec_b32 s13, s12
	s_cbranch_execnz .LBB1091_190
.LBB1091_227:
	s_or_b32 exec_lo, exec_lo, s13
	s_and_saveexec_b32 s12, s11
	s_cbranch_execz .LBB1091_191
.LBB1091_228:
	v_sub_nc_u32_e32 v7, v40, v5
	s_delay_alu instid0(VALU_DEP_1)
	v_lshlrev_b32_e32 v7, 1, v7
	ds_store_b16 v7, v41
	s_or_b32 exec_lo, exec_lo, s12
	s_and_saveexec_b32 s11, s10
	s_cbranch_execnz .LBB1091_192
.LBB1091_229:
	s_or_b32 exec_lo, exec_lo, s11
	s_and_saveexec_b32 s10, s9
	s_cbranch_execz .LBB1091_193
.LBB1091_230:
	v_sub_nc_u32_e32 v7, v26, v5
	s_delay_alu instid0(VALU_DEP_1)
	v_lshlrev_b32_e32 v7, 1, v7
	ds_store_b16 v7, v27
	s_or_b32 exec_lo, exec_lo, s10
	s_and_saveexec_b32 s9, s8
	s_cbranch_execnz .LBB1091_194
.LBB1091_231:
	s_or_b32 exec_lo, exec_lo, s9
	s_and_saveexec_b32 s8, s7
	s_cbranch_execz .LBB1091_195
.LBB1091_232:
	v_sub_nc_u32_e32 v7, v46, v5
	s_delay_alu instid0(VALU_DEP_1)
	v_lshlrev_b32_e32 v7, 1, v7
	ds_store_b16 v7, v47
	s_or_b32 exec_lo, exec_lo, s8
	s_and_saveexec_b32 s7, s6
	s_cbranch_execnz .LBB1091_196
.LBB1091_233:
	s_or_b32 exec_lo, exec_lo, s7
	s_and_saveexec_b32 s6, s5
	s_cbranch_execz .LBB1091_197
.LBB1091_234:
	v_sub_nc_u32_e32 v7, v38, v5
	s_delay_alu instid0(VALU_DEP_1)
	v_lshlrev_b32_e32 v7, 1, v7
	ds_store_b16 v7, v39
	s_or_b32 exec_lo, exec_lo, s6
	s_and_saveexec_b32 s5, s4
	s_cbranch_execnz .LBB1091_198
.LBB1091_235:
	s_or_b32 exec_lo, exec_lo, s5
	s_and_saveexec_b32 s4, s3
	s_cbranch_execz .LBB1091_199
.LBB1091_236:
	v_sub_nc_u32_e32 v7, v32, v5
	s_delay_alu instid0(VALU_DEP_1)
	v_lshlrev_b32_e32 v7, 1, v7
	ds_store_b16 v7, v33
	s_or_b32 exec_lo, exec_lo, s4
	s_and_saveexec_b32 s3, s2
	s_cbranch_execnz .LBB1091_200
.LBB1091_237:
	s_or_b32 exec_lo, exec_lo, s3
	s_and_saveexec_b32 s2, s1
	s_cbranch_execz .LBB1091_239
.LBB1091_238:
	v_sub_nc_u32_e32 v7, v30, v5
	s_delay_alu instid0(VALU_DEP_1)
	v_lshlrev_b32_e32 v7, 1, v7
	ds_store_b16 v7, v31
.LBB1091_239:
	s_or_b32 exec_lo, exec_lo, s2
	s_delay_alu instid0(SALU_CYCLE_1)
	s_and_b32 s18, s0, exec_lo
                                        ; implicit-def: $vgpr48_vgpr49
                                        ; implicit-def: $vgpr44_vgpr45
                                        ; implicit-def: $vgpr42_vgpr43
                                        ; implicit-def: $vgpr40_vgpr41
                                        ; implicit-def: $vgpr28_vgpr29
                                        ; implicit-def: $vgpr26_vgpr27
                                        ; implicit-def: $vgpr24_vgpr25
                                        ; implicit-def: $vgpr46_vgpr47
                                        ; implicit-def: $vgpr50_vgpr51
                                        ; implicit-def: $vgpr38_vgpr39
                                        ; implicit-def: $vgpr36_vgpr37
                                        ; implicit-def: $vgpr32_vgpr33
                                        ; implicit-def: $vgpr34_vgpr35
                                        ; implicit-def: $vgpr30_vgpr31
	s_and_not1_saveexec_b32 s0, s16
	s_cbranch_execnz .LBB1091_204
.LBB1091_240:
	s_or_b32 exec_lo, exec_lo, s0
	s_delay_alu instid0(SALU_CYCLE_1)
	s_and_b32 exec_lo, exec_lo, s18
	s_cbranch_execz .LBB1091_242
.LBB1091_241:
	v_sub_nc_u32_e32 v5, v22, v5
	s_delay_alu instid0(VALU_DEP_1)
	v_lshlrev_b32_e32 v5, 1, v5
	ds_store_b16 v5, v23
.LBB1091_242:
	s_or_b32 exec_lo, exec_lo, s15
	s_delay_alu instid0(SALU_CYCLE_1)
	s_mov_b32 s1, exec_lo
	s_waitcnt lgkmcnt(0)
	s_waitcnt_vscnt null, 0x0
	s_barrier
	buffer_gl0_inv
	v_cmpx_lt_u32_e64 v0, v3
	s_cbranch_execz .LBB1091_257
; %bb.243:
	v_add_nc_u32_e32 v7, v2, v6
	s_mov_b32 s0, -1
	s_mov_b32 s3, exec_lo
	s_delay_alu instid0(VALU_DEP_1) | instskip(NEXT) | instid1(VALU_DEP_1)
	v_xad_u32 v5, v0, -1, v7
	v_sub_nc_u32_e32 v6, v5, v1
	v_mov_b32_e32 v5, v0
	s_delay_alu instid0(VALU_DEP_2)
	v_cmp_gt_u32_e64 s2, 0x1b00, v6
	v_cmpx_lt_u32_e32 0x1aff, v6
	s_cbranch_execz .LBB1091_254
; %bb.244:
	v_sub_nc_u32_e32 v5, v0, v7
	s_mov_b32 s4, exec_lo
	s_delay_alu instid0(VALU_DEP_1) | instskip(SKIP_1) | instid1(VALU_DEP_2)
	v_add_nc_u32_e32 v1, v5, v1
	v_mov_b32_e32 v5, v0
	v_or_b32_e32 v1, 0xff, v1
	s_delay_alu instid0(VALU_DEP_1)
	v_cmpx_ge_u32_e64 v1, v0
	s_cbranch_execz .LBB1091_253
; %bb.245:
	v_lshrrev_b32_e32 v13, 8, v6
	v_or_b32_e32 v1, 0x100, v0
	v_lshlrev_b32_e32 v14, 1, v0
	s_delay_alu instid0(VALU_DEP_3) | instskip(NEXT) | instid1(VALU_DEP_1)
	v_dual_mov_b32 v18, 0 :: v_dual_add_nc_u32 v5, -1, v13
	v_lshrrev_b32_e32 v6, 1, v5
	v_cmp_lt_u32_e32 vcc_lo, 13, v5
	s_delay_alu instid0(VALU_DEP_2)
	v_dual_mov_b32 v6, v1 :: v_dual_add_nc_u32 v15, 1, v6
	v_mov_b32_e32 v5, v0
	s_and_saveexec_b32 s0, vcc_lo
	s_cbranch_execz .LBB1091_249
; %bb.246:
	v_mov_b32_e32 v6, v1
	v_dual_mov_b32 v17, v14 :: v_dual_and_b32 v16, -8, v15
	v_dual_mov_b32 v8, 0 :: v_dual_mov_b32 v5, v0
	s_mov_b32 s5, 0
	s_mov_b32 s6, 0
.LBB1091_247:                           ; =>This Inner Loop Header: Depth=1
	s_delay_alu instid0(VALU_DEP_1) | instskip(NEXT) | instid1(VALU_DEP_2)
	v_dual_mov_b32 v7, v5 :: v_dual_add_nc_u32 v22, 0x200, v6
	v_dual_mov_b32 v35, v8 :: v_dual_add_nc_u32 v16, -8, v16
	v_dual_mov_b32 v23, v8 :: v_dual_add_nc_u32 v24, 0x400, v6
	s_delay_alu instid0(VALU_DEP_3) | instskip(SKIP_1) | instid1(VALU_DEP_4)
	v_lshlrev_b64 v[36:37], 1, v[7:8]
	v_dual_mov_b32 v25, v8 :: v_dual_add_nc_u32 v26, 0x600, v6
	v_cmp_eq_u32_e32 vcc_lo, 0, v16
	s_delay_alu instid0(VALU_DEP_4)
	v_lshlrev_b64 v[22:23], 1, v[22:23]
	v_dual_mov_b32 v27, v8 :: v_dual_add_nc_u32 v28, 0x800, v6
	s_add_i32 s6, s6, 16
	v_lshlrev_b64 v[24:25], 1, v[24:25]
	s_or_b32 s5, vcc_lo, s5
	v_add_co_u32 v36, vcc_lo, v11, v36
	v_dual_mov_b32 v29, v8 :: v_dual_add_nc_u32 v30, 0xa00, v6
	v_add_co_ci_u32_e32 v37, vcc_lo, v12, v37, vcc_lo
	v_lshlrev_b64 v[26:27], 1, v[26:27]
	v_add_co_u32 v22, vcc_lo, v11, v22
	v_dual_mov_b32 v31, v8 :: v_dual_add_nc_u32 v32, 0xc00, v6
	v_add_co_ci_u32_e32 v23, vcc_lo, v12, v23, vcc_lo
	v_lshlrev_b64 v[28:29], 1, v[28:29]
	;; [unrolled: 4-line block ×4, first 2 shown]
	v_add_co_u32 v28, vcc_lo, v11, v28
	ds_load_u16 v1, v17
	ds_load_u16 v19, v17 offset:512
	ds_load_u16 v42, v17 offset:1024
	;; [unrolled: 1-line block ×7, first 2 shown]
	v_add_co_ci_u32_e32 v29, vcc_lo, v12, v29, vcc_lo
	v_lshlrev_b64 v[34:35], 1, v[34:35]
	v_add_co_u32 v30, vcc_lo, v11, v30
	v_lshlrev_b64 v[38:39], 1, v[7:8]
	v_add_nc_u32_e32 v7, 0x200, v5
	v_add_co_ci_u32_e32 v31, vcc_lo, v12, v31, vcc_lo
	v_add_co_u32 v32, vcc_lo, v11, v32
	v_add_co_ci_u32_e32 v33, vcc_lo, v12, v33, vcc_lo
	v_add_co_u32 v34, vcc_lo, v11, v34
	v_lshlrev_b64 v[40:41], 1, v[7:8]
	v_add_nc_u32_e32 v7, 0x400, v5
	v_add_co_ci_u32_e32 v35, vcc_lo, v12, v35, vcc_lo
	v_add_co_u32 v38, vcc_lo, v11, v38
	ds_load_u16 v48, v17 offset:4096
	ds_load_u16 v49, v17 offset:4608
	;; [unrolled: 1-line block ×8, first 2 shown]
	v_add_co_ci_u32_e32 v39, vcc_lo, v12, v39, vcc_lo
	s_waitcnt lgkmcnt(15)
	global_store_b16 v[36:37], v1, off
	v_lshlrev_b64 v[36:37], 1, v[7:8]
	v_add_nc_u32_e32 v7, 0x600, v5
	v_add_co_u32 v40, vcc_lo, v11, v40
	v_add_co_ci_u32_e32 v41, vcc_lo, v12, v41, vcc_lo
	s_waitcnt lgkmcnt(14)
	global_store_b16 v[38:39], v19, off
	v_lshlrev_b64 v[38:39], 1, v[7:8]
	v_add_nc_u32_e32 v7, 0x800, v5
	s_waitcnt lgkmcnt(13)
	global_store_b16 v[40:41], v42, off
	s_waitcnt lgkmcnt(12)
	global_store_b16 v[22:23], v43, off
	v_add_co_u32 v22, vcc_lo, v11, v36
	v_add_co_ci_u32_e32 v23, vcc_lo, v12, v37, vcc_lo
	v_lshlrev_b64 v[36:37], 1, v[7:8]
	v_add_nc_u32_e32 v7, 0xa00, v5
	v_add_co_u32 v38, vcc_lo, v11, v38
	v_add_co_ci_u32_e32 v39, vcc_lo, v12, v39, vcc_lo
	s_waitcnt lgkmcnt(11)
	global_store_b16 v[22:23], v44, off
	s_waitcnt lgkmcnt(10)
	global_store_b16 v[24:25], v45, off
	v_lshlrev_b64 v[22:23], 1, v[7:8]
	v_add_nc_u32_e32 v7, 0xc00, v5
	v_add_co_u32 v24, vcc_lo, v11, v36
	s_waitcnt lgkmcnt(9)
	global_store_b16 v[38:39], v46, off
	s_waitcnt lgkmcnt(8)
	global_store_b16 v[26:27], v47, off
	v_add_co_ci_u32_e32 v25, vcc_lo, v12, v37, vcc_lo
	v_lshlrev_b64 v[26:27], 1, v[7:8]
	v_add_nc_u32_e32 v7, 0xe00, v5
	v_add_co_u32 v22, vcc_lo, v11, v22
	v_add_co_ci_u32_e32 v23, vcc_lo, v12, v23, vcc_lo
	s_waitcnt lgkmcnt(7)
	global_store_b16 v[24:25], v48, off
	s_waitcnt lgkmcnt(6)
	global_store_b16 v[28:29], v49, off
	v_lshlrev_b64 v[24:25], 1, v[7:8]
	v_dual_mov_b32 v18, s6 :: v_dual_add_nc_u32 v17, 0x2000, v17
	s_waitcnt lgkmcnt(5)
	global_store_b16 v[22:23], v50, off
	v_add_co_u32 v22, vcc_lo, v11, v26
	v_add_nc_u32_e32 v5, 0x1000, v5
	v_add_co_ci_u32_e32 v23, vcc_lo, v12, v27, vcc_lo
	v_add_co_u32 v24, vcc_lo, v11, v24
	v_add_co_ci_u32_e32 v25, vcc_lo, v12, v25, vcc_lo
	s_waitcnt lgkmcnt(4)
	global_store_b16 v[30:31], v51, off
	s_waitcnt lgkmcnt(3)
	global_store_b16 v[22:23], v52, off
	;; [unrolled: 2-line block ×5, first 2 shown]
	s_and_not1_b32 exec_lo, exec_lo, s5
	s_cbranch_execnz .LBB1091_247
; %bb.248:
	s_or_b32 exec_lo, exec_lo, s5
.LBB1091_249:
	s_delay_alu instid0(SALU_CYCLE_1) | instskip(SKIP_3) | instid1(VALU_DEP_1)
	s_or_b32 exec_lo, exec_lo, s0
	v_and_b32_e32 v1, 7, v15
	s_mov_b32 s6, 0
	s_mov_b32 s5, exec_lo
	v_cmpx_ne_u32_e32 0, v1
	s_cbranch_execz .LBB1091_252
; %bb.250:
	v_lshl_or_b32 v14, v18, 9, v14
	v_mov_b32_e32 v8, 0
	s_set_inst_prefetch_distance 0x1
	.p2align	6
.LBB1091_251:                           ; =>This Inner Loop Header: Depth=1
	v_mov_b32_e32 v7, v5
	ds_load_u16 v19, v14
	ds_load_u16 v22, v14 offset:512
	v_add_nc_u32_e32 v14, 0x400, v14
	v_add_nc_u32_e32 v1, -1, v1
	v_add_nc_u32_e32 v5, 0x200, v5
	v_lshlrev_b64 v[15:16], 1, v[7:8]
	v_dual_mov_b32 v7, v6 :: v_dual_add_nc_u32 v6, 0x200, v6
	s_delay_alu instid0(VALU_DEP_4) | instskip(NEXT) | instid1(VALU_DEP_2)
	v_cmp_eq_u32_e32 vcc_lo, 0, v1
	v_lshlrev_b64 v[17:18], 1, v[7:8]
	s_delay_alu instid0(VALU_DEP_4) | instskip(NEXT) | instid1(VALU_DEP_1)
	v_add_co_u32 v15, s0, v11, v15
	v_add_co_ci_u32_e64 v16, s0, v12, v16, s0
	s_or_b32 s6, vcc_lo, s6
	s_delay_alu instid0(VALU_DEP_3) | instskip(NEXT) | instid1(VALU_DEP_1)
	v_add_co_u32 v17, s0, v11, v17
	v_add_co_ci_u32_e64 v18, s0, v12, v18, s0
	s_waitcnt lgkmcnt(1)
	global_store_b16 v[15:16], v19, off
	s_waitcnt lgkmcnt(0)
	global_store_b16 v[17:18], v22, off
	s_and_not1_b32 exec_lo, exec_lo, s6
	s_cbranch_execnz .LBB1091_251
.LBB1091_252:
	s_set_inst_prefetch_distance 0x2
	s_or_b32 exec_lo, exec_lo, s5
	v_add_nc_u32_e32 v1, 1, v13
	s_delay_alu instid0(VALU_DEP_1) | instskip(NEXT) | instid1(VALU_DEP_1)
	v_and_b32_e32 v5, 0x1fffffe, v1
	v_cmp_ne_u32_e32 vcc_lo, v1, v5
	v_lshl_or_b32 v5, v5, 8, v0
	s_or_not1_b32 s0, vcc_lo, exec_lo
.LBB1091_253:
	s_or_b32 exec_lo, exec_lo, s4
	s_delay_alu instid0(SALU_CYCLE_1) | instskip(SKIP_1) | instid1(SALU_CYCLE_1)
	s_and_not1_b32 s2, s2, exec_lo
	s_and_b32 s0, s0, exec_lo
	s_or_b32 s2, s2, s0
.LBB1091_254:
	s_or_b32 exec_lo, exec_lo, s3
	s_delay_alu instid0(VALU_DEP_2) | instid1(SALU_CYCLE_1)
	s_and_b32 exec_lo, exec_lo, s2
	s_cbranch_execz .LBB1091_257
; %bb.255:
	v_dual_mov_b32 v6, 0 :: v_dual_lshlrev_b32 v1, 1, v5
	s_mov_b32 s2, 0
	.p2align	6
.LBB1091_256:                           ; =>This Inner Loop Header: Depth=1
	ds_load_u16 v13, v1
	v_lshlrev_b64 v[7:8], 1, v[5:6]
	v_add_nc_u32_e32 v5, 0x100, v5
	v_add_nc_u32_e32 v1, 0x200, v1
	s_delay_alu instid0(VALU_DEP_2) | instskip(NEXT) | instid1(VALU_DEP_4)
	v_cmp_ge_u32_e32 vcc_lo, v5, v3
	v_add_co_u32 v7, s0, v11, v7
	s_delay_alu instid0(VALU_DEP_1)
	v_add_co_ci_u32_e64 v8, s0, v12, v8, s0
	s_or_b32 s2, vcc_lo, s2
	s_waitcnt lgkmcnt(0)
	global_store_b16 v[7:8], v13, off
	s_and_not1_b32 exec_lo, exec_lo, s2
	s_cbranch_execnz .LBB1091_256
.LBB1091_257:
	s_or_b32 exec_lo, exec_lo, s1
	v_cmp_eq_u32_e32 vcc_lo, 0xff, v0
	s_and_b32 s0, vcc_lo, s17
	s_delay_alu instid0(SALU_CYCLE_1)
	s_and_saveexec_b32 s1, s0
	s_cbranch_execz .LBB1091_260
.LBB1091_258:
	v_add_co_u32 v0, s0, v2, v4
	s_delay_alu instid0(VALU_DEP_1) | instskip(SKIP_1) | instid1(VALU_DEP_3)
	v_add_co_ci_u32_e64 v1, null, 0, 0, s0
	v_mov_b32_e32 v3, 0
	v_add_co_u32 v0, vcc_lo, v0, v20
	s_delay_alu instid0(VALU_DEP_3)
	v_add_co_ci_u32_e32 v1, vcc_lo, v1, v21, vcc_lo
	s_cmpk_lg_i32 s26, 0xf00
	global_store_b64 v3, v[0:1], s[30:31]
	s_cbranch_scc1 .LBB1091_260
; %bb.259:
	v_lshlrev_b64 v[0:1], 1, v[2:3]
	s_delay_alu instid0(VALU_DEP_1) | instskip(NEXT) | instid1(VALU_DEP_2)
	v_add_co_u32 v0, vcc_lo, v9, v0
	v_add_co_ci_u32_e32 v1, vcc_lo, v10, v1, vcc_lo
	global_store_b16 v[0:1], v82, off offset:-2
	s_nop 0
	s_sendmsg sendmsg(MSG_DEALLOC_VGPRS)
	s_endpgm
.LBB1091_260:
	s_nop 0
	s_sendmsg sendmsg(MSG_DEALLOC_VGPRS)
	s_endpgm
	.section	.rodata,"a",@progbits
	.p2align	6, 0x0
	.amdhsa_kernel _ZN7rocprim17ROCPRIM_400000_NS6detail17trampoline_kernelINS0_14default_configENS1_29reduce_by_key_config_selectorIjsN6thrust23THRUST_200600_302600_NS4plusIsEEEEZZNS1_33reduce_by_key_impl_wrapped_configILNS1_25lookback_scan_determinismE0ES3_S9_NS6_6detail15normal_iteratorINS6_10device_ptrIjEEEENSD_INSE_IsEEEENS6_16discard_iteratorINS6_11use_defaultEEESI_PmS8_NS6_8equal_toIjEEEE10hipError_tPvRmT2_T3_mT4_T5_T6_T7_T8_P12ihipStream_tbENKUlT_T0_E_clISt17integral_constantIbLb0EES15_IbLb1EEEEDaS11_S12_EUlS11_E_NS1_11comp_targetILNS1_3genE9ELNS1_11target_archE1100ELNS1_3gpuE3ELNS1_3repE0EEENS1_30default_config_static_selectorELNS0_4arch9wavefront6targetE0EEEvT1_
		.amdhsa_group_segment_fixed_size 15360
		.amdhsa_private_segment_fixed_size 0
		.amdhsa_kernarg_size 128
		.amdhsa_user_sgpr_count 15
		.amdhsa_user_sgpr_dispatch_ptr 0
		.amdhsa_user_sgpr_queue_ptr 0
		.amdhsa_user_sgpr_kernarg_segment_ptr 1
		.amdhsa_user_sgpr_dispatch_id 0
		.amdhsa_user_sgpr_private_segment_size 0
		.amdhsa_wavefront_size32 1
		.amdhsa_uses_dynamic_stack 0
		.amdhsa_enable_private_segment 0
		.amdhsa_system_sgpr_workgroup_id_x 1
		.amdhsa_system_sgpr_workgroup_id_y 0
		.amdhsa_system_sgpr_workgroup_id_z 0
		.amdhsa_system_sgpr_workgroup_info 0
		.amdhsa_system_vgpr_workitem_id 0
		.amdhsa_next_free_vgpr 89
		.amdhsa_next_free_sgpr 42
		.amdhsa_reserve_vcc 1
		.amdhsa_float_round_mode_32 0
		.amdhsa_float_round_mode_16_64 0
		.amdhsa_float_denorm_mode_32 3
		.amdhsa_float_denorm_mode_16_64 3
		.amdhsa_dx10_clamp 1
		.amdhsa_ieee_mode 1
		.amdhsa_fp16_overflow 0
		.amdhsa_workgroup_processor_mode 1
		.amdhsa_memory_ordered 1
		.amdhsa_forward_progress 0
		.amdhsa_shared_vgpr_count 0
		.amdhsa_exception_fp_ieee_invalid_op 0
		.amdhsa_exception_fp_denorm_src 0
		.amdhsa_exception_fp_ieee_div_zero 0
		.amdhsa_exception_fp_ieee_overflow 0
		.amdhsa_exception_fp_ieee_underflow 0
		.amdhsa_exception_fp_ieee_inexact 0
		.amdhsa_exception_int_div_zero 0
	.end_amdhsa_kernel
	.section	.text._ZN7rocprim17ROCPRIM_400000_NS6detail17trampoline_kernelINS0_14default_configENS1_29reduce_by_key_config_selectorIjsN6thrust23THRUST_200600_302600_NS4plusIsEEEEZZNS1_33reduce_by_key_impl_wrapped_configILNS1_25lookback_scan_determinismE0ES3_S9_NS6_6detail15normal_iteratorINS6_10device_ptrIjEEEENSD_INSE_IsEEEENS6_16discard_iteratorINS6_11use_defaultEEESI_PmS8_NS6_8equal_toIjEEEE10hipError_tPvRmT2_T3_mT4_T5_T6_T7_T8_P12ihipStream_tbENKUlT_T0_E_clISt17integral_constantIbLb0EES15_IbLb1EEEEDaS11_S12_EUlS11_E_NS1_11comp_targetILNS1_3genE9ELNS1_11target_archE1100ELNS1_3gpuE3ELNS1_3repE0EEENS1_30default_config_static_selectorELNS0_4arch9wavefront6targetE0EEEvT1_,"axG",@progbits,_ZN7rocprim17ROCPRIM_400000_NS6detail17trampoline_kernelINS0_14default_configENS1_29reduce_by_key_config_selectorIjsN6thrust23THRUST_200600_302600_NS4plusIsEEEEZZNS1_33reduce_by_key_impl_wrapped_configILNS1_25lookback_scan_determinismE0ES3_S9_NS6_6detail15normal_iteratorINS6_10device_ptrIjEEEENSD_INSE_IsEEEENS6_16discard_iteratorINS6_11use_defaultEEESI_PmS8_NS6_8equal_toIjEEEE10hipError_tPvRmT2_T3_mT4_T5_T6_T7_T8_P12ihipStream_tbENKUlT_T0_E_clISt17integral_constantIbLb0EES15_IbLb1EEEEDaS11_S12_EUlS11_E_NS1_11comp_targetILNS1_3genE9ELNS1_11target_archE1100ELNS1_3gpuE3ELNS1_3repE0EEENS1_30default_config_static_selectorELNS0_4arch9wavefront6targetE0EEEvT1_,comdat
.Lfunc_end1091:
	.size	_ZN7rocprim17ROCPRIM_400000_NS6detail17trampoline_kernelINS0_14default_configENS1_29reduce_by_key_config_selectorIjsN6thrust23THRUST_200600_302600_NS4plusIsEEEEZZNS1_33reduce_by_key_impl_wrapped_configILNS1_25lookback_scan_determinismE0ES3_S9_NS6_6detail15normal_iteratorINS6_10device_ptrIjEEEENSD_INSE_IsEEEENS6_16discard_iteratorINS6_11use_defaultEEESI_PmS8_NS6_8equal_toIjEEEE10hipError_tPvRmT2_T3_mT4_T5_T6_T7_T8_P12ihipStream_tbENKUlT_T0_E_clISt17integral_constantIbLb0EES15_IbLb1EEEEDaS11_S12_EUlS11_E_NS1_11comp_targetILNS1_3genE9ELNS1_11target_archE1100ELNS1_3gpuE3ELNS1_3repE0EEENS1_30default_config_static_selectorELNS0_4arch9wavefront6targetE0EEEvT1_, .Lfunc_end1091-_ZN7rocprim17ROCPRIM_400000_NS6detail17trampoline_kernelINS0_14default_configENS1_29reduce_by_key_config_selectorIjsN6thrust23THRUST_200600_302600_NS4plusIsEEEEZZNS1_33reduce_by_key_impl_wrapped_configILNS1_25lookback_scan_determinismE0ES3_S9_NS6_6detail15normal_iteratorINS6_10device_ptrIjEEEENSD_INSE_IsEEEENS6_16discard_iteratorINS6_11use_defaultEEESI_PmS8_NS6_8equal_toIjEEEE10hipError_tPvRmT2_T3_mT4_T5_T6_T7_T8_P12ihipStream_tbENKUlT_T0_E_clISt17integral_constantIbLb0EES15_IbLb1EEEEDaS11_S12_EUlS11_E_NS1_11comp_targetILNS1_3genE9ELNS1_11target_archE1100ELNS1_3gpuE3ELNS1_3repE0EEENS1_30default_config_static_selectorELNS0_4arch9wavefront6targetE0EEEvT1_
                                        ; -- End function
	.section	.AMDGPU.csdata,"",@progbits
; Kernel info:
; codeLenInByte = 18180
; NumSgprs: 44
; NumVgprs: 89
; ScratchSize: 0
; MemoryBound: 0
; FloatMode: 240
; IeeeMode: 1
; LDSByteSize: 15360 bytes/workgroup (compile time only)
; SGPRBlocks: 5
; VGPRBlocks: 11
; NumSGPRsForWavesPerEU: 44
; NumVGPRsForWavesPerEU: 89
; Occupancy: 16
; WaveLimiterHint : 1
; COMPUTE_PGM_RSRC2:SCRATCH_EN: 0
; COMPUTE_PGM_RSRC2:USER_SGPR: 15
; COMPUTE_PGM_RSRC2:TRAP_HANDLER: 0
; COMPUTE_PGM_RSRC2:TGID_X_EN: 1
; COMPUTE_PGM_RSRC2:TGID_Y_EN: 0
; COMPUTE_PGM_RSRC2:TGID_Z_EN: 0
; COMPUTE_PGM_RSRC2:TIDIG_COMP_CNT: 0
	.section	.text._ZN7rocprim17ROCPRIM_400000_NS6detail17trampoline_kernelINS0_14default_configENS1_29reduce_by_key_config_selectorIjsN6thrust23THRUST_200600_302600_NS4plusIsEEEEZZNS1_33reduce_by_key_impl_wrapped_configILNS1_25lookback_scan_determinismE0ES3_S9_NS6_6detail15normal_iteratorINS6_10device_ptrIjEEEENSD_INSE_IsEEEENS6_16discard_iteratorINS6_11use_defaultEEESI_PmS8_NS6_8equal_toIjEEEE10hipError_tPvRmT2_T3_mT4_T5_T6_T7_T8_P12ihipStream_tbENKUlT_T0_E_clISt17integral_constantIbLb0EES15_IbLb1EEEEDaS11_S12_EUlS11_E_NS1_11comp_targetILNS1_3genE8ELNS1_11target_archE1030ELNS1_3gpuE2ELNS1_3repE0EEENS1_30default_config_static_selectorELNS0_4arch9wavefront6targetE0EEEvT1_,"axG",@progbits,_ZN7rocprim17ROCPRIM_400000_NS6detail17trampoline_kernelINS0_14default_configENS1_29reduce_by_key_config_selectorIjsN6thrust23THRUST_200600_302600_NS4plusIsEEEEZZNS1_33reduce_by_key_impl_wrapped_configILNS1_25lookback_scan_determinismE0ES3_S9_NS6_6detail15normal_iteratorINS6_10device_ptrIjEEEENSD_INSE_IsEEEENS6_16discard_iteratorINS6_11use_defaultEEESI_PmS8_NS6_8equal_toIjEEEE10hipError_tPvRmT2_T3_mT4_T5_T6_T7_T8_P12ihipStream_tbENKUlT_T0_E_clISt17integral_constantIbLb0EES15_IbLb1EEEEDaS11_S12_EUlS11_E_NS1_11comp_targetILNS1_3genE8ELNS1_11target_archE1030ELNS1_3gpuE2ELNS1_3repE0EEENS1_30default_config_static_selectorELNS0_4arch9wavefront6targetE0EEEvT1_,comdat
	.protected	_ZN7rocprim17ROCPRIM_400000_NS6detail17trampoline_kernelINS0_14default_configENS1_29reduce_by_key_config_selectorIjsN6thrust23THRUST_200600_302600_NS4plusIsEEEEZZNS1_33reduce_by_key_impl_wrapped_configILNS1_25lookback_scan_determinismE0ES3_S9_NS6_6detail15normal_iteratorINS6_10device_ptrIjEEEENSD_INSE_IsEEEENS6_16discard_iteratorINS6_11use_defaultEEESI_PmS8_NS6_8equal_toIjEEEE10hipError_tPvRmT2_T3_mT4_T5_T6_T7_T8_P12ihipStream_tbENKUlT_T0_E_clISt17integral_constantIbLb0EES15_IbLb1EEEEDaS11_S12_EUlS11_E_NS1_11comp_targetILNS1_3genE8ELNS1_11target_archE1030ELNS1_3gpuE2ELNS1_3repE0EEENS1_30default_config_static_selectorELNS0_4arch9wavefront6targetE0EEEvT1_ ; -- Begin function _ZN7rocprim17ROCPRIM_400000_NS6detail17trampoline_kernelINS0_14default_configENS1_29reduce_by_key_config_selectorIjsN6thrust23THRUST_200600_302600_NS4plusIsEEEEZZNS1_33reduce_by_key_impl_wrapped_configILNS1_25lookback_scan_determinismE0ES3_S9_NS6_6detail15normal_iteratorINS6_10device_ptrIjEEEENSD_INSE_IsEEEENS6_16discard_iteratorINS6_11use_defaultEEESI_PmS8_NS6_8equal_toIjEEEE10hipError_tPvRmT2_T3_mT4_T5_T6_T7_T8_P12ihipStream_tbENKUlT_T0_E_clISt17integral_constantIbLb0EES15_IbLb1EEEEDaS11_S12_EUlS11_E_NS1_11comp_targetILNS1_3genE8ELNS1_11target_archE1030ELNS1_3gpuE2ELNS1_3repE0EEENS1_30default_config_static_selectorELNS0_4arch9wavefront6targetE0EEEvT1_
	.globl	_ZN7rocprim17ROCPRIM_400000_NS6detail17trampoline_kernelINS0_14default_configENS1_29reduce_by_key_config_selectorIjsN6thrust23THRUST_200600_302600_NS4plusIsEEEEZZNS1_33reduce_by_key_impl_wrapped_configILNS1_25lookback_scan_determinismE0ES3_S9_NS6_6detail15normal_iteratorINS6_10device_ptrIjEEEENSD_INSE_IsEEEENS6_16discard_iteratorINS6_11use_defaultEEESI_PmS8_NS6_8equal_toIjEEEE10hipError_tPvRmT2_T3_mT4_T5_T6_T7_T8_P12ihipStream_tbENKUlT_T0_E_clISt17integral_constantIbLb0EES15_IbLb1EEEEDaS11_S12_EUlS11_E_NS1_11comp_targetILNS1_3genE8ELNS1_11target_archE1030ELNS1_3gpuE2ELNS1_3repE0EEENS1_30default_config_static_selectorELNS0_4arch9wavefront6targetE0EEEvT1_
	.p2align	8
	.type	_ZN7rocprim17ROCPRIM_400000_NS6detail17trampoline_kernelINS0_14default_configENS1_29reduce_by_key_config_selectorIjsN6thrust23THRUST_200600_302600_NS4plusIsEEEEZZNS1_33reduce_by_key_impl_wrapped_configILNS1_25lookback_scan_determinismE0ES3_S9_NS6_6detail15normal_iteratorINS6_10device_ptrIjEEEENSD_INSE_IsEEEENS6_16discard_iteratorINS6_11use_defaultEEESI_PmS8_NS6_8equal_toIjEEEE10hipError_tPvRmT2_T3_mT4_T5_T6_T7_T8_P12ihipStream_tbENKUlT_T0_E_clISt17integral_constantIbLb0EES15_IbLb1EEEEDaS11_S12_EUlS11_E_NS1_11comp_targetILNS1_3genE8ELNS1_11target_archE1030ELNS1_3gpuE2ELNS1_3repE0EEENS1_30default_config_static_selectorELNS0_4arch9wavefront6targetE0EEEvT1_,@function
_ZN7rocprim17ROCPRIM_400000_NS6detail17trampoline_kernelINS0_14default_configENS1_29reduce_by_key_config_selectorIjsN6thrust23THRUST_200600_302600_NS4plusIsEEEEZZNS1_33reduce_by_key_impl_wrapped_configILNS1_25lookback_scan_determinismE0ES3_S9_NS6_6detail15normal_iteratorINS6_10device_ptrIjEEEENSD_INSE_IsEEEENS6_16discard_iteratorINS6_11use_defaultEEESI_PmS8_NS6_8equal_toIjEEEE10hipError_tPvRmT2_T3_mT4_T5_T6_T7_T8_P12ihipStream_tbENKUlT_T0_E_clISt17integral_constantIbLb0EES15_IbLb1EEEEDaS11_S12_EUlS11_E_NS1_11comp_targetILNS1_3genE8ELNS1_11target_archE1030ELNS1_3gpuE2ELNS1_3repE0EEENS1_30default_config_static_selectorELNS0_4arch9wavefront6targetE0EEEvT1_: ; @_ZN7rocprim17ROCPRIM_400000_NS6detail17trampoline_kernelINS0_14default_configENS1_29reduce_by_key_config_selectorIjsN6thrust23THRUST_200600_302600_NS4plusIsEEEEZZNS1_33reduce_by_key_impl_wrapped_configILNS1_25lookback_scan_determinismE0ES3_S9_NS6_6detail15normal_iteratorINS6_10device_ptrIjEEEENSD_INSE_IsEEEENS6_16discard_iteratorINS6_11use_defaultEEESI_PmS8_NS6_8equal_toIjEEEE10hipError_tPvRmT2_T3_mT4_T5_T6_T7_T8_P12ihipStream_tbENKUlT_T0_E_clISt17integral_constantIbLb0EES15_IbLb1EEEEDaS11_S12_EUlS11_E_NS1_11comp_targetILNS1_3genE8ELNS1_11target_archE1030ELNS1_3gpuE2ELNS1_3repE0EEENS1_30default_config_static_selectorELNS0_4arch9wavefront6targetE0EEEvT1_
; %bb.0:
	.section	.rodata,"a",@progbits
	.p2align	6, 0x0
	.amdhsa_kernel _ZN7rocprim17ROCPRIM_400000_NS6detail17trampoline_kernelINS0_14default_configENS1_29reduce_by_key_config_selectorIjsN6thrust23THRUST_200600_302600_NS4plusIsEEEEZZNS1_33reduce_by_key_impl_wrapped_configILNS1_25lookback_scan_determinismE0ES3_S9_NS6_6detail15normal_iteratorINS6_10device_ptrIjEEEENSD_INSE_IsEEEENS6_16discard_iteratorINS6_11use_defaultEEESI_PmS8_NS6_8equal_toIjEEEE10hipError_tPvRmT2_T3_mT4_T5_T6_T7_T8_P12ihipStream_tbENKUlT_T0_E_clISt17integral_constantIbLb0EES15_IbLb1EEEEDaS11_S12_EUlS11_E_NS1_11comp_targetILNS1_3genE8ELNS1_11target_archE1030ELNS1_3gpuE2ELNS1_3repE0EEENS1_30default_config_static_selectorELNS0_4arch9wavefront6targetE0EEEvT1_
		.amdhsa_group_segment_fixed_size 0
		.amdhsa_private_segment_fixed_size 0
		.amdhsa_kernarg_size 128
		.amdhsa_user_sgpr_count 15
		.amdhsa_user_sgpr_dispatch_ptr 0
		.amdhsa_user_sgpr_queue_ptr 0
		.amdhsa_user_sgpr_kernarg_segment_ptr 1
		.amdhsa_user_sgpr_dispatch_id 0
		.amdhsa_user_sgpr_private_segment_size 0
		.amdhsa_wavefront_size32 1
		.amdhsa_uses_dynamic_stack 0
		.amdhsa_enable_private_segment 0
		.amdhsa_system_sgpr_workgroup_id_x 1
		.amdhsa_system_sgpr_workgroup_id_y 0
		.amdhsa_system_sgpr_workgroup_id_z 0
		.amdhsa_system_sgpr_workgroup_info 0
		.amdhsa_system_vgpr_workitem_id 0
		.amdhsa_next_free_vgpr 1
		.amdhsa_next_free_sgpr 1
		.amdhsa_reserve_vcc 0
		.amdhsa_float_round_mode_32 0
		.amdhsa_float_round_mode_16_64 0
		.amdhsa_float_denorm_mode_32 3
		.amdhsa_float_denorm_mode_16_64 3
		.amdhsa_dx10_clamp 1
		.amdhsa_ieee_mode 1
		.amdhsa_fp16_overflow 0
		.amdhsa_workgroup_processor_mode 1
		.amdhsa_memory_ordered 1
		.amdhsa_forward_progress 0
		.amdhsa_shared_vgpr_count 0
		.amdhsa_exception_fp_ieee_invalid_op 0
		.amdhsa_exception_fp_denorm_src 0
		.amdhsa_exception_fp_ieee_div_zero 0
		.amdhsa_exception_fp_ieee_overflow 0
		.amdhsa_exception_fp_ieee_underflow 0
		.amdhsa_exception_fp_ieee_inexact 0
		.amdhsa_exception_int_div_zero 0
	.end_amdhsa_kernel
	.section	.text._ZN7rocprim17ROCPRIM_400000_NS6detail17trampoline_kernelINS0_14default_configENS1_29reduce_by_key_config_selectorIjsN6thrust23THRUST_200600_302600_NS4plusIsEEEEZZNS1_33reduce_by_key_impl_wrapped_configILNS1_25lookback_scan_determinismE0ES3_S9_NS6_6detail15normal_iteratorINS6_10device_ptrIjEEEENSD_INSE_IsEEEENS6_16discard_iteratorINS6_11use_defaultEEESI_PmS8_NS6_8equal_toIjEEEE10hipError_tPvRmT2_T3_mT4_T5_T6_T7_T8_P12ihipStream_tbENKUlT_T0_E_clISt17integral_constantIbLb0EES15_IbLb1EEEEDaS11_S12_EUlS11_E_NS1_11comp_targetILNS1_3genE8ELNS1_11target_archE1030ELNS1_3gpuE2ELNS1_3repE0EEENS1_30default_config_static_selectorELNS0_4arch9wavefront6targetE0EEEvT1_,"axG",@progbits,_ZN7rocprim17ROCPRIM_400000_NS6detail17trampoline_kernelINS0_14default_configENS1_29reduce_by_key_config_selectorIjsN6thrust23THRUST_200600_302600_NS4plusIsEEEEZZNS1_33reduce_by_key_impl_wrapped_configILNS1_25lookback_scan_determinismE0ES3_S9_NS6_6detail15normal_iteratorINS6_10device_ptrIjEEEENSD_INSE_IsEEEENS6_16discard_iteratorINS6_11use_defaultEEESI_PmS8_NS6_8equal_toIjEEEE10hipError_tPvRmT2_T3_mT4_T5_T6_T7_T8_P12ihipStream_tbENKUlT_T0_E_clISt17integral_constantIbLb0EES15_IbLb1EEEEDaS11_S12_EUlS11_E_NS1_11comp_targetILNS1_3genE8ELNS1_11target_archE1030ELNS1_3gpuE2ELNS1_3repE0EEENS1_30default_config_static_selectorELNS0_4arch9wavefront6targetE0EEEvT1_,comdat
.Lfunc_end1092:
	.size	_ZN7rocprim17ROCPRIM_400000_NS6detail17trampoline_kernelINS0_14default_configENS1_29reduce_by_key_config_selectorIjsN6thrust23THRUST_200600_302600_NS4plusIsEEEEZZNS1_33reduce_by_key_impl_wrapped_configILNS1_25lookback_scan_determinismE0ES3_S9_NS6_6detail15normal_iteratorINS6_10device_ptrIjEEEENSD_INSE_IsEEEENS6_16discard_iteratorINS6_11use_defaultEEESI_PmS8_NS6_8equal_toIjEEEE10hipError_tPvRmT2_T3_mT4_T5_T6_T7_T8_P12ihipStream_tbENKUlT_T0_E_clISt17integral_constantIbLb0EES15_IbLb1EEEEDaS11_S12_EUlS11_E_NS1_11comp_targetILNS1_3genE8ELNS1_11target_archE1030ELNS1_3gpuE2ELNS1_3repE0EEENS1_30default_config_static_selectorELNS0_4arch9wavefront6targetE0EEEvT1_, .Lfunc_end1092-_ZN7rocprim17ROCPRIM_400000_NS6detail17trampoline_kernelINS0_14default_configENS1_29reduce_by_key_config_selectorIjsN6thrust23THRUST_200600_302600_NS4plusIsEEEEZZNS1_33reduce_by_key_impl_wrapped_configILNS1_25lookback_scan_determinismE0ES3_S9_NS6_6detail15normal_iteratorINS6_10device_ptrIjEEEENSD_INSE_IsEEEENS6_16discard_iteratorINS6_11use_defaultEEESI_PmS8_NS6_8equal_toIjEEEE10hipError_tPvRmT2_T3_mT4_T5_T6_T7_T8_P12ihipStream_tbENKUlT_T0_E_clISt17integral_constantIbLb0EES15_IbLb1EEEEDaS11_S12_EUlS11_E_NS1_11comp_targetILNS1_3genE8ELNS1_11target_archE1030ELNS1_3gpuE2ELNS1_3repE0EEENS1_30default_config_static_selectorELNS0_4arch9wavefront6targetE0EEEvT1_
                                        ; -- End function
	.section	.AMDGPU.csdata,"",@progbits
; Kernel info:
; codeLenInByte = 0
; NumSgprs: 0
; NumVgprs: 0
; ScratchSize: 0
; MemoryBound: 0
; FloatMode: 240
; IeeeMode: 1
; LDSByteSize: 0 bytes/workgroup (compile time only)
; SGPRBlocks: 0
; VGPRBlocks: 0
; NumSGPRsForWavesPerEU: 1
; NumVGPRsForWavesPerEU: 1
; Occupancy: 16
; WaveLimiterHint : 0
; COMPUTE_PGM_RSRC2:SCRATCH_EN: 0
; COMPUTE_PGM_RSRC2:USER_SGPR: 15
; COMPUTE_PGM_RSRC2:TRAP_HANDLER: 0
; COMPUTE_PGM_RSRC2:TGID_X_EN: 1
; COMPUTE_PGM_RSRC2:TGID_Y_EN: 0
; COMPUTE_PGM_RSRC2:TGID_Z_EN: 0
; COMPUTE_PGM_RSRC2:TIDIG_COMP_CNT: 0
	.section	.text._ZN6thrust23THRUST_200600_302600_NS11hip_rocprim14__parallel_for6kernelILj256ENS1_20__uninitialized_fill7functorINS0_10device_ptrIiEEiEEmLj1EEEvT0_T1_SA_,"axG",@progbits,_ZN6thrust23THRUST_200600_302600_NS11hip_rocprim14__parallel_for6kernelILj256ENS1_20__uninitialized_fill7functorINS0_10device_ptrIiEEiEEmLj1EEEvT0_T1_SA_,comdat
	.protected	_ZN6thrust23THRUST_200600_302600_NS11hip_rocprim14__parallel_for6kernelILj256ENS1_20__uninitialized_fill7functorINS0_10device_ptrIiEEiEEmLj1EEEvT0_T1_SA_ ; -- Begin function _ZN6thrust23THRUST_200600_302600_NS11hip_rocprim14__parallel_for6kernelILj256ENS1_20__uninitialized_fill7functorINS0_10device_ptrIiEEiEEmLj1EEEvT0_T1_SA_
	.globl	_ZN6thrust23THRUST_200600_302600_NS11hip_rocprim14__parallel_for6kernelILj256ENS1_20__uninitialized_fill7functorINS0_10device_ptrIiEEiEEmLj1EEEvT0_T1_SA_
	.p2align	8
	.type	_ZN6thrust23THRUST_200600_302600_NS11hip_rocprim14__parallel_for6kernelILj256ENS1_20__uninitialized_fill7functorINS0_10device_ptrIiEEiEEmLj1EEEvT0_T1_SA_,@function
_ZN6thrust23THRUST_200600_302600_NS11hip_rocprim14__parallel_for6kernelILj256ENS1_20__uninitialized_fill7functorINS0_10device_ptrIiEEiEEmLj1EEEvT0_T1_SA_: ; @_ZN6thrust23THRUST_200600_302600_NS11hip_rocprim14__parallel_for6kernelILj256ENS1_20__uninitialized_fill7functorINS0_10device_ptrIiEEiEEmLj1EEEvT0_T1_SA_
; %bb.0:
	s_load_b128 s[4:7], s[0:1], 0x10
	s_lshl_b32 s2, s15, 8
	s_waitcnt lgkmcnt(0)
	s_add_u32 s2, s2, s6
	s_addc_u32 s3, 0, s7
	s_sub_u32 s4, s4, s2
	s_subb_u32 s5, s5, s3
	s_delay_alu instid0(SALU_CYCLE_1) | instskip(NEXT) | instid1(VALU_DEP_1)
	v_cmp_gt_u64_e64 s5, 0x100, s[4:5]
	s_and_b32 vcc_lo, exec_lo, s5
	s_mov_b32 s5, 0
	s_cbranch_vccz .LBB1093_2
; %bb.1:
	v_cmp_gt_u32_e32 vcc_lo, s4, v0
	s_and_b32 s5, vcc_lo, exec_lo
	s_cbranch_execz .LBB1093_3
	s_branch .LBB1093_4
.LBB1093_2:
.LBB1093_3:
	s_or_b32 s5, s5, exec_lo
.LBB1093_4:
	s_delay_alu instid0(SALU_CYCLE_1)
	s_and_saveexec_b32 s4, s5
	s_cbranch_execnz .LBB1093_6
; %bb.5:
	s_endpgm
.LBB1093_6:
	s_clause 0x1
	s_load_b64 s[4:5], s[0:1], 0x0
	s_load_b32 s6, s[0:1], 0x8
	v_mov_b32_e32 v1, 0
	s_lshl_b64 s[0:1], s[2:3], 2
	s_waitcnt lgkmcnt(0)
	s_add_u32 s0, s4, s0
	v_mov_b32_e32 v2, s6
	v_lshlrev_b64 v[0:1], 2, v[0:1]
	s_addc_u32 s1, s5, s1
	s_delay_alu instid0(VALU_DEP_1) | instskip(NEXT) | instid1(VALU_DEP_2)
	v_add_co_u32 v0, vcc_lo, s0, v0
	v_add_co_ci_u32_e32 v1, vcc_lo, s1, v1, vcc_lo
	flat_store_b32 v[0:1], v2
	s_endpgm
	.section	.rodata,"a",@progbits
	.p2align	6, 0x0
	.amdhsa_kernel _ZN6thrust23THRUST_200600_302600_NS11hip_rocprim14__parallel_for6kernelILj256ENS1_20__uninitialized_fill7functorINS0_10device_ptrIiEEiEEmLj1EEEvT0_T1_SA_
		.amdhsa_group_segment_fixed_size 0
		.amdhsa_private_segment_fixed_size 0
		.amdhsa_kernarg_size 32
		.amdhsa_user_sgpr_count 15
		.amdhsa_user_sgpr_dispatch_ptr 0
		.amdhsa_user_sgpr_queue_ptr 0
		.amdhsa_user_sgpr_kernarg_segment_ptr 1
		.amdhsa_user_sgpr_dispatch_id 0
		.amdhsa_user_sgpr_private_segment_size 0
		.amdhsa_wavefront_size32 1
		.amdhsa_uses_dynamic_stack 0
		.amdhsa_enable_private_segment 0
		.amdhsa_system_sgpr_workgroup_id_x 1
		.amdhsa_system_sgpr_workgroup_id_y 0
		.amdhsa_system_sgpr_workgroup_id_z 0
		.amdhsa_system_sgpr_workgroup_info 0
		.amdhsa_system_vgpr_workitem_id 0
		.amdhsa_next_free_vgpr 3
		.amdhsa_next_free_sgpr 16
		.amdhsa_reserve_vcc 1
		.amdhsa_float_round_mode_32 0
		.amdhsa_float_round_mode_16_64 0
		.amdhsa_float_denorm_mode_32 3
		.amdhsa_float_denorm_mode_16_64 3
		.amdhsa_dx10_clamp 1
		.amdhsa_ieee_mode 1
		.amdhsa_fp16_overflow 0
		.amdhsa_workgroup_processor_mode 1
		.amdhsa_memory_ordered 1
		.amdhsa_forward_progress 0
		.amdhsa_shared_vgpr_count 0
		.amdhsa_exception_fp_ieee_invalid_op 0
		.amdhsa_exception_fp_denorm_src 0
		.amdhsa_exception_fp_ieee_div_zero 0
		.amdhsa_exception_fp_ieee_overflow 0
		.amdhsa_exception_fp_ieee_underflow 0
		.amdhsa_exception_fp_ieee_inexact 0
		.amdhsa_exception_int_div_zero 0
	.end_amdhsa_kernel
	.section	.text._ZN6thrust23THRUST_200600_302600_NS11hip_rocprim14__parallel_for6kernelILj256ENS1_20__uninitialized_fill7functorINS0_10device_ptrIiEEiEEmLj1EEEvT0_T1_SA_,"axG",@progbits,_ZN6thrust23THRUST_200600_302600_NS11hip_rocprim14__parallel_for6kernelILj256ENS1_20__uninitialized_fill7functorINS0_10device_ptrIiEEiEEmLj1EEEvT0_T1_SA_,comdat
.Lfunc_end1093:
	.size	_ZN6thrust23THRUST_200600_302600_NS11hip_rocprim14__parallel_for6kernelILj256ENS1_20__uninitialized_fill7functorINS0_10device_ptrIiEEiEEmLj1EEEvT0_T1_SA_, .Lfunc_end1093-_ZN6thrust23THRUST_200600_302600_NS11hip_rocprim14__parallel_for6kernelILj256ENS1_20__uninitialized_fill7functorINS0_10device_ptrIiEEiEEmLj1EEEvT0_T1_SA_
                                        ; -- End function
	.section	.AMDGPU.csdata,"",@progbits
; Kernel info:
; codeLenInByte = 176
; NumSgprs: 18
; NumVgprs: 3
; ScratchSize: 0
; MemoryBound: 0
; FloatMode: 240
; IeeeMode: 1
; LDSByteSize: 0 bytes/workgroup (compile time only)
; SGPRBlocks: 2
; VGPRBlocks: 0
; NumSGPRsForWavesPerEU: 18
; NumVGPRsForWavesPerEU: 3
; Occupancy: 16
; WaveLimiterHint : 0
; COMPUTE_PGM_RSRC2:SCRATCH_EN: 0
; COMPUTE_PGM_RSRC2:USER_SGPR: 15
; COMPUTE_PGM_RSRC2:TRAP_HANDLER: 0
; COMPUTE_PGM_RSRC2:TGID_X_EN: 1
; COMPUTE_PGM_RSRC2:TGID_Y_EN: 0
; COMPUTE_PGM_RSRC2:TGID_Z_EN: 0
; COMPUTE_PGM_RSRC2:TIDIG_COMP_CNT: 0
	.section	.text._ZN7rocprim17ROCPRIM_400000_NS6detail17trampoline_kernelINS0_14default_configENS1_29reduce_by_key_config_selectorIiiN6thrust23THRUST_200600_302600_NS4plusIiEEEEZZNS1_33reduce_by_key_impl_wrapped_configILNS1_25lookback_scan_determinismE0ES3_S9_NS6_10device_ptrIiEESD_SD_SD_PmS8_NS6_8equal_toIiEEEE10hipError_tPvRmT2_T3_mT4_T5_T6_T7_T8_P12ihipStream_tbENKUlT_T0_E_clISt17integral_constantIbLb0EESY_EEDaST_SU_EUlST_E_NS1_11comp_targetILNS1_3genE0ELNS1_11target_archE4294967295ELNS1_3gpuE0ELNS1_3repE0EEENS1_30default_config_static_selectorELNS0_4arch9wavefront6targetE0EEEvT1_,"axG",@progbits,_ZN7rocprim17ROCPRIM_400000_NS6detail17trampoline_kernelINS0_14default_configENS1_29reduce_by_key_config_selectorIiiN6thrust23THRUST_200600_302600_NS4plusIiEEEEZZNS1_33reduce_by_key_impl_wrapped_configILNS1_25lookback_scan_determinismE0ES3_S9_NS6_10device_ptrIiEESD_SD_SD_PmS8_NS6_8equal_toIiEEEE10hipError_tPvRmT2_T3_mT4_T5_T6_T7_T8_P12ihipStream_tbENKUlT_T0_E_clISt17integral_constantIbLb0EESY_EEDaST_SU_EUlST_E_NS1_11comp_targetILNS1_3genE0ELNS1_11target_archE4294967295ELNS1_3gpuE0ELNS1_3repE0EEENS1_30default_config_static_selectorELNS0_4arch9wavefront6targetE0EEEvT1_,comdat
	.protected	_ZN7rocprim17ROCPRIM_400000_NS6detail17trampoline_kernelINS0_14default_configENS1_29reduce_by_key_config_selectorIiiN6thrust23THRUST_200600_302600_NS4plusIiEEEEZZNS1_33reduce_by_key_impl_wrapped_configILNS1_25lookback_scan_determinismE0ES3_S9_NS6_10device_ptrIiEESD_SD_SD_PmS8_NS6_8equal_toIiEEEE10hipError_tPvRmT2_T3_mT4_T5_T6_T7_T8_P12ihipStream_tbENKUlT_T0_E_clISt17integral_constantIbLb0EESY_EEDaST_SU_EUlST_E_NS1_11comp_targetILNS1_3genE0ELNS1_11target_archE4294967295ELNS1_3gpuE0ELNS1_3repE0EEENS1_30default_config_static_selectorELNS0_4arch9wavefront6targetE0EEEvT1_ ; -- Begin function _ZN7rocprim17ROCPRIM_400000_NS6detail17trampoline_kernelINS0_14default_configENS1_29reduce_by_key_config_selectorIiiN6thrust23THRUST_200600_302600_NS4plusIiEEEEZZNS1_33reduce_by_key_impl_wrapped_configILNS1_25lookback_scan_determinismE0ES3_S9_NS6_10device_ptrIiEESD_SD_SD_PmS8_NS6_8equal_toIiEEEE10hipError_tPvRmT2_T3_mT4_T5_T6_T7_T8_P12ihipStream_tbENKUlT_T0_E_clISt17integral_constantIbLb0EESY_EEDaST_SU_EUlST_E_NS1_11comp_targetILNS1_3genE0ELNS1_11target_archE4294967295ELNS1_3gpuE0ELNS1_3repE0EEENS1_30default_config_static_selectorELNS0_4arch9wavefront6targetE0EEEvT1_
	.globl	_ZN7rocprim17ROCPRIM_400000_NS6detail17trampoline_kernelINS0_14default_configENS1_29reduce_by_key_config_selectorIiiN6thrust23THRUST_200600_302600_NS4plusIiEEEEZZNS1_33reduce_by_key_impl_wrapped_configILNS1_25lookback_scan_determinismE0ES3_S9_NS6_10device_ptrIiEESD_SD_SD_PmS8_NS6_8equal_toIiEEEE10hipError_tPvRmT2_T3_mT4_T5_T6_T7_T8_P12ihipStream_tbENKUlT_T0_E_clISt17integral_constantIbLb0EESY_EEDaST_SU_EUlST_E_NS1_11comp_targetILNS1_3genE0ELNS1_11target_archE4294967295ELNS1_3gpuE0ELNS1_3repE0EEENS1_30default_config_static_selectorELNS0_4arch9wavefront6targetE0EEEvT1_
	.p2align	8
	.type	_ZN7rocprim17ROCPRIM_400000_NS6detail17trampoline_kernelINS0_14default_configENS1_29reduce_by_key_config_selectorIiiN6thrust23THRUST_200600_302600_NS4plusIiEEEEZZNS1_33reduce_by_key_impl_wrapped_configILNS1_25lookback_scan_determinismE0ES3_S9_NS6_10device_ptrIiEESD_SD_SD_PmS8_NS6_8equal_toIiEEEE10hipError_tPvRmT2_T3_mT4_T5_T6_T7_T8_P12ihipStream_tbENKUlT_T0_E_clISt17integral_constantIbLb0EESY_EEDaST_SU_EUlST_E_NS1_11comp_targetILNS1_3genE0ELNS1_11target_archE4294967295ELNS1_3gpuE0ELNS1_3repE0EEENS1_30default_config_static_selectorELNS0_4arch9wavefront6targetE0EEEvT1_,@function
_ZN7rocprim17ROCPRIM_400000_NS6detail17trampoline_kernelINS0_14default_configENS1_29reduce_by_key_config_selectorIiiN6thrust23THRUST_200600_302600_NS4plusIiEEEEZZNS1_33reduce_by_key_impl_wrapped_configILNS1_25lookback_scan_determinismE0ES3_S9_NS6_10device_ptrIiEESD_SD_SD_PmS8_NS6_8equal_toIiEEEE10hipError_tPvRmT2_T3_mT4_T5_T6_T7_T8_P12ihipStream_tbENKUlT_T0_E_clISt17integral_constantIbLb0EESY_EEDaST_SU_EUlST_E_NS1_11comp_targetILNS1_3genE0ELNS1_11target_archE4294967295ELNS1_3gpuE0ELNS1_3repE0EEENS1_30default_config_static_selectorELNS0_4arch9wavefront6targetE0EEEvT1_: ; @_ZN7rocprim17ROCPRIM_400000_NS6detail17trampoline_kernelINS0_14default_configENS1_29reduce_by_key_config_selectorIiiN6thrust23THRUST_200600_302600_NS4plusIiEEEEZZNS1_33reduce_by_key_impl_wrapped_configILNS1_25lookback_scan_determinismE0ES3_S9_NS6_10device_ptrIiEESD_SD_SD_PmS8_NS6_8equal_toIiEEEE10hipError_tPvRmT2_T3_mT4_T5_T6_T7_T8_P12ihipStream_tbENKUlT_T0_E_clISt17integral_constantIbLb0EESY_EEDaST_SU_EUlST_E_NS1_11comp_targetILNS1_3genE0ELNS1_11target_archE4294967295ELNS1_3gpuE0ELNS1_3repE0EEENS1_30default_config_static_selectorELNS0_4arch9wavefront6targetE0EEEvT1_
; %bb.0:
	.section	.rodata,"a",@progbits
	.p2align	6, 0x0
	.amdhsa_kernel _ZN7rocprim17ROCPRIM_400000_NS6detail17trampoline_kernelINS0_14default_configENS1_29reduce_by_key_config_selectorIiiN6thrust23THRUST_200600_302600_NS4plusIiEEEEZZNS1_33reduce_by_key_impl_wrapped_configILNS1_25lookback_scan_determinismE0ES3_S9_NS6_10device_ptrIiEESD_SD_SD_PmS8_NS6_8equal_toIiEEEE10hipError_tPvRmT2_T3_mT4_T5_T6_T7_T8_P12ihipStream_tbENKUlT_T0_E_clISt17integral_constantIbLb0EESY_EEDaST_SU_EUlST_E_NS1_11comp_targetILNS1_3genE0ELNS1_11target_archE4294967295ELNS1_3gpuE0ELNS1_3repE0EEENS1_30default_config_static_selectorELNS0_4arch9wavefront6targetE0EEEvT1_
		.amdhsa_group_segment_fixed_size 0
		.amdhsa_private_segment_fixed_size 0
		.amdhsa_kernarg_size 120
		.amdhsa_user_sgpr_count 15
		.amdhsa_user_sgpr_dispatch_ptr 0
		.amdhsa_user_sgpr_queue_ptr 0
		.amdhsa_user_sgpr_kernarg_segment_ptr 1
		.amdhsa_user_sgpr_dispatch_id 0
		.amdhsa_user_sgpr_private_segment_size 0
		.amdhsa_wavefront_size32 1
		.amdhsa_uses_dynamic_stack 0
		.amdhsa_enable_private_segment 0
		.amdhsa_system_sgpr_workgroup_id_x 1
		.amdhsa_system_sgpr_workgroup_id_y 0
		.amdhsa_system_sgpr_workgroup_id_z 0
		.amdhsa_system_sgpr_workgroup_info 0
		.amdhsa_system_vgpr_workitem_id 0
		.amdhsa_next_free_vgpr 1
		.amdhsa_next_free_sgpr 1
		.amdhsa_reserve_vcc 0
		.amdhsa_float_round_mode_32 0
		.amdhsa_float_round_mode_16_64 0
		.amdhsa_float_denorm_mode_32 3
		.amdhsa_float_denorm_mode_16_64 3
		.amdhsa_dx10_clamp 1
		.amdhsa_ieee_mode 1
		.amdhsa_fp16_overflow 0
		.amdhsa_workgroup_processor_mode 1
		.amdhsa_memory_ordered 1
		.amdhsa_forward_progress 0
		.amdhsa_shared_vgpr_count 0
		.amdhsa_exception_fp_ieee_invalid_op 0
		.amdhsa_exception_fp_denorm_src 0
		.amdhsa_exception_fp_ieee_div_zero 0
		.amdhsa_exception_fp_ieee_overflow 0
		.amdhsa_exception_fp_ieee_underflow 0
		.amdhsa_exception_fp_ieee_inexact 0
		.amdhsa_exception_int_div_zero 0
	.end_amdhsa_kernel
	.section	.text._ZN7rocprim17ROCPRIM_400000_NS6detail17trampoline_kernelINS0_14default_configENS1_29reduce_by_key_config_selectorIiiN6thrust23THRUST_200600_302600_NS4plusIiEEEEZZNS1_33reduce_by_key_impl_wrapped_configILNS1_25lookback_scan_determinismE0ES3_S9_NS6_10device_ptrIiEESD_SD_SD_PmS8_NS6_8equal_toIiEEEE10hipError_tPvRmT2_T3_mT4_T5_T6_T7_T8_P12ihipStream_tbENKUlT_T0_E_clISt17integral_constantIbLb0EESY_EEDaST_SU_EUlST_E_NS1_11comp_targetILNS1_3genE0ELNS1_11target_archE4294967295ELNS1_3gpuE0ELNS1_3repE0EEENS1_30default_config_static_selectorELNS0_4arch9wavefront6targetE0EEEvT1_,"axG",@progbits,_ZN7rocprim17ROCPRIM_400000_NS6detail17trampoline_kernelINS0_14default_configENS1_29reduce_by_key_config_selectorIiiN6thrust23THRUST_200600_302600_NS4plusIiEEEEZZNS1_33reduce_by_key_impl_wrapped_configILNS1_25lookback_scan_determinismE0ES3_S9_NS6_10device_ptrIiEESD_SD_SD_PmS8_NS6_8equal_toIiEEEE10hipError_tPvRmT2_T3_mT4_T5_T6_T7_T8_P12ihipStream_tbENKUlT_T0_E_clISt17integral_constantIbLb0EESY_EEDaST_SU_EUlST_E_NS1_11comp_targetILNS1_3genE0ELNS1_11target_archE4294967295ELNS1_3gpuE0ELNS1_3repE0EEENS1_30default_config_static_selectorELNS0_4arch9wavefront6targetE0EEEvT1_,comdat
.Lfunc_end1094:
	.size	_ZN7rocprim17ROCPRIM_400000_NS6detail17trampoline_kernelINS0_14default_configENS1_29reduce_by_key_config_selectorIiiN6thrust23THRUST_200600_302600_NS4plusIiEEEEZZNS1_33reduce_by_key_impl_wrapped_configILNS1_25lookback_scan_determinismE0ES3_S9_NS6_10device_ptrIiEESD_SD_SD_PmS8_NS6_8equal_toIiEEEE10hipError_tPvRmT2_T3_mT4_T5_T6_T7_T8_P12ihipStream_tbENKUlT_T0_E_clISt17integral_constantIbLb0EESY_EEDaST_SU_EUlST_E_NS1_11comp_targetILNS1_3genE0ELNS1_11target_archE4294967295ELNS1_3gpuE0ELNS1_3repE0EEENS1_30default_config_static_selectorELNS0_4arch9wavefront6targetE0EEEvT1_, .Lfunc_end1094-_ZN7rocprim17ROCPRIM_400000_NS6detail17trampoline_kernelINS0_14default_configENS1_29reduce_by_key_config_selectorIiiN6thrust23THRUST_200600_302600_NS4plusIiEEEEZZNS1_33reduce_by_key_impl_wrapped_configILNS1_25lookback_scan_determinismE0ES3_S9_NS6_10device_ptrIiEESD_SD_SD_PmS8_NS6_8equal_toIiEEEE10hipError_tPvRmT2_T3_mT4_T5_T6_T7_T8_P12ihipStream_tbENKUlT_T0_E_clISt17integral_constantIbLb0EESY_EEDaST_SU_EUlST_E_NS1_11comp_targetILNS1_3genE0ELNS1_11target_archE4294967295ELNS1_3gpuE0ELNS1_3repE0EEENS1_30default_config_static_selectorELNS0_4arch9wavefront6targetE0EEEvT1_
                                        ; -- End function
	.section	.AMDGPU.csdata,"",@progbits
; Kernel info:
; codeLenInByte = 0
; NumSgprs: 0
; NumVgprs: 0
; ScratchSize: 0
; MemoryBound: 0
; FloatMode: 240
; IeeeMode: 1
; LDSByteSize: 0 bytes/workgroup (compile time only)
; SGPRBlocks: 0
; VGPRBlocks: 0
; NumSGPRsForWavesPerEU: 1
; NumVGPRsForWavesPerEU: 1
; Occupancy: 16
; WaveLimiterHint : 0
; COMPUTE_PGM_RSRC2:SCRATCH_EN: 0
; COMPUTE_PGM_RSRC2:USER_SGPR: 15
; COMPUTE_PGM_RSRC2:TRAP_HANDLER: 0
; COMPUTE_PGM_RSRC2:TGID_X_EN: 1
; COMPUTE_PGM_RSRC2:TGID_Y_EN: 0
; COMPUTE_PGM_RSRC2:TGID_Z_EN: 0
; COMPUTE_PGM_RSRC2:TIDIG_COMP_CNT: 0
	.section	.text._ZN7rocprim17ROCPRIM_400000_NS6detail17trampoline_kernelINS0_14default_configENS1_29reduce_by_key_config_selectorIiiN6thrust23THRUST_200600_302600_NS4plusIiEEEEZZNS1_33reduce_by_key_impl_wrapped_configILNS1_25lookback_scan_determinismE0ES3_S9_NS6_10device_ptrIiEESD_SD_SD_PmS8_NS6_8equal_toIiEEEE10hipError_tPvRmT2_T3_mT4_T5_T6_T7_T8_P12ihipStream_tbENKUlT_T0_E_clISt17integral_constantIbLb0EESY_EEDaST_SU_EUlST_E_NS1_11comp_targetILNS1_3genE5ELNS1_11target_archE942ELNS1_3gpuE9ELNS1_3repE0EEENS1_30default_config_static_selectorELNS0_4arch9wavefront6targetE0EEEvT1_,"axG",@progbits,_ZN7rocprim17ROCPRIM_400000_NS6detail17trampoline_kernelINS0_14default_configENS1_29reduce_by_key_config_selectorIiiN6thrust23THRUST_200600_302600_NS4plusIiEEEEZZNS1_33reduce_by_key_impl_wrapped_configILNS1_25lookback_scan_determinismE0ES3_S9_NS6_10device_ptrIiEESD_SD_SD_PmS8_NS6_8equal_toIiEEEE10hipError_tPvRmT2_T3_mT4_T5_T6_T7_T8_P12ihipStream_tbENKUlT_T0_E_clISt17integral_constantIbLb0EESY_EEDaST_SU_EUlST_E_NS1_11comp_targetILNS1_3genE5ELNS1_11target_archE942ELNS1_3gpuE9ELNS1_3repE0EEENS1_30default_config_static_selectorELNS0_4arch9wavefront6targetE0EEEvT1_,comdat
	.protected	_ZN7rocprim17ROCPRIM_400000_NS6detail17trampoline_kernelINS0_14default_configENS1_29reduce_by_key_config_selectorIiiN6thrust23THRUST_200600_302600_NS4plusIiEEEEZZNS1_33reduce_by_key_impl_wrapped_configILNS1_25lookback_scan_determinismE0ES3_S9_NS6_10device_ptrIiEESD_SD_SD_PmS8_NS6_8equal_toIiEEEE10hipError_tPvRmT2_T3_mT4_T5_T6_T7_T8_P12ihipStream_tbENKUlT_T0_E_clISt17integral_constantIbLb0EESY_EEDaST_SU_EUlST_E_NS1_11comp_targetILNS1_3genE5ELNS1_11target_archE942ELNS1_3gpuE9ELNS1_3repE0EEENS1_30default_config_static_selectorELNS0_4arch9wavefront6targetE0EEEvT1_ ; -- Begin function _ZN7rocprim17ROCPRIM_400000_NS6detail17trampoline_kernelINS0_14default_configENS1_29reduce_by_key_config_selectorIiiN6thrust23THRUST_200600_302600_NS4plusIiEEEEZZNS1_33reduce_by_key_impl_wrapped_configILNS1_25lookback_scan_determinismE0ES3_S9_NS6_10device_ptrIiEESD_SD_SD_PmS8_NS6_8equal_toIiEEEE10hipError_tPvRmT2_T3_mT4_T5_T6_T7_T8_P12ihipStream_tbENKUlT_T0_E_clISt17integral_constantIbLb0EESY_EEDaST_SU_EUlST_E_NS1_11comp_targetILNS1_3genE5ELNS1_11target_archE942ELNS1_3gpuE9ELNS1_3repE0EEENS1_30default_config_static_selectorELNS0_4arch9wavefront6targetE0EEEvT1_
	.globl	_ZN7rocprim17ROCPRIM_400000_NS6detail17trampoline_kernelINS0_14default_configENS1_29reduce_by_key_config_selectorIiiN6thrust23THRUST_200600_302600_NS4plusIiEEEEZZNS1_33reduce_by_key_impl_wrapped_configILNS1_25lookback_scan_determinismE0ES3_S9_NS6_10device_ptrIiEESD_SD_SD_PmS8_NS6_8equal_toIiEEEE10hipError_tPvRmT2_T3_mT4_T5_T6_T7_T8_P12ihipStream_tbENKUlT_T0_E_clISt17integral_constantIbLb0EESY_EEDaST_SU_EUlST_E_NS1_11comp_targetILNS1_3genE5ELNS1_11target_archE942ELNS1_3gpuE9ELNS1_3repE0EEENS1_30default_config_static_selectorELNS0_4arch9wavefront6targetE0EEEvT1_
	.p2align	8
	.type	_ZN7rocprim17ROCPRIM_400000_NS6detail17trampoline_kernelINS0_14default_configENS1_29reduce_by_key_config_selectorIiiN6thrust23THRUST_200600_302600_NS4plusIiEEEEZZNS1_33reduce_by_key_impl_wrapped_configILNS1_25lookback_scan_determinismE0ES3_S9_NS6_10device_ptrIiEESD_SD_SD_PmS8_NS6_8equal_toIiEEEE10hipError_tPvRmT2_T3_mT4_T5_T6_T7_T8_P12ihipStream_tbENKUlT_T0_E_clISt17integral_constantIbLb0EESY_EEDaST_SU_EUlST_E_NS1_11comp_targetILNS1_3genE5ELNS1_11target_archE942ELNS1_3gpuE9ELNS1_3repE0EEENS1_30default_config_static_selectorELNS0_4arch9wavefront6targetE0EEEvT1_,@function
_ZN7rocprim17ROCPRIM_400000_NS6detail17trampoline_kernelINS0_14default_configENS1_29reduce_by_key_config_selectorIiiN6thrust23THRUST_200600_302600_NS4plusIiEEEEZZNS1_33reduce_by_key_impl_wrapped_configILNS1_25lookback_scan_determinismE0ES3_S9_NS6_10device_ptrIiEESD_SD_SD_PmS8_NS6_8equal_toIiEEEE10hipError_tPvRmT2_T3_mT4_T5_T6_T7_T8_P12ihipStream_tbENKUlT_T0_E_clISt17integral_constantIbLb0EESY_EEDaST_SU_EUlST_E_NS1_11comp_targetILNS1_3genE5ELNS1_11target_archE942ELNS1_3gpuE9ELNS1_3repE0EEENS1_30default_config_static_selectorELNS0_4arch9wavefront6targetE0EEEvT1_: ; @_ZN7rocprim17ROCPRIM_400000_NS6detail17trampoline_kernelINS0_14default_configENS1_29reduce_by_key_config_selectorIiiN6thrust23THRUST_200600_302600_NS4plusIiEEEEZZNS1_33reduce_by_key_impl_wrapped_configILNS1_25lookback_scan_determinismE0ES3_S9_NS6_10device_ptrIiEESD_SD_SD_PmS8_NS6_8equal_toIiEEEE10hipError_tPvRmT2_T3_mT4_T5_T6_T7_T8_P12ihipStream_tbENKUlT_T0_E_clISt17integral_constantIbLb0EESY_EEDaST_SU_EUlST_E_NS1_11comp_targetILNS1_3genE5ELNS1_11target_archE942ELNS1_3gpuE9ELNS1_3repE0EEENS1_30default_config_static_selectorELNS0_4arch9wavefront6targetE0EEEvT1_
; %bb.0:
	.section	.rodata,"a",@progbits
	.p2align	6, 0x0
	.amdhsa_kernel _ZN7rocprim17ROCPRIM_400000_NS6detail17trampoline_kernelINS0_14default_configENS1_29reduce_by_key_config_selectorIiiN6thrust23THRUST_200600_302600_NS4plusIiEEEEZZNS1_33reduce_by_key_impl_wrapped_configILNS1_25lookback_scan_determinismE0ES3_S9_NS6_10device_ptrIiEESD_SD_SD_PmS8_NS6_8equal_toIiEEEE10hipError_tPvRmT2_T3_mT4_T5_T6_T7_T8_P12ihipStream_tbENKUlT_T0_E_clISt17integral_constantIbLb0EESY_EEDaST_SU_EUlST_E_NS1_11comp_targetILNS1_3genE5ELNS1_11target_archE942ELNS1_3gpuE9ELNS1_3repE0EEENS1_30default_config_static_selectorELNS0_4arch9wavefront6targetE0EEEvT1_
		.amdhsa_group_segment_fixed_size 0
		.amdhsa_private_segment_fixed_size 0
		.amdhsa_kernarg_size 120
		.amdhsa_user_sgpr_count 15
		.amdhsa_user_sgpr_dispatch_ptr 0
		.amdhsa_user_sgpr_queue_ptr 0
		.amdhsa_user_sgpr_kernarg_segment_ptr 1
		.amdhsa_user_sgpr_dispatch_id 0
		.amdhsa_user_sgpr_private_segment_size 0
		.amdhsa_wavefront_size32 1
		.amdhsa_uses_dynamic_stack 0
		.amdhsa_enable_private_segment 0
		.amdhsa_system_sgpr_workgroup_id_x 1
		.amdhsa_system_sgpr_workgroup_id_y 0
		.amdhsa_system_sgpr_workgroup_id_z 0
		.amdhsa_system_sgpr_workgroup_info 0
		.amdhsa_system_vgpr_workitem_id 0
		.amdhsa_next_free_vgpr 1
		.amdhsa_next_free_sgpr 1
		.amdhsa_reserve_vcc 0
		.amdhsa_float_round_mode_32 0
		.amdhsa_float_round_mode_16_64 0
		.amdhsa_float_denorm_mode_32 3
		.amdhsa_float_denorm_mode_16_64 3
		.amdhsa_dx10_clamp 1
		.amdhsa_ieee_mode 1
		.amdhsa_fp16_overflow 0
		.amdhsa_workgroup_processor_mode 1
		.amdhsa_memory_ordered 1
		.amdhsa_forward_progress 0
		.amdhsa_shared_vgpr_count 0
		.amdhsa_exception_fp_ieee_invalid_op 0
		.amdhsa_exception_fp_denorm_src 0
		.amdhsa_exception_fp_ieee_div_zero 0
		.amdhsa_exception_fp_ieee_overflow 0
		.amdhsa_exception_fp_ieee_underflow 0
		.amdhsa_exception_fp_ieee_inexact 0
		.amdhsa_exception_int_div_zero 0
	.end_amdhsa_kernel
	.section	.text._ZN7rocprim17ROCPRIM_400000_NS6detail17trampoline_kernelINS0_14default_configENS1_29reduce_by_key_config_selectorIiiN6thrust23THRUST_200600_302600_NS4plusIiEEEEZZNS1_33reduce_by_key_impl_wrapped_configILNS1_25lookback_scan_determinismE0ES3_S9_NS6_10device_ptrIiEESD_SD_SD_PmS8_NS6_8equal_toIiEEEE10hipError_tPvRmT2_T3_mT4_T5_T6_T7_T8_P12ihipStream_tbENKUlT_T0_E_clISt17integral_constantIbLb0EESY_EEDaST_SU_EUlST_E_NS1_11comp_targetILNS1_3genE5ELNS1_11target_archE942ELNS1_3gpuE9ELNS1_3repE0EEENS1_30default_config_static_selectorELNS0_4arch9wavefront6targetE0EEEvT1_,"axG",@progbits,_ZN7rocprim17ROCPRIM_400000_NS6detail17trampoline_kernelINS0_14default_configENS1_29reduce_by_key_config_selectorIiiN6thrust23THRUST_200600_302600_NS4plusIiEEEEZZNS1_33reduce_by_key_impl_wrapped_configILNS1_25lookback_scan_determinismE0ES3_S9_NS6_10device_ptrIiEESD_SD_SD_PmS8_NS6_8equal_toIiEEEE10hipError_tPvRmT2_T3_mT4_T5_T6_T7_T8_P12ihipStream_tbENKUlT_T0_E_clISt17integral_constantIbLb0EESY_EEDaST_SU_EUlST_E_NS1_11comp_targetILNS1_3genE5ELNS1_11target_archE942ELNS1_3gpuE9ELNS1_3repE0EEENS1_30default_config_static_selectorELNS0_4arch9wavefront6targetE0EEEvT1_,comdat
.Lfunc_end1095:
	.size	_ZN7rocprim17ROCPRIM_400000_NS6detail17trampoline_kernelINS0_14default_configENS1_29reduce_by_key_config_selectorIiiN6thrust23THRUST_200600_302600_NS4plusIiEEEEZZNS1_33reduce_by_key_impl_wrapped_configILNS1_25lookback_scan_determinismE0ES3_S9_NS6_10device_ptrIiEESD_SD_SD_PmS8_NS6_8equal_toIiEEEE10hipError_tPvRmT2_T3_mT4_T5_T6_T7_T8_P12ihipStream_tbENKUlT_T0_E_clISt17integral_constantIbLb0EESY_EEDaST_SU_EUlST_E_NS1_11comp_targetILNS1_3genE5ELNS1_11target_archE942ELNS1_3gpuE9ELNS1_3repE0EEENS1_30default_config_static_selectorELNS0_4arch9wavefront6targetE0EEEvT1_, .Lfunc_end1095-_ZN7rocprim17ROCPRIM_400000_NS6detail17trampoline_kernelINS0_14default_configENS1_29reduce_by_key_config_selectorIiiN6thrust23THRUST_200600_302600_NS4plusIiEEEEZZNS1_33reduce_by_key_impl_wrapped_configILNS1_25lookback_scan_determinismE0ES3_S9_NS6_10device_ptrIiEESD_SD_SD_PmS8_NS6_8equal_toIiEEEE10hipError_tPvRmT2_T3_mT4_T5_T6_T7_T8_P12ihipStream_tbENKUlT_T0_E_clISt17integral_constantIbLb0EESY_EEDaST_SU_EUlST_E_NS1_11comp_targetILNS1_3genE5ELNS1_11target_archE942ELNS1_3gpuE9ELNS1_3repE0EEENS1_30default_config_static_selectorELNS0_4arch9wavefront6targetE0EEEvT1_
                                        ; -- End function
	.section	.AMDGPU.csdata,"",@progbits
; Kernel info:
; codeLenInByte = 0
; NumSgprs: 0
; NumVgprs: 0
; ScratchSize: 0
; MemoryBound: 0
; FloatMode: 240
; IeeeMode: 1
; LDSByteSize: 0 bytes/workgroup (compile time only)
; SGPRBlocks: 0
; VGPRBlocks: 0
; NumSGPRsForWavesPerEU: 1
; NumVGPRsForWavesPerEU: 1
; Occupancy: 16
; WaveLimiterHint : 0
; COMPUTE_PGM_RSRC2:SCRATCH_EN: 0
; COMPUTE_PGM_RSRC2:USER_SGPR: 15
; COMPUTE_PGM_RSRC2:TRAP_HANDLER: 0
; COMPUTE_PGM_RSRC2:TGID_X_EN: 1
; COMPUTE_PGM_RSRC2:TGID_Y_EN: 0
; COMPUTE_PGM_RSRC2:TGID_Z_EN: 0
; COMPUTE_PGM_RSRC2:TIDIG_COMP_CNT: 0
	.section	.text._ZN7rocprim17ROCPRIM_400000_NS6detail17trampoline_kernelINS0_14default_configENS1_29reduce_by_key_config_selectorIiiN6thrust23THRUST_200600_302600_NS4plusIiEEEEZZNS1_33reduce_by_key_impl_wrapped_configILNS1_25lookback_scan_determinismE0ES3_S9_NS6_10device_ptrIiEESD_SD_SD_PmS8_NS6_8equal_toIiEEEE10hipError_tPvRmT2_T3_mT4_T5_T6_T7_T8_P12ihipStream_tbENKUlT_T0_E_clISt17integral_constantIbLb0EESY_EEDaST_SU_EUlST_E_NS1_11comp_targetILNS1_3genE4ELNS1_11target_archE910ELNS1_3gpuE8ELNS1_3repE0EEENS1_30default_config_static_selectorELNS0_4arch9wavefront6targetE0EEEvT1_,"axG",@progbits,_ZN7rocprim17ROCPRIM_400000_NS6detail17trampoline_kernelINS0_14default_configENS1_29reduce_by_key_config_selectorIiiN6thrust23THRUST_200600_302600_NS4plusIiEEEEZZNS1_33reduce_by_key_impl_wrapped_configILNS1_25lookback_scan_determinismE0ES3_S9_NS6_10device_ptrIiEESD_SD_SD_PmS8_NS6_8equal_toIiEEEE10hipError_tPvRmT2_T3_mT4_T5_T6_T7_T8_P12ihipStream_tbENKUlT_T0_E_clISt17integral_constantIbLb0EESY_EEDaST_SU_EUlST_E_NS1_11comp_targetILNS1_3genE4ELNS1_11target_archE910ELNS1_3gpuE8ELNS1_3repE0EEENS1_30default_config_static_selectorELNS0_4arch9wavefront6targetE0EEEvT1_,comdat
	.protected	_ZN7rocprim17ROCPRIM_400000_NS6detail17trampoline_kernelINS0_14default_configENS1_29reduce_by_key_config_selectorIiiN6thrust23THRUST_200600_302600_NS4plusIiEEEEZZNS1_33reduce_by_key_impl_wrapped_configILNS1_25lookback_scan_determinismE0ES3_S9_NS6_10device_ptrIiEESD_SD_SD_PmS8_NS6_8equal_toIiEEEE10hipError_tPvRmT2_T3_mT4_T5_T6_T7_T8_P12ihipStream_tbENKUlT_T0_E_clISt17integral_constantIbLb0EESY_EEDaST_SU_EUlST_E_NS1_11comp_targetILNS1_3genE4ELNS1_11target_archE910ELNS1_3gpuE8ELNS1_3repE0EEENS1_30default_config_static_selectorELNS0_4arch9wavefront6targetE0EEEvT1_ ; -- Begin function _ZN7rocprim17ROCPRIM_400000_NS6detail17trampoline_kernelINS0_14default_configENS1_29reduce_by_key_config_selectorIiiN6thrust23THRUST_200600_302600_NS4plusIiEEEEZZNS1_33reduce_by_key_impl_wrapped_configILNS1_25lookback_scan_determinismE0ES3_S9_NS6_10device_ptrIiEESD_SD_SD_PmS8_NS6_8equal_toIiEEEE10hipError_tPvRmT2_T3_mT4_T5_T6_T7_T8_P12ihipStream_tbENKUlT_T0_E_clISt17integral_constantIbLb0EESY_EEDaST_SU_EUlST_E_NS1_11comp_targetILNS1_3genE4ELNS1_11target_archE910ELNS1_3gpuE8ELNS1_3repE0EEENS1_30default_config_static_selectorELNS0_4arch9wavefront6targetE0EEEvT1_
	.globl	_ZN7rocprim17ROCPRIM_400000_NS6detail17trampoline_kernelINS0_14default_configENS1_29reduce_by_key_config_selectorIiiN6thrust23THRUST_200600_302600_NS4plusIiEEEEZZNS1_33reduce_by_key_impl_wrapped_configILNS1_25lookback_scan_determinismE0ES3_S9_NS6_10device_ptrIiEESD_SD_SD_PmS8_NS6_8equal_toIiEEEE10hipError_tPvRmT2_T3_mT4_T5_T6_T7_T8_P12ihipStream_tbENKUlT_T0_E_clISt17integral_constantIbLb0EESY_EEDaST_SU_EUlST_E_NS1_11comp_targetILNS1_3genE4ELNS1_11target_archE910ELNS1_3gpuE8ELNS1_3repE0EEENS1_30default_config_static_selectorELNS0_4arch9wavefront6targetE0EEEvT1_
	.p2align	8
	.type	_ZN7rocprim17ROCPRIM_400000_NS6detail17trampoline_kernelINS0_14default_configENS1_29reduce_by_key_config_selectorIiiN6thrust23THRUST_200600_302600_NS4plusIiEEEEZZNS1_33reduce_by_key_impl_wrapped_configILNS1_25lookback_scan_determinismE0ES3_S9_NS6_10device_ptrIiEESD_SD_SD_PmS8_NS6_8equal_toIiEEEE10hipError_tPvRmT2_T3_mT4_T5_T6_T7_T8_P12ihipStream_tbENKUlT_T0_E_clISt17integral_constantIbLb0EESY_EEDaST_SU_EUlST_E_NS1_11comp_targetILNS1_3genE4ELNS1_11target_archE910ELNS1_3gpuE8ELNS1_3repE0EEENS1_30default_config_static_selectorELNS0_4arch9wavefront6targetE0EEEvT1_,@function
_ZN7rocprim17ROCPRIM_400000_NS6detail17trampoline_kernelINS0_14default_configENS1_29reduce_by_key_config_selectorIiiN6thrust23THRUST_200600_302600_NS4plusIiEEEEZZNS1_33reduce_by_key_impl_wrapped_configILNS1_25lookback_scan_determinismE0ES3_S9_NS6_10device_ptrIiEESD_SD_SD_PmS8_NS6_8equal_toIiEEEE10hipError_tPvRmT2_T3_mT4_T5_T6_T7_T8_P12ihipStream_tbENKUlT_T0_E_clISt17integral_constantIbLb0EESY_EEDaST_SU_EUlST_E_NS1_11comp_targetILNS1_3genE4ELNS1_11target_archE910ELNS1_3gpuE8ELNS1_3repE0EEENS1_30default_config_static_selectorELNS0_4arch9wavefront6targetE0EEEvT1_: ; @_ZN7rocprim17ROCPRIM_400000_NS6detail17trampoline_kernelINS0_14default_configENS1_29reduce_by_key_config_selectorIiiN6thrust23THRUST_200600_302600_NS4plusIiEEEEZZNS1_33reduce_by_key_impl_wrapped_configILNS1_25lookback_scan_determinismE0ES3_S9_NS6_10device_ptrIiEESD_SD_SD_PmS8_NS6_8equal_toIiEEEE10hipError_tPvRmT2_T3_mT4_T5_T6_T7_T8_P12ihipStream_tbENKUlT_T0_E_clISt17integral_constantIbLb0EESY_EEDaST_SU_EUlST_E_NS1_11comp_targetILNS1_3genE4ELNS1_11target_archE910ELNS1_3gpuE8ELNS1_3repE0EEENS1_30default_config_static_selectorELNS0_4arch9wavefront6targetE0EEEvT1_
; %bb.0:
	.section	.rodata,"a",@progbits
	.p2align	6, 0x0
	.amdhsa_kernel _ZN7rocprim17ROCPRIM_400000_NS6detail17trampoline_kernelINS0_14default_configENS1_29reduce_by_key_config_selectorIiiN6thrust23THRUST_200600_302600_NS4plusIiEEEEZZNS1_33reduce_by_key_impl_wrapped_configILNS1_25lookback_scan_determinismE0ES3_S9_NS6_10device_ptrIiEESD_SD_SD_PmS8_NS6_8equal_toIiEEEE10hipError_tPvRmT2_T3_mT4_T5_T6_T7_T8_P12ihipStream_tbENKUlT_T0_E_clISt17integral_constantIbLb0EESY_EEDaST_SU_EUlST_E_NS1_11comp_targetILNS1_3genE4ELNS1_11target_archE910ELNS1_3gpuE8ELNS1_3repE0EEENS1_30default_config_static_selectorELNS0_4arch9wavefront6targetE0EEEvT1_
		.amdhsa_group_segment_fixed_size 0
		.amdhsa_private_segment_fixed_size 0
		.amdhsa_kernarg_size 120
		.amdhsa_user_sgpr_count 15
		.amdhsa_user_sgpr_dispatch_ptr 0
		.amdhsa_user_sgpr_queue_ptr 0
		.amdhsa_user_sgpr_kernarg_segment_ptr 1
		.amdhsa_user_sgpr_dispatch_id 0
		.amdhsa_user_sgpr_private_segment_size 0
		.amdhsa_wavefront_size32 1
		.amdhsa_uses_dynamic_stack 0
		.amdhsa_enable_private_segment 0
		.amdhsa_system_sgpr_workgroup_id_x 1
		.amdhsa_system_sgpr_workgroup_id_y 0
		.amdhsa_system_sgpr_workgroup_id_z 0
		.amdhsa_system_sgpr_workgroup_info 0
		.amdhsa_system_vgpr_workitem_id 0
		.amdhsa_next_free_vgpr 1
		.amdhsa_next_free_sgpr 1
		.amdhsa_reserve_vcc 0
		.amdhsa_float_round_mode_32 0
		.amdhsa_float_round_mode_16_64 0
		.amdhsa_float_denorm_mode_32 3
		.amdhsa_float_denorm_mode_16_64 3
		.amdhsa_dx10_clamp 1
		.amdhsa_ieee_mode 1
		.amdhsa_fp16_overflow 0
		.amdhsa_workgroup_processor_mode 1
		.amdhsa_memory_ordered 1
		.amdhsa_forward_progress 0
		.amdhsa_shared_vgpr_count 0
		.amdhsa_exception_fp_ieee_invalid_op 0
		.amdhsa_exception_fp_denorm_src 0
		.amdhsa_exception_fp_ieee_div_zero 0
		.amdhsa_exception_fp_ieee_overflow 0
		.amdhsa_exception_fp_ieee_underflow 0
		.amdhsa_exception_fp_ieee_inexact 0
		.amdhsa_exception_int_div_zero 0
	.end_amdhsa_kernel
	.section	.text._ZN7rocprim17ROCPRIM_400000_NS6detail17trampoline_kernelINS0_14default_configENS1_29reduce_by_key_config_selectorIiiN6thrust23THRUST_200600_302600_NS4plusIiEEEEZZNS1_33reduce_by_key_impl_wrapped_configILNS1_25lookback_scan_determinismE0ES3_S9_NS6_10device_ptrIiEESD_SD_SD_PmS8_NS6_8equal_toIiEEEE10hipError_tPvRmT2_T3_mT4_T5_T6_T7_T8_P12ihipStream_tbENKUlT_T0_E_clISt17integral_constantIbLb0EESY_EEDaST_SU_EUlST_E_NS1_11comp_targetILNS1_3genE4ELNS1_11target_archE910ELNS1_3gpuE8ELNS1_3repE0EEENS1_30default_config_static_selectorELNS0_4arch9wavefront6targetE0EEEvT1_,"axG",@progbits,_ZN7rocprim17ROCPRIM_400000_NS6detail17trampoline_kernelINS0_14default_configENS1_29reduce_by_key_config_selectorIiiN6thrust23THRUST_200600_302600_NS4plusIiEEEEZZNS1_33reduce_by_key_impl_wrapped_configILNS1_25lookback_scan_determinismE0ES3_S9_NS6_10device_ptrIiEESD_SD_SD_PmS8_NS6_8equal_toIiEEEE10hipError_tPvRmT2_T3_mT4_T5_T6_T7_T8_P12ihipStream_tbENKUlT_T0_E_clISt17integral_constantIbLb0EESY_EEDaST_SU_EUlST_E_NS1_11comp_targetILNS1_3genE4ELNS1_11target_archE910ELNS1_3gpuE8ELNS1_3repE0EEENS1_30default_config_static_selectorELNS0_4arch9wavefront6targetE0EEEvT1_,comdat
.Lfunc_end1096:
	.size	_ZN7rocprim17ROCPRIM_400000_NS6detail17trampoline_kernelINS0_14default_configENS1_29reduce_by_key_config_selectorIiiN6thrust23THRUST_200600_302600_NS4plusIiEEEEZZNS1_33reduce_by_key_impl_wrapped_configILNS1_25lookback_scan_determinismE0ES3_S9_NS6_10device_ptrIiEESD_SD_SD_PmS8_NS6_8equal_toIiEEEE10hipError_tPvRmT2_T3_mT4_T5_T6_T7_T8_P12ihipStream_tbENKUlT_T0_E_clISt17integral_constantIbLb0EESY_EEDaST_SU_EUlST_E_NS1_11comp_targetILNS1_3genE4ELNS1_11target_archE910ELNS1_3gpuE8ELNS1_3repE0EEENS1_30default_config_static_selectorELNS0_4arch9wavefront6targetE0EEEvT1_, .Lfunc_end1096-_ZN7rocprim17ROCPRIM_400000_NS6detail17trampoline_kernelINS0_14default_configENS1_29reduce_by_key_config_selectorIiiN6thrust23THRUST_200600_302600_NS4plusIiEEEEZZNS1_33reduce_by_key_impl_wrapped_configILNS1_25lookback_scan_determinismE0ES3_S9_NS6_10device_ptrIiEESD_SD_SD_PmS8_NS6_8equal_toIiEEEE10hipError_tPvRmT2_T3_mT4_T5_T6_T7_T8_P12ihipStream_tbENKUlT_T0_E_clISt17integral_constantIbLb0EESY_EEDaST_SU_EUlST_E_NS1_11comp_targetILNS1_3genE4ELNS1_11target_archE910ELNS1_3gpuE8ELNS1_3repE0EEENS1_30default_config_static_selectorELNS0_4arch9wavefront6targetE0EEEvT1_
                                        ; -- End function
	.section	.AMDGPU.csdata,"",@progbits
; Kernel info:
; codeLenInByte = 0
; NumSgprs: 0
; NumVgprs: 0
; ScratchSize: 0
; MemoryBound: 0
; FloatMode: 240
; IeeeMode: 1
; LDSByteSize: 0 bytes/workgroup (compile time only)
; SGPRBlocks: 0
; VGPRBlocks: 0
; NumSGPRsForWavesPerEU: 1
; NumVGPRsForWavesPerEU: 1
; Occupancy: 16
; WaveLimiterHint : 0
; COMPUTE_PGM_RSRC2:SCRATCH_EN: 0
; COMPUTE_PGM_RSRC2:USER_SGPR: 15
; COMPUTE_PGM_RSRC2:TRAP_HANDLER: 0
; COMPUTE_PGM_RSRC2:TGID_X_EN: 1
; COMPUTE_PGM_RSRC2:TGID_Y_EN: 0
; COMPUTE_PGM_RSRC2:TGID_Z_EN: 0
; COMPUTE_PGM_RSRC2:TIDIG_COMP_CNT: 0
	.section	.text._ZN7rocprim17ROCPRIM_400000_NS6detail17trampoline_kernelINS0_14default_configENS1_29reduce_by_key_config_selectorIiiN6thrust23THRUST_200600_302600_NS4plusIiEEEEZZNS1_33reduce_by_key_impl_wrapped_configILNS1_25lookback_scan_determinismE0ES3_S9_NS6_10device_ptrIiEESD_SD_SD_PmS8_NS6_8equal_toIiEEEE10hipError_tPvRmT2_T3_mT4_T5_T6_T7_T8_P12ihipStream_tbENKUlT_T0_E_clISt17integral_constantIbLb0EESY_EEDaST_SU_EUlST_E_NS1_11comp_targetILNS1_3genE3ELNS1_11target_archE908ELNS1_3gpuE7ELNS1_3repE0EEENS1_30default_config_static_selectorELNS0_4arch9wavefront6targetE0EEEvT1_,"axG",@progbits,_ZN7rocprim17ROCPRIM_400000_NS6detail17trampoline_kernelINS0_14default_configENS1_29reduce_by_key_config_selectorIiiN6thrust23THRUST_200600_302600_NS4plusIiEEEEZZNS1_33reduce_by_key_impl_wrapped_configILNS1_25lookback_scan_determinismE0ES3_S9_NS6_10device_ptrIiEESD_SD_SD_PmS8_NS6_8equal_toIiEEEE10hipError_tPvRmT2_T3_mT4_T5_T6_T7_T8_P12ihipStream_tbENKUlT_T0_E_clISt17integral_constantIbLb0EESY_EEDaST_SU_EUlST_E_NS1_11comp_targetILNS1_3genE3ELNS1_11target_archE908ELNS1_3gpuE7ELNS1_3repE0EEENS1_30default_config_static_selectorELNS0_4arch9wavefront6targetE0EEEvT1_,comdat
	.protected	_ZN7rocprim17ROCPRIM_400000_NS6detail17trampoline_kernelINS0_14default_configENS1_29reduce_by_key_config_selectorIiiN6thrust23THRUST_200600_302600_NS4plusIiEEEEZZNS1_33reduce_by_key_impl_wrapped_configILNS1_25lookback_scan_determinismE0ES3_S9_NS6_10device_ptrIiEESD_SD_SD_PmS8_NS6_8equal_toIiEEEE10hipError_tPvRmT2_T3_mT4_T5_T6_T7_T8_P12ihipStream_tbENKUlT_T0_E_clISt17integral_constantIbLb0EESY_EEDaST_SU_EUlST_E_NS1_11comp_targetILNS1_3genE3ELNS1_11target_archE908ELNS1_3gpuE7ELNS1_3repE0EEENS1_30default_config_static_selectorELNS0_4arch9wavefront6targetE0EEEvT1_ ; -- Begin function _ZN7rocprim17ROCPRIM_400000_NS6detail17trampoline_kernelINS0_14default_configENS1_29reduce_by_key_config_selectorIiiN6thrust23THRUST_200600_302600_NS4plusIiEEEEZZNS1_33reduce_by_key_impl_wrapped_configILNS1_25lookback_scan_determinismE0ES3_S9_NS6_10device_ptrIiEESD_SD_SD_PmS8_NS6_8equal_toIiEEEE10hipError_tPvRmT2_T3_mT4_T5_T6_T7_T8_P12ihipStream_tbENKUlT_T0_E_clISt17integral_constantIbLb0EESY_EEDaST_SU_EUlST_E_NS1_11comp_targetILNS1_3genE3ELNS1_11target_archE908ELNS1_3gpuE7ELNS1_3repE0EEENS1_30default_config_static_selectorELNS0_4arch9wavefront6targetE0EEEvT1_
	.globl	_ZN7rocprim17ROCPRIM_400000_NS6detail17trampoline_kernelINS0_14default_configENS1_29reduce_by_key_config_selectorIiiN6thrust23THRUST_200600_302600_NS4plusIiEEEEZZNS1_33reduce_by_key_impl_wrapped_configILNS1_25lookback_scan_determinismE0ES3_S9_NS6_10device_ptrIiEESD_SD_SD_PmS8_NS6_8equal_toIiEEEE10hipError_tPvRmT2_T3_mT4_T5_T6_T7_T8_P12ihipStream_tbENKUlT_T0_E_clISt17integral_constantIbLb0EESY_EEDaST_SU_EUlST_E_NS1_11comp_targetILNS1_3genE3ELNS1_11target_archE908ELNS1_3gpuE7ELNS1_3repE0EEENS1_30default_config_static_selectorELNS0_4arch9wavefront6targetE0EEEvT1_
	.p2align	8
	.type	_ZN7rocprim17ROCPRIM_400000_NS6detail17trampoline_kernelINS0_14default_configENS1_29reduce_by_key_config_selectorIiiN6thrust23THRUST_200600_302600_NS4plusIiEEEEZZNS1_33reduce_by_key_impl_wrapped_configILNS1_25lookback_scan_determinismE0ES3_S9_NS6_10device_ptrIiEESD_SD_SD_PmS8_NS6_8equal_toIiEEEE10hipError_tPvRmT2_T3_mT4_T5_T6_T7_T8_P12ihipStream_tbENKUlT_T0_E_clISt17integral_constantIbLb0EESY_EEDaST_SU_EUlST_E_NS1_11comp_targetILNS1_3genE3ELNS1_11target_archE908ELNS1_3gpuE7ELNS1_3repE0EEENS1_30default_config_static_selectorELNS0_4arch9wavefront6targetE0EEEvT1_,@function
_ZN7rocprim17ROCPRIM_400000_NS6detail17trampoline_kernelINS0_14default_configENS1_29reduce_by_key_config_selectorIiiN6thrust23THRUST_200600_302600_NS4plusIiEEEEZZNS1_33reduce_by_key_impl_wrapped_configILNS1_25lookback_scan_determinismE0ES3_S9_NS6_10device_ptrIiEESD_SD_SD_PmS8_NS6_8equal_toIiEEEE10hipError_tPvRmT2_T3_mT4_T5_T6_T7_T8_P12ihipStream_tbENKUlT_T0_E_clISt17integral_constantIbLb0EESY_EEDaST_SU_EUlST_E_NS1_11comp_targetILNS1_3genE3ELNS1_11target_archE908ELNS1_3gpuE7ELNS1_3repE0EEENS1_30default_config_static_selectorELNS0_4arch9wavefront6targetE0EEEvT1_: ; @_ZN7rocprim17ROCPRIM_400000_NS6detail17trampoline_kernelINS0_14default_configENS1_29reduce_by_key_config_selectorIiiN6thrust23THRUST_200600_302600_NS4plusIiEEEEZZNS1_33reduce_by_key_impl_wrapped_configILNS1_25lookback_scan_determinismE0ES3_S9_NS6_10device_ptrIiEESD_SD_SD_PmS8_NS6_8equal_toIiEEEE10hipError_tPvRmT2_T3_mT4_T5_T6_T7_T8_P12ihipStream_tbENKUlT_T0_E_clISt17integral_constantIbLb0EESY_EEDaST_SU_EUlST_E_NS1_11comp_targetILNS1_3genE3ELNS1_11target_archE908ELNS1_3gpuE7ELNS1_3repE0EEENS1_30default_config_static_selectorELNS0_4arch9wavefront6targetE0EEEvT1_
; %bb.0:
	.section	.rodata,"a",@progbits
	.p2align	6, 0x0
	.amdhsa_kernel _ZN7rocprim17ROCPRIM_400000_NS6detail17trampoline_kernelINS0_14default_configENS1_29reduce_by_key_config_selectorIiiN6thrust23THRUST_200600_302600_NS4plusIiEEEEZZNS1_33reduce_by_key_impl_wrapped_configILNS1_25lookback_scan_determinismE0ES3_S9_NS6_10device_ptrIiEESD_SD_SD_PmS8_NS6_8equal_toIiEEEE10hipError_tPvRmT2_T3_mT4_T5_T6_T7_T8_P12ihipStream_tbENKUlT_T0_E_clISt17integral_constantIbLb0EESY_EEDaST_SU_EUlST_E_NS1_11comp_targetILNS1_3genE3ELNS1_11target_archE908ELNS1_3gpuE7ELNS1_3repE0EEENS1_30default_config_static_selectorELNS0_4arch9wavefront6targetE0EEEvT1_
		.amdhsa_group_segment_fixed_size 0
		.amdhsa_private_segment_fixed_size 0
		.amdhsa_kernarg_size 120
		.amdhsa_user_sgpr_count 15
		.amdhsa_user_sgpr_dispatch_ptr 0
		.amdhsa_user_sgpr_queue_ptr 0
		.amdhsa_user_sgpr_kernarg_segment_ptr 1
		.amdhsa_user_sgpr_dispatch_id 0
		.amdhsa_user_sgpr_private_segment_size 0
		.amdhsa_wavefront_size32 1
		.amdhsa_uses_dynamic_stack 0
		.amdhsa_enable_private_segment 0
		.amdhsa_system_sgpr_workgroup_id_x 1
		.amdhsa_system_sgpr_workgroup_id_y 0
		.amdhsa_system_sgpr_workgroup_id_z 0
		.amdhsa_system_sgpr_workgroup_info 0
		.amdhsa_system_vgpr_workitem_id 0
		.amdhsa_next_free_vgpr 1
		.amdhsa_next_free_sgpr 1
		.amdhsa_reserve_vcc 0
		.amdhsa_float_round_mode_32 0
		.amdhsa_float_round_mode_16_64 0
		.amdhsa_float_denorm_mode_32 3
		.amdhsa_float_denorm_mode_16_64 3
		.amdhsa_dx10_clamp 1
		.amdhsa_ieee_mode 1
		.amdhsa_fp16_overflow 0
		.amdhsa_workgroup_processor_mode 1
		.amdhsa_memory_ordered 1
		.amdhsa_forward_progress 0
		.amdhsa_shared_vgpr_count 0
		.amdhsa_exception_fp_ieee_invalid_op 0
		.amdhsa_exception_fp_denorm_src 0
		.amdhsa_exception_fp_ieee_div_zero 0
		.amdhsa_exception_fp_ieee_overflow 0
		.amdhsa_exception_fp_ieee_underflow 0
		.amdhsa_exception_fp_ieee_inexact 0
		.amdhsa_exception_int_div_zero 0
	.end_amdhsa_kernel
	.section	.text._ZN7rocprim17ROCPRIM_400000_NS6detail17trampoline_kernelINS0_14default_configENS1_29reduce_by_key_config_selectorIiiN6thrust23THRUST_200600_302600_NS4plusIiEEEEZZNS1_33reduce_by_key_impl_wrapped_configILNS1_25lookback_scan_determinismE0ES3_S9_NS6_10device_ptrIiEESD_SD_SD_PmS8_NS6_8equal_toIiEEEE10hipError_tPvRmT2_T3_mT4_T5_T6_T7_T8_P12ihipStream_tbENKUlT_T0_E_clISt17integral_constantIbLb0EESY_EEDaST_SU_EUlST_E_NS1_11comp_targetILNS1_3genE3ELNS1_11target_archE908ELNS1_3gpuE7ELNS1_3repE0EEENS1_30default_config_static_selectorELNS0_4arch9wavefront6targetE0EEEvT1_,"axG",@progbits,_ZN7rocprim17ROCPRIM_400000_NS6detail17trampoline_kernelINS0_14default_configENS1_29reduce_by_key_config_selectorIiiN6thrust23THRUST_200600_302600_NS4plusIiEEEEZZNS1_33reduce_by_key_impl_wrapped_configILNS1_25lookback_scan_determinismE0ES3_S9_NS6_10device_ptrIiEESD_SD_SD_PmS8_NS6_8equal_toIiEEEE10hipError_tPvRmT2_T3_mT4_T5_T6_T7_T8_P12ihipStream_tbENKUlT_T0_E_clISt17integral_constantIbLb0EESY_EEDaST_SU_EUlST_E_NS1_11comp_targetILNS1_3genE3ELNS1_11target_archE908ELNS1_3gpuE7ELNS1_3repE0EEENS1_30default_config_static_selectorELNS0_4arch9wavefront6targetE0EEEvT1_,comdat
.Lfunc_end1097:
	.size	_ZN7rocprim17ROCPRIM_400000_NS6detail17trampoline_kernelINS0_14default_configENS1_29reduce_by_key_config_selectorIiiN6thrust23THRUST_200600_302600_NS4plusIiEEEEZZNS1_33reduce_by_key_impl_wrapped_configILNS1_25lookback_scan_determinismE0ES3_S9_NS6_10device_ptrIiEESD_SD_SD_PmS8_NS6_8equal_toIiEEEE10hipError_tPvRmT2_T3_mT4_T5_T6_T7_T8_P12ihipStream_tbENKUlT_T0_E_clISt17integral_constantIbLb0EESY_EEDaST_SU_EUlST_E_NS1_11comp_targetILNS1_3genE3ELNS1_11target_archE908ELNS1_3gpuE7ELNS1_3repE0EEENS1_30default_config_static_selectorELNS0_4arch9wavefront6targetE0EEEvT1_, .Lfunc_end1097-_ZN7rocprim17ROCPRIM_400000_NS6detail17trampoline_kernelINS0_14default_configENS1_29reduce_by_key_config_selectorIiiN6thrust23THRUST_200600_302600_NS4plusIiEEEEZZNS1_33reduce_by_key_impl_wrapped_configILNS1_25lookback_scan_determinismE0ES3_S9_NS6_10device_ptrIiEESD_SD_SD_PmS8_NS6_8equal_toIiEEEE10hipError_tPvRmT2_T3_mT4_T5_T6_T7_T8_P12ihipStream_tbENKUlT_T0_E_clISt17integral_constantIbLb0EESY_EEDaST_SU_EUlST_E_NS1_11comp_targetILNS1_3genE3ELNS1_11target_archE908ELNS1_3gpuE7ELNS1_3repE0EEENS1_30default_config_static_selectorELNS0_4arch9wavefront6targetE0EEEvT1_
                                        ; -- End function
	.section	.AMDGPU.csdata,"",@progbits
; Kernel info:
; codeLenInByte = 0
; NumSgprs: 0
; NumVgprs: 0
; ScratchSize: 0
; MemoryBound: 0
; FloatMode: 240
; IeeeMode: 1
; LDSByteSize: 0 bytes/workgroup (compile time only)
; SGPRBlocks: 0
; VGPRBlocks: 0
; NumSGPRsForWavesPerEU: 1
; NumVGPRsForWavesPerEU: 1
; Occupancy: 16
; WaveLimiterHint : 0
; COMPUTE_PGM_RSRC2:SCRATCH_EN: 0
; COMPUTE_PGM_RSRC2:USER_SGPR: 15
; COMPUTE_PGM_RSRC2:TRAP_HANDLER: 0
; COMPUTE_PGM_RSRC2:TGID_X_EN: 1
; COMPUTE_PGM_RSRC2:TGID_Y_EN: 0
; COMPUTE_PGM_RSRC2:TGID_Z_EN: 0
; COMPUTE_PGM_RSRC2:TIDIG_COMP_CNT: 0
	.section	.text._ZN7rocprim17ROCPRIM_400000_NS6detail17trampoline_kernelINS0_14default_configENS1_29reduce_by_key_config_selectorIiiN6thrust23THRUST_200600_302600_NS4plusIiEEEEZZNS1_33reduce_by_key_impl_wrapped_configILNS1_25lookback_scan_determinismE0ES3_S9_NS6_10device_ptrIiEESD_SD_SD_PmS8_NS6_8equal_toIiEEEE10hipError_tPvRmT2_T3_mT4_T5_T6_T7_T8_P12ihipStream_tbENKUlT_T0_E_clISt17integral_constantIbLb0EESY_EEDaST_SU_EUlST_E_NS1_11comp_targetILNS1_3genE2ELNS1_11target_archE906ELNS1_3gpuE6ELNS1_3repE0EEENS1_30default_config_static_selectorELNS0_4arch9wavefront6targetE0EEEvT1_,"axG",@progbits,_ZN7rocprim17ROCPRIM_400000_NS6detail17trampoline_kernelINS0_14default_configENS1_29reduce_by_key_config_selectorIiiN6thrust23THRUST_200600_302600_NS4plusIiEEEEZZNS1_33reduce_by_key_impl_wrapped_configILNS1_25lookback_scan_determinismE0ES3_S9_NS6_10device_ptrIiEESD_SD_SD_PmS8_NS6_8equal_toIiEEEE10hipError_tPvRmT2_T3_mT4_T5_T6_T7_T8_P12ihipStream_tbENKUlT_T0_E_clISt17integral_constantIbLb0EESY_EEDaST_SU_EUlST_E_NS1_11comp_targetILNS1_3genE2ELNS1_11target_archE906ELNS1_3gpuE6ELNS1_3repE0EEENS1_30default_config_static_selectorELNS0_4arch9wavefront6targetE0EEEvT1_,comdat
	.protected	_ZN7rocprim17ROCPRIM_400000_NS6detail17trampoline_kernelINS0_14default_configENS1_29reduce_by_key_config_selectorIiiN6thrust23THRUST_200600_302600_NS4plusIiEEEEZZNS1_33reduce_by_key_impl_wrapped_configILNS1_25lookback_scan_determinismE0ES3_S9_NS6_10device_ptrIiEESD_SD_SD_PmS8_NS6_8equal_toIiEEEE10hipError_tPvRmT2_T3_mT4_T5_T6_T7_T8_P12ihipStream_tbENKUlT_T0_E_clISt17integral_constantIbLb0EESY_EEDaST_SU_EUlST_E_NS1_11comp_targetILNS1_3genE2ELNS1_11target_archE906ELNS1_3gpuE6ELNS1_3repE0EEENS1_30default_config_static_selectorELNS0_4arch9wavefront6targetE0EEEvT1_ ; -- Begin function _ZN7rocprim17ROCPRIM_400000_NS6detail17trampoline_kernelINS0_14default_configENS1_29reduce_by_key_config_selectorIiiN6thrust23THRUST_200600_302600_NS4plusIiEEEEZZNS1_33reduce_by_key_impl_wrapped_configILNS1_25lookback_scan_determinismE0ES3_S9_NS6_10device_ptrIiEESD_SD_SD_PmS8_NS6_8equal_toIiEEEE10hipError_tPvRmT2_T3_mT4_T5_T6_T7_T8_P12ihipStream_tbENKUlT_T0_E_clISt17integral_constantIbLb0EESY_EEDaST_SU_EUlST_E_NS1_11comp_targetILNS1_3genE2ELNS1_11target_archE906ELNS1_3gpuE6ELNS1_3repE0EEENS1_30default_config_static_selectorELNS0_4arch9wavefront6targetE0EEEvT1_
	.globl	_ZN7rocprim17ROCPRIM_400000_NS6detail17trampoline_kernelINS0_14default_configENS1_29reduce_by_key_config_selectorIiiN6thrust23THRUST_200600_302600_NS4plusIiEEEEZZNS1_33reduce_by_key_impl_wrapped_configILNS1_25lookback_scan_determinismE0ES3_S9_NS6_10device_ptrIiEESD_SD_SD_PmS8_NS6_8equal_toIiEEEE10hipError_tPvRmT2_T3_mT4_T5_T6_T7_T8_P12ihipStream_tbENKUlT_T0_E_clISt17integral_constantIbLb0EESY_EEDaST_SU_EUlST_E_NS1_11comp_targetILNS1_3genE2ELNS1_11target_archE906ELNS1_3gpuE6ELNS1_3repE0EEENS1_30default_config_static_selectorELNS0_4arch9wavefront6targetE0EEEvT1_
	.p2align	8
	.type	_ZN7rocprim17ROCPRIM_400000_NS6detail17trampoline_kernelINS0_14default_configENS1_29reduce_by_key_config_selectorIiiN6thrust23THRUST_200600_302600_NS4plusIiEEEEZZNS1_33reduce_by_key_impl_wrapped_configILNS1_25lookback_scan_determinismE0ES3_S9_NS6_10device_ptrIiEESD_SD_SD_PmS8_NS6_8equal_toIiEEEE10hipError_tPvRmT2_T3_mT4_T5_T6_T7_T8_P12ihipStream_tbENKUlT_T0_E_clISt17integral_constantIbLb0EESY_EEDaST_SU_EUlST_E_NS1_11comp_targetILNS1_3genE2ELNS1_11target_archE906ELNS1_3gpuE6ELNS1_3repE0EEENS1_30default_config_static_selectorELNS0_4arch9wavefront6targetE0EEEvT1_,@function
_ZN7rocprim17ROCPRIM_400000_NS6detail17trampoline_kernelINS0_14default_configENS1_29reduce_by_key_config_selectorIiiN6thrust23THRUST_200600_302600_NS4plusIiEEEEZZNS1_33reduce_by_key_impl_wrapped_configILNS1_25lookback_scan_determinismE0ES3_S9_NS6_10device_ptrIiEESD_SD_SD_PmS8_NS6_8equal_toIiEEEE10hipError_tPvRmT2_T3_mT4_T5_T6_T7_T8_P12ihipStream_tbENKUlT_T0_E_clISt17integral_constantIbLb0EESY_EEDaST_SU_EUlST_E_NS1_11comp_targetILNS1_3genE2ELNS1_11target_archE906ELNS1_3gpuE6ELNS1_3repE0EEENS1_30default_config_static_selectorELNS0_4arch9wavefront6targetE0EEEvT1_: ; @_ZN7rocprim17ROCPRIM_400000_NS6detail17trampoline_kernelINS0_14default_configENS1_29reduce_by_key_config_selectorIiiN6thrust23THRUST_200600_302600_NS4plusIiEEEEZZNS1_33reduce_by_key_impl_wrapped_configILNS1_25lookback_scan_determinismE0ES3_S9_NS6_10device_ptrIiEESD_SD_SD_PmS8_NS6_8equal_toIiEEEE10hipError_tPvRmT2_T3_mT4_T5_T6_T7_T8_P12ihipStream_tbENKUlT_T0_E_clISt17integral_constantIbLb0EESY_EEDaST_SU_EUlST_E_NS1_11comp_targetILNS1_3genE2ELNS1_11target_archE906ELNS1_3gpuE6ELNS1_3repE0EEENS1_30default_config_static_selectorELNS0_4arch9wavefront6targetE0EEEvT1_
; %bb.0:
	.section	.rodata,"a",@progbits
	.p2align	6, 0x0
	.amdhsa_kernel _ZN7rocprim17ROCPRIM_400000_NS6detail17trampoline_kernelINS0_14default_configENS1_29reduce_by_key_config_selectorIiiN6thrust23THRUST_200600_302600_NS4plusIiEEEEZZNS1_33reduce_by_key_impl_wrapped_configILNS1_25lookback_scan_determinismE0ES3_S9_NS6_10device_ptrIiEESD_SD_SD_PmS8_NS6_8equal_toIiEEEE10hipError_tPvRmT2_T3_mT4_T5_T6_T7_T8_P12ihipStream_tbENKUlT_T0_E_clISt17integral_constantIbLb0EESY_EEDaST_SU_EUlST_E_NS1_11comp_targetILNS1_3genE2ELNS1_11target_archE906ELNS1_3gpuE6ELNS1_3repE0EEENS1_30default_config_static_selectorELNS0_4arch9wavefront6targetE0EEEvT1_
		.amdhsa_group_segment_fixed_size 0
		.amdhsa_private_segment_fixed_size 0
		.amdhsa_kernarg_size 120
		.amdhsa_user_sgpr_count 15
		.amdhsa_user_sgpr_dispatch_ptr 0
		.amdhsa_user_sgpr_queue_ptr 0
		.amdhsa_user_sgpr_kernarg_segment_ptr 1
		.amdhsa_user_sgpr_dispatch_id 0
		.amdhsa_user_sgpr_private_segment_size 0
		.amdhsa_wavefront_size32 1
		.amdhsa_uses_dynamic_stack 0
		.amdhsa_enable_private_segment 0
		.amdhsa_system_sgpr_workgroup_id_x 1
		.amdhsa_system_sgpr_workgroup_id_y 0
		.amdhsa_system_sgpr_workgroup_id_z 0
		.amdhsa_system_sgpr_workgroup_info 0
		.amdhsa_system_vgpr_workitem_id 0
		.amdhsa_next_free_vgpr 1
		.amdhsa_next_free_sgpr 1
		.amdhsa_reserve_vcc 0
		.amdhsa_float_round_mode_32 0
		.amdhsa_float_round_mode_16_64 0
		.amdhsa_float_denorm_mode_32 3
		.amdhsa_float_denorm_mode_16_64 3
		.amdhsa_dx10_clamp 1
		.amdhsa_ieee_mode 1
		.amdhsa_fp16_overflow 0
		.amdhsa_workgroup_processor_mode 1
		.amdhsa_memory_ordered 1
		.amdhsa_forward_progress 0
		.amdhsa_shared_vgpr_count 0
		.amdhsa_exception_fp_ieee_invalid_op 0
		.amdhsa_exception_fp_denorm_src 0
		.amdhsa_exception_fp_ieee_div_zero 0
		.amdhsa_exception_fp_ieee_overflow 0
		.amdhsa_exception_fp_ieee_underflow 0
		.amdhsa_exception_fp_ieee_inexact 0
		.amdhsa_exception_int_div_zero 0
	.end_amdhsa_kernel
	.section	.text._ZN7rocprim17ROCPRIM_400000_NS6detail17trampoline_kernelINS0_14default_configENS1_29reduce_by_key_config_selectorIiiN6thrust23THRUST_200600_302600_NS4plusIiEEEEZZNS1_33reduce_by_key_impl_wrapped_configILNS1_25lookback_scan_determinismE0ES3_S9_NS6_10device_ptrIiEESD_SD_SD_PmS8_NS6_8equal_toIiEEEE10hipError_tPvRmT2_T3_mT4_T5_T6_T7_T8_P12ihipStream_tbENKUlT_T0_E_clISt17integral_constantIbLb0EESY_EEDaST_SU_EUlST_E_NS1_11comp_targetILNS1_3genE2ELNS1_11target_archE906ELNS1_3gpuE6ELNS1_3repE0EEENS1_30default_config_static_selectorELNS0_4arch9wavefront6targetE0EEEvT1_,"axG",@progbits,_ZN7rocprim17ROCPRIM_400000_NS6detail17trampoline_kernelINS0_14default_configENS1_29reduce_by_key_config_selectorIiiN6thrust23THRUST_200600_302600_NS4plusIiEEEEZZNS1_33reduce_by_key_impl_wrapped_configILNS1_25lookback_scan_determinismE0ES3_S9_NS6_10device_ptrIiEESD_SD_SD_PmS8_NS6_8equal_toIiEEEE10hipError_tPvRmT2_T3_mT4_T5_T6_T7_T8_P12ihipStream_tbENKUlT_T0_E_clISt17integral_constantIbLb0EESY_EEDaST_SU_EUlST_E_NS1_11comp_targetILNS1_3genE2ELNS1_11target_archE906ELNS1_3gpuE6ELNS1_3repE0EEENS1_30default_config_static_selectorELNS0_4arch9wavefront6targetE0EEEvT1_,comdat
.Lfunc_end1098:
	.size	_ZN7rocprim17ROCPRIM_400000_NS6detail17trampoline_kernelINS0_14default_configENS1_29reduce_by_key_config_selectorIiiN6thrust23THRUST_200600_302600_NS4plusIiEEEEZZNS1_33reduce_by_key_impl_wrapped_configILNS1_25lookback_scan_determinismE0ES3_S9_NS6_10device_ptrIiEESD_SD_SD_PmS8_NS6_8equal_toIiEEEE10hipError_tPvRmT2_T3_mT4_T5_T6_T7_T8_P12ihipStream_tbENKUlT_T0_E_clISt17integral_constantIbLb0EESY_EEDaST_SU_EUlST_E_NS1_11comp_targetILNS1_3genE2ELNS1_11target_archE906ELNS1_3gpuE6ELNS1_3repE0EEENS1_30default_config_static_selectorELNS0_4arch9wavefront6targetE0EEEvT1_, .Lfunc_end1098-_ZN7rocprim17ROCPRIM_400000_NS6detail17trampoline_kernelINS0_14default_configENS1_29reduce_by_key_config_selectorIiiN6thrust23THRUST_200600_302600_NS4plusIiEEEEZZNS1_33reduce_by_key_impl_wrapped_configILNS1_25lookback_scan_determinismE0ES3_S9_NS6_10device_ptrIiEESD_SD_SD_PmS8_NS6_8equal_toIiEEEE10hipError_tPvRmT2_T3_mT4_T5_T6_T7_T8_P12ihipStream_tbENKUlT_T0_E_clISt17integral_constantIbLb0EESY_EEDaST_SU_EUlST_E_NS1_11comp_targetILNS1_3genE2ELNS1_11target_archE906ELNS1_3gpuE6ELNS1_3repE0EEENS1_30default_config_static_selectorELNS0_4arch9wavefront6targetE0EEEvT1_
                                        ; -- End function
	.section	.AMDGPU.csdata,"",@progbits
; Kernel info:
; codeLenInByte = 0
; NumSgprs: 0
; NumVgprs: 0
; ScratchSize: 0
; MemoryBound: 0
; FloatMode: 240
; IeeeMode: 1
; LDSByteSize: 0 bytes/workgroup (compile time only)
; SGPRBlocks: 0
; VGPRBlocks: 0
; NumSGPRsForWavesPerEU: 1
; NumVGPRsForWavesPerEU: 1
; Occupancy: 16
; WaveLimiterHint : 0
; COMPUTE_PGM_RSRC2:SCRATCH_EN: 0
; COMPUTE_PGM_RSRC2:USER_SGPR: 15
; COMPUTE_PGM_RSRC2:TRAP_HANDLER: 0
; COMPUTE_PGM_RSRC2:TGID_X_EN: 1
; COMPUTE_PGM_RSRC2:TGID_Y_EN: 0
; COMPUTE_PGM_RSRC2:TGID_Z_EN: 0
; COMPUTE_PGM_RSRC2:TIDIG_COMP_CNT: 0
	.section	.text._ZN7rocprim17ROCPRIM_400000_NS6detail17trampoline_kernelINS0_14default_configENS1_29reduce_by_key_config_selectorIiiN6thrust23THRUST_200600_302600_NS4plusIiEEEEZZNS1_33reduce_by_key_impl_wrapped_configILNS1_25lookback_scan_determinismE0ES3_S9_NS6_10device_ptrIiEESD_SD_SD_PmS8_NS6_8equal_toIiEEEE10hipError_tPvRmT2_T3_mT4_T5_T6_T7_T8_P12ihipStream_tbENKUlT_T0_E_clISt17integral_constantIbLb0EESY_EEDaST_SU_EUlST_E_NS1_11comp_targetILNS1_3genE10ELNS1_11target_archE1201ELNS1_3gpuE5ELNS1_3repE0EEENS1_30default_config_static_selectorELNS0_4arch9wavefront6targetE0EEEvT1_,"axG",@progbits,_ZN7rocprim17ROCPRIM_400000_NS6detail17trampoline_kernelINS0_14default_configENS1_29reduce_by_key_config_selectorIiiN6thrust23THRUST_200600_302600_NS4plusIiEEEEZZNS1_33reduce_by_key_impl_wrapped_configILNS1_25lookback_scan_determinismE0ES3_S9_NS6_10device_ptrIiEESD_SD_SD_PmS8_NS6_8equal_toIiEEEE10hipError_tPvRmT2_T3_mT4_T5_T6_T7_T8_P12ihipStream_tbENKUlT_T0_E_clISt17integral_constantIbLb0EESY_EEDaST_SU_EUlST_E_NS1_11comp_targetILNS1_3genE10ELNS1_11target_archE1201ELNS1_3gpuE5ELNS1_3repE0EEENS1_30default_config_static_selectorELNS0_4arch9wavefront6targetE0EEEvT1_,comdat
	.protected	_ZN7rocprim17ROCPRIM_400000_NS6detail17trampoline_kernelINS0_14default_configENS1_29reduce_by_key_config_selectorIiiN6thrust23THRUST_200600_302600_NS4plusIiEEEEZZNS1_33reduce_by_key_impl_wrapped_configILNS1_25lookback_scan_determinismE0ES3_S9_NS6_10device_ptrIiEESD_SD_SD_PmS8_NS6_8equal_toIiEEEE10hipError_tPvRmT2_T3_mT4_T5_T6_T7_T8_P12ihipStream_tbENKUlT_T0_E_clISt17integral_constantIbLb0EESY_EEDaST_SU_EUlST_E_NS1_11comp_targetILNS1_3genE10ELNS1_11target_archE1201ELNS1_3gpuE5ELNS1_3repE0EEENS1_30default_config_static_selectorELNS0_4arch9wavefront6targetE0EEEvT1_ ; -- Begin function _ZN7rocprim17ROCPRIM_400000_NS6detail17trampoline_kernelINS0_14default_configENS1_29reduce_by_key_config_selectorIiiN6thrust23THRUST_200600_302600_NS4plusIiEEEEZZNS1_33reduce_by_key_impl_wrapped_configILNS1_25lookback_scan_determinismE0ES3_S9_NS6_10device_ptrIiEESD_SD_SD_PmS8_NS6_8equal_toIiEEEE10hipError_tPvRmT2_T3_mT4_T5_T6_T7_T8_P12ihipStream_tbENKUlT_T0_E_clISt17integral_constantIbLb0EESY_EEDaST_SU_EUlST_E_NS1_11comp_targetILNS1_3genE10ELNS1_11target_archE1201ELNS1_3gpuE5ELNS1_3repE0EEENS1_30default_config_static_selectorELNS0_4arch9wavefront6targetE0EEEvT1_
	.globl	_ZN7rocprim17ROCPRIM_400000_NS6detail17trampoline_kernelINS0_14default_configENS1_29reduce_by_key_config_selectorIiiN6thrust23THRUST_200600_302600_NS4plusIiEEEEZZNS1_33reduce_by_key_impl_wrapped_configILNS1_25lookback_scan_determinismE0ES3_S9_NS6_10device_ptrIiEESD_SD_SD_PmS8_NS6_8equal_toIiEEEE10hipError_tPvRmT2_T3_mT4_T5_T6_T7_T8_P12ihipStream_tbENKUlT_T0_E_clISt17integral_constantIbLb0EESY_EEDaST_SU_EUlST_E_NS1_11comp_targetILNS1_3genE10ELNS1_11target_archE1201ELNS1_3gpuE5ELNS1_3repE0EEENS1_30default_config_static_selectorELNS0_4arch9wavefront6targetE0EEEvT1_
	.p2align	8
	.type	_ZN7rocprim17ROCPRIM_400000_NS6detail17trampoline_kernelINS0_14default_configENS1_29reduce_by_key_config_selectorIiiN6thrust23THRUST_200600_302600_NS4plusIiEEEEZZNS1_33reduce_by_key_impl_wrapped_configILNS1_25lookback_scan_determinismE0ES3_S9_NS6_10device_ptrIiEESD_SD_SD_PmS8_NS6_8equal_toIiEEEE10hipError_tPvRmT2_T3_mT4_T5_T6_T7_T8_P12ihipStream_tbENKUlT_T0_E_clISt17integral_constantIbLb0EESY_EEDaST_SU_EUlST_E_NS1_11comp_targetILNS1_3genE10ELNS1_11target_archE1201ELNS1_3gpuE5ELNS1_3repE0EEENS1_30default_config_static_selectorELNS0_4arch9wavefront6targetE0EEEvT1_,@function
_ZN7rocprim17ROCPRIM_400000_NS6detail17trampoline_kernelINS0_14default_configENS1_29reduce_by_key_config_selectorIiiN6thrust23THRUST_200600_302600_NS4plusIiEEEEZZNS1_33reduce_by_key_impl_wrapped_configILNS1_25lookback_scan_determinismE0ES3_S9_NS6_10device_ptrIiEESD_SD_SD_PmS8_NS6_8equal_toIiEEEE10hipError_tPvRmT2_T3_mT4_T5_T6_T7_T8_P12ihipStream_tbENKUlT_T0_E_clISt17integral_constantIbLb0EESY_EEDaST_SU_EUlST_E_NS1_11comp_targetILNS1_3genE10ELNS1_11target_archE1201ELNS1_3gpuE5ELNS1_3repE0EEENS1_30default_config_static_selectorELNS0_4arch9wavefront6targetE0EEEvT1_: ; @_ZN7rocprim17ROCPRIM_400000_NS6detail17trampoline_kernelINS0_14default_configENS1_29reduce_by_key_config_selectorIiiN6thrust23THRUST_200600_302600_NS4plusIiEEEEZZNS1_33reduce_by_key_impl_wrapped_configILNS1_25lookback_scan_determinismE0ES3_S9_NS6_10device_ptrIiEESD_SD_SD_PmS8_NS6_8equal_toIiEEEE10hipError_tPvRmT2_T3_mT4_T5_T6_T7_T8_P12ihipStream_tbENKUlT_T0_E_clISt17integral_constantIbLb0EESY_EEDaST_SU_EUlST_E_NS1_11comp_targetILNS1_3genE10ELNS1_11target_archE1201ELNS1_3gpuE5ELNS1_3repE0EEENS1_30default_config_static_selectorELNS0_4arch9wavefront6targetE0EEEvT1_
; %bb.0:
	.section	.rodata,"a",@progbits
	.p2align	6, 0x0
	.amdhsa_kernel _ZN7rocprim17ROCPRIM_400000_NS6detail17trampoline_kernelINS0_14default_configENS1_29reduce_by_key_config_selectorIiiN6thrust23THRUST_200600_302600_NS4plusIiEEEEZZNS1_33reduce_by_key_impl_wrapped_configILNS1_25lookback_scan_determinismE0ES3_S9_NS6_10device_ptrIiEESD_SD_SD_PmS8_NS6_8equal_toIiEEEE10hipError_tPvRmT2_T3_mT4_T5_T6_T7_T8_P12ihipStream_tbENKUlT_T0_E_clISt17integral_constantIbLb0EESY_EEDaST_SU_EUlST_E_NS1_11comp_targetILNS1_3genE10ELNS1_11target_archE1201ELNS1_3gpuE5ELNS1_3repE0EEENS1_30default_config_static_selectorELNS0_4arch9wavefront6targetE0EEEvT1_
		.amdhsa_group_segment_fixed_size 0
		.amdhsa_private_segment_fixed_size 0
		.amdhsa_kernarg_size 120
		.amdhsa_user_sgpr_count 15
		.amdhsa_user_sgpr_dispatch_ptr 0
		.amdhsa_user_sgpr_queue_ptr 0
		.amdhsa_user_sgpr_kernarg_segment_ptr 1
		.amdhsa_user_sgpr_dispatch_id 0
		.amdhsa_user_sgpr_private_segment_size 0
		.amdhsa_wavefront_size32 1
		.amdhsa_uses_dynamic_stack 0
		.amdhsa_enable_private_segment 0
		.amdhsa_system_sgpr_workgroup_id_x 1
		.amdhsa_system_sgpr_workgroup_id_y 0
		.amdhsa_system_sgpr_workgroup_id_z 0
		.amdhsa_system_sgpr_workgroup_info 0
		.amdhsa_system_vgpr_workitem_id 0
		.amdhsa_next_free_vgpr 1
		.amdhsa_next_free_sgpr 1
		.amdhsa_reserve_vcc 0
		.amdhsa_float_round_mode_32 0
		.amdhsa_float_round_mode_16_64 0
		.amdhsa_float_denorm_mode_32 3
		.amdhsa_float_denorm_mode_16_64 3
		.amdhsa_dx10_clamp 1
		.amdhsa_ieee_mode 1
		.amdhsa_fp16_overflow 0
		.amdhsa_workgroup_processor_mode 1
		.amdhsa_memory_ordered 1
		.amdhsa_forward_progress 0
		.amdhsa_shared_vgpr_count 0
		.amdhsa_exception_fp_ieee_invalid_op 0
		.amdhsa_exception_fp_denorm_src 0
		.amdhsa_exception_fp_ieee_div_zero 0
		.amdhsa_exception_fp_ieee_overflow 0
		.amdhsa_exception_fp_ieee_underflow 0
		.amdhsa_exception_fp_ieee_inexact 0
		.amdhsa_exception_int_div_zero 0
	.end_amdhsa_kernel
	.section	.text._ZN7rocprim17ROCPRIM_400000_NS6detail17trampoline_kernelINS0_14default_configENS1_29reduce_by_key_config_selectorIiiN6thrust23THRUST_200600_302600_NS4plusIiEEEEZZNS1_33reduce_by_key_impl_wrapped_configILNS1_25lookback_scan_determinismE0ES3_S9_NS6_10device_ptrIiEESD_SD_SD_PmS8_NS6_8equal_toIiEEEE10hipError_tPvRmT2_T3_mT4_T5_T6_T7_T8_P12ihipStream_tbENKUlT_T0_E_clISt17integral_constantIbLb0EESY_EEDaST_SU_EUlST_E_NS1_11comp_targetILNS1_3genE10ELNS1_11target_archE1201ELNS1_3gpuE5ELNS1_3repE0EEENS1_30default_config_static_selectorELNS0_4arch9wavefront6targetE0EEEvT1_,"axG",@progbits,_ZN7rocprim17ROCPRIM_400000_NS6detail17trampoline_kernelINS0_14default_configENS1_29reduce_by_key_config_selectorIiiN6thrust23THRUST_200600_302600_NS4plusIiEEEEZZNS1_33reduce_by_key_impl_wrapped_configILNS1_25lookback_scan_determinismE0ES3_S9_NS6_10device_ptrIiEESD_SD_SD_PmS8_NS6_8equal_toIiEEEE10hipError_tPvRmT2_T3_mT4_T5_T6_T7_T8_P12ihipStream_tbENKUlT_T0_E_clISt17integral_constantIbLb0EESY_EEDaST_SU_EUlST_E_NS1_11comp_targetILNS1_3genE10ELNS1_11target_archE1201ELNS1_3gpuE5ELNS1_3repE0EEENS1_30default_config_static_selectorELNS0_4arch9wavefront6targetE0EEEvT1_,comdat
.Lfunc_end1099:
	.size	_ZN7rocprim17ROCPRIM_400000_NS6detail17trampoline_kernelINS0_14default_configENS1_29reduce_by_key_config_selectorIiiN6thrust23THRUST_200600_302600_NS4plusIiEEEEZZNS1_33reduce_by_key_impl_wrapped_configILNS1_25lookback_scan_determinismE0ES3_S9_NS6_10device_ptrIiEESD_SD_SD_PmS8_NS6_8equal_toIiEEEE10hipError_tPvRmT2_T3_mT4_T5_T6_T7_T8_P12ihipStream_tbENKUlT_T0_E_clISt17integral_constantIbLb0EESY_EEDaST_SU_EUlST_E_NS1_11comp_targetILNS1_3genE10ELNS1_11target_archE1201ELNS1_3gpuE5ELNS1_3repE0EEENS1_30default_config_static_selectorELNS0_4arch9wavefront6targetE0EEEvT1_, .Lfunc_end1099-_ZN7rocprim17ROCPRIM_400000_NS6detail17trampoline_kernelINS0_14default_configENS1_29reduce_by_key_config_selectorIiiN6thrust23THRUST_200600_302600_NS4plusIiEEEEZZNS1_33reduce_by_key_impl_wrapped_configILNS1_25lookback_scan_determinismE0ES3_S9_NS6_10device_ptrIiEESD_SD_SD_PmS8_NS6_8equal_toIiEEEE10hipError_tPvRmT2_T3_mT4_T5_T6_T7_T8_P12ihipStream_tbENKUlT_T0_E_clISt17integral_constantIbLb0EESY_EEDaST_SU_EUlST_E_NS1_11comp_targetILNS1_3genE10ELNS1_11target_archE1201ELNS1_3gpuE5ELNS1_3repE0EEENS1_30default_config_static_selectorELNS0_4arch9wavefront6targetE0EEEvT1_
                                        ; -- End function
	.section	.AMDGPU.csdata,"",@progbits
; Kernel info:
; codeLenInByte = 0
; NumSgprs: 0
; NumVgprs: 0
; ScratchSize: 0
; MemoryBound: 0
; FloatMode: 240
; IeeeMode: 1
; LDSByteSize: 0 bytes/workgroup (compile time only)
; SGPRBlocks: 0
; VGPRBlocks: 0
; NumSGPRsForWavesPerEU: 1
; NumVGPRsForWavesPerEU: 1
; Occupancy: 16
; WaveLimiterHint : 0
; COMPUTE_PGM_RSRC2:SCRATCH_EN: 0
; COMPUTE_PGM_RSRC2:USER_SGPR: 15
; COMPUTE_PGM_RSRC2:TRAP_HANDLER: 0
; COMPUTE_PGM_RSRC2:TGID_X_EN: 1
; COMPUTE_PGM_RSRC2:TGID_Y_EN: 0
; COMPUTE_PGM_RSRC2:TGID_Z_EN: 0
; COMPUTE_PGM_RSRC2:TIDIG_COMP_CNT: 0
	.section	.text._ZN7rocprim17ROCPRIM_400000_NS6detail17trampoline_kernelINS0_14default_configENS1_29reduce_by_key_config_selectorIiiN6thrust23THRUST_200600_302600_NS4plusIiEEEEZZNS1_33reduce_by_key_impl_wrapped_configILNS1_25lookback_scan_determinismE0ES3_S9_NS6_10device_ptrIiEESD_SD_SD_PmS8_NS6_8equal_toIiEEEE10hipError_tPvRmT2_T3_mT4_T5_T6_T7_T8_P12ihipStream_tbENKUlT_T0_E_clISt17integral_constantIbLb0EESY_EEDaST_SU_EUlST_E_NS1_11comp_targetILNS1_3genE10ELNS1_11target_archE1200ELNS1_3gpuE4ELNS1_3repE0EEENS1_30default_config_static_selectorELNS0_4arch9wavefront6targetE0EEEvT1_,"axG",@progbits,_ZN7rocprim17ROCPRIM_400000_NS6detail17trampoline_kernelINS0_14default_configENS1_29reduce_by_key_config_selectorIiiN6thrust23THRUST_200600_302600_NS4plusIiEEEEZZNS1_33reduce_by_key_impl_wrapped_configILNS1_25lookback_scan_determinismE0ES3_S9_NS6_10device_ptrIiEESD_SD_SD_PmS8_NS6_8equal_toIiEEEE10hipError_tPvRmT2_T3_mT4_T5_T6_T7_T8_P12ihipStream_tbENKUlT_T0_E_clISt17integral_constantIbLb0EESY_EEDaST_SU_EUlST_E_NS1_11comp_targetILNS1_3genE10ELNS1_11target_archE1200ELNS1_3gpuE4ELNS1_3repE0EEENS1_30default_config_static_selectorELNS0_4arch9wavefront6targetE0EEEvT1_,comdat
	.protected	_ZN7rocprim17ROCPRIM_400000_NS6detail17trampoline_kernelINS0_14default_configENS1_29reduce_by_key_config_selectorIiiN6thrust23THRUST_200600_302600_NS4plusIiEEEEZZNS1_33reduce_by_key_impl_wrapped_configILNS1_25lookback_scan_determinismE0ES3_S9_NS6_10device_ptrIiEESD_SD_SD_PmS8_NS6_8equal_toIiEEEE10hipError_tPvRmT2_T3_mT4_T5_T6_T7_T8_P12ihipStream_tbENKUlT_T0_E_clISt17integral_constantIbLb0EESY_EEDaST_SU_EUlST_E_NS1_11comp_targetILNS1_3genE10ELNS1_11target_archE1200ELNS1_3gpuE4ELNS1_3repE0EEENS1_30default_config_static_selectorELNS0_4arch9wavefront6targetE0EEEvT1_ ; -- Begin function _ZN7rocprim17ROCPRIM_400000_NS6detail17trampoline_kernelINS0_14default_configENS1_29reduce_by_key_config_selectorIiiN6thrust23THRUST_200600_302600_NS4plusIiEEEEZZNS1_33reduce_by_key_impl_wrapped_configILNS1_25lookback_scan_determinismE0ES3_S9_NS6_10device_ptrIiEESD_SD_SD_PmS8_NS6_8equal_toIiEEEE10hipError_tPvRmT2_T3_mT4_T5_T6_T7_T8_P12ihipStream_tbENKUlT_T0_E_clISt17integral_constantIbLb0EESY_EEDaST_SU_EUlST_E_NS1_11comp_targetILNS1_3genE10ELNS1_11target_archE1200ELNS1_3gpuE4ELNS1_3repE0EEENS1_30default_config_static_selectorELNS0_4arch9wavefront6targetE0EEEvT1_
	.globl	_ZN7rocprim17ROCPRIM_400000_NS6detail17trampoline_kernelINS0_14default_configENS1_29reduce_by_key_config_selectorIiiN6thrust23THRUST_200600_302600_NS4plusIiEEEEZZNS1_33reduce_by_key_impl_wrapped_configILNS1_25lookback_scan_determinismE0ES3_S9_NS6_10device_ptrIiEESD_SD_SD_PmS8_NS6_8equal_toIiEEEE10hipError_tPvRmT2_T3_mT4_T5_T6_T7_T8_P12ihipStream_tbENKUlT_T0_E_clISt17integral_constantIbLb0EESY_EEDaST_SU_EUlST_E_NS1_11comp_targetILNS1_3genE10ELNS1_11target_archE1200ELNS1_3gpuE4ELNS1_3repE0EEENS1_30default_config_static_selectorELNS0_4arch9wavefront6targetE0EEEvT1_
	.p2align	8
	.type	_ZN7rocprim17ROCPRIM_400000_NS6detail17trampoline_kernelINS0_14default_configENS1_29reduce_by_key_config_selectorIiiN6thrust23THRUST_200600_302600_NS4plusIiEEEEZZNS1_33reduce_by_key_impl_wrapped_configILNS1_25lookback_scan_determinismE0ES3_S9_NS6_10device_ptrIiEESD_SD_SD_PmS8_NS6_8equal_toIiEEEE10hipError_tPvRmT2_T3_mT4_T5_T6_T7_T8_P12ihipStream_tbENKUlT_T0_E_clISt17integral_constantIbLb0EESY_EEDaST_SU_EUlST_E_NS1_11comp_targetILNS1_3genE10ELNS1_11target_archE1200ELNS1_3gpuE4ELNS1_3repE0EEENS1_30default_config_static_selectorELNS0_4arch9wavefront6targetE0EEEvT1_,@function
_ZN7rocprim17ROCPRIM_400000_NS6detail17trampoline_kernelINS0_14default_configENS1_29reduce_by_key_config_selectorIiiN6thrust23THRUST_200600_302600_NS4plusIiEEEEZZNS1_33reduce_by_key_impl_wrapped_configILNS1_25lookback_scan_determinismE0ES3_S9_NS6_10device_ptrIiEESD_SD_SD_PmS8_NS6_8equal_toIiEEEE10hipError_tPvRmT2_T3_mT4_T5_T6_T7_T8_P12ihipStream_tbENKUlT_T0_E_clISt17integral_constantIbLb0EESY_EEDaST_SU_EUlST_E_NS1_11comp_targetILNS1_3genE10ELNS1_11target_archE1200ELNS1_3gpuE4ELNS1_3repE0EEENS1_30default_config_static_selectorELNS0_4arch9wavefront6targetE0EEEvT1_: ; @_ZN7rocprim17ROCPRIM_400000_NS6detail17trampoline_kernelINS0_14default_configENS1_29reduce_by_key_config_selectorIiiN6thrust23THRUST_200600_302600_NS4plusIiEEEEZZNS1_33reduce_by_key_impl_wrapped_configILNS1_25lookback_scan_determinismE0ES3_S9_NS6_10device_ptrIiEESD_SD_SD_PmS8_NS6_8equal_toIiEEEE10hipError_tPvRmT2_T3_mT4_T5_T6_T7_T8_P12ihipStream_tbENKUlT_T0_E_clISt17integral_constantIbLb0EESY_EEDaST_SU_EUlST_E_NS1_11comp_targetILNS1_3genE10ELNS1_11target_archE1200ELNS1_3gpuE4ELNS1_3repE0EEENS1_30default_config_static_selectorELNS0_4arch9wavefront6targetE0EEEvT1_
; %bb.0:
	.section	.rodata,"a",@progbits
	.p2align	6, 0x0
	.amdhsa_kernel _ZN7rocprim17ROCPRIM_400000_NS6detail17trampoline_kernelINS0_14default_configENS1_29reduce_by_key_config_selectorIiiN6thrust23THRUST_200600_302600_NS4plusIiEEEEZZNS1_33reduce_by_key_impl_wrapped_configILNS1_25lookback_scan_determinismE0ES3_S9_NS6_10device_ptrIiEESD_SD_SD_PmS8_NS6_8equal_toIiEEEE10hipError_tPvRmT2_T3_mT4_T5_T6_T7_T8_P12ihipStream_tbENKUlT_T0_E_clISt17integral_constantIbLb0EESY_EEDaST_SU_EUlST_E_NS1_11comp_targetILNS1_3genE10ELNS1_11target_archE1200ELNS1_3gpuE4ELNS1_3repE0EEENS1_30default_config_static_selectorELNS0_4arch9wavefront6targetE0EEEvT1_
		.amdhsa_group_segment_fixed_size 0
		.amdhsa_private_segment_fixed_size 0
		.amdhsa_kernarg_size 120
		.amdhsa_user_sgpr_count 15
		.amdhsa_user_sgpr_dispatch_ptr 0
		.amdhsa_user_sgpr_queue_ptr 0
		.amdhsa_user_sgpr_kernarg_segment_ptr 1
		.amdhsa_user_sgpr_dispatch_id 0
		.amdhsa_user_sgpr_private_segment_size 0
		.amdhsa_wavefront_size32 1
		.amdhsa_uses_dynamic_stack 0
		.amdhsa_enable_private_segment 0
		.amdhsa_system_sgpr_workgroup_id_x 1
		.amdhsa_system_sgpr_workgroup_id_y 0
		.amdhsa_system_sgpr_workgroup_id_z 0
		.amdhsa_system_sgpr_workgroup_info 0
		.amdhsa_system_vgpr_workitem_id 0
		.amdhsa_next_free_vgpr 1
		.amdhsa_next_free_sgpr 1
		.amdhsa_reserve_vcc 0
		.amdhsa_float_round_mode_32 0
		.amdhsa_float_round_mode_16_64 0
		.amdhsa_float_denorm_mode_32 3
		.amdhsa_float_denorm_mode_16_64 3
		.amdhsa_dx10_clamp 1
		.amdhsa_ieee_mode 1
		.amdhsa_fp16_overflow 0
		.amdhsa_workgroup_processor_mode 1
		.amdhsa_memory_ordered 1
		.amdhsa_forward_progress 0
		.amdhsa_shared_vgpr_count 0
		.amdhsa_exception_fp_ieee_invalid_op 0
		.amdhsa_exception_fp_denorm_src 0
		.amdhsa_exception_fp_ieee_div_zero 0
		.amdhsa_exception_fp_ieee_overflow 0
		.amdhsa_exception_fp_ieee_underflow 0
		.amdhsa_exception_fp_ieee_inexact 0
		.amdhsa_exception_int_div_zero 0
	.end_amdhsa_kernel
	.section	.text._ZN7rocprim17ROCPRIM_400000_NS6detail17trampoline_kernelINS0_14default_configENS1_29reduce_by_key_config_selectorIiiN6thrust23THRUST_200600_302600_NS4plusIiEEEEZZNS1_33reduce_by_key_impl_wrapped_configILNS1_25lookback_scan_determinismE0ES3_S9_NS6_10device_ptrIiEESD_SD_SD_PmS8_NS6_8equal_toIiEEEE10hipError_tPvRmT2_T3_mT4_T5_T6_T7_T8_P12ihipStream_tbENKUlT_T0_E_clISt17integral_constantIbLb0EESY_EEDaST_SU_EUlST_E_NS1_11comp_targetILNS1_3genE10ELNS1_11target_archE1200ELNS1_3gpuE4ELNS1_3repE0EEENS1_30default_config_static_selectorELNS0_4arch9wavefront6targetE0EEEvT1_,"axG",@progbits,_ZN7rocprim17ROCPRIM_400000_NS6detail17trampoline_kernelINS0_14default_configENS1_29reduce_by_key_config_selectorIiiN6thrust23THRUST_200600_302600_NS4plusIiEEEEZZNS1_33reduce_by_key_impl_wrapped_configILNS1_25lookback_scan_determinismE0ES3_S9_NS6_10device_ptrIiEESD_SD_SD_PmS8_NS6_8equal_toIiEEEE10hipError_tPvRmT2_T3_mT4_T5_T6_T7_T8_P12ihipStream_tbENKUlT_T0_E_clISt17integral_constantIbLb0EESY_EEDaST_SU_EUlST_E_NS1_11comp_targetILNS1_3genE10ELNS1_11target_archE1200ELNS1_3gpuE4ELNS1_3repE0EEENS1_30default_config_static_selectorELNS0_4arch9wavefront6targetE0EEEvT1_,comdat
.Lfunc_end1100:
	.size	_ZN7rocprim17ROCPRIM_400000_NS6detail17trampoline_kernelINS0_14default_configENS1_29reduce_by_key_config_selectorIiiN6thrust23THRUST_200600_302600_NS4plusIiEEEEZZNS1_33reduce_by_key_impl_wrapped_configILNS1_25lookback_scan_determinismE0ES3_S9_NS6_10device_ptrIiEESD_SD_SD_PmS8_NS6_8equal_toIiEEEE10hipError_tPvRmT2_T3_mT4_T5_T6_T7_T8_P12ihipStream_tbENKUlT_T0_E_clISt17integral_constantIbLb0EESY_EEDaST_SU_EUlST_E_NS1_11comp_targetILNS1_3genE10ELNS1_11target_archE1200ELNS1_3gpuE4ELNS1_3repE0EEENS1_30default_config_static_selectorELNS0_4arch9wavefront6targetE0EEEvT1_, .Lfunc_end1100-_ZN7rocprim17ROCPRIM_400000_NS6detail17trampoline_kernelINS0_14default_configENS1_29reduce_by_key_config_selectorIiiN6thrust23THRUST_200600_302600_NS4plusIiEEEEZZNS1_33reduce_by_key_impl_wrapped_configILNS1_25lookback_scan_determinismE0ES3_S9_NS6_10device_ptrIiEESD_SD_SD_PmS8_NS6_8equal_toIiEEEE10hipError_tPvRmT2_T3_mT4_T5_T6_T7_T8_P12ihipStream_tbENKUlT_T0_E_clISt17integral_constantIbLb0EESY_EEDaST_SU_EUlST_E_NS1_11comp_targetILNS1_3genE10ELNS1_11target_archE1200ELNS1_3gpuE4ELNS1_3repE0EEENS1_30default_config_static_selectorELNS0_4arch9wavefront6targetE0EEEvT1_
                                        ; -- End function
	.section	.AMDGPU.csdata,"",@progbits
; Kernel info:
; codeLenInByte = 0
; NumSgprs: 0
; NumVgprs: 0
; ScratchSize: 0
; MemoryBound: 0
; FloatMode: 240
; IeeeMode: 1
; LDSByteSize: 0 bytes/workgroup (compile time only)
; SGPRBlocks: 0
; VGPRBlocks: 0
; NumSGPRsForWavesPerEU: 1
; NumVGPRsForWavesPerEU: 1
; Occupancy: 16
; WaveLimiterHint : 0
; COMPUTE_PGM_RSRC2:SCRATCH_EN: 0
; COMPUTE_PGM_RSRC2:USER_SGPR: 15
; COMPUTE_PGM_RSRC2:TRAP_HANDLER: 0
; COMPUTE_PGM_RSRC2:TGID_X_EN: 1
; COMPUTE_PGM_RSRC2:TGID_Y_EN: 0
; COMPUTE_PGM_RSRC2:TGID_Z_EN: 0
; COMPUTE_PGM_RSRC2:TIDIG_COMP_CNT: 0
	.section	.text._ZN7rocprim17ROCPRIM_400000_NS6detail17trampoline_kernelINS0_14default_configENS1_29reduce_by_key_config_selectorIiiN6thrust23THRUST_200600_302600_NS4plusIiEEEEZZNS1_33reduce_by_key_impl_wrapped_configILNS1_25lookback_scan_determinismE0ES3_S9_NS6_10device_ptrIiEESD_SD_SD_PmS8_NS6_8equal_toIiEEEE10hipError_tPvRmT2_T3_mT4_T5_T6_T7_T8_P12ihipStream_tbENKUlT_T0_E_clISt17integral_constantIbLb0EESY_EEDaST_SU_EUlST_E_NS1_11comp_targetILNS1_3genE9ELNS1_11target_archE1100ELNS1_3gpuE3ELNS1_3repE0EEENS1_30default_config_static_selectorELNS0_4arch9wavefront6targetE0EEEvT1_,"axG",@progbits,_ZN7rocprim17ROCPRIM_400000_NS6detail17trampoline_kernelINS0_14default_configENS1_29reduce_by_key_config_selectorIiiN6thrust23THRUST_200600_302600_NS4plusIiEEEEZZNS1_33reduce_by_key_impl_wrapped_configILNS1_25lookback_scan_determinismE0ES3_S9_NS6_10device_ptrIiEESD_SD_SD_PmS8_NS6_8equal_toIiEEEE10hipError_tPvRmT2_T3_mT4_T5_T6_T7_T8_P12ihipStream_tbENKUlT_T0_E_clISt17integral_constantIbLb0EESY_EEDaST_SU_EUlST_E_NS1_11comp_targetILNS1_3genE9ELNS1_11target_archE1100ELNS1_3gpuE3ELNS1_3repE0EEENS1_30default_config_static_selectorELNS0_4arch9wavefront6targetE0EEEvT1_,comdat
	.protected	_ZN7rocprim17ROCPRIM_400000_NS6detail17trampoline_kernelINS0_14default_configENS1_29reduce_by_key_config_selectorIiiN6thrust23THRUST_200600_302600_NS4plusIiEEEEZZNS1_33reduce_by_key_impl_wrapped_configILNS1_25lookback_scan_determinismE0ES3_S9_NS6_10device_ptrIiEESD_SD_SD_PmS8_NS6_8equal_toIiEEEE10hipError_tPvRmT2_T3_mT4_T5_T6_T7_T8_P12ihipStream_tbENKUlT_T0_E_clISt17integral_constantIbLb0EESY_EEDaST_SU_EUlST_E_NS1_11comp_targetILNS1_3genE9ELNS1_11target_archE1100ELNS1_3gpuE3ELNS1_3repE0EEENS1_30default_config_static_selectorELNS0_4arch9wavefront6targetE0EEEvT1_ ; -- Begin function _ZN7rocprim17ROCPRIM_400000_NS6detail17trampoline_kernelINS0_14default_configENS1_29reduce_by_key_config_selectorIiiN6thrust23THRUST_200600_302600_NS4plusIiEEEEZZNS1_33reduce_by_key_impl_wrapped_configILNS1_25lookback_scan_determinismE0ES3_S9_NS6_10device_ptrIiEESD_SD_SD_PmS8_NS6_8equal_toIiEEEE10hipError_tPvRmT2_T3_mT4_T5_T6_T7_T8_P12ihipStream_tbENKUlT_T0_E_clISt17integral_constantIbLb0EESY_EEDaST_SU_EUlST_E_NS1_11comp_targetILNS1_3genE9ELNS1_11target_archE1100ELNS1_3gpuE3ELNS1_3repE0EEENS1_30default_config_static_selectorELNS0_4arch9wavefront6targetE0EEEvT1_
	.globl	_ZN7rocprim17ROCPRIM_400000_NS6detail17trampoline_kernelINS0_14default_configENS1_29reduce_by_key_config_selectorIiiN6thrust23THRUST_200600_302600_NS4plusIiEEEEZZNS1_33reduce_by_key_impl_wrapped_configILNS1_25lookback_scan_determinismE0ES3_S9_NS6_10device_ptrIiEESD_SD_SD_PmS8_NS6_8equal_toIiEEEE10hipError_tPvRmT2_T3_mT4_T5_T6_T7_T8_P12ihipStream_tbENKUlT_T0_E_clISt17integral_constantIbLb0EESY_EEDaST_SU_EUlST_E_NS1_11comp_targetILNS1_3genE9ELNS1_11target_archE1100ELNS1_3gpuE3ELNS1_3repE0EEENS1_30default_config_static_selectorELNS0_4arch9wavefront6targetE0EEEvT1_
	.p2align	8
	.type	_ZN7rocprim17ROCPRIM_400000_NS6detail17trampoline_kernelINS0_14default_configENS1_29reduce_by_key_config_selectorIiiN6thrust23THRUST_200600_302600_NS4plusIiEEEEZZNS1_33reduce_by_key_impl_wrapped_configILNS1_25lookback_scan_determinismE0ES3_S9_NS6_10device_ptrIiEESD_SD_SD_PmS8_NS6_8equal_toIiEEEE10hipError_tPvRmT2_T3_mT4_T5_T6_T7_T8_P12ihipStream_tbENKUlT_T0_E_clISt17integral_constantIbLb0EESY_EEDaST_SU_EUlST_E_NS1_11comp_targetILNS1_3genE9ELNS1_11target_archE1100ELNS1_3gpuE3ELNS1_3repE0EEENS1_30default_config_static_selectorELNS0_4arch9wavefront6targetE0EEEvT1_,@function
_ZN7rocprim17ROCPRIM_400000_NS6detail17trampoline_kernelINS0_14default_configENS1_29reduce_by_key_config_selectorIiiN6thrust23THRUST_200600_302600_NS4plusIiEEEEZZNS1_33reduce_by_key_impl_wrapped_configILNS1_25lookback_scan_determinismE0ES3_S9_NS6_10device_ptrIiEESD_SD_SD_PmS8_NS6_8equal_toIiEEEE10hipError_tPvRmT2_T3_mT4_T5_T6_T7_T8_P12ihipStream_tbENKUlT_T0_E_clISt17integral_constantIbLb0EESY_EEDaST_SU_EUlST_E_NS1_11comp_targetILNS1_3genE9ELNS1_11target_archE1100ELNS1_3gpuE3ELNS1_3repE0EEENS1_30default_config_static_selectorELNS0_4arch9wavefront6targetE0EEEvT1_: ; @_ZN7rocprim17ROCPRIM_400000_NS6detail17trampoline_kernelINS0_14default_configENS1_29reduce_by_key_config_selectorIiiN6thrust23THRUST_200600_302600_NS4plusIiEEEEZZNS1_33reduce_by_key_impl_wrapped_configILNS1_25lookback_scan_determinismE0ES3_S9_NS6_10device_ptrIiEESD_SD_SD_PmS8_NS6_8equal_toIiEEEE10hipError_tPvRmT2_T3_mT4_T5_T6_T7_T8_P12ihipStream_tbENKUlT_T0_E_clISt17integral_constantIbLb0EESY_EEDaST_SU_EUlST_E_NS1_11comp_targetILNS1_3genE9ELNS1_11target_archE1100ELNS1_3gpuE3ELNS1_3repE0EEENS1_30default_config_static_selectorELNS0_4arch9wavefront6targetE0EEEvT1_
; %bb.0:
	s_clause 0x4
	s_load_b256 s[16:23], s[0:1], 0x0
	s_load_b256 s[24:31], s[0:1], 0x38
	s_load_b128 s[36:39], s[0:1], 0x20
	s_load_b64 s[34:35], s[0:1], 0x68
	s_load_b128 s[40:43], s[0:1], 0x58
	s_mov_b32 s3, 0
	s_mul_i32 s2, s15, 0xf00
	s_waitcnt lgkmcnt(0)
	s_lshl_b64 s[0:1], s[18:19], 2
	s_mul_i32 s4, s28, s27
	s_add_u32 s8, s16, s0
	s_mul_hi_u32 s5, s28, s26
	s_addc_u32 s9, s17, s1
	s_add_u32 s10, s20, s0
	s_mul_i32 s6, s29, s26
	s_addc_u32 s11, s21, s1
	s_add_i32 s4, s5, s4
	s_lshl_b64 s[0:1], s[2:3], 2
	s_add_i32 s4, s4, s6
	s_add_u32 s33, s8, s0
	s_addc_u32 s29, s9, s1
	s_mul_i32 s7, s28, s26
	s_add_u32 s18, s10, s0
	s_addc_u32 s19, s11, s1
	s_add_u32 s16, s7, s15
	s_addc_u32 s17, s4, 0
	s_add_u32 s0, s30, -1
	s_addc_u32 s1, s31, -1
	s_mul_i32 s21, s0, 0xfffff100
	s_cmp_eq_u64 s[16:17], s[0:1]
	s_cselect_b32 s20, -1, 0
	s_cmp_lg_u64 s[16:17], s[0:1]
	s_cselect_b32 s14, -1, 0
	s_and_b32 vcc_lo, exec_lo, s20
	s_cbranch_vccnz .LBB1101_2
; %bb.1:
	v_lshlrev_b32_e32 v8, 2, v0
	s_delay_alu instid0(VALU_DEP_1) | instskip(NEXT) | instid1(VALU_DEP_1)
	v_add_co_u32 v1, s0, s33, v8
	v_add_co_ci_u32_e64 v2, null, s29, 0, s0
	s_delay_alu instid0(VALU_DEP_2) | instskip(NEXT) | instid1(VALU_DEP_2)
	v_add_co_u32 v3, vcc_lo, 0x1000, v1
	v_add_co_ci_u32_e32 v4, vcc_lo, 0, v2, vcc_lo
	s_clause 0x7
	flat_load_b32 v9, v[1:2]
	flat_load_b32 v10, v[1:2] offset:1024
	flat_load_b32 v11, v[1:2] offset:2048
	;; [unrolled: 1-line block ×3, first 2 shown]
	flat_load_b32 v13, v[3:4]
	flat_load_b32 v14, v[3:4] offset:1024
	flat_load_b32 v15, v[3:4] offset:2048
	;; [unrolled: 1-line block ×3, first 2 shown]
	v_add_co_u32 v3, vcc_lo, 0x2000, v1
	v_add_co_ci_u32_e32 v4, vcc_lo, 0, v2, vcc_lo
	v_add_co_u32 v1, vcc_lo, 0x3000, v1
	v_add_co_ci_u32_e32 v2, vcc_lo, 0, v2, vcc_lo
	s_clause 0x6
	flat_load_b32 v17, v[3:4]
	flat_load_b32 v18, v[3:4] offset:1024
	flat_load_b32 v19, v[3:4] offset:2048
	;; [unrolled: 1-line block ×3, first 2 shown]
	flat_load_b32 v21, v[1:2]
	flat_load_b32 v22, v[1:2] offset:1024
	flat_load_b32 v25, v[1:2] offset:2048
	v_add_co_u32 v2, s0, s18, v8
	s_delay_alu instid0(VALU_DEP_1) | instskip(SKIP_1) | instid1(VALU_DEP_3)
	v_add_co_ci_u32_e64 v3, null, s19, 0, s0
	v_mad_u32_u24 v1, v0, 56, v8
	v_add_co_u32 v4, vcc_lo, 0x1000, v2
	s_delay_alu instid0(VALU_DEP_3)
	v_add_co_ci_u32_e32 v5, vcc_lo, 0, v3, vcc_lo
	v_add_co_u32 v6, vcc_lo, 0x2000, v2
	v_add_co_ci_u32_e32 v7, vcc_lo, 0, v3, vcc_lo
	v_add_co_u32 v23, vcc_lo, 0x3000, v2
	v_add_co_ci_u32_e32 v24, vcc_lo, 0, v3, vcc_lo
	s_waitcnt vmcnt(13) lgkmcnt(13)
	ds_store_2addr_stride64_b32 v8, v9, v10 offset1:4
	s_waitcnt vmcnt(11) lgkmcnt(12)
	ds_store_2addr_stride64_b32 v8, v11, v12 offset0:8 offset1:12
	s_waitcnt vmcnt(9) lgkmcnt(11)
	ds_store_2addr_stride64_b32 v8, v13, v14 offset0:16 offset1:20
	;; [unrolled: 2-line block ×6, first 2 shown]
	s_waitcnt vmcnt(0) lgkmcnt(7)
	ds_store_b32 v8, v25 offset:14336
	s_waitcnt lgkmcnt(0)
	s_barrier
	buffer_gl0_inv
	ds_load_2addr_b32 v[21:22], v1 offset1:1
	ds_load_2addr_b32 v[19:20], v1 offset0:2 offset1:3
	ds_load_2addr_b32 v[17:18], v1 offset0:4 offset1:5
	;; [unrolled: 1-line block ×6, first 2 shown]
	ds_load_b32 v63, v1 offset:56
	s_waitcnt lgkmcnt(0)
	s_barrier
	buffer_gl0_inv
	s_clause 0xe
	flat_load_b32 v25, v[2:3]
	flat_load_b32 v26, v[2:3] offset:1024
	flat_load_b32 v27, v[2:3] offset:2048
	flat_load_b32 v2, v[2:3] offset:3072
	flat_load_b32 v3, v[4:5]
	flat_load_b32 v28, v[4:5] offset:1024
	flat_load_b32 v29, v[4:5] offset:2048
	flat_load_b32 v4, v[4:5] offset:3072
	;; [unrolled: 4-line block ×3, first 2 shown]
	flat_load_b32 v7, v[23:24]
	flat_load_b32 v32, v[23:24] offset:1024
	flat_load_b32 v23, v[23:24] offset:2048
	s_waitcnt vmcnt(13) lgkmcnt(13)
	ds_store_2addr_stride64_b32 v8, v25, v26 offset1:4
	s_waitcnt vmcnt(11) lgkmcnt(12)
	ds_store_2addr_stride64_b32 v8, v27, v2 offset0:8 offset1:12
	s_waitcnt vmcnt(9) lgkmcnt(11)
	ds_store_2addr_stride64_b32 v8, v3, v28 offset0:16 offset1:20
	;; [unrolled: 2-line block ×6, first 2 shown]
	s_waitcnt vmcnt(0) lgkmcnt(7)
	ds_store_b32 v8, v23 offset:14336
	s_waitcnt lgkmcnt(0)
	s_barrier
	s_and_not1_b32 vcc_lo, exec_lo, s3
	s_add_i32 s21, s21, s40
	s_cbranch_vccz .LBB1101_3
	s_branch .LBB1101_50
.LBB1101_2:
                                        ; implicit-def: $vgpr1
                                        ; implicit-def: $vgpr21
                                        ; implicit-def: $vgpr19
                                        ; implicit-def: $vgpr17
                                        ; implicit-def: $vgpr15
                                        ; implicit-def: $vgpr13
                                        ; implicit-def: $vgpr11
                                        ; implicit-def: $vgpr9
                                        ; implicit-def: $vgpr63
	s_add_i32 s21, s21, s40
.LBB1101_3:
	s_delay_alu instid0(SALU_CYCLE_1)
	v_cmp_gt_u32_e32 vcc_lo, s21, v0
                                        ; implicit-def: $vgpr1
	s_and_saveexec_b32 s0, vcc_lo
	s_cbranch_execz .LBB1101_5
; %bb.4:
	v_lshlrev_b32_e32 v1, 2, v0
	s_delay_alu instid0(VALU_DEP_1) | instskip(NEXT) | instid1(VALU_DEP_1)
	v_add_co_u32 v1, s1, s33, v1
	v_add_co_ci_u32_e64 v2, null, s29, 0, s1
	flat_load_b32 v1, v[1:2]
.LBB1101_5:
	s_or_b32 exec_lo, exec_lo, s0
	v_or_b32_e32 v2, 0x100, v0
                                        ; implicit-def: $vgpr9
	s_delay_alu instid0(VALU_DEP_1) | instskip(NEXT) | instid1(VALU_DEP_1)
	v_cmp_gt_u32_e64 s0, s21, v2
	s_and_saveexec_b32 s1, s0
	s_cbranch_execz .LBB1101_7
; %bb.6:
	v_lshlrev_b32_e32 v2, 2, v0
	s_delay_alu instid0(VALU_DEP_1) | instskip(NEXT) | instid1(VALU_DEP_1)
	v_add_co_u32 v2, s2, s33, v2
	v_add_co_ci_u32_e64 v3, null, s29, 0, s2
	flat_load_b32 v9, v[2:3] offset:1024
.LBB1101_7:
	s_or_b32 exec_lo, exec_lo, s1
	v_or_b32_e32 v2, 0x200, v0
                                        ; implicit-def: $vgpr10
	s_delay_alu instid0(VALU_DEP_1) | instskip(NEXT) | instid1(VALU_DEP_1)
	v_cmp_gt_u32_e64 s1, s21, v2
	s_and_saveexec_b32 s2, s1
	s_cbranch_execz .LBB1101_9
; %bb.8:
	v_lshlrev_b32_e32 v2, 2, v0
	s_delay_alu instid0(VALU_DEP_1) | instskip(NEXT) | instid1(VALU_DEP_1)
	v_add_co_u32 v2, s3, s33, v2
	v_add_co_ci_u32_e64 v3, null, s29, 0, s3
	flat_load_b32 v10, v[2:3] offset:2048
.LBB1101_9:
	s_or_b32 exec_lo, exec_lo, s2
	v_or_b32_e32 v2, 0x300, v0
                                        ; implicit-def: $vgpr11
	s_delay_alu instid0(VALU_DEP_1) | instskip(NEXT) | instid1(VALU_DEP_1)
	v_cmp_gt_u32_e64 s2, s21, v2
	s_and_saveexec_b32 s3, s2
	s_cbranch_execz .LBB1101_11
; %bb.10:
	v_lshlrev_b32_e32 v2, 2, v0
	s_delay_alu instid0(VALU_DEP_1) | instskip(NEXT) | instid1(VALU_DEP_1)
	v_add_co_u32 v2, s4, s33, v2
	v_add_co_ci_u32_e64 v3, null, s29, 0, s4
	flat_load_b32 v11, v[2:3] offset:3072
.LBB1101_11:
	s_or_b32 exec_lo, exec_lo, s3
	v_or_b32_e32 v2, 0x400, v0
                                        ; implicit-def: $vgpr12
	s_delay_alu instid0(VALU_DEP_1) | instskip(SKIP_1) | instid1(VALU_DEP_2)
	v_cmp_gt_u32_e64 s3, s21, v2
	v_lshlrev_b32_e32 v2, 2, v2
	s_and_saveexec_b32 s4, s3
	s_cbranch_execz .LBB1101_13
; %bb.12:
	s_delay_alu instid0(VALU_DEP_1) | instskip(NEXT) | instid1(VALU_DEP_1)
	v_add_co_u32 v3, s5, s33, v2
	v_add_co_ci_u32_e64 v4, null, s29, 0, s5
	flat_load_b32 v12, v[3:4]
.LBB1101_13:
	s_or_b32 exec_lo, exec_lo, s4
	v_or_b32_e32 v3, 0x500, v0
                                        ; implicit-def: $vgpr13
	s_delay_alu instid0(VALU_DEP_1) | instskip(SKIP_1) | instid1(VALU_DEP_2)
	v_cmp_gt_u32_e64 s4, s21, v3
	v_lshlrev_b32_e32 v3, 2, v3
	s_and_saveexec_b32 s5, s4
	s_cbranch_execz .LBB1101_15
; %bb.14:
	s_delay_alu instid0(VALU_DEP_1) | instskip(NEXT) | instid1(VALU_DEP_1)
	v_add_co_u32 v4, s6, s33, v3
	v_add_co_ci_u32_e64 v5, null, s29, 0, s6
	flat_load_b32 v13, v[4:5]
.LBB1101_15:
	s_or_b32 exec_lo, exec_lo, s5
	v_or_b32_e32 v4, 0x600, v0
                                        ; implicit-def: $vgpr14
	s_delay_alu instid0(VALU_DEP_1) | instskip(SKIP_1) | instid1(VALU_DEP_2)
	v_cmp_gt_u32_e64 s5, s21, v4
	v_lshlrev_b32_e32 v4, 2, v4
	s_and_saveexec_b32 s6, s5
	s_cbranch_execz .LBB1101_17
; %bb.16:
	s_delay_alu instid0(VALU_DEP_1) | instskip(NEXT) | instid1(VALU_DEP_1)
	v_add_co_u32 v5, s7, s33, v4
	v_add_co_ci_u32_e64 v6, null, s29, 0, s7
	flat_load_b32 v14, v[5:6]
.LBB1101_17:
	s_or_b32 exec_lo, exec_lo, s6
	v_or_b32_e32 v5, 0x700, v0
                                        ; implicit-def: $vgpr15
	s_delay_alu instid0(VALU_DEP_1) | instskip(SKIP_1) | instid1(VALU_DEP_2)
	v_cmp_gt_u32_e64 s6, s21, v5
	v_lshlrev_b32_e32 v5, 2, v5
	s_and_saveexec_b32 s7, s6
	s_cbranch_execz .LBB1101_19
; %bb.18:
	s_delay_alu instid0(VALU_DEP_1) | instskip(NEXT) | instid1(VALU_DEP_1)
	v_add_co_u32 v6, s8, s33, v5
	v_add_co_ci_u32_e64 v7, null, s29, 0, s8
	flat_load_b32 v15, v[6:7]
.LBB1101_19:
	s_or_b32 exec_lo, exec_lo, s7
	v_or_b32_e32 v6, 0x800, v0
                                        ; implicit-def: $vgpr16
	s_delay_alu instid0(VALU_DEP_1) | instskip(SKIP_1) | instid1(VALU_DEP_2)
	v_cmp_gt_u32_e64 s7, s21, v6
	v_lshlrev_b32_e32 v6, 2, v6
	s_and_saveexec_b32 s8, s7
	s_cbranch_execz .LBB1101_21
; %bb.20:
	s_delay_alu instid0(VALU_DEP_1) | instskip(NEXT) | instid1(VALU_DEP_1)
	v_add_co_u32 v7, s9, s33, v6
	v_add_co_ci_u32_e64 v8, null, s29, 0, s9
	flat_load_b32 v16, v[7:8]
.LBB1101_21:
	s_or_b32 exec_lo, exec_lo, s8
	v_or_b32_e32 v7, 0x900, v0
                                        ; implicit-def: $vgpr17
	s_delay_alu instid0(VALU_DEP_1) | instskip(SKIP_1) | instid1(VALU_DEP_2)
	v_cmp_gt_u32_e64 s8, s21, v7
	v_lshlrev_b32_e32 v7, 2, v7
	s_and_saveexec_b32 s9, s8
	s_cbranch_execz .LBB1101_23
; %bb.22:
	s_delay_alu instid0(VALU_DEP_1) | instskip(NEXT) | instid1(VALU_DEP_1)
	v_add_co_u32 v17, s10, s33, v7
	v_add_co_ci_u32_e64 v18, null, s29, 0, s10
	flat_load_b32 v17, v[17:18]
.LBB1101_23:
	s_or_b32 exec_lo, exec_lo, s9
	v_or_b32_e32 v8, 0xa00, v0
                                        ; implicit-def: $vgpr18
	s_delay_alu instid0(VALU_DEP_1) | instskip(SKIP_1) | instid1(VALU_DEP_2)
	v_cmp_gt_u32_e64 s9, s21, v8
	v_lshlrev_b32_e32 v23, 2, v8
	s_and_saveexec_b32 s10, s9
	s_cbranch_execz .LBB1101_25
; %bb.24:
	s_delay_alu instid0(VALU_DEP_1) | instskip(NEXT) | instid1(VALU_DEP_1)
	v_add_co_u32 v18, s11, s33, v23
	v_add_co_ci_u32_e64 v19, null, s29, 0, s11
	flat_load_b32 v18, v[18:19]
.LBB1101_25:
	s_or_b32 exec_lo, exec_lo, s10
	v_or_b32_e32 v8, 0xb00, v0
                                        ; implicit-def: $vgpr19
	s_delay_alu instid0(VALU_DEP_1) | instskip(SKIP_1) | instid1(VALU_DEP_2)
	v_cmp_gt_u32_e64 s10, s21, v8
	v_lshlrev_b32_e32 v24, 2, v8
	s_and_saveexec_b32 s11, s10
	s_cbranch_execz .LBB1101_27
; %bb.26:
	s_delay_alu instid0(VALU_DEP_1) | instskip(NEXT) | instid1(VALU_DEP_1)
	v_add_co_u32 v19, s12, s33, v24
	v_add_co_ci_u32_e64 v20, null, s29, 0, s12
	flat_load_b32 v19, v[19:20]
.LBB1101_27:
	s_or_b32 exec_lo, exec_lo, s11
	v_or_b32_e32 v8, 0xc00, v0
                                        ; implicit-def: $vgpr20
	s_delay_alu instid0(VALU_DEP_1) | instskip(SKIP_1) | instid1(VALU_DEP_2)
	v_cmp_gt_u32_e64 s11, s21, v8
	v_lshlrev_b32_e32 v25, 2, v8
	s_and_saveexec_b32 s12, s11
	s_cbranch_execz .LBB1101_29
; %bb.28:
	s_delay_alu instid0(VALU_DEP_1) | instskip(NEXT) | instid1(VALU_DEP_1)
	v_add_co_u32 v20, s13, s33, v25
	v_add_co_ci_u32_e64 v21, null, s29, 0, s13
	flat_load_b32 v20, v[20:21]
.LBB1101_29:
	s_or_b32 exec_lo, exec_lo, s12
	v_or_b32_e32 v8, 0xd00, v0
                                        ; implicit-def: $vgpr21
	s_delay_alu instid0(VALU_DEP_1) | instskip(SKIP_1) | instid1(VALU_DEP_2)
	v_cmp_gt_u32_e64 s12, s21, v8
	v_lshlrev_b32_e32 v26, 2, v8
	s_and_saveexec_b32 s13, s12
	s_cbranch_execz .LBB1101_31
; %bb.30:
	s_delay_alu instid0(VALU_DEP_1) | instskip(NEXT) | instid1(VALU_DEP_1)
	v_add_co_u32 v21, s28, s33, v26
	v_add_co_ci_u32_e64 v22, null, s29, 0, s28
	flat_load_b32 v21, v[21:22]
.LBB1101_31:
	s_or_b32 exec_lo, exec_lo, s13
	v_or_b32_e32 v8, 0xe00, v0
                                        ; implicit-def: $vgpr22
	s_delay_alu instid0(VALU_DEP_1) | instskip(SKIP_1) | instid1(VALU_DEP_2)
	v_cmp_gt_u32_e64 s13, s21, v8
	v_lshlrev_b32_e32 v27, 2, v8
	s_and_saveexec_b32 s28, s13
	s_cbranch_execz .LBB1101_33
; %bb.32:
	s_delay_alu instid0(VALU_DEP_1) | instskip(NEXT) | instid1(VALU_DEP_1)
	v_add_co_u32 v28, s30, s33, v27
	v_add_co_ci_u32_e64 v29, null, s29, 0, s30
	flat_load_b32 v22, v[28:29]
.LBB1101_33:
	s_or_b32 exec_lo, exec_lo, s28
	v_lshlrev_b32_e32 v8, 2, v0
                                        ; implicit-def: $vgpr28
	s_waitcnt vmcnt(0) lgkmcnt(0)
	ds_store_2addr_stride64_b32 v8, v1, v9 offset1:4
	ds_store_2addr_stride64_b32 v8, v10, v11 offset0:8 offset1:12
	ds_store_2addr_stride64_b32 v8, v12, v13 offset0:16 offset1:20
	;; [unrolled: 1-line block ×6, first 2 shown]
	v_mad_u32_u24 v1, v0, 56, v8
	ds_store_b32 v8, v22 offset:14336
	s_waitcnt lgkmcnt(0)
	s_barrier
	buffer_gl0_inv
	ds_load_2addr_b32 v[21:22], v1 offset1:1
	ds_load_2addr_b32 v[19:20], v1 offset0:2 offset1:3
	ds_load_2addr_b32 v[17:18], v1 offset0:4 offset1:5
	;; [unrolled: 1-line block ×6, first 2 shown]
	ds_load_b32 v63, v1 offset:56
	s_waitcnt lgkmcnt(0)
	s_barrier
	buffer_gl0_inv
	s_and_saveexec_b32 s28, vcc_lo
	s_cbranch_execnz .LBB1101_57
; %bb.34:
	s_or_b32 exec_lo, exec_lo, s28
                                        ; implicit-def: $vgpr29
	s_and_saveexec_b32 s28, s0
	s_cbranch_execnz .LBB1101_58
.LBB1101_35:
	s_or_b32 exec_lo, exec_lo, s28
                                        ; implicit-def: $vgpr30
	s_and_saveexec_b32 s0, s1
	s_cbranch_execnz .LBB1101_59
.LBB1101_36:
	s_or_b32 exec_lo, exec_lo, s0
                                        ; implicit-def: $vgpr31
	s_and_saveexec_b32 s0, s2
	s_cbranch_execnz .LBB1101_60
.LBB1101_37:
	s_or_b32 exec_lo, exec_lo, s0
                                        ; implicit-def: $vgpr32
	s_and_saveexec_b32 s0, s3
	s_cbranch_execnz .LBB1101_61
.LBB1101_38:
	s_or_b32 exec_lo, exec_lo, s0
                                        ; implicit-def: $vgpr2
	s_and_saveexec_b32 s0, s4
	s_cbranch_execnz .LBB1101_62
.LBB1101_39:
	s_or_b32 exec_lo, exec_lo, s0
                                        ; implicit-def: $vgpr3
	s_and_saveexec_b32 s0, s5
	s_cbranch_execnz .LBB1101_63
.LBB1101_40:
	s_or_b32 exec_lo, exec_lo, s0
                                        ; implicit-def: $vgpr4
	s_and_saveexec_b32 s0, s6
	s_cbranch_execnz .LBB1101_64
.LBB1101_41:
	s_or_b32 exec_lo, exec_lo, s0
                                        ; implicit-def: $vgpr5
	s_and_saveexec_b32 s0, s7
	s_cbranch_execnz .LBB1101_65
.LBB1101_42:
	s_or_b32 exec_lo, exec_lo, s0
                                        ; implicit-def: $vgpr6
	s_and_saveexec_b32 s0, s8
	s_cbranch_execnz .LBB1101_66
.LBB1101_43:
	s_or_b32 exec_lo, exec_lo, s0
                                        ; implicit-def: $vgpr7
	s_and_saveexec_b32 s0, s9
	s_cbranch_execnz .LBB1101_67
.LBB1101_44:
	s_or_b32 exec_lo, exec_lo, s0
                                        ; implicit-def: $vgpr23
	s_and_saveexec_b32 s0, s10
	s_cbranch_execnz .LBB1101_68
.LBB1101_45:
	s_or_b32 exec_lo, exec_lo, s0
                                        ; implicit-def: $vgpr24
	s_and_saveexec_b32 s0, s11
	s_cbranch_execnz .LBB1101_69
.LBB1101_46:
	s_or_b32 exec_lo, exec_lo, s0
                                        ; implicit-def: $vgpr25
	s_and_saveexec_b32 s0, s12
	s_cbranch_execnz .LBB1101_70
.LBB1101_47:
	s_or_b32 exec_lo, exec_lo, s0
                                        ; implicit-def: $vgpr26
	s_and_saveexec_b32 s0, s13
	s_cbranch_execz .LBB1101_49
.LBB1101_48:
	v_add_co_u32 v26, s1, s18, v27
	s_delay_alu instid0(VALU_DEP_1)
	v_add_co_ci_u32_e64 v27, null, s19, 0, s1
	flat_load_b32 v26, v[26:27]
.LBB1101_49:
	s_or_b32 exec_lo, exec_lo, s0
	s_waitcnt vmcnt(0) lgkmcnt(0)
	ds_store_2addr_stride64_b32 v8, v28, v29 offset1:4
	ds_store_2addr_stride64_b32 v8, v30, v31 offset0:8 offset1:12
	ds_store_2addr_stride64_b32 v8, v32, v2 offset0:16 offset1:20
	;; [unrolled: 1-line block ×6, first 2 shown]
	ds_store_b32 v8, v26 offset:14336
	s_waitcnt lgkmcnt(0)
	s_barrier
.LBB1101_50:
	buffer_gl0_inv
	ds_load_2addr_b32 v[35:36], v1 offset1:1
	ds_load_2addr_b32 v[33:34], v1 offset0:2 offset1:3
	ds_load_2addr_b32 v[31:32], v1 offset0:4 offset1:5
	ds_load_2addr_b32 v[29:30], v1 offset0:6 offset1:7
	ds_load_2addr_b32 v[27:28], v1 offset0:8 offset1:9
	ds_load_2addr_b32 v[25:26], v1 offset0:10 offset1:11
	ds_load_2addr_b32 v[23:24], v1 offset0:12 offset1:13
	ds_load_b32 v79, v1 offset:56
	s_cmp_eq_u64 s[16:17], 0
	s_waitcnt lgkmcnt(0)
	s_cselect_b32 s28, -1, 0
	s_cmp_lg_u64 s[16:17], 0
	s_barrier
	s_cselect_b32 s31, -1, 0
	s_and_b32 vcc_lo, exec_lo, s14
	buffer_gl0_inv
	s_cbranch_vccz .LBB1101_56
; %bb.51:
	s_and_b32 vcc_lo, exec_lo, s31
	s_cbranch_vccz .LBB1101_71
; %bb.52:
	v_add_co_u32 v1, s0, -4, s33
	s_delay_alu instid0(VALU_DEP_1)
	v_add_co_ci_u32_e64 v2, null, -1, s29, s0
	v_cmp_ne_u32_e32 vcc_lo, v10, v63
	v_cmp_ne_u32_e64 s0, v9, v10
	v_cmp_ne_u32_e64 s1, v12, v9
	flat_load_b32 v1, v[1:2]
	v_lshlrev_b32_e32 v2, 2, v0
	v_cmp_ne_u32_e64 s2, v11, v12
	v_cmp_ne_u32_e64 s3, v14, v11
	;; [unrolled: 1-line block ×11, first 2 shown]
	s_mov_b32 s30, -1
	s_mov_b32 s14, 0
	s_mov_b32 s18, exec_lo
	ds_store_b32 v2, v63
	s_waitcnt vmcnt(0) lgkmcnt(0)
	s_barrier
	buffer_gl0_inv
	v_cmpx_ne_u32_e32 0, v0
	s_cbranch_execz .LBB1101_54
; %bb.53:
	v_add_nc_u32_e32 v1, -4, v2
	ds_load_b32 v1, v1
.LBB1101_54:
	s_or_b32 exec_lo, exec_lo, s18
	v_cndmask_b32_e64 v69, 0, 1, vcc_lo
	v_cndmask_b32_e64 v64, 0, 1, s0
	v_cndmask_b32_e64 v65, 0, 1, s1
	v_cndmask_b32_e64 v66, 0, 1, s2
	v_cndmask_b32_e64 v67, 0, 1, s3
	v_cndmask_b32_e64 v68, 0, 1, s4
	v_cndmask_b32_e64 v70, 0, 1, s5
	v_cndmask_b32_e64 v71, 0, 1, s6
	v_cndmask_b32_e64 v72, 0, 1, s7
	v_cndmask_b32_e64 v73, 0, 1, s8
	v_cndmask_b32_e64 v74, 0, 1, s9
	v_cndmask_b32_e64 v75, 0, 1, s10
	v_cndmask_b32_e64 v76, 0, 1, s11
	v_cndmask_b32_e64 v77, 0, 1, s12
	s_waitcnt lgkmcnt(0)
	v_cmp_ne_u32_e64 s0, v1, v21
	s_and_b32 vcc_lo, exec_lo, s14
	s_cbranch_vccnz .LBB1101_72
.LBB1101_55:
                                        ; implicit-def: $sgpr1
	s_branch .LBB1101_83
.LBB1101_56:
	s_mov_b32 s30, 0
                                        ; implicit-def: $sgpr0
                                        ; implicit-def: $vgpr69
                                        ; implicit-def: $vgpr64
                                        ; implicit-def: $vgpr65
                                        ; implicit-def: $vgpr66
                                        ; implicit-def: $vgpr67
                                        ; implicit-def: $vgpr68
                                        ; implicit-def: $vgpr70
                                        ; implicit-def: $vgpr71
                                        ; implicit-def: $vgpr72
                                        ; implicit-def: $vgpr73
                                        ; implicit-def: $vgpr74
                                        ; implicit-def: $vgpr75
                                        ; implicit-def: $vgpr76
                                        ; implicit-def: $vgpr77
                                        ; implicit-def: $sgpr1
	s_cbranch_execnz .LBB1101_75
	s_branch .LBB1101_83
.LBB1101_57:
	v_add_co_u32 v28, s30, s18, v8
	s_delay_alu instid0(VALU_DEP_1)
	v_add_co_ci_u32_e64 v29, null, s19, 0, s30
	flat_load_b32 v28, v[28:29]
	s_or_b32 exec_lo, exec_lo, s28
                                        ; implicit-def: $vgpr29
	s_and_saveexec_b32 s28, s0
	s_cbranch_execz .LBB1101_35
.LBB1101_58:
	v_add_co_u32 v29, s0, s18, v8
	s_delay_alu instid0(VALU_DEP_1)
	v_add_co_ci_u32_e64 v30, null, s19, 0, s0
	flat_load_b32 v29, v[29:30] offset:1024
	s_or_b32 exec_lo, exec_lo, s28
                                        ; implicit-def: $vgpr30
	s_and_saveexec_b32 s0, s1
	s_cbranch_execz .LBB1101_36
.LBB1101_59:
	v_add_co_u32 v30, s1, s18, v8
	s_delay_alu instid0(VALU_DEP_1)
	v_add_co_ci_u32_e64 v31, null, s19, 0, s1
	flat_load_b32 v30, v[30:31] offset:2048
	s_or_b32 exec_lo, exec_lo, s0
                                        ; implicit-def: $vgpr31
	s_and_saveexec_b32 s0, s2
	s_cbranch_execz .LBB1101_37
.LBB1101_60:
	v_add_co_u32 v31, s1, s18, v8
	s_delay_alu instid0(VALU_DEP_1)
	v_add_co_ci_u32_e64 v32, null, s19, 0, s1
	flat_load_b32 v31, v[31:32] offset:3072
	s_or_b32 exec_lo, exec_lo, s0
                                        ; implicit-def: $vgpr32
	s_and_saveexec_b32 s0, s3
	s_cbranch_execz .LBB1101_38
.LBB1101_61:
	v_add_co_u32 v32, s1, s18, v2
	s_delay_alu instid0(VALU_DEP_1)
	v_add_co_ci_u32_e64 v33, null, s19, 0, s1
	flat_load_b32 v32, v[32:33]
	s_or_b32 exec_lo, exec_lo, s0
                                        ; implicit-def: $vgpr2
	s_and_saveexec_b32 s0, s4
	s_cbranch_execz .LBB1101_39
.LBB1101_62:
	v_add_co_u32 v2, s1, s18, v3
	s_delay_alu instid0(VALU_DEP_1)
	v_add_co_ci_u32_e64 v3, null, s19, 0, s1
	flat_load_b32 v2, v[2:3]
	s_or_b32 exec_lo, exec_lo, s0
                                        ; implicit-def: $vgpr3
	s_and_saveexec_b32 s0, s5
	s_cbranch_execz .LBB1101_40
.LBB1101_63:
	v_add_co_u32 v3, s1, s18, v4
	s_delay_alu instid0(VALU_DEP_1)
	v_add_co_ci_u32_e64 v4, null, s19, 0, s1
	flat_load_b32 v3, v[3:4]
	s_or_b32 exec_lo, exec_lo, s0
                                        ; implicit-def: $vgpr4
	s_and_saveexec_b32 s0, s6
	s_cbranch_execz .LBB1101_41
.LBB1101_64:
	v_add_co_u32 v4, s1, s18, v5
	s_delay_alu instid0(VALU_DEP_1)
	v_add_co_ci_u32_e64 v5, null, s19, 0, s1
	flat_load_b32 v4, v[4:5]
	s_or_b32 exec_lo, exec_lo, s0
                                        ; implicit-def: $vgpr5
	s_and_saveexec_b32 s0, s7
	s_cbranch_execz .LBB1101_42
.LBB1101_65:
	v_add_co_u32 v5, s1, s18, v6
	s_delay_alu instid0(VALU_DEP_1)
	v_add_co_ci_u32_e64 v6, null, s19, 0, s1
	flat_load_b32 v5, v[5:6]
	s_or_b32 exec_lo, exec_lo, s0
                                        ; implicit-def: $vgpr6
	s_and_saveexec_b32 s0, s8
	s_cbranch_execz .LBB1101_43
.LBB1101_66:
	v_add_co_u32 v6, s1, s18, v7
	s_delay_alu instid0(VALU_DEP_1)
	v_add_co_ci_u32_e64 v7, null, s19, 0, s1
	flat_load_b32 v6, v[6:7]
	s_or_b32 exec_lo, exec_lo, s0
                                        ; implicit-def: $vgpr7
	s_and_saveexec_b32 s0, s9
	s_cbranch_execz .LBB1101_44
.LBB1101_67:
	v_add_co_u32 v33, s1, s18, v23
	s_delay_alu instid0(VALU_DEP_1)
	v_add_co_ci_u32_e64 v34, null, s19, 0, s1
	flat_load_b32 v7, v[33:34]
	s_or_b32 exec_lo, exec_lo, s0
                                        ; implicit-def: $vgpr23
	s_and_saveexec_b32 s0, s10
	s_cbranch_execz .LBB1101_45
.LBB1101_68:
	v_add_co_u32 v23, s1, s18, v24
	s_delay_alu instid0(VALU_DEP_1)
	v_add_co_ci_u32_e64 v24, null, s19, 0, s1
	flat_load_b32 v23, v[23:24]
	s_or_b32 exec_lo, exec_lo, s0
                                        ; implicit-def: $vgpr24
	s_and_saveexec_b32 s0, s11
	s_cbranch_execz .LBB1101_46
.LBB1101_69:
	v_add_co_u32 v24, s1, s18, v25
	s_delay_alu instid0(VALU_DEP_1)
	v_add_co_ci_u32_e64 v25, null, s19, 0, s1
	flat_load_b32 v24, v[24:25]
	s_or_b32 exec_lo, exec_lo, s0
                                        ; implicit-def: $vgpr25
	s_and_saveexec_b32 s0, s12
	s_cbranch_execz .LBB1101_47
.LBB1101_70:
	v_add_co_u32 v25, s1, s18, v26
	s_delay_alu instid0(VALU_DEP_1)
	v_add_co_ci_u32_e64 v26, null, s19, 0, s1
	flat_load_b32 v25, v[25:26]
	s_or_b32 exec_lo, exec_lo, s0
                                        ; implicit-def: $vgpr26
	s_and_saveexec_b32 s0, s13
	s_cbranch_execnz .LBB1101_48
	s_branch .LBB1101_49
.LBB1101_71:
	s_mov_b32 s30, 0
                                        ; implicit-def: $sgpr0
                                        ; implicit-def: $vgpr69
                                        ; implicit-def: $vgpr64
                                        ; implicit-def: $vgpr65
                                        ; implicit-def: $vgpr66
                                        ; implicit-def: $vgpr67
                                        ; implicit-def: $vgpr68
                                        ; implicit-def: $vgpr70
                                        ; implicit-def: $vgpr71
                                        ; implicit-def: $vgpr72
                                        ; implicit-def: $vgpr73
                                        ; implicit-def: $vgpr74
                                        ; implicit-def: $vgpr75
                                        ; implicit-def: $vgpr76
                                        ; implicit-def: $vgpr77
	s_cbranch_execz .LBB1101_55
.LBB1101_72:
	v_cmp_ne_u32_e32 vcc_lo, v10, v63
	v_lshlrev_b32_e32 v1, 2, v0
	s_mov_b32 s1, exec_lo
                                        ; implicit-def: $sgpr0
	v_cndmask_b32_e64 v69, 0, 1, vcc_lo
	v_cmp_ne_u32_e32 vcc_lo, v9, v10
	ds_store_b32 v1, v63
	s_waitcnt lgkmcnt(0)
	s_barrier
	buffer_gl0_inv
	v_cndmask_b32_e64 v64, 0, 1, vcc_lo
	v_cmp_ne_u32_e32 vcc_lo, v12, v9
	v_cndmask_b32_e64 v65, 0, 1, vcc_lo
	v_cmp_ne_u32_e32 vcc_lo, v11, v12
	;; [unrolled: 2-line block ×12, first 2 shown]
	v_cndmask_b32_e64 v77, 0, 1, vcc_lo
	v_cmpx_ne_u32_e32 0, v0
	s_xor_b32 s1, exec_lo, s1
	s_cbranch_execz .LBB1101_74
; %bb.73:
	v_add_nc_u32_e32 v1, -4, v1
	s_or_b32 s30, s30, exec_lo
	ds_load_b32 v1, v1
	s_waitcnt lgkmcnt(0)
	v_cmp_ne_u32_e32 vcc_lo, v1, v21
	s_and_b32 s0, vcc_lo, exec_lo
.LBB1101_74:
	s_or_b32 exec_lo, exec_lo, s1
	s_mov_b32 s1, 1
	s_branch .LBB1101_83
.LBB1101_75:
	s_mul_hi_u32 s0, s16, 0xfffff100
	s_mul_i32 s1, s17, 0xfffff100
	s_sub_i32 s0, s0, s16
	s_mul_i32 s2, s16, 0xfffff100
	s_add_i32 s0, s0, s1
	s_add_u32 s18, s2, s40
	s_addc_u32 s19, s0, s41
	v_cmp_ne_u32_e64 s13, v10, v63
	v_cmp_ne_u32_e64 s14, v9, v10
	;; [unrolled: 1-line block ×14, first 2 shown]
	v_mad_u32_u24 v1, v0, 15, 14
	v_mad_u32_u24 v55, v0, 15, 13
	;; [unrolled: 1-line block ×14, first 2 shown]
	v_cmp_ne_u32_e64 s6, 0, v0
	s_and_b32 vcc_lo, exec_lo, s31
	s_cbranch_vccz .LBB1101_80
; %bb.76:
	v_add_co_u32 v56, s16, -4, s33
	s_delay_alu instid0(VALU_DEP_1)
	v_add_co_ci_u32_e64 v57, null, -1, s29, s16
	v_mov_b32_e32 v2, 0
	s_mov_b32 s30, -1
	s_mov_b32 s17, 0
	flat_load_b32 v58, v[56:57]
	v_lshlrev_b32_e32 v57, 2, v0
	v_cmp_gt_u64_e32 vcc_lo, s[18:19], v[1:2]
	v_mov_b32_e32 v56, v2
	v_mov_b32_e32 v54, v2
	;; [unrolled: 1-line block ×5, first 2 shown]
	v_cmp_gt_u64_e64 s16, s[18:19], v[55:56]
	s_and_b32 s29, vcc_lo, s13
	v_cmp_gt_u64_e32 vcc_lo, s[18:19], v[53:54]
	v_mov_b32_e32 v46, v2
	v_mov_b32_e32 v44, v2
	v_cmp_gt_u64_e64 s13, s[18:19], v[51:52]
	s_and_b32 s31, s16, s14
	v_mov_b32_e32 v42, v2
	s_and_b32 s33, vcc_lo, s12
	v_cmp_gt_u64_e32 vcc_lo, s[18:19], v[49:50]
	v_cmp_gt_u64_e64 s12, s[18:19], v[47:48]
	v_cmp_gt_u64_e64 s14, s[18:19], v[45:46]
	;; [unrolled: 1-line block ×3, first 2 shown]
	v_mov_b32_e32 v40, v2
	v_mov_b32_e32 v38, v2
	;; [unrolled: 1-line block ×5, first 2 shown]
	s_and_b32 s13, s13, s11
	s_and_b32 s40, vcc_lo, s7
	s_and_b32 s12, s12, s8
	s_and_b32 s14, s14, s9
	;; [unrolled: 1-line block ×3, first 2 shown]
	v_cmp_gt_u64_e32 vcc_lo, s[18:19], v[41:42]
	v_cmp_gt_u64_e64 s7, s[18:19], v[39:40]
	v_cmp_gt_u64_e64 s8, s[18:19], v[37:38]
	;; [unrolled: 1-line block ×5, first 2 shown]
	v_mul_u32_u24_e32 v56, 15, v0
	s_and_b32 s0, vcc_lo, s0
	s_and_b32 s7, s7, s1
	s_and_b32 s8, s8, s2
	;; [unrolled: 1-line block ×5, first 2 shown]
	ds_store_b32 v57, v63
	s_waitcnt vmcnt(0) lgkmcnt(0)
	s_barrier
	buffer_gl0_inv
	s_and_saveexec_b32 s4, s6
	s_cbranch_execz .LBB1101_78
; %bb.77:
	v_add_nc_u32_e32 v4, -4, v57
	ds_load_b32 v58, v4
.LBB1101_78:
	s_or_b32 exec_lo, exec_lo, s4
	v_mov_b32_e32 v57, v2
	v_cndmask_b32_e64 v72, 0, 1, s0
	s_waitcnt lgkmcnt(0)
	v_cmp_ne_u32_e64 s0, v58, v21
	v_cndmask_b32_e64 v69, 0, 1, s29
	v_cndmask_b32_e64 v64, 0, 1, s31
	v_cmp_gt_u64_e32 vcc_lo, s[18:19], v[56:57]
	v_cndmask_b32_e64 v65, 0, 1, s33
	v_cndmask_b32_e64 v66, 0, 1, s13
	v_cndmask_b32_e64 v67, 0, 1, s40
	v_cndmask_b32_e64 v68, 0, 1, s12
	v_cndmask_b32_e64 v70, 0, 1, s14
	v_cndmask_b32_e64 v71, 0, 1, s16
	v_cndmask_b32_e64 v73, 0, 1, s7
	v_cndmask_b32_e64 v74, 0, 1, s8
	v_cndmask_b32_e64 v75, 0, 1, s3
	v_cndmask_b32_e64 v76, 0, 1, s1
	v_cndmask_b32_e64 v77, 0, 1, s2
	s_and_b32 s0, vcc_lo, s0
	s_and_b32 vcc_lo, exec_lo, s17
	s_cbranch_vccnz .LBB1101_81
.LBB1101_79:
                                        ; implicit-def: $sgpr1
	v_mov_b32_e32 v78, s1
	s_and_saveexec_b32 s1, s30
	s_cbranch_execnz .LBB1101_84
	s_branch .LBB1101_85
.LBB1101_80:
                                        ; implicit-def: $sgpr0
                                        ; implicit-def: $vgpr69
                                        ; implicit-def: $vgpr64
                                        ; implicit-def: $vgpr65
                                        ; implicit-def: $vgpr66
                                        ; implicit-def: $vgpr67
                                        ; implicit-def: $vgpr68
                                        ; implicit-def: $vgpr70
                                        ; implicit-def: $vgpr71
                                        ; implicit-def: $vgpr72
                                        ; implicit-def: $vgpr73
                                        ; implicit-def: $vgpr74
                                        ; implicit-def: $vgpr75
                                        ; implicit-def: $vgpr76
                                        ; implicit-def: $vgpr77
	s_cbranch_execz .LBB1101_79
.LBB1101_81:
	v_dual_mov_b32 v2, 0 :: v_dual_lshlrev_b32 v57, 2, v0
	v_cmp_ne_u32_e64 s1, v12, v9
	v_cmp_ne_u32_e32 vcc_lo, v10, v63
	v_cmp_ne_u32_e64 s0, v9, v10
	s_delay_alu instid0(VALU_DEP_4)
	v_mov_b32_e32 v54, v2
	v_mov_b32_e32 v56, v2
	v_cmp_gt_u64_e64 s2, s[18:19], v[1:2]
	v_mov_b32_e32 v50, v2
	v_mov_b32_e32 v52, v2
	v_cmp_gt_u64_e64 s4, s[18:19], v[53:54]
	v_cmp_gt_u64_e64 s3, s[18:19], v[55:56]
	v_mov_b32_e32 v48, v2
	s_and_b32 s2, s2, vcc_lo
	v_cmp_gt_u64_e32 vcc_lo, s[18:19], v[51:52]
	v_cndmask_b32_e64 v69, 0, 1, s2
	s_and_b32 s1, s4, s1
	s_and_b32 s0, s3, s0
	v_cndmask_b32_e64 v65, 0, 1, s1
	v_cmp_gt_u64_e64 s1, s[18:19], v[49:50]
	v_cmp_ne_u32_e64 s2, v14, v11
	v_cndmask_b32_e64 v64, 0, 1, s0
	v_cmp_ne_u32_e64 s0, v11, v12
	v_mov_b32_e32 v46, v2
	v_mov_b32_e32 v44, v2
	s_and_b32 s1, s1, s2
	v_cmp_ne_u32_e64 s2, v16, v13
	s_and_b32 s0, vcc_lo, s0
	v_cmp_gt_u64_e32 vcc_lo, s[18:19], v[47:48]
	v_cndmask_b32_e64 v67, 0, 1, s1
	v_cmp_gt_u64_e64 s1, s[18:19], v[45:46]
	v_cndmask_b32_e64 v66, 0, 1, s0
	v_cmp_ne_u32_e64 s0, v13, v14
	v_mov_b32_e32 v42, v2
	v_mov_b32_e32 v40, v2
	;; [unrolled: 1-line block ×3, first 2 shown]
	s_and_b32 s1, s1, s2
	s_and_b32 s0, vcc_lo, s0
	v_cmp_gt_u64_e32 vcc_lo, s[18:19], v[43:44]
	v_cndmask_b32_e64 v68, 0, 1, s0
	v_cmp_ne_u32_e64 s0, v15, v16
	v_cndmask_b32_e64 v70, 0, 1, s1
	v_cmp_gt_u64_e64 s1, s[18:19], v[41:42]
	v_cmp_ne_u32_e64 s2, v18, v15
	v_mov_b32_e32 v8, v2
	s_and_b32 s0, vcc_lo, s0
	v_cmp_gt_u64_e32 vcc_lo, s[18:19], v[39:40]
	v_cndmask_b32_e64 v71, 0, 1, s0
	s_and_b32 s1, s1, s2
	v_cmp_ne_u32_e64 s0, v17, v18
	v_cndmask_b32_e64 v72, 0, 1, s1
	v_cmp_gt_u64_e64 s1, s[18:19], v[37:38]
	v_cmp_ne_u32_e64 s2, v20, v17
	v_mov_b32_e32 v6, v2
	s_and_b32 s0, vcc_lo, s0
	v_mov_b32_e32 v4, v2
	v_cndmask_b32_e64 v73, 0, 1, s0
	s_and_b32 s0, s1, s2
	v_cmp_gt_u64_e32 vcc_lo, s[18:19], v[7:8]
	v_cndmask_b32_e64 v74, 0, 1, s0
	v_cmp_ne_u32_e64 s0, v19, v20
	v_cmp_gt_u64_e64 s1, s[18:19], v[5:6]
	v_cmp_ne_u32_e64 s2, v22, v19
	v_cmp_gt_u64_e64 s3, s[18:19], v[3:4]
	v_cmp_ne_u32_e64 s4, v21, v22
	s_and_b32 s0, vcc_lo, s0
	ds_store_b32 v57, v63
	v_cndmask_b32_e64 v75, 0, 1, s0
	s_and_b32 s0, s1, s2
	s_mov_b32 s1, 1
	v_cndmask_b32_e64 v76, 0, 1, s0
	s_and_b32 s0, s3, s4
	s_mov_b32 s2, exec_lo
	v_cndmask_b32_e64 v77, 0, 1, s0
	s_waitcnt lgkmcnt(0)
	s_barrier
	buffer_gl0_inv
                                        ; implicit-def: $sgpr0
	v_cmpx_ne_u32_e32 0, v0
	s_cbranch_execz .LBB1101_163
; %bb.82:
	v_add_nc_u32_e32 v1, -4, v57
	s_or_b32 s30, s30, exec_lo
	ds_load_b32 v3, v1
	v_mul_u32_u24_e32 v1, 15, v0
	s_delay_alu instid0(VALU_DEP_1) | instskip(SKIP_2) | instid1(VALU_DEP_1)
	v_cmp_gt_u64_e32 vcc_lo, s[18:19], v[1:2]
	s_waitcnt lgkmcnt(0)
	v_cmp_ne_u32_e64 s0, v3, v21
	s_and_b32 s0, vcc_lo, s0
	s_delay_alu instid0(SALU_CYCLE_1)
	s_and_b32 s0, s0, exec_lo
	s_or_b32 exec_lo, exec_lo, s2
.LBB1101_83:
	v_mov_b32_e32 v78, s1
	s_and_saveexec_b32 s1, s30
.LBB1101_84:
	v_cndmask_b32_e64 v78, 0, 1, s0
.LBB1101_85:
	s_or_b32 exec_lo, exec_lo, s1
	s_delay_alu instid0(VALU_DEP_1)
	v_add3_u32 v1, v77, v78, v76
	v_cmp_eq_u32_e64 s12, 0, v77
	v_cmp_eq_u32_e64 s11, 0, v76
	;; [unrolled: 1-line block ×4, first 2 shown]
	v_add3_u32 v84, v1, v75, v74
	v_cmp_eq_u32_e64 s8, 0, v73
	v_cmp_eq_u32_e64 s7, 0, v72
	;; [unrolled: 1-line block ×9, first 2 shown]
	v_cmp_eq_u32_e32 vcc_lo, 0, v69
	v_mbcnt_lo_u32_b32 v81, -1, 0
	v_lshrrev_b32_e32 v82, 5, v0
	v_or_b32_e32 v83, 31, v0
	s_cmp_eq_u64 s[26:27], 0
	s_cselect_b32 s16, -1, 0
	s_cmp_lg_u32 s15, 0
	s_cbranch_scc0 .LBB1101_111
; %bb.86:
	v_cndmask_b32_e64 v1, 0, v35, s12
	v_add3_u32 v2, v84, v73, v72
	s_delay_alu instid0(VALU_DEP_2) | instskip(NEXT) | instid1(VALU_DEP_2)
	v_add_nc_u32_e32 v1, v1, v36
	v_add3_u32 v2, v2, v71, v70
	s_delay_alu instid0(VALU_DEP_2) | instskip(NEXT) | instid1(VALU_DEP_2)
	v_cndmask_b32_e64 v1, 0, v1, s11
	v_add3_u32 v2, v2, v68, v67
	s_delay_alu instid0(VALU_DEP_2) | instskip(NEXT) | instid1(VALU_DEP_2)
	v_add_nc_u32_e32 v1, v1, v33
	v_add3_u32 v2, v2, v66, v65
	s_delay_alu instid0(VALU_DEP_2) | instskip(NEXT) | instid1(VALU_DEP_2)
	v_cndmask_b32_e64 v1, 0, v1, s10
	v_add3_u32 v2, v2, v64, v69
	s_delay_alu instid0(VALU_DEP_2) | instskip(NEXT) | instid1(VALU_DEP_2)
	v_add_nc_u32_e32 v1, v1, v34
	v_mov_b32_dpp v5, v2 row_shr:1 row_mask:0xf bank_mask:0xf
	s_delay_alu instid0(VALU_DEP_2) | instskip(NEXT) | instid1(VALU_DEP_1)
	v_cndmask_b32_e64 v1, 0, v1, s9
	v_add_nc_u32_e32 v1, v1, v31
	s_delay_alu instid0(VALU_DEP_1) | instskip(NEXT) | instid1(VALU_DEP_1)
	v_cndmask_b32_e64 v1, 0, v1, s8
	v_add_nc_u32_e32 v1, v1, v32
	s_delay_alu instid0(VALU_DEP_1) | instskip(NEXT) | instid1(VALU_DEP_1)
	;; [unrolled: 3-line block ×9, first 2 shown]
	v_cndmask_b32_e64 v1, 0, v1, s0
	v_add_nc_u32_e32 v1, v1, v24
	s_delay_alu instid0(VALU_DEP_1) | instskip(SKIP_1) | instid1(VALU_DEP_2)
	v_cndmask_b32_e32 v1, 0, v1, vcc_lo
	v_cmp_eq_u32_e32 vcc_lo, 0, v2
	v_add_nc_u32_e32 v1, v1, v79
	s_delay_alu instid0(VALU_DEP_1) | instskip(NEXT) | instid1(VALU_DEP_1)
	v_mov_b32_dpp v3, v1 row_shr:1 row_mask:0xf bank_mask:0xf
	v_dual_cndmask_b32 v3, 0, v3 :: v_dual_and_b32 v4, 15, v81
	s_delay_alu instid0(VALU_DEP_1) | instskip(SKIP_2) | instid1(VALU_DEP_4)
	v_cmp_eq_u32_e32 vcc_lo, 0, v4
	v_cmp_lt_u32_e64 s13, 1, v4
	v_cndmask_b32_e64 v5, v5, 0, vcc_lo
	v_cndmask_b32_e64 v3, v3, 0, vcc_lo
	s_delay_alu instid0(VALU_DEP_2) | instskip(NEXT) | instid1(VALU_DEP_2)
	v_add_nc_u32_e32 v2, v5, v2
	v_add_nc_u32_e32 v1, v3, v1
	s_delay_alu instid0(VALU_DEP_2) | instskip(SKIP_1) | instid1(VALU_DEP_3)
	v_mov_b32_dpp v3, v2 row_shr:2 row_mask:0xf bank_mask:0xf
	v_cmp_eq_u32_e32 vcc_lo, 0, v2
	v_mov_b32_dpp v5, v1 row_shr:2 row_mask:0xf bank_mask:0xf
	s_delay_alu instid0(VALU_DEP_3) | instskip(SKIP_2) | instid1(VALU_DEP_2)
	v_cndmask_b32_e64 v3, 0, v3, s13
	s_and_b32 vcc_lo, s13, vcc_lo
	v_cmp_lt_u32_e64 s13, 3, v4
	v_dual_cndmask_b32 v5, 0, v5 :: v_dual_add_nc_u32 v2, v2, v3
	s_delay_alu instid0(VALU_DEP_1) | instskip(NEXT) | instid1(VALU_DEP_2)
	v_add_nc_u32_e32 v1, v5, v1
	v_mov_b32_dpp v3, v2 row_shr:4 row_mask:0xf bank_mask:0xf
	v_cmp_eq_u32_e32 vcc_lo, 0, v2
	s_delay_alu instid0(VALU_DEP_3) | instskip(NEXT) | instid1(VALU_DEP_3)
	v_mov_b32_dpp v5, v1 row_shr:4 row_mask:0xf bank_mask:0xf
	v_cndmask_b32_e64 v3, 0, v3, s13
	s_and_b32 vcc_lo, s13, vcc_lo
	v_cmp_lt_u32_e64 s13, 7, v4
	s_delay_alu instid0(VALU_DEP_2) | instskip(NEXT) | instid1(VALU_DEP_1)
	v_dual_cndmask_b32 v5, 0, v5 :: v_dual_add_nc_u32 v2, v3, v2
	v_add_nc_u32_e32 v1, v1, v5
	v_bfe_i32 v5, v81, 4, 1
	s_delay_alu instid0(VALU_DEP_3) | instskip(SKIP_1) | instid1(VALU_DEP_4)
	v_cmp_eq_u32_e32 vcc_lo, 0, v2
	v_mov_b32_dpp v3, v2 row_shr:8 row_mask:0xf bank_mask:0xf
	v_mov_b32_dpp v4, v1 row_shr:8 row_mask:0xf bank_mask:0xf
	s_and_b32 vcc_lo, s13, vcc_lo
	s_delay_alu instid0(VALU_DEP_2) | instskip(SKIP_1) | instid1(VALU_DEP_2)
	v_cndmask_b32_e64 v3, 0, v3, s13
	s_mov_b32 s13, exec_lo
	v_cndmask_b32_e32 v4, 0, v4, vcc_lo
	s_delay_alu instid0(VALU_DEP_1) | instskip(NEXT) | instid1(VALU_DEP_3)
	v_add_nc_u32_e32 v4, v4, v1
	v_add_nc_u32_e32 v1, v3, v2
	ds_swizzle_b32 v2, v4 offset:swizzle(BROADCAST,32,15)
	ds_swizzle_b32 v3, v1 offset:swizzle(BROADCAST,32,15)
	v_cmp_eq_u32_e32 vcc_lo, 0, v1
	s_waitcnt lgkmcnt(0)
	v_dual_cndmask_b32 v2, 0, v2 :: v_dual_and_b32 v3, v5, v3
	s_delay_alu instid0(VALU_DEP_1) | instskip(NEXT) | instid1(VALU_DEP_2)
	v_and_b32_e32 v2, v5, v2
	v_add_nc_u32_e32 v1, v3, v1
	v_lshlrev_b32_e32 v3, 3, v82
	s_delay_alu instid0(VALU_DEP_3)
	v_add_nc_u32_e32 v2, v2, v4
	v_cmpx_eq_u32_e64 v83, v0
	s_cbranch_execz .LBB1101_88
; %bb.87:
	ds_store_b64 v3, v[1:2] offset:2064
.LBB1101_88:
	s_or_b32 exec_lo, exec_lo, s13
	s_delay_alu instid0(SALU_CYCLE_1)
	s_mov_b32 s14, exec_lo
	s_waitcnt lgkmcnt(0)
	s_barrier
	buffer_gl0_inv
	v_cmpx_gt_u32_e32 8, v0
	s_cbranch_execz .LBB1101_90
; %bb.89:
	v_lshlrev_b32_e32 v6, 3, v0
	v_and_b32_e32 v8, 7, v81
	ds_load_b64 v[4:5], v6 offset:2064
	v_cmp_lt_u32_e64 s13, 1, v8
	s_waitcnt lgkmcnt(0)
	v_mov_b32_dpp v7, v5 row_shr:1 row_mask:0xf bank_mask:0xf
	v_cmp_eq_u32_e32 vcc_lo, 0, v4
	v_mov_b32_dpp v37, v4 row_shr:1 row_mask:0xf bank_mask:0xf
	s_delay_alu instid0(VALU_DEP_3) | instskip(SKIP_1) | instid1(VALU_DEP_3)
	v_cndmask_b32_e32 v7, 0, v7, vcc_lo
	v_cmp_eq_u32_e32 vcc_lo, 0, v8
	v_cndmask_b32_e64 v37, v37, 0, vcc_lo
	s_delay_alu instid0(VALU_DEP_3) | instskip(NEXT) | instid1(VALU_DEP_2)
	v_cndmask_b32_e64 v7, v7, 0, vcc_lo
	v_add_nc_u32_e32 v4, v37, v4
	s_delay_alu instid0(VALU_DEP_2) | instskip(NEXT) | instid1(VALU_DEP_2)
	v_add_nc_u32_e32 v5, v7, v5
	v_cmp_eq_u32_e32 vcc_lo, 0, v4
	s_delay_alu instid0(VALU_DEP_2) | instskip(SKIP_1) | instid1(VALU_DEP_1)
	v_mov_b32_dpp v37, v5 row_shr:2 row_mask:0xf bank_mask:0xf
	s_and_b32 vcc_lo, s13, vcc_lo
	v_cndmask_b32_e32 v37, 0, v37, vcc_lo
	v_mov_b32_dpp v7, v4 row_shr:2 row_mask:0xf bank_mask:0xf
	s_delay_alu instid0(VALU_DEP_2) | instskip(NEXT) | instid1(VALU_DEP_2)
	v_add_nc_u32_e32 v5, v37, v5
	v_cndmask_b32_e64 v7, 0, v7, s13
	v_cmp_lt_u32_e64 s13, 3, v8
	s_delay_alu instid0(VALU_DEP_3) | instskip(NEXT) | instid1(VALU_DEP_3)
	v_mov_b32_dpp v8, v5 row_shr:4 row_mask:0xf bank_mask:0xf
	v_add_nc_u32_e32 v4, v7, v4
	s_delay_alu instid0(VALU_DEP_1) | instskip(SKIP_2) | instid1(VALU_DEP_1)
	v_cmp_eq_u32_e32 vcc_lo, 0, v4
	v_mov_b32_dpp v7, v4 row_shr:4 row_mask:0xf bank_mask:0xf
	s_and_b32 vcc_lo, s13, vcc_lo
	v_cndmask_b32_e64 v7, 0, v7, s13
	v_cndmask_b32_e32 v8, 0, v8, vcc_lo
	s_delay_alu instid0(VALU_DEP_2) | instskip(NEXT) | instid1(VALU_DEP_2)
	v_add_nc_u32_e32 v4, v7, v4
	v_add_nc_u32_e32 v5, v8, v5
	ds_store_b64 v6, v[4:5] offset:2064
.LBB1101_90:
	s_or_b32 exec_lo, exec_lo, s14
	v_cmp_gt_u32_e32 vcc_lo, 32, v0
	v_dual_mov_b32 v37, 0 :: v_dual_mov_b32 v38, 0
	s_mov_b32 s14, exec_lo
	s_waitcnt lgkmcnt(0)
	s_barrier
	buffer_gl0_inv
	v_cmpx_lt_u32_e32 31, v0
	s_cbranch_execz .LBB1101_92
; %bb.91:
	ds_load_b64 v[37:38], v3 offset:2056
	v_cmp_eq_u32_e64 s13, 0, v1
	s_waitcnt lgkmcnt(0)
	s_delay_alu instid0(VALU_DEP_1) | instskip(SKIP_1) | instid1(VALU_DEP_2)
	v_cndmask_b32_e64 v3, 0, v38, s13
	v_add_nc_u32_e32 v1, v37, v1
	v_add_nc_u32_e32 v2, v3, v2
.LBB1101_92:
	s_or_b32 exec_lo, exec_lo, s14
	v_add_nc_u32_e32 v3, -1, v81
	s_delay_alu instid0(VALU_DEP_1) | instskip(NEXT) | instid1(VALU_DEP_1)
	v_cmp_gt_i32_e64 s13, 0, v3
	v_cndmask_b32_e64 v3, v3, v81, s13
	v_cmp_eq_u32_e64 s13, 0, v81
	s_delay_alu instid0(VALU_DEP_2)
	v_lshlrev_b32_e32 v3, 2, v3
	ds_bpermute_b32 v43, v3, v1
	ds_bpermute_b32 v44, v3, v2
	s_and_saveexec_b32 s17, vcc_lo
	s_cbranch_execz .LBB1101_110
; %bb.93:
	v_mov_b32_e32 v4, 0
	ds_load_b64 v[1:2], v4 offset:2120
	s_waitcnt lgkmcnt(0)
	v_readfirstlane_b32 s18, v2
	s_and_saveexec_b32 s14, s13
	s_cbranch_execz .LBB1101_95
; %bb.94:
	s_add_i32 s26, s15, 32
	s_mov_b32 s27, 0
	v_mov_b32_e32 v3, 1
	s_lshl_b64 s[30:31], s[26:27], 4
	s_mov_b32 s40, s27
	s_add_u32 s30, s24, s30
	s_addc_u32 s31, s25, s31
	s_and_b32 s41, s18, 0xff000000
	s_and_b32 s45, s18, 0xff0000
	s_mov_b32 s44, s27
	v_dual_mov_b32 v5, s30 :: v_dual_mov_b32 v6, s31
	s_or_b64 s[40:41], s[44:45], s[40:41]
	s_and_b32 s45, s18, 0xff00
	s_delay_alu instid0(SALU_CYCLE_1) | instskip(SKIP_1) | instid1(SALU_CYCLE_1)
	s_or_b64 s[40:41], s[40:41], s[44:45]
	s_and_b32 s45, s18, 0xff
	s_or_b64 s[26:27], s[40:41], s[44:45]
	s_delay_alu instid0(SALU_CYCLE_1)
	v_mov_b32_e32 v2, s27
	;;#ASMSTART
	global_store_dwordx4 v[5:6], v[1:4] off	
s_waitcnt vmcnt(0)
	;;#ASMEND
.LBB1101_95:
	s_or_b32 exec_lo, exec_lo, s14
	v_xad_u32 v39, v81, -1, s15
	s_mov_b32 s19, 0
	s_mov_b32 s14, exec_lo
	s_delay_alu instid0(VALU_DEP_1) | instskip(NEXT) | instid1(VALU_DEP_1)
	v_add_nc_u32_e32 v3, 32, v39
	v_lshlrev_b64 v[2:3], 4, v[3:4]
	s_delay_alu instid0(VALU_DEP_1) | instskip(NEXT) | instid1(VALU_DEP_2)
	v_add_co_u32 v2, vcc_lo, s24, v2
	v_add_co_ci_u32_e32 v3, vcc_lo, s25, v3, vcc_lo
	;;#ASMSTART
	global_load_dwordx4 v[5:8], v[2:3] off glc	
s_waitcnt vmcnt(0)
	;;#ASMEND
	v_and_b32_e32 v4, 0xff, v6
	v_and_b32_e32 v8, 0xff00, v6
	;; [unrolled: 1-line block ×3, first 2 shown]
	v_or3_b32 v5, v5, 0, 0
	v_and_b32_e32 v6, 0xff000000, v6
	s_delay_alu instid0(VALU_DEP_4) | instskip(SKIP_1) | instid1(VALU_DEP_4)
	v_or3_b32 v4, 0, v4, v8
	v_and_b32_e32 v8, 0xff, v7
	v_or3_b32 v5, v5, 0, 0
	s_delay_alu instid0(VALU_DEP_3) | instskip(NEXT) | instid1(VALU_DEP_3)
	v_or3_b32 v6, v4, v40, v6
	v_cmpx_eq_u16_e32 0, v8
	s_cbranch_execz .LBB1101_98
.LBB1101_96:                            ; =>This Inner Loop Header: Depth=1
	;;#ASMSTART
	global_load_dwordx4 v[5:8], v[2:3] off glc	
s_waitcnt vmcnt(0)
	;;#ASMEND
	v_and_b32_e32 v4, 0xff, v7
	s_delay_alu instid0(VALU_DEP_1) | instskip(SKIP_1) | instid1(SALU_CYCLE_1)
	v_cmp_ne_u16_e32 vcc_lo, 0, v4
	s_or_b32 s19, vcc_lo, s19
	s_and_not1_b32 exec_lo, exec_lo, s19
	s_cbranch_execnz .LBB1101_96
; %bb.97:
	s_or_b32 exec_lo, exec_lo, s19
.LBB1101_98:
	s_delay_alu instid0(SALU_CYCLE_1)
	s_or_b32 exec_lo, exec_lo, s14
	v_cmp_ne_u32_e32 vcc_lo, 31, v81
	v_and_b32_e32 v3, 0xff, v7
	v_lshlrev_b32_e64 v45, v81, -1
	v_add_nc_u32_e32 v47, 2, v81
	v_add_nc_u32_e32 v49, 4, v81
	v_add_co_ci_u32_e32 v2, vcc_lo, 0, v81, vcc_lo
	v_cmp_eq_u16_e32 vcc_lo, 2, v3
	v_add_nc_u32_e32 v51, 8, v81
	v_add_nc_u32_e32 v53, 16, v81
	v_and_or_b32 v8, vcc_lo, v45, 0x80000000
	v_cmp_gt_u32_e32 vcc_lo, 30, v81
	s_delay_alu instid0(VALU_DEP_2) | instskip(SKIP_2) | instid1(VALU_DEP_3)
	v_ctz_i32_b32_e32 v8, v8
	v_cndmask_b32_e64 v40, 0, 1, vcc_lo
	v_cmp_eq_u32_e32 vcc_lo, 0, v5
	v_cmp_lt_u32_e64 s14, v81, v8
	s_delay_alu instid0(VALU_DEP_3) | instskip(NEXT) | instid1(VALU_DEP_2)
	v_lshlrev_b32_e32 v40, 1, v40
	s_and_b32 vcc_lo, s14, vcc_lo
	v_lshlrev_b32_e32 v2, 2, v2
	s_delay_alu instid0(VALU_DEP_2)
	v_add_lshl_u32 v46, v40, v81, 2
	ds_bpermute_b32 v3, v2, v6
	s_waitcnt lgkmcnt(0)
	v_cndmask_b32_e32 v3, 0, v3, vcc_lo
	ds_bpermute_b32 v4, v2, v5
	v_cmp_gt_u32_e32 vcc_lo, 28, v81
	v_add_nc_u32_e32 v3, v3, v6
	ds_bpermute_b32 v6, v46, v3
	s_waitcnt lgkmcnt(1)
	v_cndmask_b32_e64 v4, 0, v4, s14
	s_delay_alu instid0(VALU_DEP_1) | instskip(SKIP_1) | instid1(VALU_DEP_2)
	v_add_nc_u32_e32 v4, v4, v5
	v_cndmask_b32_e64 v5, 0, 1, vcc_lo
	v_cmp_eq_u32_e32 vcc_lo, 0, v4
	ds_bpermute_b32 v40, v46, v4
	s_waitcnt lgkmcnt(1)
	v_dual_cndmask_b32 v6, 0, v6 :: v_dual_lshlrev_b32 v5, 2, v5
	v_cmp_gt_u32_e32 vcc_lo, v47, v8
	s_delay_alu instid0(VALU_DEP_2) | instskip(NEXT) | instid1(VALU_DEP_3)
	v_add_lshl_u32 v48, v5, v81, 2
	v_cndmask_b32_e64 v6, v6, 0, vcc_lo
	s_delay_alu instid0(VALU_DEP_1) | instskip(SKIP_4) | instid1(VALU_DEP_2)
	v_add_nc_u32_e32 v3, v6, v3
	ds_bpermute_b32 v5, v48, v3
	s_waitcnt lgkmcnt(1)
	v_cndmask_b32_e64 v6, v40, 0, vcc_lo
	v_cmp_gt_u32_e32 vcc_lo, 24, v81
	v_add_nc_u32_e32 v4, v4, v6
	v_cndmask_b32_e64 v40, 0, 1, vcc_lo
	ds_bpermute_b32 v6, v48, v4
	v_cmp_eq_u32_e32 vcc_lo, 0, v4
	v_lshlrev_b32_e32 v40, 3, v40
	s_delay_alu instid0(VALU_DEP_1) | instskip(SKIP_3) | instid1(VALU_DEP_2)
	v_add_lshl_u32 v50, v40, v81, 2
	s_waitcnt lgkmcnt(1)
	v_cndmask_b32_e32 v5, 0, v5, vcc_lo
	v_cmp_gt_u32_e32 vcc_lo, v49, v8
	v_cndmask_b32_e64 v5, v5, 0, vcc_lo
	s_delay_alu instid0(VALU_DEP_1)
	v_add_nc_u32_e32 v3, v3, v5
	s_waitcnt lgkmcnt(0)
	v_cndmask_b32_e64 v6, v6, 0, vcc_lo
	v_cmp_gt_u32_e32 vcc_lo, 16, v81
	ds_bpermute_b32 v5, v50, v3
	v_add_nc_u32_e32 v4, v4, v6
	v_cndmask_b32_e64 v40, 0, 1, vcc_lo
	ds_bpermute_b32 v6, v50, v4
	v_cmp_eq_u32_e32 vcc_lo, 0, v4
	v_lshlrev_b32_e32 v40, 4, v40
	s_delay_alu instid0(VALU_DEP_1) | instskip(SKIP_3) | instid1(VALU_DEP_2)
	v_add_lshl_u32 v52, v40, v81, 2
	s_waitcnt lgkmcnt(1)
	v_dual_mov_b32 v40, 0 :: v_dual_cndmask_b32 v5, 0, v5
	v_cmp_gt_u32_e32 vcc_lo, v51, v8
	v_cndmask_b32_e64 v5, v5, 0, vcc_lo
	s_delay_alu instid0(VALU_DEP_1)
	v_add_nc_u32_e32 v3, v3, v5
	s_waitcnt lgkmcnt(0)
	v_cndmask_b32_e64 v5, v6, 0, vcc_lo
	ds_bpermute_b32 v6, v52, v3
	v_add_nc_u32_e32 v4, v4, v5
	ds_bpermute_b32 v5, v52, v4
	v_cmp_eq_u32_e32 vcc_lo, 0, v4
	s_waitcnt lgkmcnt(1)
	v_cndmask_b32_e32 v6, 0, v6, vcc_lo
	v_cmp_gt_u32_e32 vcc_lo, v53, v8
	s_delay_alu instid0(VALU_DEP_2) | instskip(SKIP_2) | instid1(VALU_DEP_2)
	v_cndmask_b32_e64 v6, v6, 0, vcc_lo
	s_waitcnt lgkmcnt(0)
	v_cndmask_b32_e64 v5, v5, 0, vcc_lo
	v_add_nc_u32_e32 v6, v6, v3
	s_delay_alu instid0(VALU_DEP_2)
	v_add_nc_u32_e32 v5, v5, v4
	s_branch .LBB1101_100
.LBB1101_99:                            ;   in Loop: Header=BB1101_100 Depth=1
	s_or_b32 exec_lo, exec_lo, s14
	v_and_b32_e32 v8, 0xff, v7
	ds_bpermute_b32 v41, v2, v5
	v_subrev_nc_u32_e32 v39, 32, v39
	v_cmp_eq_u16_e32 vcc_lo, 2, v8
	ds_bpermute_b32 v8, v2, v6
	v_and_or_b32 v42, vcc_lo, v45, 0x80000000
	v_cmp_eq_u32_e32 vcc_lo, 0, v5
	s_delay_alu instid0(VALU_DEP_2) | instskip(NEXT) | instid1(VALU_DEP_1)
	v_ctz_i32_b32_e32 v42, v42
	v_cmp_lt_u32_e64 s14, v81, v42
	s_delay_alu instid0(VALU_DEP_1) | instskip(SKIP_4) | instid1(VALU_DEP_2)
	s_and_b32 vcc_lo, s14, vcc_lo
	s_waitcnt lgkmcnt(1)
	v_cndmask_b32_e64 v41, 0, v41, s14
	s_waitcnt lgkmcnt(0)
	v_cndmask_b32_e32 v8, 0, v8, vcc_lo
	v_add_nc_u32_e32 v5, v41, v5
	s_delay_alu instid0(VALU_DEP_2)
	v_add_nc_u32_e32 v6, v8, v6
	ds_bpermute_b32 v41, v46, v5
	ds_bpermute_b32 v8, v46, v6
	v_cmp_eq_u32_e32 vcc_lo, 0, v5
	s_waitcnt lgkmcnt(0)
	v_cndmask_b32_e32 v8, 0, v8, vcc_lo
	v_cmp_gt_u32_e32 vcc_lo, v47, v42
	v_cndmask_b32_e64 v41, v41, 0, vcc_lo
	s_delay_alu instid0(VALU_DEP_1) | instskip(NEXT) | instid1(VALU_DEP_4)
	v_add_nc_u32_e32 v5, v5, v41
	v_cndmask_b32_e64 v8, v8, 0, vcc_lo
	ds_bpermute_b32 v41, v48, v5
	v_add_nc_u32_e32 v6, v8, v6
	v_cmp_eq_u32_e32 vcc_lo, 0, v5
	ds_bpermute_b32 v8, v48, v6
	s_waitcnt lgkmcnt(0)
	v_cndmask_b32_e32 v8, 0, v8, vcc_lo
	v_cmp_gt_u32_e32 vcc_lo, v49, v42
	v_cndmask_b32_e64 v41, v41, 0, vcc_lo
	s_delay_alu instid0(VALU_DEP_1) | instskip(NEXT) | instid1(VALU_DEP_4)
	v_add_nc_u32_e32 v5, v5, v41
	v_cndmask_b32_e64 v8, v8, 0, vcc_lo
	ds_bpermute_b32 v41, v50, v5
	v_add_nc_u32_e32 v6, v6, v8
	v_cmp_eq_u32_e32 vcc_lo, 0, v5
	ds_bpermute_b32 v8, v50, v6
	;; [unrolled: 11-line block ×3, first 2 shown]
	s_waitcnt lgkmcnt(0)
	v_cndmask_b32_e32 v8, 0, v8, vcc_lo
	v_cmp_gt_u32_e32 vcc_lo, v53, v42
	s_delay_alu instid0(VALU_DEP_2) | instskip(NEXT) | instid1(VALU_DEP_1)
	v_cndmask_b32_e64 v8, v8, 0, vcc_lo
	v_add_nc_u32_e32 v6, v8, v6
	v_cndmask_b32_e64 v8, v41, 0, vcc_lo
	v_cmp_eq_u32_e32 vcc_lo, 0, v3
	s_delay_alu instid0(VALU_DEP_2) | instskip(NEXT) | instid1(VALU_DEP_4)
	v_add3_u32 v5, v5, v3, v8
	v_cndmask_b32_e32 v6, 0, v6, vcc_lo
	s_delay_alu instid0(VALU_DEP_1)
	v_add_nc_u32_e32 v6, v6, v4
.LBB1101_100:                           ; =>This Loop Header: Depth=1
                                        ;     Child Loop BB1101_103 Depth 2
	s_delay_alu instid0(VALU_DEP_1) | instskip(NEXT) | instid1(VALU_DEP_1)
	v_dual_mov_b32 v4, v6 :: v_dual_and_b32 v3, 0xff, v7
	v_cmp_ne_u16_e32 vcc_lo, 2, v3
	v_cndmask_b32_e64 v3, 0, 1, vcc_lo
	;;#ASMSTART
	;;#ASMEND
	s_delay_alu instid0(VALU_DEP_1)
	v_cmp_ne_u32_e32 vcc_lo, 0, v3
	v_mov_b32_e32 v3, v5
	s_cmp_lg_u32 vcc_lo, exec_lo
	s_cbranch_scc1 .LBB1101_105
; %bb.101:                              ;   in Loop: Header=BB1101_100 Depth=1
	v_lshlrev_b64 v[5:6], 4, v[39:40]
	s_mov_b32 s14, exec_lo
	s_delay_alu instid0(VALU_DEP_1) | instskip(NEXT) | instid1(VALU_DEP_2)
	v_add_co_u32 v41, vcc_lo, s24, v5
	v_add_co_ci_u32_e32 v42, vcc_lo, s25, v6, vcc_lo
	;;#ASMSTART
	global_load_dwordx4 v[5:8], v[41:42] off glc	
s_waitcnt vmcnt(0)
	;;#ASMEND
	v_and_b32_e32 v8, 0xff, v6
	v_and_b32_e32 v54, 0xff00, v6
	;; [unrolled: 1-line block ×3, first 2 shown]
	v_or3_b32 v5, v5, 0, 0
	v_and_b32_e32 v6, 0xff000000, v6
	s_delay_alu instid0(VALU_DEP_4) | instskip(SKIP_1) | instid1(VALU_DEP_4)
	v_or3_b32 v8, 0, v8, v54
	v_and_b32_e32 v54, 0xff, v7
	v_or3_b32 v5, v5, 0, 0
	s_delay_alu instid0(VALU_DEP_3) | instskip(NEXT) | instid1(VALU_DEP_3)
	v_or3_b32 v6, v8, v55, v6
	v_cmpx_eq_u16_e32 0, v54
	s_cbranch_execz .LBB1101_99
; %bb.102:                              ;   in Loop: Header=BB1101_100 Depth=1
	s_mov_b32 s19, 0
.LBB1101_103:                           ;   Parent Loop BB1101_100 Depth=1
                                        ; =>  This Inner Loop Header: Depth=2
	;;#ASMSTART
	global_load_dwordx4 v[5:8], v[41:42] off glc	
s_waitcnt vmcnt(0)
	;;#ASMEND
	v_and_b32_e32 v8, 0xff, v7
	s_delay_alu instid0(VALU_DEP_1) | instskip(SKIP_1) | instid1(SALU_CYCLE_1)
	v_cmp_ne_u16_e32 vcc_lo, 0, v8
	s_or_b32 s19, vcc_lo, s19
	s_and_not1_b32 exec_lo, exec_lo, s19
	s_cbranch_execnz .LBB1101_103
; %bb.104:                              ;   in Loop: Header=BB1101_100 Depth=1
	s_or_b32 exec_lo, exec_lo, s19
	s_branch .LBB1101_99
.LBB1101_105:                           ;   in Loop: Header=BB1101_100 Depth=1
                                        ; implicit-def: $vgpr6
                                        ; implicit-def: $vgpr5
                                        ; implicit-def: $vgpr7
	s_cbranch_execz .LBB1101_100
; %bb.106:
	s_and_saveexec_b32 s14, s13
	s_cbranch_execz .LBB1101_108
; %bb.107:
	v_cmp_eq_u32_e32 vcc_lo, 0, v1
	s_mov_b32 s27, 0
	s_add_i32 s26, s15, 32
	v_add_nc_u32_e32 v5, v3, v1
	s_lshl_b64 s[26:27], s[26:27], 4
	v_cndmask_b32_e32 v2, 0, v4, vcc_lo
	s_add_u32 s26, s24, s26
	s_addc_u32 s27, s25, s27
	v_mov_b32_e32 v8, 0
	s_delay_alu instid0(VALU_DEP_2) | instskip(NEXT) | instid1(VALU_DEP_1)
	v_add_nc_u32_e32 v2, s18, v2
	v_and_b32_e32 v6, 0xff000000, v2
	v_and_b32_e32 v7, 0xff0000, v2
	s_delay_alu instid0(VALU_DEP_1) | instskip(SKIP_3) | instid1(VALU_DEP_1)
	v_or_b32_e32 v6, v7, v6
	v_mov_b32_e32 v7, 2
	v_and_b32_e32 v39, 0xff00, v2
	v_and_b32_e32 v2, 0xff, v2
	v_or3_b32 v6, v6, v39, v2
	v_mov_b32_e32 v2, s18
	v_dual_mov_b32 v40, s27 :: v_dual_mov_b32 v39, s26
	;;#ASMSTART
	global_store_dwordx4 v[39:40], v[5:8] off	
s_waitcnt vmcnt(0)
	;;#ASMEND
	ds_store_b128 v8, v[1:4] offset:2048
.LBB1101_108:
	s_or_b32 exec_lo, exec_lo, s14
	v_cmp_eq_u32_e32 vcc_lo, 0, v0
	s_and_b32 exec_lo, exec_lo, vcc_lo
	s_cbranch_execz .LBB1101_110
; %bb.109:
	v_mov_b32_e32 v1, 0
	ds_store_b64 v1, v[3:4] offset:2120
.LBB1101_110:
	s_or_b32 exec_lo, exec_lo, s17
	s_waitcnt lgkmcnt(1)
	v_cndmask_b32_e64 v4, v43, v37, s13
	s_waitcnt lgkmcnt(0)
	s_barrier
	buffer_gl0_inv
	v_cndmask_b32_e64 v5, v44, v38, s13
	v_cmp_eq_u32_e32 vcc_lo, 0, v4
	v_mov_b32_e32 v3, 0
	v_cmp_eq_u32_e64 s13, 0, v78
	ds_load_b64 v[1:2], v3 offset:2120
	s_waitcnt lgkmcnt(0)
	s_barrier
	buffer_gl0_inv
	v_cndmask_b32_e32 v6, 0, v2, vcc_lo
	v_cmp_eq_u32_e32 vcc_lo, 0, v0
	s_delay_alu instid0(VALU_DEP_2) | instskip(NEXT) | instid1(VALU_DEP_1)
	v_add_nc_u32_e32 v5, v6, v5
	v_cndmask_b32_e32 v54, v5, v2, vcc_lo
	s_delay_alu instid0(VALU_DEP_1) | instskip(NEXT) | instid1(VALU_DEP_1)
	v_cndmask_b32_e64 v2, 0, v54, s13
	v_add_nc_u32_e32 v60, v2, v35
	s_delay_alu instid0(VALU_DEP_1) | instskip(NEXT) | instid1(VALU_DEP_1)
	v_cndmask_b32_e64 v2, 0, v60, s12
	v_add_nc_u32_e32 v56, v2, v36
	;; [unrolled: 3-line block ×6, first 2 shown]
	v_cndmask_b32_e64 v2, v4, 0, vcc_lo
	s_delay_alu instid0(VALU_DEP_2) | instskip(NEXT) | instid1(VALU_DEP_2)
	v_cndmask_b32_e64 v4, 0, v40, s7
	v_add_nc_u32_e32 v53, v1, v2
	s_delay_alu instid0(VALU_DEP_2) | instskip(NEXT) | instid1(VALU_DEP_2)
	v_add_nc_u32_e32 v44, v4, v29
	v_add_nc_u32_e32 v59, v53, v78
	s_delay_alu instid0(VALU_DEP_2) | instskip(NEXT) | instid1(VALU_DEP_2)
	v_cndmask_b32_e64 v1, 0, v44, s6
	v_add_nc_u32_e32 v55, v59, v77
	s_delay_alu instid0(VALU_DEP_2) | instskip(NEXT) | instid1(VALU_DEP_2)
	v_add_nc_u32_e32 v48, v1, v30
	v_add_nc_u32_e32 v51, v55, v76
	;; [unrolled: 6-line block ×4, first 2 shown]
	s_delay_alu instid0(VALU_DEP_2) | instskip(NEXT) | instid1(VALU_DEP_2)
	v_cndmask_b32_e64 v1, 0, v8, s3
	v_add_nc_u32_e32 v47, v43, v71
	s_delay_alu instid0(VALU_DEP_2) | instskip(SKIP_3) | instid1(VALU_DEP_2)
	v_add_nc_u32_e32 v38, v1, v25
	ds_load_b128 v[1:4], v3 offset:2048
	v_add_nc_u32_e32 v5, v47, v70
	v_cndmask_b32_e64 v37, 0, v38, s2
	v_add_nc_u32_e32 v7, v5, v68
	s_delay_alu instid0(VALU_DEP_2) | instskip(NEXT) | instid1(VALU_DEP_2)
	v_add_nc_u32_e32 v62, v37, v26
	v_add_nc_u32_e32 v37, v7, v67
	s_delay_alu instid0(VALU_DEP_2) | instskip(NEXT) | instid1(VALU_DEP_2)
	v_cndmask_b32_e64 v49, 0, v62, s1
	v_add_nc_u32_e32 v61, v37, v66
	s_delay_alu instid0(VALU_DEP_2) | instskip(SKIP_2) | instid1(VALU_DEP_3)
	v_add_nc_u32_e32 v58, v49, v23
	s_waitcnt lgkmcnt(0)
	v_cmp_eq_u32_e32 vcc_lo, 0, v1
	v_add_nc_u32_e32 v57, v61, v65
	s_delay_alu instid0(VALU_DEP_3) | instskip(SKIP_1) | instid1(VALU_DEP_3)
	v_cndmask_b32_e64 v50, 0, v58, s0
	v_cndmask_b32_e32 v4, 0, v4, vcc_lo
	v_add_nc_u32_e32 v49, v57, v64
	s_delay_alu instid0(VALU_DEP_3) | instskip(NEXT) | instid1(VALU_DEP_3)
	v_add_nc_u32_e32 v50, v50, v24
	v_add_nc_u32_e32 v80, v4, v2
	s_branch .LBB1101_123
.LBB1101_111:
                                        ; implicit-def: $vgpr1
                                        ; implicit-def: $vgpr80
                                        ; implicit-def: $vgpr53_vgpr54
                                        ; implicit-def: $vgpr59_vgpr60
                                        ; implicit-def: $vgpr55_vgpr56
                                        ; implicit-def: $vgpr51_vgpr52
                                        ; implicit-def: $vgpr45_vgpr46
                                        ; implicit-def: $vgpr41_vgpr42
                                        ; implicit-def: $vgpr39_vgpr40
                                        ; implicit-def: $vgpr43_vgpr44
                                        ; implicit-def: $vgpr47_vgpr48
                                        ; implicit-def: $vgpr5_vgpr6
                                        ; implicit-def: $vgpr7_vgpr8
                                        ; implicit-def: $vgpr37_vgpr38
                                        ; implicit-def: $vgpr61_vgpr62
                                        ; implicit-def: $vgpr57_vgpr58
                                        ; implicit-def: $vgpr49_vgpr50
	s_cbranch_execz .LBB1101_123
; %bb.112:
	s_and_b32 s0, s16, exec_lo
	v_mov_b32_e32 v49, v35
	s_cselect_b32 s1, 0, s35
	s_cselect_b32 s0, 0, s34
	s_delay_alu instid0(SALU_CYCLE_1)
	s_cmp_eq_u64 s[0:1], 0
	s_cbranch_scc1 .LBB1101_114
; %bb.113:
	v_mov_b32_e32 v1, 0
	global_load_b32 v49, v1, s[0:1]
.LBB1101_114:
	v_cmp_eq_u32_e64 s6, 0, v77
	v_cmp_eq_u32_e64 s7, 0, v76
	;; [unrolled: 1-line block ×5, first 2 shown]
	v_cndmask_b32_e64 v1, 0, v35, s6
	v_cmp_eq_u32_e64 s11, 0, v72
	v_cmp_eq_u32_e64 s5, 0, v71
	;; [unrolled: 1-line block ×4, first 2 shown]
	v_add_nc_u32_e32 v1, v1, v36
	v_cmp_eq_u32_e64 s2, 0, v67
	v_add3_u32 v2, v84, v73, v72
	v_cmp_eq_u32_e64 s1, 0, v66
	v_cmp_eq_u32_e32 vcc_lo, 0, v65
	v_cndmask_b32_e64 v1, 0, v1, s7
	v_cmp_eq_u32_e64 s0, 0, v64
	v_add3_u32 v2, v2, v71, v70
	v_cmp_eq_u32_e64 s12, 0, v69
	v_and_b32_e32 v4, 15, v81
	v_add_nc_u32_e32 v1, v1, v33
	s_delay_alu instid0(VALU_DEP_4) | instskip(NEXT) | instid1(VALU_DEP_3)
	v_add3_u32 v2, v2, v68, v67
	v_cmp_lt_u32_e64 s13, 1, v4
	s_delay_alu instid0(VALU_DEP_3) | instskip(NEXT) | instid1(VALU_DEP_3)
	v_cndmask_b32_e64 v1, 0, v1, s8
	v_add3_u32 v2, v2, v66, v65
	s_delay_alu instid0(VALU_DEP_2) | instskip(NEXT) | instid1(VALU_DEP_2)
	v_add_nc_u32_e32 v1, v1, v34
	v_add3_u32 v2, v2, v64, v69
	s_delay_alu instid0(VALU_DEP_2) | instskip(NEXT) | instid1(VALU_DEP_2)
	v_cndmask_b32_e64 v1, 0, v1, s9
	v_mov_b32_dpp v5, v2 row_shr:1 row_mask:0xf bank_mask:0xf
	s_delay_alu instid0(VALU_DEP_2) | instskip(NEXT) | instid1(VALU_DEP_1)
	v_add_nc_u32_e32 v1, v1, v31
	v_cndmask_b32_e64 v1, 0, v1, s10
	s_delay_alu instid0(VALU_DEP_1) | instskip(NEXT) | instid1(VALU_DEP_1)
	v_add_nc_u32_e32 v1, v1, v32
	v_cndmask_b32_e64 v1, 0, v1, s11
	s_delay_alu instid0(VALU_DEP_1) | instskip(NEXT) | instid1(VALU_DEP_1)
	;; [unrolled: 3-line block ×7, first 2 shown]
	v_add_nc_u32_e32 v1, v1, v26
	v_cndmask_b32_e32 v1, 0, v1, vcc_lo
	s_delay_alu instid0(VALU_DEP_1) | instskip(NEXT) | instid1(VALU_DEP_1)
	v_add_nc_u32_e32 v1, v1, v23
	v_cndmask_b32_e64 v1, 0, v1, s0
	s_delay_alu instid0(VALU_DEP_1) | instskip(NEXT) | instid1(VALU_DEP_1)
	v_add_nc_u32_e32 v1, v1, v24
	v_cndmask_b32_e64 v1, 0, v1, s12
	v_cmp_eq_u32_e64 s12, 0, v2
	s_delay_alu instid0(VALU_DEP_2) | instskip(NEXT) | instid1(VALU_DEP_1)
	v_add_nc_u32_e32 v1, v1, v79
	v_mov_b32_dpp v3, v1 row_shr:1 row_mask:0xf bank_mask:0xf
	s_delay_alu instid0(VALU_DEP_1) | instskip(SKIP_1) | instid1(VALU_DEP_1)
	v_cndmask_b32_e64 v3, 0, v3, s12
	v_cmp_eq_u32_e64 s12, 0, v4
	v_cndmask_b32_e64 v5, v5, 0, s12
	s_delay_alu instid0(VALU_DEP_3) | instskip(NEXT) | instid1(VALU_DEP_2)
	v_cndmask_b32_e64 v3, v3, 0, s12
	v_add_nc_u32_e32 v2, v5, v2
	s_delay_alu instid0(VALU_DEP_2) | instskip(NEXT) | instid1(VALU_DEP_2)
	v_add_nc_u32_e32 v1, v3, v1
	v_mov_b32_dpp v3, v2 row_shr:2 row_mask:0xf bank_mask:0xf
	v_cmp_eq_u32_e64 s12, 0, v2
	s_delay_alu instid0(VALU_DEP_3) | instskip(NEXT) | instid1(VALU_DEP_3)
	v_mov_b32_dpp v5, v1 row_shr:2 row_mask:0xf bank_mask:0xf
	v_cndmask_b32_e64 v3, 0, v3, s13
	s_delay_alu instid0(VALU_DEP_3) | instskip(SKIP_1) | instid1(VALU_DEP_3)
	s_and_b32 s12, s13, s12
	v_cmp_lt_u32_e64 s13, 3, v4
	v_cndmask_b32_e64 v5, 0, v5, s12
	s_delay_alu instid0(VALU_DEP_3) | instskip(NEXT) | instid1(VALU_DEP_2)
	v_add_nc_u32_e32 v2, v2, v3
	v_add_nc_u32_e32 v1, v5, v1
	s_delay_alu instid0(VALU_DEP_2) | instskip(SKIP_1) | instid1(VALU_DEP_3)
	v_mov_b32_dpp v3, v2 row_shr:4 row_mask:0xf bank_mask:0xf
	v_cmp_eq_u32_e64 s12, 0, v2
	v_mov_b32_dpp v5, v1 row_shr:4 row_mask:0xf bank_mask:0xf
	s_delay_alu instid0(VALU_DEP_3) | instskip(NEXT) | instid1(VALU_DEP_3)
	v_cndmask_b32_e64 v3, 0, v3, s13
	s_and_b32 s12, s13, s12
	v_cmp_lt_u32_e64 s13, 7, v4
	s_delay_alu instid0(VALU_DEP_3) | instskip(NEXT) | instid1(VALU_DEP_3)
	v_cndmask_b32_e64 v5, 0, v5, s12
	v_add_nc_u32_e32 v2, v3, v2
	s_delay_alu instid0(VALU_DEP_2) | instskip(SKIP_1) | instid1(VALU_DEP_3)
	v_add_nc_u32_e32 v1, v1, v5
	v_bfe_i32 v5, v81, 4, 1
	v_cmp_eq_u32_e64 s12, 0, v2
	v_mov_b32_dpp v3, v2 row_shr:8 row_mask:0xf bank_mask:0xf
	s_delay_alu instid0(VALU_DEP_4) | instskip(NEXT) | instid1(VALU_DEP_3)
	v_mov_b32_dpp v4, v1 row_shr:8 row_mask:0xf bank_mask:0xf
	s_and_b32 s12, s13, s12
	s_delay_alu instid0(VALU_DEP_2) | instskip(SKIP_1) | instid1(VALU_DEP_2)
	v_cndmask_b32_e64 v3, 0, v3, s13
	s_mov_b32 s13, exec_lo
	v_cndmask_b32_e64 v4, 0, v4, s12
	s_delay_alu instid0(VALU_DEP_1) | instskip(NEXT) | instid1(VALU_DEP_3)
	v_add_nc_u32_e32 v4, v4, v1
	v_add_nc_u32_e32 v1, v3, v2
	ds_swizzle_b32 v2, v4 offset:swizzle(BROADCAST,32,15)
	ds_swizzle_b32 v3, v1 offset:swizzle(BROADCAST,32,15)
	v_cmp_eq_u32_e64 s12, 0, v1
	s_waitcnt lgkmcnt(1)
	s_delay_alu instid0(VALU_DEP_1) | instskip(SKIP_2) | instid1(VALU_DEP_2)
	v_cndmask_b32_e64 v2, 0, v2, s12
	s_waitcnt lgkmcnt(0)
	v_and_b32_e32 v3, v5, v3
	v_and_b32_e32 v2, v5, v2
	s_delay_alu instid0(VALU_DEP_2) | instskip(NEXT) | instid1(VALU_DEP_2)
	v_add_nc_u32_e32 v1, v3, v1
	v_add_nc_u32_e32 v2, v2, v4
	v_lshlrev_b32_e32 v4, 3, v82
	v_cmpx_eq_u32_e64 v83, v0
	s_cbranch_execz .LBB1101_116
; %bb.115:
	ds_store_b64 v4, v[1:2] offset:2064
.LBB1101_116:
	s_or_b32 exec_lo, exec_lo, s13
	s_delay_alu instid0(SALU_CYCLE_1)
	s_mov_b32 s14, exec_lo
	s_waitcnt vmcnt(0) lgkmcnt(0)
	s_barrier
	buffer_gl0_inv
	v_cmpx_gt_u32_e32 8, v0
	s_cbranch_execz .LBB1101_118
; %bb.117:
	v_lshlrev_b32_e32 v3, 3, v0
	v_and_b32_e32 v8, 7, v81
	ds_load_b64 v[5:6], v3 offset:2064
	v_cmp_lt_u32_e64 s13, 1, v8
	s_waitcnt lgkmcnt(0)
	v_mov_b32_dpp v7, v6 row_shr:1 row_mask:0xf bank_mask:0xf
	v_cmp_eq_u32_e64 s12, 0, v5
	v_mov_b32_dpp v37, v5 row_shr:1 row_mask:0xf bank_mask:0xf
	s_delay_alu instid0(VALU_DEP_2) | instskip(SKIP_1) | instid1(VALU_DEP_1)
	v_cndmask_b32_e64 v7, 0, v7, s12
	v_cmp_eq_u32_e64 s12, 0, v8
	v_cndmask_b32_e64 v37, v37, 0, s12
	s_delay_alu instid0(VALU_DEP_3) | instskip(NEXT) | instid1(VALU_DEP_2)
	v_cndmask_b32_e64 v7, v7, 0, s12
	v_add_nc_u32_e32 v5, v37, v5
	s_delay_alu instid0(VALU_DEP_2) | instskip(NEXT) | instid1(VALU_DEP_2)
	v_add_nc_u32_e32 v6, v7, v6
	v_mov_b32_dpp v7, v5 row_shr:2 row_mask:0xf bank_mask:0xf
	v_cmp_eq_u32_e64 s12, 0, v5
	s_delay_alu instid0(VALU_DEP_3) | instskip(NEXT) | instid1(VALU_DEP_3)
	v_mov_b32_dpp v37, v6 row_shr:2 row_mask:0xf bank_mask:0xf
	v_cndmask_b32_e64 v7, 0, v7, s13
	s_delay_alu instid0(VALU_DEP_3) | instskip(SKIP_1) | instid1(VALU_DEP_3)
	s_and_b32 s12, s13, s12
	v_cmp_lt_u32_e64 s13, 3, v8
	v_cndmask_b32_e64 v37, 0, v37, s12
	s_delay_alu instid0(VALU_DEP_3) | instskip(NEXT) | instid1(VALU_DEP_2)
	v_add_nc_u32_e32 v5, v7, v5
	v_add_nc_u32_e32 v6, v37, v6
	s_delay_alu instid0(VALU_DEP_2) | instskip(SKIP_1) | instid1(VALU_DEP_3)
	v_cmp_eq_u32_e64 s12, 0, v5
	v_mov_b32_dpp v7, v5 row_shr:4 row_mask:0xf bank_mask:0xf
	v_mov_b32_dpp v8, v6 row_shr:4 row_mask:0xf bank_mask:0xf
	s_delay_alu instid0(VALU_DEP_3) | instskip(NEXT) | instid1(VALU_DEP_2)
	s_and_b32 s12, s13, s12
	v_cndmask_b32_e64 v7, 0, v7, s13
	s_delay_alu instid0(VALU_DEP_2) | instskip(NEXT) | instid1(VALU_DEP_2)
	v_cndmask_b32_e64 v8, 0, v8, s12
	v_add_nc_u32_e32 v5, v7, v5
	s_delay_alu instid0(VALU_DEP_2)
	v_add_nc_u32_e32 v6, v8, v6
	ds_store_b64 v3, v[5:6] offset:2064
.LBB1101_118:
	s_or_b32 exec_lo, exec_lo, s14
	v_mov_b32_e32 v7, 0
	v_mov_b32_e32 v3, 0
	;; [unrolled: 1-line block ×3, first 2 shown]
	s_mov_b32 s13, exec_lo
	s_waitcnt lgkmcnt(0)
	s_barrier
	buffer_gl0_inv
	v_cmpx_lt_u32_e32 31, v0
	s_cbranch_execz .LBB1101_120
; %bb.119:
	ds_load_b64 v[3:4], v4 offset:2056
	s_waitcnt lgkmcnt(0)
	v_cmp_eq_u32_e64 s12, 0, v3
	s_delay_alu instid0(VALU_DEP_1) | instskip(NEXT) | instid1(VALU_DEP_1)
	v_cndmask_b32_e64 v5, 0, v49, s12
	v_add_nc_u32_e32 v5, v5, v4
.LBB1101_120:
	s_or_b32 exec_lo, exec_lo, s13
	v_add_nc_u32_e32 v4, -1, v81
	v_cmp_eq_u32_e64 s13, 0, v78
	s_delay_alu instid0(VALU_DEP_2) | instskip(NEXT) | instid1(VALU_DEP_1)
	v_cmp_gt_i32_e64 s12, 0, v4
	v_cndmask_b32_e64 v4, v4, v81, s12
	v_cmp_eq_u32_e64 s12, 0, v1
	v_add_nc_u32_e32 v1, v3, v1
	s_delay_alu instid0(VALU_DEP_3) | instskip(NEXT) | instid1(VALU_DEP_3)
	v_lshlrev_b32_e32 v4, 2, v4
	v_cndmask_b32_e64 v6, 0, v5, s12
	v_cmp_eq_u32_e64 s12, 0, v81
	ds_bpermute_b32 v1, v4, v1
	v_add_nc_u32_e32 v2, v6, v2
	ds_bpermute_b32 v2, v4, v2
	s_waitcnt lgkmcnt(1)
	v_cndmask_b32_e64 v1, v1, v3, s12
	s_waitcnt lgkmcnt(0)
	v_cndmask_b32_e64 v2, v2, v5, s12
	v_cmp_eq_u32_e64 s12, 0, v0
	s_delay_alu instid0(VALU_DEP_1) | instskip(SKIP_1) | instid1(VALU_DEP_2)
	v_cndmask_b32_e64 v54, v2, v49, s12
	v_cndmask_b32_e64 v53, v1, 0, s12
	;; [unrolled: 1-line block ×3, first 2 shown]
	s_delay_alu instid0(VALU_DEP_1) | instskip(NEXT) | instid1(VALU_DEP_1)
	v_add_nc_u32_e32 v60, v2, v35
	v_cndmask_b32_e64 v2, 0, v60, s6
	s_delay_alu instid0(VALU_DEP_1) | instskip(NEXT) | instid1(VALU_DEP_1)
	v_add_nc_u32_e32 v56, v2, v36
	v_cndmask_b32_e64 v2, 0, v56, s7
	;; [unrolled: 3-line block ×10, first 2 shown]
	s_delay_alu instid0(VALU_DEP_1) | instskip(SKIP_2) | instid1(VALU_DEP_1)
	v_add_nc_u32_e32 v38, v1, v25
	ds_load_b64 v[1:2], v7 offset:2120
	v_cndmask_b32_e64 v3, 0, v38, s1
	v_add_nc_u32_e32 v62, v3, v26
	s_delay_alu instid0(VALU_DEP_1) | instskip(NEXT) | instid1(VALU_DEP_1)
	v_cndmask_b32_e32 v3, 0, v62, vcc_lo
	v_add_nc_u32_e32 v58, v3, v23
	s_waitcnt lgkmcnt(0)
	v_cmp_eq_u32_e32 vcc_lo, 0, v1
	v_add_nc_u32_e32 v59, v53, v78
	s_delay_alu instid0(VALU_DEP_3) | instskip(SKIP_1) | instid1(VALU_DEP_3)
	v_cndmask_b32_e64 v3, 0, v58, s0
	v_cndmask_b32_e32 v4, 0, v49, vcc_lo
	v_add_nc_u32_e32 v55, v59, v77
	s_delay_alu instid0(VALU_DEP_3) | instskip(NEXT) | instid1(VALU_DEP_3)
	v_add_nc_u32_e32 v50, v3, v24
	v_add_nc_u32_e32 v80, v4, v2
	s_delay_alu instid0(VALU_DEP_3) | instskip(NEXT) | instid1(VALU_DEP_1)
	v_add_nc_u32_e32 v51, v55, v76
	v_add_nc_u32_e32 v45, v51, v75
	s_delay_alu instid0(VALU_DEP_1) | instskip(NEXT) | instid1(VALU_DEP_1)
	v_add_nc_u32_e32 v41, v45, v74
	v_add_nc_u32_e32 v39, v41, v73
	s_delay_alu instid0(VALU_DEP_1) | instskip(NEXT) | instid1(VALU_DEP_1)
	;; [unrolled: 3-line block ×5, first 2 shown]
	v_add_nc_u32_e32 v57, v61, v65
	v_add_nc_u32_e32 v49, v57, v64
	s_and_saveexec_b32 s0, s12
	s_cbranch_execz .LBB1101_122
; %bb.121:
	v_and_b32_e32 v2, 0xff000000, v80
	v_dual_mov_b32 v4, 0 :: v_dual_and_b32 v3, 0xff0000, v80
	s_add_u32 s2, s24, 0x200
	v_and_b32_e32 v23, 0xff00, v80
	s_addc_u32 s3, s25, 0
	v_and_b32_e32 v24, 0xff, v80
	v_or_b32_e32 v2, v3, v2
	v_mov_b32_e32 v3, 2
	s_delay_alu instid0(VALU_DEP_2)
	v_or3_b32 v2, v2, v23, v24
	v_dual_mov_b32 v24, s3 :: v_dual_mov_b32 v23, s2
	;;#ASMSTART
	global_store_dwordx4 v[23:24], v[1:4] off	
s_waitcnt vmcnt(0)
	;;#ASMEND
.LBB1101_122:
	s_or_b32 exec_lo, exec_lo, s0
	v_mov_b32_e32 v3, 0
.LBB1101_123:
	v_mov_b32_e32 v23, 0
	s_and_b32 s0, s16, exec_lo
	v_mov_b32_e32 v24, 0
	s_cselect_b32 s1, 0, s43
	s_cselect_b32 s0, 0, s42
	s_delay_alu instid0(SALU_CYCLE_1)
	s_cmp_eq_u64 s[0:1], 0
	s_barrier
	buffer_gl0_inv
	s_cbranch_scc1 .LBB1101_125
; %bb.124:
	v_mov_b32_e32 v2, 0
	global_load_b64 v[23:24], v2, s[0:1]
.LBB1101_125:
	v_cmp_eq_u32_e32 vcc_lo, 0, v78
	v_cmp_ne_u32_e64 s14, 0, v78
	v_cmp_ne_u32_e64 s13, 0, v77
	;; [unrolled: 1-line block ×4, first 2 shown]
	v_cndmask_b32_e64 v2, 1, 2, vcc_lo
	v_cmp_eq_u32_e32 vcc_lo, 0, v77
	v_cmp_ne_u32_e64 s10, 0, v74
	v_cmp_ne_u32_e64 s9, 0, v73
	;; [unrolled: 1-line block ×4, first 2 shown]
	v_cndmask_b32_e64 v4, 1, 2, vcc_lo
	v_cmp_eq_u32_e32 vcc_lo, 0, v76
	v_cmp_ne_u32_e64 s8, 0, v70
	v_cmp_ne_u32_e64 s6, 0, v68
	v_cmp_ne_u32_e64 s4, 0, v67
	v_and_b32_e32 v2, v4, v2
	v_cndmask_b32_e64 v25, 1, 2, vcc_lo
	v_cmp_eq_u32_e32 vcc_lo, 0, v75
	v_cmp_ne_u32_e64 s3, 0, v66
	v_cmp_ne_u32_e64 s2, 0, v65
	;; [unrolled: 1-line block ×3, first 2 shown]
	v_and_b32_e32 v2, v2, v25
	v_cndmask_b32_e64 v4, 1, 2, vcc_lo
	v_cmp_eq_u32_e32 vcc_lo, 0, v74
	v_cmp_ne_u32_e64 s0, 0, v69
	s_mov_b32 s16, -1
	s_delay_alu instid0(VALU_DEP_3) | instskip(SKIP_2) | instid1(VALU_DEP_2)
	v_and_b32_e32 v2, v2, v4
	v_cndmask_b32_e64 v25, 1, 2, vcc_lo
	v_cmp_eq_u32_e32 vcc_lo, 0, v73
	v_and_b32_e32 v2, v2, v25
	v_cndmask_b32_e64 v4, 1, 2, vcc_lo
	v_cmp_eq_u32_e32 vcc_lo, 0, v72
	s_waitcnt vmcnt(0)
	v_lshlrev_b64 v[25:26], 2, v[23:24]
	s_delay_alu instid0(VALU_DEP_3) | instskip(SKIP_2) | instid1(VALU_DEP_2)
	v_and_b32_e32 v2, v2, v4
	v_cndmask_b32_e64 v27, 1, 2, vcc_lo
	v_cmp_eq_u32_e32 vcc_lo, 0, v71
	v_and_b32_e32 v2, v2, v27
	v_cndmask_b32_e64 v28, 1, 2, vcc_lo
	v_cmp_eq_u32_e32 vcc_lo, 0, v70
	s_delay_alu instid0(VALU_DEP_2) | instskip(SKIP_2) | instid1(VALU_DEP_2)
	v_and_b32_e32 v2, v2, v28
	v_cndmask_b32_e64 v27, 1, 2, vcc_lo
	v_cmp_eq_u32_e32 vcc_lo, 0, v68
	v_and_b32_e32 v2, v2, v27
	v_cndmask_b32_e64 v28, 1, 2, vcc_lo
	v_cmp_eq_u32_e32 vcc_lo, 0, v67
	s_delay_alu instid0(VALU_DEP_2) | instskip(SKIP_2) | instid1(VALU_DEP_2)
	;; [unrolled: 7-line block ×3, first 2 shown]
	v_and_b32_e32 v2, v2, v29
	v_cndmask_b32_e64 v30, 1, 2, vcc_lo
	v_cmp_eq_u32_e32 vcc_lo, 0, v64
	v_and_b32_e32 v30, v2, v30
	v_cndmask_b32_e64 v31, 1, 2, vcc_lo
	v_mov_b32_e32 v4, 0
	s_delay_alu instid0(VALU_DEP_1) | instskip(SKIP_2) | instid1(VALU_DEP_2)
	v_lshlrev_b64 v[27:28], 2, v[3:4]
	v_add_co_u32 v4, vcc_lo, s22, v25
	v_add_co_ci_u32_e32 v29, vcc_lo, s23, v26, vcc_lo
	v_add_co_u32 v2, vcc_lo, v4, v27
	s_delay_alu instid0(VALU_DEP_2) | instskip(SKIP_4) | instid1(VALU_DEP_2)
	v_add_co_ci_u32_e32 v4, vcc_lo, v29, v28, vcc_lo
	v_and_b32_e32 v29, v30, v31
	v_cmp_eq_u32_e32 vcc_lo, 0, v69
	v_cndmask_b32_e64 v30, 1, 2, vcc_lo
	v_cmp_gt_u32_e32 vcc_lo, 0x100, v1
	v_and_b32_e32 v29, v29, v30
	s_delay_alu instid0(VALU_DEP_1)
	v_cmp_gt_i16_e64 s15, 2, v29
	s_cbranch_vccz .LBB1101_132
; %bb.126:
	s_delay_alu instid0(VALU_DEP_1)
	s_and_saveexec_b32 s16, s15
	s_cbranch_execz .LBB1101_131
; %bb.127:
	s_mov_b32 s17, 0
	s_mov_b32 s15, exec_lo
	v_cmpx_ne_u16_e32 1, v29
	s_xor_b32 s15, exec_lo, s15
	s_cbranch_execnz .LBB1101_164
; %bb.128:
	s_and_not1_saveexec_b32 s15, s15
	s_cbranch_execnz .LBB1101_180
.LBB1101_129:
	s_or_b32 exec_lo, exec_lo, s15
	s_delay_alu instid0(SALU_CYCLE_1)
	s_and_b32 exec_lo, exec_lo, s17
	s_cbranch_execz .LBB1101_131
.LBB1101_130:
	v_sub_nc_u32_e32 v30, v49, v3
	v_mov_b32_e32 v31, 0
	s_delay_alu instid0(VALU_DEP_1) | instskip(NEXT) | instid1(VALU_DEP_1)
	v_lshlrev_b64 v[30:31], 2, v[30:31]
	v_add_co_u32 v30, vcc_lo, v2, v30
	s_delay_alu instid0(VALU_DEP_2)
	v_add_co_ci_u32_e32 v31, vcc_lo, v4, v31, vcc_lo
	global_store_b32 v[30:31], v63, off
.LBB1101_131:
	s_or_b32 exec_lo, exec_lo, s16
	s_mov_b32 s16, 0
.LBB1101_132:
	s_delay_alu instid0(SALU_CYCLE_1)
	s_and_b32 vcc_lo, exec_lo, s16
	s_cbranch_vccz .LBB1101_142
; %bb.133:
	s_mov_b32 s15, exec_lo
	v_cmpx_gt_i16_e32 2, v29
	s_cbranch_execz .LBB1101_138
; %bb.134:
	s_mov_b32 s17, 0
	s_mov_b32 s16, exec_lo
	v_cmpx_ne_u16_e32 1, v29
	s_xor_b32 s16, exec_lo, s16
	s_cbranch_execnz .LBB1101_181
; %bb.135:
	s_and_not1_saveexec_b32 s0, s16
	s_cbranch_execnz .LBB1101_197
.LBB1101_136:
	s_or_b32 exec_lo, exec_lo, s0
	s_delay_alu instid0(SALU_CYCLE_1)
	s_and_b32 exec_lo, exec_lo, s17
	s_cbranch_execz .LBB1101_138
.LBB1101_137:
	v_sub_nc_u32_e32 v9, v49, v3
	s_delay_alu instid0(VALU_DEP_1)
	v_lshlrev_b32_e32 v9, 2, v9
	ds_store_b32 v9, v63
.LBB1101_138:
	s_or_b32 exec_lo, exec_lo, s15
	s_delay_alu instid0(SALU_CYCLE_1)
	s_mov_b32 s1, exec_lo
	s_waitcnt lgkmcnt(0)
	s_waitcnt_vscnt null, 0x0
	s_barrier
	buffer_gl0_inv
	v_cmpx_lt_u32_e64 v0, v1
	s_cbranch_execz .LBB1101_141
; %bb.139:
	v_dual_mov_b32 v10, 0 :: v_dual_lshlrev_b32 v11, 2, v0
	v_mov_b32_e32 v9, v0
	s_mov_b32 s2, 0
	.p2align	6
.LBB1101_140:                           ; =>This Inner Loop Header: Depth=1
	ds_load_b32 v14, v11
	v_lshlrev_b64 v[12:13], 2, v[9:10]
	v_add_nc_u32_e32 v9, 0x100, v9
	v_add_nc_u32_e32 v11, 0x400, v11
	s_delay_alu instid0(VALU_DEP_2) | instskip(NEXT) | instid1(VALU_DEP_4)
	v_cmp_ge_u32_e32 vcc_lo, v9, v1
	v_add_co_u32 v12, s0, v2, v12
	s_delay_alu instid0(VALU_DEP_1)
	v_add_co_ci_u32_e64 v13, s0, v4, v13, s0
	s_or_b32 s2, vcc_lo, s2
	s_waitcnt lgkmcnt(0)
	global_store_b32 v[12:13], v14, off
	s_and_not1_b32 exec_lo, exec_lo, s2
	s_cbranch_execnz .LBB1101_140
.LBB1101_141:
	s_or_b32 exec_lo, exec_lo, s1
.LBB1101_142:
	s_cmpk_lg_i32 s21, 0xf00
	v_cmp_eq_u32_e32 vcc_lo, 0, v0
	s_cselect_b32 s0, -1, 0
	v_cndmask_b32_e64 v4, 0, 1, s28
	s_and_b32 s0, s20, s0
	v_mad_i32_i24 v10, v0, -15, s21
	v_cndmask_b32_e64 v9, 0, 1, s0
	s_mul_hi_u32 s0, s21, 0x88888889
	s_and_b32 s1, vcc_lo, s28
	s_lshr_b32 s0, s0, 3
	v_sub_nc_u32_e32 v2, v1, v4
	v_cndmask_b32_e64 v11, v78, 0, s1
	v_cmp_eq_u32_e32 vcc_lo, s0, v0
	v_cmp_ne_u32_e64 s0, 0, v10
	s_mov_b32 s16, -1
	s_waitcnt_vscnt null, 0x0
	s_barrier
	s_and_b32 vcc_lo, s20, vcc_lo
	v_add_nc_u32_e32 v2, v2, v9
	v_cndmask_b32_e64 v9, 1, v11, s0
	v_cmp_ne_u32_e64 s0, 1, v10
	buffer_gl0_inv
	v_cndmask_b32_e64 v12, 1, v77, s0
	v_cmp_ne_u32_e64 s0, 14, v10
	s_delay_alu instid0(VALU_DEP_2) | instskip(NEXT) | instid1(VALU_DEP_2)
	v_cndmask_b32_e32 v17, v77, v12, vcc_lo
	v_cndmask_b32_e64 v13, 1, v69, s0
	v_cmp_ne_u32_e64 s0, 2, v10
	s_delay_alu instid0(VALU_DEP_3) | instskip(NEXT) | instid1(VALU_DEP_2)
	v_cmp_ne_u32_e64 s13, 0, v17
	v_cndmask_b32_e64 v14, 1, v76, s0
	v_cmp_ne_u32_e64 s0, 3, v10
	s_delay_alu instid0(VALU_DEP_2) | instskip(NEXT) | instid1(VALU_DEP_2)
	v_cndmask_b32_e32 v14, v76, v14, vcc_lo
	v_cndmask_b32_e64 v15, 1, v75, s0
	v_cmp_ne_u32_e64 s0, 4, v10
	v_cndmask_b32_e32 v16, v69, v13, vcc_lo
	v_cndmask_b32_e32 v13, v11, v9, vcc_lo
	v_cmp_ne_u32_e64 s12, 0, v14
	v_cndmask_b32_e32 v15, v75, v15, vcc_lo
	v_cndmask_b32_e64 v9, 1, v74, s0
	v_cmp_ne_u32_e64 s0, 5, v10
	v_cmp_ne_u32_e64 s14, 0, v13
	s_delay_alu instid0(VALU_DEP_4) | instskip(NEXT) | instid1(VALU_DEP_3)
	v_cmp_ne_u32_e64 s11, 0, v15
	v_cndmask_b32_e64 v11, 1, v73, s0
	v_cmp_eq_u32_e64 s0, 0, v13
	s_delay_alu instid0(VALU_DEP_2) | instskip(NEXT) | instid1(VALU_DEP_2)
	v_cndmask_b32_e32 v29, v73, v11, vcc_lo
	v_cndmask_b32_e64 v12, 1, 2, s0
	v_cmp_eq_u32_e64 s0, 0, v17
	s_delay_alu instid0(VALU_DEP_3) | instskip(NEXT) | instid1(VALU_DEP_2)
	v_cmp_ne_u32_e64 s9, 0, v29
	v_cndmask_b32_e64 v18, 1, 2, s0
	v_cmp_ne_u32_e64 s0, 6, v10
	s_delay_alu instid0(VALU_DEP_2) | instskip(NEXT) | instid1(VALU_DEP_2)
	v_and_b32_e32 v12, v18, v12
	v_cndmask_b32_e64 v19, 1, v72, s0
	v_cmp_eq_u32_e64 s0, 0, v14
	s_delay_alu instid0(VALU_DEP_1) | instskip(SKIP_1) | instid1(VALU_DEP_1)
	v_cndmask_b32_e64 v18, 1, 2, s0
	v_cmp_ne_u32_e64 s0, 7, v10
	v_cndmask_b32_e64 v20, 1, v71, s0
	v_cmp_ne_u32_e64 s0, 8, v10
	s_delay_alu instid0(VALU_DEP_2) | instskip(NEXT) | instid1(VALU_DEP_2)
	v_dual_cndmask_b32 v19, v72, v19 :: v_dual_cndmask_b32 v20, v71, v20
	v_cndmask_b32_e64 v21, 1, v70, s0
	v_cmp_eq_u32_e64 s0, 0, v15
	v_and_b32_e32 v12, v12, v18
	s_delay_alu instid0(VALU_DEP_4)
	v_cmp_ne_u32_e64 s8, 0, v19
	v_cmp_ne_u32_e64 s7, 0, v20
	v_cndmask_b32_e32 v21, v70, v21, vcc_lo
	v_cndmask_b32_e64 v18, 1, 2, s0
	v_cndmask_b32_e32 v22, v74, v9, vcc_lo
	v_cmp_ne_u32_e64 s0, 9, v10
	s_delay_alu instid0(VALU_DEP_4) | instskip(NEXT) | instid1(VALU_DEP_4)
	v_cmp_ne_u32_e64 s6, 0, v21
	v_and_b32_e32 v11, v12, v18
	s_delay_alu instid0(VALU_DEP_4) | instskip(NEXT) | instid1(VALU_DEP_4)
	v_cmp_ne_u32_e64 s10, 0, v22
	v_cndmask_b32_e64 v9, 1, v68, s0
	v_cmp_eq_u32_e64 s0, 0, v22
	s_delay_alu instid0(VALU_DEP_2) | instskip(NEXT) | instid1(VALU_DEP_2)
	v_cndmask_b32_e32 v33, v68, v9, vcc_lo
	v_cndmask_b32_e64 v12, 1, 2, s0
	v_cmp_ne_u32_e64 s0, 10, v10
	s_delay_alu instid0(VALU_DEP_1) | instskip(SKIP_1) | instid1(VALU_DEP_2)
	v_cndmask_b32_e64 v18, 1, v67, s0
	v_cmp_ne_u32_e64 s0, 12, v10
	v_cndmask_b32_e32 v18, v67, v18, vcc_lo
	s_delay_alu instid0(VALU_DEP_2) | instskip(SKIP_2) | instid1(VALU_DEP_4)
	v_cndmask_b32_e64 v30, 1, v65, s0
	v_cmp_eq_u32_e64 s0, 0, v29
	v_and_b32_e32 v11, v11, v12
	v_cmp_ne_u32_e64 s4, 0, v18
	s_delay_alu instid0(VALU_DEP_4) | instskip(NEXT) | instid1(VALU_DEP_4)
	v_cndmask_b32_e32 v30, v65, v30, vcc_lo
	v_cndmask_b32_e64 v12, 1, 2, s0
	v_cmp_ne_u32_e64 s0, 13, v10
	s_delay_alu instid0(VALU_DEP_3) | instskip(NEXT) | instid1(VALU_DEP_3)
	v_cmp_ne_u32_e64 s2, 0, v30
	v_and_b32_e32 v11, v11, v12
	s_delay_alu instid0(VALU_DEP_3) | instskip(SKIP_1) | instid1(VALU_DEP_2)
	v_cndmask_b32_e64 v31, 1, v64, s0
	v_cmp_eq_u32_e64 s0, 0, v19
	v_cndmask_b32_e32 v31, v64, v31, vcc_lo
	s_delay_alu instid0(VALU_DEP_2) | instskip(SKIP_1) | instid1(VALU_DEP_3)
	v_cndmask_b32_e64 v12, 1, 2, s0
	v_cmp_ne_u32_e64 s0, 11, v10
	v_cmp_ne_u32_e64 s1, 0, v31
	s_delay_alu instid0(VALU_DEP_2) | instskip(SKIP_1) | instid1(VALU_DEP_2)
	v_cndmask_b32_e64 v10, 1, v66, s0
	v_cmp_eq_u32_e64 s0, 0, v20
	v_dual_cndmask_b32 v32, v66, v10 :: v_dual_and_b32 v11, v11, v12
	s_delay_alu instid0(VALU_DEP_2) | instskip(SKIP_2) | instid1(VALU_DEP_4)
	v_cndmask_b32_e64 v12, 1, 2, s0
	v_cmp_eq_u32_e32 vcc_lo, 0, v21
	v_cmp_ne_u32_e64 s0, 0, v16
	v_cmp_ne_u32_e64 s3, 0, v32
	s_delay_alu instid0(VALU_DEP_4) | instskip(SKIP_4) | instid1(VALU_DEP_4)
	v_and_b32_e32 v9, v11, v12
	v_cndmask_b32_e64 v10, 1, 2, vcc_lo
	v_add_co_u32 v11, vcc_lo, s36, v25
	v_add_co_ci_u32_e32 v12, vcc_lo, s37, v26, vcc_lo
	v_cmp_eq_u32_e32 vcc_lo, 0, v33
	v_and_b32_e32 v25, v9, v10
	v_cndmask_b32_e64 v26, 1, 2, vcc_lo
	v_add_co_u32 v9, vcc_lo, v11, v27
	v_add_co_ci_u32_e32 v10, vcc_lo, v12, v28, vcc_lo
	v_lshlrev_b32_e32 v11, 2, v4
	v_cmp_eq_u32_e32 vcc_lo, 0, v18
	v_and_b32_e32 v12, v25, v26
	v_add_nc_u32_e32 v4, v3, v4
	v_cmp_ne_u32_e64 s5, 0, v33
	v_cndmask_b32_e64 v25, 1, 2, vcc_lo
	v_add_co_u32 v11, vcc_lo, v11, v9
	v_add_co_ci_u32_e32 v26, vcc_lo, 0, v10, vcc_lo
	v_cmp_eq_u32_e32 vcc_lo, 0, v32
	s_delay_alu instid0(VALU_DEP_4) | instskip(SKIP_4) | instid1(VALU_DEP_4)
	v_and_b32_e32 v25, v12, v25
	v_cndmask_b32_e64 v27, 1, 2, vcc_lo
	v_add_co_u32 v11, vcc_lo, v11, -4
	v_add_co_ci_u32_e32 v12, vcc_lo, -1, v26, vcc_lo
	v_cmp_eq_u32_e32 vcc_lo, 0, v30
	v_and_b32_e32 v25, v25, v27
	v_cndmask_b32_e64 v26, 1, 2, vcc_lo
	v_cmp_eq_u32_e32 vcc_lo, 0, v31
	s_delay_alu instid0(VALU_DEP_2) | instskip(SKIP_2) | instid1(VALU_DEP_2)
	v_and_b32_e32 v13, v25, v26
	v_cndmask_b32_e64 v14, 1, 2, vcc_lo
	v_cmp_eq_u32_e32 vcc_lo, 0, v16
	v_and_b32_e32 v13, v13, v14
	v_cndmask_b32_e64 v14, 1, 2, vcc_lo
	v_cmp_gt_u32_e32 vcc_lo, 0x100, v2
	s_delay_alu instid0(VALU_DEP_2) | instskip(NEXT) | instid1(VALU_DEP_1)
	v_and_b32_e32 v13, v13, v14
	v_cmp_gt_i16_e64 s15, 2, v13
	s_cbranch_vccnz .LBB1101_146
; %bb.143:
	s_and_b32 vcc_lo, exec_lo, s16
	s_cbranch_vccnz .LBB1101_152
.LBB1101_144:
	v_cmp_eq_u32_e32 vcc_lo, 0xff, v0
	s_and_b32 s0, vcc_lo, s20
	s_delay_alu instid0(SALU_CYCLE_1)
	s_and_saveexec_b32 s1, s0
	s_cbranch_execnz .LBB1101_161
.LBB1101_145:
	s_nop 0
	s_sendmsg sendmsg(MSG_DEALLOC_VGPRS)
	s_endpgm
.LBB1101_146:
	s_delay_alu instid0(VALU_DEP_1)
	s_and_saveexec_b32 s16, s15
	s_cbranch_execz .LBB1101_151
; %bb.147:
	s_mov_b32 s17, 0
	s_mov_b32 s15, exec_lo
	v_cmpx_ne_u16_e32 1, v13
	s_xor_b32 s15, exec_lo, s15
	s_cbranch_execnz .LBB1101_198
; %bb.148:
	s_and_not1_saveexec_b32 s15, s15
	s_cbranch_execnz .LBB1101_214
.LBB1101_149:
	s_or_b32 exec_lo, exec_lo, s15
	s_delay_alu instid0(SALU_CYCLE_1)
	s_and_b32 exec_lo, exec_lo, s17
	s_cbranch_execz .LBB1101_151
.LBB1101_150:
	v_sub_nc_u32_e32 v14, v49, v4
	v_mov_b32_e32 v15, 0
	s_delay_alu instid0(VALU_DEP_1) | instskip(NEXT) | instid1(VALU_DEP_1)
	v_lshlrev_b64 v[14:15], 2, v[14:15]
	v_add_co_u32 v14, vcc_lo, v11, v14
	s_delay_alu instid0(VALU_DEP_2)
	v_add_co_ci_u32_e32 v15, vcc_lo, v12, v15, vcc_lo
	global_store_b32 v[14:15], v50, off
.LBB1101_151:
	s_or_b32 exec_lo, exec_lo, s16
	s_branch .LBB1101_144
.LBB1101_152:
	s_mov_b32 s15, exec_lo
	v_cmpx_gt_i16_e32 2, v13
	s_cbranch_execz .LBB1101_157
; %bb.153:
	s_mov_b32 s17, 0
	s_mov_b32 s16, exec_lo
	v_cmpx_ne_u16_e32 1, v13
	s_xor_b32 s16, exec_lo, s16
	s_cbranch_execnz .LBB1101_215
; %bb.154:
	s_and_not1_saveexec_b32 s0, s16
	s_cbranch_execnz .LBB1101_231
.LBB1101_155:
	s_or_b32 exec_lo, exec_lo, s0
	s_delay_alu instid0(SALU_CYCLE_1)
	s_and_b32 exec_lo, exec_lo, s17
	s_cbranch_execz .LBB1101_157
.LBB1101_156:
	v_sub_nc_u32_e32 v4, v49, v4
	s_delay_alu instid0(VALU_DEP_1)
	v_lshlrev_b32_e32 v4, 2, v4
	ds_store_b32 v4, v50
.LBB1101_157:
	s_or_b32 exec_lo, exec_lo, s15
	s_delay_alu instid0(SALU_CYCLE_1)
	s_mov_b32 s1, exec_lo
	s_waitcnt lgkmcnt(0)
	s_waitcnt_vscnt null, 0x0
	s_barrier
	buffer_gl0_inv
	v_cmpx_lt_u32_e64 v0, v2
	s_cbranch_execz .LBB1101_160
; %bb.158:
	v_dual_mov_b32 v5, 0 :: v_dual_lshlrev_b32 v6, 2, v0
	v_mov_b32_e32 v4, v0
	s_mov_b32 s2, 0
	.p2align	6
.LBB1101_159:                           ; =>This Inner Loop Header: Depth=1
	ds_load_b32 v13, v6
	v_lshlrev_b64 v[7:8], 2, v[4:5]
	v_add_nc_u32_e32 v4, 0x100, v4
	v_add_nc_u32_e32 v6, 0x400, v6
	s_delay_alu instid0(VALU_DEP_2) | instskip(NEXT) | instid1(VALU_DEP_4)
	v_cmp_ge_u32_e32 vcc_lo, v4, v2
	v_add_co_u32 v7, s0, v11, v7
	s_delay_alu instid0(VALU_DEP_1)
	v_add_co_ci_u32_e64 v8, s0, v12, v8, s0
	s_or_b32 s2, vcc_lo, s2
	s_waitcnt lgkmcnt(0)
	global_store_b32 v[7:8], v13, off
	s_and_not1_b32 exec_lo, exec_lo, s2
	s_cbranch_execnz .LBB1101_159
.LBB1101_160:
	s_or_b32 exec_lo, exec_lo, s1
	v_cmp_eq_u32_e32 vcc_lo, 0xff, v0
	s_and_b32 s0, vcc_lo, s20
	s_delay_alu instid0(SALU_CYCLE_1)
	s_and_saveexec_b32 s1, s0
	s_cbranch_execz .LBB1101_145
.LBB1101_161:
	v_add_co_u32 v0, s0, v1, v3
	s_delay_alu instid0(VALU_DEP_1) | instskip(SKIP_1) | instid1(VALU_DEP_3)
	v_add_co_ci_u32_e64 v4, null, 0, 0, s0
	v_mov_b32_e32 v2, 0
	v_add_co_u32 v3, vcc_lo, v0, v23
	s_delay_alu instid0(VALU_DEP_3)
	v_add_co_ci_u32_e32 v4, vcc_lo, v4, v24, vcc_lo
	s_cmpk_lg_i32 s21, 0xf00
	global_store_b64 v2, v[3:4], s[38:39]
	s_cbranch_scc1 .LBB1101_145
; %bb.162:
	v_lshlrev_b64 v[0:1], 2, v[1:2]
	s_delay_alu instid0(VALU_DEP_1) | instskip(NEXT) | instid1(VALU_DEP_2)
	v_add_co_u32 v0, vcc_lo, v9, v0
	v_add_co_ci_u32_e32 v1, vcc_lo, v10, v1, vcc_lo
	global_store_b32 v[0:1], v80, off offset:-4
	s_nop 0
	s_sendmsg sendmsg(MSG_DEALLOC_VGPRS)
	s_endpgm
.LBB1101_163:
	s_or_b32 exec_lo, exec_lo, s2
	v_mov_b32_e32 v78, s1
	s_and_saveexec_b32 s1, s30
	s_cbranch_execnz .LBB1101_84
	s_branch .LBB1101_85
.LBB1101_164:
	s_and_saveexec_b32 s17, s14
	s_cbranch_execnz .LBB1101_232
; %bb.165:
	s_or_b32 exec_lo, exec_lo, s17
	s_and_saveexec_b32 s17, s13
	s_cbranch_execnz .LBB1101_233
.LBB1101_166:
	s_or_b32 exec_lo, exec_lo, s17
	s_and_saveexec_b32 s17, s12
	s_cbranch_execnz .LBB1101_234
.LBB1101_167:
	s_or_b32 exec_lo, exec_lo, s17
	s_and_saveexec_b32 s17, s11
	s_cbranch_execnz .LBB1101_235
.LBB1101_168:
	s_or_b32 exec_lo, exec_lo, s17
	s_and_saveexec_b32 s17, s10
	s_cbranch_execnz .LBB1101_236
.LBB1101_169:
	s_or_b32 exec_lo, exec_lo, s17
	s_and_saveexec_b32 s17, s9
	s_cbranch_execnz .LBB1101_237
.LBB1101_170:
	s_or_b32 exec_lo, exec_lo, s17
	s_and_saveexec_b32 s17, s7
	s_cbranch_execnz .LBB1101_238
.LBB1101_171:
	s_or_b32 exec_lo, exec_lo, s17
	s_and_saveexec_b32 s17, s5
	s_cbranch_execnz .LBB1101_239
.LBB1101_172:
	s_or_b32 exec_lo, exec_lo, s17
	s_and_saveexec_b32 s17, s8
	s_cbranch_execnz .LBB1101_240
.LBB1101_173:
	s_or_b32 exec_lo, exec_lo, s17
	s_and_saveexec_b32 s17, s6
	s_cbranch_execnz .LBB1101_241
.LBB1101_174:
	s_or_b32 exec_lo, exec_lo, s17
	s_and_saveexec_b32 s17, s4
	s_cbranch_execnz .LBB1101_242
.LBB1101_175:
	s_or_b32 exec_lo, exec_lo, s17
	s_and_saveexec_b32 s17, s3
	s_cbranch_execnz .LBB1101_243
.LBB1101_176:
	s_or_b32 exec_lo, exec_lo, s17
	s_and_saveexec_b32 s17, s2
	s_cbranch_execnz .LBB1101_244
.LBB1101_177:
	s_or_b32 exec_lo, exec_lo, s17
	s_and_saveexec_b32 s17, s1
	s_cbranch_execz .LBB1101_179
.LBB1101_178:
	v_sub_nc_u32_e32 v30, v57, v3
	v_mov_b32_e32 v31, 0
	s_delay_alu instid0(VALU_DEP_1) | instskip(NEXT) | instid1(VALU_DEP_1)
	v_lshlrev_b64 v[30:31], 2, v[30:31]
	v_add_co_u32 v30, vcc_lo, v2, v30
	s_delay_alu instid0(VALU_DEP_2)
	v_add_co_ci_u32_e32 v31, vcc_lo, v4, v31, vcc_lo
	global_store_b32 v[30:31], v10, off
.LBB1101_179:
	s_or_b32 exec_lo, exec_lo, s17
	s_delay_alu instid0(SALU_CYCLE_1)
	s_and_b32 s17, s0, exec_lo
	s_and_not1_saveexec_b32 s15, s15
	s_cbranch_execz .LBB1101_129
.LBB1101_180:
	v_sub_nc_u32_e32 v30, v53, v3
	v_mov_b32_e32 v31, 0
	s_or_b32 s17, s17, exec_lo
	s_delay_alu instid0(VALU_DEP_1) | instskip(SKIP_1) | instid1(VALU_DEP_1)
	v_lshlrev_b64 v[32:33], 2, v[30:31]
	v_sub_nc_u32_e32 v30, v59, v3
	v_lshlrev_b64 v[34:35], 2, v[30:31]
	v_sub_nc_u32_e32 v30, v55, v3
	s_delay_alu instid0(VALU_DEP_4) | instskip(SKIP_1) | instid1(VALU_DEP_3)
	v_add_co_u32 v32, vcc_lo, v2, v32
	v_add_co_ci_u32_e32 v33, vcc_lo, v4, v33, vcc_lo
	v_lshlrev_b64 v[81:82], 2, v[30:31]
	v_sub_nc_u32_e32 v30, v51, v3
	v_add_co_u32 v34, vcc_lo, v2, v34
	v_add_co_ci_u32_e32 v35, vcc_lo, v4, v35, vcc_lo
	global_store_b32 v[32:33], v21, off
	v_lshlrev_b64 v[32:33], 2, v[30:31]
	v_sub_nc_u32_e32 v30, v45, v3
	global_store_b32 v[34:35], v22, off
	v_add_co_u32 v34, vcc_lo, v2, v81
	v_add_co_ci_u32_e32 v35, vcc_lo, v4, v82, vcc_lo
	v_lshlrev_b64 v[81:82], 2, v[30:31]
	v_sub_nc_u32_e32 v30, v41, v3
	v_add_co_u32 v32, vcc_lo, v2, v32
	v_add_co_ci_u32_e32 v33, vcc_lo, v4, v33, vcc_lo
	s_delay_alu instid0(VALU_DEP_3) | instskip(SKIP_3) | instid1(VALU_DEP_3)
	v_lshlrev_b64 v[83:84], 2, v[30:31]
	v_sub_nc_u32_e32 v30, v39, v3
	v_add_co_u32 v81, vcc_lo, v2, v81
	v_add_co_ci_u32_e32 v82, vcc_lo, v4, v82, vcc_lo
	v_lshlrev_b64 v[85:86], 2, v[30:31]
	v_sub_nc_u32_e32 v30, v43, v3
	v_add_co_u32 v83, vcc_lo, v2, v83
	v_add_co_ci_u32_e32 v84, vcc_lo, v4, v84, vcc_lo
	s_clause 0x3
	global_store_b32 v[34:35], v19, off
	global_store_b32 v[32:33], v20, off
	;; [unrolled: 1-line block ×4, first 2 shown]
	v_lshlrev_b64 v[32:33], 2, v[30:31]
	v_sub_nc_u32_e32 v30, v47, v3
	v_add_co_u32 v34, vcc_lo, v2, v85
	v_add_co_ci_u32_e32 v35, vcc_lo, v4, v86, vcc_lo
	s_delay_alu instid0(VALU_DEP_3) | instskip(SKIP_3) | instid1(VALU_DEP_3)
	v_lshlrev_b64 v[81:82], 2, v[30:31]
	v_sub_nc_u32_e32 v30, v5, v3
	v_add_co_u32 v32, vcc_lo, v2, v32
	v_add_co_ci_u32_e32 v33, vcc_lo, v4, v33, vcc_lo
	v_lshlrev_b64 v[83:84], 2, v[30:31]
	v_sub_nc_u32_e32 v30, v7, v3
	v_add_co_u32 v81, vcc_lo, v2, v81
	v_add_co_ci_u32_e32 v82, vcc_lo, v4, v82, vcc_lo
	s_delay_alu instid0(VALU_DEP_3)
	v_lshlrev_b64 v[85:86], 2, v[30:31]
	v_sub_nc_u32_e32 v30, v37, v3
	v_add_co_u32 v83, vcc_lo, v2, v83
	v_add_co_ci_u32_e32 v84, vcc_lo, v4, v84, vcc_lo
	s_clause 0x3
	global_store_b32 v[34:35], v15, off
	global_store_b32 v[32:33], v16, off
	;; [unrolled: 1-line block ×4, first 2 shown]
	v_lshlrev_b64 v[32:33], 2, v[30:31]
	v_sub_nc_u32_e32 v30, v61, v3
	v_add_co_u32 v34, vcc_lo, v2, v85
	v_add_co_ci_u32_e32 v35, vcc_lo, v4, v86, vcc_lo
	s_delay_alu instid0(VALU_DEP_3) | instskip(SKIP_3) | instid1(VALU_DEP_3)
	v_lshlrev_b64 v[81:82], 2, v[30:31]
	v_sub_nc_u32_e32 v30, v57, v3
	v_add_co_u32 v32, vcc_lo, v2, v32
	v_add_co_ci_u32_e32 v33, vcc_lo, v4, v33, vcc_lo
	v_lshlrev_b64 v[30:31], 2, v[30:31]
	v_add_co_u32 v81, vcc_lo, v2, v81
	v_add_co_ci_u32_e32 v82, vcc_lo, v4, v82, vcc_lo
	s_clause 0x2
	global_store_b32 v[34:35], v11, off
	global_store_b32 v[32:33], v12, off
	;; [unrolled: 1-line block ×3, first 2 shown]
	v_add_co_u32 v30, vcc_lo, v2, v30
	v_add_co_ci_u32_e32 v31, vcc_lo, v4, v31, vcc_lo
	global_store_b32 v[30:31], v10, off
	s_or_b32 exec_lo, exec_lo, s15
	s_delay_alu instid0(SALU_CYCLE_1)
	s_and_b32 exec_lo, exec_lo, s17
	s_cbranch_execnz .LBB1101_130
	s_branch .LBB1101_131
.LBB1101_181:
	s_and_saveexec_b32 s17, s14
	s_cbranch_execnz .LBB1101_245
; %bb.182:
	s_or_b32 exec_lo, exec_lo, s17
	s_and_saveexec_b32 s14, s13
	s_cbranch_execnz .LBB1101_246
.LBB1101_183:
	s_or_b32 exec_lo, exec_lo, s14
	s_and_saveexec_b32 s13, s12
	s_cbranch_execnz .LBB1101_247
.LBB1101_184:
	s_or_b32 exec_lo, exec_lo, s13
	s_and_saveexec_b32 s12, s11
	s_cbranch_execnz .LBB1101_248
.LBB1101_185:
	s_or_b32 exec_lo, exec_lo, s12
	s_and_saveexec_b32 s11, s10
	s_cbranch_execnz .LBB1101_249
.LBB1101_186:
	s_or_b32 exec_lo, exec_lo, s11
	s_and_saveexec_b32 s10, s9
	s_cbranch_execnz .LBB1101_250
.LBB1101_187:
	s_or_b32 exec_lo, exec_lo, s10
	s_and_saveexec_b32 s9, s7
	s_cbranch_execnz .LBB1101_251
.LBB1101_188:
	s_or_b32 exec_lo, exec_lo, s9
	s_and_saveexec_b32 s7, s5
	s_cbranch_execnz .LBB1101_252
.LBB1101_189:
	s_or_b32 exec_lo, exec_lo, s7
	s_and_saveexec_b32 s5, s8
	s_cbranch_execnz .LBB1101_253
.LBB1101_190:
	s_or_b32 exec_lo, exec_lo, s5
	s_and_saveexec_b32 s5, s6
	s_cbranch_execnz .LBB1101_254
.LBB1101_191:
	s_or_b32 exec_lo, exec_lo, s5
	s_and_saveexec_b32 s5, s4
	s_cbranch_execnz .LBB1101_255
.LBB1101_192:
	s_or_b32 exec_lo, exec_lo, s5
	s_and_saveexec_b32 s4, s3
	s_cbranch_execnz .LBB1101_256
.LBB1101_193:
	s_or_b32 exec_lo, exec_lo, s4
	s_and_saveexec_b32 s3, s2
	s_cbranch_execnz .LBB1101_257
.LBB1101_194:
	s_or_b32 exec_lo, exec_lo, s3
	s_and_saveexec_b32 s2, s1
	s_cbranch_execz .LBB1101_196
.LBB1101_195:
	v_sub_nc_u32_e32 v9, v57, v3
	s_delay_alu instid0(VALU_DEP_1)
	v_lshlrev_b32_e32 v9, 2, v9
	ds_store_b32 v9, v10
.LBB1101_196:
	s_or_b32 exec_lo, exec_lo, s2
	s_delay_alu instid0(SALU_CYCLE_1)
	s_and_b32 s17, s0, exec_lo
                                        ; implicit-def: $vgpr21
                                        ; implicit-def: $vgpr19
                                        ; implicit-def: $vgpr17
                                        ; implicit-def: $vgpr15
                                        ; implicit-def: $vgpr13
                                        ; implicit-def: $vgpr11
                                        ; implicit-def: $vgpr9
	s_and_not1_saveexec_b32 s0, s16
	s_cbranch_execz .LBB1101_136
.LBB1101_197:
	v_sub_nc_u32_e32 v29, v53, v3
	v_sub_nc_u32_e32 v32, v51, v3
	;; [unrolled: 1-line block ×4, first 2 shown]
	s_or_b32 s17, s17, exec_lo
	v_lshlrev_b32_e32 v29, 2, v29
	v_lshlrev_b32_e32 v32, 2, v32
	;; [unrolled: 1-line block ×4, first 2 shown]
	ds_store_b32 v29, v21
	ds_store_b32 v30, v22
	;; [unrolled: 1-line block ×3, first 2 shown]
	v_sub_nc_u32_e32 v19, v45, v3
	ds_store_b32 v32, v20
	v_sub_nc_u32_e32 v20, v41, v3
	v_sub_nc_u32_e32 v21, v39, v3
	;; [unrolled: 1-line block ×3, first 2 shown]
	v_lshlrev_b32_e32 v19, 2, v19
	v_sub_nc_u32_e32 v29, v47, v3
	v_lshlrev_b32_e32 v20, 2, v20
	v_lshlrev_b32_e32 v21, 2, v21
	;; [unrolled: 1-line block ×3, first 2 shown]
	ds_store_b32 v19, v17
	v_lshlrev_b32_e32 v17, 2, v29
	ds_store_b32 v20, v18
	ds_store_b32 v21, v15
	;; [unrolled: 1-line block ×3, first 2 shown]
	v_sub_nc_u32_e32 v15, v5, v3
	v_sub_nc_u32_e32 v18, v57, v3
	;; [unrolled: 1-line block ×3, first 2 shown]
	ds_store_b32 v17, v13
	v_sub_nc_u32_e32 v13, v7, v3
	v_lshlrev_b32_e32 v15, 2, v15
	v_sub_nc_u32_e32 v17, v61, v3
	v_lshlrev_b32_e32 v16, 2, v16
	s_delay_alu instid0(VALU_DEP_4)
	v_lshlrev_b32_e32 v13, 2, v13
	ds_store_b32 v15, v14
	v_lshlrev_b32_e32 v14, 2, v18
	v_lshlrev_b32_e32 v17, 2, v17
	ds_store_b32 v13, v11
	ds_store_b32 v16, v12
	ds_store_b32 v17, v9
	ds_store_b32 v14, v10
	s_or_b32 exec_lo, exec_lo, s0
	s_delay_alu instid0(SALU_CYCLE_1)
	s_and_b32 exec_lo, exec_lo, s17
	s_cbranch_execnz .LBB1101_137
	s_branch .LBB1101_138
.LBB1101_198:
	s_and_saveexec_b32 s17, s14
	s_cbranch_execnz .LBB1101_258
; %bb.199:
	s_or_b32 exec_lo, exec_lo, s17
	s_and_saveexec_b32 s17, s13
	s_cbranch_execnz .LBB1101_259
.LBB1101_200:
	s_or_b32 exec_lo, exec_lo, s17
	s_and_saveexec_b32 s17, s12
	s_cbranch_execnz .LBB1101_260
.LBB1101_201:
	s_or_b32 exec_lo, exec_lo, s17
	s_and_saveexec_b32 s17, s11
	s_cbranch_execnz .LBB1101_261
.LBB1101_202:
	s_or_b32 exec_lo, exec_lo, s17
	s_and_saveexec_b32 s17, s10
	s_cbranch_execnz .LBB1101_262
.LBB1101_203:
	s_or_b32 exec_lo, exec_lo, s17
	s_and_saveexec_b32 s17, s9
	s_cbranch_execnz .LBB1101_263
.LBB1101_204:
	s_or_b32 exec_lo, exec_lo, s17
	s_and_saveexec_b32 s17, s8
	s_cbranch_execnz .LBB1101_264
.LBB1101_205:
	s_or_b32 exec_lo, exec_lo, s17
	s_and_saveexec_b32 s17, s7
	s_cbranch_execnz .LBB1101_265
.LBB1101_206:
	s_or_b32 exec_lo, exec_lo, s17
	s_and_saveexec_b32 s17, s6
	s_cbranch_execnz .LBB1101_266
.LBB1101_207:
	s_or_b32 exec_lo, exec_lo, s17
	s_and_saveexec_b32 s17, s5
	s_cbranch_execnz .LBB1101_267
.LBB1101_208:
	s_or_b32 exec_lo, exec_lo, s17
	s_and_saveexec_b32 s17, s4
	s_cbranch_execnz .LBB1101_268
.LBB1101_209:
	s_or_b32 exec_lo, exec_lo, s17
	s_and_saveexec_b32 s17, s3
	s_cbranch_execnz .LBB1101_269
.LBB1101_210:
	s_or_b32 exec_lo, exec_lo, s17
	s_and_saveexec_b32 s17, s2
	s_cbranch_execnz .LBB1101_270
.LBB1101_211:
	s_or_b32 exec_lo, exec_lo, s17
	s_and_saveexec_b32 s17, s1
	s_cbranch_execz .LBB1101_213
.LBB1101_212:
	v_sub_nc_u32_e32 v14, v57, v4
	v_mov_b32_e32 v15, 0
	s_delay_alu instid0(VALU_DEP_1) | instskip(NEXT) | instid1(VALU_DEP_1)
	v_lshlrev_b64 v[14:15], 2, v[14:15]
	v_add_co_u32 v14, vcc_lo, v11, v14
	s_delay_alu instid0(VALU_DEP_2)
	v_add_co_ci_u32_e32 v15, vcc_lo, v12, v15, vcc_lo
	global_store_b32 v[14:15], v58, off
.LBB1101_213:
	s_or_b32 exec_lo, exec_lo, s17
	s_delay_alu instid0(SALU_CYCLE_1)
	s_and_b32 s17, s0, exec_lo
	s_and_not1_saveexec_b32 s15, s15
	s_cbranch_execz .LBB1101_149
.LBB1101_214:
	v_sub_nc_u32_e32 v14, v53, v4
	v_mov_b32_e32 v15, 0
	s_or_b32 s17, s17, exec_lo
	s_delay_alu instid0(VALU_DEP_1) | instskip(SKIP_1) | instid1(VALU_DEP_1)
	v_lshlrev_b64 v[16:17], 2, v[14:15]
	v_sub_nc_u32_e32 v14, v59, v4
	v_lshlrev_b64 v[18:19], 2, v[14:15]
	v_sub_nc_u32_e32 v14, v55, v4
	s_delay_alu instid0(VALU_DEP_4) | instskip(SKIP_1) | instid1(VALU_DEP_3)
	v_add_co_u32 v16, vcc_lo, v11, v16
	v_add_co_ci_u32_e32 v17, vcc_lo, v12, v17, vcc_lo
	v_lshlrev_b64 v[20:21], 2, v[14:15]
	v_sub_nc_u32_e32 v14, v51, v4
	v_add_co_u32 v18, vcc_lo, v11, v18
	v_add_co_ci_u32_e32 v19, vcc_lo, v12, v19, vcc_lo
	global_store_b32 v[16:17], v54, off
	v_lshlrev_b64 v[16:17], 2, v[14:15]
	v_sub_nc_u32_e32 v14, v45, v4
	global_store_b32 v[18:19], v60, off
	v_add_co_u32 v18, vcc_lo, v11, v20
	v_add_co_ci_u32_e32 v19, vcc_lo, v12, v21, vcc_lo
	v_lshlrev_b64 v[20:21], 2, v[14:15]
	v_sub_nc_u32_e32 v14, v41, v4
	v_add_co_u32 v16, vcc_lo, v11, v16
	v_add_co_ci_u32_e32 v17, vcc_lo, v12, v17, vcc_lo
	s_delay_alu instid0(VALU_DEP_3) | instskip(SKIP_3) | instid1(VALU_DEP_3)
	v_lshlrev_b64 v[25:26], 2, v[14:15]
	v_sub_nc_u32_e32 v14, v39, v4
	v_add_co_u32 v20, vcc_lo, v11, v20
	v_add_co_ci_u32_e32 v21, vcc_lo, v12, v21, vcc_lo
	v_lshlrev_b64 v[27:28], 2, v[14:15]
	v_sub_nc_u32_e32 v14, v43, v4
	v_add_co_u32 v25, vcc_lo, v11, v25
	v_add_co_ci_u32_e32 v26, vcc_lo, v12, v26, vcc_lo
	s_clause 0x3
	global_store_b32 v[18:19], v56, off
	global_store_b32 v[16:17], v52, off
	global_store_b32 v[20:21], v46, off
	global_store_b32 v[25:26], v42, off
	v_lshlrev_b64 v[16:17], 2, v[14:15]
	v_sub_nc_u32_e32 v14, v47, v4
	v_add_co_u32 v18, vcc_lo, v11, v27
	v_add_co_ci_u32_e32 v19, vcc_lo, v12, v28, vcc_lo
	s_delay_alu instid0(VALU_DEP_3) | instskip(SKIP_3) | instid1(VALU_DEP_3)
	v_lshlrev_b64 v[20:21], 2, v[14:15]
	v_sub_nc_u32_e32 v14, v5, v4
	v_add_co_u32 v16, vcc_lo, v11, v16
	v_add_co_ci_u32_e32 v17, vcc_lo, v12, v17, vcc_lo
	v_lshlrev_b64 v[25:26], 2, v[14:15]
	v_sub_nc_u32_e32 v14, v7, v4
	v_add_co_u32 v20, vcc_lo, v11, v20
	v_add_co_ci_u32_e32 v21, vcc_lo, v12, v21, vcc_lo
	s_delay_alu instid0(VALU_DEP_3)
	v_lshlrev_b64 v[27:28], 2, v[14:15]
	v_sub_nc_u32_e32 v14, v37, v4
	v_add_co_u32 v25, vcc_lo, v11, v25
	v_add_co_ci_u32_e32 v26, vcc_lo, v12, v26, vcc_lo
	s_clause 0x3
	global_store_b32 v[18:19], v40, off
	global_store_b32 v[16:17], v44, off
	;; [unrolled: 1-line block ×4, first 2 shown]
	v_lshlrev_b64 v[16:17], 2, v[14:15]
	v_sub_nc_u32_e32 v14, v61, v4
	v_add_co_u32 v18, vcc_lo, v11, v27
	v_add_co_ci_u32_e32 v19, vcc_lo, v12, v28, vcc_lo
	s_delay_alu instid0(VALU_DEP_3) | instskip(SKIP_3) | instid1(VALU_DEP_3)
	v_lshlrev_b64 v[20:21], 2, v[14:15]
	v_sub_nc_u32_e32 v14, v57, v4
	v_add_co_u32 v16, vcc_lo, v11, v16
	v_add_co_ci_u32_e32 v17, vcc_lo, v12, v17, vcc_lo
	v_lshlrev_b64 v[14:15], 2, v[14:15]
	v_add_co_u32 v20, vcc_lo, v11, v20
	v_add_co_ci_u32_e32 v21, vcc_lo, v12, v21, vcc_lo
	s_clause 0x2
	global_store_b32 v[18:19], v8, off
	global_store_b32 v[16:17], v38, off
	;; [unrolled: 1-line block ×3, first 2 shown]
	v_add_co_u32 v14, vcc_lo, v11, v14
	v_add_co_ci_u32_e32 v15, vcc_lo, v12, v15, vcc_lo
	global_store_b32 v[14:15], v58, off
	s_or_b32 exec_lo, exec_lo, s15
	s_delay_alu instid0(SALU_CYCLE_1)
	s_and_b32 exec_lo, exec_lo, s17
	s_cbranch_execnz .LBB1101_150
	s_branch .LBB1101_151
.LBB1101_215:
	s_and_saveexec_b32 s17, s14
	s_cbranch_execnz .LBB1101_271
; %bb.216:
	s_or_b32 exec_lo, exec_lo, s17
	s_and_saveexec_b32 s14, s13
	s_cbranch_execnz .LBB1101_272
.LBB1101_217:
	s_or_b32 exec_lo, exec_lo, s14
	s_and_saveexec_b32 s13, s12
	s_cbranch_execnz .LBB1101_273
.LBB1101_218:
	s_or_b32 exec_lo, exec_lo, s13
	s_and_saveexec_b32 s12, s11
	s_cbranch_execnz .LBB1101_274
.LBB1101_219:
	s_or_b32 exec_lo, exec_lo, s12
	s_and_saveexec_b32 s11, s10
	s_cbranch_execnz .LBB1101_275
.LBB1101_220:
	s_or_b32 exec_lo, exec_lo, s11
	s_and_saveexec_b32 s10, s9
	s_cbranch_execnz .LBB1101_276
.LBB1101_221:
	s_or_b32 exec_lo, exec_lo, s10
	s_and_saveexec_b32 s9, s8
	s_cbranch_execnz .LBB1101_277
.LBB1101_222:
	s_or_b32 exec_lo, exec_lo, s9
	s_and_saveexec_b32 s8, s7
	s_cbranch_execnz .LBB1101_278
.LBB1101_223:
	s_or_b32 exec_lo, exec_lo, s8
	s_and_saveexec_b32 s7, s6
	s_cbranch_execnz .LBB1101_279
.LBB1101_224:
	s_or_b32 exec_lo, exec_lo, s7
	s_and_saveexec_b32 s6, s5
	s_cbranch_execnz .LBB1101_280
.LBB1101_225:
	s_or_b32 exec_lo, exec_lo, s6
	s_and_saveexec_b32 s5, s4
	s_cbranch_execnz .LBB1101_281
.LBB1101_226:
	s_or_b32 exec_lo, exec_lo, s5
	s_and_saveexec_b32 s4, s3
	s_cbranch_execnz .LBB1101_282
.LBB1101_227:
	s_or_b32 exec_lo, exec_lo, s4
	s_and_saveexec_b32 s3, s2
	s_cbranch_execnz .LBB1101_283
.LBB1101_228:
	s_or_b32 exec_lo, exec_lo, s3
	s_and_saveexec_b32 s2, s1
	s_cbranch_execz .LBB1101_230
.LBB1101_229:
	v_sub_nc_u32_e32 v5, v57, v4
	s_delay_alu instid0(VALU_DEP_1)
	v_lshlrev_b32_e32 v5, 2, v5
	ds_store_b32 v5, v58
.LBB1101_230:
	s_or_b32 exec_lo, exec_lo, s2
	s_delay_alu instid0(SALU_CYCLE_1)
	s_and_b32 s17, s0, exec_lo
                                        ; implicit-def: $vgpr53_vgpr54
                                        ; implicit-def: $vgpr59_vgpr60
                                        ; implicit-def: $vgpr55_vgpr56
                                        ; implicit-def: $vgpr51_vgpr52
                                        ; implicit-def: $vgpr45_vgpr46
                                        ; implicit-def: $vgpr41_vgpr42
                                        ; implicit-def: $vgpr39_vgpr40
                                        ; implicit-def: $vgpr43_vgpr44
                                        ; implicit-def: $vgpr47_vgpr48
                                        ; implicit-def: $vgpr5_vgpr6
                                        ; implicit-def: $vgpr7_vgpr8
                                        ; implicit-def: $vgpr37_vgpr38
                                        ; implicit-def: $vgpr61_vgpr62
                                        ; implicit-def: $vgpr57_vgpr58
	s_and_not1_saveexec_b32 s0, s16
	s_cbranch_execz .LBB1101_155
.LBB1101_231:
	v_sub_nc_u32_e32 v13, v53, v4
	v_sub_nc_u32_e32 v14, v59, v4
	;; [unrolled: 1-line block ×5, first 2 shown]
	v_lshlrev_b32_e32 v13, 2, v13
	v_lshlrev_b32_e32 v14, 2, v14
	;; [unrolled: 1-line block ×4, first 2 shown]
	v_sub_nc_u32_e32 v5, v5, v4
	ds_store_b32 v13, v54
	ds_store_b32 v14, v60
	;; [unrolled: 1-line block ×3, first 2 shown]
	v_sub_nc_u32_e32 v13, v45, v4
	v_sub_nc_u32_e32 v14, v41, v4
	;; [unrolled: 1-line block ×3, first 2 shown]
	ds_store_b32 v16, v52
	v_sub_nc_u32_e32 v16, v43, v4
	v_lshlrev_b32_e32 v13, 2, v13
	v_lshlrev_b32_e32 v14, 2, v14
	;; [unrolled: 1-line block ×3, first 2 shown]
	v_sub_nc_u32_e32 v7, v7, v4
	v_lshlrev_b32_e32 v16, 2, v16
	ds_store_b32 v13, v46
	v_lshlrev_b32_e32 v13, 2, v17
	ds_store_b32 v14, v42
	ds_store_b32 v15, v40
	;; [unrolled: 1-line block ×3, first 2 shown]
	v_lshlrev_b32_e32 v5, 2, v5
	v_sub_nc_u32_e32 v15, v57, v4
	v_sub_nc_u32_e32 v14, v61, v4
	ds_store_b32 v13, v48
	v_sub_nc_u32_e32 v13, v37, v4
	v_lshlrev_b32_e32 v7, 2, v7
	ds_store_b32 v5, v6
	v_lshlrev_b32_e32 v5, 2, v15
	v_lshlrev_b32_e32 v14, 2, v14
	;; [unrolled: 1-line block ×3, first 2 shown]
	s_or_b32 s17, s17, exec_lo
	ds_store_b32 v7, v8
	ds_store_b32 v13, v38
	;; [unrolled: 1-line block ×4, first 2 shown]
	s_or_b32 exec_lo, exec_lo, s0
	s_delay_alu instid0(SALU_CYCLE_1)
	s_and_b32 exec_lo, exec_lo, s17
	s_cbranch_execnz .LBB1101_156
	s_branch .LBB1101_157
.LBB1101_232:
	v_sub_nc_u32_e32 v30, v53, v3
	v_mov_b32_e32 v31, 0
	s_delay_alu instid0(VALU_DEP_1) | instskip(NEXT) | instid1(VALU_DEP_1)
	v_lshlrev_b64 v[30:31], 2, v[30:31]
	v_add_co_u32 v30, vcc_lo, v2, v30
	s_delay_alu instid0(VALU_DEP_2)
	v_add_co_ci_u32_e32 v31, vcc_lo, v4, v31, vcc_lo
	global_store_b32 v[30:31], v21, off
	s_or_b32 exec_lo, exec_lo, s17
	s_and_saveexec_b32 s17, s13
	s_cbranch_execz .LBB1101_166
.LBB1101_233:
	v_sub_nc_u32_e32 v30, v59, v3
	v_mov_b32_e32 v31, 0
	s_delay_alu instid0(VALU_DEP_1) | instskip(NEXT) | instid1(VALU_DEP_1)
	v_lshlrev_b64 v[30:31], 2, v[30:31]
	v_add_co_u32 v30, vcc_lo, v2, v30
	s_delay_alu instid0(VALU_DEP_2)
	v_add_co_ci_u32_e32 v31, vcc_lo, v4, v31, vcc_lo
	global_store_b32 v[30:31], v22, off
	s_or_b32 exec_lo, exec_lo, s17
	s_and_saveexec_b32 s17, s12
	s_cbranch_execz .LBB1101_167
.LBB1101_234:
	v_sub_nc_u32_e32 v30, v55, v3
	v_mov_b32_e32 v31, 0
	s_delay_alu instid0(VALU_DEP_1) | instskip(NEXT) | instid1(VALU_DEP_1)
	v_lshlrev_b64 v[30:31], 2, v[30:31]
	v_add_co_u32 v30, vcc_lo, v2, v30
	s_delay_alu instid0(VALU_DEP_2)
	v_add_co_ci_u32_e32 v31, vcc_lo, v4, v31, vcc_lo
	global_store_b32 v[30:31], v19, off
	s_or_b32 exec_lo, exec_lo, s17
	s_and_saveexec_b32 s17, s11
	s_cbranch_execz .LBB1101_168
.LBB1101_235:
	v_sub_nc_u32_e32 v30, v51, v3
	v_mov_b32_e32 v31, 0
	s_delay_alu instid0(VALU_DEP_1) | instskip(NEXT) | instid1(VALU_DEP_1)
	v_lshlrev_b64 v[30:31], 2, v[30:31]
	v_add_co_u32 v30, vcc_lo, v2, v30
	s_delay_alu instid0(VALU_DEP_2)
	v_add_co_ci_u32_e32 v31, vcc_lo, v4, v31, vcc_lo
	global_store_b32 v[30:31], v20, off
	s_or_b32 exec_lo, exec_lo, s17
	s_and_saveexec_b32 s17, s10
	s_cbranch_execz .LBB1101_169
.LBB1101_236:
	v_sub_nc_u32_e32 v30, v45, v3
	v_mov_b32_e32 v31, 0
	s_delay_alu instid0(VALU_DEP_1) | instskip(NEXT) | instid1(VALU_DEP_1)
	v_lshlrev_b64 v[30:31], 2, v[30:31]
	v_add_co_u32 v30, vcc_lo, v2, v30
	s_delay_alu instid0(VALU_DEP_2)
	v_add_co_ci_u32_e32 v31, vcc_lo, v4, v31, vcc_lo
	global_store_b32 v[30:31], v17, off
	s_or_b32 exec_lo, exec_lo, s17
	s_and_saveexec_b32 s17, s9
	s_cbranch_execz .LBB1101_170
.LBB1101_237:
	v_sub_nc_u32_e32 v30, v41, v3
	v_mov_b32_e32 v31, 0
	s_delay_alu instid0(VALU_DEP_1) | instskip(NEXT) | instid1(VALU_DEP_1)
	v_lshlrev_b64 v[30:31], 2, v[30:31]
	v_add_co_u32 v30, vcc_lo, v2, v30
	s_delay_alu instid0(VALU_DEP_2)
	v_add_co_ci_u32_e32 v31, vcc_lo, v4, v31, vcc_lo
	global_store_b32 v[30:31], v18, off
	s_or_b32 exec_lo, exec_lo, s17
	s_and_saveexec_b32 s17, s7
	s_cbranch_execz .LBB1101_171
.LBB1101_238:
	v_sub_nc_u32_e32 v30, v39, v3
	v_mov_b32_e32 v31, 0
	s_delay_alu instid0(VALU_DEP_1) | instskip(NEXT) | instid1(VALU_DEP_1)
	v_lshlrev_b64 v[30:31], 2, v[30:31]
	v_add_co_u32 v30, vcc_lo, v2, v30
	s_delay_alu instid0(VALU_DEP_2)
	v_add_co_ci_u32_e32 v31, vcc_lo, v4, v31, vcc_lo
	global_store_b32 v[30:31], v15, off
	s_or_b32 exec_lo, exec_lo, s17
	s_and_saveexec_b32 s17, s5
	s_cbranch_execz .LBB1101_172
.LBB1101_239:
	v_sub_nc_u32_e32 v30, v43, v3
	v_mov_b32_e32 v31, 0
	s_delay_alu instid0(VALU_DEP_1) | instskip(NEXT) | instid1(VALU_DEP_1)
	v_lshlrev_b64 v[30:31], 2, v[30:31]
	v_add_co_u32 v30, vcc_lo, v2, v30
	s_delay_alu instid0(VALU_DEP_2)
	v_add_co_ci_u32_e32 v31, vcc_lo, v4, v31, vcc_lo
	global_store_b32 v[30:31], v16, off
	s_or_b32 exec_lo, exec_lo, s17
	s_and_saveexec_b32 s17, s8
	s_cbranch_execz .LBB1101_173
.LBB1101_240:
	v_sub_nc_u32_e32 v30, v47, v3
	v_mov_b32_e32 v31, 0
	s_delay_alu instid0(VALU_DEP_1) | instskip(NEXT) | instid1(VALU_DEP_1)
	v_lshlrev_b64 v[30:31], 2, v[30:31]
	v_add_co_u32 v30, vcc_lo, v2, v30
	s_delay_alu instid0(VALU_DEP_2)
	v_add_co_ci_u32_e32 v31, vcc_lo, v4, v31, vcc_lo
	global_store_b32 v[30:31], v13, off
	s_or_b32 exec_lo, exec_lo, s17
	s_and_saveexec_b32 s17, s6
	s_cbranch_execz .LBB1101_174
.LBB1101_241:
	v_sub_nc_u32_e32 v30, v5, v3
	v_mov_b32_e32 v31, 0
	s_delay_alu instid0(VALU_DEP_1) | instskip(NEXT) | instid1(VALU_DEP_1)
	v_lshlrev_b64 v[30:31], 2, v[30:31]
	v_add_co_u32 v30, vcc_lo, v2, v30
	s_delay_alu instid0(VALU_DEP_2)
	v_add_co_ci_u32_e32 v31, vcc_lo, v4, v31, vcc_lo
	global_store_b32 v[30:31], v14, off
	s_or_b32 exec_lo, exec_lo, s17
	s_and_saveexec_b32 s17, s4
	s_cbranch_execz .LBB1101_175
.LBB1101_242:
	v_sub_nc_u32_e32 v30, v7, v3
	v_mov_b32_e32 v31, 0
	s_delay_alu instid0(VALU_DEP_1) | instskip(NEXT) | instid1(VALU_DEP_1)
	v_lshlrev_b64 v[30:31], 2, v[30:31]
	v_add_co_u32 v30, vcc_lo, v2, v30
	s_delay_alu instid0(VALU_DEP_2)
	v_add_co_ci_u32_e32 v31, vcc_lo, v4, v31, vcc_lo
	global_store_b32 v[30:31], v11, off
	s_or_b32 exec_lo, exec_lo, s17
	s_and_saveexec_b32 s17, s3
	s_cbranch_execz .LBB1101_176
.LBB1101_243:
	v_sub_nc_u32_e32 v30, v37, v3
	v_mov_b32_e32 v31, 0
	s_delay_alu instid0(VALU_DEP_1) | instskip(NEXT) | instid1(VALU_DEP_1)
	v_lshlrev_b64 v[30:31], 2, v[30:31]
	v_add_co_u32 v30, vcc_lo, v2, v30
	s_delay_alu instid0(VALU_DEP_2)
	v_add_co_ci_u32_e32 v31, vcc_lo, v4, v31, vcc_lo
	global_store_b32 v[30:31], v12, off
	s_or_b32 exec_lo, exec_lo, s17
	s_and_saveexec_b32 s17, s2
	s_cbranch_execz .LBB1101_177
.LBB1101_244:
	v_sub_nc_u32_e32 v30, v61, v3
	v_mov_b32_e32 v31, 0
	s_delay_alu instid0(VALU_DEP_1) | instskip(NEXT) | instid1(VALU_DEP_1)
	v_lshlrev_b64 v[30:31], 2, v[30:31]
	v_add_co_u32 v30, vcc_lo, v2, v30
	s_delay_alu instid0(VALU_DEP_2)
	v_add_co_ci_u32_e32 v31, vcc_lo, v4, v31, vcc_lo
	global_store_b32 v[30:31], v9, off
	s_or_b32 exec_lo, exec_lo, s17
	s_and_saveexec_b32 s17, s1
	s_cbranch_execnz .LBB1101_178
	s_branch .LBB1101_179
.LBB1101_245:
	v_sub_nc_u32_e32 v29, v53, v3
	s_delay_alu instid0(VALU_DEP_1)
	v_lshlrev_b32_e32 v29, 2, v29
	ds_store_b32 v29, v21
	s_or_b32 exec_lo, exec_lo, s17
	s_and_saveexec_b32 s14, s13
	s_cbranch_execz .LBB1101_183
.LBB1101_246:
	v_sub_nc_u32_e32 v21, v59, v3
	s_delay_alu instid0(VALU_DEP_1)
	v_lshlrev_b32_e32 v21, 2, v21
	ds_store_b32 v21, v22
	s_or_b32 exec_lo, exec_lo, s14
	s_and_saveexec_b32 s13, s12
	s_cbranch_execz .LBB1101_184
.LBB1101_247:
	v_sub_nc_u32_e32 v21, v55, v3
	s_delay_alu instid0(VALU_DEP_1)
	v_lshlrev_b32_e32 v21, 2, v21
	ds_store_b32 v21, v19
	s_or_b32 exec_lo, exec_lo, s13
	s_and_saveexec_b32 s12, s11
	s_cbranch_execz .LBB1101_185
.LBB1101_248:
	v_sub_nc_u32_e32 v19, v51, v3
	s_delay_alu instid0(VALU_DEP_1)
	v_lshlrev_b32_e32 v19, 2, v19
	ds_store_b32 v19, v20
	s_or_b32 exec_lo, exec_lo, s12
	s_and_saveexec_b32 s11, s10
	s_cbranch_execz .LBB1101_186
.LBB1101_249:
	v_sub_nc_u32_e32 v19, v45, v3
	s_delay_alu instid0(VALU_DEP_1)
	v_lshlrev_b32_e32 v19, 2, v19
	ds_store_b32 v19, v17
	s_or_b32 exec_lo, exec_lo, s11
	s_and_saveexec_b32 s10, s9
	s_cbranch_execz .LBB1101_187
.LBB1101_250:
	v_sub_nc_u32_e32 v17, v41, v3
	s_delay_alu instid0(VALU_DEP_1)
	v_lshlrev_b32_e32 v17, 2, v17
	ds_store_b32 v17, v18
	s_or_b32 exec_lo, exec_lo, s10
	s_and_saveexec_b32 s9, s7
	s_cbranch_execz .LBB1101_188
.LBB1101_251:
	v_sub_nc_u32_e32 v17, v39, v3
	s_delay_alu instid0(VALU_DEP_1)
	v_lshlrev_b32_e32 v17, 2, v17
	ds_store_b32 v17, v15
	s_or_b32 exec_lo, exec_lo, s9
	s_and_saveexec_b32 s7, s5
	s_cbranch_execz .LBB1101_189
.LBB1101_252:
	v_sub_nc_u32_e32 v15, v43, v3
	s_delay_alu instid0(VALU_DEP_1)
	v_lshlrev_b32_e32 v15, 2, v15
	ds_store_b32 v15, v16
	s_or_b32 exec_lo, exec_lo, s7
	s_and_saveexec_b32 s5, s8
	s_cbranch_execz .LBB1101_190
.LBB1101_253:
	v_sub_nc_u32_e32 v15, v47, v3
	s_delay_alu instid0(VALU_DEP_1)
	v_lshlrev_b32_e32 v15, 2, v15
	ds_store_b32 v15, v13
	s_or_b32 exec_lo, exec_lo, s5
	s_and_saveexec_b32 s5, s6
	s_cbranch_execz .LBB1101_191
.LBB1101_254:
	v_sub_nc_u32_e32 v13, v5, v3
	s_delay_alu instid0(VALU_DEP_1)
	v_lshlrev_b32_e32 v13, 2, v13
	ds_store_b32 v13, v14
	s_or_b32 exec_lo, exec_lo, s5
	s_and_saveexec_b32 s5, s4
	s_cbranch_execz .LBB1101_192
.LBB1101_255:
	v_sub_nc_u32_e32 v13, v7, v3
	s_delay_alu instid0(VALU_DEP_1)
	v_lshlrev_b32_e32 v13, 2, v13
	ds_store_b32 v13, v11
	s_or_b32 exec_lo, exec_lo, s5
	s_and_saveexec_b32 s4, s3
	s_cbranch_execz .LBB1101_193
.LBB1101_256:
	v_sub_nc_u32_e32 v11, v37, v3
	s_delay_alu instid0(VALU_DEP_1)
	v_lshlrev_b32_e32 v11, 2, v11
	ds_store_b32 v11, v12
	s_or_b32 exec_lo, exec_lo, s4
	s_and_saveexec_b32 s3, s2
	s_cbranch_execz .LBB1101_194
.LBB1101_257:
	v_sub_nc_u32_e32 v11, v61, v3
	s_delay_alu instid0(VALU_DEP_1)
	v_lshlrev_b32_e32 v11, 2, v11
	ds_store_b32 v11, v9
	s_or_b32 exec_lo, exec_lo, s3
	s_and_saveexec_b32 s2, s1
	s_cbranch_execnz .LBB1101_195
	s_branch .LBB1101_196
.LBB1101_258:
	v_sub_nc_u32_e32 v14, v53, v4
	v_mov_b32_e32 v15, 0
	s_delay_alu instid0(VALU_DEP_1) | instskip(NEXT) | instid1(VALU_DEP_1)
	v_lshlrev_b64 v[14:15], 2, v[14:15]
	v_add_co_u32 v14, vcc_lo, v11, v14
	s_delay_alu instid0(VALU_DEP_2)
	v_add_co_ci_u32_e32 v15, vcc_lo, v12, v15, vcc_lo
	global_store_b32 v[14:15], v54, off
	s_or_b32 exec_lo, exec_lo, s17
	s_and_saveexec_b32 s17, s13
	s_cbranch_execz .LBB1101_200
.LBB1101_259:
	v_sub_nc_u32_e32 v14, v59, v4
	v_mov_b32_e32 v15, 0
	s_delay_alu instid0(VALU_DEP_1) | instskip(NEXT) | instid1(VALU_DEP_1)
	v_lshlrev_b64 v[14:15], 2, v[14:15]
	v_add_co_u32 v14, vcc_lo, v11, v14
	s_delay_alu instid0(VALU_DEP_2)
	v_add_co_ci_u32_e32 v15, vcc_lo, v12, v15, vcc_lo
	global_store_b32 v[14:15], v60, off
	s_or_b32 exec_lo, exec_lo, s17
	s_and_saveexec_b32 s17, s12
	s_cbranch_execz .LBB1101_201
.LBB1101_260:
	v_sub_nc_u32_e32 v14, v55, v4
	v_mov_b32_e32 v15, 0
	s_delay_alu instid0(VALU_DEP_1) | instskip(NEXT) | instid1(VALU_DEP_1)
	v_lshlrev_b64 v[14:15], 2, v[14:15]
	v_add_co_u32 v14, vcc_lo, v11, v14
	s_delay_alu instid0(VALU_DEP_2)
	v_add_co_ci_u32_e32 v15, vcc_lo, v12, v15, vcc_lo
	global_store_b32 v[14:15], v56, off
	s_or_b32 exec_lo, exec_lo, s17
	s_and_saveexec_b32 s17, s11
	s_cbranch_execz .LBB1101_202
.LBB1101_261:
	v_sub_nc_u32_e32 v14, v51, v4
	v_mov_b32_e32 v15, 0
	s_delay_alu instid0(VALU_DEP_1) | instskip(NEXT) | instid1(VALU_DEP_1)
	v_lshlrev_b64 v[14:15], 2, v[14:15]
	v_add_co_u32 v14, vcc_lo, v11, v14
	s_delay_alu instid0(VALU_DEP_2)
	v_add_co_ci_u32_e32 v15, vcc_lo, v12, v15, vcc_lo
	global_store_b32 v[14:15], v52, off
	s_or_b32 exec_lo, exec_lo, s17
	s_and_saveexec_b32 s17, s10
	s_cbranch_execz .LBB1101_203
.LBB1101_262:
	v_sub_nc_u32_e32 v14, v45, v4
	v_mov_b32_e32 v15, 0
	s_delay_alu instid0(VALU_DEP_1) | instskip(NEXT) | instid1(VALU_DEP_1)
	v_lshlrev_b64 v[14:15], 2, v[14:15]
	v_add_co_u32 v14, vcc_lo, v11, v14
	s_delay_alu instid0(VALU_DEP_2)
	v_add_co_ci_u32_e32 v15, vcc_lo, v12, v15, vcc_lo
	global_store_b32 v[14:15], v46, off
	s_or_b32 exec_lo, exec_lo, s17
	s_and_saveexec_b32 s17, s9
	s_cbranch_execz .LBB1101_204
.LBB1101_263:
	v_sub_nc_u32_e32 v14, v41, v4
	v_mov_b32_e32 v15, 0
	s_delay_alu instid0(VALU_DEP_1) | instskip(NEXT) | instid1(VALU_DEP_1)
	v_lshlrev_b64 v[14:15], 2, v[14:15]
	v_add_co_u32 v14, vcc_lo, v11, v14
	s_delay_alu instid0(VALU_DEP_2)
	v_add_co_ci_u32_e32 v15, vcc_lo, v12, v15, vcc_lo
	global_store_b32 v[14:15], v42, off
	s_or_b32 exec_lo, exec_lo, s17
	s_and_saveexec_b32 s17, s8
	s_cbranch_execz .LBB1101_205
.LBB1101_264:
	v_sub_nc_u32_e32 v14, v39, v4
	v_mov_b32_e32 v15, 0
	s_delay_alu instid0(VALU_DEP_1) | instskip(NEXT) | instid1(VALU_DEP_1)
	v_lshlrev_b64 v[14:15], 2, v[14:15]
	v_add_co_u32 v14, vcc_lo, v11, v14
	s_delay_alu instid0(VALU_DEP_2)
	v_add_co_ci_u32_e32 v15, vcc_lo, v12, v15, vcc_lo
	global_store_b32 v[14:15], v40, off
	s_or_b32 exec_lo, exec_lo, s17
	s_and_saveexec_b32 s17, s7
	s_cbranch_execz .LBB1101_206
.LBB1101_265:
	v_sub_nc_u32_e32 v14, v43, v4
	v_mov_b32_e32 v15, 0
	s_delay_alu instid0(VALU_DEP_1) | instskip(NEXT) | instid1(VALU_DEP_1)
	v_lshlrev_b64 v[14:15], 2, v[14:15]
	v_add_co_u32 v14, vcc_lo, v11, v14
	s_delay_alu instid0(VALU_DEP_2)
	v_add_co_ci_u32_e32 v15, vcc_lo, v12, v15, vcc_lo
	global_store_b32 v[14:15], v44, off
	s_or_b32 exec_lo, exec_lo, s17
	s_and_saveexec_b32 s17, s6
	s_cbranch_execz .LBB1101_207
.LBB1101_266:
	v_sub_nc_u32_e32 v14, v47, v4
	v_mov_b32_e32 v15, 0
	s_delay_alu instid0(VALU_DEP_1) | instskip(NEXT) | instid1(VALU_DEP_1)
	v_lshlrev_b64 v[14:15], 2, v[14:15]
	v_add_co_u32 v14, vcc_lo, v11, v14
	s_delay_alu instid0(VALU_DEP_2)
	v_add_co_ci_u32_e32 v15, vcc_lo, v12, v15, vcc_lo
	global_store_b32 v[14:15], v48, off
	s_or_b32 exec_lo, exec_lo, s17
	s_and_saveexec_b32 s17, s5
	s_cbranch_execz .LBB1101_208
.LBB1101_267:
	v_sub_nc_u32_e32 v14, v5, v4
	v_mov_b32_e32 v15, 0
	s_delay_alu instid0(VALU_DEP_1) | instskip(NEXT) | instid1(VALU_DEP_1)
	v_lshlrev_b64 v[14:15], 2, v[14:15]
	v_add_co_u32 v14, vcc_lo, v11, v14
	s_delay_alu instid0(VALU_DEP_2)
	v_add_co_ci_u32_e32 v15, vcc_lo, v12, v15, vcc_lo
	global_store_b32 v[14:15], v6, off
	s_or_b32 exec_lo, exec_lo, s17
	s_and_saveexec_b32 s17, s4
	s_cbranch_execz .LBB1101_209
.LBB1101_268:
	v_sub_nc_u32_e32 v14, v7, v4
	v_mov_b32_e32 v15, 0
	s_delay_alu instid0(VALU_DEP_1) | instskip(NEXT) | instid1(VALU_DEP_1)
	v_lshlrev_b64 v[14:15], 2, v[14:15]
	v_add_co_u32 v14, vcc_lo, v11, v14
	s_delay_alu instid0(VALU_DEP_2)
	v_add_co_ci_u32_e32 v15, vcc_lo, v12, v15, vcc_lo
	global_store_b32 v[14:15], v8, off
	s_or_b32 exec_lo, exec_lo, s17
	s_and_saveexec_b32 s17, s3
	s_cbranch_execz .LBB1101_210
.LBB1101_269:
	v_sub_nc_u32_e32 v14, v37, v4
	v_mov_b32_e32 v15, 0
	s_delay_alu instid0(VALU_DEP_1) | instskip(NEXT) | instid1(VALU_DEP_1)
	v_lshlrev_b64 v[14:15], 2, v[14:15]
	v_add_co_u32 v14, vcc_lo, v11, v14
	s_delay_alu instid0(VALU_DEP_2)
	v_add_co_ci_u32_e32 v15, vcc_lo, v12, v15, vcc_lo
	global_store_b32 v[14:15], v38, off
	s_or_b32 exec_lo, exec_lo, s17
	s_and_saveexec_b32 s17, s2
	s_cbranch_execz .LBB1101_211
.LBB1101_270:
	v_sub_nc_u32_e32 v14, v61, v4
	v_mov_b32_e32 v15, 0
	s_delay_alu instid0(VALU_DEP_1) | instskip(NEXT) | instid1(VALU_DEP_1)
	v_lshlrev_b64 v[14:15], 2, v[14:15]
	v_add_co_u32 v14, vcc_lo, v11, v14
	s_delay_alu instid0(VALU_DEP_2)
	v_add_co_ci_u32_e32 v15, vcc_lo, v12, v15, vcc_lo
	global_store_b32 v[14:15], v62, off
	s_or_b32 exec_lo, exec_lo, s17
	s_and_saveexec_b32 s17, s1
	s_cbranch_execnz .LBB1101_212
	s_branch .LBB1101_213
.LBB1101_271:
	v_sub_nc_u32_e32 v13, v53, v4
	s_delay_alu instid0(VALU_DEP_1)
	v_lshlrev_b32_e32 v13, 2, v13
	ds_store_b32 v13, v54
	s_or_b32 exec_lo, exec_lo, s17
	s_and_saveexec_b32 s14, s13
	s_cbranch_execz .LBB1101_217
.LBB1101_272:
	v_sub_nc_u32_e32 v13, v59, v4
	s_delay_alu instid0(VALU_DEP_1)
	v_lshlrev_b32_e32 v13, 2, v13
	ds_store_b32 v13, v60
	s_or_b32 exec_lo, exec_lo, s14
	s_and_saveexec_b32 s13, s12
	s_cbranch_execz .LBB1101_218
.LBB1101_273:
	v_sub_nc_u32_e32 v13, v55, v4
	s_delay_alu instid0(VALU_DEP_1)
	v_lshlrev_b32_e32 v13, 2, v13
	ds_store_b32 v13, v56
	s_or_b32 exec_lo, exec_lo, s13
	s_and_saveexec_b32 s12, s11
	s_cbranch_execz .LBB1101_219
.LBB1101_274:
	v_sub_nc_u32_e32 v13, v51, v4
	s_delay_alu instid0(VALU_DEP_1)
	v_lshlrev_b32_e32 v13, 2, v13
	ds_store_b32 v13, v52
	s_or_b32 exec_lo, exec_lo, s12
	s_and_saveexec_b32 s11, s10
	s_cbranch_execz .LBB1101_220
.LBB1101_275:
	v_sub_nc_u32_e32 v13, v45, v4
	s_delay_alu instid0(VALU_DEP_1)
	v_lshlrev_b32_e32 v13, 2, v13
	ds_store_b32 v13, v46
	s_or_b32 exec_lo, exec_lo, s11
	s_and_saveexec_b32 s10, s9
	s_cbranch_execz .LBB1101_221
.LBB1101_276:
	v_sub_nc_u32_e32 v13, v41, v4
	s_delay_alu instid0(VALU_DEP_1)
	v_lshlrev_b32_e32 v13, 2, v13
	ds_store_b32 v13, v42
	s_or_b32 exec_lo, exec_lo, s10
	s_and_saveexec_b32 s9, s8
	s_cbranch_execz .LBB1101_222
.LBB1101_277:
	v_sub_nc_u32_e32 v13, v39, v4
	s_delay_alu instid0(VALU_DEP_1)
	v_lshlrev_b32_e32 v13, 2, v13
	ds_store_b32 v13, v40
	s_or_b32 exec_lo, exec_lo, s9
	s_and_saveexec_b32 s8, s7
	s_cbranch_execz .LBB1101_223
.LBB1101_278:
	v_sub_nc_u32_e32 v13, v43, v4
	s_delay_alu instid0(VALU_DEP_1)
	v_lshlrev_b32_e32 v13, 2, v13
	ds_store_b32 v13, v44
	s_or_b32 exec_lo, exec_lo, s8
	s_and_saveexec_b32 s7, s6
	s_cbranch_execz .LBB1101_224
.LBB1101_279:
	v_sub_nc_u32_e32 v13, v47, v4
	s_delay_alu instid0(VALU_DEP_1)
	v_lshlrev_b32_e32 v13, 2, v13
	ds_store_b32 v13, v48
	s_or_b32 exec_lo, exec_lo, s7
	s_and_saveexec_b32 s6, s5
	s_cbranch_execz .LBB1101_225
.LBB1101_280:
	v_sub_nc_u32_e32 v5, v5, v4
	s_delay_alu instid0(VALU_DEP_1)
	v_lshlrev_b32_e32 v5, 2, v5
	ds_store_b32 v5, v6
	s_or_b32 exec_lo, exec_lo, s6
	s_and_saveexec_b32 s5, s4
	s_cbranch_execz .LBB1101_226
.LBB1101_281:
	v_sub_nc_u32_e32 v5, v7, v4
	s_delay_alu instid0(VALU_DEP_1)
	v_lshlrev_b32_e32 v5, 2, v5
	ds_store_b32 v5, v8
	s_or_b32 exec_lo, exec_lo, s5
	s_and_saveexec_b32 s4, s3
	s_cbranch_execz .LBB1101_227
.LBB1101_282:
	v_sub_nc_u32_e32 v5, v37, v4
	s_delay_alu instid0(VALU_DEP_1)
	v_lshlrev_b32_e32 v5, 2, v5
	ds_store_b32 v5, v38
	s_or_b32 exec_lo, exec_lo, s4
	s_and_saveexec_b32 s3, s2
	s_cbranch_execz .LBB1101_228
.LBB1101_283:
	v_sub_nc_u32_e32 v5, v61, v4
	s_delay_alu instid0(VALU_DEP_1)
	v_lshlrev_b32_e32 v5, 2, v5
	ds_store_b32 v5, v62
	s_or_b32 exec_lo, exec_lo, s3
	s_and_saveexec_b32 s2, s1
	s_cbranch_execnz .LBB1101_229
	s_branch .LBB1101_230
	.section	.rodata,"a",@progbits
	.p2align	6, 0x0
	.amdhsa_kernel _ZN7rocprim17ROCPRIM_400000_NS6detail17trampoline_kernelINS0_14default_configENS1_29reduce_by_key_config_selectorIiiN6thrust23THRUST_200600_302600_NS4plusIiEEEEZZNS1_33reduce_by_key_impl_wrapped_configILNS1_25lookback_scan_determinismE0ES3_S9_NS6_10device_ptrIiEESD_SD_SD_PmS8_NS6_8equal_toIiEEEE10hipError_tPvRmT2_T3_mT4_T5_T6_T7_T8_P12ihipStream_tbENKUlT_T0_E_clISt17integral_constantIbLb0EESY_EEDaST_SU_EUlST_E_NS1_11comp_targetILNS1_3genE9ELNS1_11target_archE1100ELNS1_3gpuE3ELNS1_3repE0EEENS1_30default_config_static_selectorELNS0_4arch9wavefront6targetE0EEEvT1_
		.amdhsa_group_segment_fixed_size 15360
		.amdhsa_private_segment_fixed_size 0
		.amdhsa_kernarg_size 120
		.amdhsa_user_sgpr_count 15
		.amdhsa_user_sgpr_dispatch_ptr 0
		.amdhsa_user_sgpr_queue_ptr 0
		.amdhsa_user_sgpr_kernarg_segment_ptr 1
		.amdhsa_user_sgpr_dispatch_id 0
		.amdhsa_user_sgpr_private_segment_size 0
		.amdhsa_wavefront_size32 1
		.amdhsa_uses_dynamic_stack 0
		.amdhsa_enable_private_segment 0
		.amdhsa_system_sgpr_workgroup_id_x 1
		.amdhsa_system_sgpr_workgroup_id_y 0
		.amdhsa_system_sgpr_workgroup_id_z 0
		.amdhsa_system_sgpr_workgroup_info 0
		.amdhsa_system_vgpr_workitem_id 0
		.amdhsa_next_free_vgpr 87
		.amdhsa_next_free_sgpr 46
		.amdhsa_reserve_vcc 1
		.amdhsa_float_round_mode_32 0
		.amdhsa_float_round_mode_16_64 0
		.amdhsa_float_denorm_mode_32 3
		.amdhsa_float_denorm_mode_16_64 3
		.amdhsa_dx10_clamp 1
		.amdhsa_ieee_mode 1
		.amdhsa_fp16_overflow 0
		.amdhsa_workgroup_processor_mode 1
		.amdhsa_memory_ordered 1
		.amdhsa_forward_progress 0
		.amdhsa_shared_vgpr_count 0
		.amdhsa_exception_fp_ieee_invalid_op 0
		.amdhsa_exception_fp_denorm_src 0
		.amdhsa_exception_fp_ieee_div_zero 0
		.amdhsa_exception_fp_ieee_overflow 0
		.amdhsa_exception_fp_ieee_underflow 0
		.amdhsa_exception_fp_ieee_inexact 0
		.amdhsa_exception_int_div_zero 0
	.end_amdhsa_kernel
	.section	.text._ZN7rocprim17ROCPRIM_400000_NS6detail17trampoline_kernelINS0_14default_configENS1_29reduce_by_key_config_selectorIiiN6thrust23THRUST_200600_302600_NS4plusIiEEEEZZNS1_33reduce_by_key_impl_wrapped_configILNS1_25lookback_scan_determinismE0ES3_S9_NS6_10device_ptrIiEESD_SD_SD_PmS8_NS6_8equal_toIiEEEE10hipError_tPvRmT2_T3_mT4_T5_T6_T7_T8_P12ihipStream_tbENKUlT_T0_E_clISt17integral_constantIbLb0EESY_EEDaST_SU_EUlST_E_NS1_11comp_targetILNS1_3genE9ELNS1_11target_archE1100ELNS1_3gpuE3ELNS1_3repE0EEENS1_30default_config_static_selectorELNS0_4arch9wavefront6targetE0EEEvT1_,"axG",@progbits,_ZN7rocprim17ROCPRIM_400000_NS6detail17trampoline_kernelINS0_14default_configENS1_29reduce_by_key_config_selectorIiiN6thrust23THRUST_200600_302600_NS4plusIiEEEEZZNS1_33reduce_by_key_impl_wrapped_configILNS1_25lookback_scan_determinismE0ES3_S9_NS6_10device_ptrIiEESD_SD_SD_PmS8_NS6_8equal_toIiEEEE10hipError_tPvRmT2_T3_mT4_T5_T6_T7_T8_P12ihipStream_tbENKUlT_T0_E_clISt17integral_constantIbLb0EESY_EEDaST_SU_EUlST_E_NS1_11comp_targetILNS1_3genE9ELNS1_11target_archE1100ELNS1_3gpuE3ELNS1_3repE0EEENS1_30default_config_static_selectorELNS0_4arch9wavefront6targetE0EEEvT1_,comdat
.Lfunc_end1101:
	.size	_ZN7rocprim17ROCPRIM_400000_NS6detail17trampoline_kernelINS0_14default_configENS1_29reduce_by_key_config_selectorIiiN6thrust23THRUST_200600_302600_NS4plusIiEEEEZZNS1_33reduce_by_key_impl_wrapped_configILNS1_25lookback_scan_determinismE0ES3_S9_NS6_10device_ptrIiEESD_SD_SD_PmS8_NS6_8equal_toIiEEEE10hipError_tPvRmT2_T3_mT4_T5_T6_T7_T8_P12ihipStream_tbENKUlT_T0_E_clISt17integral_constantIbLb0EESY_EEDaST_SU_EUlST_E_NS1_11comp_targetILNS1_3genE9ELNS1_11target_archE1100ELNS1_3gpuE3ELNS1_3repE0EEENS1_30default_config_static_selectorELNS0_4arch9wavefront6targetE0EEEvT1_, .Lfunc_end1101-_ZN7rocprim17ROCPRIM_400000_NS6detail17trampoline_kernelINS0_14default_configENS1_29reduce_by_key_config_selectorIiiN6thrust23THRUST_200600_302600_NS4plusIiEEEEZZNS1_33reduce_by_key_impl_wrapped_configILNS1_25lookback_scan_determinismE0ES3_S9_NS6_10device_ptrIiEESD_SD_SD_PmS8_NS6_8equal_toIiEEEE10hipError_tPvRmT2_T3_mT4_T5_T6_T7_T8_P12ihipStream_tbENKUlT_T0_E_clISt17integral_constantIbLb0EESY_EEDaST_SU_EUlST_E_NS1_11comp_targetILNS1_3genE9ELNS1_11target_archE1100ELNS1_3gpuE3ELNS1_3repE0EEENS1_30default_config_static_selectorELNS0_4arch9wavefront6targetE0EEEvT1_
                                        ; -- End function
	.section	.AMDGPU.csdata,"",@progbits
; Kernel info:
; codeLenInByte = 17124
; NumSgprs: 48
; NumVgprs: 87
; ScratchSize: 0
; MemoryBound: 0
; FloatMode: 240
; IeeeMode: 1
; LDSByteSize: 15360 bytes/workgroup (compile time only)
; SGPRBlocks: 5
; VGPRBlocks: 10
; NumSGPRsForWavesPerEU: 48
; NumVGPRsForWavesPerEU: 87
; Occupancy: 16
; WaveLimiterHint : 1
; COMPUTE_PGM_RSRC2:SCRATCH_EN: 0
; COMPUTE_PGM_RSRC2:USER_SGPR: 15
; COMPUTE_PGM_RSRC2:TRAP_HANDLER: 0
; COMPUTE_PGM_RSRC2:TGID_X_EN: 1
; COMPUTE_PGM_RSRC2:TGID_Y_EN: 0
; COMPUTE_PGM_RSRC2:TGID_Z_EN: 0
; COMPUTE_PGM_RSRC2:TIDIG_COMP_CNT: 0
	.section	.text._ZN7rocprim17ROCPRIM_400000_NS6detail17trampoline_kernelINS0_14default_configENS1_29reduce_by_key_config_selectorIiiN6thrust23THRUST_200600_302600_NS4plusIiEEEEZZNS1_33reduce_by_key_impl_wrapped_configILNS1_25lookback_scan_determinismE0ES3_S9_NS6_10device_ptrIiEESD_SD_SD_PmS8_NS6_8equal_toIiEEEE10hipError_tPvRmT2_T3_mT4_T5_T6_T7_T8_P12ihipStream_tbENKUlT_T0_E_clISt17integral_constantIbLb0EESY_EEDaST_SU_EUlST_E_NS1_11comp_targetILNS1_3genE8ELNS1_11target_archE1030ELNS1_3gpuE2ELNS1_3repE0EEENS1_30default_config_static_selectorELNS0_4arch9wavefront6targetE0EEEvT1_,"axG",@progbits,_ZN7rocprim17ROCPRIM_400000_NS6detail17trampoline_kernelINS0_14default_configENS1_29reduce_by_key_config_selectorIiiN6thrust23THRUST_200600_302600_NS4plusIiEEEEZZNS1_33reduce_by_key_impl_wrapped_configILNS1_25lookback_scan_determinismE0ES3_S9_NS6_10device_ptrIiEESD_SD_SD_PmS8_NS6_8equal_toIiEEEE10hipError_tPvRmT2_T3_mT4_T5_T6_T7_T8_P12ihipStream_tbENKUlT_T0_E_clISt17integral_constantIbLb0EESY_EEDaST_SU_EUlST_E_NS1_11comp_targetILNS1_3genE8ELNS1_11target_archE1030ELNS1_3gpuE2ELNS1_3repE0EEENS1_30default_config_static_selectorELNS0_4arch9wavefront6targetE0EEEvT1_,comdat
	.protected	_ZN7rocprim17ROCPRIM_400000_NS6detail17trampoline_kernelINS0_14default_configENS1_29reduce_by_key_config_selectorIiiN6thrust23THRUST_200600_302600_NS4plusIiEEEEZZNS1_33reduce_by_key_impl_wrapped_configILNS1_25lookback_scan_determinismE0ES3_S9_NS6_10device_ptrIiEESD_SD_SD_PmS8_NS6_8equal_toIiEEEE10hipError_tPvRmT2_T3_mT4_T5_T6_T7_T8_P12ihipStream_tbENKUlT_T0_E_clISt17integral_constantIbLb0EESY_EEDaST_SU_EUlST_E_NS1_11comp_targetILNS1_3genE8ELNS1_11target_archE1030ELNS1_3gpuE2ELNS1_3repE0EEENS1_30default_config_static_selectorELNS0_4arch9wavefront6targetE0EEEvT1_ ; -- Begin function _ZN7rocprim17ROCPRIM_400000_NS6detail17trampoline_kernelINS0_14default_configENS1_29reduce_by_key_config_selectorIiiN6thrust23THRUST_200600_302600_NS4plusIiEEEEZZNS1_33reduce_by_key_impl_wrapped_configILNS1_25lookback_scan_determinismE0ES3_S9_NS6_10device_ptrIiEESD_SD_SD_PmS8_NS6_8equal_toIiEEEE10hipError_tPvRmT2_T3_mT4_T5_T6_T7_T8_P12ihipStream_tbENKUlT_T0_E_clISt17integral_constantIbLb0EESY_EEDaST_SU_EUlST_E_NS1_11comp_targetILNS1_3genE8ELNS1_11target_archE1030ELNS1_3gpuE2ELNS1_3repE0EEENS1_30default_config_static_selectorELNS0_4arch9wavefront6targetE0EEEvT1_
	.globl	_ZN7rocprim17ROCPRIM_400000_NS6detail17trampoline_kernelINS0_14default_configENS1_29reduce_by_key_config_selectorIiiN6thrust23THRUST_200600_302600_NS4plusIiEEEEZZNS1_33reduce_by_key_impl_wrapped_configILNS1_25lookback_scan_determinismE0ES3_S9_NS6_10device_ptrIiEESD_SD_SD_PmS8_NS6_8equal_toIiEEEE10hipError_tPvRmT2_T3_mT4_T5_T6_T7_T8_P12ihipStream_tbENKUlT_T0_E_clISt17integral_constantIbLb0EESY_EEDaST_SU_EUlST_E_NS1_11comp_targetILNS1_3genE8ELNS1_11target_archE1030ELNS1_3gpuE2ELNS1_3repE0EEENS1_30default_config_static_selectorELNS0_4arch9wavefront6targetE0EEEvT1_
	.p2align	8
	.type	_ZN7rocprim17ROCPRIM_400000_NS6detail17trampoline_kernelINS0_14default_configENS1_29reduce_by_key_config_selectorIiiN6thrust23THRUST_200600_302600_NS4plusIiEEEEZZNS1_33reduce_by_key_impl_wrapped_configILNS1_25lookback_scan_determinismE0ES3_S9_NS6_10device_ptrIiEESD_SD_SD_PmS8_NS6_8equal_toIiEEEE10hipError_tPvRmT2_T3_mT4_T5_T6_T7_T8_P12ihipStream_tbENKUlT_T0_E_clISt17integral_constantIbLb0EESY_EEDaST_SU_EUlST_E_NS1_11comp_targetILNS1_3genE8ELNS1_11target_archE1030ELNS1_3gpuE2ELNS1_3repE0EEENS1_30default_config_static_selectorELNS0_4arch9wavefront6targetE0EEEvT1_,@function
_ZN7rocprim17ROCPRIM_400000_NS6detail17trampoline_kernelINS0_14default_configENS1_29reduce_by_key_config_selectorIiiN6thrust23THRUST_200600_302600_NS4plusIiEEEEZZNS1_33reduce_by_key_impl_wrapped_configILNS1_25lookback_scan_determinismE0ES3_S9_NS6_10device_ptrIiEESD_SD_SD_PmS8_NS6_8equal_toIiEEEE10hipError_tPvRmT2_T3_mT4_T5_T6_T7_T8_P12ihipStream_tbENKUlT_T0_E_clISt17integral_constantIbLb0EESY_EEDaST_SU_EUlST_E_NS1_11comp_targetILNS1_3genE8ELNS1_11target_archE1030ELNS1_3gpuE2ELNS1_3repE0EEENS1_30default_config_static_selectorELNS0_4arch9wavefront6targetE0EEEvT1_: ; @_ZN7rocprim17ROCPRIM_400000_NS6detail17trampoline_kernelINS0_14default_configENS1_29reduce_by_key_config_selectorIiiN6thrust23THRUST_200600_302600_NS4plusIiEEEEZZNS1_33reduce_by_key_impl_wrapped_configILNS1_25lookback_scan_determinismE0ES3_S9_NS6_10device_ptrIiEESD_SD_SD_PmS8_NS6_8equal_toIiEEEE10hipError_tPvRmT2_T3_mT4_T5_T6_T7_T8_P12ihipStream_tbENKUlT_T0_E_clISt17integral_constantIbLb0EESY_EEDaST_SU_EUlST_E_NS1_11comp_targetILNS1_3genE8ELNS1_11target_archE1030ELNS1_3gpuE2ELNS1_3repE0EEENS1_30default_config_static_selectorELNS0_4arch9wavefront6targetE0EEEvT1_
; %bb.0:
	.section	.rodata,"a",@progbits
	.p2align	6, 0x0
	.amdhsa_kernel _ZN7rocprim17ROCPRIM_400000_NS6detail17trampoline_kernelINS0_14default_configENS1_29reduce_by_key_config_selectorIiiN6thrust23THRUST_200600_302600_NS4plusIiEEEEZZNS1_33reduce_by_key_impl_wrapped_configILNS1_25lookback_scan_determinismE0ES3_S9_NS6_10device_ptrIiEESD_SD_SD_PmS8_NS6_8equal_toIiEEEE10hipError_tPvRmT2_T3_mT4_T5_T6_T7_T8_P12ihipStream_tbENKUlT_T0_E_clISt17integral_constantIbLb0EESY_EEDaST_SU_EUlST_E_NS1_11comp_targetILNS1_3genE8ELNS1_11target_archE1030ELNS1_3gpuE2ELNS1_3repE0EEENS1_30default_config_static_selectorELNS0_4arch9wavefront6targetE0EEEvT1_
		.amdhsa_group_segment_fixed_size 0
		.amdhsa_private_segment_fixed_size 0
		.amdhsa_kernarg_size 120
		.amdhsa_user_sgpr_count 15
		.amdhsa_user_sgpr_dispatch_ptr 0
		.amdhsa_user_sgpr_queue_ptr 0
		.amdhsa_user_sgpr_kernarg_segment_ptr 1
		.amdhsa_user_sgpr_dispatch_id 0
		.amdhsa_user_sgpr_private_segment_size 0
		.amdhsa_wavefront_size32 1
		.amdhsa_uses_dynamic_stack 0
		.amdhsa_enable_private_segment 0
		.amdhsa_system_sgpr_workgroup_id_x 1
		.amdhsa_system_sgpr_workgroup_id_y 0
		.amdhsa_system_sgpr_workgroup_id_z 0
		.amdhsa_system_sgpr_workgroup_info 0
		.amdhsa_system_vgpr_workitem_id 0
		.amdhsa_next_free_vgpr 1
		.amdhsa_next_free_sgpr 1
		.amdhsa_reserve_vcc 0
		.amdhsa_float_round_mode_32 0
		.amdhsa_float_round_mode_16_64 0
		.amdhsa_float_denorm_mode_32 3
		.amdhsa_float_denorm_mode_16_64 3
		.amdhsa_dx10_clamp 1
		.amdhsa_ieee_mode 1
		.amdhsa_fp16_overflow 0
		.amdhsa_workgroup_processor_mode 1
		.amdhsa_memory_ordered 1
		.amdhsa_forward_progress 0
		.amdhsa_shared_vgpr_count 0
		.amdhsa_exception_fp_ieee_invalid_op 0
		.amdhsa_exception_fp_denorm_src 0
		.amdhsa_exception_fp_ieee_div_zero 0
		.amdhsa_exception_fp_ieee_overflow 0
		.amdhsa_exception_fp_ieee_underflow 0
		.amdhsa_exception_fp_ieee_inexact 0
		.amdhsa_exception_int_div_zero 0
	.end_amdhsa_kernel
	.section	.text._ZN7rocprim17ROCPRIM_400000_NS6detail17trampoline_kernelINS0_14default_configENS1_29reduce_by_key_config_selectorIiiN6thrust23THRUST_200600_302600_NS4plusIiEEEEZZNS1_33reduce_by_key_impl_wrapped_configILNS1_25lookback_scan_determinismE0ES3_S9_NS6_10device_ptrIiEESD_SD_SD_PmS8_NS6_8equal_toIiEEEE10hipError_tPvRmT2_T3_mT4_T5_T6_T7_T8_P12ihipStream_tbENKUlT_T0_E_clISt17integral_constantIbLb0EESY_EEDaST_SU_EUlST_E_NS1_11comp_targetILNS1_3genE8ELNS1_11target_archE1030ELNS1_3gpuE2ELNS1_3repE0EEENS1_30default_config_static_selectorELNS0_4arch9wavefront6targetE0EEEvT1_,"axG",@progbits,_ZN7rocprim17ROCPRIM_400000_NS6detail17trampoline_kernelINS0_14default_configENS1_29reduce_by_key_config_selectorIiiN6thrust23THRUST_200600_302600_NS4plusIiEEEEZZNS1_33reduce_by_key_impl_wrapped_configILNS1_25lookback_scan_determinismE0ES3_S9_NS6_10device_ptrIiEESD_SD_SD_PmS8_NS6_8equal_toIiEEEE10hipError_tPvRmT2_T3_mT4_T5_T6_T7_T8_P12ihipStream_tbENKUlT_T0_E_clISt17integral_constantIbLb0EESY_EEDaST_SU_EUlST_E_NS1_11comp_targetILNS1_3genE8ELNS1_11target_archE1030ELNS1_3gpuE2ELNS1_3repE0EEENS1_30default_config_static_selectorELNS0_4arch9wavefront6targetE0EEEvT1_,comdat
.Lfunc_end1102:
	.size	_ZN7rocprim17ROCPRIM_400000_NS6detail17trampoline_kernelINS0_14default_configENS1_29reduce_by_key_config_selectorIiiN6thrust23THRUST_200600_302600_NS4plusIiEEEEZZNS1_33reduce_by_key_impl_wrapped_configILNS1_25lookback_scan_determinismE0ES3_S9_NS6_10device_ptrIiEESD_SD_SD_PmS8_NS6_8equal_toIiEEEE10hipError_tPvRmT2_T3_mT4_T5_T6_T7_T8_P12ihipStream_tbENKUlT_T0_E_clISt17integral_constantIbLb0EESY_EEDaST_SU_EUlST_E_NS1_11comp_targetILNS1_3genE8ELNS1_11target_archE1030ELNS1_3gpuE2ELNS1_3repE0EEENS1_30default_config_static_selectorELNS0_4arch9wavefront6targetE0EEEvT1_, .Lfunc_end1102-_ZN7rocprim17ROCPRIM_400000_NS6detail17trampoline_kernelINS0_14default_configENS1_29reduce_by_key_config_selectorIiiN6thrust23THRUST_200600_302600_NS4plusIiEEEEZZNS1_33reduce_by_key_impl_wrapped_configILNS1_25lookback_scan_determinismE0ES3_S9_NS6_10device_ptrIiEESD_SD_SD_PmS8_NS6_8equal_toIiEEEE10hipError_tPvRmT2_T3_mT4_T5_T6_T7_T8_P12ihipStream_tbENKUlT_T0_E_clISt17integral_constantIbLb0EESY_EEDaST_SU_EUlST_E_NS1_11comp_targetILNS1_3genE8ELNS1_11target_archE1030ELNS1_3gpuE2ELNS1_3repE0EEENS1_30default_config_static_selectorELNS0_4arch9wavefront6targetE0EEEvT1_
                                        ; -- End function
	.section	.AMDGPU.csdata,"",@progbits
; Kernel info:
; codeLenInByte = 0
; NumSgprs: 0
; NumVgprs: 0
; ScratchSize: 0
; MemoryBound: 0
; FloatMode: 240
; IeeeMode: 1
; LDSByteSize: 0 bytes/workgroup (compile time only)
; SGPRBlocks: 0
; VGPRBlocks: 0
; NumSGPRsForWavesPerEU: 1
; NumVGPRsForWavesPerEU: 1
; Occupancy: 16
; WaveLimiterHint : 0
; COMPUTE_PGM_RSRC2:SCRATCH_EN: 0
; COMPUTE_PGM_RSRC2:USER_SGPR: 15
; COMPUTE_PGM_RSRC2:TRAP_HANDLER: 0
; COMPUTE_PGM_RSRC2:TGID_X_EN: 1
; COMPUTE_PGM_RSRC2:TGID_Y_EN: 0
; COMPUTE_PGM_RSRC2:TGID_Z_EN: 0
; COMPUTE_PGM_RSRC2:TIDIG_COMP_CNT: 0
	.section	.text._ZN7rocprim17ROCPRIM_400000_NS6detail17trampoline_kernelINS0_14default_configENS1_29reduce_by_key_config_selectorIiiN6thrust23THRUST_200600_302600_NS4plusIiEEEEZZNS1_33reduce_by_key_impl_wrapped_configILNS1_25lookback_scan_determinismE0ES3_S9_NS6_10device_ptrIiEESD_SD_SD_PmS8_NS6_8equal_toIiEEEE10hipError_tPvRmT2_T3_mT4_T5_T6_T7_T8_P12ihipStream_tbENKUlT_T0_E_clISt17integral_constantIbLb1EESY_EEDaST_SU_EUlST_E_NS1_11comp_targetILNS1_3genE0ELNS1_11target_archE4294967295ELNS1_3gpuE0ELNS1_3repE0EEENS1_30default_config_static_selectorELNS0_4arch9wavefront6targetE0EEEvT1_,"axG",@progbits,_ZN7rocprim17ROCPRIM_400000_NS6detail17trampoline_kernelINS0_14default_configENS1_29reduce_by_key_config_selectorIiiN6thrust23THRUST_200600_302600_NS4plusIiEEEEZZNS1_33reduce_by_key_impl_wrapped_configILNS1_25lookback_scan_determinismE0ES3_S9_NS6_10device_ptrIiEESD_SD_SD_PmS8_NS6_8equal_toIiEEEE10hipError_tPvRmT2_T3_mT4_T5_T6_T7_T8_P12ihipStream_tbENKUlT_T0_E_clISt17integral_constantIbLb1EESY_EEDaST_SU_EUlST_E_NS1_11comp_targetILNS1_3genE0ELNS1_11target_archE4294967295ELNS1_3gpuE0ELNS1_3repE0EEENS1_30default_config_static_selectorELNS0_4arch9wavefront6targetE0EEEvT1_,comdat
	.protected	_ZN7rocprim17ROCPRIM_400000_NS6detail17trampoline_kernelINS0_14default_configENS1_29reduce_by_key_config_selectorIiiN6thrust23THRUST_200600_302600_NS4plusIiEEEEZZNS1_33reduce_by_key_impl_wrapped_configILNS1_25lookback_scan_determinismE0ES3_S9_NS6_10device_ptrIiEESD_SD_SD_PmS8_NS6_8equal_toIiEEEE10hipError_tPvRmT2_T3_mT4_T5_T6_T7_T8_P12ihipStream_tbENKUlT_T0_E_clISt17integral_constantIbLb1EESY_EEDaST_SU_EUlST_E_NS1_11comp_targetILNS1_3genE0ELNS1_11target_archE4294967295ELNS1_3gpuE0ELNS1_3repE0EEENS1_30default_config_static_selectorELNS0_4arch9wavefront6targetE0EEEvT1_ ; -- Begin function _ZN7rocprim17ROCPRIM_400000_NS6detail17trampoline_kernelINS0_14default_configENS1_29reduce_by_key_config_selectorIiiN6thrust23THRUST_200600_302600_NS4plusIiEEEEZZNS1_33reduce_by_key_impl_wrapped_configILNS1_25lookback_scan_determinismE0ES3_S9_NS6_10device_ptrIiEESD_SD_SD_PmS8_NS6_8equal_toIiEEEE10hipError_tPvRmT2_T3_mT4_T5_T6_T7_T8_P12ihipStream_tbENKUlT_T0_E_clISt17integral_constantIbLb1EESY_EEDaST_SU_EUlST_E_NS1_11comp_targetILNS1_3genE0ELNS1_11target_archE4294967295ELNS1_3gpuE0ELNS1_3repE0EEENS1_30default_config_static_selectorELNS0_4arch9wavefront6targetE0EEEvT1_
	.globl	_ZN7rocprim17ROCPRIM_400000_NS6detail17trampoline_kernelINS0_14default_configENS1_29reduce_by_key_config_selectorIiiN6thrust23THRUST_200600_302600_NS4plusIiEEEEZZNS1_33reduce_by_key_impl_wrapped_configILNS1_25lookback_scan_determinismE0ES3_S9_NS6_10device_ptrIiEESD_SD_SD_PmS8_NS6_8equal_toIiEEEE10hipError_tPvRmT2_T3_mT4_T5_T6_T7_T8_P12ihipStream_tbENKUlT_T0_E_clISt17integral_constantIbLb1EESY_EEDaST_SU_EUlST_E_NS1_11comp_targetILNS1_3genE0ELNS1_11target_archE4294967295ELNS1_3gpuE0ELNS1_3repE0EEENS1_30default_config_static_selectorELNS0_4arch9wavefront6targetE0EEEvT1_
	.p2align	8
	.type	_ZN7rocprim17ROCPRIM_400000_NS6detail17trampoline_kernelINS0_14default_configENS1_29reduce_by_key_config_selectorIiiN6thrust23THRUST_200600_302600_NS4plusIiEEEEZZNS1_33reduce_by_key_impl_wrapped_configILNS1_25lookback_scan_determinismE0ES3_S9_NS6_10device_ptrIiEESD_SD_SD_PmS8_NS6_8equal_toIiEEEE10hipError_tPvRmT2_T3_mT4_T5_T6_T7_T8_P12ihipStream_tbENKUlT_T0_E_clISt17integral_constantIbLb1EESY_EEDaST_SU_EUlST_E_NS1_11comp_targetILNS1_3genE0ELNS1_11target_archE4294967295ELNS1_3gpuE0ELNS1_3repE0EEENS1_30default_config_static_selectorELNS0_4arch9wavefront6targetE0EEEvT1_,@function
_ZN7rocprim17ROCPRIM_400000_NS6detail17trampoline_kernelINS0_14default_configENS1_29reduce_by_key_config_selectorIiiN6thrust23THRUST_200600_302600_NS4plusIiEEEEZZNS1_33reduce_by_key_impl_wrapped_configILNS1_25lookback_scan_determinismE0ES3_S9_NS6_10device_ptrIiEESD_SD_SD_PmS8_NS6_8equal_toIiEEEE10hipError_tPvRmT2_T3_mT4_T5_T6_T7_T8_P12ihipStream_tbENKUlT_T0_E_clISt17integral_constantIbLb1EESY_EEDaST_SU_EUlST_E_NS1_11comp_targetILNS1_3genE0ELNS1_11target_archE4294967295ELNS1_3gpuE0ELNS1_3repE0EEENS1_30default_config_static_selectorELNS0_4arch9wavefront6targetE0EEEvT1_: ; @_ZN7rocprim17ROCPRIM_400000_NS6detail17trampoline_kernelINS0_14default_configENS1_29reduce_by_key_config_selectorIiiN6thrust23THRUST_200600_302600_NS4plusIiEEEEZZNS1_33reduce_by_key_impl_wrapped_configILNS1_25lookback_scan_determinismE0ES3_S9_NS6_10device_ptrIiEESD_SD_SD_PmS8_NS6_8equal_toIiEEEE10hipError_tPvRmT2_T3_mT4_T5_T6_T7_T8_P12ihipStream_tbENKUlT_T0_E_clISt17integral_constantIbLb1EESY_EEDaST_SU_EUlST_E_NS1_11comp_targetILNS1_3genE0ELNS1_11target_archE4294967295ELNS1_3gpuE0ELNS1_3repE0EEENS1_30default_config_static_selectorELNS0_4arch9wavefront6targetE0EEEvT1_
; %bb.0:
	.section	.rodata,"a",@progbits
	.p2align	6, 0x0
	.amdhsa_kernel _ZN7rocprim17ROCPRIM_400000_NS6detail17trampoline_kernelINS0_14default_configENS1_29reduce_by_key_config_selectorIiiN6thrust23THRUST_200600_302600_NS4plusIiEEEEZZNS1_33reduce_by_key_impl_wrapped_configILNS1_25lookback_scan_determinismE0ES3_S9_NS6_10device_ptrIiEESD_SD_SD_PmS8_NS6_8equal_toIiEEEE10hipError_tPvRmT2_T3_mT4_T5_T6_T7_T8_P12ihipStream_tbENKUlT_T0_E_clISt17integral_constantIbLb1EESY_EEDaST_SU_EUlST_E_NS1_11comp_targetILNS1_3genE0ELNS1_11target_archE4294967295ELNS1_3gpuE0ELNS1_3repE0EEENS1_30default_config_static_selectorELNS0_4arch9wavefront6targetE0EEEvT1_
		.amdhsa_group_segment_fixed_size 0
		.amdhsa_private_segment_fixed_size 0
		.amdhsa_kernarg_size 120
		.amdhsa_user_sgpr_count 15
		.amdhsa_user_sgpr_dispatch_ptr 0
		.amdhsa_user_sgpr_queue_ptr 0
		.amdhsa_user_sgpr_kernarg_segment_ptr 1
		.amdhsa_user_sgpr_dispatch_id 0
		.amdhsa_user_sgpr_private_segment_size 0
		.amdhsa_wavefront_size32 1
		.amdhsa_uses_dynamic_stack 0
		.amdhsa_enable_private_segment 0
		.amdhsa_system_sgpr_workgroup_id_x 1
		.amdhsa_system_sgpr_workgroup_id_y 0
		.amdhsa_system_sgpr_workgroup_id_z 0
		.amdhsa_system_sgpr_workgroup_info 0
		.amdhsa_system_vgpr_workitem_id 0
		.amdhsa_next_free_vgpr 1
		.amdhsa_next_free_sgpr 1
		.amdhsa_reserve_vcc 0
		.amdhsa_float_round_mode_32 0
		.amdhsa_float_round_mode_16_64 0
		.amdhsa_float_denorm_mode_32 3
		.amdhsa_float_denorm_mode_16_64 3
		.amdhsa_dx10_clamp 1
		.amdhsa_ieee_mode 1
		.amdhsa_fp16_overflow 0
		.amdhsa_workgroup_processor_mode 1
		.amdhsa_memory_ordered 1
		.amdhsa_forward_progress 0
		.amdhsa_shared_vgpr_count 0
		.amdhsa_exception_fp_ieee_invalid_op 0
		.amdhsa_exception_fp_denorm_src 0
		.amdhsa_exception_fp_ieee_div_zero 0
		.amdhsa_exception_fp_ieee_overflow 0
		.amdhsa_exception_fp_ieee_underflow 0
		.amdhsa_exception_fp_ieee_inexact 0
		.amdhsa_exception_int_div_zero 0
	.end_amdhsa_kernel
	.section	.text._ZN7rocprim17ROCPRIM_400000_NS6detail17trampoline_kernelINS0_14default_configENS1_29reduce_by_key_config_selectorIiiN6thrust23THRUST_200600_302600_NS4plusIiEEEEZZNS1_33reduce_by_key_impl_wrapped_configILNS1_25lookback_scan_determinismE0ES3_S9_NS6_10device_ptrIiEESD_SD_SD_PmS8_NS6_8equal_toIiEEEE10hipError_tPvRmT2_T3_mT4_T5_T6_T7_T8_P12ihipStream_tbENKUlT_T0_E_clISt17integral_constantIbLb1EESY_EEDaST_SU_EUlST_E_NS1_11comp_targetILNS1_3genE0ELNS1_11target_archE4294967295ELNS1_3gpuE0ELNS1_3repE0EEENS1_30default_config_static_selectorELNS0_4arch9wavefront6targetE0EEEvT1_,"axG",@progbits,_ZN7rocprim17ROCPRIM_400000_NS6detail17trampoline_kernelINS0_14default_configENS1_29reduce_by_key_config_selectorIiiN6thrust23THRUST_200600_302600_NS4plusIiEEEEZZNS1_33reduce_by_key_impl_wrapped_configILNS1_25lookback_scan_determinismE0ES3_S9_NS6_10device_ptrIiEESD_SD_SD_PmS8_NS6_8equal_toIiEEEE10hipError_tPvRmT2_T3_mT4_T5_T6_T7_T8_P12ihipStream_tbENKUlT_T0_E_clISt17integral_constantIbLb1EESY_EEDaST_SU_EUlST_E_NS1_11comp_targetILNS1_3genE0ELNS1_11target_archE4294967295ELNS1_3gpuE0ELNS1_3repE0EEENS1_30default_config_static_selectorELNS0_4arch9wavefront6targetE0EEEvT1_,comdat
.Lfunc_end1103:
	.size	_ZN7rocprim17ROCPRIM_400000_NS6detail17trampoline_kernelINS0_14default_configENS1_29reduce_by_key_config_selectorIiiN6thrust23THRUST_200600_302600_NS4plusIiEEEEZZNS1_33reduce_by_key_impl_wrapped_configILNS1_25lookback_scan_determinismE0ES3_S9_NS6_10device_ptrIiEESD_SD_SD_PmS8_NS6_8equal_toIiEEEE10hipError_tPvRmT2_T3_mT4_T5_T6_T7_T8_P12ihipStream_tbENKUlT_T0_E_clISt17integral_constantIbLb1EESY_EEDaST_SU_EUlST_E_NS1_11comp_targetILNS1_3genE0ELNS1_11target_archE4294967295ELNS1_3gpuE0ELNS1_3repE0EEENS1_30default_config_static_selectorELNS0_4arch9wavefront6targetE0EEEvT1_, .Lfunc_end1103-_ZN7rocprim17ROCPRIM_400000_NS6detail17trampoline_kernelINS0_14default_configENS1_29reduce_by_key_config_selectorIiiN6thrust23THRUST_200600_302600_NS4plusIiEEEEZZNS1_33reduce_by_key_impl_wrapped_configILNS1_25lookback_scan_determinismE0ES3_S9_NS6_10device_ptrIiEESD_SD_SD_PmS8_NS6_8equal_toIiEEEE10hipError_tPvRmT2_T3_mT4_T5_T6_T7_T8_P12ihipStream_tbENKUlT_T0_E_clISt17integral_constantIbLb1EESY_EEDaST_SU_EUlST_E_NS1_11comp_targetILNS1_3genE0ELNS1_11target_archE4294967295ELNS1_3gpuE0ELNS1_3repE0EEENS1_30default_config_static_selectorELNS0_4arch9wavefront6targetE0EEEvT1_
                                        ; -- End function
	.section	.AMDGPU.csdata,"",@progbits
; Kernel info:
; codeLenInByte = 0
; NumSgprs: 0
; NumVgprs: 0
; ScratchSize: 0
; MemoryBound: 0
; FloatMode: 240
; IeeeMode: 1
; LDSByteSize: 0 bytes/workgroup (compile time only)
; SGPRBlocks: 0
; VGPRBlocks: 0
; NumSGPRsForWavesPerEU: 1
; NumVGPRsForWavesPerEU: 1
; Occupancy: 16
; WaveLimiterHint : 0
; COMPUTE_PGM_RSRC2:SCRATCH_EN: 0
; COMPUTE_PGM_RSRC2:USER_SGPR: 15
; COMPUTE_PGM_RSRC2:TRAP_HANDLER: 0
; COMPUTE_PGM_RSRC2:TGID_X_EN: 1
; COMPUTE_PGM_RSRC2:TGID_Y_EN: 0
; COMPUTE_PGM_RSRC2:TGID_Z_EN: 0
; COMPUTE_PGM_RSRC2:TIDIG_COMP_CNT: 0
	.section	.text._ZN7rocprim17ROCPRIM_400000_NS6detail17trampoline_kernelINS0_14default_configENS1_29reduce_by_key_config_selectorIiiN6thrust23THRUST_200600_302600_NS4plusIiEEEEZZNS1_33reduce_by_key_impl_wrapped_configILNS1_25lookback_scan_determinismE0ES3_S9_NS6_10device_ptrIiEESD_SD_SD_PmS8_NS6_8equal_toIiEEEE10hipError_tPvRmT2_T3_mT4_T5_T6_T7_T8_P12ihipStream_tbENKUlT_T0_E_clISt17integral_constantIbLb1EESY_EEDaST_SU_EUlST_E_NS1_11comp_targetILNS1_3genE5ELNS1_11target_archE942ELNS1_3gpuE9ELNS1_3repE0EEENS1_30default_config_static_selectorELNS0_4arch9wavefront6targetE0EEEvT1_,"axG",@progbits,_ZN7rocprim17ROCPRIM_400000_NS6detail17trampoline_kernelINS0_14default_configENS1_29reduce_by_key_config_selectorIiiN6thrust23THRUST_200600_302600_NS4plusIiEEEEZZNS1_33reduce_by_key_impl_wrapped_configILNS1_25lookback_scan_determinismE0ES3_S9_NS6_10device_ptrIiEESD_SD_SD_PmS8_NS6_8equal_toIiEEEE10hipError_tPvRmT2_T3_mT4_T5_T6_T7_T8_P12ihipStream_tbENKUlT_T0_E_clISt17integral_constantIbLb1EESY_EEDaST_SU_EUlST_E_NS1_11comp_targetILNS1_3genE5ELNS1_11target_archE942ELNS1_3gpuE9ELNS1_3repE0EEENS1_30default_config_static_selectorELNS0_4arch9wavefront6targetE0EEEvT1_,comdat
	.protected	_ZN7rocprim17ROCPRIM_400000_NS6detail17trampoline_kernelINS0_14default_configENS1_29reduce_by_key_config_selectorIiiN6thrust23THRUST_200600_302600_NS4plusIiEEEEZZNS1_33reduce_by_key_impl_wrapped_configILNS1_25lookback_scan_determinismE0ES3_S9_NS6_10device_ptrIiEESD_SD_SD_PmS8_NS6_8equal_toIiEEEE10hipError_tPvRmT2_T3_mT4_T5_T6_T7_T8_P12ihipStream_tbENKUlT_T0_E_clISt17integral_constantIbLb1EESY_EEDaST_SU_EUlST_E_NS1_11comp_targetILNS1_3genE5ELNS1_11target_archE942ELNS1_3gpuE9ELNS1_3repE0EEENS1_30default_config_static_selectorELNS0_4arch9wavefront6targetE0EEEvT1_ ; -- Begin function _ZN7rocprim17ROCPRIM_400000_NS6detail17trampoline_kernelINS0_14default_configENS1_29reduce_by_key_config_selectorIiiN6thrust23THRUST_200600_302600_NS4plusIiEEEEZZNS1_33reduce_by_key_impl_wrapped_configILNS1_25lookback_scan_determinismE0ES3_S9_NS6_10device_ptrIiEESD_SD_SD_PmS8_NS6_8equal_toIiEEEE10hipError_tPvRmT2_T3_mT4_T5_T6_T7_T8_P12ihipStream_tbENKUlT_T0_E_clISt17integral_constantIbLb1EESY_EEDaST_SU_EUlST_E_NS1_11comp_targetILNS1_3genE5ELNS1_11target_archE942ELNS1_3gpuE9ELNS1_3repE0EEENS1_30default_config_static_selectorELNS0_4arch9wavefront6targetE0EEEvT1_
	.globl	_ZN7rocprim17ROCPRIM_400000_NS6detail17trampoline_kernelINS0_14default_configENS1_29reduce_by_key_config_selectorIiiN6thrust23THRUST_200600_302600_NS4plusIiEEEEZZNS1_33reduce_by_key_impl_wrapped_configILNS1_25lookback_scan_determinismE0ES3_S9_NS6_10device_ptrIiEESD_SD_SD_PmS8_NS6_8equal_toIiEEEE10hipError_tPvRmT2_T3_mT4_T5_T6_T7_T8_P12ihipStream_tbENKUlT_T0_E_clISt17integral_constantIbLb1EESY_EEDaST_SU_EUlST_E_NS1_11comp_targetILNS1_3genE5ELNS1_11target_archE942ELNS1_3gpuE9ELNS1_3repE0EEENS1_30default_config_static_selectorELNS0_4arch9wavefront6targetE0EEEvT1_
	.p2align	8
	.type	_ZN7rocprim17ROCPRIM_400000_NS6detail17trampoline_kernelINS0_14default_configENS1_29reduce_by_key_config_selectorIiiN6thrust23THRUST_200600_302600_NS4plusIiEEEEZZNS1_33reduce_by_key_impl_wrapped_configILNS1_25lookback_scan_determinismE0ES3_S9_NS6_10device_ptrIiEESD_SD_SD_PmS8_NS6_8equal_toIiEEEE10hipError_tPvRmT2_T3_mT4_T5_T6_T7_T8_P12ihipStream_tbENKUlT_T0_E_clISt17integral_constantIbLb1EESY_EEDaST_SU_EUlST_E_NS1_11comp_targetILNS1_3genE5ELNS1_11target_archE942ELNS1_3gpuE9ELNS1_3repE0EEENS1_30default_config_static_selectorELNS0_4arch9wavefront6targetE0EEEvT1_,@function
_ZN7rocprim17ROCPRIM_400000_NS6detail17trampoline_kernelINS0_14default_configENS1_29reduce_by_key_config_selectorIiiN6thrust23THRUST_200600_302600_NS4plusIiEEEEZZNS1_33reduce_by_key_impl_wrapped_configILNS1_25lookback_scan_determinismE0ES3_S9_NS6_10device_ptrIiEESD_SD_SD_PmS8_NS6_8equal_toIiEEEE10hipError_tPvRmT2_T3_mT4_T5_T6_T7_T8_P12ihipStream_tbENKUlT_T0_E_clISt17integral_constantIbLb1EESY_EEDaST_SU_EUlST_E_NS1_11comp_targetILNS1_3genE5ELNS1_11target_archE942ELNS1_3gpuE9ELNS1_3repE0EEENS1_30default_config_static_selectorELNS0_4arch9wavefront6targetE0EEEvT1_: ; @_ZN7rocprim17ROCPRIM_400000_NS6detail17trampoline_kernelINS0_14default_configENS1_29reduce_by_key_config_selectorIiiN6thrust23THRUST_200600_302600_NS4plusIiEEEEZZNS1_33reduce_by_key_impl_wrapped_configILNS1_25lookback_scan_determinismE0ES3_S9_NS6_10device_ptrIiEESD_SD_SD_PmS8_NS6_8equal_toIiEEEE10hipError_tPvRmT2_T3_mT4_T5_T6_T7_T8_P12ihipStream_tbENKUlT_T0_E_clISt17integral_constantIbLb1EESY_EEDaST_SU_EUlST_E_NS1_11comp_targetILNS1_3genE5ELNS1_11target_archE942ELNS1_3gpuE9ELNS1_3repE0EEENS1_30default_config_static_selectorELNS0_4arch9wavefront6targetE0EEEvT1_
; %bb.0:
	.section	.rodata,"a",@progbits
	.p2align	6, 0x0
	.amdhsa_kernel _ZN7rocprim17ROCPRIM_400000_NS6detail17trampoline_kernelINS0_14default_configENS1_29reduce_by_key_config_selectorIiiN6thrust23THRUST_200600_302600_NS4plusIiEEEEZZNS1_33reduce_by_key_impl_wrapped_configILNS1_25lookback_scan_determinismE0ES3_S9_NS6_10device_ptrIiEESD_SD_SD_PmS8_NS6_8equal_toIiEEEE10hipError_tPvRmT2_T3_mT4_T5_T6_T7_T8_P12ihipStream_tbENKUlT_T0_E_clISt17integral_constantIbLb1EESY_EEDaST_SU_EUlST_E_NS1_11comp_targetILNS1_3genE5ELNS1_11target_archE942ELNS1_3gpuE9ELNS1_3repE0EEENS1_30default_config_static_selectorELNS0_4arch9wavefront6targetE0EEEvT1_
		.amdhsa_group_segment_fixed_size 0
		.amdhsa_private_segment_fixed_size 0
		.amdhsa_kernarg_size 120
		.amdhsa_user_sgpr_count 15
		.amdhsa_user_sgpr_dispatch_ptr 0
		.amdhsa_user_sgpr_queue_ptr 0
		.amdhsa_user_sgpr_kernarg_segment_ptr 1
		.amdhsa_user_sgpr_dispatch_id 0
		.amdhsa_user_sgpr_private_segment_size 0
		.amdhsa_wavefront_size32 1
		.amdhsa_uses_dynamic_stack 0
		.amdhsa_enable_private_segment 0
		.amdhsa_system_sgpr_workgroup_id_x 1
		.amdhsa_system_sgpr_workgroup_id_y 0
		.amdhsa_system_sgpr_workgroup_id_z 0
		.amdhsa_system_sgpr_workgroup_info 0
		.amdhsa_system_vgpr_workitem_id 0
		.amdhsa_next_free_vgpr 1
		.amdhsa_next_free_sgpr 1
		.amdhsa_reserve_vcc 0
		.amdhsa_float_round_mode_32 0
		.amdhsa_float_round_mode_16_64 0
		.amdhsa_float_denorm_mode_32 3
		.amdhsa_float_denorm_mode_16_64 3
		.amdhsa_dx10_clamp 1
		.amdhsa_ieee_mode 1
		.amdhsa_fp16_overflow 0
		.amdhsa_workgroup_processor_mode 1
		.amdhsa_memory_ordered 1
		.amdhsa_forward_progress 0
		.amdhsa_shared_vgpr_count 0
		.amdhsa_exception_fp_ieee_invalid_op 0
		.amdhsa_exception_fp_denorm_src 0
		.amdhsa_exception_fp_ieee_div_zero 0
		.amdhsa_exception_fp_ieee_overflow 0
		.amdhsa_exception_fp_ieee_underflow 0
		.amdhsa_exception_fp_ieee_inexact 0
		.amdhsa_exception_int_div_zero 0
	.end_amdhsa_kernel
	.section	.text._ZN7rocprim17ROCPRIM_400000_NS6detail17trampoline_kernelINS0_14default_configENS1_29reduce_by_key_config_selectorIiiN6thrust23THRUST_200600_302600_NS4plusIiEEEEZZNS1_33reduce_by_key_impl_wrapped_configILNS1_25lookback_scan_determinismE0ES3_S9_NS6_10device_ptrIiEESD_SD_SD_PmS8_NS6_8equal_toIiEEEE10hipError_tPvRmT2_T3_mT4_T5_T6_T7_T8_P12ihipStream_tbENKUlT_T0_E_clISt17integral_constantIbLb1EESY_EEDaST_SU_EUlST_E_NS1_11comp_targetILNS1_3genE5ELNS1_11target_archE942ELNS1_3gpuE9ELNS1_3repE0EEENS1_30default_config_static_selectorELNS0_4arch9wavefront6targetE0EEEvT1_,"axG",@progbits,_ZN7rocprim17ROCPRIM_400000_NS6detail17trampoline_kernelINS0_14default_configENS1_29reduce_by_key_config_selectorIiiN6thrust23THRUST_200600_302600_NS4plusIiEEEEZZNS1_33reduce_by_key_impl_wrapped_configILNS1_25lookback_scan_determinismE0ES3_S9_NS6_10device_ptrIiEESD_SD_SD_PmS8_NS6_8equal_toIiEEEE10hipError_tPvRmT2_T3_mT4_T5_T6_T7_T8_P12ihipStream_tbENKUlT_T0_E_clISt17integral_constantIbLb1EESY_EEDaST_SU_EUlST_E_NS1_11comp_targetILNS1_3genE5ELNS1_11target_archE942ELNS1_3gpuE9ELNS1_3repE0EEENS1_30default_config_static_selectorELNS0_4arch9wavefront6targetE0EEEvT1_,comdat
.Lfunc_end1104:
	.size	_ZN7rocprim17ROCPRIM_400000_NS6detail17trampoline_kernelINS0_14default_configENS1_29reduce_by_key_config_selectorIiiN6thrust23THRUST_200600_302600_NS4plusIiEEEEZZNS1_33reduce_by_key_impl_wrapped_configILNS1_25lookback_scan_determinismE0ES3_S9_NS6_10device_ptrIiEESD_SD_SD_PmS8_NS6_8equal_toIiEEEE10hipError_tPvRmT2_T3_mT4_T5_T6_T7_T8_P12ihipStream_tbENKUlT_T0_E_clISt17integral_constantIbLb1EESY_EEDaST_SU_EUlST_E_NS1_11comp_targetILNS1_3genE5ELNS1_11target_archE942ELNS1_3gpuE9ELNS1_3repE0EEENS1_30default_config_static_selectorELNS0_4arch9wavefront6targetE0EEEvT1_, .Lfunc_end1104-_ZN7rocprim17ROCPRIM_400000_NS6detail17trampoline_kernelINS0_14default_configENS1_29reduce_by_key_config_selectorIiiN6thrust23THRUST_200600_302600_NS4plusIiEEEEZZNS1_33reduce_by_key_impl_wrapped_configILNS1_25lookback_scan_determinismE0ES3_S9_NS6_10device_ptrIiEESD_SD_SD_PmS8_NS6_8equal_toIiEEEE10hipError_tPvRmT2_T3_mT4_T5_T6_T7_T8_P12ihipStream_tbENKUlT_T0_E_clISt17integral_constantIbLb1EESY_EEDaST_SU_EUlST_E_NS1_11comp_targetILNS1_3genE5ELNS1_11target_archE942ELNS1_3gpuE9ELNS1_3repE0EEENS1_30default_config_static_selectorELNS0_4arch9wavefront6targetE0EEEvT1_
                                        ; -- End function
	.section	.AMDGPU.csdata,"",@progbits
; Kernel info:
; codeLenInByte = 0
; NumSgprs: 0
; NumVgprs: 0
; ScratchSize: 0
; MemoryBound: 0
; FloatMode: 240
; IeeeMode: 1
; LDSByteSize: 0 bytes/workgroup (compile time only)
; SGPRBlocks: 0
; VGPRBlocks: 0
; NumSGPRsForWavesPerEU: 1
; NumVGPRsForWavesPerEU: 1
; Occupancy: 16
; WaveLimiterHint : 0
; COMPUTE_PGM_RSRC2:SCRATCH_EN: 0
; COMPUTE_PGM_RSRC2:USER_SGPR: 15
; COMPUTE_PGM_RSRC2:TRAP_HANDLER: 0
; COMPUTE_PGM_RSRC2:TGID_X_EN: 1
; COMPUTE_PGM_RSRC2:TGID_Y_EN: 0
; COMPUTE_PGM_RSRC2:TGID_Z_EN: 0
; COMPUTE_PGM_RSRC2:TIDIG_COMP_CNT: 0
	.section	.text._ZN7rocprim17ROCPRIM_400000_NS6detail17trampoline_kernelINS0_14default_configENS1_29reduce_by_key_config_selectorIiiN6thrust23THRUST_200600_302600_NS4plusIiEEEEZZNS1_33reduce_by_key_impl_wrapped_configILNS1_25lookback_scan_determinismE0ES3_S9_NS6_10device_ptrIiEESD_SD_SD_PmS8_NS6_8equal_toIiEEEE10hipError_tPvRmT2_T3_mT4_T5_T6_T7_T8_P12ihipStream_tbENKUlT_T0_E_clISt17integral_constantIbLb1EESY_EEDaST_SU_EUlST_E_NS1_11comp_targetILNS1_3genE4ELNS1_11target_archE910ELNS1_3gpuE8ELNS1_3repE0EEENS1_30default_config_static_selectorELNS0_4arch9wavefront6targetE0EEEvT1_,"axG",@progbits,_ZN7rocprim17ROCPRIM_400000_NS6detail17trampoline_kernelINS0_14default_configENS1_29reduce_by_key_config_selectorIiiN6thrust23THRUST_200600_302600_NS4plusIiEEEEZZNS1_33reduce_by_key_impl_wrapped_configILNS1_25lookback_scan_determinismE0ES3_S9_NS6_10device_ptrIiEESD_SD_SD_PmS8_NS6_8equal_toIiEEEE10hipError_tPvRmT2_T3_mT4_T5_T6_T7_T8_P12ihipStream_tbENKUlT_T0_E_clISt17integral_constantIbLb1EESY_EEDaST_SU_EUlST_E_NS1_11comp_targetILNS1_3genE4ELNS1_11target_archE910ELNS1_3gpuE8ELNS1_3repE0EEENS1_30default_config_static_selectorELNS0_4arch9wavefront6targetE0EEEvT1_,comdat
	.protected	_ZN7rocprim17ROCPRIM_400000_NS6detail17trampoline_kernelINS0_14default_configENS1_29reduce_by_key_config_selectorIiiN6thrust23THRUST_200600_302600_NS4plusIiEEEEZZNS1_33reduce_by_key_impl_wrapped_configILNS1_25lookback_scan_determinismE0ES3_S9_NS6_10device_ptrIiEESD_SD_SD_PmS8_NS6_8equal_toIiEEEE10hipError_tPvRmT2_T3_mT4_T5_T6_T7_T8_P12ihipStream_tbENKUlT_T0_E_clISt17integral_constantIbLb1EESY_EEDaST_SU_EUlST_E_NS1_11comp_targetILNS1_3genE4ELNS1_11target_archE910ELNS1_3gpuE8ELNS1_3repE0EEENS1_30default_config_static_selectorELNS0_4arch9wavefront6targetE0EEEvT1_ ; -- Begin function _ZN7rocprim17ROCPRIM_400000_NS6detail17trampoline_kernelINS0_14default_configENS1_29reduce_by_key_config_selectorIiiN6thrust23THRUST_200600_302600_NS4plusIiEEEEZZNS1_33reduce_by_key_impl_wrapped_configILNS1_25lookback_scan_determinismE0ES3_S9_NS6_10device_ptrIiEESD_SD_SD_PmS8_NS6_8equal_toIiEEEE10hipError_tPvRmT2_T3_mT4_T5_T6_T7_T8_P12ihipStream_tbENKUlT_T0_E_clISt17integral_constantIbLb1EESY_EEDaST_SU_EUlST_E_NS1_11comp_targetILNS1_3genE4ELNS1_11target_archE910ELNS1_3gpuE8ELNS1_3repE0EEENS1_30default_config_static_selectorELNS0_4arch9wavefront6targetE0EEEvT1_
	.globl	_ZN7rocprim17ROCPRIM_400000_NS6detail17trampoline_kernelINS0_14default_configENS1_29reduce_by_key_config_selectorIiiN6thrust23THRUST_200600_302600_NS4plusIiEEEEZZNS1_33reduce_by_key_impl_wrapped_configILNS1_25lookback_scan_determinismE0ES3_S9_NS6_10device_ptrIiEESD_SD_SD_PmS8_NS6_8equal_toIiEEEE10hipError_tPvRmT2_T3_mT4_T5_T6_T7_T8_P12ihipStream_tbENKUlT_T0_E_clISt17integral_constantIbLb1EESY_EEDaST_SU_EUlST_E_NS1_11comp_targetILNS1_3genE4ELNS1_11target_archE910ELNS1_3gpuE8ELNS1_3repE0EEENS1_30default_config_static_selectorELNS0_4arch9wavefront6targetE0EEEvT1_
	.p2align	8
	.type	_ZN7rocprim17ROCPRIM_400000_NS6detail17trampoline_kernelINS0_14default_configENS1_29reduce_by_key_config_selectorIiiN6thrust23THRUST_200600_302600_NS4plusIiEEEEZZNS1_33reduce_by_key_impl_wrapped_configILNS1_25lookback_scan_determinismE0ES3_S9_NS6_10device_ptrIiEESD_SD_SD_PmS8_NS6_8equal_toIiEEEE10hipError_tPvRmT2_T3_mT4_T5_T6_T7_T8_P12ihipStream_tbENKUlT_T0_E_clISt17integral_constantIbLb1EESY_EEDaST_SU_EUlST_E_NS1_11comp_targetILNS1_3genE4ELNS1_11target_archE910ELNS1_3gpuE8ELNS1_3repE0EEENS1_30default_config_static_selectorELNS0_4arch9wavefront6targetE0EEEvT1_,@function
_ZN7rocprim17ROCPRIM_400000_NS6detail17trampoline_kernelINS0_14default_configENS1_29reduce_by_key_config_selectorIiiN6thrust23THRUST_200600_302600_NS4plusIiEEEEZZNS1_33reduce_by_key_impl_wrapped_configILNS1_25lookback_scan_determinismE0ES3_S9_NS6_10device_ptrIiEESD_SD_SD_PmS8_NS6_8equal_toIiEEEE10hipError_tPvRmT2_T3_mT4_T5_T6_T7_T8_P12ihipStream_tbENKUlT_T0_E_clISt17integral_constantIbLb1EESY_EEDaST_SU_EUlST_E_NS1_11comp_targetILNS1_3genE4ELNS1_11target_archE910ELNS1_3gpuE8ELNS1_3repE0EEENS1_30default_config_static_selectorELNS0_4arch9wavefront6targetE0EEEvT1_: ; @_ZN7rocprim17ROCPRIM_400000_NS6detail17trampoline_kernelINS0_14default_configENS1_29reduce_by_key_config_selectorIiiN6thrust23THRUST_200600_302600_NS4plusIiEEEEZZNS1_33reduce_by_key_impl_wrapped_configILNS1_25lookback_scan_determinismE0ES3_S9_NS6_10device_ptrIiEESD_SD_SD_PmS8_NS6_8equal_toIiEEEE10hipError_tPvRmT2_T3_mT4_T5_T6_T7_T8_P12ihipStream_tbENKUlT_T0_E_clISt17integral_constantIbLb1EESY_EEDaST_SU_EUlST_E_NS1_11comp_targetILNS1_3genE4ELNS1_11target_archE910ELNS1_3gpuE8ELNS1_3repE0EEENS1_30default_config_static_selectorELNS0_4arch9wavefront6targetE0EEEvT1_
; %bb.0:
	.section	.rodata,"a",@progbits
	.p2align	6, 0x0
	.amdhsa_kernel _ZN7rocprim17ROCPRIM_400000_NS6detail17trampoline_kernelINS0_14default_configENS1_29reduce_by_key_config_selectorIiiN6thrust23THRUST_200600_302600_NS4plusIiEEEEZZNS1_33reduce_by_key_impl_wrapped_configILNS1_25lookback_scan_determinismE0ES3_S9_NS6_10device_ptrIiEESD_SD_SD_PmS8_NS6_8equal_toIiEEEE10hipError_tPvRmT2_T3_mT4_T5_T6_T7_T8_P12ihipStream_tbENKUlT_T0_E_clISt17integral_constantIbLb1EESY_EEDaST_SU_EUlST_E_NS1_11comp_targetILNS1_3genE4ELNS1_11target_archE910ELNS1_3gpuE8ELNS1_3repE0EEENS1_30default_config_static_selectorELNS0_4arch9wavefront6targetE0EEEvT1_
		.amdhsa_group_segment_fixed_size 0
		.amdhsa_private_segment_fixed_size 0
		.amdhsa_kernarg_size 120
		.amdhsa_user_sgpr_count 15
		.amdhsa_user_sgpr_dispatch_ptr 0
		.amdhsa_user_sgpr_queue_ptr 0
		.amdhsa_user_sgpr_kernarg_segment_ptr 1
		.amdhsa_user_sgpr_dispatch_id 0
		.amdhsa_user_sgpr_private_segment_size 0
		.amdhsa_wavefront_size32 1
		.amdhsa_uses_dynamic_stack 0
		.amdhsa_enable_private_segment 0
		.amdhsa_system_sgpr_workgroup_id_x 1
		.amdhsa_system_sgpr_workgroup_id_y 0
		.amdhsa_system_sgpr_workgroup_id_z 0
		.amdhsa_system_sgpr_workgroup_info 0
		.amdhsa_system_vgpr_workitem_id 0
		.amdhsa_next_free_vgpr 1
		.amdhsa_next_free_sgpr 1
		.amdhsa_reserve_vcc 0
		.amdhsa_float_round_mode_32 0
		.amdhsa_float_round_mode_16_64 0
		.amdhsa_float_denorm_mode_32 3
		.amdhsa_float_denorm_mode_16_64 3
		.amdhsa_dx10_clamp 1
		.amdhsa_ieee_mode 1
		.amdhsa_fp16_overflow 0
		.amdhsa_workgroup_processor_mode 1
		.amdhsa_memory_ordered 1
		.amdhsa_forward_progress 0
		.amdhsa_shared_vgpr_count 0
		.amdhsa_exception_fp_ieee_invalid_op 0
		.amdhsa_exception_fp_denorm_src 0
		.amdhsa_exception_fp_ieee_div_zero 0
		.amdhsa_exception_fp_ieee_overflow 0
		.amdhsa_exception_fp_ieee_underflow 0
		.amdhsa_exception_fp_ieee_inexact 0
		.amdhsa_exception_int_div_zero 0
	.end_amdhsa_kernel
	.section	.text._ZN7rocprim17ROCPRIM_400000_NS6detail17trampoline_kernelINS0_14default_configENS1_29reduce_by_key_config_selectorIiiN6thrust23THRUST_200600_302600_NS4plusIiEEEEZZNS1_33reduce_by_key_impl_wrapped_configILNS1_25lookback_scan_determinismE0ES3_S9_NS6_10device_ptrIiEESD_SD_SD_PmS8_NS6_8equal_toIiEEEE10hipError_tPvRmT2_T3_mT4_T5_T6_T7_T8_P12ihipStream_tbENKUlT_T0_E_clISt17integral_constantIbLb1EESY_EEDaST_SU_EUlST_E_NS1_11comp_targetILNS1_3genE4ELNS1_11target_archE910ELNS1_3gpuE8ELNS1_3repE0EEENS1_30default_config_static_selectorELNS0_4arch9wavefront6targetE0EEEvT1_,"axG",@progbits,_ZN7rocprim17ROCPRIM_400000_NS6detail17trampoline_kernelINS0_14default_configENS1_29reduce_by_key_config_selectorIiiN6thrust23THRUST_200600_302600_NS4plusIiEEEEZZNS1_33reduce_by_key_impl_wrapped_configILNS1_25lookback_scan_determinismE0ES3_S9_NS6_10device_ptrIiEESD_SD_SD_PmS8_NS6_8equal_toIiEEEE10hipError_tPvRmT2_T3_mT4_T5_T6_T7_T8_P12ihipStream_tbENKUlT_T0_E_clISt17integral_constantIbLb1EESY_EEDaST_SU_EUlST_E_NS1_11comp_targetILNS1_3genE4ELNS1_11target_archE910ELNS1_3gpuE8ELNS1_3repE0EEENS1_30default_config_static_selectorELNS0_4arch9wavefront6targetE0EEEvT1_,comdat
.Lfunc_end1105:
	.size	_ZN7rocprim17ROCPRIM_400000_NS6detail17trampoline_kernelINS0_14default_configENS1_29reduce_by_key_config_selectorIiiN6thrust23THRUST_200600_302600_NS4plusIiEEEEZZNS1_33reduce_by_key_impl_wrapped_configILNS1_25lookback_scan_determinismE0ES3_S9_NS6_10device_ptrIiEESD_SD_SD_PmS8_NS6_8equal_toIiEEEE10hipError_tPvRmT2_T3_mT4_T5_T6_T7_T8_P12ihipStream_tbENKUlT_T0_E_clISt17integral_constantIbLb1EESY_EEDaST_SU_EUlST_E_NS1_11comp_targetILNS1_3genE4ELNS1_11target_archE910ELNS1_3gpuE8ELNS1_3repE0EEENS1_30default_config_static_selectorELNS0_4arch9wavefront6targetE0EEEvT1_, .Lfunc_end1105-_ZN7rocprim17ROCPRIM_400000_NS6detail17trampoline_kernelINS0_14default_configENS1_29reduce_by_key_config_selectorIiiN6thrust23THRUST_200600_302600_NS4plusIiEEEEZZNS1_33reduce_by_key_impl_wrapped_configILNS1_25lookback_scan_determinismE0ES3_S9_NS6_10device_ptrIiEESD_SD_SD_PmS8_NS6_8equal_toIiEEEE10hipError_tPvRmT2_T3_mT4_T5_T6_T7_T8_P12ihipStream_tbENKUlT_T0_E_clISt17integral_constantIbLb1EESY_EEDaST_SU_EUlST_E_NS1_11comp_targetILNS1_3genE4ELNS1_11target_archE910ELNS1_3gpuE8ELNS1_3repE0EEENS1_30default_config_static_selectorELNS0_4arch9wavefront6targetE0EEEvT1_
                                        ; -- End function
	.section	.AMDGPU.csdata,"",@progbits
; Kernel info:
; codeLenInByte = 0
; NumSgprs: 0
; NumVgprs: 0
; ScratchSize: 0
; MemoryBound: 0
; FloatMode: 240
; IeeeMode: 1
; LDSByteSize: 0 bytes/workgroup (compile time only)
; SGPRBlocks: 0
; VGPRBlocks: 0
; NumSGPRsForWavesPerEU: 1
; NumVGPRsForWavesPerEU: 1
; Occupancy: 16
; WaveLimiterHint : 0
; COMPUTE_PGM_RSRC2:SCRATCH_EN: 0
; COMPUTE_PGM_RSRC2:USER_SGPR: 15
; COMPUTE_PGM_RSRC2:TRAP_HANDLER: 0
; COMPUTE_PGM_RSRC2:TGID_X_EN: 1
; COMPUTE_PGM_RSRC2:TGID_Y_EN: 0
; COMPUTE_PGM_RSRC2:TGID_Z_EN: 0
; COMPUTE_PGM_RSRC2:TIDIG_COMP_CNT: 0
	.section	.text._ZN7rocprim17ROCPRIM_400000_NS6detail17trampoline_kernelINS0_14default_configENS1_29reduce_by_key_config_selectorIiiN6thrust23THRUST_200600_302600_NS4plusIiEEEEZZNS1_33reduce_by_key_impl_wrapped_configILNS1_25lookback_scan_determinismE0ES3_S9_NS6_10device_ptrIiEESD_SD_SD_PmS8_NS6_8equal_toIiEEEE10hipError_tPvRmT2_T3_mT4_T5_T6_T7_T8_P12ihipStream_tbENKUlT_T0_E_clISt17integral_constantIbLb1EESY_EEDaST_SU_EUlST_E_NS1_11comp_targetILNS1_3genE3ELNS1_11target_archE908ELNS1_3gpuE7ELNS1_3repE0EEENS1_30default_config_static_selectorELNS0_4arch9wavefront6targetE0EEEvT1_,"axG",@progbits,_ZN7rocprim17ROCPRIM_400000_NS6detail17trampoline_kernelINS0_14default_configENS1_29reduce_by_key_config_selectorIiiN6thrust23THRUST_200600_302600_NS4plusIiEEEEZZNS1_33reduce_by_key_impl_wrapped_configILNS1_25lookback_scan_determinismE0ES3_S9_NS6_10device_ptrIiEESD_SD_SD_PmS8_NS6_8equal_toIiEEEE10hipError_tPvRmT2_T3_mT4_T5_T6_T7_T8_P12ihipStream_tbENKUlT_T0_E_clISt17integral_constantIbLb1EESY_EEDaST_SU_EUlST_E_NS1_11comp_targetILNS1_3genE3ELNS1_11target_archE908ELNS1_3gpuE7ELNS1_3repE0EEENS1_30default_config_static_selectorELNS0_4arch9wavefront6targetE0EEEvT1_,comdat
	.protected	_ZN7rocprim17ROCPRIM_400000_NS6detail17trampoline_kernelINS0_14default_configENS1_29reduce_by_key_config_selectorIiiN6thrust23THRUST_200600_302600_NS4plusIiEEEEZZNS1_33reduce_by_key_impl_wrapped_configILNS1_25lookback_scan_determinismE0ES3_S9_NS6_10device_ptrIiEESD_SD_SD_PmS8_NS6_8equal_toIiEEEE10hipError_tPvRmT2_T3_mT4_T5_T6_T7_T8_P12ihipStream_tbENKUlT_T0_E_clISt17integral_constantIbLb1EESY_EEDaST_SU_EUlST_E_NS1_11comp_targetILNS1_3genE3ELNS1_11target_archE908ELNS1_3gpuE7ELNS1_3repE0EEENS1_30default_config_static_selectorELNS0_4arch9wavefront6targetE0EEEvT1_ ; -- Begin function _ZN7rocprim17ROCPRIM_400000_NS6detail17trampoline_kernelINS0_14default_configENS1_29reduce_by_key_config_selectorIiiN6thrust23THRUST_200600_302600_NS4plusIiEEEEZZNS1_33reduce_by_key_impl_wrapped_configILNS1_25lookback_scan_determinismE0ES3_S9_NS6_10device_ptrIiEESD_SD_SD_PmS8_NS6_8equal_toIiEEEE10hipError_tPvRmT2_T3_mT4_T5_T6_T7_T8_P12ihipStream_tbENKUlT_T0_E_clISt17integral_constantIbLb1EESY_EEDaST_SU_EUlST_E_NS1_11comp_targetILNS1_3genE3ELNS1_11target_archE908ELNS1_3gpuE7ELNS1_3repE0EEENS1_30default_config_static_selectorELNS0_4arch9wavefront6targetE0EEEvT1_
	.globl	_ZN7rocprim17ROCPRIM_400000_NS6detail17trampoline_kernelINS0_14default_configENS1_29reduce_by_key_config_selectorIiiN6thrust23THRUST_200600_302600_NS4plusIiEEEEZZNS1_33reduce_by_key_impl_wrapped_configILNS1_25lookback_scan_determinismE0ES3_S9_NS6_10device_ptrIiEESD_SD_SD_PmS8_NS6_8equal_toIiEEEE10hipError_tPvRmT2_T3_mT4_T5_T6_T7_T8_P12ihipStream_tbENKUlT_T0_E_clISt17integral_constantIbLb1EESY_EEDaST_SU_EUlST_E_NS1_11comp_targetILNS1_3genE3ELNS1_11target_archE908ELNS1_3gpuE7ELNS1_3repE0EEENS1_30default_config_static_selectorELNS0_4arch9wavefront6targetE0EEEvT1_
	.p2align	8
	.type	_ZN7rocprim17ROCPRIM_400000_NS6detail17trampoline_kernelINS0_14default_configENS1_29reduce_by_key_config_selectorIiiN6thrust23THRUST_200600_302600_NS4plusIiEEEEZZNS1_33reduce_by_key_impl_wrapped_configILNS1_25lookback_scan_determinismE0ES3_S9_NS6_10device_ptrIiEESD_SD_SD_PmS8_NS6_8equal_toIiEEEE10hipError_tPvRmT2_T3_mT4_T5_T6_T7_T8_P12ihipStream_tbENKUlT_T0_E_clISt17integral_constantIbLb1EESY_EEDaST_SU_EUlST_E_NS1_11comp_targetILNS1_3genE3ELNS1_11target_archE908ELNS1_3gpuE7ELNS1_3repE0EEENS1_30default_config_static_selectorELNS0_4arch9wavefront6targetE0EEEvT1_,@function
_ZN7rocprim17ROCPRIM_400000_NS6detail17trampoline_kernelINS0_14default_configENS1_29reduce_by_key_config_selectorIiiN6thrust23THRUST_200600_302600_NS4plusIiEEEEZZNS1_33reduce_by_key_impl_wrapped_configILNS1_25lookback_scan_determinismE0ES3_S9_NS6_10device_ptrIiEESD_SD_SD_PmS8_NS6_8equal_toIiEEEE10hipError_tPvRmT2_T3_mT4_T5_T6_T7_T8_P12ihipStream_tbENKUlT_T0_E_clISt17integral_constantIbLb1EESY_EEDaST_SU_EUlST_E_NS1_11comp_targetILNS1_3genE3ELNS1_11target_archE908ELNS1_3gpuE7ELNS1_3repE0EEENS1_30default_config_static_selectorELNS0_4arch9wavefront6targetE0EEEvT1_: ; @_ZN7rocprim17ROCPRIM_400000_NS6detail17trampoline_kernelINS0_14default_configENS1_29reduce_by_key_config_selectorIiiN6thrust23THRUST_200600_302600_NS4plusIiEEEEZZNS1_33reduce_by_key_impl_wrapped_configILNS1_25lookback_scan_determinismE0ES3_S9_NS6_10device_ptrIiEESD_SD_SD_PmS8_NS6_8equal_toIiEEEE10hipError_tPvRmT2_T3_mT4_T5_T6_T7_T8_P12ihipStream_tbENKUlT_T0_E_clISt17integral_constantIbLb1EESY_EEDaST_SU_EUlST_E_NS1_11comp_targetILNS1_3genE3ELNS1_11target_archE908ELNS1_3gpuE7ELNS1_3repE0EEENS1_30default_config_static_selectorELNS0_4arch9wavefront6targetE0EEEvT1_
; %bb.0:
	.section	.rodata,"a",@progbits
	.p2align	6, 0x0
	.amdhsa_kernel _ZN7rocprim17ROCPRIM_400000_NS6detail17trampoline_kernelINS0_14default_configENS1_29reduce_by_key_config_selectorIiiN6thrust23THRUST_200600_302600_NS4plusIiEEEEZZNS1_33reduce_by_key_impl_wrapped_configILNS1_25lookback_scan_determinismE0ES3_S9_NS6_10device_ptrIiEESD_SD_SD_PmS8_NS6_8equal_toIiEEEE10hipError_tPvRmT2_T3_mT4_T5_T6_T7_T8_P12ihipStream_tbENKUlT_T0_E_clISt17integral_constantIbLb1EESY_EEDaST_SU_EUlST_E_NS1_11comp_targetILNS1_3genE3ELNS1_11target_archE908ELNS1_3gpuE7ELNS1_3repE0EEENS1_30default_config_static_selectorELNS0_4arch9wavefront6targetE0EEEvT1_
		.amdhsa_group_segment_fixed_size 0
		.amdhsa_private_segment_fixed_size 0
		.amdhsa_kernarg_size 120
		.amdhsa_user_sgpr_count 15
		.amdhsa_user_sgpr_dispatch_ptr 0
		.amdhsa_user_sgpr_queue_ptr 0
		.amdhsa_user_sgpr_kernarg_segment_ptr 1
		.amdhsa_user_sgpr_dispatch_id 0
		.amdhsa_user_sgpr_private_segment_size 0
		.amdhsa_wavefront_size32 1
		.amdhsa_uses_dynamic_stack 0
		.amdhsa_enable_private_segment 0
		.amdhsa_system_sgpr_workgroup_id_x 1
		.amdhsa_system_sgpr_workgroup_id_y 0
		.amdhsa_system_sgpr_workgroup_id_z 0
		.amdhsa_system_sgpr_workgroup_info 0
		.amdhsa_system_vgpr_workitem_id 0
		.amdhsa_next_free_vgpr 1
		.amdhsa_next_free_sgpr 1
		.amdhsa_reserve_vcc 0
		.amdhsa_float_round_mode_32 0
		.amdhsa_float_round_mode_16_64 0
		.amdhsa_float_denorm_mode_32 3
		.amdhsa_float_denorm_mode_16_64 3
		.amdhsa_dx10_clamp 1
		.amdhsa_ieee_mode 1
		.amdhsa_fp16_overflow 0
		.amdhsa_workgroup_processor_mode 1
		.amdhsa_memory_ordered 1
		.amdhsa_forward_progress 0
		.amdhsa_shared_vgpr_count 0
		.amdhsa_exception_fp_ieee_invalid_op 0
		.amdhsa_exception_fp_denorm_src 0
		.amdhsa_exception_fp_ieee_div_zero 0
		.amdhsa_exception_fp_ieee_overflow 0
		.amdhsa_exception_fp_ieee_underflow 0
		.amdhsa_exception_fp_ieee_inexact 0
		.amdhsa_exception_int_div_zero 0
	.end_amdhsa_kernel
	.section	.text._ZN7rocprim17ROCPRIM_400000_NS6detail17trampoline_kernelINS0_14default_configENS1_29reduce_by_key_config_selectorIiiN6thrust23THRUST_200600_302600_NS4plusIiEEEEZZNS1_33reduce_by_key_impl_wrapped_configILNS1_25lookback_scan_determinismE0ES3_S9_NS6_10device_ptrIiEESD_SD_SD_PmS8_NS6_8equal_toIiEEEE10hipError_tPvRmT2_T3_mT4_T5_T6_T7_T8_P12ihipStream_tbENKUlT_T0_E_clISt17integral_constantIbLb1EESY_EEDaST_SU_EUlST_E_NS1_11comp_targetILNS1_3genE3ELNS1_11target_archE908ELNS1_3gpuE7ELNS1_3repE0EEENS1_30default_config_static_selectorELNS0_4arch9wavefront6targetE0EEEvT1_,"axG",@progbits,_ZN7rocprim17ROCPRIM_400000_NS6detail17trampoline_kernelINS0_14default_configENS1_29reduce_by_key_config_selectorIiiN6thrust23THRUST_200600_302600_NS4plusIiEEEEZZNS1_33reduce_by_key_impl_wrapped_configILNS1_25lookback_scan_determinismE0ES3_S9_NS6_10device_ptrIiEESD_SD_SD_PmS8_NS6_8equal_toIiEEEE10hipError_tPvRmT2_T3_mT4_T5_T6_T7_T8_P12ihipStream_tbENKUlT_T0_E_clISt17integral_constantIbLb1EESY_EEDaST_SU_EUlST_E_NS1_11comp_targetILNS1_3genE3ELNS1_11target_archE908ELNS1_3gpuE7ELNS1_3repE0EEENS1_30default_config_static_selectorELNS0_4arch9wavefront6targetE0EEEvT1_,comdat
.Lfunc_end1106:
	.size	_ZN7rocprim17ROCPRIM_400000_NS6detail17trampoline_kernelINS0_14default_configENS1_29reduce_by_key_config_selectorIiiN6thrust23THRUST_200600_302600_NS4plusIiEEEEZZNS1_33reduce_by_key_impl_wrapped_configILNS1_25lookback_scan_determinismE0ES3_S9_NS6_10device_ptrIiEESD_SD_SD_PmS8_NS6_8equal_toIiEEEE10hipError_tPvRmT2_T3_mT4_T5_T6_T7_T8_P12ihipStream_tbENKUlT_T0_E_clISt17integral_constantIbLb1EESY_EEDaST_SU_EUlST_E_NS1_11comp_targetILNS1_3genE3ELNS1_11target_archE908ELNS1_3gpuE7ELNS1_3repE0EEENS1_30default_config_static_selectorELNS0_4arch9wavefront6targetE0EEEvT1_, .Lfunc_end1106-_ZN7rocprim17ROCPRIM_400000_NS6detail17trampoline_kernelINS0_14default_configENS1_29reduce_by_key_config_selectorIiiN6thrust23THRUST_200600_302600_NS4plusIiEEEEZZNS1_33reduce_by_key_impl_wrapped_configILNS1_25lookback_scan_determinismE0ES3_S9_NS6_10device_ptrIiEESD_SD_SD_PmS8_NS6_8equal_toIiEEEE10hipError_tPvRmT2_T3_mT4_T5_T6_T7_T8_P12ihipStream_tbENKUlT_T0_E_clISt17integral_constantIbLb1EESY_EEDaST_SU_EUlST_E_NS1_11comp_targetILNS1_3genE3ELNS1_11target_archE908ELNS1_3gpuE7ELNS1_3repE0EEENS1_30default_config_static_selectorELNS0_4arch9wavefront6targetE0EEEvT1_
                                        ; -- End function
	.section	.AMDGPU.csdata,"",@progbits
; Kernel info:
; codeLenInByte = 0
; NumSgprs: 0
; NumVgprs: 0
; ScratchSize: 0
; MemoryBound: 0
; FloatMode: 240
; IeeeMode: 1
; LDSByteSize: 0 bytes/workgroup (compile time only)
; SGPRBlocks: 0
; VGPRBlocks: 0
; NumSGPRsForWavesPerEU: 1
; NumVGPRsForWavesPerEU: 1
; Occupancy: 16
; WaveLimiterHint : 0
; COMPUTE_PGM_RSRC2:SCRATCH_EN: 0
; COMPUTE_PGM_RSRC2:USER_SGPR: 15
; COMPUTE_PGM_RSRC2:TRAP_HANDLER: 0
; COMPUTE_PGM_RSRC2:TGID_X_EN: 1
; COMPUTE_PGM_RSRC2:TGID_Y_EN: 0
; COMPUTE_PGM_RSRC2:TGID_Z_EN: 0
; COMPUTE_PGM_RSRC2:TIDIG_COMP_CNT: 0
	.section	.text._ZN7rocprim17ROCPRIM_400000_NS6detail17trampoline_kernelINS0_14default_configENS1_29reduce_by_key_config_selectorIiiN6thrust23THRUST_200600_302600_NS4plusIiEEEEZZNS1_33reduce_by_key_impl_wrapped_configILNS1_25lookback_scan_determinismE0ES3_S9_NS6_10device_ptrIiEESD_SD_SD_PmS8_NS6_8equal_toIiEEEE10hipError_tPvRmT2_T3_mT4_T5_T6_T7_T8_P12ihipStream_tbENKUlT_T0_E_clISt17integral_constantIbLb1EESY_EEDaST_SU_EUlST_E_NS1_11comp_targetILNS1_3genE2ELNS1_11target_archE906ELNS1_3gpuE6ELNS1_3repE0EEENS1_30default_config_static_selectorELNS0_4arch9wavefront6targetE0EEEvT1_,"axG",@progbits,_ZN7rocprim17ROCPRIM_400000_NS6detail17trampoline_kernelINS0_14default_configENS1_29reduce_by_key_config_selectorIiiN6thrust23THRUST_200600_302600_NS4plusIiEEEEZZNS1_33reduce_by_key_impl_wrapped_configILNS1_25lookback_scan_determinismE0ES3_S9_NS6_10device_ptrIiEESD_SD_SD_PmS8_NS6_8equal_toIiEEEE10hipError_tPvRmT2_T3_mT4_T5_T6_T7_T8_P12ihipStream_tbENKUlT_T0_E_clISt17integral_constantIbLb1EESY_EEDaST_SU_EUlST_E_NS1_11comp_targetILNS1_3genE2ELNS1_11target_archE906ELNS1_3gpuE6ELNS1_3repE0EEENS1_30default_config_static_selectorELNS0_4arch9wavefront6targetE0EEEvT1_,comdat
	.protected	_ZN7rocprim17ROCPRIM_400000_NS6detail17trampoline_kernelINS0_14default_configENS1_29reduce_by_key_config_selectorIiiN6thrust23THRUST_200600_302600_NS4plusIiEEEEZZNS1_33reduce_by_key_impl_wrapped_configILNS1_25lookback_scan_determinismE0ES3_S9_NS6_10device_ptrIiEESD_SD_SD_PmS8_NS6_8equal_toIiEEEE10hipError_tPvRmT2_T3_mT4_T5_T6_T7_T8_P12ihipStream_tbENKUlT_T0_E_clISt17integral_constantIbLb1EESY_EEDaST_SU_EUlST_E_NS1_11comp_targetILNS1_3genE2ELNS1_11target_archE906ELNS1_3gpuE6ELNS1_3repE0EEENS1_30default_config_static_selectorELNS0_4arch9wavefront6targetE0EEEvT1_ ; -- Begin function _ZN7rocprim17ROCPRIM_400000_NS6detail17trampoline_kernelINS0_14default_configENS1_29reduce_by_key_config_selectorIiiN6thrust23THRUST_200600_302600_NS4plusIiEEEEZZNS1_33reduce_by_key_impl_wrapped_configILNS1_25lookback_scan_determinismE0ES3_S9_NS6_10device_ptrIiEESD_SD_SD_PmS8_NS6_8equal_toIiEEEE10hipError_tPvRmT2_T3_mT4_T5_T6_T7_T8_P12ihipStream_tbENKUlT_T0_E_clISt17integral_constantIbLb1EESY_EEDaST_SU_EUlST_E_NS1_11comp_targetILNS1_3genE2ELNS1_11target_archE906ELNS1_3gpuE6ELNS1_3repE0EEENS1_30default_config_static_selectorELNS0_4arch9wavefront6targetE0EEEvT1_
	.globl	_ZN7rocprim17ROCPRIM_400000_NS6detail17trampoline_kernelINS0_14default_configENS1_29reduce_by_key_config_selectorIiiN6thrust23THRUST_200600_302600_NS4plusIiEEEEZZNS1_33reduce_by_key_impl_wrapped_configILNS1_25lookback_scan_determinismE0ES3_S9_NS6_10device_ptrIiEESD_SD_SD_PmS8_NS6_8equal_toIiEEEE10hipError_tPvRmT2_T3_mT4_T5_T6_T7_T8_P12ihipStream_tbENKUlT_T0_E_clISt17integral_constantIbLb1EESY_EEDaST_SU_EUlST_E_NS1_11comp_targetILNS1_3genE2ELNS1_11target_archE906ELNS1_3gpuE6ELNS1_3repE0EEENS1_30default_config_static_selectorELNS0_4arch9wavefront6targetE0EEEvT1_
	.p2align	8
	.type	_ZN7rocprim17ROCPRIM_400000_NS6detail17trampoline_kernelINS0_14default_configENS1_29reduce_by_key_config_selectorIiiN6thrust23THRUST_200600_302600_NS4plusIiEEEEZZNS1_33reduce_by_key_impl_wrapped_configILNS1_25lookback_scan_determinismE0ES3_S9_NS6_10device_ptrIiEESD_SD_SD_PmS8_NS6_8equal_toIiEEEE10hipError_tPvRmT2_T3_mT4_T5_T6_T7_T8_P12ihipStream_tbENKUlT_T0_E_clISt17integral_constantIbLb1EESY_EEDaST_SU_EUlST_E_NS1_11comp_targetILNS1_3genE2ELNS1_11target_archE906ELNS1_3gpuE6ELNS1_3repE0EEENS1_30default_config_static_selectorELNS0_4arch9wavefront6targetE0EEEvT1_,@function
_ZN7rocprim17ROCPRIM_400000_NS6detail17trampoline_kernelINS0_14default_configENS1_29reduce_by_key_config_selectorIiiN6thrust23THRUST_200600_302600_NS4plusIiEEEEZZNS1_33reduce_by_key_impl_wrapped_configILNS1_25lookback_scan_determinismE0ES3_S9_NS6_10device_ptrIiEESD_SD_SD_PmS8_NS6_8equal_toIiEEEE10hipError_tPvRmT2_T3_mT4_T5_T6_T7_T8_P12ihipStream_tbENKUlT_T0_E_clISt17integral_constantIbLb1EESY_EEDaST_SU_EUlST_E_NS1_11comp_targetILNS1_3genE2ELNS1_11target_archE906ELNS1_3gpuE6ELNS1_3repE0EEENS1_30default_config_static_selectorELNS0_4arch9wavefront6targetE0EEEvT1_: ; @_ZN7rocprim17ROCPRIM_400000_NS6detail17trampoline_kernelINS0_14default_configENS1_29reduce_by_key_config_selectorIiiN6thrust23THRUST_200600_302600_NS4plusIiEEEEZZNS1_33reduce_by_key_impl_wrapped_configILNS1_25lookback_scan_determinismE0ES3_S9_NS6_10device_ptrIiEESD_SD_SD_PmS8_NS6_8equal_toIiEEEE10hipError_tPvRmT2_T3_mT4_T5_T6_T7_T8_P12ihipStream_tbENKUlT_T0_E_clISt17integral_constantIbLb1EESY_EEDaST_SU_EUlST_E_NS1_11comp_targetILNS1_3genE2ELNS1_11target_archE906ELNS1_3gpuE6ELNS1_3repE0EEENS1_30default_config_static_selectorELNS0_4arch9wavefront6targetE0EEEvT1_
; %bb.0:
	.section	.rodata,"a",@progbits
	.p2align	6, 0x0
	.amdhsa_kernel _ZN7rocprim17ROCPRIM_400000_NS6detail17trampoline_kernelINS0_14default_configENS1_29reduce_by_key_config_selectorIiiN6thrust23THRUST_200600_302600_NS4plusIiEEEEZZNS1_33reduce_by_key_impl_wrapped_configILNS1_25lookback_scan_determinismE0ES3_S9_NS6_10device_ptrIiEESD_SD_SD_PmS8_NS6_8equal_toIiEEEE10hipError_tPvRmT2_T3_mT4_T5_T6_T7_T8_P12ihipStream_tbENKUlT_T0_E_clISt17integral_constantIbLb1EESY_EEDaST_SU_EUlST_E_NS1_11comp_targetILNS1_3genE2ELNS1_11target_archE906ELNS1_3gpuE6ELNS1_3repE0EEENS1_30default_config_static_selectorELNS0_4arch9wavefront6targetE0EEEvT1_
		.amdhsa_group_segment_fixed_size 0
		.amdhsa_private_segment_fixed_size 0
		.amdhsa_kernarg_size 120
		.amdhsa_user_sgpr_count 15
		.amdhsa_user_sgpr_dispatch_ptr 0
		.amdhsa_user_sgpr_queue_ptr 0
		.amdhsa_user_sgpr_kernarg_segment_ptr 1
		.amdhsa_user_sgpr_dispatch_id 0
		.amdhsa_user_sgpr_private_segment_size 0
		.amdhsa_wavefront_size32 1
		.amdhsa_uses_dynamic_stack 0
		.amdhsa_enable_private_segment 0
		.amdhsa_system_sgpr_workgroup_id_x 1
		.amdhsa_system_sgpr_workgroup_id_y 0
		.amdhsa_system_sgpr_workgroup_id_z 0
		.amdhsa_system_sgpr_workgroup_info 0
		.amdhsa_system_vgpr_workitem_id 0
		.amdhsa_next_free_vgpr 1
		.amdhsa_next_free_sgpr 1
		.amdhsa_reserve_vcc 0
		.amdhsa_float_round_mode_32 0
		.amdhsa_float_round_mode_16_64 0
		.amdhsa_float_denorm_mode_32 3
		.amdhsa_float_denorm_mode_16_64 3
		.amdhsa_dx10_clamp 1
		.amdhsa_ieee_mode 1
		.amdhsa_fp16_overflow 0
		.amdhsa_workgroup_processor_mode 1
		.amdhsa_memory_ordered 1
		.amdhsa_forward_progress 0
		.amdhsa_shared_vgpr_count 0
		.amdhsa_exception_fp_ieee_invalid_op 0
		.amdhsa_exception_fp_denorm_src 0
		.amdhsa_exception_fp_ieee_div_zero 0
		.amdhsa_exception_fp_ieee_overflow 0
		.amdhsa_exception_fp_ieee_underflow 0
		.amdhsa_exception_fp_ieee_inexact 0
		.amdhsa_exception_int_div_zero 0
	.end_amdhsa_kernel
	.section	.text._ZN7rocprim17ROCPRIM_400000_NS6detail17trampoline_kernelINS0_14default_configENS1_29reduce_by_key_config_selectorIiiN6thrust23THRUST_200600_302600_NS4plusIiEEEEZZNS1_33reduce_by_key_impl_wrapped_configILNS1_25lookback_scan_determinismE0ES3_S9_NS6_10device_ptrIiEESD_SD_SD_PmS8_NS6_8equal_toIiEEEE10hipError_tPvRmT2_T3_mT4_T5_T6_T7_T8_P12ihipStream_tbENKUlT_T0_E_clISt17integral_constantIbLb1EESY_EEDaST_SU_EUlST_E_NS1_11comp_targetILNS1_3genE2ELNS1_11target_archE906ELNS1_3gpuE6ELNS1_3repE0EEENS1_30default_config_static_selectorELNS0_4arch9wavefront6targetE0EEEvT1_,"axG",@progbits,_ZN7rocprim17ROCPRIM_400000_NS6detail17trampoline_kernelINS0_14default_configENS1_29reduce_by_key_config_selectorIiiN6thrust23THRUST_200600_302600_NS4plusIiEEEEZZNS1_33reduce_by_key_impl_wrapped_configILNS1_25lookback_scan_determinismE0ES3_S9_NS6_10device_ptrIiEESD_SD_SD_PmS8_NS6_8equal_toIiEEEE10hipError_tPvRmT2_T3_mT4_T5_T6_T7_T8_P12ihipStream_tbENKUlT_T0_E_clISt17integral_constantIbLb1EESY_EEDaST_SU_EUlST_E_NS1_11comp_targetILNS1_3genE2ELNS1_11target_archE906ELNS1_3gpuE6ELNS1_3repE0EEENS1_30default_config_static_selectorELNS0_4arch9wavefront6targetE0EEEvT1_,comdat
.Lfunc_end1107:
	.size	_ZN7rocprim17ROCPRIM_400000_NS6detail17trampoline_kernelINS0_14default_configENS1_29reduce_by_key_config_selectorIiiN6thrust23THRUST_200600_302600_NS4plusIiEEEEZZNS1_33reduce_by_key_impl_wrapped_configILNS1_25lookback_scan_determinismE0ES3_S9_NS6_10device_ptrIiEESD_SD_SD_PmS8_NS6_8equal_toIiEEEE10hipError_tPvRmT2_T3_mT4_T5_T6_T7_T8_P12ihipStream_tbENKUlT_T0_E_clISt17integral_constantIbLb1EESY_EEDaST_SU_EUlST_E_NS1_11comp_targetILNS1_3genE2ELNS1_11target_archE906ELNS1_3gpuE6ELNS1_3repE0EEENS1_30default_config_static_selectorELNS0_4arch9wavefront6targetE0EEEvT1_, .Lfunc_end1107-_ZN7rocprim17ROCPRIM_400000_NS6detail17trampoline_kernelINS0_14default_configENS1_29reduce_by_key_config_selectorIiiN6thrust23THRUST_200600_302600_NS4plusIiEEEEZZNS1_33reduce_by_key_impl_wrapped_configILNS1_25lookback_scan_determinismE0ES3_S9_NS6_10device_ptrIiEESD_SD_SD_PmS8_NS6_8equal_toIiEEEE10hipError_tPvRmT2_T3_mT4_T5_T6_T7_T8_P12ihipStream_tbENKUlT_T0_E_clISt17integral_constantIbLb1EESY_EEDaST_SU_EUlST_E_NS1_11comp_targetILNS1_3genE2ELNS1_11target_archE906ELNS1_3gpuE6ELNS1_3repE0EEENS1_30default_config_static_selectorELNS0_4arch9wavefront6targetE0EEEvT1_
                                        ; -- End function
	.section	.AMDGPU.csdata,"",@progbits
; Kernel info:
; codeLenInByte = 0
; NumSgprs: 0
; NumVgprs: 0
; ScratchSize: 0
; MemoryBound: 0
; FloatMode: 240
; IeeeMode: 1
; LDSByteSize: 0 bytes/workgroup (compile time only)
; SGPRBlocks: 0
; VGPRBlocks: 0
; NumSGPRsForWavesPerEU: 1
; NumVGPRsForWavesPerEU: 1
; Occupancy: 16
; WaveLimiterHint : 0
; COMPUTE_PGM_RSRC2:SCRATCH_EN: 0
; COMPUTE_PGM_RSRC2:USER_SGPR: 15
; COMPUTE_PGM_RSRC2:TRAP_HANDLER: 0
; COMPUTE_PGM_RSRC2:TGID_X_EN: 1
; COMPUTE_PGM_RSRC2:TGID_Y_EN: 0
; COMPUTE_PGM_RSRC2:TGID_Z_EN: 0
; COMPUTE_PGM_RSRC2:TIDIG_COMP_CNT: 0
	.section	.text._ZN7rocprim17ROCPRIM_400000_NS6detail17trampoline_kernelINS0_14default_configENS1_29reduce_by_key_config_selectorIiiN6thrust23THRUST_200600_302600_NS4plusIiEEEEZZNS1_33reduce_by_key_impl_wrapped_configILNS1_25lookback_scan_determinismE0ES3_S9_NS6_10device_ptrIiEESD_SD_SD_PmS8_NS6_8equal_toIiEEEE10hipError_tPvRmT2_T3_mT4_T5_T6_T7_T8_P12ihipStream_tbENKUlT_T0_E_clISt17integral_constantIbLb1EESY_EEDaST_SU_EUlST_E_NS1_11comp_targetILNS1_3genE10ELNS1_11target_archE1201ELNS1_3gpuE5ELNS1_3repE0EEENS1_30default_config_static_selectorELNS0_4arch9wavefront6targetE0EEEvT1_,"axG",@progbits,_ZN7rocprim17ROCPRIM_400000_NS6detail17trampoline_kernelINS0_14default_configENS1_29reduce_by_key_config_selectorIiiN6thrust23THRUST_200600_302600_NS4plusIiEEEEZZNS1_33reduce_by_key_impl_wrapped_configILNS1_25lookback_scan_determinismE0ES3_S9_NS6_10device_ptrIiEESD_SD_SD_PmS8_NS6_8equal_toIiEEEE10hipError_tPvRmT2_T3_mT4_T5_T6_T7_T8_P12ihipStream_tbENKUlT_T0_E_clISt17integral_constantIbLb1EESY_EEDaST_SU_EUlST_E_NS1_11comp_targetILNS1_3genE10ELNS1_11target_archE1201ELNS1_3gpuE5ELNS1_3repE0EEENS1_30default_config_static_selectorELNS0_4arch9wavefront6targetE0EEEvT1_,comdat
	.protected	_ZN7rocprim17ROCPRIM_400000_NS6detail17trampoline_kernelINS0_14default_configENS1_29reduce_by_key_config_selectorIiiN6thrust23THRUST_200600_302600_NS4plusIiEEEEZZNS1_33reduce_by_key_impl_wrapped_configILNS1_25lookback_scan_determinismE0ES3_S9_NS6_10device_ptrIiEESD_SD_SD_PmS8_NS6_8equal_toIiEEEE10hipError_tPvRmT2_T3_mT4_T5_T6_T7_T8_P12ihipStream_tbENKUlT_T0_E_clISt17integral_constantIbLb1EESY_EEDaST_SU_EUlST_E_NS1_11comp_targetILNS1_3genE10ELNS1_11target_archE1201ELNS1_3gpuE5ELNS1_3repE0EEENS1_30default_config_static_selectorELNS0_4arch9wavefront6targetE0EEEvT1_ ; -- Begin function _ZN7rocprim17ROCPRIM_400000_NS6detail17trampoline_kernelINS0_14default_configENS1_29reduce_by_key_config_selectorIiiN6thrust23THRUST_200600_302600_NS4plusIiEEEEZZNS1_33reduce_by_key_impl_wrapped_configILNS1_25lookback_scan_determinismE0ES3_S9_NS6_10device_ptrIiEESD_SD_SD_PmS8_NS6_8equal_toIiEEEE10hipError_tPvRmT2_T3_mT4_T5_T6_T7_T8_P12ihipStream_tbENKUlT_T0_E_clISt17integral_constantIbLb1EESY_EEDaST_SU_EUlST_E_NS1_11comp_targetILNS1_3genE10ELNS1_11target_archE1201ELNS1_3gpuE5ELNS1_3repE0EEENS1_30default_config_static_selectorELNS0_4arch9wavefront6targetE0EEEvT1_
	.globl	_ZN7rocprim17ROCPRIM_400000_NS6detail17trampoline_kernelINS0_14default_configENS1_29reduce_by_key_config_selectorIiiN6thrust23THRUST_200600_302600_NS4plusIiEEEEZZNS1_33reduce_by_key_impl_wrapped_configILNS1_25lookback_scan_determinismE0ES3_S9_NS6_10device_ptrIiEESD_SD_SD_PmS8_NS6_8equal_toIiEEEE10hipError_tPvRmT2_T3_mT4_T5_T6_T7_T8_P12ihipStream_tbENKUlT_T0_E_clISt17integral_constantIbLb1EESY_EEDaST_SU_EUlST_E_NS1_11comp_targetILNS1_3genE10ELNS1_11target_archE1201ELNS1_3gpuE5ELNS1_3repE0EEENS1_30default_config_static_selectorELNS0_4arch9wavefront6targetE0EEEvT1_
	.p2align	8
	.type	_ZN7rocprim17ROCPRIM_400000_NS6detail17trampoline_kernelINS0_14default_configENS1_29reduce_by_key_config_selectorIiiN6thrust23THRUST_200600_302600_NS4plusIiEEEEZZNS1_33reduce_by_key_impl_wrapped_configILNS1_25lookback_scan_determinismE0ES3_S9_NS6_10device_ptrIiEESD_SD_SD_PmS8_NS6_8equal_toIiEEEE10hipError_tPvRmT2_T3_mT4_T5_T6_T7_T8_P12ihipStream_tbENKUlT_T0_E_clISt17integral_constantIbLb1EESY_EEDaST_SU_EUlST_E_NS1_11comp_targetILNS1_3genE10ELNS1_11target_archE1201ELNS1_3gpuE5ELNS1_3repE0EEENS1_30default_config_static_selectorELNS0_4arch9wavefront6targetE0EEEvT1_,@function
_ZN7rocprim17ROCPRIM_400000_NS6detail17trampoline_kernelINS0_14default_configENS1_29reduce_by_key_config_selectorIiiN6thrust23THRUST_200600_302600_NS4plusIiEEEEZZNS1_33reduce_by_key_impl_wrapped_configILNS1_25lookback_scan_determinismE0ES3_S9_NS6_10device_ptrIiEESD_SD_SD_PmS8_NS6_8equal_toIiEEEE10hipError_tPvRmT2_T3_mT4_T5_T6_T7_T8_P12ihipStream_tbENKUlT_T0_E_clISt17integral_constantIbLb1EESY_EEDaST_SU_EUlST_E_NS1_11comp_targetILNS1_3genE10ELNS1_11target_archE1201ELNS1_3gpuE5ELNS1_3repE0EEENS1_30default_config_static_selectorELNS0_4arch9wavefront6targetE0EEEvT1_: ; @_ZN7rocprim17ROCPRIM_400000_NS6detail17trampoline_kernelINS0_14default_configENS1_29reduce_by_key_config_selectorIiiN6thrust23THRUST_200600_302600_NS4plusIiEEEEZZNS1_33reduce_by_key_impl_wrapped_configILNS1_25lookback_scan_determinismE0ES3_S9_NS6_10device_ptrIiEESD_SD_SD_PmS8_NS6_8equal_toIiEEEE10hipError_tPvRmT2_T3_mT4_T5_T6_T7_T8_P12ihipStream_tbENKUlT_T0_E_clISt17integral_constantIbLb1EESY_EEDaST_SU_EUlST_E_NS1_11comp_targetILNS1_3genE10ELNS1_11target_archE1201ELNS1_3gpuE5ELNS1_3repE0EEENS1_30default_config_static_selectorELNS0_4arch9wavefront6targetE0EEEvT1_
; %bb.0:
	.section	.rodata,"a",@progbits
	.p2align	6, 0x0
	.amdhsa_kernel _ZN7rocprim17ROCPRIM_400000_NS6detail17trampoline_kernelINS0_14default_configENS1_29reduce_by_key_config_selectorIiiN6thrust23THRUST_200600_302600_NS4plusIiEEEEZZNS1_33reduce_by_key_impl_wrapped_configILNS1_25lookback_scan_determinismE0ES3_S9_NS6_10device_ptrIiEESD_SD_SD_PmS8_NS6_8equal_toIiEEEE10hipError_tPvRmT2_T3_mT4_T5_T6_T7_T8_P12ihipStream_tbENKUlT_T0_E_clISt17integral_constantIbLb1EESY_EEDaST_SU_EUlST_E_NS1_11comp_targetILNS1_3genE10ELNS1_11target_archE1201ELNS1_3gpuE5ELNS1_3repE0EEENS1_30default_config_static_selectorELNS0_4arch9wavefront6targetE0EEEvT1_
		.amdhsa_group_segment_fixed_size 0
		.amdhsa_private_segment_fixed_size 0
		.amdhsa_kernarg_size 120
		.amdhsa_user_sgpr_count 15
		.amdhsa_user_sgpr_dispatch_ptr 0
		.amdhsa_user_sgpr_queue_ptr 0
		.amdhsa_user_sgpr_kernarg_segment_ptr 1
		.amdhsa_user_sgpr_dispatch_id 0
		.amdhsa_user_sgpr_private_segment_size 0
		.amdhsa_wavefront_size32 1
		.amdhsa_uses_dynamic_stack 0
		.amdhsa_enable_private_segment 0
		.amdhsa_system_sgpr_workgroup_id_x 1
		.amdhsa_system_sgpr_workgroup_id_y 0
		.amdhsa_system_sgpr_workgroup_id_z 0
		.amdhsa_system_sgpr_workgroup_info 0
		.amdhsa_system_vgpr_workitem_id 0
		.amdhsa_next_free_vgpr 1
		.amdhsa_next_free_sgpr 1
		.amdhsa_reserve_vcc 0
		.amdhsa_float_round_mode_32 0
		.amdhsa_float_round_mode_16_64 0
		.amdhsa_float_denorm_mode_32 3
		.amdhsa_float_denorm_mode_16_64 3
		.amdhsa_dx10_clamp 1
		.amdhsa_ieee_mode 1
		.amdhsa_fp16_overflow 0
		.amdhsa_workgroup_processor_mode 1
		.amdhsa_memory_ordered 1
		.amdhsa_forward_progress 0
		.amdhsa_shared_vgpr_count 0
		.amdhsa_exception_fp_ieee_invalid_op 0
		.amdhsa_exception_fp_denorm_src 0
		.amdhsa_exception_fp_ieee_div_zero 0
		.amdhsa_exception_fp_ieee_overflow 0
		.amdhsa_exception_fp_ieee_underflow 0
		.amdhsa_exception_fp_ieee_inexact 0
		.amdhsa_exception_int_div_zero 0
	.end_amdhsa_kernel
	.section	.text._ZN7rocprim17ROCPRIM_400000_NS6detail17trampoline_kernelINS0_14default_configENS1_29reduce_by_key_config_selectorIiiN6thrust23THRUST_200600_302600_NS4plusIiEEEEZZNS1_33reduce_by_key_impl_wrapped_configILNS1_25lookback_scan_determinismE0ES3_S9_NS6_10device_ptrIiEESD_SD_SD_PmS8_NS6_8equal_toIiEEEE10hipError_tPvRmT2_T3_mT4_T5_T6_T7_T8_P12ihipStream_tbENKUlT_T0_E_clISt17integral_constantIbLb1EESY_EEDaST_SU_EUlST_E_NS1_11comp_targetILNS1_3genE10ELNS1_11target_archE1201ELNS1_3gpuE5ELNS1_3repE0EEENS1_30default_config_static_selectorELNS0_4arch9wavefront6targetE0EEEvT1_,"axG",@progbits,_ZN7rocprim17ROCPRIM_400000_NS6detail17trampoline_kernelINS0_14default_configENS1_29reduce_by_key_config_selectorIiiN6thrust23THRUST_200600_302600_NS4plusIiEEEEZZNS1_33reduce_by_key_impl_wrapped_configILNS1_25lookback_scan_determinismE0ES3_S9_NS6_10device_ptrIiEESD_SD_SD_PmS8_NS6_8equal_toIiEEEE10hipError_tPvRmT2_T3_mT4_T5_T6_T7_T8_P12ihipStream_tbENKUlT_T0_E_clISt17integral_constantIbLb1EESY_EEDaST_SU_EUlST_E_NS1_11comp_targetILNS1_3genE10ELNS1_11target_archE1201ELNS1_3gpuE5ELNS1_3repE0EEENS1_30default_config_static_selectorELNS0_4arch9wavefront6targetE0EEEvT1_,comdat
.Lfunc_end1108:
	.size	_ZN7rocprim17ROCPRIM_400000_NS6detail17trampoline_kernelINS0_14default_configENS1_29reduce_by_key_config_selectorIiiN6thrust23THRUST_200600_302600_NS4plusIiEEEEZZNS1_33reduce_by_key_impl_wrapped_configILNS1_25lookback_scan_determinismE0ES3_S9_NS6_10device_ptrIiEESD_SD_SD_PmS8_NS6_8equal_toIiEEEE10hipError_tPvRmT2_T3_mT4_T5_T6_T7_T8_P12ihipStream_tbENKUlT_T0_E_clISt17integral_constantIbLb1EESY_EEDaST_SU_EUlST_E_NS1_11comp_targetILNS1_3genE10ELNS1_11target_archE1201ELNS1_3gpuE5ELNS1_3repE0EEENS1_30default_config_static_selectorELNS0_4arch9wavefront6targetE0EEEvT1_, .Lfunc_end1108-_ZN7rocprim17ROCPRIM_400000_NS6detail17trampoline_kernelINS0_14default_configENS1_29reduce_by_key_config_selectorIiiN6thrust23THRUST_200600_302600_NS4plusIiEEEEZZNS1_33reduce_by_key_impl_wrapped_configILNS1_25lookback_scan_determinismE0ES3_S9_NS6_10device_ptrIiEESD_SD_SD_PmS8_NS6_8equal_toIiEEEE10hipError_tPvRmT2_T3_mT4_T5_T6_T7_T8_P12ihipStream_tbENKUlT_T0_E_clISt17integral_constantIbLb1EESY_EEDaST_SU_EUlST_E_NS1_11comp_targetILNS1_3genE10ELNS1_11target_archE1201ELNS1_3gpuE5ELNS1_3repE0EEENS1_30default_config_static_selectorELNS0_4arch9wavefront6targetE0EEEvT1_
                                        ; -- End function
	.section	.AMDGPU.csdata,"",@progbits
; Kernel info:
; codeLenInByte = 0
; NumSgprs: 0
; NumVgprs: 0
; ScratchSize: 0
; MemoryBound: 0
; FloatMode: 240
; IeeeMode: 1
; LDSByteSize: 0 bytes/workgroup (compile time only)
; SGPRBlocks: 0
; VGPRBlocks: 0
; NumSGPRsForWavesPerEU: 1
; NumVGPRsForWavesPerEU: 1
; Occupancy: 16
; WaveLimiterHint : 0
; COMPUTE_PGM_RSRC2:SCRATCH_EN: 0
; COMPUTE_PGM_RSRC2:USER_SGPR: 15
; COMPUTE_PGM_RSRC2:TRAP_HANDLER: 0
; COMPUTE_PGM_RSRC2:TGID_X_EN: 1
; COMPUTE_PGM_RSRC2:TGID_Y_EN: 0
; COMPUTE_PGM_RSRC2:TGID_Z_EN: 0
; COMPUTE_PGM_RSRC2:TIDIG_COMP_CNT: 0
	.section	.text._ZN7rocprim17ROCPRIM_400000_NS6detail17trampoline_kernelINS0_14default_configENS1_29reduce_by_key_config_selectorIiiN6thrust23THRUST_200600_302600_NS4plusIiEEEEZZNS1_33reduce_by_key_impl_wrapped_configILNS1_25lookback_scan_determinismE0ES3_S9_NS6_10device_ptrIiEESD_SD_SD_PmS8_NS6_8equal_toIiEEEE10hipError_tPvRmT2_T3_mT4_T5_T6_T7_T8_P12ihipStream_tbENKUlT_T0_E_clISt17integral_constantIbLb1EESY_EEDaST_SU_EUlST_E_NS1_11comp_targetILNS1_3genE10ELNS1_11target_archE1200ELNS1_3gpuE4ELNS1_3repE0EEENS1_30default_config_static_selectorELNS0_4arch9wavefront6targetE0EEEvT1_,"axG",@progbits,_ZN7rocprim17ROCPRIM_400000_NS6detail17trampoline_kernelINS0_14default_configENS1_29reduce_by_key_config_selectorIiiN6thrust23THRUST_200600_302600_NS4plusIiEEEEZZNS1_33reduce_by_key_impl_wrapped_configILNS1_25lookback_scan_determinismE0ES3_S9_NS6_10device_ptrIiEESD_SD_SD_PmS8_NS6_8equal_toIiEEEE10hipError_tPvRmT2_T3_mT4_T5_T6_T7_T8_P12ihipStream_tbENKUlT_T0_E_clISt17integral_constantIbLb1EESY_EEDaST_SU_EUlST_E_NS1_11comp_targetILNS1_3genE10ELNS1_11target_archE1200ELNS1_3gpuE4ELNS1_3repE0EEENS1_30default_config_static_selectorELNS0_4arch9wavefront6targetE0EEEvT1_,comdat
	.protected	_ZN7rocprim17ROCPRIM_400000_NS6detail17trampoline_kernelINS0_14default_configENS1_29reduce_by_key_config_selectorIiiN6thrust23THRUST_200600_302600_NS4plusIiEEEEZZNS1_33reduce_by_key_impl_wrapped_configILNS1_25lookback_scan_determinismE0ES3_S9_NS6_10device_ptrIiEESD_SD_SD_PmS8_NS6_8equal_toIiEEEE10hipError_tPvRmT2_T3_mT4_T5_T6_T7_T8_P12ihipStream_tbENKUlT_T0_E_clISt17integral_constantIbLb1EESY_EEDaST_SU_EUlST_E_NS1_11comp_targetILNS1_3genE10ELNS1_11target_archE1200ELNS1_3gpuE4ELNS1_3repE0EEENS1_30default_config_static_selectorELNS0_4arch9wavefront6targetE0EEEvT1_ ; -- Begin function _ZN7rocprim17ROCPRIM_400000_NS6detail17trampoline_kernelINS0_14default_configENS1_29reduce_by_key_config_selectorIiiN6thrust23THRUST_200600_302600_NS4plusIiEEEEZZNS1_33reduce_by_key_impl_wrapped_configILNS1_25lookback_scan_determinismE0ES3_S9_NS6_10device_ptrIiEESD_SD_SD_PmS8_NS6_8equal_toIiEEEE10hipError_tPvRmT2_T3_mT4_T5_T6_T7_T8_P12ihipStream_tbENKUlT_T0_E_clISt17integral_constantIbLb1EESY_EEDaST_SU_EUlST_E_NS1_11comp_targetILNS1_3genE10ELNS1_11target_archE1200ELNS1_3gpuE4ELNS1_3repE0EEENS1_30default_config_static_selectorELNS0_4arch9wavefront6targetE0EEEvT1_
	.globl	_ZN7rocprim17ROCPRIM_400000_NS6detail17trampoline_kernelINS0_14default_configENS1_29reduce_by_key_config_selectorIiiN6thrust23THRUST_200600_302600_NS4plusIiEEEEZZNS1_33reduce_by_key_impl_wrapped_configILNS1_25lookback_scan_determinismE0ES3_S9_NS6_10device_ptrIiEESD_SD_SD_PmS8_NS6_8equal_toIiEEEE10hipError_tPvRmT2_T3_mT4_T5_T6_T7_T8_P12ihipStream_tbENKUlT_T0_E_clISt17integral_constantIbLb1EESY_EEDaST_SU_EUlST_E_NS1_11comp_targetILNS1_3genE10ELNS1_11target_archE1200ELNS1_3gpuE4ELNS1_3repE0EEENS1_30default_config_static_selectorELNS0_4arch9wavefront6targetE0EEEvT1_
	.p2align	8
	.type	_ZN7rocprim17ROCPRIM_400000_NS6detail17trampoline_kernelINS0_14default_configENS1_29reduce_by_key_config_selectorIiiN6thrust23THRUST_200600_302600_NS4plusIiEEEEZZNS1_33reduce_by_key_impl_wrapped_configILNS1_25lookback_scan_determinismE0ES3_S9_NS6_10device_ptrIiEESD_SD_SD_PmS8_NS6_8equal_toIiEEEE10hipError_tPvRmT2_T3_mT4_T5_T6_T7_T8_P12ihipStream_tbENKUlT_T0_E_clISt17integral_constantIbLb1EESY_EEDaST_SU_EUlST_E_NS1_11comp_targetILNS1_3genE10ELNS1_11target_archE1200ELNS1_3gpuE4ELNS1_3repE0EEENS1_30default_config_static_selectorELNS0_4arch9wavefront6targetE0EEEvT1_,@function
_ZN7rocprim17ROCPRIM_400000_NS6detail17trampoline_kernelINS0_14default_configENS1_29reduce_by_key_config_selectorIiiN6thrust23THRUST_200600_302600_NS4plusIiEEEEZZNS1_33reduce_by_key_impl_wrapped_configILNS1_25lookback_scan_determinismE0ES3_S9_NS6_10device_ptrIiEESD_SD_SD_PmS8_NS6_8equal_toIiEEEE10hipError_tPvRmT2_T3_mT4_T5_T6_T7_T8_P12ihipStream_tbENKUlT_T0_E_clISt17integral_constantIbLb1EESY_EEDaST_SU_EUlST_E_NS1_11comp_targetILNS1_3genE10ELNS1_11target_archE1200ELNS1_3gpuE4ELNS1_3repE0EEENS1_30default_config_static_selectorELNS0_4arch9wavefront6targetE0EEEvT1_: ; @_ZN7rocprim17ROCPRIM_400000_NS6detail17trampoline_kernelINS0_14default_configENS1_29reduce_by_key_config_selectorIiiN6thrust23THRUST_200600_302600_NS4plusIiEEEEZZNS1_33reduce_by_key_impl_wrapped_configILNS1_25lookback_scan_determinismE0ES3_S9_NS6_10device_ptrIiEESD_SD_SD_PmS8_NS6_8equal_toIiEEEE10hipError_tPvRmT2_T3_mT4_T5_T6_T7_T8_P12ihipStream_tbENKUlT_T0_E_clISt17integral_constantIbLb1EESY_EEDaST_SU_EUlST_E_NS1_11comp_targetILNS1_3genE10ELNS1_11target_archE1200ELNS1_3gpuE4ELNS1_3repE0EEENS1_30default_config_static_selectorELNS0_4arch9wavefront6targetE0EEEvT1_
; %bb.0:
	.section	.rodata,"a",@progbits
	.p2align	6, 0x0
	.amdhsa_kernel _ZN7rocprim17ROCPRIM_400000_NS6detail17trampoline_kernelINS0_14default_configENS1_29reduce_by_key_config_selectorIiiN6thrust23THRUST_200600_302600_NS4plusIiEEEEZZNS1_33reduce_by_key_impl_wrapped_configILNS1_25lookback_scan_determinismE0ES3_S9_NS6_10device_ptrIiEESD_SD_SD_PmS8_NS6_8equal_toIiEEEE10hipError_tPvRmT2_T3_mT4_T5_T6_T7_T8_P12ihipStream_tbENKUlT_T0_E_clISt17integral_constantIbLb1EESY_EEDaST_SU_EUlST_E_NS1_11comp_targetILNS1_3genE10ELNS1_11target_archE1200ELNS1_3gpuE4ELNS1_3repE0EEENS1_30default_config_static_selectorELNS0_4arch9wavefront6targetE0EEEvT1_
		.amdhsa_group_segment_fixed_size 0
		.amdhsa_private_segment_fixed_size 0
		.amdhsa_kernarg_size 120
		.amdhsa_user_sgpr_count 15
		.amdhsa_user_sgpr_dispatch_ptr 0
		.amdhsa_user_sgpr_queue_ptr 0
		.amdhsa_user_sgpr_kernarg_segment_ptr 1
		.amdhsa_user_sgpr_dispatch_id 0
		.amdhsa_user_sgpr_private_segment_size 0
		.amdhsa_wavefront_size32 1
		.amdhsa_uses_dynamic_stack 0
		.amdhsa_enable_private_segment 0
		.amdhsa_system_sgpr_workgroup_id_x 1
		.amdhsa_system_sgpr_workgroup_id_y 0
		.amdhsa_system_sgpr_workgroup_id_z 0
		.amdhsa_system_sgpr_workgroup_info 0
		.amdhsa_system_vgpr_workitem_id 0
		.amdhsa_next_free_vgpr 1
		.amdhsa_next_free_sgpr 1
		.amdhsa_reserve_vcc 0
		.amdhsa_float_round_mode_32 0
		.amdhsa_float_round_mode_16_64 0
		.amdhsa_float_denorm_mode_32 3
		.amdhsa_float_denorm_mode_16_64 3
		.amdhsa_dx10_clamp 1
		.amdhsa_ieee_mode 1
		.amdhsa_fp16_overflow 0
		.amdhsa_workgroup_processor_mode 1
		.amdhsa_memory_ordered 1
		.amdhsa_forward_progress 0
		.amdhsa_shared_vgpr_count 0
		.amdhsa_exception_fp_ieee_invalid_op 0
		.amdhsa_exception_fp_denorm_src 0
		.amdhsa_exception_fp_ieee_div_zero 0
		.amdhsa_exception_fp_ieee_overflow 0
		.amdhsa_exception_fp_ieee_underflow 0
		.amdhsa_exception_fp_ieee_inexact 0
		.amdhsa_exception_int_div_zero 0
	.end_amdhsa_kernel
	.section	.text._ZN7rocprim17ROCPRIM_400000_NS6detail17trampoline_kernelINS0_14default_configENS1_29reduce_by_key_config_selectorIiiN6thrust23THRUST_200600_302600_NS4plusIiEEEEZZNS1_33reduce_by_key_impl_wrapped_configILNS1_25lookback_scan_determinismE0ES3_S9_NS6_10device_ptrIiEESD_SD_SD_PmS8_NS6_8equal_toIiEEEE10hipError_tPvRmT2_T3_mT4_T5_T6_T7_T8_P12ihipStream_tbENKUlT_T0_E_clISt17integral_constantIbLb1EESY_EEDaST_SU_EUlST_E_NS1_11comp_targetILNS1_3genE10ELNS1_11target_archE1200ELNS1_3gpuE4ELNS1_3repE0EEENS1_30default_config_static_selectorELNS0_4arch9wavefront6targetE0EEEvT1_,"axG",@progbits,_ZN7rocprim17ROCPRIM_400000_NS6detail17trampoline_kernelINS0_14default_configENS1_29reduce_by_key_config_selectorIiiN6thrust23THRUST_200600_302600_NS4plusIiEEEEZZNS1_33reduce_by_key_impl_wrapped_configILNS1_25lookback_scan_determinismE0ES3_S9_NS6_10device_ptrIiEESD_SD_SD_PmS8_NS6_8equal_toIiEEEE10hipError_tPvRmT2_T3_mT4_T5_T6_T7_T8_P12ihipStream_tbENKUlT_T0_E_clISt17integral_constantIbLb1EESY_EEDaST_SU_EUlST_E_NS1_11comp_targetILNS1_3genE10ELNS1_11target_archE1200ELNS1_3gpuE4ELNS1_3repE0EEENS1_30default_config_static_selectorELNS0_4arch9wavefront6targetE0EEEvT1_,comdat
.Lfunc_end1109:
	.size	_ZN7rocprim17ROCPRIM_400000_NS6detail17trampoline_kernelINS0_14default_configENS1_29reduce_by_key_config_selectorIiiN6thrust23THRUST_200600_302600_NS4plusIiEEEEZZNS1_33reduce_by_key_impl_wrapped_configILNS1_25lookback_scan_determinismE0ES3_S9_NS6_10device_ptrIiEESD_SD_SD_PmS8_NS6_8equal_toIiEEEE10hipError_tPvRmT2_T3_mT4_T5_T6_T7_T8_P12ihipStream_tbENKUlT_T0_E_clISt17integral_constantIbLb1EESY_EEDaST_SU_EUlST_E_NS1_11comp_targetILNS1_3genE10ELNS1_11target_archE1200ELNS1_3gpuE4ELNS1_3repE0EEENS1_30default_config_static_selectorELNS0_4arch9wavefront6targetE0EEEvT1_, .Lfunc_end1109-_ZN7rocprim17ROCPRIM_400000_NS6detail17trampoline_kernelINS0_14default_configENS1_29reduce_by_key_config_selectorIiiN6thrust23THRUST_200600_302600_NS4plusIiEEEEZZNS1_33reduce_by_key_impl_wrapped_configILNS1_25lookback_scan_determinismE0ES3_S9_NS6_10device_ptrIiEESD_SD_SD_PmS8_NS6_8equal_toIiEEEE10hipError_tPvRmT2_T3_mT4_T5_T6_T7_T8_P12ihipStream_tbENKUlT_T0_E_clISt17integral_constantIbLb1EESY_EEDaST_SU_EUlST_E_NS1_11comp_targetILNS1_3genE10ELNS1_11target_archE1200ELNS1_3gpuE4ELNS1_3repE0EEENS1_30default_config_static_selectorELNS0_4arch9wavefront6targetE0EEEvT1_
                                        ; -- End function
	.section	.AMDGPU.csdata,"",@progbits
; Kernel info:
; codeLenInByte = 0
; NumSgprs: 0
; NumVgprs: 0
; ScratchSize: 0
; MemoryBound: 0
; FloatMode: 240
; IeeeMode: 1
; LDSByteSize: 0 bytes/workgroup (compile time only)
; SGPRBlocks: 0
; VGPRBlocks: 0
; NumSGPRsForWavesPerEU: 1
; NumVGPRsForWavesPerEU: 1
; Occupancy: 16
; WaveLimiterHint : 0
; COMPUTE_PGM_RSRC2:SCRATCH_EN: 0
; COMPUTE_PGM_RSRC2:USER_SGPR: 15
; COMPUTE_PGM_RSRC2:TRAP_HANDLER: 0
; COMPUTE_PGM_RSRC2:TGID_X_EN: 1
; COMPUTE_PGM_RSRC2:TGID_Y_EN: 0
; COMPUTE_PGM_RSRC2:TGID_Z_EN: 0
; COMPUTE_PGM_RSRC2:TIDIG_COMP_CNT: 0
	.section	.text._ZN7rocprim17ROCPRIM_400000_NS6detail17trampoline_kernelINS0_14default_configENS1_29reduce_by_key_config_selectorIiiN6thrust23THRUST_200600_302600_NS4plusIiEEEEZZNS1_33reduce_by_key_impl_wrapped_configILNS1_25lookback_scan_determinismE0ES3_S9_NS6_10device_ptrIiEESD_SD_SD_PmS8_NS6_8equal_toIiEEEE10hipError_tPvRmT2_T3_mT4_T5_T6_T7_T8_P12ihipStream_tbENKUlT_T0_E_clISt17integral_constantIbLb1EESY_EEDaST_SU_EUlST_E_NS1_11comp_targetILNS1_3genE9ELNS1_11target_archE1100ELNS1_3gpuE3ELNS1_3repE0EEENS1_30default_config_static_selectorELNS0_4arch9wavefront6targetE0EEEvT1_,"axG",@progbits,_ZN7rocprim17ROCPRIM_400000_NS6detail17trampoline_kernelINS0_14default_configENS1_29reduce_by_key_config_selectorIiiN6thrust23THRUST_200600_302600_NS4plusIiEEEEZZNS1_33reduce_by_key_impl_wrapped_configILNS1_25lookback_scan_determinismE0ES3_S9_NS6_10device_ptrIiEESD_SD_SD_PmS8_NS6_8equal_toIiEEEE10hipError_tPvRmT2_T3_mT4_T5_T6_T7_T8_P12ihipStream_tbENKUlT_T0_E_clISt17integral_constantIbLb1EESY_EEDaST_SU_EUlST_E_NS1_11comp_targetILNS1_3genE9ELNS1_11target_archE1100ELNS1_3gpuE3ELNS1_3repE0EEENS1_30default_config_static_selectorELNS0_4arch9wavefront6targetE0EEEvT1_,comdat
	.protected	_ZN7rocprim17ROCPRIM_400000_NS6detail17trampoline_kernelINS0_14default_configENS1_29reduce_by_key_config_selectorIiiN6thrust23THRUST_200600_302600_NS4plusIiEEEEZZNS1_33reduce_by_key_impl_wrapped_configILNS1_25lookback_scan_determinismE0ES3_S9_NS6_10device_ptrIiEESD_SD_SD_PmS8_NS6_8equal_toIiEEEE10hipError_tPvRmT2_T3_mT4_T5_T6_T7_T8_P12ihipStream_tbENKUlT_T0_E_clISt17integral_constantIbLb1EESY_EEDaST_SU_EUlST_E_NS1_11comp_targetILNS1_3genE9ELNS1_11target_archE1100ELNS1_3gpuE3ELNS1_3repE0EEENS1_30default_config_static_selectorELNS0_4arch9wavefront6targetE0EEEvT1_ ; -- Begin function _ZN7rocprim17ROCPRIM_400000_NS6detail17trampoline_kernelINS0_14default_configENS1_29reduce_by_key_config_selectorIiiN6thrust23THRUST_200600_302600_NS4plusIiEEEEZZNS1_33reduce_by_key_impl_wrapped_configILNS1_25lookback_scan_determinismE0ES3_S9_NS6_10device_ptrIiEESD_SD_SD_PmS8_NS6_8equal_toIiEEEE10hipError_tPvRmT2_T3_mT4_T5_T6_T7_T8_P12ihipStream_tbENKUlT_T0_E_clISt17integral_constantIbLb1EESY_EEDaST_SU_EUlST_E_NS1_11comp_targetILNS1_3genE9ELNS1_11target_archE1100ELNS1_3gpuE3ELNS1_3repE0EEENS1_30default_config_static_selectorELNS0_4arch9wavefront6targetE0EEEvT1_
	.globl	_ZN7rocprim17ROCPRIM_400000_NS6detail17trampoline_kernelINS0_14default_configENS1_29reduce_by_key_config_selectorIiiN6thrust23THRUST_200600_302600_NS4plusIiEEEEZZNS1_33reduce_by_key_impl_wrapped_configILNS1_25lookback_scan_determinismE0ES3_S9_NS6_10device_ptrIiEESD_SD_SD_PmS8_NS6_8equal_toIiEEEE10hipError_tPvRmT2_T3_mT4_T5_T6_T7_T8_P12ihipStream_tbENKUlT_T0_E_clISt17integral_constantIbLb1EESY_EEDaST_SU_EUlST_E_NS1_11comp_targetILNS1_3genE9ELNS1_11target_archE1100ELNS1_3gpuE3ELNS1_3repE0EEENS1_30default_config_static_selectorELNS0_4arch9wavefront6targetE0EEEvT1_
	.p2align	8
	.type	_ZN7rocprim17ROCPRIM_400000_NS6detail17trampoline_kernelINS0_14default_configENS1_29reduce_by_key_config_selectorIiiN6thrust23THRUST_200600_302600_NS4plusIiEEEEZZNS1_33reduce_by_key_impl_wrapped_configILNS1_25lookback_scan_determinismE0ES3_S9_NS6_10device_ptrIiEESD_SD_SD_PmS8_NS6_8equal_toIiEEEE10hipError_tPvRmT2_T3_mT4_T5_T6_T7_T8_P12ihipStream_tbENKUlT_T0_E_clISt17integral_constantIbLb1EESY_EEDaST_SU_EUlST_E_NS1_11comp_targetILNS1_3genE9ELNS1_11target_archE1100ELNS1_3gpuE3ELNS1_3repE0EEENS1_30default_config_static_selectorELNS0_4arch9wavefront6targetE0EEEvT1_,@function
_ZN7rocprim17ROCPRIM_400000_NS6detail17trampoline_kernelINS0_14default_configENS1_29reduce_by_key_config_selectorIiiN6thrust23THRUST_200600_302600_NS4plusIiEEEEZZNS1_33reduce_by_key_impl_wrapped_configILNS1_25lookback_scan_determinismE0ES3_S9_NS6_10device_ptrIiEESD_SD_SD_PmS8_NS6_8equal_toIiEEEE10hipError_tPvRmT2_T3_mT4_T5_T6_T7_T8_P12ihipStream_tbENKUlT_T0_E_clISt17integral_constantIbLb1EESY_EEDaST_SU_EUlST_E_NS1_11comp_targetILNS1_3genE9ELNS1_11target_archE1100ELNS1_3gpuE3ELNS1_3repE0EEENS1_30default_config_static_selectorELNS0_4arch9wavefront6targetE0EEEvT1_: ; @_ZN7rocprim17ROCPRIM_400000_NS6detail17trampoline_kernelINS0_14default_configENS1_29reduce_by_key_config_selectorIiiN6thrust23THRUST_200600_302600_NS4plusIiEEEEZZNS1_33reduce_by_key_impl_wrapped_configILNS1_25lookback_scan_determinismE0ES3_S9_NS6_10device_ptrIiEESD_SD_SD_PmS8_NS6_8equal_toIiEEEE10hipError_tPvRmT2_T3_mT4_T5_T6_T7_T8_P12ihipStream_tbENKUlT_T0_E_clISt17integral_constantIbLb1EESY_EEDaST_SU_EUlST_E_NS1_11comp_targetILNS1_3genE9ELNS1_11target_archE1100ELNS1_3gpuE3ELNS1_3repE0EEENS1_30default_config_static_selectorELNS0_4arch9wavefront6targetE0EEEvT1_
; %bb.0:
	s_clause 0x4
	s_load_b256 s[20:27], s[0:1], 0x0
	s_load_b128 s[28:31], s[0:1], 0x20
	s_load_b256 s[36:43], s[0:1], 0x38
	s_load_b64 s[34:35], s[0:1], 0x68
	s_load_b128 s[44:47], s[0:1], 0x58
	v_cmp_ne_u32_e64 s3, 0, v0
	v_cmp_eq_u32_e64 s2, 0, v0
	s_delay_alu instid0(VALU_DEP_1)
	s_and_saveexec_b32 s4, s2
	s_cbranch_execz .LBB1110_4
; %bb.1:
	s_mov_b32 s6, exec_lo
	s_mov_b32 s5, exec_lo
	v_mbcnt_lo_u32_b32 v1, s6, 0
                                        ; implicit-def: $vgpr2
	s_delay_alu instid0(VALU_DEP_1)
	v_cmpx_eq_u32_e32 0, v1
	s_cbranch_execz .LBB1110_3
; %bb.2:
	s_load_b64 s[0:1], s[0:1], 0x70
	s_bcnt1_i32_b32 s6, s6
	s_delay_alu instid0(SALU_CYCLE_1)
	v_dual_mov_b32 v2, 0 :: v_dual_mov_b32 v3, s6
	s_waitcnt lgkmcnt(0)
	global_atomic_add_u32 v2, v2, v3, s[0:1] glc
.LBB1110_3:
	s_or_b32 exec_lo, exec_lo, s5
	s_waitcnt vmcnt(0)
	v_readfirstlane_b32 s0, v2
	s_delay_alu instid0(VALU_DEP_1)
	v_dual_mov_b32 v2, 0 :: v_dual_add_nc_u32 v1, s0, v1
	ds_store_b32 v2, v1
.LBB1110_4:
	s_or_b32 exec_lo, exec_lo, s4
	v_mov_b32_e32 v2, 0
	s_waitcnt lgkmcnt(0)
	s_barrier
	buffer_gl0_inv
	s_lshl_b64 s[4:5], s[22:23], 2
	ds_load_b32 v1, v2
	s_add_u32 s9, s20, s4
	s_mul_i32 s1, s40, s39
	s_mul_hi_u32 s6, s40, s38
	s_addc_u32 s10, s21, s5
	s_add_u32 s11, s24, s4
	s_mul_i32 s7, s41, s38
	s_addc_u32 s12, s25, s5
	s_add_i32 s1, s6, s1
	s_mul_i32 s8, s40, s38
	s_add_i32 s1, s1, s7
	s_mov_b32 s0, 0
	s_waitcnt lgkmcnt(0)
	s_barrier
	buffer_gl0_inv
	v_readfirstlane_b32 s48, v1
	v_mul_lo_u32 v1, 0xf00, v1
	s_delay_alu instid0(VALU_DEP_2) | instskip(SKIP_3) | instid1(VALU_DEP_1)
	s_add_u32 s18, s8, s48
	s_addc_u32 s19, s1, 0
	s_add_u32 s4, s42, -1
	s_addc_u32 s5, s43, -1
	v_lshlrev_b64 v[3:4], 2, v[1:2]
	s_cmp_eq_u64 s[18:19], s[4:5]
	s_mul_i32 s40, s4, 0xfffff100
	s_cselect_b32 s33, -1, 0
	s_cmp_lg_u64 s[18:19], s[4:5]
	s_delay_alu instid0(VALU_DEP_1)
	v_add_co_u32 v2, vcc_lo, s9, v3
	v_add_co_ci_u32_e32 v1, vcc_lo, s10, v4, vcc_lo
	v_add_co_u32 v3, vcc_lo, s11, v3
	v_add_co_ci_u32_e32 v4, vcc_lo, s12, v4, vcc_lo
	s_cselect_b32 s17, -1, 0
	s_and_b32 vcc_lo, exec_lo, s33
	s_cbranch_vccnz .LBB1110_6
; %bb.5:
	v_lshlrev_b32_e32 v29, 2, v0
	s_delay_alu instid0(VALU_DEP_1) | instskip(SKIP_1) | instid1(VALU_DEP_2)
	v_add_co_u32 v5, vcc_lo, v2, v29
	v_add_co_ci_u32_e32 v6, vcc_lo, 0, v1, vcc_lo
	v_add_co_u32 v7, vcc_lo, 0x1000, v5
	s_delay_alu instid0(VALU_DEP_2)
	v_add_co_ci_u32_e32 v8, vcc_lo, 0, v6, vcc_lo
	s_clause 0x7
	flat_load_b32 v9, v[5:6]
	flat_load_b32 v10, v[5:6] offset:1024
	flat_load_b32 v11, v[5:6] offset:2048
	;; [unrolled: 1-line block ×3, first 2 shown]
	flat_load_b32 v13, v[7:8]
	flat_load_b32 v14, v[7:8] offset:1024
	flat_load_b32 v15, v[7:8] offset:2048
	;; [unrolled: 1-line block ×3, first 2 shown]
	v_add_co_u32 v7, vcc_lo, 0x2000, v5
	v_add_co_ci_u32_e32 v8, vcc_lo, 0, v6, vcc_lo
	v_add_co_u32 v5, vcc_lo, 0x3000, v5
	v_add_co_ci_u32_e32 v6, vcc_lo, 0, v6, vcc_lo
	s_clause 0x6
	flat_load_b32 v17, v[7:8]
	flat_load_b32 v18, v[7:8] offset:1024
	flat_load_b32 v19, v[7:8] offset:2048
	;; [unrolled: 1-line block ×3, first 2 shown]
	flat_load_b32 v20, v[5:6]
	flat_load_b32 v21, v[5:6] offset:1024
	flat_load_b32 v22, v[5:6] offset:2048
	v_add_co_u32 v6, vcc_lo, v3, v29
	v_add_co_ci_u32_e32 v7, vcc_lo, 0, v4, vcc_lo
	v_mad_u32_u24 v5, v0, 56, v29
	s_delay_alu instid0(VALU_DEP_3) | instskip(NEXT) | instid1(VALU_DEP_3)
	v_add_co_u32 v23, vcc_lo, 0x1000, v6
	v_add_co_ci_u32_e32 v24, vcc_lo, 0, v7, vcc_lo
	v_add_co_u32 v25, vcc_lo, 0x2000, v6
	v_add_co_ci_u32_e32 v26, vcc_lo, 0, v7, vcc_lo
	;; [unrolled: 2-line block ×3, first 2 shown]
	s_waitcnt vmcnt(13) lgkmcnt(13)
	ds_store_2addr_stride64_b32 v29, v9, v10 offset1:4
	s_waitcnt vmcnt(11) lgkmcnt(12)
	ds_store_2addr_stride64_b32 v29, v11, v12 offset0:8 offset1:12
	s_waitcnt vmcnt(9) lgkmcnt(11)
	ds_store_2addr_stride64_b32 v29, v13, v14 offset0:16 offset1:20
	;; [unrolled: 2-line block ×6, first 2 shown]
	s_waitcnt vmcnt(0) lgkmcnt(7)
	ds_store_b32 v29, v22 offset:14336
	s_waitcnt lgkmcnt(0)
	s_barrier
	buffer_gl0_inv
	ds_load_2addr_b32 v[21:22], v5 offset1:1
	ds_load_2addr_b32 v[19:20], v5 offset0:2 offset1:3
	ds_load_2addr_b32 v[17:18], v5 offset0:4 offset1:5
	;; [unrolled: 1-line block ×6, first 2 shown]
	ds_load_b32 v63, v5 offset:56
	s_waitcnt lgkmcnt(0)
	s_barrier
	buffer_gl0_inv
	s_clause 0xe
	flat_load_b32 v8, v[6:7]
	flat_load_b32 v30, v[6:7] offset:1024
	flat_load_b32 v31, v[6:7] offset:2048
	flat_load_b32 v6, v[6:7] offset:3072
	flat_load_b32 v7, v[23:24]
	flat_load_b32 v32, v[23:24] offset:1024
	flat_load_b32 v33, v[23:24] offset:2048
	flat_load_b32 v23, v[23:24] offset:3072
	;; [unrolled: 4-line block ×3, first 2 shown]
	flat_load_b32 v26, v[27:28]
	flat_load_b32 v36, v[27:28] offset:1024
	flat_load_b32 v27, v[27:28] offset:2048
	s_waitcnt vmcnt(13) lgkmcnt(13)
	ds_store_2addr_stride64_b32 v29, v8, v30 offset1:4
	s_waitcnt vmcnt(11) lgkmcnt(12)
	ds_store_2addr_stride64_b32 v29, v31, v6 offset0:8 offset1:12
	s_waitcnt vmcnt(9) lgkmcnt(11)
	ds_store_2addr_stride64_b32 v29, v7, v32 offset0:16 offset1:20
	;; [unrolled: 2-line block ×6, first 2 shown]
	s_waitcnt vmcnt(0) lgkmcnt(7)
	ds_store_b32 v29, v27 offset:14336
	s_waitcnt lgkmcnt(0)
	s_barrier
	s_and_not1_b32 vcc_lo, exec_lo, s0
	s_add_i32 s40, s40, s44
	s_cbranch_vccz .LBB1110_7
	s_branch .LBB1110_54
.LBB1110_6:
                                        ; implicit-def: $vgpr5
                                        ; implicit-def: $vgpr21
                                        ; implicit-def: $vgpr19
                                        ; implicit-def: $vgpr17
                                        ; implicit-def: $vgpr15
                                        ; implicit-def: $vgpr13
                                        ; implicit-def: $vgpr11
                                        ; implicit-def: $vgpr9
                                        ; implicit-def: $vgpr63
	s_add_i32 s40, s40, s44
.LBB1110_7:
	s_delay_alu instid0(SALU_CYCLE_1)
	v_cmp_gt_u32_e32 vcc_lo, s40, v0
                                        ; implicit-def: $vgpr5
	s_and_saveexec_b32 s1, vcc_lo
	s_cbranch_execz .LBB1110_9
; %bb.8:
	v_lshlrev_b32_e32 v5, 2, v0
	s_delay_alu instid0(VALU_DEP_1) | instskip(NEXT) | instid1(VALU_DEP_1)
	v_add_co_u32 v5, s0, v2, v5
	v_add_co_ci_u32_e64 v6, s0, 0, v1, s0
	flat_load_b32 v5, v[5:6]
.LBB1110_9:
	s_or_b32 exec_lo, exec_lo, s1
	v_or_b32_e32 v6, 0x100, v0
                                        ; implicit-def: $vgpr9
	s_delay_alu instid0(VALU_DEP_1) | instskip(NEXT) | instid1(VALU_DEP_1)
	v_cmp_gt_u32_e64 s0, s40, v6
	s_and_saveexec_b32 s4, s0
	s_cbranch_execz .LBB1110_11
; %bb.10:
	v_lshlrev_b32_e32 v6, 2, v0
	s_delay_alu instid0(VALU_DEP_1) | instskip(NEXT) | instid1(VALU_DEP_1)
	v_add_co_u32 v6, s1, v2, v6
	v_add_co_ci_u32_e64 v7, s1, 0, v1, s1
	flat_load_b32 v9, v[6:7] offset:1024
.LBB1110_11:
	s_or_b32 exec_lo, exec_lo, s4
	v_or_b32_e32 v6, 0x200, v0
                                        ; implicit-def: $vgpr10
	s_delay_alu instid0(VALU_DEP_1) | instskip(NEXT) | instid1(VALU_DEP_1)
	v_cmp_gt_u32_e64 s1, s40, v6
	s_and_saveexec_b32 s5, s1
	s_cbranch_execz .LBB1110_13
; %bb.12:
	v_lshlrev_b32_e32 v6, 2, v0
	s_delay_alu instid0(VALU_DEP_1) | instskip(NEXT) | instid1(VALU_DEP_1)
	v_add_co_u32 v6, s4, v2, v6
	v_add_co_ci_u32_e64 v7, s4, 0, v1, s4
	flat_load_b32 v10, v[6:7] offset:2048
.LBB1110_13:
	s_or_b32 exec_lo, exec_lo, s5
	v_or_b32_e32 v6, 0x300, v0
                                        ; implicit-def: $vgpr11
	s_delay_alu instid0(VALU_DEP_1) | instskip(NEXT) | instid1(VALU_DEP_1)
	v_cmp_gt_u32_e64 s4, s40, v6
	s_and_saveexec_b32 s6, s4
	s_cbranch_execz .LBB1110_15
; %bb.14:
	v_lshlrev_b32_e32 v6, 2, v0
	s_delay_alu instid0(VALU_DEP_1) | instskip(NEXT) | instid1(VALU_DEP_1)
	v_add_co_u32 v6, s5, v2, v6
	v_add_co_ci_u32_e64 v7, s5, 0, v1, s5
	flat_load_b32 v11, v[6:7] offset:3072
.LBB1110_15:
	s_or_b32 exec_lo, exec_lo, s6
	v_or_b32_e32 v6, 0x400, v0
                                        ; implicit-def: $vgpr12
	s_delay_alu instid0(VALU_DEP_1) | instskip(NEXT) | instid1(VALU_DEP_1)
	v_cmp_gt_u32_e64 s5, s40, v6
	s_and_saveexec_b32 s7, s5
	s_cbranch_execz .LBB1110_17
; %bb.16:
	v_lshlrev_b32_e32 v7, 2, v6
	s_delay_alu instid0(VALU_DEP_1) | instskip(NEXT) | instid1(VALU_DEP_1)
	v_add_co_u32 v7, s6, v2, v7
	v_add_co_ci_u32_e64 v8, s6, 0, v1, s6
	flat_load_b32 v12, v[7:8]
.LBB1110_17:
	s_or_b32 exec_lo, exec_lo, s7
	v_or_b32_e32 v7, 0x500, v0
                                        ; implicit-def: $vgpr13
	s_delay_alu instid0(VALU_DEP_1) | instskip(NEXT) | instid1(VALU_DEP_1)
	v_cmp_gt_u32_e64 s6, s40, v7
	s_and_saveexec_b32 s8, s6
	s_cbranch_execz .LBB1110_19
; %bb.18:
	v_lshlrev_b32_e32 v8, 2, v7
	s_delay_alu instid0(VALU_DEP_1) | instskip(NEXT) | instid1(VALU_DEP_1)
	v_add_co_u32 v13, s7, v2, v8
	v_add_co_ci_u32_e64 v14, s7, 0, v1, s7
	flat_load_b32 v13, v[13:14]
.LBB1110_19:
	s_or_b32 exec_lo, exec_lo, s8
	v_or_b32_e32 v8, 0x600, v0
                                        ; implicit-def: $vgpr14
	s_delay_alu instid0(VALU_DEP_1) | instskip(NEXT) | instid1(VALU_DEP_1)
	v_cmp_gt_u32_e64 s7, s40, v8
	s_and_saveexec_b32 s9, s7
	s_cbranch_execz .LBB1110_21
; %bb.20:
	v_lshlrev_b32_e32 v14, 2, v8
	s_delay_alu instid0(VALU_DEP_1) | instskip(NEXT) | instid1(VALU_DEP_1)
	v_add_co_u32 v14, s8, v2, v14
	v_add_co_ci_u32_e64 v15, s8, 0, v1, s8
	flat_load_b32 v14, v[14:15]
.LBB1110_21:
	s_or_b32 exec_lo, exec_lo, s9
	v_or_b32_e32 v23, 0x700, v0
                                        ; implicit-def: $vgpr15
	s_delay_alu instid0(VALU_DEP_1) | instskip(NEXT) | instid1(VALU_DEP_1)
	v_cmp_gt_u32_e64 s8, s40, v23
	s_and_saveexec_b32 s10, s8
	s_cbranch_execz .LBB1110_23
; %bb.22:
	v_lshlrev_b32_e32 v15, 2, v23
	s_delay_alu instid0(VALU_DEP_1) | instskip(NEXT) | instid1(VALU_DEP_1)
	v_add_co_u32 v15, s9, v2, v15
	v_add_co_ci_u32_e64 v16, s9, 0, v1, s9
	flat_load_b32 v15, v[15:16]
.LBB1110_23:
	s_or_b32 exec_lo, exec_lo, s10
	v_or_b32_e32 v24, 0x800, v0
                                        ; implicit-def: $vgpr16
	s_delay_alu instid0(VALU_DEP_1) | instskip(NEXT) | instid1(VALU_DEP_1)
	v_cmp_gt_u32_e64 s9, s40, v24
	s_and_saveexec_b32 s11, s9
	s_cbranch_execz .LBB1110_25
; %bb.24:
	v_lshlrev_b32_e32 v16, 2, v24
	s_delay_alu instid0(VALU_DEP_1) | instskip(NEXT) | instid1(VALU_DEP_1)
	v_add_co_u32 v16, s10, v2, v16
	v_add_co_ci_u32_e64 v17, s10, 0, v1, s10
	flat_load_b32 v16, v[16:17]
.LBB1110_25:
	s_or_b32 exec_lo, exec_lo, s11
	v_or_b32_e32 v26, 0x900, v0
                                        ; implicit-def: $vgpr17
	s_delay_alu instid0(VALU_DEP_1) | instskip(NEXT) | instid1(VALU_DEP_1)
	v_cmp_gt_u32_e64 s10, s40, v26
	s_and_saveexec_b32 s12, s10
	s_cbranch_execz .LBB1110_27
; %bb.26:
	v_lshlrev_b32_e32 v17, 2, v26
	s_delay_alu instid0(VALU_DEP_1) | instskip(NEXT) | instid1(VALU_DEP_1)
	v_add_co_u32 v17, s11, v2, v17
	v_add_co_ci_u32_e64 v18, s11, 0, v1, s11
	flat_load_b32 v17, v[17:18]
.LBB1110_27:
	s_or_b32 exec_lo, exec_lo, s12
	v_or_b32_e32 v27, 0xa00, v0
                                        ; implicit-def: $vgpr18
	s_delay_alu instid0(VALU_DEP_1) | instskip(NEXT) | instid1(VALU_DEP_1)
	v_cmp_gt_u32_e64 s11, s40, v27
	s_and_saveexec_b32 s13, s11
	s_cbranch_execz .LBB1110_29
; %bb.28:
	v_lshlrev_b32_e32 v18, 2, v27
	s_delay_alu instid0(VALU_DEP_1) | instskip(NEXT) | instid1(VALU_DEP_1)
	v_add_co_u32 v18, s12, v2, v18
	v_add_co_ci_u32_e64 v19, s12, 0, v1, s12
	flat_load_b32 v18, v[18:19]
.LBB1110_29:
	s_or_b32 exec_lo, exec_lo, s13
	v_or_b32_e32 v28, 0xb00, v0
                                        ; implicit-def: $vgpr19
	s_delay_alu instid0(VALU_DEP_1) | instskip(NEXT) | instid1(VALU_DEP_1)
	v_cmp_gt_u32_e64 s12, s40, v28
	s_and_saveexec_b32 s14, s12
	s_cbranch_execz .LBB1110_31
; %bb.30:
	v_lshlrev_b32_e32 v19, 2, v28
	s_delay_alu instid0(VALU_DEP_1) | instskip(NEXT) | instid1(VALU_DEP_1)
	v_add_co_u32 v19, s13, v2, v19
	v_add_co_ci_u32_e64 v20, s13, 0, v1, s13
	flat_load_b32 v19, v[19:20]
.LBB1110_31:
	s_or_b32 exec_lo, exec_lo, s14
	v_or_b32_e32 v29, 0xc00, v0
                                        ; implicit-def: $vgpr20
	s_delay_alu instid0(VALU_DEP_1) | instskip(NEXT) | instid1(VALU_DEP_1)
	v_cmp_gt_u32_e64 s13, s40, v29
	s_and_saveexec_b32 s15, s13
	s_cbranch_execz .LBB1110_33
; %bb.32:
	v_lshlrev_b32_e32 v20, 2, v29
	s_delay_alu instid0(VALU_DEP_1) | instskip(NEXT) | instid1(VALU_DEP_1)
	v_add_co_u32 v20, s14, v2, v20
	v_add_co_ci_u32_e64 v21, s14, 0, v1, s14
	flat_load_b32 v20, v[20:21]
.LBB1110_33:
	s_or_b32 exec_lo, exec_lo, s15
	v_or_b32_e32 v30, 0xd00, v0
                                        ; implicit-def: $vgpr21
	s_delay_alu instid0(VALU_DEP_1) | instskip(NEXT) | instid1(VALU_DEP_1)
	v_cmp_gt_u32_e64 s14, s40, v30
	s_and_saveexec_b32 s16, s14
	s_cbranch_execz .LBB1110_35
; %bb.34:
	v_lshlrev_b32_e32 v21, 2, v30
	s_delay_alu instid0(VALU_DEP_1) | instskip(NEXT) | instid1(VALU_DEP_1)
	v_add_co_u32 v21, s15, v2, v21
	v_add_co_ci_u32_e64 v22, s15, 0, v1, s15
	flat_load_b32 v21, v[21:22]
.LBB1110_35:
	s_or_b32 exec_lo, exec_lo, s16
	v_or_b32_e32 v31, 0xe00, v0
                                        ; implicit-def: $vgpr22
	s_delay_alu instid0(VALU_DEP_1) | instskip(NEXT) | instid1(VALU_DEP_1)
	v_cmp_gt_u32_e64 s15, s40, v31
	s_and_saveexec_b32 s20, s15
	s_cbranch_execz .LBB1110_37
; %bb.36:
	v_lshlrev_b32_e32 v22, 2, v31
	s_delay_alu instid0(VALU_DEP_1) | instskip(NEXT) | instid1(VALU_DEP_1)
	v_add_co_u32 v32, s16, v2, v22
	v_add_co_ci_u32_e64 v33, s16, 0, v1, s16
	flat_load_b32 v22, v[32:33]
.LBB1110_37:
	s_or_b32 exec_lo, exec_lo, s20
	v_lshlrev_b32_e32 v25, 2, v0
                                        ; implicit-def: $vgpr32
	s_waitcnt vmcnt(0) lgkmcnt(0)
	ds_store_2addr_stride64_b32 v25, v5, v9 offset1:4
	ds_store_2addr_stride64_b32 v25, v10, v11 offset0:8 offset1:12
	ds_store_2addr_stride64_b32 v25, v12, v13 offset0:16 offset1:20
	;; [unrolled: 1-line block ×6, first 2 shown]
	v_mad_u32_u24 v5, v0, 56, v25
	ds_store_b32 v25, v22 offset:14336
	s_waitcnt lgkmcnt(0)
	s_barrier
	buffer_gl0_inv
	ds_load_2addr_b32 v[21:22], v5 offset1:1
	ds_load_2addr_b32 v[19:20], v5 offset0:2 offset1:3
	ds_load_2addr_b32 v[17:18], v5 offset0:4 offset1:5
	;; [unrolled: 1-line block ×6, first 2 shown]
	ds_load_b32 v63, v5 offset:56
	s_waitcnt lgkmcnt(0)
	s_barrier
	buffer_gl0_inv
	s_and_saveexec_b32 s16, vcc_lo
	s_cbranch_execnz .LBB1110_61
; %bb.38:
	s_or_b32 exec_lo, exec_lo, s16
                                        ; implicit-def: $vgpr33
	s_and_saveexec_b32 s16, s0
	s_cbranch_execnz .LBB1110_62
.LBB1110_39:
	s_or_b32 exec_lo, exec_lo, s16
                                        ; implicit-def: $vgpr34
	s_and_saveexec_b32 s0, s1
	s_cbranch_execnz .LBB1110_63
.LBB1110_40:
	s_or_b32 exec_lo, exec_lo, s0
                                        ; implicit-def: $vgpr35
	s_and_saveexec_b32 s0, s4
	s_cbranch_execnz .LBB1110_64
.LBB1110_41:
	s_or_b32 exec_lo, exec_lo, s0
                                        ; implicit-def: $vgpr36
	s_and_saveexec_b32 s0, s5
	s_cbranch_execnz .LBB1110_65
.LBB1110_42:
	s_or_b32 exec_lo, exec_lo, s0
                                        ; implicit-def: $vgpr6
	s_and_saveexec_b32 s0, s6
	s_cbranch_execnz .LBB1110_66
.LBB1110_43:
	s_or_b32 exec_lo, exec_lo, s0
                                        ; implicit-def: $vgpr7
	s_and_saveexec_b32 s0, s7
	s_cbranch_execnz .LBB1110_67
.LBB1110_44:
	s_or_b32 exec_lo, exec_lo, s0
                                        ; implicit-def: $vgpr8
	s_and_saveexec_b32 s0, s8
	s_cbranch_execnz .LBB1110_68
.LBB1110_45:
	s_or_b32 exec_lo, exec_lo, s0
                                        ; implicit-def: $vgpr23
	s_and_saveexec_b32 s0, s9
	s_cbranch_execnz .LBB1110_69
.LBB1110_46:
	s_or_b32 exec_lo, exec_lo, s0
                                        ; implicit-def: $vgpr24
	s_and_saveexec_b32 s0, s10
	s_cbranch_execnz .LBB1110_70
.LBB1110_47:
	s_or_b32 exec_lo, exec_lo, s0
                                        ; implicit-def: $vgpr26
	s_and_saveexec_b32 s0, s11
	s_cbranch_execnz .LBB1110_71
.LBB1110_48:
	s_or_b32 exec_lo, exec_lo, s0
                                        ; implicit-def: $vgpr27
	s_and_saveexec_b32 s0, s12
	s_cbranch_execnz .LBB1110_72
.LBB1110_49:
	s_or_b32 exec_lo, exec_lo, s0
                                        ; implicit-def: $vgpr28
	s_and_saveexec_b32 s0, s13
	s_cbranch_execnz .LBB1110_73
.LBB1110_50:
	s_or_b32 exec_lo, exec_lo, s0
                                        ; implicit-def: $vgpr29
	s_and_saveexec_b32 s0, s14
	s_cbranch_execnz .LBB1110_74
.LBB1110_51:
	s_or_b32 exec_lo, exec_lo, s0
                                        ; implicit-def: $vgpr30
	s_and_saveexec_b32 s0, s15
	s_cbranch_execz .LBB1110_53
.LBB1110_52:
	v_lshlrev_b32_e32 v30, 2, v31
	s_delay_alu instid0(VALU_DEP_1)
	v_add_co_u32 v3, vcc_lo, v3, v30
	v_add_co_ci_u32_e32 v4, vcc_lo, 0, v4, vcc_lo
	flat_load_b32 v30, v[3:4]
.LBB1110_53:
	s_or_b32 exec_lo, exec_lo, s0
	s_waitcnt vmcnt(0) lgkmcnt(0)
	ds_store_2addr_stride64_b32 v25, v32, v33 offset1:4
	ds_store_2addr_stride64_b32 v25, v34, v35 offset0:8 offset1:12
	ds_store_2addr_stride64_b32 v25, v36, v6 offset0:16 offset1:20
	;; [unrolled: 1-line block ×6, first 2 shown]
	ds_store_b32 v25, v30 offset:14336
	s_waitcnt lgkmcnt(0)
	s_barrier
.LBB1110_54:
	buffer_gl0_inv
	ds_load_2addr_b32 v[35:36], v5 offset1:1
	ds_load_2addr_b32 v[33:34], v5 offset0:2 offset1:3
	ds_load_2addr_b32 v[31:32], v5 offset0:4 offset1:5
	;; [unrolled: 1-line block ×6, first 2 shown]
	ds_load_b32 v79, v5 offset:56
	s_cmp_eq_u64 s[18:19], 0
	s_waitcnt lgkmcnt(0)
	s_cselect_b32 s41, -1, 0
	s_cmp_lg_u64 s[18:19], 0
	s_barrier
	s_cselect_b32 s15, -1, 0
	s_and_b32 vcc_lo, exec_lo, s17
	buffer_gl0_inv
	s_cbranch_vccz .LBB1110_60
; %bb.55:
	s_and_b32 vcc_lo, exec_lo, s15
	s_cbranch_vccz .LBB1110_75
; %bb.56:
	v_add_co_u32 v3, vcc_lo, -4, v2
	v_add_co_ci_u32_e32 v4, vcc_lo, -1, v1, vcc_lo
	v_cmp_ne_u32_e32 vcc_lo, v10, v63
	v_cmp_ne_u32_e64 s0, v9, v10
	v_cmp_ne_u32_e64 s1, v12, v9
	flat_load_b32 v3, v[3:4]
	v_lshlrev_b32_e32 v4, 2, v0
	v_cmp_ne_u32_e64 s4, v11, v12
	v_cmp_ne_u32_e64 s5, v14, v11
	;; [unrolled: 1-line block ×11, first 2 shown]
	s_mov_b32 s42, -1
	ds_store_b32 v4, v63
	s_waitcnt vmcnt(0) lgkmcnt(0)
	s_barrier
	buffer_gl0_inv
	s_and_saveexec_b32 s16, s3
	s_cbranch_execz .LBB1110_58
; %bb.57:
	v_add_nc_u32_e32 v3, -4, v4
	ds_load_b32 v3, v3
.LBB1110_58:
	s_or_b32 exec_lo, exec_lo, s16
	v_cndmask_b32_e64 v71, 0, 1, vcc_lo
	v_cndmask_b32_e64 v64, 0, 1, s0
	v_cndmask_b32_e64 v65, 0, 1, s1
	;; [unrolled: 1-line block ×13, first 2 shown]
	s_waitcnt lgkmcnt(0)
	v_cmp_ne_u32_e64 s0, v3, v21
.LBB1110_59:
                                        ; implicit-def: $sgpr1
	s_branch .LBB1110_87
.LBB1110_60:
	s_mov_b32 s42, 0
                                        ; implicit-def: $sgpr0
                                        ; implicit-def: $vgpr71
                                        ; implicit-def: $vgpr64
                                        ; implicit-def: $vgpr65
                                        ; implicit-def: $vgpr66
                                        ; implicit-def: $vgpr67
                                        ; implicit-def: $vgpr68
                                        ; implicit-def: $vgpr69
                                        ; implicit-def: $vgpr70
                                        ; implicit-def: $vgpr72
                                        ; implicit-def: $vgpr73
                                        ; implicit-def: $vgpr74
                                        ; implicit-def: $vgpr75
                                        ; implicit-def: $vgpr76
                                        ; implicit-def: $vgpr77
                                        ; implicit-def: $sgpr1
	s_cbranch_execnz .LBB1110_79
	s_branch .LBB1110_87
.LBB1110_61:
	v_add_co_u32 v32, vcc_lo, v3, v25
	v_add_co_ci_u32_e32 v33, vcc_lo, 0, v4, vcc_lo
	flat_load_b32 v32, v[32:33]
	s_or_b32 exec_lo, exec_lo, s16
                                        ; implicit-def: $vgpr33
	s_and_saveexec_b32 s16, s0
	s_cbranch_execz .LBB1110_39
.LBB1110_62:
	v_add_co_u32 v33, vcc_lo, v3, v25
	v_add_co_ci_u32_e32 v34, vcc_lo, 0, v4, vcc_lo
	flat_load_b32 v33, v[33:34] offset:1024
	s_or_b32 exec_lo, exec_lo, s16
                                        ; implicit-def: $vgpr34
	s_and_saveexec_b32 s0, s1
	s_cbranch_execz .LBB1110_40
.LBB1110_63:
	v_add_co_u32 v34, vcc_lo, v3, v25
	v_add_co_ci_u32_e32 v35, vcc_lo, 0, v4, vcc_lo
	flat_load_b32 v34, v[34:35] offset:2048
	s_or_b32 exec_lo, exec_lo, s0
                                        ; implicit-def: $vgpr35
	s_and_saveexec_b32 s0, s4
	s_cbranch_execz .LBB1110_41
.LBB1110_64:
	v_add_co_u32 v35, vcc_lo, v3, v25
	v_add_co_ci_u32_e32 v36, vcc_lo, 0, v4, vcc_lo
	flat_load_b32 v35, v[35:36] offset:3072
	s_or_b32 exec_lo, exec_lo, s0
                                        ; implicit-def: $vgpr36
	s_and_saveexec_b32 s0, s5
	s_cbranch_execz .LBB1110_42
.LBB1110_65:
	v_lshlrev_b32_e32 v6, 2, v6
	s_delay_alu instid0(VALU_DEP_1)
	v_add_co_u32 v36, vcc_lo, v3, v6
	v_add_co_ci_u32_e32 v37, vcc_lo, 0, v4, vcc_lo
	flat_load_b32 v36, v[36:37]
	s_or_b32 exec_lo, exec_lo, s0
                                        ; implicit-def: $vgpr6
	s_and_saveexec_b32 s0, s6
	s_cbranch_execz .LBB1110_43
.LBB1110_66:
	v_lshlrev_b32_e32 v6, 2, v7
	s_delay_alu instid0(VALU_DEP_1)
	v_add_co_u32 v6, vcc_lo, v3, v6
	v_add_co_ci_u32_e32 v7, vcc_lo, 0, v4, vcc_lo
	flat_load_b32 v6, v[6:7]
	s_or_b32 exec_lo, exec_lo, s0
                                        ; implicit-def: $vgpr7
	s_and_saveexec_b32 s0, s7
	s_cbranch_execz .LBB1110_44
.LBB1110_67:
	v_lshlrev_b32_e32 v7, 2, v8
	s_delay_alu instid0(VALU_DEP_1)
	v_add_co_u32 v7, vcc_lo, v3, v7
	v_add_co_ci_u32_e32 v8, vcc_lo, 0, v4, vcc_lo
	flat_load_b32 v7, v[7:8]
	s_or_b32 exec_lo, exec_lo, s0
                                        ; implicit-def: $vgpr8
	s_and_saveexec_b32 s0, s8
	s_cbranch_execz .LBB1110_45
.LBB1110_68:
	v_lshlrev_b32_e32 v8, 2, v23
	s_delay_alu instid0(VALU_DEP_1)
	v_add_co_u32 v37, vcc_lo, v3, v8
	v_add_co_ci_u32_e32 v38, vcc_lo, 0, v4, vcc_lo
	flat_load_b32 v8, v[37:38]
	s_or_b32 exec_lo, exec_lo, s0
                                        ; implicit-def: $vgpr23
	s_and_saveexec_b32 s0, s9
	s_cbranch_execz .LBB1110_46
.LBB1110_69:
	v_lshlrev_b32_e32 v23, 2, v24
	s_delay_alu instid0(VALU_DEP_1)
	v_add_co_u32 v23, vcc_lo, v3, v23
	v_add_co_ci_u32_e32 v24, vcc_lo, 0, v4, vcc_lo
	flat_load_b32 v23, v[23:24]
	s_or_b32 exec_lo, exec_lo, s0
                                        ; implicit-def: $vgpr24
	s_and_saveexec_b32 s0, s10
	s_cbranch_execz .LBB1110_47
.LBB1110_70:
	v_lshlrev_b32_e32 v24, 2, v26
	s_delay_alu instid0(VALU_DEP_1)
	v_add_co_u32 v37, vcc_lo, v3, v24
	v_add_co_ci_u32_e32 v38, vcc_lo, 0, v4, vcc_lo
	flat_load_b32 v24, v[37:38]
	s_or_b32 exec_lo, exec_lo, s0
                                        ; implicit-def: $vgpr26
	s_and_saveexec_b32 s0, s11
	s_cbranch_execz .LBB1110_48
.LBB1110_71:
	v_lshlrev_b32_e32 v26, 2, v27
	s_delay_alu instid0(VALU_DEP_1)
	v_add_co_u32 v26, vcc_lo, v3, v26
	v_add_co_ci_u32_e32 v27, vcc_lo, 0, v4, vcc_lo
	flat_load_b32 v26, v[26:27]
	s_or_b32 exec_lo, exec_lo, s0
                                        ; implicit-def: $vgpr27
	s_and_saveexec_b32 s0, s12
	s_cbranch_execz .LBB1110_49
.LBB1110_72:
	v_lshlrev_b32_e32 v27, 2, v28
	s_delay_alu instid0(VALU_DEP_1)
	v_add_co_u32 v27, vcc_lo, v3, v27
	v_add_co_ci_u32_e32 v28, vcc_lo, 0, v4, vcc_lo
	flat_load_b32 v27, v[27:28]
	s_or_b32 exec_lo, exec_lo, s0
                                        ; implicit-def: $vgpr28
	s_and_saveexec_b32 s0, s13
	s_cbranch_execz .LBB1110_50
.LBB1110_73:
	v_lshlrev_b32_e32 v28, 2, v29
	s_delay_alu instid0(VALU_DEP_1)
	v_add_co_u32 v28, vcc_lo, v3, v28
	v_add_co_ci_u32_e32 v29, vcc_lo, 0, v4, vcc_lo
	flat_load_b32 v28, v[28:29]
	s_or_b32 exec_lo, exec_lo, s0
                                        ; implicit-def: $vgpr29
	s_and_saveexec_b32 s0, s14
	s_cbranch_execz .LBB1110_51
.LBB1110_74:
	v_lshlrev_b32_e32 v29, 2, v30
	s_delay_alu instid0(VALU_DEP_1)
	v_add_co_u32 v29, vcc_lo, v3, v29
	v_add_co_ci_u32_e32 v30, vcc_lo, 0, v4, vcc_lo
	flat_load_b32 v29, v[29:30]
	s_or_b32 exec_lo, exec_lo, s0
                                        ; implicit-def: $vgpr30
	s_and_saveexec_b32 s0, s15
	s_cbranch_execnz .LBB1110_52
	s_branch .LBB1110_53
.LBB1110_75:
	s_mov_b32 s42, 0
                                        ; implicit-def: $sgpr0
                                        ; implicit-def: $vgpr71
                                        ; implicit-def: $vgpr64
                                        ; implicit-def: $vgpr65
                                        ; implicit-def: $vgpr66
                                        ; implicit-def: $vgpr67
                                        ; implicit-def: $vgpr68
                                        ; implicit-def: $vgpr69
                                        ; implicit-def: $vgpr70
                                        ; implicit-def: $vgpr72
                                        ; implicit-def: $vgpr73
                                        ; implicit-def: $vgpr74
                                        ; implicit-def: $vgpr75
                                        ; implicit-def: $vgpr76
                                        ; implicit-def: $vgpr77
	s_cbranch_execz .LBB1110_59
; %bb.76:
	v_cmp_ne_u32_e32 vcc_lo, v10, v63
	v_lshlrev_b32_e32 v3, 2, v0
                                        ; implicit-def: $sgpr0
	v_cndmask_b32_e64 v71, 0, 1, vcc_lo
	v_cmp_ne_u32_e32 vcc_lo, v9, v10
	ds_store_b32 v3, v63
	s_waitcnt lgkmcnt(0)
	s_barrier
	buffer_gl0_inv
	v_cndmask_b32_e64 v64, 0, 1, vcc_lo
	v_cmp_ne_u32_e32 vcc_lo, v12, v9
	v_cndmask_b32_e64 v65, 0, 1, vcc_lo
	v_cmp_ne_u32_e32 vcc_lo, v11, v12
	v_cndmask_b32_e64 v66, 0, 1, vcc_lo
	v_cmp_ne_u32_e32 vcc_lo, v14, v11
	v_cndmask_b32_e64 v67, 0, 1, vcc_lo
	v_cmp_ne_u32_e32 vcc_lo, v13, v14
	v_cndmask_b32_e64 v68, 0, 1, vcc_lo
	v_cmp_ne_u32_e32 vcc_lo, v16, v13
	v_cndmask_b32_e64 v69, 0, 1, vcc_lo
	v_cmp_ne_u32_e32 vcc_lo, v15, v16
	v_cndmask_b32_e64 v70, 0, 1, vcc_lo
	v_cmp_ne_u32_e32 vcc_lo, v18, v15
	v_cndmask_b32_e64 v72, 0, 1, vcc_lo
	v_cmp_ne_u32_e32 vcc_lo, v17, v18
	v_cndmask_b32_e64 v73, 0, 1, vcc_lo
	v_cmp_ne_u32_e32 vcc_lo, v20, v17
	v_cndmask_b32_e64 v74, 0, 1, vcc_lo
	v_cmp_ne_u32_e32 vcc_lo, v19, v20
	v_cndmask_b32_e64 v75, 0, 1, vcc_lo
	v_cmp_ne_u32_e32 vcc_lo, v22, v19
	v_cndmask_b32_e64 v76, 0, 1, vcc_lo
	v_cmp_ne_u32_e32 vcc_lo, v21, v22
	v_cndmask_b32_e64 v77, 0, 1, vcc_lo
	s_and_saveexec_b32 s1, s3
	s_delay_alu instid0(SALU_CYCLE_1)
	s_xor_b32 s1, exec_lo, s1
	s_cbranch_execz .LBB1110_78
; %bb.77:
	v_add_nc_u32_e32 v3, -4, v3
	s_or_b32 s42, s42, exec_lo
	ds_load_b32 v3, v3
	s_waitcnt lgkmcnt(0)
	v_cmp_ne_u32_e32 vcc_lo, v3, v21
	s_and_b32 s0, vcc_lo, exec_lo
.LBB1110_78:
	s_or_b32 exec_lo, exec_lo, s1
	s_mov_b32 s1, 1
	s_branch .LBB1110_87
.LBB1110_79:
	s_mul_hi_u32 s0, s18, 0xfffff100
	s_mul_i32 s1, s19, 0xfffff100
	s_sub_i32 s0, s0, s18
	s_mul_i32 s4, s18, 0xfffff100
	s_add_i32 s0, s0, s1
	s_add_u32 s24, s4, s44
	s_addc_u32 s25, s0, s45
	s_and_b32 vcc_lo, exec_lo, s15
	s_cbranch_vccz .LBB1110_84
; %bb.80:
	v_add_co_u32 v2, vcc_lo, -4, v2
	v_add_co_ci_u32_e32 v3, vcc_lo, -1, v1, vcc_lo
	v_mad_u32_u24 v1, v0, 15, 14
	v_cmp_ne_u32_e64 s8, v10, v63
	v_cmp_ne_u32_e64 s10, v12, v9
	flat_load_b32 v5, v[2:3]
	v_mov_b32_e32 v2, 0
	v_cmp_ne_u32_e64 s12, v14, v11
	v_cmp_ne_u32_e64 s11, v11, v12
	v_lshlrev_b32_e32 v4, 2, v0
	v_mul_u32_u24_e32 v3, 15, v0
	v_cmp_gt_u64_e32 vcc_lo, s[24:25], v[1:2]
	v_mad_u32_u24 v1, v0, 15, 13
	s_mov_b32 s42, -1
	s_mov_b32 s14, 0
	ds_store_b32 v4, v63
	s_waitcnt vmcnt(0) lgkmcnt(0)
	v_cmp_gt_u64_e64 s0, s[24:25], v[1:2]
	v_mad_u32_u24 v1, v0, 15, 12
	s_and_b32 s15, vcc_lo, s8
	v_cmp_ne_u32_e64 s8, v9, v10
	s_barrier
	buffer_gl0_inv
	v_cmp_gt_u64_e64 s1, s[24:25], v[1:2]
	v_mad_u32_u24 v1, v0, 15, 11
	s_and_b32 s16, s0, s8
	v_cmp_ne_u32_e64 s8, v18, v15
	s_delay_alu instid0(VALU_DEP_2) | instskip(SKIP_3) | instid1(VALU_DEP_2)
	v_cmp_gt_u64_e64 s4, s[24:25], v[1:2]
	v_mad_u32_u24 v1, v0, 15, 10
	s_and_b32 s17, s1, s10
	v_cmp_ne_u32_e64 s1, v13, v14
	v_cmp_gt_u64_e64 s5, s[24:25], v[1:2]
	v_mad_u32_u24 v1, v0, 15, 9
	s_and_b32 s11, s4, s11
	v_cmp_ne_u32_e64 s4, v16, v13
	s_delay_alu instid0(VALU_DEP_2) | instskip(SKIP_3) | instid1(VALU_DEP_2)
	v_cmp_gt_u64_e64 s6, s[24:25], v[1:2]
	v_mad_u32_u24 v1, v0, 15, 8
	s_and_b32 s12, s5, s12
	v_cmp_ne_u32_e64 s5, v15, v16
	v_cmp_gt_u64_e64 s7, s[24:25], v[1:2]
	v_mad_u32_u24 v1, v0, 15, 7
	s_and_b32 s18, s6, s1
	v_cmp_ne_u32_e64 s1, v17, v18
	v_cmp_ne_u32_e64 s6, v22, v19
	s_delay_alu instid0(VALU_DEP_3) | instskip(SKIP_3) | instid1(VALU_DEP_2)
	v_cmp_gt_u64_e64 s9, s[24:25], v[1:2]
	v_mad_u32_u24 v1, v0, 15, 6
	s_and_b32 s19, s7, s4
	v_cmp_ne_u32_e64 s4, v20, v17
	v_cmp_gt_u64_e32 vcc_lo, s[24:25], v[1:2]
	v_mad_u32_u24 v1, v0, 15, 5
	s_and_b32 s20, s9, s5
	v_cmp_ne_u32_e64 s5, v19, v20
	s_delay_alu instid0(VALU_DEP_2) | instskip(SKIP_3) | instid1(VALU_DEP_2)
	v_cmp_gt_u64_e64 s13, s[24:25], v[1:2]
	v_mad_u32_u24 v1, v0, 15, 4
	s_and_b32 s9, vcc_lo, s8
	v_cmp_ne_u32_e64 s8, v21, v22
	v_cmp_gt_u64_e64 s0, s[24:25], v[1:2]
	v_mad_u32_u24 v1, v0, 15, 3
	s_and_b32 s13, s13, s1
	s_delay_alu instid0(VALU_DEP_1) | instskip(SKIP_1) | instid1(VALU_DEP_4)
	v_cmp_gt_u64_e64 s10, s[24:25], v[1:2]
	v_mad_u32_u24 v1, v0, 15, 2
	s_and_b32 s0, s0, s4
	s_delay_alu instid0(VALU_DEP_1) | instskip(SKIP_1) | instid1(VALU_DEP_4)
	v_cmp_gt_u64_e32 vcc_lo, s[24:25], v[1:2]
	v_mad_u32_u24 v1, v0, 15, 1
	s_and_b32 s5, s10, s5
	s_delay_alu instid0(VALU_DEP_1) | instskip(SKIP_1) | instid1(VALU_DEP_1)
	v_cmp_gt_u64_e64 s7, s[24:25], v[1:2]
	s_and_b32 s1, vcc_lo, s6
	s_and_b32 s4, s7, s8
	s_and_saveexec_b32 s6, s3
	s_cbranch_execz .LBB1110_82
; %bb.81:
	v_add_nc_u32_e32 v1, -4, v4
	ds_load_b32 v5, v1
.LBB1110_82:
	s_or_b32 exec_lo, exec_lo, s6
	v_mov_b32_e32 v4, v2
	v_cndmask_b32_e64 v74, 0, 1, s0
	s_waitcnt lgkmcnt(0)
	v_cmp_ne_u32_e64 s0, v5, v21
	v_cndmask_b32_e64 v71, 0, 1, s15
	v_cndmask_b32_e64 v64, 0, 1, s16
	v_cmp_gt_u64_e32 vcc_lo, s[24:25], v[3:4]
	v_cndmask_b32_e64 v65, 0, 1, s17
	v_cndmask_b32_e64 v66, 0, 1, s11
	v_cndmask_b32_e64 v67, 0, 1, s12
	v_cndmask_b32_e64 v68, 0, 1, s18
	v_cndmask_b32_e64 v69, 0, 1, s19
	v_cndmask_b32_e64 v70, 0, 1, s20
	v_cndmask_b32_e64 v72, 0, 1, s9
	v_cndmask_b32_e64 v73, 0, 1, s13
	v_cndmask_b32_e64 v75, 0, 1, s5
	v_cndmask_b32_e64 v76, 0, 1, s1
	v_cndmask_b32_e64 v77, 0, 1, s4
	s_and_b32 s0, vcc_lo, s0
	s_and_b32 vcc_lo, exec_lo, s14
	s_cbranch_vccnz .LBB1110_85
.LBB1110_83:
                                        ; implicit-def: $sgpr1
	v_mov_b32_e32 v78, s1
	s_and_saveexec_b32 s1, s42
	s_cbranch_execnz .LBB1110_88
	s_branch .LBB1110_89
.LBB1110_84:
                                        ; implicit-def: $sgpr0
                                        ; implicit-def: $vgpr71
                                        ; implicit-def: $vgpr64
                                        ; implicit-def: $vgpr65
                                        ; implicit-def: $vgpr66
                                        ; implicit-def: $vgpr67
                                        ; implicit-def: $vgpr68
                                        ; implicit-def: $vgpr69
                                        ; implicit-def: $vgpr70
                                        ; implicit-def: $vgpr72
                                        ; implicit-def: $vgpr73
                                        ; implicit-def: $vgpr74
                                        ; implicit-def: $vgpr75
                                        ; implicit-def: $vgpr76
                                        ; implicit-def: $vgpr77
	s_cbranch_execz .LBB1110_83
.LBB1110_85:
	v_mad_u32_u24 v1, v0, 15, 14
	v_dual_mov_b32 v2, 0 :: v_dual_lshlrev_b32 v3, 2, v0
	v_cmp_ne_u32_e64 s7, v9, v10
	v_cmp_ne_u32_e64 s6, v10, v63
	;; [unrolled: 1-line block ×3, first 2 shown]
	s_delay_alu instid0(VALU_DEP_4)
	v_cmp_gt_u64_e32 vcc_lo, s[24:25], v[1:2]
	v_mad_u32_u24 v1, v0, 15, 13
	v_cmp_ne_u32_e64 s10, v11, v12
	v_cmp_ne_u32_e64 s11, v14, v11
	;; [unrolled: 1-line block ×4, first 2 shown]
	v_cmp_gt_u64_e64 s0, s[24:25], v[1:2]
	v_mad_u32_u24 v1, v0, 15, 12
	s_and_b32 s6, vcc_lo, s6
	v_cmp_ne_u32_e64 s15, v15, v16
	v_cmp_ne_u32_e64 s16, v18, v15
	;; [unrolled: 1-line block ×3, first 2 shown]
	v_cmp_gt_u64_e64 s1, s[24:25], v[1:2]
	v_mad_u32_u24 v1, v0, 15, 11
	s_and_b32 s0, s0, s7
	v_cmp_ne_u32_e64 s18, v20, v17
	v_cndmask_b32_e64 v64, 0, 1, s0
	v_cmp_ne_u32_e64 s20, v19, v20
	v_cmp_gt_u64_e64 s4, s[24:25], v[1:2]
	v_mad_u32_u24 v1, v0, 15, 10
	s_and_b32 s0, s1, s8
	v_cmp_ne_u32_e64 s21, v22, v19
	v_cndmask_b32_e64 v65, 0, 1, s0
	v_cmp_ne_u32_e64 s22, v21, v22
	v_cmp_gt_u64_e64 s5, s[24:25], v[1:2]
	v_mad_u32_u24 v1, v0, 15, 9
	s_and_b32 s0, s4, s10
	v_cndmask_b32_e64 v71, 0, 1, s6
	v_cndmask_b32_e64 v66, 0, 1, s0
	ds_store_b32 v3, v63
	v_cmp_gt_u64_e64 s9, s[24:25], v[1:2]
	v_mad_u32_u24 v1, v0, 15, 8
	s_and_b32 s1, s5, s11
	s_waitcnt lgkmcnt(0)
	v_cndmask_b32_e64 v67, 0, 1, s1
	s_barrier
	v_cmp_gt_u64_e64 s14, s[24:25], v[1:2]
	v_mad_u32_u24 v1, v0, 15, 7
	s_and_b32 s1, s9, s12
	buffer_gl0_inv
	v_cndmask_b32_e64 v68, 0, 1, s1
	v_cmp_gt_u64_e64 s19, s[24:25], v[1:2]
	v_mad_u32_u24 v1, v0, 15, 6
	s_and_b32 s4, s14, s13
	s_delay_alu instid0(SALU_CYCLE_1) | instskip(NEXT) | instid1(VALU_DEP_2)
	v_cndmask_b32_e64 v69, 0, 1, s4
	v_cmp_gt_u64_e64 s23, s[24:25], v[1:2]
	v_mad_u32_u24 v1, v0, 15, 5
	s_and_b32 s4, s19, s15
	s_delay_alu instid0(SALU_CYCLE_1) | instskip(NEXT) | instid1(VALU_DEP_2)
	v_cndmask_b32_e64 v70, 0, 1, s4
	v_cmp_gt_u64_e32 vcc_lo, s[24:25], v[1:2]
	v_mad_u32_u24 v1, v0, 15, 4
	s_and_b32 s5, s23, s16
	s_delay_alu instid0(SALU_CYCLE_1) | instskip(NEXT) | instid1(VALU_DEP_2)
	v_cndmask_b32_e64 v72, 0, 1, s5
	v_cmp_gt_u64_e64 s0, s[24:25], v[1:2]
	v_mad_u32_u24 v1, v0, 15, 3
	s_and_b32 s5, vcc_lo, s17
	s_delay_alu instid0(SALU_CYCLE_1) | instskip(NEXT) | instid1(VALU_DEP_2)
	v_cndmask_b32_e64 v73, 0, 1, s5
	v_cmp_gt_u64_e64 s1, s[24:25], v[1:2]
	v_mad_u32_u24 v1, v0, 15, 2
	s_and_b32 s0, s0, s18
	s_delay_alu instid0(SALU_CYCLE_1) | instskip(NEXT) | instid1(VALU_DEP_2)
	v_cndmask_b32_e64 v74, 0, 1, s0
	v_cmp_gt_u64_e64 s4, s[24:25], v[1:2]
	v_mad_u32_u24 v1, v0, 15, 1
	s_and_b32 s0, s1, s20
	s_mov_b32 s1, 1
	v_cndmask_b32_e64 v75, 0, 1, s0
	s_delay_alu instid0(VALU_DEP_2) | instskip(SKIP_1) | instid1(SALU_CYCLE_1)
	v_cmp_gt_u64_e32 vcc_lo, s[24:25], v[1:2]
	s_and_b32 s0, s4, s21
	v_cndmask_b32_e64 v76, 0, 1, s0
	s_and_b32 s0, vcc_lo, s22
	s_delay_alu instid0(SALU_CYCLE_1)
	v_cndmask_b32_e64 v77, 0, 1, s0
                                        ; implicit-def: $sgpr0
	s_and_saveexec_b32 s4, s3
	s_cbranch_execz .LBB1110_172
; %bb.86:
	v_add_nc_u32_e32 v1, -4, v3
	s_or_b32 s42, s42, exec_lo
	ds_load_b32 v3, v1
	v_mul_u32_u24_e32 v1, 15, v0
	s_delay_alu instid0(VALU_DEP_1) | instskip(SKIP_2) | instid1(VALU_DEP_1)
	v_cmp_gt_u64_e32 vcc_lo, s[24:25], v[1:2]
	s_waitcnt lgkmcnt(0)
	v_cmp_ne_u32_e64 s0, v3, v21
	s_and_b32 s0, vcc_lo, s0
	s_delay_alu instid0(SALU_CYCLE_1)
	s_and_b32 s0, s0, exec_lo
	s_or_b32 exec_lo, exec_lo, s4
.LBB1110_87:
	v_mov_b32_e32 v78, s1
	s_and_saveexec_b32 s1, s42
.LBB1110_88:
	s_delay_alu instid0(VALU_DEP_2)
	v_cndmask_b32_e64 v78, 0, 1, s0
.LBB1110_89:
	s_or_b32 exec_lo, exec_lo, s1
	s_delay_alu instid0(VALU_DEP_1)
	v_add3_u32 v1, v77, v78, v76
	v_cmp_eq_u32_e64 s13, 0, v77
	v_cmp_eq_u32_e64 s12, 0, v76
	;; [unrolled: 1-line block ×4, first 2 shown]
	v_add3_u32 v84, v1, v75, v74
	v_cmp_eq_u32_e64 s9, 0, v73
	v_cmp_eq_u32_e64 s8, 0, v72
	v_cmp_eq_u32_e64 s7, 0, v70
	v_cmp_eq_u32_e64 s6, 0, v69
	v_cmp_eq_u32_e64 s5, 0, v68
	v_cmp_eq_u32_e64 s4, 0, v67
	v_cmp_eq_u32_e64 s3, 0, v66
	v_cmp_eq_u32_e64 s1, 0, v65
	v_cmp_eq_u32_e64 s0, 0, v64
	v_cmp_eq_u32_e32 vcc_lo, 0, v71
	v_mbcnt_lo_u32_b32 v81, -1, 0
	v_lshrrev_b32_e32 v82, 5, v0
	v_or_b32_e32 v83, 31, v0
	s_cmp_eq_u64 s[38:39], 0
	s_cselect_b32 s16, -1, 0
	s_cmp_lg_u32 s48, 0
	s_cbranch_scc0 .LBB1110_120
; %bb.90:
	v_cndmask_b32_e64 v1, 0, v35, s13
	v_add3_u32 v2, v84, v73, v72
	s_delay_alu instid0(VALU_DEP_2) | instskip(NEXT) | instid1(VALU_DEP_2)
	v_add_nc_u32_e32 v1, v1, v36
	v_add3_u32 v2, v2, v70, v69
	s_delay_alu instid0(VALU_DEP_2) | instskip(NEXT) | instid1(VALU_DEP_2)
	v_cndmask_b32_e64 v1, 0, v1, s12
	v_add3_u32 v2, v2, v68, v67
	s_delay_alu instid0(VALU_DEP_2) | instskip(NEXT) | instid1(VALU_DEP_2)
	v_add_nc_u32_e32 v1, v1, v33
	v_add3_u32 v2, v2, v66, v65
	s_delay_alu instid0(VALU_DEP_2) | instskip(NEXT) | instid1(VALU_DEP_2)
	v_cndmask_b32_e64 v1, 0, v1, s11
	v_add3_u32 v2, v2, v64, v71
	s_delay_alu instid0(VALU_DEP_2) | instskip(NEXT) | instid1(VALU_DEP_2)
	v_add_nc_u32_e32 v1, v1, v34
	v_mov_b32_dpp v5, v2 row_shr:1 row_mask:0xf bank_mask:0xf
	s_delay_alu instid0(VALU_DEP_2) | instskip(NEXT) | instid1(VALU_DEP_1)
	v_cndmask_b32_e64 v1, 0, v1, s10
	v_add_nc_u32_e32 v1, v1, v31
	s_delay_alu instid0(VALU_DEP_1) | instskip(NEXT) | instid1(VALU_DEP_1)
	v_cndmask_b32_e64 v1, 0, v1, s9
	v_add_nc_u32_e32 v1, v1, v32
	s_delay_alu instid0(VALU_DEP_1) | instskip(NEXT) | instid1(VALU_DEP_1)
	;; [unrolled: 3-line block ×9, first 2 shown]
	v_cndmask_b32_e64 v1, 0, v1, s0
	v_add_nc_u32_e32 v1, v1, v24
	s_delay_alu instid0(VALU_DEP_1) | instskip(SKIP_1) | instid1(VALU_DEP_2)
	v_cndmask_b32_e32 v1, 0, v1, vcc_lo
	v_cmp_eq_u32_e32 vcc_lo, 0, v2
	v_add_nc_u32_e32 v1, v1, v79
	s_delay_alu instid0(VALU_DEP_1) | instskip(NEXT) | instid1(VALU_DEP_1)
	v_mov_b32_dpp v3, v1 row_shr:1 row_mask:0xf bank_mask:0xf
	v_dual_cndmask_b32 v3, 0, v3 :: v_dual_and_b32 v4, 15, v81
	s_delay_alu instid0(VALU_DEP_1) | instskip(SKIP_2) | instid1(VALU_DEP_4)
	v_cmp_eq_u32_e32 vcc_lo, 0, v4
	v_cmp_lt_u32_e64 s14, 1, v4
	v_cndmask_b32_e64 v5, v5, 0, vcc_lo
	v_cndmask_b32_e64 v3, v3, 0, vcc_lo
	s_delay_alu instid0(VALU_DEP_2) | instskip(NEXT) | instid1(VALU_DEP_2)
	v_add_nc_u32_e32 v2, v5, v2
	v_add_nc_u32_e32 v1, v3, v1
	s_delay_alu instid0(VALU_DEP_2) | instskip(SKIP_1) | instid1(VALU_DEP_3)
	v_mov_b32_dpp v3, v2 row_shr:2 row_mask:0xf bank_mask:0xf
	v_cmp_eq_u32_e32 vcc_lo, 0, v2
	v_mov_b32_dpp v5, v1 row_shr:2 row_mask:0xf bank_mask:0xf
	s_delay_alu instid0(VALU_DEP_3) | instskip(SKIP_2) | instid1(VALU_DEP_2)
	v_cndmask_b32_e64 v3, 0, v3, s14
	s_and_b32 vcc_lo, s14, vcc_lo
	v_cmp_lt_u32_e64 s14, 3, v4
	v_dual_cndmask_b32 v5, 0, v5 :: v_dual_add_nc_u32 v2, v2, v3
	s_delay_alu instid0(VALU_DEP_1) | instskip(NEXT) | instid1(VALU_DEP_2)
	v_add_nc_u32_e32 v1, v5, v1
	v_mov_b32_dpp v3, v2 row_shr:4 row_mask:0xf bank_mask:0xf
	v_cmp_eq_u32_e32 vcc_lo, 0, v2
	s_delay_alu instid0(VALU_DEP_3) | instskip(NEXT) | instid1(VALU_DEP_3)
	v_mov_b32_dpp v5, v1 row_shr:4 row_mask:0xf bank_mask:0xf
	v_cndmask_b32_e64 v3, 0, v3, s14
	s_and_b32 vcc_lo, s14, vcc_lo
	v_cmp_lt_u32_e64 s14, 7, v4
	s_delay_alu instid0(VALU_DEP_2) | instskip(NEXT) | instid1(VALU_DEP_1)
	v_dual_cndmask_b32 v5, 0, v5 :: v_dual_add_nc_u32 v2, v3, v2
	v_add_nc_u32_e32 v1, v1, v5
	v_bfe_i32 v5, v81, 4, 1
	s_delay_alu instid0(VALU_DEP_3) | instskip(SKIP_1) | instid1(VALU_DEP_4)
	v_cmp_eq_u32_e32 vcc_lo, 0, v2
	v_mov_b32_dpp v3, v2 row_shr:8 row_mask:0xf bank_mask:0xf
	v_mov_b32_dpp v4, v1 row_shr:8 row_mask:0xf bank_mask:0xf
	s_and_b32 vcc_lo, s14, vcc_lo
	s_delay_alu instid0(VALU_DEP_2) | instskip(SKIP_1) | instid1(VALU_DEP_2)
	v_cndmask_b32_e64 v3, 0, v3, s14
	s_mov_b32 s14, exec_lo
	v_cndmask_b32_e32 v4, 0, v4, vcc_lo
	s_delay_alu instid0(VALU_DEP_1) | instskip(NEXT) | instid1(VALU_DEP_3)
	v_add_nc_u32_e32 v4, v4, v1
	v_add_nc_u32_e32 v1, v3, v2
	ds_swizzle_b32 v2, v4 offset:swizzle(BROADCAST,32,15)
	ds_swizzle_b32 v3, v1 offset:swizzle(BROADCAST,32,15)
	v_cmp_eq_u32_e32 vcc_lo, 0, v1
	s_waitcnt lgkmcnt(0)
	v_dual_cndmask_b32 v2, 0, v2 :: v_dual_and_b32 v3, v5, v3
	s_delay_alu instid0(VALU_DEP_1) | instskip(NEXT) | instid1(VALU_DEP_2)
	v_and_b32_e32 v2, v5, v2
	v_add_nc_u32_e32 v1, v3, v1
	v_lshlrev_b32_e32 v3, 3, v82
	s_delay_alu instid0(VALU_DEP_3)
	v_add_nc_u32_e32 v2, v2, v4
	v_cmpx_eq_u32_e64 v83, v0
	s_cbranch_execz .LBB1110_92
; %bb.91:
	ds_store_b64 v3, v[1:2] offset:2064
.LBB1110_92:
	s_or_b32 exec_lo, exec_lo, s14
	s_delay_alu instid0(SALU_CYCLE_1)
	s_mov_b32 s15, exec_lo
	s_waitcnt lgkmcnt(0)
	s_barrier
	buffer_gl0_inv
	v_cmpx_gt_u32_e32 8, v0
	s_cbranch_execz .LBB1110_94
; %bb.93:
	v_lshlrev_b32_e32 v6, 3, v0
	v_and_b32_e32 v8, 7, v81
	ds_load_b64 v[4:5], v6 offset:2064
	v_cmp_lt_u32_e64 s14, 1, v8
	s_waitcnt lgkmcnt(0)
	v_mov_b32_dpp v7, v5 row_shr:1 row_mask:0xf bank_mask:0xf
	v_cmp_eq_u32_e32 vcc_lo, 0, v4
	v_mov_b32_dpp v37, v4 row_shr:1 row_mask:0xf bank_mask:0xf
	s_delay_alu instid0(VALU_DEP_3) | instskip(SKIP_1) | instid1(VALU_DEP_3)
	v_cndmask_b32_e32 v7, 0, v7, vcc_lo
	v_cmp_eq_u32_e32 vcc_lo, 0, v8
	v_cndmask_b32_e64 v37, v37, 0, vcc_lo
	s_delay_alu instid0(VALU_DEP_3) | instskip(NEXT) | instid1(VALU_DEP_2)
	v_cndmask_b32_e64 v7, v7, 0, vcc_lo
	v_add_nc_u32_e32 v4, v37, v4
	s_delay_alu instid0(VALU_DEP_2) | instskip(NEXT) | instid1(VALU_DEP_2)
	v_add_nc_u32_e32 v5, v7, v5
	v_cmp_eq_u32_e32 vcc_lo, 0, v4
	s_delay_alu instid0(VALU_DEP_2) | instskip(SKIP_1) | instid1(VALU_DEP_1)
	v_mov_b32_dpp v37, v5 row_shr:2 row_mask:0xf bank_mask:0xf
	s_and_b32 vcc_lo, s14, vcc_lo
	v_cndmask_b32_e32 v37, 0, v37, vcc_lo
	v_mov_b32_dpp v7, v4 row_shr:2 row_mask:0xf bank_mask:0xf
	s_delay_alu instid0(VALU_DEP_2) | instskip(NEXT) | instid1(VALU_DEP_2)
	v_add_nc_u32_e32 v5, v37, v5
	v_cndmask_b32_e64 v7, 0, v7, s14
	v_cmp_lt_u32_e64 s14, 3, v8
	s_delay_alu instid0(VALU_DEP_3) | instskip(NEXT) | instid1(VALU_DEP_3)
	v_mov_b32_dpp v8, v5 row_shr:4 row_mask:0xf bank_mask:0xf
	v_add_nc_u32_e32 v4, v7, v4
	s_delay_alu instid0(VALU_DEP_1) | instskip(SKIP_2) | instid1(VALU_DEP_1)
	v_cmp_eq_u32_e32 vcc_lo, 0, v4
	v_mov_b32_dpp v7, v4 row_shr:4 row_mask:0xf bank_mask:0xf
	s_and_b32 vcc_lo, s14, vcc_lo
	v_cndmask_b32_e64 v7, 0, v7, s14
	v_cndmask_b32_e32 v8, 0, v8, vcc_lo
	s_delay_alu instid0(VALU_DEP_2) | instskip(NEXT) | instid1(VALU_DEP_2)
	v_add_nc_u32_e32 v4, v7, v4
	v_add_nc_u32_e32 v5, v8, v5
	ds_store_b64 v6, v[4:5] offset:2064
.LBB1110_94:
	s_or_b32 exec_lo, exec_lo, s15
	v_cmp_gt_u32_e32 vcc_lo, 32, v0
	v_dual_mov_b32 v37, 0 :: v_dual_mov_b32 v38, 0
	s_mov_b32 s15, exec_lo
	s_waitcnt lgkmcnt(0)
	s_barrier
	buffer_gl0_inv
	v_cmpx_lt_u32_e32 31, v0
	s_cbranch_execz .LBB1110_96
; %bb.95:
	ds_load_b64 v[37:38], v3 offset:2056
	v_cmp_eq_u32_e64 s14, 0, v1
	s_waitcnt lgkmcnt(0)
	s_delay_alu instid0(VALU_DEP_1) | instskip(SKIP_1) | instid1(VALU_DEP_2)
	v_cndmask_b32_e64 v3, 0, v38, s14
	v_add_nc_u32_e32 v1, v37, v1
	v_add_nc_u32_e32 v2, v3, v2
.LBB1110_96:
	s_or_b32 exec_lo, exec_lo, s15
	v_add_nc_u32_e32 v3, -1, v81
	s_delay_alu instid0(VALU_DEP_1) | instskip(NEXT) | instid1(VALU_DEP_1)
	v_cmp_gt_i32_e64 s14, 0, v3
	v_cndmask_b32_e64 v3, v3, v81, s14
	v_cmp_eq_u32_e64 s14, 0, v81
	s_delay_alu instid0(VALU_DEP_2)
	v_lshlrev_b32_e32 v3, 2, v3
	ds_bpermute_b32 v43, v3, v1
	ds_bpermute_b32 v44, v3, v2
	s_and_saveexec_b32 s17, vcc_lo
	s_cbranch_execz .LBB1110_119
; %bb.97:
	v_mov_b32_e32 v4, 0
	ds_load_b64 v[1:2], v4 offset:2120
	s_waitcnt lgkmcnt(0)
	v_readfirstlane_b32 s18, v2
	s_and_saveexec_b32 s15, s14
	s_cbranch_execz .LBB1110_99
; %bb.98:
	s_add_i32 s20, s48, 32
	s_mov_b32 s21, 0
	v_mov_b32_e32 v3, 1
	s_lshl_b64 s[22:23], s[20:21], 4
	s_mov_b32 s24, s21
	s_add_u32 s22, s36, s22
	s_addc_u32 s23, s37, s23
	s_and_b32 s25, s18, 0xff000000
	s_and_b32 s39, s18, 0xff0000
	s_mov_b32 s38, s21
	v_dual_mov_b32 v5, s22 :: v_dual_mov_b32 v6, s23
	s_or_b64 s[24:25], s[38:39], s[24:25]
	s_and_b32 s39, s18, 0xff00
	s_delay_alu instid0(SALU_CYCLE_1) | instskip(SKIP_1) | instid1(SALU_CYCLE_1)
	s_or_b64 s[24:25], s[24:25], s[38:39]
	s_and_b32 s39, s18, 0xff
	s_or_b64 s[20:21], s[24:25], s[38:39]
	s_delay_alu instid0(SALU_CYCLE_1)
	v_mov_b32_e32 v2, s21
	;;#ASMSTART
	global_store_dwordx4 v[5:6], v[1:4] off	
s_waitcnt vmcnt(0)
	;;#ASMEND
.LBB1110_99:
	s_or_b32 exec_lo, exec_lo, s15
	v_xad_u32 v39, v81, -1, s48
	s_mov_b32 s19, 0
	s_mov_b32 s15, exec_lo
	s_delay_alu instid0(VALU_DEP_1) | instskip(NEXT) | instid1(VALU_DEP_1)
	v_add_nc_u32_e32 v3, 32, v39
	v_lshlrev_b64 v[2:3], 4, v[3:4]
	s_delay_alu instid0(VALU_DEP_1) | instskip(NEXT) | instid1(VALU_DEP_2)
	v_add_co_u32 v2, vcc_lo, s36, v2
	v_add_co_ci_u32_e32 v3, vcc_lo, s37, v3, vcc_lo
	;;#ASMSTART
	global_load_dwordx4 v[5:8], v[2:3] off glc	
s_waitcnt vmcnt(0)
	;;#ASMEND
	v_and_b32_e32 v4, 0xff, v6
	v_and_b32_e32 v8, 0xff00, v6
	;; [unrolled: 1-line block ×3, first 2 shown]
	v_or3_b32 v5, v5, 0, 0
	v_and_b32_e32 v6, 0xff000000, v6
	s_delay_alu instid0(VALU_DEP_4) | instskip(SKIP_1) | instid1(VALU_DEP_4)
	v_or3_b32 v4, 0, v4, v8
	v_and_b32_e32 v8, 0xff, v7
	v_or3_b32 v5, v5, 0, 0
	s_delay_alu instid0(VALU_DEP_3) | instskip(NEXT) | instid1(VALU_DEP_3)
	v_or3_b32 v6, v4, v40, v6
	v_cmpx_eq_u16_e32 0, v8
	s_cbranch_execz .LBB1110_105
; %bb.100:
	s_mov_b32 s20, 1
	.p2align	6
.LBB1110_101:                           ; =>This Loop Header: Depth=1
                                        ;     Child Loop BB1110_102 Depth 2
	s_delay_alu instid0(SALU_CYCLE_1)
	s_max_u32 s21, s20, 1
.LBB1110_102:                           ;   Parent Loop BB1110_101 Depth=1
                                        ; =>  This Inner Loop Header: Depth=2
	s_delay_alu instid0(SALU_CYCLE_1)
	s_add_i32 s21, s21, -1
	s_sleep 1
	s_cmp_eq_u32 s21, 0
	s_cbranch_scc0 .LBB1110_102
; %bb.103:                              ;   in Loop: Header=BB1110_101 Depth=1
	;;#ASMSTART
	global_load_dwordx4 v[5:8], v[2:3] off glc	
s_waitcnt vmcnt(0)
	;;#ASMEND
	v_and_b32_e32 v4, 0xff, v7
	s_cmp_lt_u32 s20, 32
	s_cselect_b32 s21, -1, 0
	s_delay_alu instid0(VALU_DEP_1) | instskip(SKIP_3) | instid1(SALU_CYCLE_1)
	v_cmp_ne_u16_e32 vcc_lo, 0, v4
	s_cmp_lg_u32 s21, 0
	s_addc_u32 s20, s20, 0
	s_or_b32 s19, vcc_lo, s19
	s_and_not1_b32 exec_lo, exec_lo, s19
	s_cbranch_execnz .LBB1110_101
; %bb.104:
	s_or_b32 exec_lo, exec_lo, s19
.LBB1110_105:
	s_delay_alu instid0(SALU_CYCLE_1)
	s_or_b32 exec_lo, exec_lo, s15
	v_cmp_ne_u32_e32 vcc_lo, 31, v81
	v_and_b32_e32 v3, 0xff, v7
	v_lshlrev_b32_e64 v45, v81, -1
	v_add_nc_u32_e32 v47, 2, v81
	v_add_nc_u32_e32 v49, 4, v81
	v_add_co_ci_u32_e32 v2, vcc_lo, 0, v81, vcc_lo
	v_cmp_eq_u16_e32 vcc_lo, 2, v3
	v_add_nc_u32_e32 v51, 8, v81
	v_add_nc_u32_e32 v53, 16, v81
	v_and_or_b32 v8, vcc_lo, v45, 0x80000000
	v_cmp_gt_u32_e32 vcc_lo, 30, v81
	s_delay_alu instid0(VALU_DEP_2) | instskip(SKIP_2) | instid1(VALU_DEP_3)
	v_ctz_i32_b32_e32 v8, v8
	v_cndmask_b32_e64 v40, 0, 1, vcc_lo
	v_cmp_eq_u32_e32 vcc_lo, 0, v5
	v_cmp_lt_u32_e64 s15, v81, v8
	s_delay_alu instid0(VALU_DEP_3) | instskip(NEXT) | instid1(VALU_DEP_2)
	v_lshlrev_b32_e32 v40, 1, v40
	s_and_b32 vcc_lo, s15, vcc_lo
	v_lshlrev_b32_e32 v2, 2, v2
	s_delay_alu instid0(VALU_DEP_2)
	v_add_lshl_u32 v46, v40, v81, 2
	ds_bpermute_b32 v3, v2, v6
	s_waitcnt lgkmcnt(0)
	v_cndmask_b32_e32 v3, 0, v3, vcc_lo
	ds_bpermute_b32 v4, v2, v5
	v_cmp_gt_u32_e32 vcc_lo, 28, v81
	v_add_nc_u32_e32 v3, v3, v6
	ds_bpermute_b32 v6, v46, v3
	s_waitcnt lgkmcnt(1)
	v_cndmask_b32_e64 v4, 0, v4, s15
	s_delay_alu instid0(VALU_DEP_1) | instskip(SKIP_1) | instid1(VALU_DEP_2)
	v_add_nc_u32_e32 v4, v4, v5
	v_cndmask_b32_e64 v5, 0, 1, vcc_lo
	v_cmp_eq_u32_e32 vcc_lo, 0, v4
	ds_bpermute_b32 v40, v46, v4
	s_waitcnt lgkmcnt(1)
	v_dual_cndmask_b32 v6, 0, v6 :: v_dual_lshlrev_b32 v5, 2, v5
	v_cmp_gt_u32_e32 vcc_lo, v47, v8
	s_delay_alu instid0(VALU_DEP_2) | instskip(NEXT) | instid1(VALU_DEP_3)
	v_add_lshl_u32 v48, v5, v81, 2
	v_cndmask_b32_e64 v6, v6, 0, vcc_lo
	s_delay_alu instid0(VALU_DEP_1) | instskip(SKIP_4) | instid1(VALU_DEP_2)
	v_add_nc_u32_e32 v3, v6, v3
	ds_bpermute_b32 v5, v48, v3
	s_waitcnt lgkmcnt(1)
	v_cndmask_b32_e64 v6, v40, 0, vcc_lo
	v_cmp_gt_u32_e32 vcc_lo, 24, v81
	v_add_nc_u32_e32 v4, v4, v6
	v_cndmask_b32_e64 v40, 0, 1, vcc_lo
	ds_bpermute_b32 v6, v48, v4
	v_cmp_eq_u32_e32 vcc_lo, 0, v4
	v_lshlrev_b32_e32 v40, 3, v40
	s_delay_alu instid0(VALU_DEP_1) | instskip(SKIP_3) | instid1(VALU_DEP_2)
	v_add_lshl_u32 v50, v40, v81, 2
	s_waitcnt lgkmcnt(1)
	v_cndmask_b32_e32 v5, 0, v5, vcc_lo
	v_cmp_gt_u32_e32 vcc_lo, v49, v8
	v_cndmask_b32_e64 v5, v5, 0, vcc_lo
	s_delay_alu instid0(VALU_DEP_1)
	v_add_nc_u32_e32 v3, v3, v5
	s_waitcnt lgkmcnt(0)
	v_cndmask_b32_e64 v6, v6, 0, vcc_lo
	v_cmp_gt_u32_e32 vcc_lo, 16, v81
	ds_bpermute_b32 v5, v50, v3
	v_add_nc_u32_e32 v4, v4, v6
	v_cndmask_b32_e64 v40, 0, 1, vcc_lo
	ds_bpermute_b32 v6, v50, v4
	v_cmp_eq_u32_e32 vcc_lo, 0, v4
	v_lshlrev_b32_e32 v40, 4, v40
	s_delay_alu instid0(VALU_DEP_1) | instskip(SKIP_3) | instid1(VALU_DEP_2)
	v_add_lshl_u32 v52, v40, v81, 2
	s_waitcnt lgkmcnt(1)
	v_dual_mov_b32 v40, 0 :: v_dual_cndmask_b32 v5, 0, v5
	v_cmp_gt_u32_e32 vcc_lo, v51, v8
	v_cndmask_b32_e64 v5, v5, 0, vcc_lo
	s_delay_alu instid0(VALU_DEP_1)
	v_add_nc_u32_e32 v3, v3, v5
	s_waitcnt lgkmcnt(0)
	v_cndmask_b32_e64 v5, v6, 0, vcc_lo
	ds_bpermute_b32 v6, v52, v3
	v_add_nc_u32_e32 v4, v4, v5
	ds_bpermute_b32 v5, v52, v4
	v_cmp_eq_u32_e32 vcc_lo, 0, v4
	s_waitcnt lgkmcnt(1)
	v_cndmask_b32_e32 v6, 0, v6, vcc_lo
	v_cmp_gt_u32_e32 vcc_lo, v53, v8
	s_delay_alu instid0(VALU_DEP_2) | instskip(SKIP_2) | instid1(VALU_DEP_2)
	v_cndmask_b32_e64 v6, v6, 0, vcc_lo
	s_waitcnt lgkmcnt(0)
	v_cndmask_b32_e64 v5, v5, 0, vcc_lo
	v_add_nc_u32_e32 v6, v6, v3
	s_delay_alu instid0(VALU_DEP_2)
	v_add_nc_u32_e32 v5, v5, v4
	s_branch .LBB1110_107
.LBB1110_106:                           ;   in Loop: Header=BB1110_107 Depth=1
	s_or_b32 exec_lo, exec_lo, s15
	v_and_b32_e32 v8, 0xff, v7
	ds_bpermute_b32 v41, v2, v5
	v_subrev_nc_u32_e32 v39, 32, v39
	v_cmp_eq_u16_e32 vcc_lo, 2, v8
	ds_bpermute_b32 v8, v2, v6
	v_and_or_b32 v42, vcc_lo, v45, 0x80000000
	v_cmp_eq_u32_e32 vcc_lo, 0, v5
	s_delay_alu instid0(VALU_DEP_2) | instskip(NEXT) | instid1(VALU_DEP_1)
	v_ctz_i32_b32_e32 v42, v42
	v_cmp_lt_u32_e64 s15, v81, v42
	s_delay_alu instid0(VALU_DEP_1) | instskip(SKIP_4) | instid1(VALU_DEP_2)
	s_and_b32 vcc_lo, s15, vcc_lo
	s_waitcnt lgkmcnt(1)
	v_cndmask_b32_e64 v41, 0, v41, s15
	s_waitcnt lgkmcnt(0)
	v_cndmask_b32_e32 v8, 0, v8, vcc_lo
	v_add_nc_u32_e32 v5, v41, v5
	s_delay_alu instid0(VALU_DEP_2)
	v_add_nc_u32_e32 v6, v8, v6
	ds_bpermute_b32 v41, v46, v5
	ds_bpermute_b32 v8, v46, v6
	v_cmp_eq_u32_e32 vcc_lo, 0, v5
	s_waitcnt lgkmcnt(0)
	v_cndmask_b32_e32 v8, 0, v8, vcc_lo
	v_cmp_gt_u32_e32 vcc_lo, v47, v42
	v_cndmask_b32_e64 v41, v41, 0, vcc_lo
	s_delay_alu instid0(VALU_DEP_1) | instskip(NEXT) | instid1(VALU_DEP_4)
	v_add_nc_u32_e32 v5, v5, v41
	v_cndmask_b32_e64 v8, v8, 0, vcc_lo
	ds_bpermute_b32 v41, v48, v5
	v_add_nc_u32_e32 v6, v8, v6
	v_cmp_eq_u32_e32 vcc_lo, 0, v5
	ds_bpermute_b32 v8, v48, v6
	s_waitcnt lgkmcnt(0)
	v_cndmask_b32_e32 v8, 0, v8, vcc_lo
	v_cmp_gt_u32_e32 vcc_lo, v49, v42
	v_cndmask_b32_e64 v41, v41, 0, vcc_lo
	s_delay_alu instid0(VALU_DEP_1) | instskip(NEXT) | instid1(VALU_DEP_4)
	v_add_nc_u32_e32 v5, v5, v41
	v_cndmask_b32_e64 v8, v8, 0, vcc_lo
	ds_bpermute_b32 v41, v50, v5
	v_add_nc_u32_e32 v6, v6, v8
	v_cmp_eq_u32_e32 vcc_lo, 0, v5
	ds_bpermute_b32 v8, v50, v6
	;; [unrolled: 11-line block ×3, first 2 shown]
	s_waitcnt lgkmcnt(0)
	v_cndmask_b32_e32 v8, 0, v8, vcc_lo
	v_cmp_gt_u32_e32 vcc_lo, v53, v42
	s_delay_alu instid0(VALU_DEP_2) | instskip(NEXT) | instid1(VALU_DEP_1)
	v_cndmask_b32_e64 v8, v8, 0, vcc_lo
	v_add_nc_u32_e32 v6, v8, v6
	v_cndmask_b32_e64 v8, v41, 0, vcc_lo
	v_cmp_eq_u32_e32 vcc_lo, 0, v3
	s_delay_alu instid0(VALU_DEP_2) | instskip(NEXT) | instid1(VALU_DEP_4)
	v_add3_u32 v5, v5, v3, v8
	v_cndmask_b32_e32 v6, 0, v6, vcc_lo
	s_delay_alu instid0(VALU_DEP_1)
	v_add_nc_u32_e32 v6, v6, v4
.LBB1110_107:                           ; =>This Loop Header: Depth=1
                                        ;     Child Loop BB1110_110 Depth 2
                                        ;       Child Loop BB1110_111 Depth 3
	s_delay_alu instid0(VALU_DEP_1) | instskip(NEXT) | instid1(VALU_DEP_1)
	v_dual_mov_b32 v4, v6 :: v_dual_and_b32 v3, 0xff, v7
	v_cmp_ne_u16_e32 vcc_lo, 2, v3
	v_cndmask_b32_e64 v3, 0, 1, vcc_lo
	;;#ASMSTART
	;;#ASMEND
	s_delay_alu instid0(VALU_DEP_1)
	v_cmp_ne_u32_e32 vcc_lo, 0, v3
	v_mov_b32_e32 v3, v5
	s_cmp_lg_u32 vcc_lo, exec_lo
	s_cbranch_scc1 .LBB1110_114
; %bb.108:                              ;   in Loop: Header=BB1110_107 Depth=1
	v_lshlrev_b64 v[5:6], 4, v[39:40]
	s_mov_b32 s15, exec_lo
	s_delay_alu instid0(VALU_DEP_1) | instskip(NEXT) | instid1(VALU_DEP_2)
	v_add_co_u32 v41, vcc_lo, s36, v5
	v_add_co_ci_u32_e32 v42, vcc_lo, s37, v6, vcc_lo
	;;#ASMSTART
	global_load_dwordx4 v[5:8], v[41:42] off glc	
s_waitcnt vmcnt(0)
	;;#ASMEND
	v_and_b32_e32 v8, 0xff, v6
	v_and_b32_e32 v54, 0xff00, v6
	;; [unrolled: 1-line block ×3, first 2 shown]
	v_or3_b32 v5, v5, 0, 0
	v_and_b32_e32 v6, 0xff000000, v6
	s_delay_alu instid0(VALU_DEP_4) | instskip(SKIP_1) | instid1(VALU_DEP_4)
	v_or3_b32 v8, 0, v8, v54
	v_and_b32_e32 v54, 0xff, v7
	v_or3_b32 v5, v5, 0, 0
	s_delay_alu instid0(VALU_DEP_3) | instskip(NEXT) | instid1(VALU_DEP_3)
	v_or3_b32 v6, v8, v55, v6
	v_cmpx_eq_u16_e32 0, v54
	s_cbranch_execz .LBB1110_106
; %bb.109:                              ;   in Loop: Header=BB1110_107 Depth=1
	s_mov_b32 s20, 1
	s_mov_b32 s19, 0
	.p2align	6
.LBB1110_110:                           ;   Parent Loop BB1110_107 Depth=1
                                        ; =>  This Loop Header: Depth=2
                                        ;       Child Loop BB1110_111 Depth 3
	s_max_u32 s21, s20, 1
.LBB1110_111:                           ;   Parent Loop BB1110_107 Depth=1
                                        ;     Parent Loop BB1110_110 Depth=2
                                        ; =>    This Inner Loop Header: Depth=3
	s_delay_alu instid0(SALU_CYCLE_1)
	s_add_i32 s21, s21, -1
	s_sleep 1
	s_cmp_eq_u32 s21, 0
	s_cbranch_scc0 .LBB1110_111
; %bb.112:                              ;   in Loop: Header=BB1110_110 Depth=2
	;;#ASMSTART
	global_load_dwordx4 v[5:8], v[41:42] off glc	
s_waitcnt vmcnt(0)
	;;#ASMEND
	v_and_b32_e32 v8, 0xff, v7
	s_cmp_lt_u32 s20, 32
	s_cselect_b32 s21, -1, 0
	s_delay_alu instid0(SALU_CYCLE_1) | instskip(NEXT) | instid1(VALU_DEP_1)
	s_cmp_lg_u32 s21, 0
	v_cmp_ne_u16_e32 vcc_lo, 0, v8
	s_addc_u32 s20, s20, 0
	s_or_b32 s19, vcc_lo, s19
	s_delay_alu instid0(SALU_CYCLE_1)
	s_and_not1_b32 exec_lo, exec_lo, s19
	s_cbranch_execnz .LBB1110_110
; %bb.113:                              ;   in Loop: Header=BB1110_107 Depth=1
	s_or_b32 exec_lo, exec_lo, s19
	s_branch .LBB1110_106
.LBB1110_114:                           ;   in Loop: Header=BB1110_107 Depth=1
                                        ; implicit-def: $vgpr6
                                        ; implicit-def: $vgpr5
                                        ; implicit-def: $vgpr7
	s_cbranch_execz .LBB1110_107
; %bb.115:
	s_and_saveexec_b32 s15, s14
	s_cbranch_execz .LBB1110_117
; %bb.116:
	v_cmp_eq_u32_e32 vcc_lo, 0, v1
	s_mov_b32 s21, 0
	s_add_i32 s20, s48, 32
	v_add_nc_u32_e32 v5, v3, v1
	s_lshl_b64 s[20:21], s[20:21], 4
	v_cndmask_b32_e32 v2, 0, v4, vcc_lo
	s_add_u32 s20, s36, s20
	s_addc_u32 s21, s37, s21
	v_mov_b32_e32 v8, 0
	s_delay_alu instid0(VALU_DEP_2) | instskip(NEXT) | instid1(VALU_DEP_1)
	v_add_nc_u32_e32 v2, s18, v2
	v_and_b32_e32 v6, 0xff000000, v2
	v_and_b32_e32 v7, 0xff0000, v2
	s_delay_alu instid0(VALU_DEP_1) | instskip(SKIP_3) | instid1(VALU_DEP_1)
	v_or_b32_e32 v6, v7, v6
	v_mov_b32_e32 v7, 2
	v_and_b32_e32 v39, 0xff00, v2
	v_and_b32_e32 v2, 0xff, v2
	v_or3_b32 v6, v6, v39, v2
	v_mov_b32_e32 v2, s18
	v_dual_mov_b32 v40, s21 :: v_dual_mov_b32 v39, s20
	;;#ASMSTART
	global_store_dwordx4 v[39:40], v[5:8] off	
s_waitcnt vmcnt(0)
	;;#ASMEND
	ds_store_b128 v8, v[1:4] offset:2048
.LBB1110_117:
	s_or_b32 exec_lo, exec_lo, s15
	s_delay_alu instid0(SALU_CYCLE_1)
	s_and_b32 exec_lo, exec_lo, s2
	s_cbranch_execz .LBB1110_119
; %bb.118:
	v_mov_b32_e32 v1, 0
	ds_store_b64 v1, v[3:4] offset:2120
.LBB1110_119:
	s_or_b32 exec_lo, exec_lo, s17
	s_waitcnt lgkmcnt(1)
	v_cndmask_b32_e64 v4, v43, v37, s14
	s_waitcnt lgkmcnt(0)
	s_barrier
	buffer_gl0_inv
	v_cndmask_b32_e64 v5, v44, v38, s14
	v_cmp_eq_u32_e32 vcc_lo, 0, v4
	v_mov_b32_e32 v3, 0
	ds_load_b64 v[1:2], v3 offset:2120
	s_waitcnt lgkmcnt(0)
	s_barrier
	buffer_gl0_inv
	v_cndmask_b32_e32 v6, 0, v2, vcc_lo
	v_cmp_eq_u32_e32 vcc_lo, 0, v78
	s_delay_alu instid0(VALU_DEP_2) | instskip(NEXT) | instid1(VALU_DEP_1)
	v_add_nc_u32_e32 v5, v6, v5
	v_cndmask_b32_e64 v54, v5, v2, s2
	s_delay_alu instid0(VALU_DEP_1) | instskip(NEXT) | instid1(VALU_DEP_1)
	v_cndmask_b32_e32 v2, 0, v54, vcc_lo
	v_add_nc_u32_e32 v60, v2, v35
	s_delay_alu instid0(VALU_DEP_1) | instskip(NEXT) | instid1(VALU_DEP_1)
	v_cndmask_b32_e64 v2, 0, v60, s13
	v_add_nc_u32_e32 v56, v2, v36
	s_delay_alu instid0(VALU_DEP_1) | instskip(NEXT) | instid1(VALU_DEP_1)
	v_cndmask_b32_e64 v2, 0, v56, s12
	;; [unrolled: 3-line block ×5, first 2 shown]
	v_add_nc_u32_e32 v40, v2, v32
	v_cndmask_b32_e64 v2, v4, 0, s2
	s_delay_alu instid0(VALU_DEP_2) | instskip(NEXT) | instid1(VALU_DEP_2)
	v_cndmask_b32_e64 v4, 0, v40, s8
	v_add_nc_u32_e32 v53, v1, v2
	s_delay_alu instid0(VALU_DEP_2) | instskip(NEXT) | instid1(VALU_DEP_1)
	v_add_nc_u32_e32 v44, v4, v29
	v_cndmask_b32_e64 v1, 0, v44, s7
	s_delay_alu instid0(VALU_DEP_1) | instskip(NEXT) | instid1(VALU_DEP_1)
	v_add_nc_u32_e32 v48, v1, v30
	v_cndmask_b32_e64 v1, 0, v48, s6
	s_delay_alu instid0(VALU_DEP_1) | instskip(NEXT) | instid1(VALU_DEP_1)
	;; [unrolled: 3-line block ×3, first 2 shown]
	v_add_nc_u32_e32 v8, v1, v28
	v_cndmask_b32_e64 v1, 0, v8, s4
	s_delay_alu instid0(VALU_DEP_1) | instskip(SKIP_2) | instid1(VALU_DEP_1)
	v_add_nc_u32_e32 v38, v1, v25
	ds_load_b128 v[1:4], v3 offset:2048
	v_cndmask_b32_e64 v37, 0, v38, s3
	v_add_nc_u32_e32 v62, v37, v26
	s_delay_alu instid0(VALU_DEP_1) | instskip(NEXT) | instid1(VALU_DEP_1)
	v_cndmask_b32_e64 v49, 0, v62, s1
	v_add_nc_u32_e32 v58, v49, v23
	s_waitcnt lgkmcnt(0)
	v_cmp_eq_u32_e32 vcc_lo, 0, v1
	s_delay_alu instid0(VALU_DEP_2) | instskip(SKIP_1) | instid1(VALU_DEP_2)
	v_cndmask_b32_e64 v50, 0, v58, s0
	v_dual_cndmask_b32 v4, 0, v4 :: v_dual_add_nc_u32 v59, v53, v78
	v_add_nc_u32_e32 v50, v50, v24
	s_delay_alu instid0(VALU_DEP_2) | instskip(NEXT) | instid1(VALU_DEP_3)
	v_add_nc_u32_e32 v80, v4, v2
	v_add_nc_u32_e32 v55, v59, v77
	s_delay_alu instid0(VALU_DEP_1) | instskip(NEXT) | instid1(VALU_DEP_1)
	v_add_nc_u32_e32 v51, v55, v76
	v_add_nc_u32_e32 v45, v51, v75
	s_delay_alu instid0(VALU_DEP_1) | instskip(NEXT) | instid1(VALU_DEP_1)
	;; [unrolled: 3-line block ×6, first 2 shown]
	v_add_nc_u32_e32 v57, v61, v65
	v_add_nc_u32_e32 v49, v57, v64
	s_branch .LBB1110_132
.LBB1110_120:
                                        ; implicit-def: $vgpr1
                                        ; implicit-def: $vgpr80
                                        ; implicit-def: $vgpr53_vgpr54
                                        ; implicit-def: $vgpr59_vgpr60
                                        ; implicit-def: $vgpr55_vgpr56
                                        ; implicit-def: $vgpr51_vgpr52
                                        ; implicit-def: $vgpr45_vgpr46
                                        ; implicit-def: $vgpr41_vgpr42
                                        ; implicit-def: $vgpr39_vgpr40
                                        ; implicit-def: $vgpr43_vgpr44
                                        ; implicit-def: $vgpr47_vgpr48
                                        ; implicit-def: $vgpr5_vgpr6
                                        ; implicit-def: $vgpr7_vgpr8
                                        ; implicit-def: $vgpr37_vgpr38
                                        ; implicit-def: $vgpr61_vgpr62
                                        ; implicit-def: $vgpr57_vgpr58
                                        ; implicit-def: $vgpr49_vgpr50
	s_cbranch_execz .LBB1110_132
; %bb.121:
	s_and_b32 s0, s16, exec_lo
	v_mov_b32_e32 v49, v35
	s_cselect_b32 s1, 0, s35
	s_cselect_b32 s0, 0, s34
	s_delay_alu instid0(SALU_CYCLE_1)
	s_cmp_eq_u64 s[0:1], 0
	s_cbranch_scc1 .LBB1110_123
; %bb.122:
	v_mov_b32_e32 v1, 0
	global_load_b32 v49, v1, s[0:1]
.LBB1110_123:
	v_cmp_eq_u32_e64 s7, 0, v77
	v_cmp_eq_u32_e64 s8, 0, v76
	;; [unrolled: 1-line block ×5, first 2 shown]
	v_cndmask_b32_e64 v1, 0, v35, s7
	v_cmp_eq_u32_e64 s12, 0, v72
	v_cmp_eq_u32_e64 s6, 0, v70
	;; [unrolled: 1-line block ×4, first 2 shown]
	v_add_nc_u32_e32 v1, v1, v36
	v_cmp_eq_u32_e64 s3, 0, v67
	v_add3_u32 v2, v84, v73, v72
	v_cmp_eq_u32_e64 s1, 0, v66
	v_cmp_eq_u32_e32 vcc_lo, 0, v65
	v_cndmask_b32_e64 v1, 0, v1, s8
	v_cmp_eq_u32_e64 s0, 0, v64
	v_add3_u32 v2, v2, v70, v69
	v_cmp_eq_u32_e64 s13, 0, v71
	v_and_b32_e32 v4, 15, v81
	v_add_nc_u32_e32 v1, v1, v33
	s_delay_alu instid0(VALU_DEP_4) | instskip(NEXT) | instid1(VALU_DEP_3)
	v_add3_u32 v2, v2, v68, v67
	v_cmp_lt_u32_e64 s14, 1, v4
	s_delay_alu instid0(VALU_DEP_3) | instskip(NEXT) | instid1(VALU_DEP_3)
	v_cndmask_b32_e64 v1, 0, v1, s9
	v_add3_u32 v2, v2, v66, v65
	s_delay_alu instid0(VALU_DEP_2) | instskip(NEXT) | instid1(VALU_DEP_2)
	v_add_nc_u32_e32 v1, v1, v34
	v_add3_u32 v2, v2, v64, v71
	s_delay_alu instid0(VALU_DEP_2) | instskip(NEXT) | instid1(VALU_DEP_2)
	v_cndmask_b32_e64 v1, 0, v1, s10
	v_mov_b32_dpp v5, v2 row_shr:1 row_mask:0xf bank_mask:0xf
	s_delay_alu instid0(VALU_DEP_2) | instskip(NEXT) | instid1(VALU_DEP_1)
	v_add_nc_u32_e32 v1, v1, v31
	v_cndmask_b32_e64 v1, 0, v1, s11
	s_delay_alu instid0(VALU_DEP_1) | instskip(NEXT) | instid1(VALU_DEP_1)
	v_add_nc_u32_e32 v1, v1, v32
	v_cndmask_b32_e64 v1, 0, v1, s12
	s_delay_alu instid0(VALU_DEP_1) | instskip(NEXT) | instid1(VALU_DEP_1)
	;; [unrolled: 3-line block ×7, first 2 shown]
	v_add_nc_u32_e32 v1, v1, v26
	v_cndmask_b32_e32 v1, 0, v1, vcc_lo
	s_delay_alu instid0(VALU_DEP_1) | instskip(NEXT) | instid1(VALU_DEP_1)
	v_add_nc_u32_e32 v1, v1, v23
	v_cndmask_b32_e64 v1, 0, v1, s0
	s_delay_alu instid0(VALU_DEP_1) | instskip(NEXT) | instid1(VALU_DEP_1)
	v_add_nc_u32_e32 v1, v1, v24
	v_cndmask_b32_e64 v1, 0, v1, s13
	v_cmp_eq_u32_e64 s13, 0, v2
	s_delay_alu instid0(VALU_DEP_2) | instskip(NEXT) | instid1(VALU_DEP_1)
	v_add_nc_u32_e32 v1, v1, v79
	v_mov_b32_dpp v3, v1 row_shr:1 row_mask:0xf bank_mask:0xf
	s_delay_alu instid0(VALU_DEP_1) | instskip(SKIP_1) | instid1(VALU_DEP_1)
	v_cndmask_b32_e64 v3, 0, v3, s13
	v_cmp_eq_u32_e64 s13, 0, v4
	v_cndmask_b32_e64 v5, v5, 0, s13
	s_delay_alu instid0(VALU_DEP_3) | instskip(NEXT) | instid1(VALU_DEP_2)
	v_cndmask_b32_e64 v3, v3, 0, s13
	v_add_nc_u32_e32 v2, v5, v2
	s_delay_alu instid0(VALU_DEP_2) | instskip(NEXT) | instid1(VALU_DEP_2)
	v_add_nc_u32_e32 v1, v3, v1
	v_mov_b32_dpp v3, v2 row_shr:2 row_mask:0xf bank_mask:0xf
	v_cmp_eq_u32_e64 s13, 0, v2
	s_delay_alu instid0(VALU_DEP_3) | instskip(NEXT) | instid1(VALU_DEP_3)
	v_mov_b32_dpp v5, v1 row_shr:2 row_mask:0xf bank_mask:0xf
	v_cndmask_b32_e64 v3, 0, v3, s14
	s_delay_alu instid0(VALU_DEP_3) | instskip(SKIP_1) | instid1(VALU_DEP_3)
	s_and_b32 s13, s14, s13
	v_cmp_lt_u32_e64 s14, 3, v4
	v_cndmask_b32_e64 v5, 0, v5, s13
	s_delay_alu instid0(VALU_DEP_3) | instskip(NEXT) | instid1(VALU_DEP_2)
	v_add_nc_u32_e32 v2, v2, v3
	v_add_nc_u32_e32 v1, v5, v1
	s_delay_alu instid0(VALU_DEP_2) | instskip(SKIP_1) | instid1(VALU_DEP_3)
	v_mov_b32_dpp v3, v2 row_shr:4 row_mask:0xf bank_mask:0xf
	v_cmp_eq_u32_e64 s13, 0, v2
	v_mov_b32_dpp v5, v1 row_shr:4 row_mask:0xf bank_mask:0xf
	s_delay_alu instid0(VALU_DEP_3) | instskip(NEXT) | instid1(VALU_DEP_3)
	v_cndmask_b32_e64 v3, 0, v3, s14
	s_and_b32 s13, s14, s13
	v_cmp_lt_u32_e64 s14, 7, v4
	s_delay_alu instid0(VALU_DEP_3) | instskip(NEXT) | instid1(VALU_DEP_3)
	v_cndmask_b32_e64 v5, 0, v5, s13
	v_add_nc_u32_e32 v2, v3, v2
	s_delay_alu instid0(VALU_DEP_2) | instskip(SKIP_1) | instid1(VALU_DEP_3)
	v_add_nc_u32_e32 v1, v1, v5
	v_bfe_i32 v5, v81, 4, 1
	v_cmp_eq_u32_e64 s13, 0, v2
	v_mov_b32_dpp v3, v2 row_shr:8 row_mask:0xf bank_mask:0xf
	s_delay_alu instid0(VALU_DEP_4) | instskip(NEXT) | instid1(VALU_DEP_3)
	v_mov_b32_dpp v4, v1 row_shr:8 row_mask:0xf bank_mask:0xf
	s_and_b32 s13, s14, s13
	s_delay_alu instid0(VALU_DEP_2) | instskip(SKIP_1) | instid1(VALU_DEP_2)
	v_cndmask_b32_e64 v3, 0, v3, s14
	s_mov_b32 s14, exec_lo
	v_cndmask_b32_e64 v4, 0, v4, s13
	s_delay_alu instid0(VALU_DEP_1) | instskip(NEXT) | instid1(VALU_DEP_3)
	v_add_nc_u32_e32 v4, v4, v1
	v_add_nc_u32_e32 v1, v3, v2
	ds_swizzle_b32 v2, v4 offset:swizzle(BROADCAST,32,15)
	ds_swizzle_b32 v3, v1 offset:swizzle(BROADCAST,32,15)
	v_cmp_eq_u32_e64 s13, 0, v1
	s_waitcnt lgkmcnt(1)
	s_delay_alu instid0(VALU_DEP_1) | instskip(SKIP_2) | instid1(VALU_DEP_2)
	v_cndmask_b32_e64 v2, 0, v2, s13
	s_waitcnt lgkmcnt(0)
	v_and_b32_e32 v3, v5, v3
	v_and_b32_e32 v2, v5, v2
	s_delay_alu instid0(VALU_DEP_2) | instskip(NEXT) | instid1(VALU_DEP_2)
	v_add_nc_u32_e32 v1, v3, v1
	v_add_nc_u32_e32 v2, v2, v4
	v_cmpx_eq_u32_e64 v83, v0
	s_cbranch_execz .LBB1110_125
; %bb.124:
	v_lshlrev_b32_e32 v3, 3, v82
	ds_store_b64 v3, v[1:2] offset:2064
.LBB1110_125:
	s_or_b32 exec_lo, exec_lo, s14
	s_delay_alu instid0(SALU_CYCLE_1)
	s_mov_b32 s15, exec_lo
	s_waitcnt vmcnt(0) lgkmcnt(0)
	s_barrier
	buffer_gl0_inv
	v_cmpx_gt_u32_e32 8, v0
	s_cbranch_execz .LBB1110_127
; %bb.126:
	v_lshlrev_b32_e32 v5, 3, v0
	v_and_b32_e32 v7, 7, v81
	ds_load_b64 v[3:4], v5 offset:2064
	v_cmp_lt_u32_e64 s14, 1, v7
	s_waitcnt lgkmcnt(0)
	v_mov_b32_dpp v6, v4 row_shr:1 row_mask:0xf bank_mask:0xf
	v_cmp_eq_u32_e64 s13, 0, v3
	v_mov_b32_dpp v8, v3 row_shr:1 row_mask:0xf bank_mask:0xf
	s_delay_alu instid0(VALU_DEP_2) | instskip(SKIP_1) | instid1(VALU_DEP_1)
	v_cndmask_b32_e64 v6, 0, v6, s13
	v_cmp_eq_u32_e64 s13, 0, v7
	v_cndmask_b32_e64 v8, v8, 0, s13
	s_delay_alu instid0(VALU_DEP_3) | instskip(NEXT) | instid1(VALU_DEP_2)
	v_cndmask_b32_e64 v6, v6, 0, s13
	v_add_nc_u32_e32 v3, v8, v3
	s_delay_alu instid0(VALU_DEP_2) | instskip(NEXT) | instid1(VALU_DEP_2)
	v_add_nc_u32_e32 v4, v6, v4
	v_mov_b32_dpp v6, v3 row_shr:2 row_mask:0xf bank_mask:0xf
	v_cmp_eq_u32_e64 s13, 0, v3
	s_delay_alu instid0(VALU_DEP_3) | instskip(NEXT) | instid1(VALU_DEP_3)
	v_mov_b32_dpp v8, v4 row_shr:2 row_mask:0xf bank_mask:0xf
	v_cndmask_b32_e64 v6, 0, v6, s14
	s_delay_alu instid0(VALU_DEP_3) | instskip(SKIP_1) | instid1(VALU_DEP_3)
	s_and_b32 s13, s14, s13
	v_cmp_lt_u32_e64 s14, 3, v7
	v_cndmask_b32_e64 v8, 0, v8, s13
	s_delay_alu instid0(VALU_DEP_3) | instskip(NEXT) | instid1(VALU_DEP_2)
	v_add_nc_u32_e32 v3, v6, v3
	v_add_nc_u32_e32 v4, v8, v4
	s_delay_alu instid0(VALU_DEP_2) | instskip(SKIP_1) | instid1(VALU_DEP_3)
	v_cmp_eq_u32_e64 s13, 0, v3
	v_mov_b32_dpp v6, v3 row_shr:4 row_mask:0xf bank_mask:0xf
	v_mov_b32_dpp v7, v4 row_shr:4 row_mask:0xf bank_mask:0xf
	s_delay_alu instid0(VALU_DEP_3) | instskip(NEXT) | instid1(VALU_DEP_2)
	s_and_b32 s13, s14, s13
	v_cndmask_b32_e64 v6, 0, v6, s14
	s_delay_alu instid0(VALU_DEP_2) | instskip(NEXT) | instid1(VALU_DEP_2)
	v_cndmask_b32_e64 v7, 0, v7, s13
	v_add_nc_u32_e32 v3, v6, v3
	s_delay_alu instid0(VALU_DEP_2)
	v_add_nc_u32_e32 v4, v7, v4
	ds_store_b64 v5, v[3:4] offset:2064
.LBB1110_127:
	s_or_b32 exec_lo, exec_lo, s15
	v_dual_mov_b32 v7, 0 :: v_dual_mov_b32 v4, v49
	v_mov_b32_e32 v3, 0
	s_mov_b32 s14, exec_lo
	s_waitcnt lgkmcnt(0)
	s_barrier
	buffer_gl0_inv
	v_cmpx_lt_u32_e32 31, v0
	s_cbranch_execz .LBB1110_129
; %bb.128:
	v_lshlrev_b32_e32 v3, 3, v82
	ds_load_b64 v[3:4], v3 offset:2056
	s_waitcnt lgkmcnt(0)
	v_cmp_eq_u32_e64 s13, 0, v3
	s_delay_alu instid0(VALU_DEP_1) | instskip(NEXT) | instid1(VALU_DEP_1)
	v_cndmask_b32_e64 v5, 0, v49, s13
	v_add_nc_u32_e32 v4, v5, v4
.LBB1110_129:
	s_or_b32 exec_lo, exec_lo, s14
	v_add_nc_u32_e32 v5, -1, v81
	s_delay_alu instid0(VALU_DEP_1) | instskip(NEXT) | instid1(VALU_DEP_1)
	v_cmp_gt_i32_e64 s13, 0, v5
	v_cndmask_b32_e64 v5, v5, v81, s13
	v_cmp_eq_u32_e64 s13, 0, v1
	v_add_nc_u32_e32 v1, v3, v1
	s_delay_alu instid0(VALU_DEP_3) | instskip(NEXT) | instid1(VALU_DEP_3)
	v_lshlrev_b32_e32 v5, 2, v5
	v_cndmask_b32_e64 v6, 0, v4, s13
	v_cmp_eq_u32_e64 s13, 0, v81
	ds_bpermute_b32 v1, v5, v1
	v_add_nc_u32_e32 v2, v6, v2
	ds_bpermute_b32 v2, v5, v2
	s_waitcnt lgkmcnt(1)
	v_cndmask_b32_e64 v1, v1, v3, s13
	s_delay_alu instid0(VALU_DEP_1) | instskip(SKIP_3) | instid1(VALU_DEP_2)
	v_cndmask_b32_e64 v53, v1, 0, s2
	s_waitcnt lgkmcnt(0)
	v_cndmask_b32_e64 v2, v2, v4, s13
	v_cmp_eq_u32_e64 s13, 0, v78
	v_cndmask_b32_e64 v54, v2, v49, s2
	s_delay_alu instid0(VALU_DEP_1) | instskip(NEXT) | instid1(VALU_DEP_1)
	v_cndmask_b32_e64 v2, 0, v54, s13
	v_add_nc_u32_e32 v60, v2, v35
	s_delay_alu instid0(VALU_DEP_1) | instskip(NEXT) | instid1(VALU_DEP_1)
	v_cndmask_b32_e64 v2, 0, v60, s7
	v_add_nc_u32_e32 v56, v2, v36
	;; [unrolled: 3-line block ×11, first 2 shown]
	ds_load_b64 v[1:2], v7 offset:2120
	v_cndmask_b32_e64 v3, 0, v38, s1
	s_delay_alu instid0(VALU_DEP_1) | instskip(NEXT) | instid1(VALU_DEP_1)
	v_add_nc_u32_e32 v62, v3, v26
	v_cndmask_b32_e32 v3, 0, v62, vcc_lo
	s_delay_alu instid0(VALU_DEP_1) | instskip(SKIP_3) | instid1(VALU_DEP_3)
	v_add_nc_u32_e32 v58, v3, v23
	s_waitcnt lgkmcnt(0)
	v_cmp_eq_u32_e32 vcc_lo, 0, v1
	v_add_nc_u32_e32 v59, v53, v78
	v_cndmask_b32_e64 v3, 0, v58, s0
	v_cndmask_b32_e32 v4, 0, v49, vcc_lo
	s_delay_alu instid0(VALU_DEP_3) | instskip(NEXT) | instid1(VALU_DEP_3)
	v_add_nc_u32_e32 v55, v59, v77
	v_add_nc_u32_e32 v50, v3, v24
	s_delay_alu instid0(VALU_DEP_3) | instskip(NEXT) | instid1(VALU_DEP_3)
	v_add_nc_u32_e32 v80, v4, v2
	v_add_nc_u32_e32 v51, v55, v76
	s_delay_alu instid0(VALU_DEP_1) | instskip(NEXT) | instid1(VALU_DEP_1)
	v_add_nc_u32_e32 v45, v51, v75
	v_add_nc_u32_e32 v41, v45, v74
	s_delay_alu instid0(VALU_DEP_1) | instskip(NEXT) | instid1(VALU_DEP_1)
	;; [unrolled: 3-line block ×5, first 2 shown]
	v_add_nc_u32_e32 v61, v37, v66
	v_add_nc_u32_e32 v57, v61, v65
	s_delay_alu instid0(VALU_DEP_1)
	v_add_nc_u32_e32 v49, v57, v64
	s_and_saveexec_b32 s0, s2
	s_cbranch_execz .LBB1110_131
; %bb.130:
	v_and_b32_e32 v2, 0xff000000, v80
	v_dual_mov_b32 v4, 0 :: v_dual_and_b32 v3, 0xff0000, v80
	s_add_u32 s4, s36, 0x200
	v_and_b32_e32 v23, 0xff00, v80
	s_addc_u32 s5, s37, 0
	v_and_b32_e32 v24, 0xff, v80
	v_or_b32_e32 v2, v3, v2
	v_mov_b32_e32 v3, 2
	s_delay_alu instid0(VALU_DEP_2)
	v_or3_b32 v2, v2, v23, v24
	v_dual_mov_b32 v24, s5 :: v_dual_mov_b32 v23, s4
	;;#ASMSTART
	global_store_dwordx4 v[23:24], v[1:4] off	
s_waitcnt vmcnt(0)
	;;#ASMEND
.LBB1110_131:
	s_or_b32 exec_lo, exec_lo, s0
	v_mov_b32_e32 v3, 0
.LBB1110_132:
	v_mov_b32_e32 v23, 0
	s_and_b32 s0, s16, exec_lo
	v_mov_b32_e32 v24, 0
	s_cselect_b32 s1, 0, s47
	s_cselect_b32 s0, 0, s46
	s_delay_alu instid0(SALU_CYCLE_1)
	s_cmp_eq_u64 s[0:1], 0
	s_barrier
	buffer_gl0_inv
	s_cbranch_scc1 .LBB1110_134
; %bb.133:
	v_mov_b32_e32 v2, 0
	global_load_b64 v[23:24], v2, s[0:1]
.LBB1110_134:
	v_cmp_eq_u32_e32 vcc_lo, 0, v78
	v_cmp_ne_u32_e64 s15, 0, v78
	v_cmp_ne_u32_e64 s14, 0, v77
	;; [unrolled: 1-line block ×4, first 2 shown]
	v_cndmask_b32_e64 v2, 1, 2, vcc_lo
	v_cmp_eq_u32_e32 vcc_lo, 0, v77
	v_cmp_ne_u32_e64 s11, 0, v74
	v_cmp_ne_u32_e64 s10, 0, v73
	;; [unrolled: 1-line block ×4, first 2 shown]
	v_cndmask_b32_e64 v4, 1, 2, vcc_lo
	v_cmp_eq_u32_e32 vcc_lo, 0, v76
	v_cmp_ne_u32_e64 s9, 0, v69
	v_cmp_ne_u32_e64 s7, 0, v68
	v_cmp_ne_u32_e64 s5, 0, v67
	v_and_b32_e32 v2, v4, v2
	v_cndmask_b32_e64 v25, 1, 2, vcc_lo
	v_cmp_eq_u32_e32 vcc_lo, 0, v75
	v_cmp_ne_u32_e64 s4, 0, v66
	v_cmp_ne_u32_e64 s3, 0, v65
	;; [unrolled: 1-line block ×3, first 2 shown]
	v_and_b32_e32 v2, v2, v25
	v_cndmask_b32_e64 v4, 1, 2, vcc_lo
	v_cmp_eq_u32_e32 vcc_lo, 0, v74
	v_cmp_ne_u32_e64 s0, 0, v71
	s_mov_b32 s17, -1
	s_delay_alu instid0(VALU_DEP_3) | instskip(SKIP_2) | instid1(VALU_DEP_2)
	v_and_b32_e32 v2, v2, v4
	v_cndmask_b32_e64 v25, 1, 2, vcc_lo
	v_cmp_eq_u32_e32 vcc_lo, 0, v73
	v_and_b32_e32 v2, v2, v25
	v_cndmask_b32_e64 v4, 1, 2, vcc_lo
	v_cmp_eq_u32_e32 vcc_lo, 0, v72
	s_waitcnt vmcnt(0)
	v_lshlrev_b64 v[25:26], 2, v[23:24]
	s_delay_alu instid0(VALU_DEP_3) | instskip(SKIP_2) | instid1(VALU_DEP_2)
	v_and_b32_e32 v2, v2, v4
	v_cndmask_b32_e64 v27, 1, 2, vcc_lo
	v_cmp_eq_u32_e32 vcc_lo, 0, v70
	v_and_b32_e32 v2, v2, v27
	v_cndmask_b32_e64 v28, 1, 2, vcc_lo
	v_cmp_eq_u32_e32 vcc_lo, 0, v69
	s_delay_alu instid0(VALU_DEP_2) | instskip(SKIP_2) | instid1(VALU_DEP_2)
	v_and_b32_e32 v2, v2, v28
	v_cndmask_b32_e64 v27, 1, 2, vcc_lo
	v_cmp_eq_u32_e32 vcc_lo, 0, v68
	v_and_b32_e32 v2, v2, v27
	v_cndmask_b32_e64 v28, 1, 2, vcc_lo
	v_cmp_eq_u32_e32 vcc_lo, 0, v67
	s_delay_alu instid0(VALU_DEP_2) | instskip(SKIP_2) | instid1(VALU_DEP_2)
	;; [unrolled: 7-line block ×3, first 2 shown]
	v_and_b32_e32 v2, v2, v29
	v_cndmask_b32_e64 v30, 1, 2, vcc_lo
	v_cmp_eq_u32_e32 vcc_lo, 0, v64
	v_and_b32_e32 v30, v2, v30
	v_cndmask_b32_e64 v31, 1, 2, vcc_lo
	v_mov_b32_e32 v4, 0
	s_delay_alu instid0(VALU_DEP_1) | instskip(SKIP_2) | instid1(VALU_DEP_2)
	v_lshlrev_b64 v[27:28], 2, v[3:4]
	v_add_co_u32 v4, vcc_lo, s26, v25
	v_add_co_ci_u32_e32 v29, vcc_lo, s27, v26, vcc_lo
	v_add_co_u32 v2, vcc_lo, v4, v27
	s_delay_alu instid0(VALU_DEP_2) | instskip(SKIP_4) | instid1(VALU_DEP_2)
	v_add_co_ci_u32_e32 v4, vcc_lo, v29, v28, vcc_lo
	v_and_b32_e32 v29, v30, v31
	v_cmp_eq_u32_e32 vcc_lo, 0, v71
	v_cndmask_b32_e64 v30, 1, 2, vcc_lo
	v_cmp_gt_u32_e32 vcc_lo, 0x100, v1
	v_and_b32_e32 v29, v29, v30
	s_delay_alu instid0(VALU_DEP_1)
	v_cmp_gt_i16_e64 s16, 2, v29
	s_cbranch_vccz .LBB1110_141
; %bb.135:
	s_delay_alu instid0(VALU_DEP_1)
	s_and_saveexec_b32 s17, s16
	s_cbranch_execz .LBB1110_140
; %bb.136:
	s_mov_b32 s18, 0
	s_mov_b32 s16, exec_lo
	v_cmpx_ne_u16_e32 1, v29
	s_xor_b32 s16, exec_lo, s16
	s_cbranch_execnz .LBB1110_173
; %bb.137:
	s_and_not1_saveexec_b32 s16, s16
	s_cbranch_execnz .LBB1110_189
.LBB1110_138:
	s_or_b32 exec_lo, exec_lo, s16
	s_delay_alu instid0(SALU_CYCLE_1)
	s_and_b32 exec_lo, exec_lo, s18
	s_cbranch_execz .LBB1110_140
.LBB1110_139:
	v_sub_nc_u32_e32 v30, v49, v3
	v_mov_b32_e32 v31, 0
	s_delay_alu instid0(VALU_DEP_1) | instskip(NEXT) | instid1(VALU_DEP_1)
	v_lshlrev_b64 v[30:31], 2, v[30:31]
	v_add_co_u32 v30, vcc_lo, v2, v30
	s_delay_alu instid0(VALU_DEP_2)
	v_add_co_ci_u32_e32 v31, vcc_lo, v4, v31, vcc_lo
	global_store_b32 v[30:31], v63, off
.LBB1110_140:
	s_or_b32 exec_lo, exec_lo, s17
	s_mov_b32 s17, 0
.LBB1110_141:
	s_delay_alu instid0(SALU_CYCLE_1)
	s_and_b32 vcc_lo, exec_lo, s17
	s_cbranch_vccz .LBB1110_151
; %bb.142:
	s_mov_b32 s16, exec_lo
	v_cmpx_gt_i16_e32 2, v29
	s_cbranch_execz .LBB1110_147
; %bb.143:
	s_mov_b32 s18, 0
	s_mov_b32 s17, exec_lo
	v_cmpx_ne_u16_e32 1, v29
	s_xor_b32 s17, exec_lo, s17
	s_cbranch_execnz .LBB1110_190
; %bb.144:
	s_and_not1_saveexec_b32 s0, s17
	s_cbranch_execnz .LBB1110_206
.LBB1110_145:
	s_or_b32 exec_lo, exec_lo, s0
	s_delay_alu instid0(SALU_CYCLE_1)
	s_and_b32 exec_lo, exec_lo, s18
	s_cbranch_execz .LBB1110_147
.LBB1110_146:
	v_sub_nc_u32_e32 v9, v49, v3
	s_delay_alu instid0(VALU_DEP_1)
	v_lshlrev_b32_e32 v9, 2, v9
	ds_store_b32 v9, v63
.LBB1110_147:
	s_or_b32 exec_lo, exec_lo, s16
	s_delay_alu instid0(SALU_CYCLE_1)
	s_mov_b32 s1, exec_lo
	s_waitcnt lgkmcnt(0)
	s_waitcnt_vscnt null, 0x0
	s_barrier
	buffer_gl0_inv
	v_cmpx_lt_u32_e64 v0, v1
	s_cbranch_execz .LBB1110_150
; %bb.148:
	v_dual_mov_b32 v10, 0 :: v_dual_lshlrev_b32 v11, 2, v0
	v_mov_b32_e32 v9, v0
	s_mov_b32 s3, 0
	.p2align	6
.LBB1110_149:                           ; =>This Inner Loop Header: Depth=1
	ds_load_b32 v14, v11
	v_lshlrev_b64 v[12:13], 2, v[9:10]
	v_add_nc_u32_e32 v9, 0x100, v9
	v_add_nc_u32_e32 v11, 0x400, v11
	s_delay_alu instid0(VALU_DEP_2) | instskip(NEXT) | instid1(VALU_DEP_4)
	v_cmp_ge_u32_e32 vcc_lo, v9, v1
	v_add_co_u32 v12, s0, v2, v12
	s_delay_alu instid0(VALU_DEP_1)
	v_add_co_ci_u32_e64 v13, s0, v4, v13, s0
	s_or_b32 s3, vcc_lo, s3
	s_waitcnt lgkmcnt(0)
	global_store_b32 v[12:13], v14, off
	s_and_not1_b32 exec_lo, exec_lo, s3
	s_cbranch_execnz .LBB1110_149
.LBB1110_150:
	s_or_b32 exec_lo, exec_lo, s1
.LBB1110_151:
	s_cmpk_lg_i32 s40, 0xf00
	v_cndmask_b32_e64 v4, 0, 1, s41
	s_cselect_b32 s0, -1, 0
	v_mad_i32_i24 v10, v0, -15, s40
	s_and_b32 s0, s0, s33
	s_and_b32 s1, s2, s41
	v_cndmask_b32_e64 v9, 0, 1, s0
	s_mul_hi_u32 s0, s40, 0x88888889
	v_sub_nc_u32_e32 v2, v1, v4
	s_lshr_b32 s0, s0, 3
	v_cndmask_b32_e64 v11, v78, 0, s1
	v_cmp_eq_u32_e32 vcc_lo, s0, v0
	v_cmp_ne_u32_e64 s0, 0, v10
	s_mov_b32 s16, -1
	s_waitcnt_vscnt null, 0x0
	s_barrier
	s_and_b32 vcc_lo, vcc_lo, s33
	v_add_nc_u32_e32 v2, v2, v9
	v_cndmask_b32_e64 v9, 1, v11, s0
	v_cmp_ne_u32_e64 s0, 1, v10
	buffer_gl0_inv
	v_cndmask_b32_e64 v12, 1, v77, s0
	v_cmp_ne_u32_e64 s0, 14, v10
	s_delay_alu instid0(VALU_DEP_2) | instskip(NEXT) | instid1(VALU_DEP_2)
	v_cndmask_b32_e32 v17, v77, v12, vcc_lo
	v_cndmask_b32_e64 v13, 1, v71, s0
	v_cmp_ne_u32_e64 s0, 2, v10
	s_delay_alu instid0(VALU_DEP_3) | instskip(NEXT) | instid1(VALU_DEP_3)
	v_cmp_ne_u32_e64 s13, 0, v17
	v_cndmask_b32_e32 v16, v71, v13, vcc_lo
	s_delay_alu instid0(VALU_DEP_3) | instskip(SKIP_1) | instid1(VALU_DEP_2)
	v_cndmask_b32_e64 v14, 1, v76, s0
	v_cmp_ne_u32_e64 s0, 3, v10
	v_dual_cndmask_b32 v13, v11, v9 :: v_dual_cndmask_b32 v14, v76, v14
	s_delay_alu instid0(VALU_DEP_2) | instskip(SKIP_1) | instid1(VALU_DEP_3)
	v_cndmask_b32_e64 v15, 1, v75, s0
	v_cmp_ne_u32_e64 s0, 4, v10
	v_cmp_ne_u32_e64 s14, 0, v13
	s_delay_alu instid0(VALU_DEP_4) | instskip(NEXT) | instid1(VALU_DEP_3)
	v_cmp_ne_u32_e64 s12, 0, v14
	v_cndmask_b32_e64 v9, 1, v74, s0
	v_cmp_ne_u32_e64 s0, 5, v10
	s_delay_alu instid0(VALU_DEP_1) | instskip(SKIP_1) | instid1(VALU_DEP_2)
	v_cndmask_b32_e64 v11, 1, v73, s0
	v_cmp_eq_u32_e64 s0, 0, v13
	v_cndmask_b32_e32 v29, v73, v11, vcc_lo
	s_delay_alu instid0(VALU_DEP_2) | instskip(SKIP_1) | instid1(VALU_DEP_3)
	v_cndmask_b32_e64 v12, 1, 2, s0
	v_cmp_eq_u32_e64 s0, 0, v17
	v_cmp_ne_u32_e64 s9, 0, v29
	s_delay_alu instid0(VALU_DEP_2) | instskip(SKIP_1) | instid1(VALU_DEP_2)
	v_cndmask_b32_e64 v18, 1, 2, s0
	v_cmp_ne_u32_e64 s0, 6, v10
	v_dual_cndmask_b32 v15, v75, v15 :: v_dual_and_b32 v12, v18, v12
	s_delay_alu instid0(VALU_DEP_2) | instskip(SKIP_1) | instid1(VALU_DEP_3)
	v_cndmask_b32_e64 v19, 1, v72, s0
	v_cmp_eq_u32_e64 s0, 0, v14
	v_cmp_ne_u32_e64 s11, 0, v15
	s_delay_alu instid0(VALU_DEP_2) | instskip(SKIP_1) | instid1(VALU_DEP_1)
	v_cndmask_b32_e64 v18, 1, 2, s0
	v_cmp_ne_u32_e64 s0, 7, v10
	v_cndmask_b32_e64 v20, 1, v70, s0
	v_cmp_ne_u32_e64 s0, 8, v10
	s_delay_alu instid0(VALU_DEP_2) | instskip(NEXT) | instid1(VALU_DEP_2)
	v_dual_cndmask_b32 v19, v72, v19 :: v_dual_cndmask_b32 v20, v70, v20
	v_cndmask_b32_e64 v21, 1, v69, s0
	v_cmp_eq_u32_e64 s0, 0, v15
	v_and_b32_e32 v12, v12, v18
	s_delay_alu instid0(VALU_DEP_4)
	v_cmp_ne_u32_e64 s8, 0, v19
	v_cmp_ne_u32_e64 s7, 0, v20
	v_cndmask_b32_e32 v21, v69, v21, vcc_lo
	v_cndmask_b32_e64 v18, 1, 2, s0
	v_cndmask_b32_e32 v22, v74, v9, vcc_lo
	v_cmp_ne_u32_e64 s0, 9, v10
	s_delay_alu instid0(VALU_DEP_4) | instskip(NEXT) | instid1(VALU_DEP_4)
	v_cmp_ne_u32_e64 s6, 0, v21
	v_and_b32_e32 v11, v12, v18
	s_delay_alu instid0(VALU_DEP_4) | instskip(NEXT) | instid1(VALU_DEP_4)
	v_cmp_ne_u32_e64 s10, 0, v22
	v_cndmask_b32_e64 v9, 1, v68, s0
	v_cmp_eq_u32_e64 s0, 0, v22
	s_delay_alu instid0(VALU_DEP_2) | instskip(NEXT) | instid1(VALU_DEP_2)
	v_cndmask_b32_e32 v33, v68, v9, vcc_lo
	v_cndmask_b32_e64 v12, 1, 2, s0
	v_cmp_ne_u32_e64 s0, 10, v10
	s_delay_alu instid0(VALU_DEP_1) | instskip(SKIP_1) | instid1(VALU_DEP_2)
	v_cndmask_b32_e64 v18, 1, v67, s0
	v_cmp_ne_u32_e64 s0, 12, v10
	v_cndmask_b32_e32 v18, v67, v18, vcc_lo
	s_delay_alu instid0(VALU_DEP_2) | instskip(SKIP_2) | instid1(VALU_DEP_4)
	v_cndmask_b32_e64 v30, 1, v65, s0
	v_cmp_eq_u32_e64 s0, 0, v29
	v_and_b32_e32 v11, v11, v12
	v_cmp_ne_u32_e64 s4, 0, v18
	s_delay_alu instid0(VALU_DEP_4) | instskip(NEXT) | instid1(VALU_DEP_4)
	v_cndmask_b32_e32 v30, v65, v30, vcc_lo
	v_cndmask_b32_e64 v12, 1, 2, s0
	v_cmp_ne_u32_e64 s0, 13, v10
	s_delay_alu instid0(VALU_DEP_3) | instskip(NEXT) | instid1(VALU_DEP_3)
	v_cmp_ne_u32_e64 s2, 0, v30
	v_and_b32_e32 v11, v11, v12
	s_delay_alu instid0(VALU_DEP_3) | instskip(SKIP_1) | instid1(VALU_DEP_2)
	v_cndmask_b32_e64 v31, 1, v64, s0
	v_cmp_eq_u32_e64 s0, 0, v19
	v_cndmask_b32_e32 v31, v64, v31, vcc_lo
	s_delay_alu instid0(VALU_DEP_2) | instskip(SKIP_1) | instid1(VALU_DEP_3)
	v_cndmask_b32_e64 v12, 1, 2, s0
	v_cmp_ne_u32_e64 s0, 11, v10
	v_cmp_ne_u32_e64 s1, 0, v31
	s_delay_alu instid0(VALU_DEP_2) | instskip(SKIP_1) | instid1(VALU_DEP_2)
	v_cndmask_b32_e64 v10, 1, v66, s0
	v_cmp_eq_u32_e64 s0, 0, v20
	v_dual_cndmask_b32 v32, v66, v10 :: v_dual_and_b32 v11, v11, v12
	s_delay_alu instid0(VALU_DEP_2) | instskip(SKIP_2) | instid1(VALU_DEP_4)
	v_cndmask_b32_e64 v12, 1, 2, s0
	v_cmp_eq_u32_e32 vcc_lo, 0, v21
	v_cmp_ne_u32_e64 s0, 0, v16
	v_cmp_ne_u32_e64 s3, 0, v32
	s_delay_alu instid0(VALU_DEP_4) | instskip(SKIP_4) | instid1(VALU_DEP_4)
	v_and_b32_e32 v9, v11, v12
	v_cndmask_b32_e64 v10, 1, 2, vcc_lo
	v_add_co_u32 v11, vcc_lo, s28, v25
	v_add_co_ci_u32_e32 v12, vcc_lo, s29, v26, vcc_lo
	v_cmp_eq_u32_e32 vcc_lo, 0, v33
	v_and_b32_e32 v25, v9, v10
	v_cndmask_b32_e64 v26, 1, 2, vcc_lo
	v_add_co_u32 v9, vcc_lo, v11, v27
	v_add_co_ci_u32_e32 v10, vcc_lo, v12, v28, vcc_lo
	v_lshlrev_b32_e32 v11, 2, v4
	v_cmp_eq_u32_e32 vcc_lo, 0, v18
	v_and_b32_e32 v12, v25, v26
	v_add_nc_u32_e32 v4, v3, v4
	v_cmp_ne_u32_e64 s5, 0, v33
	v_cndmask_b32_e64 v25, 1, 2, vcc_lo
	v_add_co_u32 v11, vcc_lo, v11, v9
	v_add_co_ci_u32_e32 v26, vcc_lo, 0, v10, vcc_lo
	v_cmp_eq_u32_e32 vcc_lo, 0, v32
	s_delay_alu instid0(VALU_DEP_4) | instskip(SKIP_4) | instid1(VALU_DEP_4)
	v_and_b32_e32 v25, v12, v25
	v_cndmask_b32_e64 v27, 1, 2, vcc_lo
	v_add_co_u32 v11, vcc_lo, v11, -4
	v_add_co_ci_u32_e32 v12, vcc_lo, -1, v26, vcc_lo
	v_cmp_eq_u32_e32 vcc_lo, 0, v30
	v_and_b32_e32 v25, v25, v27
	v_cndmask_b32_e64 v26, 1, 2, vcc_lo
	v_cmp_eq_u32_e32 vcc_lo, 0, v31
	s_delay_alu instid0(VALU_DEP_2) | instskip(SKIP_2) | instid1(VALU_DEP_2)
	v_and_b32_e32 v13, v25, v26
	v_cndmask_b32_e64 v14, 1, 2, vcc_lo
	v_cmp_eq_u32_e32 vcc_lo, 0, v16
	v_and_b32_e32 v13, v13, v14
	v_cndmask_b32_e64 v14, 1, 2, vcc_lo
	v_cmp_gt_u32_e32 vcc_lo, 0x100, v2
	s_delay_alu instid0(VALU_DEP_2) | instskip(NEXT) | instid1(VALU_DEP_1)
	v_and_b32_e32 v13, v13, v14
	v_cmp_gt_i16_e64 s15, 2, v13
	s_cbranch_vccnz .LBB1110_155
; %bb.152:
	s_and_b32 vcc_lo, exec_lo, s16
	s_cbranch_vccnz .LBB1110_161
.LBB1110_153:
	v_cmp_eq_u32_e32 vcc_lo, 0xff, v0
	s_and_b32 s0, vcc_lo, s33
	s_delay_alu instid0(SALU_CYCLE_1)
	s_and_saveexec_b32 s1, s0
	s_cbranch_execnz .LBB1110_170
.LBB1110_154:
	s_nop 0
	s_sendmsg sendmsg(MSG_DEALLOC_VGPRS)
	s_endpgm
.LBB1110_155:
	s_delay_alu instid0(VALU_DEP_1)
	s_and_saveexec_b32 s16, s15
	s_cbranch_execz .LBB1110_160
; %bb.156:
	s_mov_b32 s17, 0
	s_mov_b32 s15, exec_lo
	v_cmpx_ne_u16_e32 1, v13
	s_xor_b32 s15, exec_lo, s15
	s_cbranch_execnz .LBB1110_207
; %bb.157:
	s_and_not1_saveexec_b32 s15, s15
	s_cbranch_execnz .LBB1110_223
.LBB1110_158:
	s_or_b32 exec_lo, exec_lo, s15
	s_delay_alu instid0(SALU_CYCLE_1)
	s_and_b32 exec_lo, exec_lo, s17
	s_cbranch_execz .LBB1110_160
.LBB1110_159:
	v_sub_nc_u32_e32 v14, v49, v4
	v_mov_b32_e32 v15, 0
	s_delay_alu instid0(VALU_DEP_1) | instskip(NEXT) | instid1(VALU_DEP_1)
	v_lshlrev_b64 v[14:15], 2, v[14:15]
	v_add_co_u32 v14, vcc_lo, v11, v14
	s_delay_alu instid0(VALU_DEP_2)
	v_add_co_ci_u32_e32 v15, vcc_lo, v12, v15, vcc_lo
	global_store_b32 v[14:15], v50, off
.LBB1110_160:
	s_or_b32 exec_lo, exec_lo, s16
	s_branch .LBB1110_153
.LBB1110_161:
	s_mov_b32 s15, exec_lo
	v_cmpx_gt_i16_e32 2, v13
	s_cbranch_execz .LBB1110_166
; %bb.162:
	s_mov_b32 s17, 0
	s_mov_b32 s16, exec_lo
	v_cmpx_ne_u16_e32 1, v13
	s_xor_b32 s16, exec_lo, s16
	s_cbranch_execnz .LBB1110_224
; %bb.163:
	s_and_not1_saveexec_b32 s0, s16
	s_cbranch_execnz .LBB1110_240
.LBB1110_164:
	s_or_b32 exec_lo, exec_lo, s0
	s_delay_alu instid0(SALU_CYCLE_1)
	s_and_b32 exec_lo, exec_lo, s17
	s_cbranch_execz .LBB1110_166
.LBB1110_165:
	v_sub_nc_u32_e32 v4, v49, v4
	s_delay_alu instid0(VALU_DEP_1)
	v_lshlrev_b32_e32 v4, 2, v4
	ds_store_b32 v4, v50
.LBB1110_166:
	s_or_b32 exec_lo, exec_lo, s15
	s_delay_alu instid0(SALU_CYCLE_1)
	s_mov_b32 s1, exec_lo
	s_waitcnt lgkmcnt(0)
	s_waitcnt_vscnt null, 0x0
	s_barrier
	buffer_gl0_inv
	v_cmpx_lt_u32_e64 v0, v2
	s_cbranch_execz .LBB1110_169
; %bb.167:
	v_dual_mov_b32 v5, 0 :: v_dual_lshlrev_b32 v6, 2, v0
	v_mov_b32_e32 v4, v0
	s_mov_b32 s2, 0
	.p2align	6
.LBB1110_168:                           ; =>This Inner Loop Header: Depth=1
	ds_load_b32 v13, v6
	v_lshlrev_b64 v[7:8], 2, v[4:5]
	v_add_nc_u32_e32 v4, 0x100, v4
	v_add_nc_u32_e32 v6, 0x400, v6
	s_delay_alu instid0(VALU_DEP_2) | instskip(NEXT) | instid1(VALU_DEP_4)
	v_cmp_ge_u32_e32 vcc_lo, v4, v2
	v_add_co_u32 v7, s0, v11, v7
	s_delay_alu instid0(VALU_DEP_1)
	v_add_co_ci_u32_e64 v8, s0, v12, v8, s0
	s_or_b32 s2, vcc_lo, s2
	s_waitcnt lgkmcnt(0)
	global_store_b32 v[7:8], v13, off
	s_and_not1_b32 exec_lo, exec_lo, s2
	s_cbranch_execnz .LBB1110_168
.LBB1110_169:
	s_or_b32 exec_lo, exec_lo, s1
	v_cmp_eq_u32_e32 vcc_lo, 0xff, v0
	s_and_b32 s0, vcc_lo, s33
	s_delay_alu instid0(SALU_CYCLE_1)
	s_and_saveexec_b32 s1, s0
	s_cbranch_execz .LBB1110_154
.LBB1110_170:
	v_add_co_u32 v0, s0, v1, v3
	s_delay_alu instid0(VALU_DEP_1) | instskip(SKIP_1) | instid1(VALU_DEP_3)
	v_add_co_ci_u32_e64 v4, null, 0, 0, s0
	v_mov_b32_e32 v2, 0
	v_add_co_u32 v3, vcc_lo, v0, v23
	s_delay_alu instid0(VALU_DEP_3)
	v_add_co_ci_u32_e32 v4, vcc_lo, v4, v24, vcc_lo
	s_cmpk_lg_i32 s40, 0xf00
	global_store_b64 v2, v[3:4], s[30:31]
	s_cbranch_scc1 .LBB1110_154
; %bb.171:
	v_lshlrev_b64 v[0:1], 2, v[1:2]
	s_delay_alu instid0(VALU_DEP_1) | instskip(NEXT) | instid1(VALU_DEP_2)
	v_add_co_u32 v0, vcc_lo, v9, v0
	v_add_co_ci_u32_e32 v1, vcc_lo, v10, v1, vcc_lo
	global_store_b32 v[0:1], v80, off offset:-4
	s_nop 0
	s_sendmsg sendmsg(MSG_DEALLOC_VGPRS)
	s_endpgm
.LBB1110_172:
	s_or_b32 exec_lo, exec_lo, s4
	v_mov_b32_e32 v78, s1
	s_and_saveexec_b32 s1, s42
	s_cbranch_execnz .LBB1110_88
	s_branch .LBB1110_89
.LBB1110_173:
	s_and_saveexec_b32 s18, s15
	s_cbranch_execnz .LBB1110_241
; %bb.174:
	s_or_b32 exec_lo, exec_lo, s18
	s_and_saveexec_b32 s18, s14
	s_cbranch_execnz .LBB1110_242
.LBB1110_175:
	s_or_b32 exec_lo, exec_lo, s18
	s_and_saveexec_b32 s18, s13
	s_cbranch_execnz .LBB1110_243
.LBB1110_176:
	s_or_b32 exec_lo, exec_lo, s18
	s_and_saveexec_b32 s18, s12
	s_cbranch_execnz .LBB1110_244
.LBB1110_177:
	s_or_b32 exec_lo, exec_lo, s18
	s_and_saveexec_b32 s18, s11
	s_cbranch_execnz .LBB1110_245
.LBB1110_178:
	s_or_b32 exec_lo, exec_lo, s18
	s_and_saveexec_b32 s18, s10
	s_cbranch_execnz .LBB1110_246
.LBB1110_179:
	s_or_b32 exec_lo, exec_lo, s18
	s_and_saveexec_b32 s18, s8
	s_cbranch_execnz .LBB1110_247
.LBB1110_180:
	s_or_b32 exec_lo, exec_lo, s18
	s_and_saveexec_b32 s18, s6
	s_cbranch_execnz .LBB1110_248
.LBB1110_181:
	s_or_b32 exec_lo, exec_lo, s18
	s_and_saveexec_b32 s18, s9
	s_cbranch_execnz .LBB1110_249
.LBB1110_182:
	s_or_b32 exec_lo, exec_lo, s18
	s_and_saveexec_b32 s18, s7
	s_cbranch_execnz .LBB1110_250
.LBB1110_183:
	s_or_b32 exec_lo, exec_lo, s18
	s_and_saveexec_b32 s18, s5
	s_cbranch_execnz .LBB1110_251
.LBB1110_184:
	s_or_b32 exec_lo, exec_lo, s18
	s_and_saveexec_b32 s18, s4
	s_cbranch_execnz .LBB1110_252
.LBB1110_185:
	s_or_b32 exec_lo, exec_lo, s18
	s_and_saveexec_b32 s18, s3
	s_cbranch_execnz .LBB1110_253
.LBB1110_186:
	s_or_b32 exec_lo, exec_lo, s18
	s_and_saveexec_b32 s18, s1
	s_cbranch_execz .LBB1110_188
.LBB1110_187:
	v_sub_nc_u32_e32 v30, v57, v3
	v_mov_b32_e32 v31, 0
	s_delay_alu instid0(VALU_DEP_1) | instskip(NEXT) | instid1(VALU_DEP_1)
	v_lshlrev_b64 v[30:31], 2, v[30:31]
	v_add_co_u32 v30, vcc_lo, v2, v30
	s_delay_alu instid0(VALU_DEP_2)
	v_add_co_ci_u32_e32 v31, vcc_lo, v4, v31, vcc_lo
	global_store_b32 v[30:31], v10, off
.LBB1110_188:
	s_or_b32 exec_lo, exec_lo, s18
	s_delay_alu instid0(SALU_CYCLE_1)
	s_and_b32 s18, s0, exec_lo
	s_and_not1_saveexec_b32 s16, s16
	s_cbranch_execz .LBB1110_138
.LBB1110_189:
	v_sub_nc_u32_e32 v30, v53, v3
	v_mov_b32_e32 v31, 0
	s_or_b32 s18, s18, exec_lo
	s_delay_alu instid0(VALU_DEP_1) | instskip(SKIP_1) | instid1(VALU_DEP_1)
	v_lshlrev_b64 v[32:33], 2, v[30:31]
	v_sub_nc_u32_e32 v30, v59, v3
	v_lshlrev_b64 v[34:35], 2, v[30:31]
	v_sub_nc_u32_e32 v30, v55, v3
	s_delay_alu instid0(VALU_DEP_4) | instskip(SKIP_1) | instid1(VALU_DEP_3)
	v_add_co_u32 v32, vcc_lo, v2, v32
	v_add_co_ci_u32_e32 v33, vcc_lo, v4, v33, vcc_lo
	v_lshlrev_b64 v[81:82], 2, v[30:31]
	v_sub_nc_u32_e32 v30, v51, v3
	v_add_co_u32 v34, vcc_lo, v2, v34
	v_add_co_ci_u32_e32 v35, vcc_lo, v4, v35, vcc_lo
	global_store_b32 v[32:33], v21, off
	v_lshlrev_b64 v[32:33], 2, v[30:31]
	v_sub_nc_u32_e32 v30, v45, v3
	global_store_b32 v[34:35], v22, off
	v_add_co_u32 v34, vcc_lo, v2, v81
	v_add_co_ci_u32_e32 v35, vcc_lo, v4, v82, vcc_lo
	v_lshlrev_b64 v[81:82], 2, v[30:31]
	v_sub_nc_u32_e32 v30, v41, v3
	v_add_co_u32 v32, vcc_lo, v2, v32
	v_add_co_ci_u32_e32 v33, vcc_lo, v4, v33, vcc_lo
	s_delay_alu instid0(VALU_DEP_3) | instskip(SKIP_3) | instid1(VALU_DEP_3)
	v_lshlrev_b64 v[83:84], 2, v[30:31]
	v_sub_nc_u32_e32 v30, v39, v3
	v_add_co_u32 v81, vcc_lo, v2, v81
	v_add_co_ci_u32_e32 v82, vcc_lo, v4, v82, vcc_lo
	v_lshlrev_b64 v[85:86], 2, v[30:31]
	v_sub_nc_u32_e32 v30, v43, v3
	v_add_co_u32 v83, vcc_lo, v2, v83
	v_add_co_ci_u32_e32 v84, vcc_lo, v4, v84, vcc_lo
	s_clause 0x3
	global_store_b32 v[34:35], v19, off
	global_store_b32 v[32:33], v20, off
	;; [unrolled: 1-line block ×4, first 2 shown]
	v_lshlrev_b64 v[32:33], 2, v[30:31]
	v_sub_nc_u32_e32 v30, v47, v3
	v_add_co_u32 v34, vcc_lo, v2, v85
	v_add_co_ci_u32_e32 v35, vcc_lo, v4, v86, vcc_lo
	s_delay_alu instid0(VALU_DEP_3) | instskip(SKIP_3) | instid1(VALU_DEP_3)
	v_lshlrev_b64 v[81:82], 2, v[30:31]
	v_sub_nc_u32_e32 v30, v5, v3
	v_add_co_u32 v32, vcc_lo, v2, v32
	v_add_co_ci_u32_e32 v33, vcc_lo, v4, v33, vcc_lo
	v_lshlrev_b64 v[83:84], 2, v[30:31]
	v_sub_nc_u32_e32 v30, v7, v3
	v_add_co_u32 v81, vcc_lo, v2, v81
	v_add_co_ci_u32_e32 v82, vcc_lo, v4, v82, vcc_lo
	s_delay_alu instid0(VALU_DEP_3)
	v_lshlrev_b64 v[85:86], 2, v[30:31]
	v_sub_nc_u32_e32 v30, v37, v3
	v_add_co_u32 v83, vcc_lo, v2, v83
	v_add_co_ci_u32_e32 v84, vcc_lo, v4, v84, vcc_lo
	s_clause 0x3
	global_store_b32 v[34:35], v15, off
	global_store_b32 v[32:33], v16, off
	;; [unrolled: 1-line block ×4, first 2 shown]
	v_lshlrev_b64 v[32:33], 2, v[30:31]
	v_sub_nc_u32_e32 v30, v61, v3
	v_add_co_u32 v34, vcc_lo, v2, v85
	v_add_co_ci_u32_e32 v35, vcc_lo, v4, v86, vcc_lo
	s_delay_alu instid0(VALU_DEP_3) | instskip(SKIP_3) | instid1(VALU_DEP_3)
	v_lshlrev_b64 v[81:82], 2, v[30:31]
	v_sub_nc_u32_e32 v30, v57, v3
	v_add_co_u32 v32, vcc_lo, v2, v32
	v_add_co_ci_u32_e32 v33, vcc_lo, v4, v33, vcc_lo
	v_lshlrev_b64 v[30:31], 2, v[30:31]
	v_add_co_u32 v81, vcc_lo, v2, v81
	v_add_co_ci_u32_e32 v82, vcc_lo, v4, v82, vcc_lo
	s_clause 0x2
	global_store_b32 v[34:35], v11, off
	global_store_b32 v[32:33], v12, off
	global_store_b32 v[81:82], v9, off
	v_add_co_u32 v30, vcc_lo, v2, v30
	v_add_co_ci_u32_e32 v31, vcc_lo, v4, v31, vcc_lo
	global_store_b32 v[30:31], v10, off
	s_or_b32 exec_lo, exec_lo, s16
	s_delay_alu instid0(SALU_CYCLE_1)
	s_and_b32 exec_lo, exec_lo, s18
	s_cbranch_execnz .LBB1110_139
	s_branch .LBB1110_140
.LBB1110_190:
	s_and_saveexec_b32 s18, s15
	s_cbranch_execnz .LBB1110_254
; %bb.191:
	s_or_b32 exec_lo, exec_lo, s18
	s_and_saveexec_b32 s15, s14
	s_cbranch_execnz .LBB1110_255
.LBB1110_192:
	s_or_b32 exec_lo, exec_lo, s15
	s_and_saveexec_b32 s14, s13
	s_cbranch_execnz .LBB1110_256
.LBB1110_193:
	s_or_b32 exec_lo, exec_lo, s14
	s_and_saveexec_b32 s13, s12
	s_cbranch_execnz .LBB1110_257
.LBB1110_194:
	s_or_b32 exec_lo, exec_lo, s13
	s_and_saveexec_b32 s12, s11
	s_cbranch_execnz .LBB1110_258
.LBB1110_195:
	s_or_b32 exec_lo, exec_lo, s12
	s_and_saveexec_b32 s11, s10
	s_cbranch_execnz .LBB1110_259
.LBB1110_196:
	s_or_b32 exec_lo, exec_lo, s11
	s_and_saveexec_b32 s10, s8
	s_cbranch_execnz .LBB1110_260
.LBB1110_197:
	s_or_b32 exec_lo, exec_lo, s10
	s_and_saveexec_b32 s8, s6
	s_cbranch_execnz .LBB1110_261
.LBB1110_198:
	s_or_b32 exec_lo, exec_lo, s8
	s_and_saveexec_b32 s6, s9
	s_cbranch_execnz .LBB1110_262
.LBB1110_199:
	s_or_b32 exec_lo, exec_lo, s6
	s_and_saveexec_b32 s6, s7
	s_cbranch_execnz .LBB1110_263
.LBB1110_200:
	s_or_b32 exec_lo, exec_lo, s6
	s_and_saveexec_b32 s6, s5
	s_cbranch_execnz .LBB1110_264
.LBB1110_201:
	s_or_b32 exec_lo, exec_lo, s6
	s_and_saveexec_b32 s5, s4
	s_cbranch_execnz .LBB1110_265
.LBB1110_202:
	s_or_b32 exec_lo, exec_lo, s5
	s_and_saveexec_b32 s4, s3
	s_cbranch_execnz .LBB1110_266
.LBB1110_203:
	s_or_b32 exec_lo, exec_lo, s4
	s_and_saveexec_b32 s3, s1
	s_cbranch_execz .LBB1110_205
.LBB1110_204:
	v_sub_nc_u32_e32 v9, v57, v3
	s_delay_alu instid0(VALU_DEP_1)
	v_lshlrev_b32_e32 v9, 2, v9
	ds_store_b32 v9, v10
.LBB1110_205:
	s_or_b32 exec_lo, exec_lo, s3
	s_delay_alu instid0(SALU_CYCLE_1)
	s_and_b32 s18, s0, exec_lo
                                        ; implicit-def: $vgpr21
                                        ; implicit-def: $vgpr19
                                        ; implicit-def: $vgpr17
                                        ; implicit-def: $vgpr15
                                        ; implicit-def: $vgpr13
                                        ; implicit-def: $vgpr11
                                        ; implicit-def: $vgpr9
	s_and_not1_saveexec_b32 s0, s17
	s_cbranch_execz .LBB1110_145
.LBB1110_206:
	v_sub_nc_u32_e32 v29, v53, v3
	v_sub_nc_u32_e32 v32, v51, v3
	;; [unrolled: 1-line block ×4, first 2 shown]
	s_or_b32 s18, s18, exec_lo
	v_lshlrev_b32_e32 v29, 2, v29
	v_lshlrev_b32_e32 v32, 2, v32
	;; [unrolled: 1-line block ×4, first 2 shown]
	ds_store_b32 v29, v21
	ds_store_b32 v30, v22
	;; [unrolled: 1-line block ×3, first 2 shown]
	v_sub_nc_u32_e32 v19, v45, v3
	ds_store_b32 v32, v20
	v_sub_nc_u32_e32 v20, v41, v3
	v_sub_nc_u32_e32 v21, v39, v3
	;; [unrolled: 1-line block ×3, first 2 shown]
	v_lshlrev_b32_e32 v19, 2, v19
	v_sub_nc_u32_e32 v29, v47, v3
	v_lshlrev_b32_e32 v20, 2, v20
	v_lshlrev_b32_e32 v21, 2, v21
	;; [unrolled: 1-line block ×3, first 2 shown]
	ds_store_b32 v19, v17
	v_lshlrev_b32_e32 v17, 2, v29
	ds_store_b32 v20, v18
	ds_store_b32 v21, v15
	;; [unrolled: 1-line block ×3, first 2 shown]
	v_sub_nc_u32_e32 v15, v5, v3
	v_sub_nc_u32_e32 v18, v57, v3
	;; [unrolled: 1-line block ×3, first 2 shown]
	ds_store_b32 v17, v13
	v_sub_nc_u32_e32 v13, v7, v3
	v_lshlrev_b32_e32 v15, 2, v15
	v_sub_nc_u32_e32 v17, v61, v3
	v_lshlrev_b32_e32 v16, 2, v16
	s_delay_alu instid0(VALU_DEP_4)
	v_lshlrev_b32_e32 v13, 2, v13
	ds_store_b32 v15, v14
	v_lshlrev_b32_e32 v14, 2, v18
	v_lshlrev_b32_e32 v17, 2, v17
	ds_store_b32 v13, v11
	ds_store_b32 v16, v12
	;; [unrolled: 1-line block ×4, first 2 shown]
	s_or_b32 exec_lo, exec_lo, s0
	s_delay_alu instid0(SALU_CYCLE_1)
	s_and_b32 exec_lo, exec_lo, s18
	s_cbranch_execnz .LBB1110_146
	s_branch .LBB1110_147
.LBB1110_207:
	s_and_saveexec_b32 s17, s14
	s_cbranch_execnz .LBB1110_267
; %bb.208:
	s_or_b32 exec_lo, exec_lo, s17
	s_and_saveexec_b32 s17, s13
	s_cbranch_execnz .LBB1110_268
.LBB1110_209:
	s_or_b32 exec_lo, exec_lo, s17
	s_and_saveexec_b32 s17, s12
	s_cbranch_execnz .LBB1110_269
.LBB1110_210:
	s_or_b32 exec_lo, exec_lo, s17
	s_and_saveexec_b32 s17, s11
	s_cbranch_execnz .LBB1110_270
.LBB1110_211:
	s_or_b32 exec_lo, exec_lo, s17
	s_and_saveexec_b32 s17, s10
	s_cbranch_execnz .LBB1110_271
.LBB1110_212:
	s_or_b32 exec_lo, exec_lo, s17
	s_and_saveexec_b32 s17, s9
	s_cbranch_execnz .LBB1110_272
.LBB1110_213:
	s_or_b32 exec_lo, exec_lo, s17
	s_and_saveexec_b32 s17, s8
	s_cbranch_execnz .LBB1110_273
.LBB1110_214:
	s_or_b32 exec_lo, exec_lo, s17
	s_and_saveexec_b32 s17, s7
	s_cbranch_execnz .LBB1110_274
.LBB1110_215:
	s_or_b32 exec_lo, exec_lo, s17
	s_and_saveexec_b32 s17, s6
	s_cbranch_execnz .LBB1110_275
.LBB1110_216:
	s_or_b32 exec_lo, exec_lo, s17
	s_and_saveexec_b32 s17, s5
	s_cbranch_execnz .LBB1110_276
.LBB1110_217:
	s_or_b32 exec_lo, exec_lo, s17
	s_and_saveexec_b32 s17, s4
	s_cbranch_execnz .LBB1110_277
.LBB1110_218:
	s_or_b32 exec_lo, exec_lo, s17
	s_and_saveexec_b32 s17, s3
	s_cbranch_execnz .LBB1110_278
.LBB1110_219:
	s_or_b32 exec_lo, exec_lo, s17
	s_and_saveexec_b32 s17, s2
	s_cbranch_execnz .LBB1110_279
.LBB1110_220:
	s_or_b32 exec_lo, exec_lo, s17
	s_and_saveexec_b32 s17, s1
	s_cbranch_execz .LBB1110_222
.LBB1110_221:
	v_sub_nc_u32_e32 v14, v57, v4
	v_mov_b32_e32 v15, 0
	s_delay_alu instid0(VALU_DEP_1) | instskip(NEXT) | instid1(VALU_DEP_1)
	v_lshlrev_b64 v[14:15], 2, v[14:15]
	v_add_co_u32 v14, vcc_lo, v11, v14
	s_delay_alu instid0(VALU_DEP_2)
	v_add_co_ci_u32_e32 v15, vcc_lo, v12, v15, vcc_lo
	global_store_b32 v[14:15], v58, off
.LBB1110_222:
	s_or_b32 exec_lo, exec_lo, s17
	s_delay_alu instid0(SALU_CYCLE_1)
	s_and_b32 s17, s0, exec_lo
	s_and_not1_saveexec_b32 s15, s15
	s_cbranch_execz .LBB1110_158
.LBB1110_223:
	v_sub_nc_u32_e32 v14, v53, v4
	v_mov_b32_e32 v15, 0
	s_or_b32 s17, s17, exec_lo
	s_delay_alu instid0(VALU_DEP_1) | instskip(SKIP_1) | instid1(VALU_DEP_1)
	v_lshlrev_b64 v[16:17], 2, v[14:15]
	v_sub_nc_u32_e32 v14, v59, v4
	v_lshlrev_b64 v[18:19], 2, v[14:15]
	v_sub_nc_u32_e32 v14, v55, v4
	s_delay_alu instid0(VALU_DEP_4) | instskip(SKIP_1) | instid1(VALU_DEP_3)
	v_add_co_u32 v16, vcc_lo, v11, v16
	v_add_co_ci_u32_e32 v17, vcc_lo, v12, v17, vcc_lo
	v_lshlrev_b64 v[20:21], 2, v[14:15]
	v_sub_nc_u32_e32 v14, v51, v4
	v_add_co_u32 v18, vcc_lo, v11, v18
	v_add_co_ci_u32_e32 v19, vcc_lo, v12, v19, vcc_lo
	global_store_b32 v[16:17], v54, off
	v_lshlrev_b64 v[16:17], 2, v[14:15]
	v_sub_nc_u32_e32 v14, v45, v4
	global_store_b32 v[18:19], v60, off
	v_add_co_u32 v18, vcc_lo, v11, v20
	v_add_co_ci_u32_e32 v19, vcc_lo, v12, v21, vcc_lo
	v_lshlrev_b64 v[20:21], 2, v[14:15]
	v_sub_nc_u32_e32 v14, v41, v4
	v_add_co_u32 v16, vcc_lo, v11, v16
	v_add_co_ci_u32_e32 v17, vcc_lo, v12, v17, vcc_lo
	s_delay_alu instid0(VALU_DEP_3) | instskip(SKIP_3) | instid1(VALU_DEP_3)
	v_lshlrev_b64 v[25:26], 2, v[14:15]
	v_sub_nc_u32_e32 v14, v39, v4
	v_add_co_u32 v20, vcc_lo, v11, v20
	v_add_co_ci_u32_e32 v21, vcc_lo, v12, v21, vcc_lo
	v_lshlrev_b64 v[27:28], 2, v[14:15]
	v_sub_nc_u32_e32 v14, v43, v4
	v_add_co_u32 v25, vcc_lo, v11, v25
	v_add_co_ci_u32_e32 v26, vcc_lo, v12, v26, vcc_lo
	s_clause 0x3
	global_store_b32 v[18:19], v56, off
	global_store_b32 v[16:17], v52, off
	;; [unrolled: 1-line block ×4, first 2 shown]
	v_lshlrev_b64 v[16:17], 2, v[14:15]
	v_sub_nc_u32_e32 v14, v47, v4
	v_add_co_u32 v18, vcc_lo, v11, v27
	v_add_co_ci_u32_e32 v19, vcc_lo, v12, v28, vcc_lo
	s_delay_alu instid0(VALU_DEP_3) | instskip(SKIP_3) | instid1(VALU_DEP_3)
	v_lshlrev_b64 v[20:21], 2, v[14:15]
	v_sub_nc_u32_e32 v14, v5, v4
	v_add_co_u32 v16, vcc_lo, v11, v16
	v_add_co_ci_u32_e32 v17, vcc_lo, v12, v17, vcc_lo
	v_lshlrev_b64 v[25:26], 2, v[14:15]
	v_sub_nc_u32_e32 v14, v7, v4
	v_add_co_u32 v20, vcc_lo, v11, v20
	v_add_co_ci_u32_e32 v21, vcc_lo, v12, v21, vcc_lo
	s_delay_alu instid0(VALU_DEP_3)
	v_lshlrev_b64 v[27:28], 2, v[14:15]
	v_sub_nc_u32_e32 v14, v37, v4
	v_add_co_u32 v25, vcc_lo, v11, v25
	v_add_co_ci_u32_e32 v26, vcc_lo, v12, v26, vcc_lo
	s_clause 0x3
	global_store_b32 v[18:19], v40, off
	global_store_b32 v[16:17], v44, off
	;; [unrolled: 1-line block ×4, first 2 shown]
	v_lshlrev_b64 v[16:17], 2, v[14:15]
	v_sub_nc_u32_e32 v14, v61, v4
	v_add_co_u32 v18, vcc_lo, v11, v27
	v_add_co_ci_u32_e32 v19, vcc_lo, v12, v28, vcc_lo
	s_delay_alu instid0(VALU_DEP_3) | instskip(SKIP_3) | instid1(VALU_DEP_3)
	v_lshlrev_b64 v[20:21], 2, v[14:15]
	v_sub_nc_u32_e32 v14, v57, v4
	v_add_co_u32 v16, vcc_lo, v11, v16
	v_add_co_ci_u32_e32 v17, vcc_lo, v12, v17, vcc_lo
	v_lshlrev_b64 v[14:15], 2, v[14:15]
	v_add_co_u32 v20, vcc_lo, v11, v20
	v_add_co_ci_u32_e32 v21, vcc_lo, v12, v21, vcc_lo
	s_clause 0x2
	global_store_b32 v[18:19], v8, off
	global_store_b32 v[16:17], v38, off
	;; [unrolled: 1-line block ×3, first 2 shown]
	v_add_co_u32 v14, vcc_lo, v11, v14
	v_add_co_ci_u32_e32 v15, vcc_lo, v12, v15, vcc_lo
	global_store_b32 v[14:15], v58, off
	s_or_b32 exec_lo, exec_lo, s15
	s_delay_alu instid0(SALU_CYCLE_1)
	s_and_b32 exec_lo, exec_lo, s17
	s_cbranch_execnz .LBB1110_159
	s_branch .LBB1110_160
.LBB1110_224:
	s_and_saveexec_b32 s17, s14
	s_cbranch_execnz .LBB1110_280
; %bb.225:
	s_or_b32 exec_lo, exec_lo, s17
	s_and_saveexec_b32 s14, s13
	s_cbranch_execnz .LBB1110_281
.LBB1110_226:
	s_or_b32 exec_lo, exec_lo, s14
	s_and_saveexec_b32 s13, s12
	s_cbranch_execnz .LBB1110_282
.LBB1110_227:
	s_or_b32 exec_lo, exec_lo, s13
	s_and_saveexec_b32 s12, s11
	s_cbranch_execnz .LBB1110_283
.LBB1110_228:
	s_or_b32 exec_lo, exec_lo, s12
	s_and_saveexec_b32 s11, s10
	s_cbranch_execnz .LBB1110_284
.LBB1110_229:
	s_or_b32 exec_lo, exec_lo, s11
	s_and_saveexec_b32 s10, s9
	s_cbranch_execnz .LBB1110_285
.LBB1110_230:
	s_or_b32 exec_lo, exec_lo, s10
	s_and_saveexec_b32 s9, s8
	s_cbranch_execnz .LBB1110_286
.LBB1110_231:
	s_or_b32 exec_lo, exec_lo, s9
	s_and_saveexec_b32 s8, s7
	s_cbranch_execnz .LBB1110_287
.LBB1110_232:
	s_or_b32 exec_lo, exec_lo, s8
	s_and_saveexec_b32 s7, s6
	s_cbranch_execnz .LBB1110_288
.LBB1110_233:
	s_or_b32 exec_lo, exec_lo, s7
	s_and_saveexec_b32 s6, s5
	s_cbranch_execnz .LBB1110_289
.LBB1110_234:
	s_or_b32 exec_lo, exec_lo, s6
	s_and_saveexec_b32 s5, s4
	s_cbranch_execnz .LBB1110_290
.LBB1110_235:
	s_or_b32 exec_lo, exec_lo, s5
	s_and_saveexec_b32 s4, s3
	s_cbranch_execnz .LBB1110_291
.LBB1110_236:
	s_or_b32 exec_lo, exec_lo, s4
	s_and_saveexec_b32 s3, s2
	s_cbranch_execnz .LBB1110_292
.LBB1110_237:
	s_or_b32 exec_lo, exec_lo, s3
	s_and_saveexec_b32 s2, s1
	s_cbranch_execz .LBB1110_239
.LBB1110_238:
	v_sub_nc_u32_e32 v5, v57, v4
	s_delay_alu instid0(VALU_DEP_1)
	v_lshlrev_b32_e32 v5, 2, v5
	ds_store_b32 v5, v58
.LBB1110_239:
	s_or_b32 exec_lo, exec_lo, s2
	s_delay_alu instid0(SALU_CYCLE_1)
	s_and_b32 s17, s0, exec_lo
                                        ; implicit-def: $vgpr53_vgpr54
                                        ; implicit-def: $vgpr59_vgpr60
                                        ; implicit-def: $vgpr55_vgpr56
                                        ; implicit-def: $vgpr51_vgpr52
                                        ; implicit-def: $vgpr45_vgpr46
                                        ; implicit-def: $vgpr41_vgpr42
                                        ; implicit-def: $vgpr39_vgpr40
                                        ; implicit-def: $vgpr43_vgpr44
                                        ; implicit-def: $vgpr47_vgpr48
                                        ; implicit-def: $vgpr5_vgpr6
                                        ; implicit-def: $vgpr7_vgpr8
                                        ; implicit-def: $vgpr37_vgpr38
                                        ; implicit-def: $vgpr61_vgpr62
                                        ; implicit-def: $vgpr57_vgpr58
	s_and_not1_saveexec_b32 s0, s16
	s_cbranch_execz .LBB1110_164
.LBB1110_240:
	v_sub_nc_u32_e32 v13, v53, v4
	v_sub_nc_u32_e32 v14, v59, v4
	;; [unrolled: 1-line block ×5, first 2 shown]
	v_lshlrev_b32_e32 v13, 2, v13
	v_lshlrev_b32_e32 v14, 2, v14
	;; [unrolled: 1-line block ×4, first 2 shown]
	v_sub_nc_u32_e32 v5, v5, v4
	ds_store_b32 v13, v54
	ds_store_b32 v14, v60
	;; [unrolled: 1-line block ×3, first 2 shown]
	v_sub_nc_u32_e32 v13, v45, v4
	v_sub_nc_u32_e32 v14, v41, v4
	;; [unrolled: 1-line block ×3, first 2 shown]
	ds_store_b32 v16, v52
	v_sub_nc_u32_e32 v16, v43, v4
	v_lshlrev_b32_e32 v13, 2, v13
	v_lshlrev_b32_e32 v14, 2, v14
	;; [unrolled: 1-line block ×3, first 2 shown]
	v_sub_nc_u32_e32 v7, v7, v4
	v_lshlrev_b32_e32 v16, 2, v16
	ds_store_b32 v13, v46
	v_lshlrev_b32_e32 v13, 2, v17
	ds_store_b32 v14, v42
	ds_store_b32 v15, v40
	;; [unrolled: 1-line block ×3, first 2 shown]
	v_lshlrev_b32_e32 v5, 2, v5
	v_sub_nc_u32_e32 v15, v57, v4
	v_sub_nc_u32_e32 v14, v61, v4
	ds_store_b32 v13, v48
	v_sub_nc_u32_e32 v13, v37, v4
	v_lshlrev_b32_e32 v7, 2, v7
	ds_store_b32 v5, v6
	v_lshlrev_b32_e32 v5, 2, v15
	v_lshlrev_b32_e32 v14, 2, v14
	;; [unrolled: 1-line block ×3, first 2 shown]
	s_or_b32 s17, s17, exec_lo
	ds_store_b32 v7, v8
	ds_store_b32 v13, v38
	;; [unrolled: 1-line block ×4, first 2 shown]
	s_or_b32 exec_lo, exec_lo, s0
	s_delay_alu instid0(SALU_CYCLE_1)
	s_and_b32 exec_lo, exec_lo, s17
	s_cbranch_execnz .LBB1110_165
	s_branch .LBB1110_166
.LBB1110_241:
	v_sub_nc_u32_e32 v30, v53, v3
	v_mov_b32_e32 v31, 0
	s_delay_alu instid0(VALU_DEP_1) | instskip(NEXT) | instid1(VALU_DEP_1)
	v_lshlrev_b64 v[30:31], 2, v[30:31]
	v_add_co_u32 v30, vcc_lo, v2, v30
	s_delay_alu instid0(VALU_DEP_2)
	v_add_co_ci_u32_e32 v31, vcc_lo, v4, v31, vcc_lo
	global_store_b32 v[30:31], v21, off
	s_or_b32 exec_lo, exec_lo, s18
	s_and_saveexec_b32 s18, s14
	s_cbranch_execz .LBB1110_175
.LBB1110_242:
	v_sub_nc_u32_e32 v30, v59, v3
	v_mov_b32_e32 v31, 0
	s_delay_alu instid0(VALU_DEP_1) | instskip(NEXT) | instid1(VALU_DEP_1)
	v_lshlrev_b64 v[30:31], 2, v[30:31]
	v_add_co_u32 v30, vcc_lo, v2, v30
	s_delay_alu instid0(VALU_DEP_2)
	v_add_co_ci_u32_e32 v31, vcc_lo, v4, v31, vcc_lo
	global_store_b32 v[30:31], v22, off
	s_or_b32 exec_lo, exec_lo, s18
	s_and_saveexec_b32 s18, s13
	s_cbranch_execz .LBB1110_176
.LBB1110_243:
	v_sub_nc_u32_e32 v30, v55, v3
	v_mov_b32_e32 v31, 0
	s_delay_alu instid0(VALU_DEP_1) | instskip(NEXT) | instid1(VALU_DEP_1)
	v_lshlrev_b64 v[30:31], 2, v[30:31]
	v_add_co_u32 v30, vcc_lo, v2, v30
	s_delay_alu instid0(VALU_DEP_2)
	v_add_co_ci_u32_e32 v31, vcc_lo, v4, v31, vcc_lo
	global_store_b32 v[30:31], v19, off
	s_or_b32 exec_lo, exec_lo, s18
	s_and_saveexec_b32 s18, s12
	s_cbranch_execz .LBB1110_177
.LBB1110_244:
	v_sub_nc_u32_e32 v30, v51, v3
	v_mov_b32_e32 v31, 0
	s_delay_alu instid0(VALU_DEP_1) | instskip(NEXT) | instid1(VALU_DEP_1)
	v_lshlrev_b64 v[30:31], 2, v[30:31]
	v_add_co_u32 v30, vcc_lo, v2, v30
	s_delay_alu instid0(VALU_DEP_2)
	v_add_co_ci_u32_e32 v31, vcc_lo, v4, v31, vcc_lo
	global_store_b32 v[30:31], v20, off
	s_or_b32 exec_lo, exec_lo, s18
	s_and_saveexec_b32 s18, s11
	s_cbranch_execz .LBB1110_178
.LBB1110_245:
	v_sub_nc_u32_e32 v30, v45, v3
	v_mov_b32_e32 v31, 0
	s_delay_alu instid0(VALU_DEP_1) | instskip(NEXT) | instid1(VALU_DEP_1)
	v_lshlrev_b64 v[30:31], 2, v[30:31]
	v_add_co_u32 v30, vcc_lo, v2, v30
	s_delay_alu instid0(VALU_DEP_2)
	v_add_co_ci_u32_e32 v31, vcc_lo, v4, v31, vcc_lo
	global_store_b32 v[30:31], v17, off
	s_or_b32 exec_lo, exec_lo, s18
	s_and_saveexec_b32 s18, s10
	s_cbranch_execz .LBB1110_179
.LBB1110_246:
	v_sub_nc_u32_e32 v30, v41, v3
	v_mov_b32_e32 v31, 0
	s_delay_alu instid0(VALU_DEP_1) | instskip(NEXT) | instid1(VALU_DEP_1)
	v_lshlrev_b64 v[30:31], 2, v[30:31]
	v_add_co_u32 v30, vcc_lo, v2, v30
	s_delay_alu instid0(VALU_DEP_2)
	v_add_co_ci_u32_e32 v31, vcc_lo, v4, v31, vcc_lo
	global_store_b32 v[30:31], v18, off
	s_or_b32 exec_lo, exec_lo, s18
	s_and_saveexec_b32 s18, s8
	s_cbranch_execz .LBB1110_180
.LBB1110_247:
	v_sub_nc_u32_e32 v30, v39, v3
	v_mov_b32_e32 v31, 0
	s_delay_alu instid0(VALU_DEP_1) | instskip(NEXT) | instid1(VALU_DEP_1)
	v_lshlrev_b64 v[30:31], 2, v[30:31]
	v_add_co_u32 v30, vcc_lo, v2, v30
	s_delay_alu instid0(VALU_DEP_2)
	v_add_co_ci_u32_e32 v31, vcc_lo, v4, v31, vcc_lo
	global_store_b32 v[30:31], v15, off
	s_or_b32 exec_lo, exec_lo, s18
	s_and_saveexec_b32 s18, s6
	s_cbranch_execz .LBB1110_181
.LBB1110_248:
	v_sub_nc_u32_e32 v30, v43, v3
	v_mov_b32_e32 v31, 0
	s_delay_alu instid0(VALU_DEP_1) | instskip(NEXT) | instid1(VALU_DEP_1)
	v_lshlrev_b64 v[30:31], 2, v[30:31]
	v_add_co_u32 v30, vcc_lo, v2, v30
	s_delay_alu instid0(VALU_DEP_2)
	v_add_co_ci_u32_e32 v31, vcc_lo, v4, v31, vcc_lo
	global_store_b32 v[30:31], v16, off
	s_or_b32 exec_lo, exec_lo, s18
	s_and_saveexec_b32 s18, s9
	s_cbranch_execz .LBB1110_182
.LBB1110_249:
	v_sub_nc_u32_e32 v30, v47, v3
	v_mov_b32_e32 v31, 0
	s_delay_alu instid0(VALU_DEP_1) | instskip(NEXT) | instid1(VALU_DEP_1)
	v_lshlrev_b64 v[30:31], 2, v[30:31]
	v_add_co_u32 v30, vcc_lo, v2, v30
	s_delay_alu instid0(VALU_DEP_2)
	v_add_co_ci_u32_e32 v31, vcc_lo, v4, v31, vcc_lo
	global_store_b32 v[30:31], v13, off
	s_or_b32 exec_lo, exec_lo, s18
	s_and_saveexec_b32 s18, s7
	s_cbranch_execz .LBB1110_183
.LBB1110_250:
	v_sub_nc_u32_e32 v30, v5, v3
	v_mov_b32_e32 v31, 0
	s_delay_alu instid0(VALU_DEP_1) | instskip(NEXT) | instid1(VALU_DEP_1)
	v_lshlrev_b64 v[30:31], 2, v[30:31]
	v_add_co_u32 v30, vcc_lo, v2, v30
	s_delay_alu instid0(VALU_DEP_2)
	v_add_co_ci_u32_e32 v31, vcc_lo, v4, v31, vcc_lo
	global_store_b32 v[30:31], v14, off
	s_or_b32 exec_lo, exec_lo, s18
	s_and_saveexec_b32 s18, s5
	s_cbranch_execz .LBB1110_184
.LBB1110_251:
	v_sub_nc_u32_e32 v30, v7, v3
	v_mov_b32_e32 v31, 0
	s_delay_alu instid0(VALU_DEP_1) | instskip(NEXT) | instid1(VALU_DEP_1)
	v_lshlrev_b64 v[30:31], 2, v[30:31]
	v_add_co_u32 v30, vcc_lo, v2, v30
	s_delay_alu instid0(VALU_DEP_2)
	v_add_co_ci_u32_e32 v31, vcc_lo, v4, v31, vcc_lo
	global_store_b32 v[30:31], v11, off
	s_or_b32 exec_lo, exec_lo, s18
	s_and_saveexec_b32 s18, s4
	s_cbranch_execz .LBB1110_185
.LBB1110_252:
	v_sub_nc_u32_e32 v30, v37, v3
	v_mov_b32_e32 v31, 0
	s_delay_alu instid0(VALU_DEP_1) | instskip(NEXT) | instid1(VALU_DEP_1)
	v_lshlrev_b64 v[30:31], 2, v[30:31]
	v_add_co_u32 v30, vcc_lo, v2, v30
	s_delay_alu instid0(VALU_DEP_2)
	v_add_co_ci_u32_e32 v31, vcc_lo, v4, v31, vcc_lo
	global_store_b32 v[30:31], v12, off
	s_or_b32 exec_lo, exec_lo, s18
	s_and_saveexec_b32 s18, s3
	s_cbranch_execz .LBB1110_186
.LBB1110_253:
	v_sub_nc_u32_e32 v30, v61, v3
	v_mov_b32_e32 v31, 0
	s_delay_alu instid0(VALU_DEP_1) | instskip(NEXT) | instid1(VALU_DEP_1)
	v_lshlrev_b64 v[30:31], 2, v[30:31]
	v_add_co_u32 v30, vcc_lo, v2, v30
	s_delay_alu instid0(VALU_DEP_2)
	v_add_co_ci_u32_e32 v31, vcc_lo, v4, v31, vcc_lo
	global_store_b32 v[30:31], v9, off
	s_or_b32 exec_lo, exec_lo, s18
	s_and_saveexec_b32 s18, s1
	s_cbranch_execnz .LBB1110_187
	s_branch .LBB1110_188
.LBB1110_254:
	v_sub_nc_u32_e32 v29, v53, v3
	s_delay_alu instid0(VALU_DEP_1)
	v_lshlrev_b32_e32 v29, 2, v29
	ds_store_b32 v29, v21
	s_or_b32 exec_lo, exec_lo, s18
	s_and_saveexec_b32 s15, s14
	s_cbranch_execz .LBB1110_192
.LBB1110_255:
	v_sub_nc_u32_e32 v21, v59, v3
	s_delay_alu instid0(VALU_DEP_1)
	v_lshlrev_b32_e32 v21, 2, v21
	ds_store_b32 v21, v22
	s_or_b32 exec_lo, exec_lo, s15
	s_and_saveexec_b32 s14, s13
	s_cbranch_execz .LBB1110_193
.LBB1110_256:
	v_sub_nc_u32_e32 v21, v55, v3
	s_delay_alu instid0(VALU_DEP_1)
	v_lshlrev_b32_e32 v21, 2, v21
	ds_store_b32 v21, v19
	s_or_b32 exec_lo, exec_lo, s14
	s_and_saveexec_b32 s13, s12
	s_cbranch_execz .LBB1110_194
.LBB1110_257:
	v_sub_nc_u32_e32 v19, v51, v3
	s_delay_alu instid0(VALU_DEP_1)
	v_lshlrev_b32_e32 v19, 2, v19
	ds_store_b32 v19, v20
	s_or_b32 exec_lo, exec_lo, s13
	s_and_saveexec_b32 s12, s11
	s_cbranch_execz .LBB1110_195
.LBB1110_258:
	v_sub_nc_u32_e32 v19, v45, v3
	s_delay_alu instid0(VALU_DEP_1)
	v_lshlrev_b32_e32 v19, 2, v19
	ds_store_b32 v19, v17
	s_or_b32 exec_lo, exec_lo, s12
	s_and_saveexec_b32 s11, s10
	s_cbranch_execz .LBB1110_196
.LBB1110_259:
	v_sub_nc_u32_e32 v17, v41, v3
	s_delay_alu instid0(VALU_DEP_1)
	v_lshlrev_b32_e32 v17, 2, v17
	ds_store_b32 v17, v18
	s_or_b32 exec_lo, exec_lo, s11
	s_and_saveexec_b32 s10, s8
	s_cbranch_execz .LBB1110_197
.LBB1110_260:
	v_sub_nc_u32_e32 v17, v39, v3
	s_delay_alu instid0(VALU_DEP_1)
	v_lshlrev_b32_e32 v17, 2, v17
	ds_store_b32 v17, v15
	s_or_b32 exec_lo, exec_lo, s10
	s_and_saveexec_b32 s8, s6
	s_cbranch_execz .LBB1110_198
.LBB1110_261:
	v_sub_nc_u32_e32 v15, v43, v3
	s_delay_alu instid0(VALU_DEP_1)
	v_lshlrev_b32_e32 v15, 2, v15
	ds_store_b32 v15, v16
	s_or_b32 exec_lo, exec_lo, s8
	s_and_saveexec_b32 s6, s9
	s_cbranch_execz .LBB1110_199
.LBB1110_262:
	v_sub_nc_u32_e32 v15, v47, v3
	s_delay_alu instid0(VALU_DEP_1)
	v_lshlrev_b32_e32 v15, 2, v15
	ds_store_b32 v15, v13
	s_or_b32 exec_lo, exec_lo, s6
	s_and_saveexec_b32 s6, s7
	s_cbranch_execz .LBB1110_200
.LBB1110_263:
	v_sub_nc_u32_e32 v13, v5, v3
	s_delay_alu instid0(VALU_DEP_1)
	v_lshlrev_b32_e32 v13, 2, v13
	ds_store_b32 v13, v14
	s_or_b32 exec_lo, exec_lo, s6
	s_and_saveexec_b32 s6, s5
	s_cbranch_execz .LBB1110_201
.LBB1110_264:
	v_sub_nc_u32_e32 v13, v7, v3
	s_delay_alu instid0(VALU_DEP_1)
	v_lshlrev_b32_e32 v13, 2, v13
	ds_store_b32 v13, v11
	s_or_b32 exec_lo, exec_lo, s6
	s_and_saveexec_b32 s5, s4
	s_cbranch_execz .LBB1110_202
.LBB1110_265:
	v_sub_nc_u32_e32 v11, v37, v3
	s_delay_alu instid0(VALU_DEP_1)
	v_lshlrev_b32_e32 v11, 2, v11
	ds_store_b32 v11, v12
	s_or_b32 exec_lo, exec_lo, s5
	s_and_saveexec_b32 s4, s3
	s_cbranch_execz .LBB1110_203
.LBB1110_266:
	v_sub_nc_u32_e32 v11, v61, v3
	s_delay_alu instid0(VALU_DEP_1)
	v_lshlrev_b32_e32 v11, 2, v11
	ds_store_b32 v11, v9
	s_or_b32 exec_lo, exec_lo, s4
	s_and_saveexec_b32 s3, s1
	s_cbranch_execnz .LBB1110_204
	s_branch .LBB1110_205
.LBB1110_267:
	v_sub_nc_u32_e32 v14, v53, v4
	v_mov_b32_e32 v15, 0
	s_delay_alu instid0(VALU_DEP_1) | instskip(NEXT) | instid1(VALU_DEP_1)
	v_lshlrev_b64 v[14:15], 2, v[14:15]
	v_add_co_u32 v14, vcc_lo, v11, v14
	s_delay_alu instid0(VALU_DEP_2)
	v_add_co_ci_u32_e32 v15, vcc_lo, v12, v15, vcc_lo
	global_store_b32 v[14:15], v54, off
	s_or_b32 exec_lo, exec_lo, s17
	s_and_saveexec_b32 s17, s13
	s_cbranch_execz .LBB1110_209
.LBB1110_268:
	v_sub_nc_u32_e32 v14, v59, v4
	v_mov_b32_e32 v15, 0
	s_delay_alu instid0(VALU_DEP_1) | instskip(NEXT) | instid1(VALU_DEP_1)
	v_lshlrev_b64 v[14:15], 2, v[14:15]
	v_add_co_u32 v14, vcc_lo, v11, v14
	s_delay_alu instid0(VALU_DEP_2)
	v_add_co_ci_u32_e32 v15, vcc_lo, v12, v15, vcc_lo
	global_store_b32 v[14:15], v60, off
	s_or_b32 exec_lo, exec_lo, s17
	s_and_saveexec_b32 s17, s12
	s_cbranch_execz .LBB1110_210
.LBB1110_269:
	v_sub_nc_u32_e32 v14, v55, v4
	v_mov_b32_e32 v15, 0
	s_delay_alu instid0(VALU_DEP_1) | instskip(NEXT) | instid1(VALU_DEP_1)
	v_lshlrev_b64 v[14:15], 2, v[14:15]
	v_add_co_u32 v14, vcc_lo, v11, v14
	s_delay_alu instid0(VALU_DEP_2)
	v_add_co_ci_u32_e32 v15, vcc_lo, v12, v15, vcc_lo
	global_store_b32 v[14:15], v56, off
	s_or_b32 exec_lo, exec_lo, s17
	s_and_saveexec_b32 s17, s11
	s_cbranch_execz .LBB1110_211
.LBB1110_270:
	v_sub_nc_u32_e32 v14, v51, v4
	v_mov_b32_e32 v15, 0
	s_delay_alu instid0(VALU_DEP_1) | instskip(NEXT) | instid1(VALU_DEP_1)
	v_lshlrev_b64 v[14:15], 2, v[14:15]
	v_add_co_u32 v14, vcc_lo, v11, v14
	s_delay_alu instid0(VALU_DEP_2)
	v_add_co_ci_u32_e32 v15, vcc_lo, v12, v15, vcc_lo
	global_store_b32 v[14:15], v52, off
	s_or_b32 exec_lo, exec_lo, s17
	s_and_saveexec_b32 s17, s10
	s_cbranch_execz .LBB1110_212
.LBB1110_271:
	v_sub_nc_u32_e32 v14, v45, v4
	v_mov_b32_e32 v15, 0
	s_delay_alu instid0(VALU_DEP_1) | instskip(NEXT) | instid1(VALU_DEP_1)
	v_lshlrev_b64 v[14:15], 2, v[14:15]
	v_add_co_u32 v14, vcc_lo, v11, v14
	s_delay_alu instid0(VALU_DEP_2)
	v_add_co_ci_u32_e32 v15, vcc_lo, v12, v15, vcc_lo
	global_store_b32 v[14:15], v46, off
	s_or_b32 exec_lo, exec_lo, s17
	s_and_saveexec_b32 s17, s9
	s_cbranch_execz .LBB1110_213
.LBB1110_272:
	v_sub_nc_u32_e32 v14, v41, v4
	v_mov_b32_e32 v15, 0
	s_delay_alu instid0(VALU_DEP_1) | instskip(NEXT) | instid1(VALU_DEP_1)
	v_lshlrev_b64 v[14:15], 2, v[14:15]
	v_add_co_u32 v14, vcc_lo, v11, v14
	s_delay_alu instid0(VALU_DEP_2)
	v_add_co_ci_u32_e32 v15, vcc_lo, v12, v15, vcc_lo
	global_store_b32 v[14:15], v42, off
	s_or_b32 exec_lo, exec_lo, s17
	s_and_saveexec_b32 s17, s8
	s_cbranch_execz .LBB1110_214
.LBB1110_273:
	v_sub_nc_u32_e32 v14, v39, v4
	v_mov_b32_e32 v15, 0
	s_delay_alu instid0(VALU_DEP_1) | instskip(NEXT) | instid1(VALU_DEP_1)
	v_lshlrev_b64 v[14:15], 2, v[14:15]
	v_add_co_u32 v14, vcc_lo, v11, v14
	s_delay_alu instid0(VALU_DEP_2)
	v_add_co_ci_u32_e32 v15, vcc_lo, v12, v15, vcc_lo
	global_store_b32 v[14:15], v40, off
	s_or_b32 exec_lo, exec_lo, s17
	s_and_saveexec_b32 s17, s7
	s_cbranch_execz .LBB1110_215
.LBB1110_274:
	v_sub_nc_u32_e32 v14, v43, v4
	v_mov_b32_e32 v15, 0
	s_delay_alu instid0(VALU_DEP_1) | instskip(NEXT) | instid1(VALU_DEP_1)
	v_lshlrev_b64 v[14:15], 2, v[14:15]
	v_add_co_u32 v14, vcc_lo, v11, v14
	s_delay_alu instid0(VALU_DEP_2)
	v_add_co_ci_u32_e32 v15, vcc_lo, v12, v15, vcc_lo
	global_store_b32 v[14:15], v44, off
	s_or_b32 exec_lo, exec_lo, s17
	s_and_saveexec_b32 s17, s6
	s_cbranch_execz .LBB1110_216
.LBB1110_275:
	v_sub_nc_u32_e32 v14, v47, v4
	v_mov_b32_e32 v15, 0
	s_delay_alu instid0(VALU_DEP_1) | instskip(NEXT) | instid1(VALU_DEP_1)
	v_lshlrev_b64 v[14:15], 2, v[14:15]
	v_add_co_u32 v14, vcc_lo, v11, v14
	s_delay_alu instid0(VALU_DEP_2)
	v_add_co_ci_u32_e32 v15, vcc_lo, v12, v15, vcc_lo
	global_store_b32 v[14:15], v48, off
	s_or_b32 exec_lo, exec_lo, s17
	s_and_saveexec_b32 s17, s5
	s_cbranch_execz .LBB1110_217
.LBB1110_276:
	v_sub_nc_u32_e32 v14, v5, v4
	v_mov_b32_e32 v15, 0
	s_delay_alu instid0(VALU_DEP_1) | instskip(NEXT) | instid1(VALU_DEP_1)
	v_lshlrev_b64 v[14:15], 2, v[14:15]
	v_add_co_u32 v14, vcc_lo, v11, v14
	s_delay_alu instid0(VALU_DEP_2)
	v_add_co_ci_u32_e32 v15, vcc_lo, v12, v15, vcc_lo
	global_store_b32 v[14:15], v6, off
	s_or_b32 exec_lo, exec_lo, s17
	s_and_saveexec_b32 s17, s4
	s_cbranch_execz .LBB1110_218
.LBB1110_277:
	v_sub_nc_u32_e32 v14, v7, v4
	v_mov_b32_e32 v15, 0
	s_delay_alu instid0(VALU_DEP_1) | instskip(NEXT) | instid1(VALU_DEP_1)
	v_lshlrev_b64 v[14:15], 2, v[14:15]
	v_add_co_u32 v14, vcc_lo, v11, v14
	s_delay_alu instid0(VALU_DEP_2)
	v_add_co_ci_u32_e32 v15, vcc_lo, v12, v15, vcc_lo
	global_store_b32 v[14:15], v8, off
	s_or_b32 exec_lo, exec_lo, s17
	s_and_saveexec_b32 s17, s3
	s_cbranch_execz .LBB1110_219
.LBB1110_278:
	v_sub_nc_u32_e32 v14, v37, v4
	v_mov_b32_e32 v15, 0
	s_delay_alu instid0(VALU_DEP_1) | instskip(NEXT) | instid1(VALU_DEP_1)
	v_lshlrev_b64 v[14:15], 2, v[14:15]
	v_add_co_u32 v14, vcc_lo, v11, v14
	s_delay_alu instid0(VALU_DEP_2)
	v_add_co_ci_u32_e32 v15, vcc_lo, v12, v15, vcc_lo
	global_store_b32 v[14:15], v38, off
	s_or_b32 exec_lo, exec_lo, s17
	s_and_saveexec_b32 s17, s2
	s_cbranch_execz .LBB1110_220
.LBB1110_279:
	v_sub_nc_u32_e32 v14, v61, v4
	v_mov_b32_e32 v15, 0
	s_delay_alu instid0(VALU_DEP_1) | instskip(NEXT) | instid1(VALU_DEP_1)
	v_lshlrev_b64 v[14:15], 2, v[14:15]
	v_add_co_u32 v14, vcc_lo, v11, v14
	s_delay_alu instid0(VALU_DEP_2)
	v_add_co_ci_u32_e32 v15, vcc_lo, v12, v15, vcc_lo
	global_store_b32 v[14:15], v62, off
	s_or_b32 exec_lo, exec_lo, s17
	s_and_saveexec_b32 s17, s1
	s_cbranch_execnz .LBB1110_221
	s_branch .LBB1110_222
.LBB1110_280:
	v_sub_nc_u32_e32 v13, v53, v4
	s_delay_alu instid0(VALU_DEP_1)
	v_lshlrev_b32_e32 v13, 2, v13
	ds_store_b32 v13, v54
	s_or_b32 exec_lo, exec_lo, s17
	s_and_saveexec_b32 s14, s13
	s_cbranch_execz .LBB1110_226
.LBB1110_281:
	v_sub_nc_u32_e32 v13, v59, v4
	s_delay_alu instid0(VALU_DEP_1)
	v_lshlrev_b32_e32 v13, 2, v13
	ds_store_b32 v13, v60
	s_or_b32 exec_lo, exec_lo, s14
	s_and_saveexec_b32 s13, s12
	s_cbranch_execz .LBB1110_227
.LBB1110_282:
	v_sub_nc_u32_e32 v13, v55, v4
	s_delay_alu instid0(VALU_DEP_1)
	v_lshlrev_b32_e32 v13, 2, v13
	ds_store_b32 v13, v56
	s_or_b32 exec_lo, exec_lo, s13
	s_and_saveexec_b32 s12, s11
	s_cbranch_execz .LBB1110_228
.LBB1110_283:
	v_sub_nc_u32_e32 v13, v51, v4
	s_delay_alu instid0(VALU_DEP_1)
	v_lshlrev_b32_e32 v13, 2, v13
	ds_store_b32 v13, v52
	s_or_b32 exec_lo, exec_lo, s12
	s_and_saveexec_b32 s11, s10
	s_cbranch_execz .LBB1110_229
.LBB1110_284:
	v_sub_nc_u32_e32 v13, v45, v4
	s_delay_alu instid0(VALU_DEP_1)
	v_lshlrev_b32_e32 v13, 2, v13
	ds_store_b32 v13, v46
	s_or_b32 exec_lo, exec_lo, s11
	s_and_saveexec_b32 s10, s9
	s_cbranch_execz .LBB1110_230
.LBB1110_285:
	v_sub_nc_u32_e32 v13, v41, v4
	s_delay_alu instid0(VALU_DEP_1)
	v_lshlrev_b32_e32 v13, 2, v13
	ds_store_b32 v13, v42
	s_or_b32 exec_lo, exec_lo, s10
	s_and_saveexec_b32 s9, s8
	s_cbranch_execz .LBB1110_231
.LBB1110_286:
	v_sub_nc_u32_e32 v13, v39, v4
	s_delay_alu instid0(VALU_DEP_1)
	v_lshlrev_b32_e32 v13, 2, v13
	ds_store_b32 v13, v40
	s_or_b32 exec_lo, exec_lo, s9
	s_and_saveexec_b32 s8, s7
	s_cbranch_execz .LBB1110_232
.LBB1110_287:
	v_sub_nc_u32_e32 v13, v43, v4
	s_delay_alu instid0(VALU_DEP_1)
	v_lshlrev_b32_e32 v13, 2, v13
	ds_store_b32 v13, v44
	s_or_b32 exec_lo, exec_lo, s8
	s_and_saveexec_b32 s7, s6
	s_cbranch_execz .LBB1110_233
.LBB1110_288:
	v_sub_nc_u32_e32 v13, v47, v4
	s_delay_alu instid0(VALU_DEP_1)
	v_lshlrev_b32_e32 v13, 2, v13
	ds_store_b32 v13, v48
	s_or_b32 exec_lo, exec_lo, s7
	s_and_saveexec_b32 s6, s5
	s_cbranch_execz .LBB1110_234
.LBB1110_289:
	v_sub_nc_u32_e32 v5, v5, v4
	s_delay_alu instid0(VALU_DEP_1)
	v_lshlrev_b32_e32 v5, 2, v5
	ds_store_b32 v5, v6
	s_or_b32 exec_lo, exec_lo, s6
	s_and_saveexec_b32 s5, s4
	s_cbranch_execz .LBB1110_235
.LBB1110_290:
	v_sub_nc_u32_e32 v5, v7, v4
	s_delay_alu instid0(VALU_DEP_1)
	v_lshlrev_b32_e32 v5, 2, v5
	ds_store_b32 v5, v8
	s_or_b32 exec_lo, exec_lo, s5
	s_and_saveexec_b32 s4, s3
	s_cbranch_execz .LBB1110_236
.LBB1110_291:
	v_sub_nc_u32_e32 v5, v37, v4
	s_delay_alu instid0(VALU_DEP_1)
	v_lshlrev_b32_e32 v5, 2, v5
	ds_store_b32 v5, v38
	s_or_b32 exec_lo, exec_lo, s4
	s_and_saveexec_b32 s3, s2
	s_cbranch_execz .LBB1110_237
.LBB1110_292:
	v_sub_nc_u32_e32 v5, v61, v4
	s_delay_alu instid0(VALU_DEP_1)
	v_lshlrev_b32_e32 v5, 2, v5
	ds_store_b32 v5, v62
	s_or_b32 exec_lo, exec_lo, s3
	s_and_saveexec_b32 s2, s1
	s_cbranch_execnz .LBB1110_238
	s_branch .LBB1110_239
	.section	.rodata,"a",@progbits
	.p2align	6, 0x0
	.amdhsa_kernel _ZN7rocprim17ROCPRIM_400000_NS6detail17trampoline_kernelINS0_14default_configENS1_29reduce_by_key_config_selectorIiiN6thrust23THRUST_200600_302600_NS4plusIiEEEEZZNS1_33reduce_by_key_impl_wrapped_configILNS1_25lookback_scan_determinismE0ES3_S9_NS6_10device_ptrIiEESD_SD_SD_PmS8_NS6_8equal_toIiEEEE10hipError_tPvRmT2_T3_mT4_T5_T6_T7_T8_P12ihipStream_tbENKUlT_T0_E_clISt17integral_constantIbLb1EESY_EEDaST_SU_EUlST_E_NS1_11comp_targetILNS1_3genE9ELNS1_11target_archE1100ELNS1_3gpuE3ELNS1_3repE0EEENS1_30default_config_static_selectorELNS0_4arch9wavefront6targetE0EEEvT1_
		.amdhsa_group_segment_fixed_size 15360
		.amdhsa_private_segment_fixed_size 0
		.amdhsa_kernarg_size 120
		.amdhsa_user_sgpr_count 15
		.amdhsa_user_sgpr_dispatch_ptr 0
		.amdhsa_user_sgpr_queue_ptr 0
		.amdhsa_user_sgpr_kernarg_segment_ptr 1
		.amdhsa_user_sgpr_dispatch_id 0
		.amdhsa_user_sgpr_private_segment_size 0
		.amdhsa_wavefront_size32 1
		.amdhsa_uses_dynamic_stack 0
		.amdhsa_enable_private_segment 0
		.amdhsa_system_sgpr_workgroup_id_x 1
		.amdhsa_system_sgpr_workgroup_id_y 0
		.amdhsa_system_sgpr_workgroup_id_z 0
		.amdhsa_system_sgpr_workgroup_info 0
		.amdhsa_system_vgpr_workitem_id 0
		.amdhsa_next_free_vgpr 87
		.amdhsa_next_free_sgpr 49
		.amdhsa_reserve_vcc 1
		.amdhsa_float_round_mode_32 0
		.amdhsa_float_round_mode_16_64 0
		.amdhsa_float_denorm_mode_32 3
		.amdhsa_float_denorm_mode_16_64 3
		.amdhsa_dx10_clamp 1
		.amdhsa_ieee_mode 1
		.amdhsa_fp16_overflow 0
		.amdhsa_workgroup_processor_mode 1
		.amdhsa_memory_ordered 1
		.amdhsa_forward_progress 0
		.amdhsa_shared_vgpr_count 0
		.amdhsa_exception_fp_ieee_invalid_op 0
		.amdhsa_exception_fp_denorm_src 0
		.amdhsa_exception_fp_ieee_div_zero 0
		.amdhsa_exception_fp_ieee_overflow 0
		.amdhsa_exception_fp_ieee_underflow 0
		.amdhsa_exception_fp_ieee_inexact 0
		.amdhsa_exception_int_div_zero 0
	.end_amdhsa_kernel
	.section	.text._ZN7rocprim17ROCPRIM_400000_NS6detail17trampoline_kernelINS0_14default_configENS1_29reduce_by_key_config_selectorIiiN6thrust23THRUST_200600_302600_NS4plusIiEEEEZZNS1_33reduce_by_key_impl_wrapped_configILNS1_25lookback_scan_determinismE0ES3_S9_NS6_10device_ptrIiEESD_SD_SD_PmS8_NS6_8equal_toIiEEEE10hipError_tPvRmT2_T3_mT4_T5_T6_T7_T8_P12ihipStream_tbENKUlT_T0_E_clISt17integral_constantIbLb1EESY_EEDaST_SU_EUlST_E_NS1_11comp_targetILNS1_3genE9ELNS1_11target_archE1100ELNS1_3gpuE3ELNS1_3repE0EEENS1_30default_config_static_selectorELNS0_4arch9wavefront6targetE0EEEvT1_,"axG",@progbits,_ZN7rocprim17ROCPRIM_400000_NS6detail17trampoline_kernelINS0_14default_configENS1_29reduce_by_key_config_selectorIiiN6thrust23THRUST_200600_302600_NS4plusIiEEEEZZNS1_33reduce_by_key_impl_wrapped_configILNS1_25lookback_scan_determinismE0ES3_S9_NS6_10device_ptrIiEESD_SD_SD_PmS8_NS6_8equal_toIiEEEE10hipError_tPvRmT2_T3_mT4_T5_T6_T7_T8_P12ihipStream_tbENKUlT_T0_E_clISt17integral_constantIbLb1EESY_EEDaST_SU_EUlST_E_NS1_11comp_targetILNS1_3genE9ELNS1_11target_archE1100ELNS1_3gpuE3ELNS1_3repE0EEENS1_30default_config_static_selectorELNS0_4arch9wavefront6targetE0EEEvT1_,comdat
.Lfunc_end1110:
	.size	_ZN7rocprim17ROCPRIM_400000_NS6detail17trampoline_kernelINS0_14default_configENS1_29reduce_by_key_config_selectorIiiN6thrust23THRUST_200600_302600_NS4plusIiEEEEZZNS1_33reduce_by_key_impl_wrapped_configILNS1_25lookback_scan_determinismE0ES3_S9_NS6_10device_ptrIiEESD_SD_SD_PmS8_NS6_8equal_toIiEEEE10hipError_tPvRmT2_T3_mT4_T5_T6_T7_T8_P12ihipStream_tbENKUlT_T0_E_clISt17integral_constantIbLb1EESY_EEDaST_SU_EUlST_E_NS1_11comp_targetILNS1_3genE9ELNS1_11target_archE1100ELNS1_3gpuE3ELNS1_3repE0EEENS1_30default_config_static_selectorELNS0_4arch9wavefront6targetE0EEEvT1_, .Lfunc_end1110-_ZN7rocprim17ROCPRIM_400000_NS6detail17trampoline_kernelINS0_14default_configENS1_29reduce_by_key_config_selectorIiiN6thrust23THRUST_200600_302600_NS4plusIiEEEEZZNS1_33reduce_by_key_impl_wrapped_configILNS1_25lookback_scan_determinismE0ES3_S9_NS6_10device_ptrIiEESD_SD_SD_PmS8_NS6_8equal_toIiEEEE10hipError_tPvRmT2_T3_mT4_T5_T6_T7_T8_P12ihipStream_tbENKUlT_T0_E_clISt17integral_constantIbLb1EESY_EEDaST_SU_EUlST_E_NS1_11comp_targetILNS1_3genE9ELNS1_11target_archE1100ELNS1_3gpuE3ELNS1_3repE0EEENS1_30default_config_static_selectorELNS0_4arch9wavefront6targetE0EEEvT1_
                                        ; -- End function
	.section	.AMDGPU.csdata,"",@progbits
; Kernel info:
; codeLenInByte = 17408
; NumSgprs: 51
; NumVgprs: 87
; ScratchSize: 0
; MemoryBound: 0
; FloatMode: 240
; IeeeMode: 1
; LDSByteSize: 15360 bytes/workgroup (compile time only)
; SGPRBlocks: 6
; VGPRBlocks: 10
; NumSGPRsForWavesPerEU: 51
; NumVGPRsForWavesPerEU: 87
; Occupancy: 16
; WaveLimiterHint : 1
; COMPUTE_PGM_RSRC2:SCRATCH_EN: 0
; COMPUTE_PGM_RSRC2:USER_SGPR: 15
; COMPUTE_PGM_RSRC2:TRAP_HANDLER: 0
; COMPUTE_PGM_RSRC2:TGID_X_EN: 1
; COMPUTE_PGM_RSRC2:TGID_Y_EN: 0
; COMPUTE_PGM_RSRC2:TGID_Z_EN: 0
; COMPUTE_PGM_RSRC2:TIDIG_COMP_CNT: 0
	.section	.text._ZN7rocprim17ROCPRIM_400000_NS6detail17trampoline_kernelINS0_14default_configENS1_29reduce_by_key_config_selectorIiiN6thrust23THRUST_200600_302600_NS4plusIiEEEEZZNS1_33reduce_by_key_impl_wrapped_configILNS1_25lookback_scan_determinismE0ES3_S9_NS6_10device_ptrIiEESD_SD_SD_PmS8_NS6_8equal_toIiEEEE10hipError_tPvRmT2_T3_mT4_T5_T6_T7_T8_P12ihipStream_tbENKUlT_T0_E_clISt17integral_constantIbLb1EESY_EEDaST_SU_EUlST_E_NS1_11comp_targetILNS1_3genE8ELNS1_11target_archE1030ELNS1_3gpuE2ELNS1_3repE0EEENS1_30default_config_static_selectorELNS0_4arch9wavefront6targetE0EEEvT1_,"axG",@progbits,_ZN7rocprim17ROCPRIM_400000_NS6detail17trampoline_kernelINS0_14default_configENS1_29reduce_by_key_config_selectorIiiN6thrust23THRUST_200600_302600_NS4plusIiEEEEZZNS1_33reduce_by_key_impl_wrapped_configILNS1_25lookback_scan_determinismE0ES3_S9_NS6_10device_ptrIiEESD_SD_SD_PmS8_NS6_8equal_toIiEEEE10hipError_tPvRmT2_T3_mT4_T5_T6_T7_T8_P12ihipStream_tbENKUlT_T0_E_clISt17integral_constantIbLb1EESY_EEDaST_SU_EUlST_E_NS1_11comp_targetILNS1_3genE8ELNS1_11target_archE1030ELNS1_3gpuE2ELNS1_3repE0EEENS1_30default_config_static_selectorELNS0_4arch9wavefront6targetE0EEEvT1_,comdat
	.protected	_ZN7rocprim17ROCPRIM_400000_NS6detail17trampoline_kernelINS0_14default_configENS1_29reduce_by_key_config_selectorIiiN6thrust23THRUST_200600_302600_NS4plusIiEEEEZZNS1_33reduce_by_key_impl_wrapped_configILNS1_25lookback_scan_determinismE0ES3_S9_NS6_10device_ptrIiEESD_SD_SD_PmS8_NS6_8equal_toIiEEEE10hipError_tPvRmT2_T3_mT4_T5_T6_T7_T8_P12ihipStream_tbENKUlT_T0_E_clISt17integral_constantIbLb1EESY_EEDaST_SU_EUlST_E_NS1_11comp_targetILNS1_3genE8ELNS1_11target_archE1030ELNS1_3gpuE2ELNS1_3repE0EEENS1_30default_config_static_selectorELNS0_4arch9wavefront6targetE0EEEvT1_ ; -- Begin function _ZN7rocprim17ROCPRIM_400000_NS6detail17trampoline_kernelINS0_14default_configENS1_29reduce_by_key_config_selectorIiiN6thrust23THRUST_200600_302600_NS4plusIiEEEEZZNS1_33reduce_by_key_impl_wrapped_configILNS1_25lookback_scan_determinismE0ES3_S9_NS6_10device_ptrIiEESD_SD_SD_PmS8_NS6_8equal_toIiEEEE10hipError_tPvRmT2_T3_mT4_T5_T6_T7_T8_P12ihipStream_tbENKUlT_T0_E_clISt17integral_constantIbLb1EESY_EEDaST_SU_EUlST_E_NS1_11comp_targetILNS1_3genE8ELNS1_11target_archE1030ELNS1_3gpuE2ELNS1_3repE0EEENS1_30default_config_static_selectorELNS0_4arch9wavefront6targetE0EEEvT1_
	.globl	_ZN7rocprim17ROCPRIM_400000_NS6detail17trampoline_kernelINS0_14default_configENS1_29reduce_by_key_config_selectorIiiN6thrust23THRUST_200600_302600_NS4plusIiEEEEZZNS1_33reduce_by_key_impl_wrapped_configILNS1_25lookback_scan_determinismE0ES3_S9_NS6_10device_ptrIiEESD_SD_SD_PmS8_NS6_8equal_toIiEEEE10hipError_tPvRmT2_T3_mT4_T5_T6_T7_T8_P12ihipStream_tbENKUlT_T0_E_clISt17integral_constantIbLb1EESY_EEDaST_SU_EUlST_E_NS1_11comp_targetILNS1_3genE8ELNS1_11target_archE1030ELNS1_3gpuE2ELNS1_3repE0EEENS1_30default_config_static_selectorELNS0_4arch9wavefront6targetE0EEEvT1_
	.p2align	8
	.type	_ZN7rocprim17ROCPRIM_400000_NS6detail17trampoline_kernelINS0_14default_configENS1_29reduce_by_key_config_selectorIiiN6thrust23THRUST_200600_302600_NS4plusIiEEEEZZNS1_33reduce_by_key_impl_wrapped_configILNS1_25lookback_scan_determinismE0ES3_S9_NS6_10device_ptrIiEESD_SD_SD_PmS8_NS6_8equal_toIiEEEE10hipError_tPvRmT2_T3_mT4_T5_T6_T7_T8_P12ihipStream_tbENKUlT_T0_E_clISt17integral_constantIbLb1EESY_EEDaST_SU_EUlST_E_NS1_11comp_targetILNS1_3genE8ELNS1_11target_archE1030ELNS1_3gpuE2ELNS1_3repE0EEENS1_30default_config_static_selectorELNS0_4arch9wavefront6targetE0EEEvT1_,@function
_ZN7rocprim17ROCPRIM_400000_NS6detail17trampoline_kernelINS0_14default_configENS1_29reduce_by_key_config_selectorIiiN6thrust23THRUST_200600_302600_NS4plusIiEEEEZZNS1_33reduce_by_key_impl_wrapped_configILNS1_25lookback_scan_determinismE0ES3_S9_NS6_10device_ptrIiEESD_SD_SD_PmS8_NS6_8equal_toIiEEEE10hipError_tPvRmT2_T3_mT4_T5_T6_T7_T8_P12ihipStream_tbENKUlT_T0_E_clISt17integral_constantIbLb1EESY_EEDaST_SU_EUlST_E_NS1_11comp_targetILNS1_3genE8ELNS1_11target_archE1030ELNS1_3gpuE2ELNS1_3repE0EEENS1_30default_config_static_selectorELNS0_4arch9wavefront6targetE0EEEvT1_: ; @_ZN7rocprim17ROCPRIM_400000_NS6detail17trampoline_kernelINS0_14default_configENS1_29reduce_by_key_config_selectorIiiN6thrust23THRUST_200600_302600_NS4plusIiEEEEZZNS1_33reduce_by_key_impl_wrapped_configILNS1_25lookback_scan_determinismE0ES3_S9_NS6_10device_ptrIiEESD_SD_SD_PmS8_NS6_8equal_toIiEEEE10hipError_tPvRmT2_T3_mT4_T5_T6_T7_T8_P12ihipStream_tbENKUlT_T0_E_clISt17integral_constantIbLb1EESY_EEDaST_SU_EUlST_E_NS1_11comp_targetILNS1_3genE8ELNS1_11target_archE1030ELNS1_3gpuE2ELNS1_3repE0EEENS1_30default_config_static_selectorELNS0_4arch9wavefront6targetE0EEEvT1_
; %bb.0:
	.section	.rodata,"a",@progbits
	.p2align	6, 0x0
	.amdhsa_kernel _ZN7rocprim17ROCPRIM_400000_NS6detail17trampoline_kernelINS0_14default_configENS1_29reduce_by_key_config_selectorIiiN6thrust23THRUST_200600_302600_NS4plusIiEEEEZZNS1_33reduce_by_key_impl_wrapped_configILNS1_25lookback_scan_determinismE0ES3_S9_NS6_10device_ptrIiEESD_SD_SD_PmS8_NS6_8equal_toIiEEEE10hipError_tPvRmT2_T3_mT4_T5_T6_T7_T8_P12ihipStream_tbENKUlT_T0_E_clISt17integral_constantIbLb1EESY_EEDaST_SU_EUlST_E_NS1_11comp_targetILNS1_3genE8ELNS1_11target_archE1030ELNS1_3gpuE2ELNS1_3repE0EEENS1_30default_config_static_selectorELNS0_4arch9wavefront6targetE0EEEvT1_
		.amdhsa_group_segment_fixed_size 0
		.amdhsa_private_segment_fixed_size 0
		.amdhsa_kernarg_size 120
		.amdhsa_user_sgpr_count 15
		.amdhsa_user_sgpr_dispatch_ptr 0
		.amdhsa_user_sgpr_queue_ptr 0
		.amdhsa_user_sgpr_kernarg_segment_ptr 1
		.amdhsa_user_sgpr_dispatch_id 0
		.amdhsa_user_sgpr_private_segment_size 0
		.amdhsa_wavefront_size32 1
		.amdhsa_uses_dynamic_stack 0
		.amdhsa_enable_private_segment 0
		.amdhsa_system_sgpr_workgroup_id_x 1
		.amdhsa_system_sgpr_workgroup_id_y 0
		.amdhsa_system_sgpr_workgroup_id_z 0
		.amdhsa_system_sgpr_workgroup_info 0
		.amdhsa_system_vgpr_workitem_id 0
		.amdhsa_next_free_vgpr 1
		.amdhsa_next_free_sgpr 1
		.amdhsa_reserve_vcc 0
		.amdhsa_float_round_mode_32 0
		.amdhsa_float_round_mode_16_64 0
		.amdhsa_float_denorm_mode_32 3
		.amdhsa_float_denorm_mode_16_64 3
		.amdhsa_dx10_clamp 1
		.amdhsa_ieee_mode 1
		.amdhsa_fp16_overflow 0
		.amdhsa_workgroup_processor_mode 1
		.amdhsa_memory_ordered 1
		.amdhsa_forward_progress 0
		.amdhsa_shared_vgpr_count 0
		.amdhsa_exception_fp_ieee_invalid_op 0
		.amdhsa_exception_fp_denorm_src 0
		.amdhsa_exception_fp_ieee_div_zero 0
		.amdhsa_exception_fp_ieee_overflow 0
		.amdhsa_exception_fp_ieee_underflow 0
		.amdhsa_exception_fp_ieee_inexact 0
		.amdhsa_exception_int_div_zero 0
	.end_amdhsa_kernel
	.section	.text._ZN7rocprim17ROCPRIM_400000_NS6detail17trampoline_kernelINS0_14default_configENS1_29reduce_by_key_config_selectorIiiN6thrust23THRUST_200600_302600_NS4plusIiEEEEZZNS1_33reduce_by_key_impl_wrapped_configILNS1_25lookback_scan_determinismE0ES3_S9_NS6_10device_ptrIiEESD_SD_SD_PmS8_NS6_8equal_toIiEEEE10hipError_tPvRmT2_T3_mT4_T5_T6_T7_T8_P12ihipStream_tbENKUlT_T0_E_clISt17integral_constantIbLb1EESY_EEDaST_SU_EUlST_E_NS1_11comp_targetILNS1_3genE8ELNS1_11target_archE1030ELNS1_3gpuE2ELNS1_3repE0EEENS1_30default_config_static_selectorELNS0_4arch9wavefront6targetE0EEEvT1_,"axG",@progbits,_ZN7rocprim17ROCPRIM_400000_NS6detail17trampoline_kernelINS0_14default_configENS1_29reduce_by_key_config_selectorIiiN6thrust23THRUST_200600_302600_NS4plusIiEEEEZZNS1_33reduce_by_key_impl_wrapped_configILNS1_25lookback_scan_determinismE0ES3_S9_NS6_10device_ptrIiEESD_SD_SD_PmS8_NS6_8equal_toIiEEEE10hipError_tPvRmT2_T3_mT4_T5_T6_T7_T8_P12ihipStream_tbENKUlT_T0_E_clISt17integral_constantIbLb1EESY_EEDaST_SU_EUlST_E_NS1_11comp_targetILNS1_3genE8ELNS1_11target_archE1030ELNS1_3gpuE2ELNS1_3repE0EEENS1_30default_config_static_selectorELNS0_4arch9wavefront6targetE0EEEvT1_,comdat
.Lfunc_end1111:
	.size	_ZN7rocprim17ROCPRIM_400000_NS6detail17trampoline_kernelINS0_14default_configENS1_29reduce_by_key_config_selectorIiiN6thrust23THRUST_200600_302600_NS4plusIiEEEEZZNS1_33reduce_by_key_impl_wrapped_configILNS1_25lookback_scan_determinismE0ES3_S9_NS6_10device_ptrIiEESD_SD_SD_PmS8_NS6_8equal_toIiEEEE10hipError_tPvRmT2_T3_mT4_T5_T6_T7_T8_P12ihipStream_tbENKUlT_T0_E_clISt17integral_constantIbLb1EESY_EEDaST_SU_EUlST_E_NS1_11comp_targetILNS1_3genE8ELNS1_11target_archE1030ELNS1_3gpuE2ELNS1_3repE0EEENS1_30default_config_static_selectorELNS0_4arch9wavefront6targetE0EEEvT1_, .Lfunc_end1111-_ZN7rocprim17ROCPRIM_400000_NS6detail17trampoline_kernelINS0_14default_configENS1_29reduce_by_key_config_selectorIiiN6thrust23THRUST_200600_302600_NS4plusIiEEEEZZNS1_33reduce_by_key_impl_wrapped_configILNS1_25lookback_scan_determinismE0ES3_S9_NS6_10device_ptrIiEESD_SD_SD_PmS8_NS6_8equal_toIiEEEE10hipError_tPvRmT2_T3_mT4_T5_T6_T7_T8_P12ihipStream_tbENKUlT_T0_E_clISt17integral_constantIbLb1EESY_EEDaST_SU_EUlST_E_NS1_11comp_targetILNS1_3genE8ELNS1_11target_archE1030ELNS1_3gpuE2ELNS1_3repE0EEENS1_30default_config_static_selectorELNS0_4arch9wavefront6targetE0EEEvT1_
                                        ; -- End function
	.section	.AMDGPU.csdata,"",@progbits
; Kernel info:
; codeLenInByte = 0
; NumSgprs: 0
; NumVgprs: 0
; ScratchSize: 0
; MemoryBound: 0
; FloatMode: 240
; IeeeMode: 1
; LDSByteSize: 0 bytes/workgroup (compile time only)
; SGPRBlocks: 0
; VGPRBlocks: 0
; NumSGPRsForWavesPerEU: 1
; NumVGPRsForWavesPerEU: 1
; Occupancy: 16
; WaveLimiterHint : 0
; COMPUTE_PGM_RSRC2:SCRATCH_EN: 0
; COMPUTE_PGM_RSRC2:USER_SGPR: 15
; COMPUTE_PGM_RSRC2:TRAP_HANDLER: 0
; COMPUTE_PGM_RSRC2:TGID_X_EN: 1
; COMPUTE_PGM_RSRC2:TGID_Y_EN: 0
; COMPUTE_PGM_RSRC2:TGID_Z_EN: 0
; COMPUTE_PGM_RSRC2:TIDIG_COMP_CNT: 0
	.section	.text._ZN7rocprim17ROCPRIM_400000_NS6detail17trampoline_kernelINS0_14default_configENS1_29reduce_by_key_config_selectorIiiN6thrust23THRUST_200600_302600_NS4plusIiEEEEZZNS1_33reduce_by_key_impl_wrapped_configILNS1_25lookback_scan_determinismE0ES3_S9_NS6_10device_ptrIiEESD_SD_SD_PmS8_NS6_8equal_toIiEEEE10hipError_tPvRmT2_T3_mT4_T5_T6_T7_T8_P12ihipStream_tbENKUlT_T0_E_clISt17integral_constantIbLb1EESX_IbLb0EEEEDaST_SU_EUlST_E_NS1_11comp_targetILNS1_3genE0ELNS1_11target_archE4294967295ELNS1_3gpuE0ELNS1_3repE0EEENS1_30default_config_static_selectorELNS0_4arch9wavefront6targetE0EEEvT1_,"axG",@progbits,_ZN7rocprim17ROCPRIM_400000_NS6detail17trampoline_kernelINS0_14default_configENS1_29reduce_by_key_config_selectorIiiN6thrust23THRUST_200600_302600_NS4plusIiEEEEZZNS1_33reduce_by_key_impl_wrapped_configILNS1_25lookback_scan_determinismE0ES3_S9_NS6_10device_ptrIiEESD_SD_SD_PmS8_NS6_8equal_toIiEEEE10hipError_tPvRmT2_T3_mT4_T5_T6_T7_T8_P12ihipStream_tbENKUlT_T0_E_clISt17integral_constantIbLb1EESX_IbLb0EEEEDaST_SU_EUlST_E_NS1_11comp_targetILNS1_3genE0ELNS1_11target_archE4294967295ELNS1_3gpuE0ELNS1_3repE0EEENS1_30default_config_static_selectorELNS0_4arch9wavefront6targetE0EEEvT1_,comdat
	.protected	_ZN7rocprim17ROCPRIM_400000_NS6detail17trampoline_kernelINS0_14default_configENS1_29reduce_by_key_config_selectorIiiN6thrust23THRUST_200600_302600_NS4plusIiEEEEZZNS1_33reduce_by_key_impl_wrapped_configILNS1_25lookback_scan_determinismE0ES3_S9_NS6_10device_ptrIiEESD_SD_SD_PmS8_NS6_8equal_toIiEEEE10hipError_tPvRmT2_T3_mT4_T5_T6_T7_T8_P12ihipStream_tbENKUlT_T0_E_clISt17integral_constantIbLb1EESX_IbLb0EEEEDaST_SU_EUlST_E_NS1_11comp_targetILNS1_3genE0ELNS1_11target_archE4294967295ELNS1_3gpuE0ELNS1_3repE0EEENS1_30default_config_static_selectorELNS0_4arch9wavefront6targetE0EEEvT1_ ; -- Begin function _ZN7rocprim17ROCPRIM_400000_NS6detail17trampoline_kernelINS0_14default_configENS1_29reduce_by_key_config_selectorIiiN6thrust23THRUST_200600_302600_NS4plusIiEEEEZZNS1_33reduce_by_key_impl_wrapped_configILNS1_25lookback_scan_determinismE0ES3_S9_NS6_10device_ptrIiEESD_SD_SD_PmS8_NS6_8equal_toIiEEEE10hipError_tPvRmT2_T3_mT4_T5_T6_T7_T8_P12ihipStream_tbENKUlT_T0_E_clISt17integral_constantIbLb1EESX_IbLb0EEEEDaST_SU_EUlST_E_NS1_11comp_targetILNS1_3genE0ELNS1_11target_archE4294967295ELNS1_3gpuE0ELNS1_3repE0EEENS1_30default_config_static_selectorELNS0_4arch9wavefront6targetE0EEEvT1_
	.globl	_ZN7rocprim17ROCPRIM_400000_NS6detail17trampoline_kernelINS0_14default_configENS1_29reduce_by_key_config_selectorIiiN6thrust23THRUST_200600_302600_NS4plusIiEEEEZZNS1_33reduce_by_key_impl_wrapped_configILNS1_25lookback_scan_determinismE0ES3_S9_NS6_10device_ptrIiEESD_SD_SD_PmS8_NS6_8equal_toIiEEEE10hipError_tPvRmT2_T3_mT4_T5_T6_T7_T8_P12ihipStream_tbENKUlT_T0_E_clISt17integral_constantIbLb1EESX_IbLb0EEEEDaST_SU_EUlST_E_NS1_11comp_targetILNS1_3genE0ELNS1_11target_archE4294967295ELNS1_3gpuE0ELNS1_3repE0EEENS1_30default_config_static_selectorELNS0_4arch9wavefront6targetE0EEEvT1_
	.p2align	8
	.type	_ZN7rocprim17ROCPRIM_400000_NS6detail17trampoline_kernelINS0_14default_configENS1_29reduce_by_key_config_selectorIiiN6thrust23THRUST_200600_302600_NS4plusIiEEEEZZNS1_33reduce_by_key_impl_wrapped_configILNS1_25lookback_scan_determinismE0ES3_S9_NS6_10device_ptrIiEESD_SD_SD_PmS8_NS6_8equal_toIiEEEE10hipError_tPvRmT2_T3_mT4_T5_T6_T7_T8_P12ihipStream_tbENKUlT_T0_E_clISt17integral_constantIbLb1EESX_IbLb0EEEEDaST_SU_EUlST_E_NS1_11comp_targetILNS1_3genE0ELNS1_11target_archE4294967295ELNS1_3gpuE0ELNS1_3repE0EEENS1_30default_config_static_selectorELNS0_4arch9wavefront6targetE0EEEvT1_,@function
_ZN7rocprim17ROCPRIM_400000_NS6detail17trampoline_kernelINS0_14default_configENS1_29reduce_by_key_config_selectorIiiN6thrust23THRUST_200600_302600_NS4plusIiEEEEZZNS1_33reduce_by_key_impl_wrapped_configILNS1_25lookback_scan_determinismE0ES3_S9_NS6_10device_ptrIiEESD_SD_SD_PmS8_NS6_8equal_toIiEEEE10hipError_tPvRmT2_T3_mT4_T5_T6_T7_T8_P12ihipStream_tbENKUlT_T0_E_clISt17integral_constantIbLb1EESX_IbLb0EEEEDaST_SU_EUlST_E_NS1_11comp_targetILNS1_3genE0ELNS1_11target_archE4294967295ELNS1_3gpuE0ELNS1_3repE0EEENS1_30default_config_static_selectorELNS0_4arch9wavefront6targetE0EEEvT1_: ; @_ZN7rocprim17ROCPRIM_400000_NS6detail17trampoline_kernelINS0_14default_configENS1_29reduce_by_key_config_selectorIiiN6thrust23THRUST_200600_302600_NS4plusIiEEEEZZNS1_33reduce_by_key_impl_wrapped_configILNS1_25lookback_scan_determinismE0ES3_S9_NS6_10device_ptrIiEESD_SD_SD_PmS8_NS6_8equal_toIiEEEE10hipError_tPvRmT2_T3_mT4_T5_T6_T7_T8_P12ihipStream_tbENKUlT_T0_E_clISt17integral_constantIbLb1EESX_IbLb0EEEEDaST_SU_EUlST_E_NS1_11comp_targetILNS1_3genE0ELNS1_11target_archE4294967295ELNS1_3gpuE0ELNS1_3repE0EEENS1_30default_config_static_selectorELNS0_4arch9wavefront6targetE0EEEvT1_
; %bb.0:
	.section	.rodata,"a",@progbits
	.p2align	6, 0x0
	.amdhsa_kernel _ZN7rocprim17ROCPRIM_400000_NS6detail17trampoline_kernelINS0_14default_configENS1_29reduce_by_key_config_selectorIiiN6thrust23THRUST_200600_302600_NS4plusIiEEEEZZNS1_33reduce_by_key_impl_wrapped_configILNS1_25lookback_scan_determinismE0ES3_S9_NS6_10device_ptrIiEESD_SD_SD_PmS8_NS6_8equal_toIiEEEE10hipError_tPvRmT2_T3_mT4_T5_T6_T7_T8_P12ihipStream_tbENKUlT_T0_E_clISt17integral_constantIbLb1EESX_IbLb0EEEEDaST_SU_EUlST_E_NS1_11comp_targetILNS1_3genE0ELNS1_11target_archE4294967295ELNS1_3gpuE0ELNS1_3repE0EEENS1_30default_config_static_selectorELNS0_4arch9wavefront6targetE0EEEvT1_
		.amdhsa_group_segment_fixed_size 0
		.amdhsa_private_segment_fixed_size 0
		.amdhsa_kernarg_size 120
		.amdhsa_user_sgpr_count 15
		.amdhsa_user_sgpr_dispatch_ptr 0
		.amdhsa_user_sgpr_queue_ptr 0
		.amdhsa_user_sgpr_kernarg_segment_ptr 1
		.amdhsa_user_sgpr_dispatch_id 0
		.amdhsa_user_sgpr_private_segment_size 0
		.amdhsa_wavefront_size32 1
		.amdhsa_uses_dynamic_stack 0
		.amdhsa_enable_private_segment 0
		.amdhsa_system_sgpr_workgroup_id_x 1
		.amdhsa_system_sgpr_workgroup_id_y 0
		.amdhsa_system_sgpr_workgroup_id_z 0
		.amdhsa_system_sgpr_workgroup_info 0
		.amdhsa_system_vgpr_workitem_id 0
		.amdhsa_next_free_vgpr 1
		.amdhsa_next_free_sgpr 1
		.amdhsa_reserve_vcc 0
		.amdhsa_float_round_mode_32 0
		.amdhsa_float_round_mode_16_64 0
		.amdhsa_float_denorm_mode_32 3
		.amdhsa_float_denorm_mode_16_64 3
		.amdhsa_dx10_clamp 1
		.amdhsa_ieee_mode 1
		.amdhsa_fp16_overflow 0
		.amdhsa_workgroup_processor_mode 1
		.amdhsa_memory_ordered 1
		.amdhsa_forward_progress 0
		.amdhsa_shared_vgpr_count 0
		.amdhsa_exception_fp_ieee_invalid_op 0
		.amdhsa_exception_fp_denorm_src 0
		.amdhsa_exception_fp_ieee_div_zero 0
		.amdhsa_exception_fp_ieee_overflow 0
		.amdhsa_exception_fp_ieee_underflow 0
		.amdhsa_exception_fp_ieee_inexact 0
		.amdhsa_exception_int_div_zero 0
	.end_amdhsa_kernel
	.section	.text._ZN7rocprim17ROCPRIM_400000_NS6detail17trampoline_kernelINS0_14default_configENS1_29reduce_by_key_config_selectorIiiN6thrust23THRUST_200600_302600_NS4plusIiEEEEZZNS1_33reduce_by_key_impl_wrapped_configILNS1_25lookback_scan_determinismE0ES3_S9_NS6_10device_ptrIiEESD_SD_SD_PmS8_NS6_8equal_toIiEEEE10hipError_tPvRmT2_T3_mT4_T5_T6_T7_T8_P12ihipStream_tbENKUlT_T0_E_clISt17integral_constantIbLb1EESX_IbLb0EEEEDaST_SU_EUlST_E_NS1_11comp_targetILNS1_3genE0ELNS1_11target_archE4294967295ELNS1_3gpuE0ELNS1_3repE0EEENS1_30default_config_static_selectorELNS0_4arch9wavefront6targetE0EEEvT1_,"axG",@progbits,_ZN7rocprim17ROCPRIM_400000_NS6detail17trampoline_kernelINS0_14default_configENS1_29reduce_by_key_config_selectorIiiN6thrust23THRUST_200600_302600_NS4plusIiEEEEZZNS1_33reduce_by_key_impl_wrapped_configILNS1_25lookback_scan_determinismE0ES3_S9_NS6_10device_ptrIiEESD_SD_SD_PmS8_NS6_8equal_toIiEEEE10hipError_tPvRmT2_T3_mT4_T5_T6_T7_T8_P12ihipStream_tbENKUlT_T0_E_clISt17integral_constantIbLb1EESX_IbLb0EEEEDaST_SU_EUlST_E_NS1_11comp_targetILNS1_3genE0ELNS1_11target_archE4294967295ELNS1_3gpuE0ELNS1_3repE0EEENS1_30default_config_static_selectorELNS0_4arch9wavefront6targetE0EEEvT1_,comdat
.Lfunc_end1112:
	.size	_ZN7rocprim17ROCPRIM_400000_NS6detail17trampoline_kernelINS0_14default_configENS1_29reduce_by_key_config_selectorIiiN6thrust23THRUST_200600_302600_NS4plusIiEEEEZZNS1_33reduce_by_key_impl_wrapped_configILNS1_25lookback_scan_determinismE0ES3_S9_NS6_10device_ptrIiEESD_SD_SD_PmS8_NS6_8equal_toIiEEEE10hipError_tPvRmT2_T3_mT4_T5_T6_T7_T8_P12ihipStream_tbENKUlT_T0_E_clISt17integral_constantIbLb1EESX_IbLb0EEEEDaST_SU_EUlST_E_NS1_11comp_targetILNS1_3genE0ELNS1_11target_archE4294967295ELNS1_3gpuE0ELNS1_3repE0EEENS1_30default_config_static_selectorELNS0_4arch9wavefront6targetE0EEEvT1_, .Lfunc_end1112-_ZN7rocprim17ROCPRIM_400000_NS6detail17trampoline_kernelINS0_14default_configENS1_29reduce_by_key_config_selectorIiiN6thrust23THRUST_200600_302600_NS4plusIiEEEEZZNS1_33reduce_by_key_impl_wrapped_configILNS1_25lookback_scan_determinismE0ES3_S9_NS6_10device_ptrIiEESD_SD_SD_PmS8_NS6_8equal_toIiEEEE10hipError_tPvRmT2_T3_mT4_T5_T6_T7_T8_P12ihipStream_tbENKUlT_T0_E_clISt17integral_constantIbLb1EESX_IbLb0EEEEDaST_SU_EUlST_E_NS1_11comp_targetILNS1_3genE0ELNS1_11target_archE4294967295ELNS1_3gpuE0ELNS1_3repE0EEENS1_30default_config_static_selectorELNS0_4arch9wavefront6targetE0EEEvT1_
                                        ; -- End function
	.section	.AMDGPU.csdata,"",@progbits
; Kernel info:
; codeLenInByte = 0
; NumSgprs: 0
; NumVgprs: 0
; ScratchSize: 0
; MemoryBound: 0
; FloatMode: 240
; IeeeMode: 1
; LDSByteSize: 0 bytes/workgroup (compile time only)
; SGPRBlocks: 0
; VGPRBlocks: 0
; NumSGPRsForWavesPerEU: 1
; NumVGPRsForWavesPerEU: 1
; Occupancy: 16
; WaveLimiterHint : 0
; COMPUTE_PGM_RSRC2:SCRATCH_EN: 0
; COMPUTE_PGM_RSRC2:USER_SGPR: 15
; COMPUTE_PGM_RSRC2:TRAP_HANDLER: 0
; COMPUTE_PGM_RSRC2:TGID_X_EN: 1
; COMPUTE_PGM_RSRC2:TGID_Y_EN: 0
; COMPUTE_PGM_RSRC2:TGID_Z_EN: 0
; COMPUTE_PGM_RSRC2:TIDIG_COMP_CNT: 0
	.section	.text._ZN7rocprim17ROCPRIM_400000_NS6detail17trampoline_kernelINS0_14default_configENS1_29reduce_by_key_config_selectorIiiN6thrust23THRUST_200600_302600_NS4plusIiEEEEZZNS1_33reduce_by_key_impl_wrapped_configILNS1_25lookback_scan_determinismE0ES3_S9_NS6_10device_ptrIiEESD_SD_SD_PmS8_NS6_8equal_toIiEEEE10hipError_tPvRmT2_T3_mT4_T5_T6_T7_T8_P12ihipStream_tbENKUlT_T0_E_clISt17integral_constantIbLb1EESX_IbLb0EEEEDaST_SU_EUlST_E_NS1_11comp_targetILNS1_3genE5ELNS1_11target_archE942ELNS1_3gpuE9ELNS1_3repE0EEENS1_30default_config_static_selectorELNS0_4arch9wavefront6targetE0EEEvT1_,"axG",@progbits,_ZN7rocprim17ROCPRIM_400000_NS6detail17trampoline_kernelINS0_14default_configENS1_29reduce_by_key_config_selectorIiiN6thrust23THRUST_200600_302600_NS4plusIiEEEEZZNS1_33reduce_by_key_impl_wrapped_configILNS1_25lookback_scan_determinismE0ES3_S9_NS6_10device_ptrIiEESD_SD_SD_PmS8_NS6_8equal_toIiEEEE10hipError_tPvRmT2_T3_mT4_T5_T6_T7_T8_P12ihipStream_tbENKUlT_T0_E_clISt17integral_constantIbLb1EESX_IbLb0EEEEDaST_SU_EUlST_E_NS1_11comp_targetILNS1_3genE5ELNS1_11target_archE942ELNS1_3gpuE9ELNS1_3repE0EEENS1_30default_config_static_selectorELNS0_4arch9wavefront6targetE0EEEvT1_,comdat
	.protected	_ZN7rocprim17ROCPRIM_400000_NS6detail17trampoline_kernelINS0_14default_configENS1_29reduce_by_key_config_selectorIiiN6thrust23THRUST_200600_302600_NS4plusIiEEEEZZNS1_33reduce_by_key_impl_wrapped_configILNS1_25lookback_scan_determinismE0ES3_S9_NS6_10device_ptrIiEESD_SD_SD_PmS8_NS6_8equal_toIiEEEE10hipError_tPvRmT2_T3_mT4_T5_T6_T7_T8_P12ihipStream_tbENKUlT_T0_E_clISt17integral_constantIbLb1EESX_IbLb0EEEEDaST_SU_EUlST_E_NS1_11comp_targetILNS1_3genE5ELNS1_11target_archE942ELNS1_3gpuE9ELNS1_3repE0EEENS1_30default_config_static_selectorELNS0_4arch9wavefront6targetE0EEEvT1_ ; -- Begin function _ZN7rocprim17ROCPRIM_400000_NS6detail17trampoline_kernelINS0_14default_configENS1_29reduce_by_key_config_selectorIiiN6thrust23THRUST_200600_302600_NS4plusIiEEEEZZNS1_33reduce_by_key_impl_wrapped_configILNS1_25lookback_scan_determinismE0ES3_S9_NS6_10device_ptrIiEESD_SD_SD_PmS8_NS6_8equal_toIiEEEE10hipError_tPvRmT2_T3_mT4_T5_T6_T7_T8_P12ihipStream_tbENKUlT_T0_E_clISt17integral_constantIbLb1EESX_IbLb0EEEEDaST_SU_EUlST_E_NS1_11comp_targetILNS1_3genE5ELNS1_11target_archE942ELNS1_3gpuE9ELNS1_3repE0EEENS1_30default_config_static_selectorELNS0_4arch9wavefront6targetE0EEEvT1_
	.globl	_ZN7rocprim17ROCPRIM_400000_NS6detail17trampoline_kernelINS0_14default_configENS1_29reduce_by_key_config_selectorIiiN6thrust23THRUST_200600_302600_NS4plusIiEEEEZZNS1_33reduce_by_key_impl_wrapped_configILNS1_25lookback_scan_determinismE0ES3_S9_NS6_10device_ptrIiEESD_SD_SD_PmS8_NS6_8equal_toIiEEEE10hipError_tPvRmT2_T3_mT4_T5_T6_T7_T8_P12ihipStream_tbENKUlT_T0_E_clISt17integral_constantIbLb1EESX_IbLb0EEEEDaST_SU_EUlST_E_NS1_11comp_targetILNS1_3genE5ELNS1_11target_archE942ELNS1_3gpuE9ELNS1_3repE0EEENS1_30default_config_static_selectorELNS0_4arch9wavefront6targetE0EEEvT1_
	.p2align	8
	.type	_ZN7rocprim17ROCPRIM_400000_NS6detail17trampoline_kernelINS0_14default_configENS1_29reduce_by_key_config_selectorIiiN6thrust23THRUST_200600_302600_NS4plusIiEEEEZZNS1_33reduce_by_key_impl_wrapped_configILNS1_25lookback_scan_determinismE0ES3_S9_NS6_10device_ptrIiEESD_SD_SD_PmS8_NS6_8equal_toIiEEEE10hipError_tPvRmT2_T3_mT4_T5_T6_T7_T8_P12ihipStream_tbENKUlT_T0_E_clISt17integral_constantIbLb1EESX_IbLb0EEEEDaST_SU_EUlST_E_NS1_11comp_targetILNS1_3genE5ELNS1_11target_archE942ELNS1_3gpuE9ELNS1_3repE0EEENS1_30default_config_static_selectorELNS0_4arch9wavefront6targetE0EEEvT1_,@function
_ZN7rocprim17ROCPRIM_400000_NS6detail17trampoline_kernelINS0_14default_configENS1_29reduce_by_key_config_selectorIiiN6thrust23THRUST_200600_302600_NS4plusIiEEEEZZNS1_33reduce_by_key_impl_wrapped_configILNS1_25lookback_scan_determinismE0ES3_S9_NS6_10device_ptrIiEESD_SD_SD_PmS8_NS6_8equal_toIiEEEE10hipError_tPvRmT2_T3_mT4_T5_T6_T7_T8_P12ihipStream_tbENKUlT_T0_E_clISt17integral_constantIbLb1EESX_IbLb0EEEEDaST_SU_EUlST_E_NS1_11comp_targetILNS1_3genE5ELNS1_11target_archE942ELNS1_3gpuE9ELNS1_3repE0EEENS1_30default_config_static_selectorELNS0_4arch9wavefront6targetE0EEEvT1_: ; @_ZN7rocprim17ROCPRIM_400000_NS6detail17trampoline_kernelINS0_14default_configENS1_29reduce_by_key_config_selectorIiiN6thrust23THRUST_200600_302600_NS4plusIiEEEEZZNS1_33reduce_by_key_impl_wrapped_configILNS1_25lookback_scan_determinismE0ES3_S9_NS6_10device_ptrIiEESD_SD_SD_PmS8_NS6_8equal_toIiEEEE10hipError_tPvRmT2_T3_mT4_T5_T6_T7_T8_P12ihipStream_tbENKUlT_T0_E_clISt17integral_constantIbLb1EESX_IbLb0EEEEDaST_SU_EUlST_E_NS1_11comp_targetILNS1_3genE5ELNS1_11target_archE942ELNS1_3gpuE9ELNS1_3repE0EEENS1_30default_config_static_selectorELNS0_4arch9wavefront6targetE0EEEvT1_
; %bb.0:
	.section	.rodata,"a",@progbits
	.p2align	6, 0x0
	.amdhsa_kernel _ZN7rocprim17ROCPRIM_400000_NS6detail17trampoline_kernelINS0_14default_configENS1_29reduce_by_key_config_selectorIiiN6thrust23THRUST_200600_302600_NS4plusIiEEEEZZNS1_33reduce_by_key_impl_wrapped_configILNS1_25lookback_scan_determinismE0ES3_S9_NS6_10device_ptrIiEESD_SD_SD_PmS8_NS6_8equal_toIiEEEE10hipError_tPvRmT2_T3_mT4_T5_T6_T7_T8_P12ihipStream_tbENKUlT_T0_E_clISt17integral_constantIbLb1EESX_IbLb0EEEEDaST_SU_EUlST_E_NS1_11comp_targetILNS1_3genE5ELNS1_11target_archE942ELNS1_3gpuE9ELNS1_3repE0EEENS1_30default_config_static_selectorELNS0_4arch9wavefront6targetE0EEEvT1_
		.amdhsa_group_segment_fixed_size 0
		.amdhsa_private_segment_fixed_size 0
		.amdhsa_kernarg_size 120
		.amdhsa_user_sgpr_count 15
		.amdhsa_user_sgpr_dispatch_ptr 0
		.amdhsa_user_sgpr_queue_ptr 0
		.amdhsa_user_sgpr_kernarg_segment_ptr 1
		.amdhsa_user_sgpr_dispatch_id 0
		.amdhsa_user_sgpr_private_segment_size 0
		.amdhsa_wavefront_size32 1
		.amdhsa_uses_dynamic_stack 0
		.amdhsa_enable_private_segment 0
		.amdhsa_system_sgpr_workgroup_id_x 1
		.amdhsa_system_sgpr_workgroup_id_y 0
		.amdhsa_system_sgpr_workgroup_id_z 0
		.amdhsa_system_sgpr_workgroup_info 0
		.amdhsa_system_vgpr_workitem_id 0
		.amdhsa_next_free_vgpr 1
		.amdhsa_next_free_sgpr 1
		.amdhsa_reserve_vcc 0
		.amdhsa_float_round_mode_32 0
		.amdhsa_float_round_mode_16_64 0
		.amdhsa_float_denorm_mode_32 3
		.amdhsa_float_denorm_mode_16_64 3
		.amdhsa_dx10_clamp 1
		.amdhsa_ieee_mode 1
		.amdhsa_fp16_overflow 0
		.amdhsa_workgroup_processor_mode 1
		.amdhsa_memory_ordered 1
		.amdhsa_forward_progress 0
		.amdhsa_shared_vgpr_count 0
		.amdhsa_exception_fp_ieee_invalid_op 0
		.amdhsa_exception_fp_denorm_src 0
		.amdhsa_exception_fp_ieee_div_zero 0
		.amdhsa_exception_fp_ieee_overflow 0
		.amdhsa_exception_fp_ieee_underflow 0
		.amdhsa_exception_fp_ieee_inexact 0
		.amdhsa_exception_int_div_zero 0
	.end_amdhsa_kernel
	.section	.text._ZN7rocprim17ROCPRIM_400000_NS6detail17trampoline_kernelINS0_14default_configENS1_29reduce_by_key_config_selectorIiiN6thrust23THRUST_200600_302600_NS4plusIiEEEEZZNS1_33reduce_by_key_impl_wrapped_configILNS1_25lookback_scan_determinismE0ES3_S9_NS6_10device_ptrIiEESD_SD_SD_PmS8_NS6_8equal_toIiEEEE10hipError_tPvRmT2_T3_mT4_T5_T6_T7_T8_P12ihipStream_tbENKUlT_T0_E_clISt17integral_constantIbLb1EESX_IbLb0EEEEDaST_SU_EUlST_E_NS1_11comp_targetILNS1_3genE5ELNS1_11target_archE942ELNS1_3gpuE9ELNS1_3repE0EEENS1_30default_config_static_selectorELNS0_4arch9wavefront6targetE0EEEvT1_,"axG",@progbits,_ZN7rocprim17ROCPRIM_400000_NS6detail17trampoline_kernelINS0_14default_configENS1_29reduce_by_key_config_selectorIiiN6thrust23THRUST_200600_302600_NS4plusIiEEEEZZNS1_33reduce_by_key_impl_wrapped_configILNS1_25lookback_scan_determinismE0ES3_S9_NS6_10device_ptrIiEESD_SD_SD_PmS8_NS6_8equal_toIiEEEE10hipError_tPvRmT2_T3_mT4_T5_T6_T7_T8_P12ihipStream_tbENKUlT_T0_E_clISt17integral_constantIbLb1EESX_IbLb0EEEEDaST_SU_EUlST_E_NS1_11comp_targetILNS1_3genE5ELNS1_11target_archE942ELNS1_3gpuE9ELNS1_3repE0EEENS1_30default_config_static_selectorELNS0_4arch9wavefront6targetE0EEEvT1_,comdat
.Lfunc_end1113:
	.size	_ZN7rocprim17ROCPRIM_400000_NS6detail17trampoline_kernelINS0_14default_configENS1_29reduce_by_key_config_selectorIiiN6thrust23THRUST_200600_302600_NS4plusIiEEEEZZNS1_33reduce_by_key_impl_wrapped_configILNS1_25lookback_scan_determinismE0ES3_S9_NS6_10device_ptrIiEESD_SD_SD_PmS8_NS6_8equal_toIiEEEE10hipError_tPvRmT2_T3_mT4_T5_T6_T7_T8_P12ihipStream_tbENKUlT_T0_E_clISt17integral_constantIbLb1EESX_IbLb0EEEEDaST_SU_EUlST_E_NS1_11comp_targetILNS1_3genE5ELNS1_11target_archE942ELNS1_3gpuE9ELNS1_3repE0EEENS1_30default_config_static_selectorELNS0_4arch9wavefront6targetE0EEEvT1_, .Lfunc_end1113-_ZN7rocprim17ROCPRIM_400000_NS6detail17trampoline_kernelINS0_14default_configENS1_29reduce_by_key_config_selectorIiiN6thrust23THRUST_200600_302600_NS4plusIiEEEEZZNS1_33reduce_by_key_impl_wrapped_configILNS1_25lookback_scan_determinismE0ES3_S9_NS6_10device_ptrIiEESD_SD_SD_PmS8_NS6_8equal_toIiEEEE10hipError_tPvRmT2_T3_mT4_T5_T6_T7_T8_P12ihipStream_tbENKUlT_T0_E_clISt17integral_constantIbLb1EESX_IbLb0EEEEDaST_SU_EUlST_E_NS1_11comp_targetILNS1_3genE5ELNS1_11target_archE942ELNS1_3gpuE9ELNS1_3repE0EEENS1_30default_config_static_selectorELNS0_4arch9wavefront6targetE0EEEvT1_
                                        ; -- End function
	.section	.AMDGPU.csdata,"",@progbits
; Kernel info:
; codeLenInByte = 0
; NumSgprs: 0
; NumVgprs: 0
; ScratchSize: 0
; MemoryBound: 0
; FloatMode: 240
; IeeeMode: 1
; LDSByteSize: 0 bytes/workgroup (compile time only)
; SGPRBlocks: 0
; VGPRBlocks: 0
; NumSGPRsForWavesPerEU: 1
; NumVGPRsForWavesPerEU: 1
; Occupancy: 16
; WaveLimiterHint : 0
; COMPUTE_PGM_RSRC2:SCRATCH_EN: 0
; COMPUTE_PGM_RSRC2:USER_SGPR: 15
; COMPUTE_PGM_RSRC2:TRAP_HANDLER: 0
; COMPUTE_PGM_RSRC2:TGID_X_EN: 1
; COMPUTE_PGM_RSRC2:TGID_Y_EN: 0
; COMPUTE_PGM_RSRC2:TGID_Z_EN: 0
; COMPUTE_PGM_RSRC2:TIDIG_COMP_CNT: 0
	.section	.text._ZN7rocprim17ROCPRIM_400000_NS6detail17trampoline_kernelINS0_14default_configENS1_29reduce_by_key_config_selectorIiiN6thrust23THRUST_200600_302600_NS4plusIiEEEEZZNS1_33reduce_by_key_impl_wrapped_configILNS1_25lookback_scan_determinismE0ES3_S9_NS6_10device_ptrIiEESD_SD_SD_PmS8_NS6_8equal_toIiEEEE10hipError_tPvRmT2_T3_mT4_T5_T6_T7_T8_P12ihipStream_tbENKUlT_T0_E_clISt17integral_constantIbLb1EESX_IbLb0EEEEDaST_SU_EUlST_E_NS1_11comp_targetILNS1_3genE4ELNS1_11target_archE910ELNS1_3gpuE8ELNS1_3repE0EEENS1_30default_config_static_selectorELNS0_4arch9wavefront6targetE0EEEvT1_,"axG",@progbits,_ZN7rocprim17ROCPRIM_400000_NS6detail17trampoline_kernelINS0_14default_configENS1_29reduce_by_key_config_selectorIiiN6thrust23THRUST_200600_302600_NS4plusIiEEEEZZNS1_33reduce_by_key_impl_wrapped_configILNS1_25lookback_scan_determinismE0ES3_S9_NS6_10device_ptrIiEESD_SD_SD_PmS8_NS6_8equal_toIiEEEE10hipError_tPvRmT2_T3_mT4_T5_T6_T7_T8_P12ihipStream_tbENKUlT_T0_E_clISt17integral_constantIbLb1EESX_IbLb0EEEEDaST_SU_EUlST_E_NS1_11comp_targetILNS1_3genE4ELNS1_11target_archE910ELNS1_3gpuE8ELNS1_3repE0EEENS1_30default_config_static_selectorELNS0_4arch9wavefront6targetE0EEEvT1_,comdat
	.protected	_ZN7rocprim17ROCPRIM_400000_NS6detail17trampoline_kernelINS0_14default_configENS1_29reduce_by_key_config_selectorIiiN6thrust23THRUST_200600_302600_NS4plusIiEEEEZZNS1_33reduce_by_key_impl_wrapped_configILNS1_25lookback_scan_determinismE0ES3_S9_NS6_10device_ptrIiEESD_SD_SD_PmS8_NS6_8equal_toIiEEEE10hipError_tPvRmT2_T3_mT4_T5_T6_T7_T8_P12ihipStream_tbENKUlT_T0_E_clISt17integral_constantIbLb1EESX_IbLb0EEEEDaST_SU_EUlST_E_NS1_11comp_targetILNS1_3genE4ELNS1_11target_archE910ELNS1_3gpuE8ELNS1_3repE0EEENS1_30default_config_static_selectorELNS0_4arch9wavefront6targetE0EEEvT1_ ; -- Begin function _ZN7rocprim17ROCPRIM_400000_NS6detail17trampoline_kernelINS0_14default_configENS1_29reduce_by_key_config_selectorIiiN6thrust23THRUST_200600_302600_NS4plusIiEEEEZZNS1_33reduce_by_key_impl_wrapped_configILNS1_25lookback_scan_determinismE0ES3_S9_NS6_10device_ptrIiEESD_SD_SD_PmS8_NS6_8equal_toIiEEEE10hipError_tPvRmT2_T3_mT4_T5_T6_T7_T8_P12ihipStream_tbENKUlT_T0_E_clISt17integral_constantIbLb1EESX_IbLb0EEEEDaST_SU_EUlST_E_NS1_11comp_targetILNS1_3genE4ELNS1_11target_archE910ELNS1_3gpuE8ELNS1_3repE0EEENS1_30default_config_static_selectorELNS0_4arch9wavefront6targetE0EEEvT1_
	.globl	_ZN7rocprim17ROCPRIM_400000_NS6detail17trampoline_kernelINS0_14default_configENS1_29reduce_by_key_config_selectorIiiN6thrust23THRUST_200600_302600_NS4plusIiEEEEZZNS1_33reduce_by_key_impl_wrapped_configILNS1_25lookback_scan_determinismE0ES3_S9_NS6_10device_ptrIiEESD_SD_SD_PmS8_NS6_8equal_toIiEEEE10hipError_tPvRmT2_T3_mT4_T5_T6_T7_T8_P12ihipStream_tbENKUlT_T0_E_clISt17integral_constantIbLb1EESX_IbLb0EEEEDaST_SU_EUlST_E_NS1_11comp_targetILNS1_3genE4ELNS1_11target_archE910ELNS1_3gpuE8ELNS1_3repE0EEENS1_30default_config_static_selectorELNS0_4arch9wavefront6targetE0EEEvT1_
	.p2align	8
	.type	_ZN7rocprim17ROCPRIM_400000_NS6detail17trampoline_kernelINS0_14default_configENS1_29reduce_by_key_config_selectorIiiN6thrust23THRUST_200600_302600_NS4plusIiEEEEZZNS1_33reduce_by_key_impl_wrapped_configILNS1_25lookback_scan_determinismE0ES3_S9_NS6_10device_ptrIiEESD_SD_SD_PmS8_NS6_8equal_toIiEEEE10hipError_tPvRmT2_T3_mT4_T5_T6_T7_T8_P12ihipStream_tbENKUlT_T0_E_clISt17integral_constantIbLb1EESX_IbLb0EEEEDaST_SU_EUlST_E_NS1_11comp_targetILNS1_3genE4ELNS1_11target_archE910ELNS1_3gpuE8ELNS1_3repE0EEENS1_30default_config_static_selectorELNS0_4arch9wavefront6targetE0EEEvT1_,@function
_ZN7rocprim17ROCPRIM_400000_NS6detail17trampoline_kernelINS0_14default_configENS1_29reduce_by_key_config_selectorIiiN6thrust23THRUST_200600_302600_NS4plusIiEEEEZZNS1_33reduce_by_key_impl_wrapped_configILNS1_25lookback_scan_determinismE0ES3_S9_NS6_10device_ptrIiEESD_SD_SD_PmS8_NS6_8equal_toIiEEEE10hipError_tPvRmT2_T3_mT4_T5_T6_T7_T8_P12ihipStream_tbENKUlT_T0_E_clISt17integral_constantIbLb1EESX_IbLb0EEEEDaST_SU_EUlST_E_NS1_11comp_targetILNS1_3genE4ELNS1_11target_archE910ELNS1_3gpuE8ELNS1_3repE0EEENS1_30default_config_static_selectorELNS0_4arch9wavefront6targetE0EEEvT1_: ; @_ZN7rocprim17ROCPRIM_400000_NS6detail17trampoline_kernelINS0_14default_configENS1_29reduce_by_key_config_selectorIiiN6thrust23THRUST_200600_302600_NS4plusIiEEEEZZNS1_33reduce_by_key_impl_wrapped_configILNS1_25lookback_scan_determinismE0ES3_S9_NS6_10device_ptrIiEESD_SD_SD_PmS8_NS6_8equal_toIiEEEE10hipError_tPvRmT2_T3_mT4_T5_T6_T7_T8_P12ihipStream_tbENKUlT_T0_E_clISt17integral_constantIbLb1EESX_IbLb0EEEEDaST_SU_EUlST_E_NS1_11comp_targetILNS1_3genE4ELNS1_11target_archE910ELNS1_3gpuE8ELNS1_3repE0EEENS1_30default_config_static_selectorELNS0_4arch9wavefront6targetE0EEEvT1_
; %bb.0:
	.section	.rodata,"a",@progbits
	.p2align	6, 0x0
	.amdhsa_kernel _ZN7rocprim17ROCPRIM_400000_NS6detail17trampoline_kernelINS0_14default_configENS1_29reduce_by_key_config_selectorIiiN6thrust23THRUST_200600_302600_NS4plusIiEEEEZZNS1_33reduce_by_key_impl_wrapped_configILNS1_25lookback_scan_determinismE0ES3_S9_NS6_10device_ptrIiEESD_SD_SD_PmS8_NS6_8equal_toIiEEEE10hipError_tPvRmT2_T3_mT4_T5_T6_T7_T8_P12ihipStream_tbENKUlT_T0_E_clISt17integral_constantIbLb1EESX_IbLb0EEEEDaST_SU_EUlST_E_NS1_11comp_targetILNS1_3genE4ELNS1_11target_archE910ELNS1_3gpuE8ELNS1_3repE0EEENS1_30default_config_static_selectorELNS0_4arch9wavefront6targetE0EEEvT1_
		.amdhsa_group_segment_fixed_size 0
		.amdhsa_private_segment_fixed_size 0
		.amdhsa_kernarg_size 120
		.amdhsa_user_sgpr_count 15
		.amdhsa_user_sgpr_dispatch_ptr 0
		.amdhsa_user_sgpr_queue_ptr 0
		.amdhsa_user_sgpr_kernarg_segment_ptr 1
		.amdhsa_user_sgpr_dispatch_id 0
		.amdhsa_user_sgpr_private_segment_size 0
		.amdhsa_wavefront_size32 1
		.amdhsa_uses_dynamic_stack 0
		.amdhsa_enable_private_segment 0
		.amdhsa_system_sgpr_workgroup_id_x 1
		.amdhsa_system_sgpr_workgroup_id_y 0
		.amdhsa_system_sgpr_workgroup_id_z 0
		.amdhsa_system_sgpr_workgroup_info 0
		.amdhsa_system_vgpr_workitem_id 0
		.amdhsa_next_free_vgpr 1
		.amdhsa_next_free_sgpr 1
		.amdhsa_reserve_vcc 0
		.amdhsa_float_round_mode_32 0
		.amdhsa_float_round_mode_16_64 0
		.amdhsa_float_denorm_mode_32 3
		.amdhsa_float_denorm_mode_16_64 3
		.amdhsa_dx10_clamp 1
		.amdhsa_ieee_mode 1
		.amdhsa_fp16_overflow 0
		.amdhsa_workgroup_processor_mode 1
		.amdhsa_memory_ordered 1
		.amdhsa_forward_progress 0
		.amdhsa_shared_vgpr_count 0
		.amdhsa_exception_fp_ieee_invalid_op 0
		.amdhsa_exception_fp_denorm_src 0
		.amdhsa_exception_fp_ieee_div_zero 0
		.amdhsa_exception_fp_ieee_overflow 0
		.amdhsa_exception_fp_ieee_underflow 0
		.amdhsa_exception_fp_ieee_inexact 0
		.amdhsa_exception_int_div_zero 0
	.end_amdhsa_kernel
	.section	.text._ZN7rocprim17ROCPRIM_400000_NS6detail17trampoline_kernelINS0_14default_configENS1_29reduce_by_key_config_selectorIiiN6thrust23THRUST_200600_302600_NS4plusIiEEEEZZNS1_33reduce_by_key_impl_wrapped_configILNS1_25lookback_scan_determinismE0ES3_S9_NS6_10device_ptrIiEESD_SD_SD_PmS8_NS6_8equal_toIiEEEE10hipError_tPvRmT2_T3_mT4_T5_T6_T7_T8_P12ihipStream_tbENKUlT_T0_E_clISt17integral_constantIbLb1EESX_IbLb0EEEEDaST_SU_EUlST_E_NS1_11comp_targetILNS1_3genE4ELNS1_11target_archE910ELNS1_3gpuE8ELNS1_3repE0EEENS1_30default_config_static_selectorELNS0_4arch9wavefront6targetE0EEEvT1_,"axG",@progbits,_ZN7rocprim17ROCPRIM_400000_NS6detail17trampoline_kernelINS0_14default_configENS1_29reduce_by_key_config_selectorIiiN6thrust23THRUST_200600_302600_NS4plusIiEEEEZZNS1_33reduce_by_key_impl_wrapped_configILNS1_25lookback_scan_determinismE0ES3_S9_NS6_10device_ptrIiEESD_SD_SD_PmS8_NS6_8equal_toIiEEEE10hipError_tPvRmT2_T3_mT4_T5_T6_T7_T8_P12ihipStream_tbENKUlT_T0_E_clISt17integral_constantIbLb1EESX_IbLb0EEEEDaST_SU_EUlST_E_NS1_11comp_targetILNS1_3genE4ELNS1_11target_archE910ELNS1_3gpuE8ELNS1_3repE0EEENS1_30default_config_static_selectorELNS0_4arch9wavefront6targetE0EEEvT1_,comdat
.Lfunc_end1114:
	.size	_ZN7rocprim17ROCPRIM_400000_NS6detail17trampoline_kernelINS0_14default_configENS1_29reduce_by_key_config_selectorIiiN6thrust23THRUST_200600_302600_NS4plusIiEEEEZZNS1_33reduce_by_key_impl_wrapped_configILNS1_25lookback_scan_determinismE0ES3_S9_NS6_10device_ptrIiEESD_SD_SD_PmS8_NS6_8equal_toIiEEEE10hipError_tPvRmT2_T3_mT4_T5_T6_T7_T8_P12ihipStream_tbENKUlT_T0_E_clISt17integral_constantIbLb1EESX_IbLb0EEEEDaST_SU_EUlST_E_NS1_11comp_targetILNS1_3genE4ELNS1_11target_archE910ELNS1_3gpuE8ELNS1_3repE0EEENS1_30default_config_static_selectorELNS0_4arch9wavefront6targetE0EEEvT1_, .Lfunc_end1114-_ZN7rocprim17ROCPRIM_400000_NS6detail17trampoline_kernelINS0_14default_configENS1_29reduce_by_key_config_selectorIiiN6thrust23THRUST_200600_302600_NS4plusIiEEEEZZNS1_33reduce_by_key_impl_wrapped_configILNS1_25lookback_scan_determinismE0ES3_S9_NS6_10device_ptrIiEESD_SD_SD_PmS8_NS6_8equal_toIiEEEE10hipError_tPvRmT2_T3_mT4_T5_T6_T7_T8_P12ihipStream_tbENKUlT_T0_E_clISt17integral_constantIbLb1EESX_IbLb0EEEEDaST_SU_EUlST_E_NS1_11comp_targetILNS1_3genE4ELNS1_11target_archE910ELNS1_3gpuE8ELNS1_3repE0EEENS1_30default_config_static_selectorELNS0_4arch9wavefront6targetE0EEEvT1_
                                        ; -- End function
	.section	.AMDGPU.csdata,"",@progbits
; Kernel info:
; codeLenInByte = 0
; NumSgprs: 0
; NumVgprs: 0
; ScratchSize: 0
; MemoryBound: 0
; FloatMode: 240
; IeeeMode: 1
; LDSByteSize: 0 bytes/workgroup (compile time only)
; SGPRBlocks: 0
; VGPRBlocks: 0
; NumSGPRsForWavesPerEU: 1
; NumVGPRsForWavesPerEU: 1
; Occupancy: 16
; WaveLimiterHint : 0
; COMPUTE_PGM_RSRC2:SCRATCH_EN: 0
; COMPUTE_PGM_RSRC2:USER_SGPR: 15
; COMPUTE_PGM_RSRC2:TRAP_HANDLER: 0
; COMPUTE_PGM_RSRC2:TGID_X_EN: 1
; COMPUTE_PGM_RSRC2:TGID_Y_EN: 0
; COMPUTE_PGM_RSRC2:TGID_Z_EN: 0
; COMPUTE_PGM_RSRC2:TIDIG_COMP_CNT: 0
	.section	.text._ZN7rocprim17ROCPRIM_400000_NS6detail17trampoline_kernelINS0_14default_configENS1_29reduce_by_key_config_selectorIiiN6thrust23THRUST_200600_302600_NS4plusIiEEEEZZNS1_33reduce_by_key_impl_wrapped_configILNS1_25lookback_scan_determinismE0ES3_S9_NS6_10device_ptrIiEESD_SD_SD_PmS8_NS6_8equal_toIiEEEE10hipError_tPvRmT2_T3_mT4_T5_T6_T7_T8_P12ihipStream_tbENKUlT_T0_E_clISt17integral_constantIbLb1EESX_IbLb0EEEEDaST_SU_EUlST_E_NS1_11comp_targetILNS1_3genE3ELNS1_11target_archE908ELNS1_3gpuE7ELNS1_3repE0EEENS1_30default_config_static_selectorELNS0_4arch9wavefront6targetE0EEEvT1_,"axG",@progbits,_ZN7rocprim17ROCPRIM_400000_NS6detail17trampoline_kernelINS0_14default_configENS1_29reduce_by_key_config_selectorIiiN6thrust23THRUST_200600_302600_NS4plusIiEEEEZZNS1_33reduce_by_key_impl_wrapped_configILNS1_25lookback_scan_determinismE0ES3_S9_NS6_10device_ptrIiEESD_SD_SD_PmS8_NS6_8equal_toIiEEEE10hipError_tPvRmT2_T3_mT4_T5_T6_T7_T8_P12ihipStream_tbENKUlT_T0_E_clISt17integral_constantIbLb1EESX_IbLb0EEEEDaST_SU_EUlST_E_NS1_11comp_targetILNS1_3genE3ELNS1_11target_archE908ELNS1_3gpuE7ELNS1_3repE0EEENS1_30default_config_static_selectorELNS0_4arch9wavefront6targetE0EEEvT1_,comdat
	.protected	_ZN7rocprim17ROCPRIM_400000_NS6detail17trampoline_kernelINS0_14default_configENS1_29reduce_by_key_config_selectorIiiN6thrust23THRUST_200600_302600_NS4plusIiEEEEZZNS1_33reduce_by_key_impl_wrapped_configILNS1_25lookback_scan_determinismE0ES3_S9_NS6_10device_ptrIiEESD_SD_SD_PmS8_NS6_8equal_toIiEEEE10hipError_tPvRmT2_T3_mT4_T5_T6_T7_T8_P12ihipStream_tbENKUlT_T0_E_clISt17integral_constantIbLb1EESX_IbLb0EEEEDaST_SU_EUlST_E_NS1_11comp_targetILNS1_3genE3ELNS1_11target_archE908ELNS1_3gpuE7ELNS1_3repE0EEENS1_30default_config_static_selectorELNS0_4arch9wavefront6targetE0EEEvT1_ ; -- Begin function _ZN7rocprim17ROCPRIM_400000_NS6detail17trampoline_kernelINS0_14default_configENS1_29reduce_by_key_config_selectorIiiN6thrust23THRUST_200600_302600_NS4plusIiEEEEZZNS1_33reduce_by_key_impl_wrapped_configILNS1_25lookback_scan_determinismE0ES3_S9_NS6_10device_ptrIiEESD_SD_SD_PmS8_NS6_8equal_toIiEEEE10hipError_tPvRmT2_T3_mT4_T5_T6_T7_T8_P12ihipStream_tbENKUlT_T0_E_clISt17integral_constantIbLb1EESX_IbLb0EEEEDaST_SU_EUlST_E_NS1_11comp_targetILNS1_3genE3ELNS1_11target_archE908ELNS1_3gpuE7ELNS1_3repE0EEENS1_30default_config_static_selectorELNS0_4arch9wavefront6targetE0EEEvT1_
	.globl	_ZN7rocprim17ROCPRIM_400000_NS6detail17trampoline_kernelINS0_14default_configENS1_29reduce_by_key_config_selectorIiiN6thrust23THRUST_200600_302600_NS4plusIiEEEEZZNS1_33reduce_by_key_impl_wrapped_configILNS1_25lookback_scan_determinismE0ES3_S9_NS6_10device_ptrIiEESD_SD_SD_PmS8_NS6_8equal_toIiEEEE10hipError_tPvRmT2_T3_mT4_T5_T6_T7_T8_P12ihipStream_tbENKUlT_T0_E_clISt17integral_constantIbLb1EESX_IbLb0EEEEDaST_SU_EUlST_E_NS1_11comp_targetILNS1_3genE3ELNS1_11target_archE908ELNS1_3gpuE7ELNS1_3repE0EEENS1_30default_config_static_selectorELNS0_4arch9wavefront6targetE0EEEvT1_
	.p2align	8
	.type	_ZN7rocprim17ROCPRIM_400000_NS6detail17trampoline_kernelINS0_14default_configENS1_29reduce_by_key_config_selectorIiiN6thrust23THRUST_200600_302600_NS4plusIiEEEEZZNS1_33reduce_by_key_impl_wrapped_configILNS1_25lookback_scan_determinismE0ES3_S9_NS6_10device_ptrIiEESD_SD_SD_PmS8_NS6_8equal_toIiEEEE10hipError_tPvRmT2_T3_mT4_T5_T6_T7_T8_P12ihipStream_tbENKUlT_T0_E_clISt17integral_constantIbLb1EESX_IbLb0EEEEDaST_SU_EUlST_E_NS1_11comp_targetILNS1_3genE3ELNS1_11target_archE908ELNS1_3gpuE7ELNS1_3repE0EEENS1_30default_config_static_selectorELNS0_4arch9wavefront6targetE0EEEvT1_,@function
_ZN7rocprim17ROCPRIM_400000_NS6detail17trampoline_kernelINS0_14default_configENS1_29reduce_by_key_config_selectorIiiN6thrust23THRUST_200600_302600_NS4plusIiEEEEZZNS1_33reduce_by_key_impl_wrapped_configILNS1_25lookback_scan_determinismE0ES3_S9_NS6_10device_ptrIiEESD_SD_SD_PmS8_NS6_8equal_toIiEEEE10hipError_tPvRmT2_T3_mT4_T5_T6_T7_T8_P12ihipStream_tbENKUlT_T0_E_clISt17integral_constantIbLb1EESX_IbLb0EEEEDaST_SU_EUlST_E_NS1_11comp_targetILNS1_3genE3ELNS1_11target_archE908ELNS1_3gpuE7ELNS1_3repE0EEENS1_30default_config_static_selectorELNS0_4arch9wavefront6targetE0EEEvT1_: ; @_ZN7rocprim17ROCPRIM_400000_NS6detail17trampoline_kernelINS0_14default_configENS1_29reduce_by_key_config_selectorIiiN6thrust23THRUST_200600_302600_NS4plusIiEEEEZZNS1_33reduce_by_key_impl_wrapped_configILNS1_25lookback_scan_determinismE0ES3_S9_NS6_10device_ptrIiEESD_SD_SD_PmS8_NS6_8equal_toIiEEEE10hipError_tPvRmT2_T3_mT4_T5_T6_T7_T8_P12ihipStream_tbENKUlT_T0_E_clISt17integral_constantIbLb1EESX_IbLb0EEEEDaST_SU_EUlST_E_NS1_11comp_targetILNS1_3genE3ELNS1_11target_archE908ELNS1_3gpuE7ELNS1_3repE0EEENS1_30default_config_static_selectorELNS0_4arch9wavefront6targetE0EEEvT1_
; %bb.0:
	.section	.rodata,"a",@progbits
	.p2align	6, 0x0
	.amdhsa_kernel _ZN7rocprim17ROCPRIM_400000_NS6detail17trampoline_kernelINS0_14default_configENS1_29reduce_by_key_config_selectorIiiN6thrust23THRUST_200600_302600_NS4plusIiEEEEZZNS1_33reduce_by_key_impl_wrapped_configILNS1_25lookback_scan_determinismE0ES3_S9_NS6_10device_ptrIiEESD_SD_SD_PmS8_NS6_8equal_toIiEEEE10hipError_tPvRmT2_T3_mT4_T5_T6_T7_T8_P12ihipStream_tbENKUlT_T0_E_clISt17integral_constantIbLb1EESX_IbLb0EEEEDaST_SU_EUlST_E_NS1_11comp_targetILNS1_3genE3ELNS1_11target_archE908ELNS1_3gpuE7ELNS1_3repE0EEENS1_30default_config_static_selectorELNS0_4arch9wavefront6targetE0EEEvT1_
		.amdhsa_group_segment_fixed_size 0
		.amdhsa_private_segment_fixed_size 0
		.amdhsa_kernarg_size 120
		.amdhsa_user_sgpr_count 15
		.amdhsa_user_sgpr_dispatch_ptr 0
		.amdhsa_user_sgpr_queue_ptr 0
		.amdhsa_user_sgpr_kernarg_segment_ptr 1
		.amdhsa_user_sgpr_dispatch_id 0
		.amdhsa_user_sgpr_private_segment_size 0
		.amdhsa_wavefront_size32 1
		.amdhsa_uses_dynamic_stack 0
		.amdhsa_enable_private_segment 0
		.amdhsa_system_sgpr_workgroup_id_x 1
		.amdhsa_system_sgpr_workgroup_id_y 0
		.amdhsa_system_sgpr_workgroup_id_z 0
		.amdhsa_system_sgpr_workgroup_info 0
		.amdhsa_system_vgpr_workitem_id 0
		.amdhsa_next_free_vgpr 1
		.amdhsa_next_free_sgpr 1
		.amdhsa_reserve_vcc 0
		.amdhsa_float_round_mode_32 0
		.amdhsa_float_round_mode_16_64 0
		.amdhsa_float_denorm_mode_32 3
		.amdhsa_float_denorm_mode_16_64 3
		.amdhsa_dx10_clamp 1
		.amdhsa_ieee_mode 1
		.amdhsa_fp16_overflow 0
		.amdhsa_workgroup_processor_mode 1
		.amdhsa_memory_ordered 1
		.amdhsa_forward_progress 0
		.amdhsa_shared_vgpr_count 0
		.amdhsa_exception_fp_ieee_invalid_op 0
		.amdhsa_exception_fp_denorm_src 0
		.amdhsa_exception_fp_ieee_div_zero 0
		.amdhsa_exception_fp_ieee_overflow 0
		.amdhsa_exception_fp_ieee_underflow 0
		.amdhsa_exception_fp_ieee_inexact 0
		.amdhsa_exception_int_div_zero 0
	.end_amdhsa_kernel
	.section	.text._ZN7rocprim17ROCPRIM_400000_NS6detail17trampoline_kernelINS0_14default_configENS1_29reduce_by_key_config_selectorIiiN6thrust23THRUST_200600_302600_NS4plusIiEEEEZZNS1_33reduce_by_key_impl_wrapped_configILNS1_25lookback_scan_determinismE0ES3_S9_NS6_10device_ptrIiEESD_SD_SD_PmS8_NS6_8equal_toIiEEEE10hipError_tPvRmT2_T3_mT4_T5_T6_T7_T8_P12ihipStream_tbENKUlT_T0_E_clISt17integral_constantIbLb1EESX_IbLb0EEEEDaST_SU_EUlST_E_NS1_11comp_targetILNS1_3genE3ELNS1_11target_archE908ELNS1_3gpuE7ELNS1_3repE0EEENS1_30default_config_static_selectorELNS0_4arch9wavefront6targetE0EEEvT1_,"axG",@progbits,_ZN7rocprim17ROCPRIM_400000_NS6detail17trampoline_kernelINS0_14default_configENS1_29reduce_by_key_config_selectorIiiN6thrust23THRUST_200600_302600_NS4plusIiEEEEZZNS1_33reduce_by_key_impl_wrapped_configILNS1_25lookback_scan_determinismE0ES3_S9_NS6_10device_ptrIiEESD_SD_SD_PmS8_NS6_8equal_toIiEEEE10hipError_tPvRmT2_T3_mT4_T5_T6_T7_T8_P12ihipStream_tbENKUlT_T0_E_clISt17integral_constantIbLb1EESX_IbLb0EEEEDaST_SU_EUlST_E_NS1_11comp_targetILNS1_3genE3ELNS1_11target_archE908ELNS1_3gpuE7ELNS1_3repE0EEENS1_30default_config_static_selectorELNS0_4arch9wavefront6targetE0EEEvT1_,comdat
.Lfunc_end1115:
	.size	_ZN7rocprim17ROCPRIM_400000_NS6detail17trampoline_kernelINS0_14default_configENS1_29reduce_by_key_config_selectorIiiN6thrust23THRUST_200600_302600_NS4plusIiEEEEZZNS1_33reduce_by_key_impl_wrapped_configILNS1_25lookback_scan_determinismE0ES3_S9_NS6_10device_ptrIiEESD_SD_SD_PmS8_NS6_8equal_toIiEEEE10hipError_tPvRmT2_T3_mT4_T5_T6_T7_T8_P12ihipStream_tbENKUlT_T0_E_clISt17integral_constantIbLb1EESX_IbLb0EEEEDaST_SU_EUlST_E_NS1_11comp_targetILNS1_3genE3ELNS1_11target_archE908ELNS1_3gpuE7ELNS1_3repE0EEENS1_30default_config_static_selectorELNS0_4arch9wavefront6targetE0EEEvT1_, .Lfunc_end1115-_ZN7rocprim17ROCPRIM_400000_NS6detail17trampoline_kernelINS0_14default_configENS1_29reduce_by_key_config_selectorIiiN6thrust23THRUST_200600_302600_NS4plusIiEEEEZZNS1_33reduce_by_key_impl_wrapped_configILNS1_25lookback_scan_determinismE0ES3_S9_NS6_10device_ptrIiEESD_SD_SD_PmS8_NS6_8equal_toIiEEEE10hipError_tPvRmT2_T3_mT4_T5_T6_T7_T8_P12ihipStream_tbENKUlT_T0_E_clISt17integral_constantIbLb1EESX_IbLb0EEEEDaST_SU_EUlST_E_NS1_11comp_targetILNS1_3genE3ELNS1_11target_archE908ELNS1_3gpuE7ELNS1_3repE0EEENS1_30default_config_static_selectorELNS0_4arch9wavefront6targetE0EEEvT1_
                                        ; -- End function
	.section	.AMDGPU.csdata,"",@progbits
; Kernel info:
; codeLenInByte = 0
; NumSgprs: 0
; NumVgprs: 0
; ScratchSize: 0
; MemoryBound: 0
; FloatMode: 240
; IeeeMode: 1
; LDSByteSize: 0 bytes/workgroup (compile time only)
; SGPRBlocks: 0
; VGPRBlocks: 0
; NumSGPRsForWavesPerEU: 1
; NumVGPRsForWavesPerEU: 1
; Occupancy: 16
; WaveLimiterHint : 0
; COMPUTE_PGM_RSRC2:SCRATCH_EN: 0
; COMPUTE_PGM_RSRC2:USER_SGPR: 15
; COMPUTE_PGM_RSRC2:TRAP_HANDLER: 0
; COMPUTE_PGM_RSRC2:TGID_X_EN: 1
; COMPUTE_PGM_RSRC2:TGID_Y_EN: 0
; COMPUTE_PGM_RSRC2:TGID_Z_EN: 0
; COMPUTE_PGM_RSRC2:TIDIG_COMP_CNT: 0
	.section	.text._ZN7rocprim17ROCPRIM_400000_NS6detail17trampoline_kernelINS0_14default_configENS1_29reduce_by_key_config_selectorIiiN6thrust23THRUST_200600_302600_NS4plusIiEEEEZZNS1_33reduce_by_key_impl_wrapped_configILNS1_25lookback_scan_determinismE0ES3_S9_NS6_10device_ptrIiEESD_SD_SD_PmS8_NS6_8equal_toIiEEEE10hipError_tPvRmT2_T3_mT4_T5_T6_T7_T8_P12ihipStream_tbENKUlT_T0_E_clISt17integral_constantIbLb1EESX_IbLb0EEEEDaST_SU_EUlST_E_NS1_11comp_targetILNS1_3genE2ELNS1_11target_archE906ELNS1_3gpuE6ELNS1_3repE0EEENS1_30default_config_static_selectorELNS0_4arch9wavefront6targetE0EEEvT1_,"axG",@progbits,_ZN7rocprim17ROCPRIM_400000_NS6detail17trampoline_kernelINS0_14default_configENS1_29reduce_by_key_config_selectorIiiN6thrust23THRUST_200600_302600_NS4plusIiEEEEZZNS1_33reduce_by_key_impl_wrapped_configILNS1_25lookback_scan_determinismE0ES3_S9_NS6_10device_ptrIiEESD_SD_SD_PmS8_NS6_8equal_toIiEEEE10hipError_tPvRmT2_T3_mT4_T5_T6_T7_T8_P12ihipStream_tbENKUlT_T0_E_clISt17integral_constantIbLb1EESX_IbLb0EEEEDaST_SU_EUlST_E_NS1_11comp_targetILNS1_3genE2ELNS1_11target_archE906ELNS1_3gpuE6ELNS1_3repE0EEENS1_30default_config_static_selectorELNS0_4arch9wavefront6targetE0EEEvT1_,comdat
	.protected	_ZN7rocprim17ROCPRIM_400000_NS6detail17trampoline_kernelINS0_14default_configENS1_29reduce_by_key_config_selectorIiiN6thrust23THRUST_200600_302600_NS4plusIiEEEEZZNS1_33reduce_by_key_impl_wrapped_configILNS1_25lookback_scan_determinismE0ES3_S9_NS6_10device_ptrIiEESD_SD_SD_PmS8_NS6_8equal_toIiEEEE10hipError_tPvRmT2_T3_mT4_T5_T6_T7_T8_P12ihipStream_tbENKUlT_T0_E_clISt17integral_constantIbLb1EESX_IbLb0EEEEDaST_SU_EUlST_E_NS1_11comp_targetILNS1_3genE2ELNS1_11target_archE906ELNS1_3gpuE6ELNS1_3repE0EEENS1_30default_config_static_selectorELNS0_4arch9wavefront6targetE0EEEvT1_ ; -- Begin function _ZN7rocprim17ROCPRIM_400000_NS6detail17trampoline_kernelINS0_14default_configENS1_29reduce_by_key_config_selectorIiiN6thrust23THRUST_200600_302600_NS4plusIiEEEEZZNS1_33reduce_by_key_impl_wrapped_configILNS1_25lookback_scan_determinismE0ES3_S9_NS6_10device_ptrIiEESD_SD_SD_PmS8_NS6_8equal_toIiEEEE10hipError_tPvRmT2_T3_mT4_T5_T6_T7_T8_P12ihipStream_tbENKUlT_T0_E_clISt17integral_constantIbLb1EESX_IbLb0EEEEDaST_SU_EUlST_E_NS1_11comp_targetILNS1_3genE2ELNS1_11target_archE906ELNS1_3gpuE6ELNS1_3repE0EEENS1_30default_config_static_selectorELNS0_4arch9wavefront6targetE0EEEvT1_
	.globl	_ZN7rocprim17ROCPRIM_400000_NS6detail17trampoline_kernelINS0_14default_configENS1_29reduce_by_key_config_selectorIiiN6thrust23THRUST_200600_302600_NS4plusIiEEEEZZNS1_33reduce_by_key_impl_wrapped_configILNS1_25lookback_scan_determinismE0ES3_S9_NS6_10device_ptrIiEESD_SD_SD_PmS8_NS6_8equal_toIiEEEE10hipError_tPvRmT2_T3_mT4_T5_T6_T7_T8_P12ihipStream_tbENKUlT_T0_E_clISt17integral_constantIbLb1EESX_IbLb0EEEEDaST_SU_EUlST_E_NS1_11comp_targetILNS1_3genE2ELNS1_11target_archE906ELNS1_3gpuE6ELNS1_3repE0EEENS1_30default_config_static_selectorELNS0_4arch9wavefront6targetE0EEEvT1_
	.p2align	8
	.type	_ZN7rocprim17ROCPRIM_400000_NS6detail17trampoline_kernelINS0_14default_configENS1_29reduce_by_key_config_selectorIiiN6thrust23THRUST_200600_302600_NS4plusIiEEEEZZNS1_33reduce_by_key_impl_wrapped_configILNS1_25lookback_scan_determinismE0ES3_S9_NS6_10device_ptrIiEESD_SD_SD_PmS8_NS6_8equal_toIiEEEE10hipError_tPvRmT2_T3_mT4_T5_T6_T7_T8_P12ihipStream_tbENKUlT_T0_E_clISt17integral_constantIbLb1EESX_IbLb0EEEEDaST_SU_EUlST_E_NS1_11comp_targetILNS1_3genE2ELNS1_11target_archE906ELNS1_3gpuE6ELNS1_3repE0EEENS1_30default_config_static_selectorELNS0_4arch9wavefront6targetE0EEEvT1_,@function
_ZN7rocprim17ROCPRIM_400000_NS6detail17trampoline_kernelINS0_14default_configENS1_29reduce_by_key_config_selectorIiiN6thrust23THRUST_200600_302600_NS4plusIiEEEEZZNS1_33reduce_by_key_impl_wrapped_configILNS1_25lookback_scan_determinismE0ES3_S9_NS6_10device_ptrIiEESD_SD_SD_PmS8_NS6_8equal_toIiEEEE10hipError_tPvRmT2_T3_mT4_T5_T6_T7_T8_P12ihipStream_tbENKUlT_T0_E_clISt17integral_constantIbLb1EESX_IbLb0EEEEDaST_SU_EUlST_E_NS1_11comp_targetILNS1_3genE2ELNS1_11target_archE906ELNS1_3gpuE6ELNS1_3repE0EEENS1_30default_config_static_selectorELNS0_4arch9wavefront6targetE0EEEvT1_: ; @_ZN7rocprim17ROCPRIM_400000_NS6detail17trampoline_kernelINS0_14default_configENS1_29reduce_by_key_config_selectorIiiN6thrust23THRUST_200600_302600_NS4plusIiEEEEZZNS1_33reduce_by_key_impl_wrapped_configILNS1_25lookback_scan_determinismE0ES3_S9_NS6_10device_ptrIiEESD_SD_SD_PmS8_NS6_8equal_toIiEEEE10hipError_tPvRmT2_T3_mT4_T5_T6_T7_T8_P12ihipStream_tbENKUlT_T0_E_clISt17integral_constantIbLb1EESX_IbLb0EEEEDaST_SU_EUlST_E_NS1_11comp_targetILNS1_3genE2ELNS1_11target_archE906ELNS1_3gpuE6ELNS1_3repE0EEENS1_30default_config_static_selectorELNS0_4arch9wavefront6targetE0EEEvT1_
; %bb.0:
	.section	.rodata,"a",@progbits
	.p2align	6, 0x0
	.amdhsa_kernel _ZN7rocprim17ROCPRIM_400000_NS6detail17trampoline_kernelINS0_14default_configENS1_29reduce_by_key_config_selectorIiiN6thrust23THRUST_200600_302600_NS4plusIiEEEEZZNS1_33reduce_by_key_impl_wrapped_configILNS1_25lookback_scan_determinismE0ES3_S9_NS6_10device_ptrIiEESD_SD_SD_PmS8_NS6_8equal_toIiEEEE10hipError_tPvRmT2_T3_mT4_T5_T6_T7_T8_P12ihipStream_tbENKUlT_T0_E_clISt17integral_constantIbLb1EESX_IbLb0EEEEDaST_SU_EUlST_E_NS1_11comp_targetILNS1_3genE2ELNS1_11target_archE906ELNS1_3gpuE6ELNS1_3repE0EEENS1_30default_config_static_selectorELNS0_4arch9wavefront6targetE0EEEvT1_
		.amdhsa_group_segment_fixed_size 0
		.amdhsa_private_segment_fixed_size 0
		.amdhsa_kernarg_size 120
		.amdhsa_user_sgpr_count 15
		.amdhsa_user_sgpr_dispatch_ptr 0
		.amdhsa_user_sgpr_queue_ptr 0
		.amdhsa_user_sgpr_kernarg_segment_ptr 1
		.amdhsa_user_sgpr_dispatch_id 0
		.amdhsa_user_sgpr_private_segment_size 0
		.amdhsa_wavefront_size32 1
		.amdhsa_uses_dynamic_stack 0
		.amdhsa_enable_private_segment 0
		.amdhsa_system_sgpr_workgroup_id_x 1
		.amdhsa_system_sgpr_workgroup_id_y 0
		.amdhsa_system_sgpr_workgroup_id_z 0
		.amdhsa_system_sgpr_workgroup_info 0
		.amdhsa_system_vgpr_workitem_id 0
		.amdhsa_next_free_vgpr 1
		.amdhsa_next_free_sgpr 1
		.amdhsa_reserve_vcc 0
		.amdhsa_float_round_mode_32 0
		.amdhsa_float_round_mode_16_64 0
		.amdhsa_float_denorm_mode_32 3
		.amdhsa_float_denorm_mode_16_64 3
		.amdhsa_dx10_clamp 1
		.amdhsa_ieee_mode 1
		.amdhsa_fp16_overflow 0
		.amdhsa_workgroup_processor_mode 1
		.amdhsa_memory_ordered 1
		.amdhsa_forward_progress 0
		.amdhsa_shared_vgpr_count 0
		.amdhsa_exception_fp_ieee_invalid_op 0
		.amdhsa_exception_fp_denorm_src 0
		.amdhsa_exception_fp_ieee_div_zero 0
		.amdhsa_exception_fp_ieee_overflow 0
		.amdhsa_exception_fp_ieee_underflow 0
		.amdhsa_exception_fp_ieee_inexact 0
		.amdhsa_exception_int_div_zero 0
	.end_amdhsa_kernel
	.section	.text._ZN7rocprim17ROCPRIM_400000_NS6detail17trampoline_kernelINS0_14default_configENS1_29reduce_by_key_config_selectorIiiN6thrust23THRUST_200600_302600_NS4plusIiEEEEZZNS1_33reduce_by_key_impl_wrapped_configILNS1_25lookback_scan_determinismE0ES3_S9_NS6_10device_ptrIiEESD_SD_SD_PmS8_NS6_8equal_toIiEEEE10hipError_tPvRmT2_T3_mT4_T5_T6_T7_T8_P12ihipStream_tbENKUlT_T0_E_clISt17integral_constantIbLb1EESX_IbLb0EEEEDaST_SU_EUlST_E_NS1_11comp_targetILNS1_3genE2ELNS1_11target_archE906ELNS1_3gpuE6ELNS1_3repE0EEENS1_30default_config_static_selectorELNS0_4arch9wavefront6targetE0EEEvT1_,"axG",@progbits,_ZN7rocprim17ROCPRIM_400000_NS6detail17trampoline_kernelINS0_14default_configENS1_29reduce_by_key_config_selectorIiiN6thrust23THRUST_200600_302600_NS4plusIiEEEEZZNS1_33reduce_by_key_impl_wrapped_configILNS1_25lookback_scan_determinismE0ES3_S9_NS6_10device_ptrIiEESD_SD_SD_PmS8_NS6_8equal_toIiEEEE10hipError_tPvRmT2_T3_mT4_T5_T6_T7_T8_P12ihipStream_tbENKUlT_T0_E_clISt17integral_constantIbLb1EESX_IbLb0EEEEDaST_SU_EUlST_E_NS1_11comp_targetILNS1_3genE2ELNS1_11target_archE906ELNS1_3gpuE6ELNS1_3repE0EEENS1_30default_config_static_selectorELNS0_4arch9wavefront6targetE0EEEvT1_,comdat
.Lfunc_end1116:
	.size	_ZN7rocprim17ROCPRIM_400000_NS6detail17trampoline_kernelINS0_14default_configENS1_29reduce_by_key_config_selectorIiiN6thrust23THRUST_200600_302600_NS4plusIiEEEEZZNS1_33reduce_by_key_impl_wrapped_configILNS1_25lookback_scan_determinismE0ES3_S9_NS6_10device_ptrIiEESD_SD_SD_PmS8_NS6_8equal_toIiEEEE10hipError_tPvRmT2_T3_mT4_T5_T6_T7_T8_P12ihipStream_tbENKUlT_T0_E_clISt17integral_constantIbLb1EESX_IbLb0EEEEDaST_SU_EUlST_E_NS1_11comp_targetILNS1_3genE2ELNS1_11target_archE906ELNS1_3gpuE6ELNS1_3repE0EEENS1_30default_config_static_selectorELNS0_4arch9wavefront6targetE0EEEvT1_, .Lfunc_end1116-_ZN7rocprim17ROCPRIM_400000_NS6detail17trampoline_kernelINS0_14default_configENS1_29reduce_by_key_config_selectorIiiN6thrust23THRUST_200600_302600_NS4plusIiEEEEZZNS1_33reduce_by_key_impl_wrapped_configILNS1_25lookback_scan_determinismE0ES3_S9_NS6_10device_ptrIiEESD_SD_SD_PmS8_NS6_8equal_toIiEEEE10hipError_tPvRmT2_T3_mT4_T5_T6_T7_T8_P12ihipStream_tbENKUlT_T0_E_clISt17integral_constantIbLb1EESX_IbLb0EEEEDaST_SU_EUlST_E_NS1_11comp_targetILNS1_3genE2ELNS1_11target_archE906ELNS1_3gpuE6ELNS1_3repE0EEENS1_30default_config_static_selectorELNS0_4arch9wavefront6targetE0EEEvT1_
                                        ; -- End function
	.section	.AMDGPU.csdata,"",@progbits
; Kernel info:
; codeLenInByte = 0
; NumSgprs: 0
; NumVgprs: 0
; ScratchSize: 0
; MemoryBound: 0
; FloatMode: 240
; IeeeMode: 1
; LDSByteSize: 0 bytes/workgroup (compile time only)
; SGPRBlocks: 0
; VGPRBlocks: 0
; NumSGPRsForWavesPerEU: 1
; NumVGPRsForWavesPerEU: 1
; Occupancy: 16
; WaveLimiterHint : 0
; COMPUTE_PGM_RSRC2:SCRATCH_EN: 0
; COMPUTE_PGM_RSRC2:USER_SGPR: 15
; COMPUTE_PGM_RSRC2:TRAP_HANDLER: 0
; COMPUTE_PGM_RSRC2:TGID_X_EN: 1
; COMPUTE_PGM_RSRC2:TGID_Y_EN: 0
; COMPUTE_PGM_RSRC2:TGID_Z_EN: 0
; COMPUTE_PGM_RSRC2:TIDIG_COMP_CNT: 0
	.section	.text._ZN7rocprim17ROCPRIM_400000_NS6detail17trampoline_kernelINS0_14default_configENS1_29reduce_by_key_config_selectorIiiN6thrust23THRUST_200600_302600_NS4plusIiEEEEZZNS1_33reduce_by_key_impl_wrapped_configILNS1_25lookback_scan_determinismE0ES3_S9_NS6_10device_ptrIiEESD_SD_SD_PmS8_NS6_8equal_toIiEEEE10hipError_tPvRmT2_T3_mT4_T5_T6_T7_T8_P12ihipStream_tbENKUlT_T0_E_clISt17integral_constantIbLb1EESX_IbLb0EEEEDaST_SU_EUlST_E_NS1_11comp_targetILNS1_3genE10ELNS1_11target_archE1201ELNS1_3gpuE5ELNS1_3repE0EEENS1_30default_config_static_selectorELNS0_4arch9wavefront6targetE0EEEvT1_,"axG",@progbits,_ZN7rocprim17ROCPRIM_400000_NS6detail17trampoline_kernelINS0_14default_configENS1_29reduce_by_key_config_selectorIiiN6thrust23THRUST_200600_302600_NS4plusIiEEEEZZNS1_33reduce_by_key_impl_wrapped_configILNS1_25lookback_scan_determinismE0ES3_S9_NS6_10device_ptrIiEESD_SD_SD_PmS8_NS6_8equal_toIiEEEE10hipError_tPvRmT2_T3_mT4_T5_T6_T7_T8_P12ihipStream_tbENKUlT_T0_E_clISt17integral_constantIbLb1EESX_IbLb0EEEEDaST_SU_EUlST_E_NS1_11comp_targetILNS1_3genE10ELNS1_11target_archE1201ELNS1_3gpuE5ELNS1_3repE0EEENS1_30default_config_static_selectorELNS0_4arch9wavefront6targetE0EEEvT1_,comdat
	.protected	_ZN7rocprim17ROCPRIM_400000_NS6detail17trampoline_kernelINS0_14default_configENS1_29reduce_by_key_config_selectorIiiN6thrust23THRUST_200600_302600_NS4plusIiEEEEZZNS1_33reduce_by_key_impl_wrapped_configILNS1_25lookback_scan_determinismE0ES3_S9_NS6_10device_ptrIiEESD_SD_SD_PmS8_NS6_8equal_toIiEEEE10hipError_tPvRmT2_T3_mT4_T5_T6_T7_T8_P12ihipStream_tbENKUlT_T0_E_clISt17integral_constantIbLb1EESX_IbLb0EEEEDaST_SU_EUlST_E_NS1_11comp_targetILNS1_3genE10ELNS1_11target_archE1201ELNS1_3gpuE5ELNS1_3repE0EEENS1_30default_config_static_selectorELNS0_4arch9wavefront6targetE0EEEvT1_ ; -- Begin function _ZN7rocprim17ROCPRIM_400000_NS6detail17trampoline_kernelINS0_14default_configENS1_29reduce_by_key_config_selectorIiiN6thrust23THRUST_200600_302600_NS4plusIiEEEEZZNS1_33reduce_by_key_impl_wrapped_configILNS1_25lookback_scan_determinismE0ES3_S9_NS6_10device_ptrIiEESD_SD_SD_PmS8_NS6_8equal_toIiEEEE10hipError_tPvRmT2_T3_mT4_T5_T6_T7_T8_P12ihipStream_tbENKUlT_T0_E_clISt17integral_constantIbLb1EESX_IbLb0EEEEDaST_SU_EUlST_E_NS1_11comp_targetILNS1_3genE10ELNS1_11target_archE1201ELNS1_3gpuE5ELNS1_3repE0EEENS1_30default_config_static_selectorELNS0_4arch9wavefront6targetE0EEEvT1_
	.globl	_ZN7rocprim17ROCPRIM_400000_NS6detail17trampoline_kernelINS0_14default_configENS1_29reduce_by_key_config_selectorIiiN6thrust23THRUST_200600_302600_NS4plusIiEEEEZZNS1_33reduce_by_key_impl_wrapped_configILNS1_25lookback_scan_determinismE0ES3_S9_NS6_10device_ptrIiEESD_SD_SD_PmS8_NS6_8equal_toIiEEEE10hipError_tPvRmT2_T3_mT4_T5_T6_T7_T8_P12ihipStream_tbENKUlT_T0_E_clISt17integral_constantIbLb1EESX_IbLb0EEEEDaST_SU_EUlST_E_NS1_11comp_targetILNS1_3genE10ELNS1_11target_archE1201ELNS1_3gpuE5ELNS1_3repE0EEENS1_30default_config_static_selectorELNS0_4arch9wavefront6targetE0EEEvT1_
	.p2align	8
	.type	_ZN7rocprim17ROCPRIM_400000_NS6detail17trampoline_kernelINS0_14default_configENS1_29reduce_by_key_config_selectorIiiN6thrust23THRUST_200600_302600_NS4plusIiEEEEZZNS1_33reduce_by_key_impl_wrapped_configILNS1_25lookback_scan_determinismE0ES3_S9_NS6_10device_ptrIiEESD_SD_SD_PmS8_NS6_8equal_toIiEEEE10hipError_tPvRmT2_T3_mT4_T5_T6_T7_T8_P12ihipStream_tbENKUlT_T0_E_clISt17integral_constantIbLb1EESX_IbLb0EEEEDaST_SU_EUlST_E_NS1_11comp_targetILNS1_3genE10ELNS1_11target_archE1201ELNS1_3gpuE5ELNS1_3repE0EEENS1_30default_config_static_selectorELNS0_4arch9wavefront6targetE0EEEvT1_,@function
_ZN7rocprim17ROCPRIM_400000_NS6detail17trampoline_kernelINS0_14default_configENS1_29reduce_by_key_config_selectorIiiN6thrust23THRUST_200600_302600_NS4plusIiEEEEZZNS1_33reduce_by_key_impl_wrapped_configILNS1_25lookback_scan_determinismE0ES3_S9_NS6_10device_ptrIiEESD_SD_SD_PmS8_NS6_8equal_toIiEEEE10hipError_tPvRmT2_T3_mT4_T5_T6_T7_T8_P12ihipStream_tbENKUlT_T0_E_clISt17integral_constantIbLb1EESX_IbLb0EEEEDaST_SU_EUlST_E_NS1_11comp_targetILNS1_3genE10ELNS1_11target_archE1201ELNS1_3gpuE5ELNS1_3repE0EEENS1_30default_config_static_selectorELNS0_4arch9wavefront6targetE0EEEvT1_: ; @_ZN7rocprim17ROCPRIM_400000_NS6detail17trampoline_kernelINS0_14default_configENS1_29reduce_by_key_config_selectorIiiN6thrust23THRUST_200600_302600_NS4plusIiEEEEZZNS1_33reduce_by_key_impl_wrapped_configILNS1_25lookback_scan_determinismE0ES3_S9_NS6_10device_ptrIiEESD_SD_SD_PmS8_NS6_8equal_toIiEEEE10hipError_tPvRmT2_T3_mT4_T5_T6_T7_T8_P12ihipStream_tbENKUlT_T0_E_clISt17integral_constantIbLb1EESX_IbLb0EEEEDaST_SU_EUlST_E_NS1_11comp_targetILNS1_3genE10ELNS1_11target_archE1201ELNS1_3gpuE5ELNS1_3repE0EEENS1_30default_config_static_selectorELNS0_4arch9wavefront6targetE0EEEvT1_
; %bb.0:
	.section	.rodata,"a",@progbits
	.p2align	6, 0x0
	.amdhsa_kernel _ZN7rocprim17ROCPRIM_400000_NS6detail17trampoline_kernelINS0_14default_configENS1_29reduce_by_key_config_selectorIiiN6thrust23THRUST_200600_302600_NS4plusIiEEEEZZNS1_33reduce_by_key_impl_wrapped_configILNS1_25lookback_scan_determinismE0ES3_S9_NS6_10device_ptrIiEESD_SD_SD_PmS8_NS6_8equal_toIiEEEE10hipError_tPvRmT2_T3_mT4_T5_T6_T7_T8_P12ihipStream_tbENKUlT_T0_E_clISt17integral_constantIbLb1EESX_IbLb0EEEEDaST_SU_EUlST_E_NS1_11comp_targetILNS1_3genE10ELNS1_11target_archE1201ELNS1_3gpuE5ELNS1_3repE0EEENS1_30default_config_static_selectorELNS0_4arch9wavefront6targetE0EEEvT1_
		.amdhsa_group_segment_fixed_size 0
		.amdhsa_private_segment_fixed_size 0
		.amdhsa_kernarg_size 120
		.amdhsa_user_sgpr_count 15
		.amdhsa_user_sgpr_dispatch_ptr 0
		.amdhsa_user_sgpr_queue_ptr 0
		.amdhsa_user_sgpr_kernarg_segment_ptr 1
		.amdhsa_user_sgpr_dispatch_id 0
		.amdhsa_user_sgpr_private_segment_size 0
		.amdhsa_wavefront_size32 1
		.amdhsa_uses_dynamic_stack 0
		.amdhsa_enable_private_segment 0
		.amdhsa_system_sgpr_workgroup_id_x 1
		.amdhsa_system_sgpr_workgroup_id_y 0
		.amdhsa_system_sgpr_workgroup_id_z 0
		.amdhsa_system_sgpr_workgroup_info 0
		.amdhsa_system_vgpr_workitem_id 0
		.amdhsa_next_free_vgpr 1
		.amdhsa_next_free_sgpr 1
		.amdhsa_reserve_vcc 0
		.amdhsa_float_round_mode_32 0
		.amdhsa_float_round_mode_16_64 0
		.amdhsa_float_denorm_mode_32 3
		.amdhsa_float_denorm_mode_16_64 3
		.amdhsa_dx10_clamp 1
		.amdhsa_ieee_mode 1
		.amdhsa_fp16_overflow 0
		.amdhsa_workgroup_processor_mode 1
		.amdhsa_memory_ordered 1
		.amdhsa_forward_progress 0
		.amdhsa_shared_vgpr_count 0
		.amdhsa_exception_fp_ieee_invalid_op 0
		.amdhsa_exception_fp_denorm_src 0
		.amdhsa_exception_fp_ieee_div_zero 0
		.amdhsa_exception_fp_ieee_overflow 0
		.amdhsa_exception_fp_ieee_underflow 0
		.amdhsa_exception_fp_ieee_inexact 0
		.amdhsa_exception_int_div_zero 0
	.end_amdhsa_kernel
	.section	.text._ZN7rocprim17ROCPRIM_400000_NS6detail17trampoline_kernelINS0_14default_configENS1_29reduce_by_key_config_selectorIiiN6thrust23THRUST_200600_302600_NS4plusIiEEEEZZNS1_33reduce_by_key_impl_wrapped_configILNS1_25lookback_scan_determinismE0ES3_S9_NS6_10device_ptrIiEESD_SD_SD_PmS8_NS6_8equal_toIiEEEE10hipError_tPvRmT2_T3_mT4_T5_T6_T7_T8_P12ihipStream_tbENKUlT_T0_E_clISt17integral_constantIbLb1EESX_IbLb0EEEEDaST_SU_EUlST_E_NS1_11comp_targetILNS1_3genE10ELNS1_11target_archE1201ELNS1_3gpuE5ELNS1_3repE0EEENS1_30default_config_static_selectorELNS0_4arch9wavefront6targetE0EEEvT1_,"axG",@progbits,_ZN7rocprim17ROCPRIM_400000_NS6detail17trampoline_kernelINS0_14default_configENS1_29reduce_by_key_config_selectorIiiN6thrust23THRUST_200600_302600_NS4plusIiEEEEZZNS1_33reduce_by_key_impl_wrapped_configILNS1_25lookback_scan_determinismE0ES3_S9_NS6_10device_ptrIiEESD_SD_SD_PmS8_NS6_8equal_toIiEEEE10hipError_tPvRmT2_T3_mT4_T5_T6_T7_T8_P12ihipStream_tbENKUlT_T0_E_clISt17integral_constantIbLb1EESX_IbLb0EEEEDaST_SU_EUlST_E_NS1_11comp_targetILNS1_3genE10ELNS1_11target_archE1201ELNS1_3gpuE5ELNS1_3repE0EEENS1_30default_config_static_selectorELNS0_4arch9wavefront6targetE0EEEvT1_,comdat
.Lfunc_end1117:
	.size	_ZN7rocprim17ROCPRIM_400000_NS6detail17trampoline_kernelINS0_14default_configENS1_29reduce_by_key_config_selectorIiiN6thrust23THRUST_200600_302600_NS4plusIiEEEEZZNS1_33reduce_by_key_impl_wrapped_configILNS1_25lookback_scan_determinismE0ES3_S9_NS6_10device_ptrIiEESD_SD_SD_PmS8_NS6_8equal_toIiEEEE10hipError_tPvRmT2_T3_mT4_T5_T6_T7_T8_P12ihipStream_tbENKUlT_T0_E_clISt17integral_constantIbLb1EESX_IbLb0EEEEDaST_SU_EUlST_E_NS1_11comp_targetILNS1_3genE10ELNS1_11target_archE1201ELNS1_3gpuE5ELNS1_3repE0EEENS1_30default_config_static_selectorELNS0_4arch9wavefront6targetE0EEEvT1_, .Lfunc_end1117-_ZN7rocprim17ROCPRIM_400000_NS6detail17trampoline_kernelINS0_14default_configENS1_29reduce_by_key_config_selectorIiiN6thrust23THRUST_200600_302600_NS4plusIiEEEEZZNS1_33reduce_by_key_impl_wrapped_configILNS1_25lookback_scan_determinismE0ES3_S9_NS6_10device_ptrIiEESD_SD_SD_PmS8_NS6_8equal_toIiEEEE10hipError_tPvRmT2_T3_mT4_T5_T6_T7_T8_P12ihipStream_tbENKUlT_T0_E_clISt17integral_constantIbLb1EESX_IbLb0EEEEDaST_SU_EUlST_E_NS1_11comp_targetILNS1_3genE10ELNS1_11target_archE1201ELNS1_3gpuE5ELNS1_3repE0EEENS1_30default_config_static_selectorELNS0_4arch9wavefront6targetE0EEEvT1_
                                        ; -- End function
	.section	.AMDGPU.csdata,"",@progbits
; Kernel info:
; codeLenInByte = 0
; NumSgprs: 0
; NumVgprs: 0
; ScratchSize: 0
; MemoryBound: 0
; FloatMode: 240
; IeeeMode: 1
; LDSByteSize: 0 bytes/workgroup (compile time only)
; SGPRBlocks: 0
; VGPRBlocks: 0
; NumSGPRsForWavesPerEU: 1
; NumVGPRsForWavesPerEU: 1
; Occupancy: 16
; WaveLimiterHint : 0
; COMPUTE_PGM_RSRC2:SCRATCH_EN: 0
; COMPUTE_PGM_RSRC2:USER_SGPR: 15
; COMPUTE_PGM_RSRC2:TRAP_HANDLER: 0
; COMPUTE_PGM_RSRC2:TGID_X_EN: 1
; COMPUTE_PGM_RSRC2:TGID_Y_EN: 0
; COMPUTE_PGM_RSRC2:TGID_Z_EN: 0
; COMPUTE_PGM_RSRC2:TIDIG_COMP_CNT: 0
	.section	.text._ZN7rocprim17ROCPRIM_400000_NS6detail17trampoline_kernelINS0_14default_configENS1_29reduce_by_key_config_selectorIiiN6thrust23THRUST_200600_302600_NS4plusIiEEEEZZNS1_33reduce_by_key_impl_wrapped_configILNS1_25lookback_scan_determinismE0ES3_S9_NS6_10device_ptrIiEESD_SD_SD_PmS8_NS6_8equal_toIiEEEE10hipError_tPvRmT2_T3_mT4_T5_T6_T7_T8_P12ihipStream_tbENKUlT_T0_E_clISt17integral_constantIbLb1EESX_IbLb0EEEEDaST_SU_EUlST_E_NS1_11comp_targetILNS1_3genE10ELNS1_11target_archE1200ELNS1_3gpuE4ELNS1_3repE0EEENS1_30default_config_static_selectorELNS0_4arch9wavefront6targetE0EEEvT1_,"axG",@progbits,_ZN7rocprim17ROCPRIM_400000_NS6detail17trampoline_kernelINS0_14default_configENS1_29reduce_by_key_config_selectorIiiN6thrust23THRUST_200600_302600_NS4plusIiEEEEZZNS1_33reduce_by_key_impl_wrapped_configILNS1_25lookback_scan_determinismE0ES3_S9_NS6_10device_ptrIiEESD_SD_SD_PmS8_NS6_8equal_toIiEEEE10hipError_tPvRmT2_T3_mT4_T5_T6_T7_T8_P12ihipStream_tbENKUlT_T0_E_clISt17integral_constantIbLb1EESX_IbLb0EEEEDaST_SU_EUlST_E_NS1_11comp_targetILNS1_3genE10ELNS1_11target_archE1200ELNS1_3gpuE4ELNS1_3repE0EEENS1_30default_config_static_selectorELNS0_4arch9wavefront6targetE0EEEvT1_,comdat
	.protected	_ZN7rocprim17ROCPRIM_400000_NS6detail17trampoline_kernelINS0_14default_configENS1_29reduce_by_key_config_selectorIiiN6thrust23THRUST_200600_302600_NS4plusIiEEEEZZNS1_33reduce_by_key_impl_wrapped_configILNS1_25lookback_scan_determinismE0ES3_S9_NS6_10device_ptrIiEESD_SD_SD_PmS8_NS6_8equal_toIiEEEE10hipError_tPvRmT2_T3_mT4_T5_T6_T7_T8_P12ihipStream_tbENKUlT_T0_E_clISt17integral_constantIbLb1EESX_IbLb0EEEEDaST_SU_EUlST_E_NS1_11comp_targetILNS1_3genE10ELNS1_11target_archE1200ELNS1_3gpuE4ELNS1_3repE0EEENS1_30default_config_static_selectorELNS0_4arch9wavefront6targetE0EEEvT1_ ; -- Begin function _ZN7rocprim17ROCPRIM_400000_NS6detail17trampoline_kernelINS0_14default_configENS1_29reduce_by_key_config_selectorIiiN6thrust23THRUST_200600_302600_NS4plusIiEEEEZZNS1_33reduce_by_key_impl_wrapped_configILNS1_25lookback_scan_determinismE0ES3_S9_NS6_10device_ptrIiEESD_SD_SD_PmS8_NS6_8equal_toIiEEEE10hipError_tPvRmT2_T3_mT4_T5_T6_T7_T8_P12ihipStream_tbENKUlT_T0_E_clISt17integral_constantIbLb1EESX_IbLb0EEEEDaST_SU_EUlST_E_NS1_11comp_targetILNS1_3genE10ELNS1_11target_archE1200ELNS1_3gpuE4ELNS1_3repE0EEENS1_30default_config_static_selectorELNS0_4arch9wavefront6targetE0EEEvT1_
	.globl	_ZN7rocprim17ROCPRIM_400000_NS6detail17trampoline_kernelINS0_14default_configENS1_29reduce_by_key_config_selectorIiiN6thrust23THRUST_200600_302600_NS4plusIiEEEEZZNS1_33reduce_by_key_impl_wrapped_configILNS1_25lookback_scan_determinismE0ES3_S9_NS6_10device_ptrIiEESD_SD_SD_PmS8_NS6_8equal_toIiEEEE10hipError_tPvRmT2_T3_mT4_T5_T6_T7_T8_P12ihipStream_tbENKUlT_T0_E_clISt17integral_constantIbLb1EESX_IbLb0EEEEDaST_SU_EUlST_E_NS1_11comp_targetILNS1_3genE10ELNS1_11target_archE1200ELNS1_3gpuE4ELNS1_3repE0EEENS1_30default_config_static_selectorELNS0_4arch9wavefront6targetE0EEEvT1_
	.p2align	8
	.type	_ZN7rocprim17ROCPRIM_400000_NS6detail17trampoline_kernelINS0_14default_configENS1_29reduce_by_key_config_selectorIiiN6thrust23THRUST_200600_302600_NS4plusIiEEEEZZNS1_33reduce_by_key_impl_wrapped_configILNS1_25lookback_scan_determinismE0ES3_S9_NS6_10device_ptrIiEESD_SD_SD_PmS8_NS6_8equal_toIiEEEE10hipError_tPvRmT2_T3_mT4_T5_T6_T7_T8_P12ihipStream_tbENKUlT_T0_E_clISt17integral_constantIbLb1EESX_IbLb0EEEEDaST_SU_EUlST_E_NS1_11comp_targetILNS1_3genE10ELNS1_11target_archE1200ELNS1_3gpuE4ELNS1_3repE0EEENS1_30default_config_static_selectorELNS0_4arch9wavefront6targetE0EEEvT1_,@function
_ZN7rocprim17ROCPRIM_400000_NS6detail17trampoline_kernelINS0_14default_configENS1_29reduce_by_key_config_selectorIiiN6thrust23THRUST_200600_302600_NS4plusIiEEEEZZNS1_33reduce_by_key_impl_wrapped_configILNS1_25lookback_scan_determinismE0ES3_S9_NS6_10device_ptrIiEESD_SD_SD_PmS8_NS6_8equal_toIiEEEE10hipError_tPvRmT2_T3_mT4_T5_T6_T7_T8_P12ihipStream_tbENKUlT_T0_E_clISt17integral_constantIbLb1EESX_IbLb0EEEEDaST_SU_EUlST_E_NS1_11comp_targetILNS1_3genE10ELNS1_11target_archE1200ELNS1_3gpuE4ELNS1_3repE0EEENS1_30default_config_static_selectorELNS0_4arch9wavefront6targetE0EEEvT1_: ; @_ZN7rocprim17ROCPRIM_400000_NS6detail17trampoline_kernelINS0_14default_configENS1_29reduce_by_key_config_selectorIiiN6thrust23THRUST_200600_302600_NS4plusIiEEEEZZNS1_33reduce_by_key_impl_wrapped_configILNS1_25lookback_scan_determinismE0ES3_S9_NS6_10device_ptrIiEESD_SD_SD_PmS8_NS6_8equal_toIiEEEE10hipError_tPvRmT2_T3_mT4_T5_T6_T7_T8_P12ihipStream_tbENKUlT_T0_E_clISt17integral_constantIbLb1EESX_IbLb0EEEEDaST_SU_EUlST_E_NS1_11comp_targetILNS1_3genE10ELNS1_11target_archE1200ELNS1_3gpuE4ELNS1_3repE0EEENS1_30default_config_static_selectorELNS0_4arch9wavefront6targetE0EEEvT1_
; %bb.0:
	.section	.rodata,"a",@progbits
	.p2align	6, 0x0
	.amdhsa_kernel _ZN7rocprim17ROCPRIM_400000_NS6detail17trampoline_kernelINS0_14default_configENS1_29reduce_by_key_config_selectorIiiN6thrust23THRUST_200600_302600_NS4plusIiEEEEZZNS1_33reduce_by_key_impl_wrapped_configILNS1_25lookback_scan_determinismE0ES3_S9_NS6_10device_ptrIiEESD_SD_SD_PmS8_NS6_8equal_toIiEEEE10hipError_tPvRmT2_T3_mT4_T5_T6_T7_T8_P12ihipStream_tbENKUlT_T0_E_clISt17integral_constantIbLb1EESX_IbLb0EEEEDaST_SU_EUlST_E_NS1_11comp_targetILNS1_3genE10ELNS1_11target_archE1200ELNS1_3gpuE4ELNS1_3repE0EEENS1_30default_config_static_selectorELNS0_4arch9wavefront6targetE0EEEvT1_
		.amdhsa_group_segment_fixed_size 0
		.amdhsa_private_segment_fixed_size 0
		.amdhsa_kernarg_size 120
		.amdhsa_user_sgpr_count 15
		.amdhsa_user_sgpr_dispatch_ptr 0
		.amdhsa_user_sgpr_queue_ptr 0
		.amdhsa_user_sgpr_kernarg_segment_ptr 1
		.amdhsa_user_sgpr_dispatch_id 0
		.amdhsa_user_sgpr_private_segment_size 0
		.amdhsa_wavefront_size32 1
		.amdhsa_uses_dynamic_stack 0
		.amdhsa_enable_private_segment 0
		.amdhsa_system_sgpr_workgroup_id_x 1
		.amdhsa_system_sgpr_workgroup_id_y 0
		.amdhsa_system_sgpr_workgroup_id_z 0
		.amdhsa_system_sgpr_workgroup_info 0
		.amdhsa_system_vgpr_workitem_id 0
		.amdhsa_next_free_vgpr 1
		.amdhsa_next_free_sgpr 1
		.amdhsa_reserve_vcc 0
		.amdhsa_float_round_mode_32 0
		.amdhsa_float_round_mode_16_64 0
		.amdhsa_float_denorm_mode_32 3
		.amdhsa_float_denorm_mode_16_64 3
		.amdhsa_dx10_clamp 1
		.amdhsa_ieee_mode 1
		.amdhsa_fp16_overflow 0
		.amdhsa_workgroup_processor_mode 1
		.amdhsa_memory_ordered 1
		.amdhsa_forward_progress 0
		.amdhsa_shared_vgpr_count 0
		.amdhsa_exception_fp_ieee_invalid_op 0
		.amdhsa_exception_fp_denorm_src 0
		.amdhsa_exception_fp_ieee_div_zero 0
		.amdhsa_exception_fp_ieee_overflow 0
		.amdhsa_exception_fp_ieee_underflow 0
		.amdhsa_exception_fp_ieee_inexact 0
		.amdhsa_exception_int_div_zero 0
	.end_amdhsa_kernel
	.section	.text._ZN7rocprim17ROCPRIM_400000_NS6detail17trampoline_kernelINS0_14default_configENS1_29reduce_by_key_config_selectorIiiN6thrust23THRUST_200600_302600_NS4plusIiEEEEZZNS1_33reduce_by_key_impl_wrapped_configILNS1_25lookback_scan_determinismE0ES3_S9_NS6_10device_ptrIiEESD_SD_SD_PmS8_NS6_8equal_toIiEEEE10hipError_tPvRmT2_T3_mT4_T5_T6_T7_T8_P12ihipStream_tbENKUlT_T0_E_clISt17integral_constantIbLb1EESX_IbLb0EEEEDaST_SU_EUlST_E_NS1_11comp_targetILNS1_3genE10ELNS1_11target_archE1200ELNS1_3gpuE4ELNS1_3repE0EEENS1_30default_config_static_selectorELNS0_4arch9wavefront6targetE0EEEvT1_,"axG",@progbits,_ZN7rocprim17ROCPRIM_400000_NS6detail17trampoline_kernelINS0_14default_configENS1_29reduce_by_key_config_selectorIiiN6thrust23THRUST_200600_302600_NS4plusIiEEEEZZNS1_33reduce_by_key_impl_wrapped_configILNS1_25lookback_scan_determinismE0ES3_S9_NS6_10device_ptrIiEESD_SD_SD_PmS8_NS6_8equal_toIiEEEE10hipError_tPvRmT2_T3_mT4_T5_T6_T7_T8_P12ihipStream_tbENKUlT_T0_E_clISt17integral_constantIbLb1EESX_IbLb0EEEEDaST_SU_EUlST_E_NS1_11comp_targetILNS1_3genE10ELNS1_11target_archE1200ELNS1_3gpuE4ELNS1_3repE0EEENS1_30default_config_static_selectorELNS0_4arch9wavefront6targetE0EEEvT1_,comdat
.Lfunc_end1118:
	.size	_ZN7rocprim17ROCPRIM_400000_NS6detail17trampoline_kernelINS0_14default_configENS1_29reduce_by_key_config_selectorIiiN6thrust23THRUST_200600_302600_NS4plusIiEEEEZZNS1_33reduce_by_key_impl_wrapped_configILNS1_25lookback_scan_determinismE0ES3_S9_NS6_10device_ptrIiEESD_SD_SD_PmS8_NS6_8equal_toIiEEEE10hipError_tPvRmT2_T3_mT4_T5_T6_T7_T8_P12ihipStream_tbENKUlT_T0_E_clISt17integral_constantIbLb1EESX_IbLb0EEEEDaST_SU_EUlST_E_NS1_11comp_targetILNS1_3genE10ELNS1_11target_archE1200ELNS1_3gpuE4ELNS1_3repE0EEENS1_30default_config_static_selectorELNS0_4arch9wavefront6targetE0EEEvT1_, .Lfunc_end1118-_ZN7rocprim17ROCPRIM_400000_NS6detail17trampoline_kernelINS0_14default_configENS1_29reduce_by_key_config_selectorIiiN6thrust23THRUST_200600_302600_NS4plusIiEEEEZZNS1_33reduce_by_key_impl_wrapped_configILNS1_25lookback_scan_determinismE0ES3_S9_NS6_10device_ptrIiEESD_SD_SD_PmS8_NS6_8equal_toIiEEEE10hipError_tPvRmT2_T3_mT4_T5_T6_T7_T8_P12ihipStream_tbENKUlT_T0_E_clISt17integral_constantIbLb1EESX_IbLb0EEEEDaST_SU_EUlST_E_NS1_11comp_targetILNS1_3genE10ELNS1_11target_archE1200ELNS1_3gpuE4ELNS1_3repE0EEENS1_30default_config_static_selectorELNS0_4arch9wavefront6targetE0EEEvT1_
                                        ; -- End function
	.section	.AMDGPU.csdata,"",@progbits
; Kernel info:
; codeLenInByte = 0
; NumSgprs: 0
; NumVgprs: 0
; ScratchSize: 0
; MemoryBound: 0
; FloatMode: 240
; IeeeMode: 1
; LDSByteSize: 0 bytes/workgroup (compile time only)
; SGPRBlocks: 0
; VGPRBlocks: 0
; NumSGPRsForWavesPerEU: 1
; NumVGPRsForWavesPerEU: 1
; Occupancy: 16
; WaveLimiterHint : 0
; COMPUTE_PGM_RSRC2:SCRATCH_EN: 0
; COMPUTE_PGM_RSRC2:USER_SGPR: 15
; COMPUTE_PGM_RSRC2:TRAP_HANDLER: 0
; COMPUTE_PGM_RSRC2:TGID_X_EN: 1
; COMPUTE_PGM_RSRC2:TGID_Y_EN: 0
; COMPUTE_PGM_RSRC2:TGID_Z_EN: 0
; COMPUTE_PGM_RSRC2:TIDIG_COMP_CNT: 0
	.section	.text._ZN7rocprim17ROCPRIM_400000_NS6detail17trampoline_kernelINS0_14default_configENS1_29reduce_by_key_config_selectorIiiN6thrust23THRUST_200600_302600_NS4plusIiEEEEZZNS1_33reduce_by_key_impl_wrapped_configILNS1_25lookback_scan_determinismE0ES3_S9_NS6_10device_ptrIiEESD_SD_SD_PmS8_NS6_8equal_toIiEEEE10hipError_tPvRmT2_T3_mT4_T5_T6_T7_T8_P12ihipStream_tbENKUlT_T0_E_clISt17integral_constantIbLb1EESX_IbLb0EEEEDaST_SU_EUlST_E_NS1_11comp_targetILNS1_3genE9ELNS1_11target_archE1100ELNS1_3gpuE3ELNS1_3repE0EEENS1_30default_config_static_selectorELNS0_4arch9wavefront6targetE0EEEvT1_,"axG",@progbits,_ZN7rocprim17ROCPRIM_400000_NS6detail17trampoline_kernelINS0_14default_configENS1_29reduce_by_key_config_selectorIiiN6thrust23THRUST_200600_302600_NS4plusIiEEEEZZNS1_33reduce_by_key_impl_wrapped_configILNS1_25lookback_scan_determinismE0ES3_S9_NS6_10device_ptrIiEESD_SD_SD_PmS8_NS6_8equal_toIiEEEE10hipError_tPvRmT2_T3_mT4_T5_T6_T7_T8_P12ihipStream_tbENKUlT_T0_E_clISt17integral_constantIbLb1EESX_IbLb0EEEEDaST_SU_EUlST_E_NS1_11comp_targetILNS1_3genE9ELNS1_11target_archE1100ELNS1_3gpuE3ELNS1_3repE0EEENS1_30default_config_static_selectorELNS0_4arch9wavefront6targetE0EEEvT1_,comdat
	.protected	_ZN7rocprim17ROCPRIM_400000_NS6detail17trampoline_kernelINS0_14default_configENS1_29reduce_by_key_config_selectorIiiN6thrust23THRUST_200600_302600_NS4plusIiEEEEZZNS1_33reduce_by_key_impl_wrapped_configILNS1_25lookback_scan_determinismE0ES3_S9_NS6_10device_ptrIiEESD_SD_SD_PmS8_NS6_8equal_toIiEEEE10hipError_tPvRmT2_T3_mT4_T5_T6_T7_T8_P12ihipStream_tbENKUlT_T0_E_clISt17integral_constantIbLb1EESX_IbLb0EEEEDaST_SU_EUlST_E_NS1_11comp_targetILNS1_3genE9ELNS1_11target_archE1100ELNS1_3gpuE3ELNS1_3repE0EEENS1_30default_config_static_selectorELNS0_4arch9wavefront6targetE0EEEvT1_ ; -- Begin function _ZN7rocprim17ROCPRIM_400000_NS6detail17trampoline_kernelINS0_14default_configENS1_29reduce_by_key_config_selectorIiiN6thrust23THRUST_200600_302600_NS4plusIiEEEEZZNS1_33reduce_by_key_impl_wrapped_configILNS1_25lookback_scan_determinismE0ES3_S9_NS6_10device_ptrIiEESD_SD_SD_PmS8_NS6_8equal_toIiEEEE10hipError_tPvRmT2_T3_mT4_T5_T6_T7_T8_P12ihipStream_tbENKUlT_T0_E_clISt17integral_constantIbLb1EESX_IbLb0EEEEDaST_SU_EUlST_E_NS1_11comp_targetILNS1_3genE9ELNS1_11target_archE1100ELNS1_3gpuE3ELNS1_3repE0EEENS1_30default_config_static_selectorELNS0_4arch9wavefront6targetE0EEEvT1_
	.globl	_ZN7rocprim17ROCPRIM_400000_NS6detail17trampoline_kernelINS0_14default_configENS1_29reduce_by_key_config_selectorIiiN6thrust23THRUST_200600_302600_NS4plusIiEEEEZZNS1_33reduce_by_key_impl_wrapped_configILNS1_25lookback_scan_determinismE0ES3_S9_NS6_10device_ptrIiEESD_SD_SD_PmS8_NS6_8equal_toIiEEEE10hipError_tPvRmT2_T3_mT4_T5_T6_T7_T8_P12ihipStream_tbENKUlT_T0_E_clISt17integral_constantIbLb1EESX_IbLb0EEEEDaST_SU_EUlST_E_NS1_11comp_targetILNS1_3genE9ELNS1_11target_archE1100ELNS1_3gpuE3ELNS1_3repE0EEENS1_30default_config_static_selectorELNS0_4arch9wavefront6targetE0EEEvT1_
	.p2align	8
	.type	_ZN7rocprim17ROCPRIM_400000_NS6detail17trampoline_kernelINS0_14default_configENS1_29reduce_by_key_config_selectorIiiN6thrust23THRUST_200600_302600_NS4plusIiEEEEZZNS1_33reduce_by_key_impl_wrapped_configILNS1_25lookback_scan_determinismE0ES3_S9_NS6_10device_ptrIiEESD_SD_SD_PmS8_NS6_8equal_toIiEEEE10hipError_tPvRmT2_T3_mT4_T5_T6_T7_T8_P12ihipStream_tbENKUlT_T0_E_clISt17integral_constantIbLb1EESX_IbLb0EEEEDaST_SU_EUlST_E_NS1_11comp_targetILNS1_3genE9ELNS1_11target_archE1100ELNS1_3gpuE3ELNS1_3repE0EEENS1_30default_config_static_selectorELNS0_4arch9wavefront6targetE0EEEvT1_,@function
_ZN7rocprim17ROCPRIM_400000_NS6detail17trampoline_kernelINS0_14default_configENS1_29reduce_by_key_config_selectorIiiN6thrust23THRUST_200600_302600_NS4plusIiEEEEZZNS1_33reduce_by_key_impl_wrapped_configILNS1_25lookback_scan_determinismE0ES3_S9_NS6_10device_ptrIiEESD_SD_SD_PmS8_NS6_8equal_toIiEEEE10hipError_tPvRmT2_T3_mT4_T5_T6_T7_T8_P12ihipStream_tbENKUlT_T0_E_clISt17integral_constantIbLb1EESX_IbLb0EEEEDaST_SU_EUlST_E_NS1_11comp_targetILNS1_3genE9ELNS1_11target_archE1100ELNS1_3gpuE3ELNS1_3repE0EEENS1_30default_config_static_selectorELNS0_4arch9wavefront6targetE0EEEvT1_: ; @_ZN7rocprim17ROCPRIM_400000_NS6detail17trampoline_kernelINS0_14default_configENS1_29reduce_by_key_config_selectorIiiN6thrust23THRUST_200600_302600_NS4plusIiEEEEZZNS1_33reduce_by_key_impl_wrapped_configILNS1_25lookback_scan_determinismE0ES3_S9_NS6_10device_ptrIiEESD_SD_SD_PmS8_NS6_8equal_toIiEEEE10hipError_tPvRmT2_T3_mT4_T5_T6_T7_T8_P12ihipStream_tbENKUlT_T0_E_clISt17integral_constantIbLb1EESX_IbLb0EEEEDaST_SU_EUlST_E_NS1_11comp_targetILNS1_3genE9ELNS1_11target_archE1100ELNS1_3gpuE3ELNS1_3repE0EEENS1_30default_config_static_selectorELNS0_4arch9wavefront6targetE0EEEvT1_
; %bb.0:
	s_clause 0x4
	s_load_b256 s[20:27], s[0:1], 0x0
	s_load_b256 s[36:43], s[0:1], 0x38
	s_load_b128 s[28:31], s[0:1], 0x20
	s_load_b64 s[34:35], s[0:1], 0x68
	s_load_b128 s[44:47], s[0:1], 0x58
	s_mov_b32 s3, 0
	s_mul_i32 s2, s15, 0xf00
	s_waitcnt lgkmcnt(0)
	s_lshl_b64 s[0:1], s[22:23], 2
	s_mul_i32 s4, s40, s39
	s_add_u32 s8, s20, s0
	s_mul_hi_u32 s5, s40, s38
	s_addc_u32 s9, s21, s1
	s_add_u32 s10, s24, s0
	s_mul_i32 s6, s41, s38
	s_addc_u32 s11, s25, s1
	s_add_i32 s4, s5, s4
	s_lshl_b64 s[0:1], s[2:3], 2
	s_add_i32 s4, s4, s6
	s_add_u32 s18, s8, s0
	s_addc_u32 s14, s9, s1
	s_mul_i32 s7, s40, s38
	s_add_u32 s20, s10, s0
	s_addc_u32 s21, s11, s1
	s_add_u32 s16, s7, s15
	s_addc_u32 s17, s4, 0
	s_add_u32 s0, s42, -1
	s_addc_u32 s1, s43, -1
	s_mul_i32 s33, s0, 0xfffff100
	s_cmp_eq_u64 s[16:17], s[0:1]
	s_cselect_b32 s23, -1, 0
	s_cmp_lg_u64 s[16:17], s[0:1]
	s_cselect_b32 s19, -1, 0
	s_and_b32 vcc_lo, exec_lo, s23
	s_cbranch_vccnz .LBB1119_2
; %bb.1:
	v_lshlrev_b32_e32 v8, 2, v0
	s_delay_alu instid0(VALU_DEP_1) | instskip(NEXT) | instid1(VALU_DEP_1)
	v_add_co_u32 v1, s0, s18, v8
	v_add_co_ci_u32_e64 v2, null, s14, 0, s0
	s_delay_alu instid0(VALU_DEP_2) | instskip(NEXT) | instid1(VALU_DEP_2)
	v_add_co_u32 v3, vcc_lo, 0x1000, v1
	v_add_co_ci_u32_e32 v4, vcc_lo, 0, v2, vcc_lo
	s_clause 0x7
	flat_load_b32 v9, v[1:2]
	flat_load_b32 v10, v[1:2] offset:1024
	flat_load_b32 v11, v[1:2] offset:2048
	;; [unrolled: 1-line block ×3, first 2 shown]
	flat_load_b32 v13, v[3:4]
	flat_load_b32 v14, v[3:4] offset:1024
	flat_load_b32 v15, v[3:4] offset:2048
	;; [unrolled: 1-line block ×3, first 2 shown]
	v_add_co_u32 v3, vcc_lo, 0x2000, v1
	v_add_co_ci_u32_e32 v4, vcc_lo, 0, v2, vcc_lo
	v_add_co_u32 v1, vcc_lo, 0x3000, v1
	v_add_co_ci_u32_e32 v2, vcc_lo, 0, v2, vcc_lo
	s_clause 0x6
	flat_load_b32 v17, v[3:4]
	flat_load_b32 v18, v[3:4] offset:1024
	flat_load_b32 v19, v[3:4] offset:2048
	;; [unrolled: 1-line block ×3, first 2 shown]
	flat_load_b32 v21, v[1:2]
	flat_load_b32 v22, v[1:2] offset:1024
	flat_load_b32 v25, v[1:2] offset:2048
	v_add_co_u32 v2, s0, s20, v8
	s_delay_alu instid0(VALU_DEP_1) | instskip(SKIP_1) | instid1(VALU_DEP_3)
	v_add_co_ci_u32_e64 v3, null, s21, 0, s0
	v_mad_u32_u24 v1, v0, 56, v8
	v_add_co_u32 v4, vcc_lo, 0x1000, v2
	s_delay_alu instid0(VALU_DEP_3)
	v_add_co_ci_u32_e32 v5, vcc_lo, 0, v3, vcc_lo
	v_add_co_u32 v6, vcc_lo, 0x2000, v2
	v_add_co_ci_u32_e32 v7, vcc_lo, 0, v3, vcc_lo
	v_add_co_u32 v23, vcc_lo, 0x3000, v2
	v_add_co_ci_u32_e32 v24, vcc_lo, 0, v3, vcc_lo
	s_waitcnt vmcnt(13) lgkmcnt(13)
	ds_store_2addr_stride64_b32 v8, v9, v10 offset1:4
	s_waitcnt vmcnt(11) lgkmcnt(12)
	ds_store_2addr_stride64_b32 v8, v11, v12 offset0:8 offset1:12
	s_waitcnt vmcnt(9) lgkmcnt(11)
	ds_store_2addr_stride64_b32 v8, v13, v14 offset0:16 offset1:20
	;; [unrolled: 2-line block ×6, first 2 shown]
	s_waitcnt vmcnt(0) lgkmcnt(7)
	ds_store_b32 v8, v25 offset:14336
	s_waitcnt lgkmcnt(0)
	s_barrier
	buffer_gl0_inv
	ds_load_2addr_b32 v[21:22], v1 offset1:1
	ds_load_2addr_b32 v[19:20], v1 offset0:2 offset1:3
	ds_load_2addr_b32 v[17:18], v1 offset0:4 offset1:5
	;; [unrolled: 1-line block ×6, first 2 shown]
	ds_load_b32 v63, v1 offset:56
	s_waitcnt lgkmcnt(0)
	s_barrier
	buffer_gl0_inv
	s_clause 0xe
	flat_load_b32 v25, v[2:3]
	flat_load_b32 v26, v[2:3] offset:1024
	flat_load_b32 v27, v[2:3] offset:2048
	flat_load_b32 v2, v[2:3] offset:3072
	flat_load_b32 v3, v[4:5]
	flat_load_b32 v28, v[4:5] offset:1024
	flat_load_b32 v29, v[4:5] offset:2048
	flat_load_b32 v4, v[4:5] offset:3072
	;; [unrolled: 4-line block ×3, first 2 shown]
	flat_load_b32 v7, v[23:24]
	flat_load_b32 v32, v[23:24] offset:1024
	flat_load_b32 v23, v[23:24] offset:2048
	s_waitcnt vmcnt(13) lgkmcnt(13)
	ds_store_2addr_stride64_b32 v8, v25, v26 offset1:4
	s_waitcnt vmcnt(11) lgkmcnt(12)
	ds_store_2addr_stride64_b32 v8, v27, v2 offset0:8 offset1:12
	s_waitcnt vmcnt(9) lgkmcnt(11)
	ds_store_2addr_stride64_b32 v8, v3, v28 offset0:16 offset1:20
	;; [unrolled: 2-line block ×6, first 2 shown]
	s_waitcnt vmcnt(0) lgkmcnt(7)
	ds_store_b32 v8, v23 offset:14336
	s_waitcnt lgkmcnt(0)
	s_barrier
	s_and_not1_b32 vcc_lo, exec_lo, s3
	s_add_i32 s33, s33, s44
	s_cbranch_vccz .LBB1119_3
	s_branch .LBB1119_50
.LBB1119_2:
                                        ; implicit-def: $vgpr1
                                        ; implicit-def: $vgpr21
                                        ; implicit-def: $vgpr19
                                        ; implicit-def: $vgpr17
                                        ; implicit-def: $vgpr15
                                        ; implicit-def: $vgpr13
                                        ; implicit-def: $vgpr11
                                        ; implicit-def: $vgpr9
                                        ; implicit-def: $vgpr63
	s_add_i32 s33, s33, s44
.LBB1119_3:
	s_delay_alu instid0(SALU_CYCLE_1)
	v_cmp_gt_u32_e32 vcc_lo, s33, v0
                                        ; implicit-def: $vgpr1
	s_and_saveexec_b32 s0, vcc_lo
	s_cbranch_execz .LBB1119_5
; %bb.4:
	v_lshlrev_b32_e32 v1, 2, v0
	s_delay_alu instid0(VALU_DEP_1) | instskip(NEXT) | instid1(VALU_DEP_1)
	v_add_co_u32 v1, s1, s18, v1
	v_add_co_ci_u32_e64 v2, null, s14, 0, s1
	flat_load_b32 v1, v[1:2]
.LBB1119_5:
	s_or_b32 exec_lo, exec_lo, s0
	v_or_b32_e32 v2, 0x100, v0
                                        ; implicit-def: $vgpr9
	s_delay_alu instid0(VALU_DEP_1) | instskip(NEXT) | instid1(VALU_DEP_1)
	v_cmp_gt_u32_e64 s0, s33, v2
	s_and_saveexec_b32 s1, s0
	s_cbranch_execz .LBB1119_7
; %bb.6:
	v_lshlrev_b32_e32 v2, 2, v0
	s_delay_alu instid0(VALU_DEP_1) | instskip(NEXT) | instid1(VALU_DEP_1)
	v_add_co_u32 v2, s2, s18, v2
	v_add_co_ci_u32_e64 v3, null, s14, 0, s2
	flat_load_b32 v9, v[2:3] offset:1024
.LBB1119_7:
	s_or_b32 exec_lo, exec_lo, s1
	v_or_b32_e32 v2, 0x200, v0
                                        ; implicit-def: $vgpr10
	s_delay_alu instid0(VALU_DEP_1) | instskip(NEXT) | instid1(VALU_DEP_1)
	v_cmp_gt_u32_e64 s1, s33, v2
	s_and_saveexec_b32 s2, s1
	s_cbranch_execz .LBB1119_9
; %bb.8:
	v_lshlrev_b32_e32 v2, 2, v0
	s_delay_alu instid0(VALU_DEP_1) | instskip(NEXT) | instid1(VALU_DEP_1)
	v_add_co_u32 v2, s3, s18, v2
	v_add_co_ci_u32_e64 v3, null, s14, 0, s3
	flat_load_b32 v10, v[2:3] offset:2048
.LBB1119_9:
	s_or_b32 exec_lo, exec_lo, s2
	v_or_b32_e32 v2, 0x300, v0
                                        ; implicit-def: $vgpr11
	s_delay_alu instid0(VALU_DEP_1) | instskip(NEXT) | instid1(VALU_DEP_1)
	v_cmp_gt_u32_e64 s2, s33, v2
	s_and_saveexec_b32 s3, s2
	s_cbranch_execz .LBB1119_11
; %bb.10:
	v_lshlrev_b32_e32 v2, 2, v0
	s_delay_alu instid0(VALU_DEP_1) | instskip(NEXT) | instid1(VALU_DEP_1)
	v_add_co_u32 v2, s4, s18, v2
	v_add_co_ci_u32_e64 v3, null, s14, 0, s4
	flat_load_b32 v11, v[2:3] offset:3072
.LBB1119_11:
	s_or_b32 exec_lo, exec_lo, s3
	v_or_b32_e32 v2, 0x400, v0
                                        ; implicit-def: $vgpr12
	s_delay_alu instid0(VALU_DEP_1) | instskip(NEXT) | instid1(VALU_DEP_1)
	v_cmp_gt_u32_e64 s3, s33, v2
	s_and_saveexec_b32 s4, s3
	s_cbranch_execz .LBB1119_13
; %bb.12:
	v_lshlrev_b32_e32 v3, 2, v2
	s_delay_alu instid0(VALU_DEP_1) | instskip(NEXT) | instid1(VALU_DEP_1)
	v_add_co_u32 v3, s5, s18, v3
	v_add_co_ci_u32_e64 v4, null, s14, 0, s5
	flat_load_b32 v12, v[3:4]
.LBB1119_13:
	s_or_b32 exec_lo, exec_lo, s4
	v_or_b32_e32 v3, 0x500, v0
                                        ; implicit-def: $vgpr13
	s_delay_alu instid0(VALU_DEP_1) | instskip(NEXT) | instid1(VALU_DEP_1)
	v_cmp_gt_u32_e64 s4, s33, v3
	s_and_saveexec_b32 s5, s4
	s_cbranch_execz .LBB1119_15
; %bb.14:
	v_lshlrev_b32_e32 v4, 2, v3
	s_delay_alu instid0(VALU_DEP_1) | instskip(NEXT) | instid1(VALU_DEP_1)
	v_add_co_u32 v4, s6, s18, v4
	v_add_co_ci_u32_e64 v5, null, s14, 0, s6
	flat_load_b32 v13, v[4:5]
.LBB1119_15:
	s_or_b32 exec_lo, exec_lo, s5
	v_or_b32_e32 v4, 0x600, v0
                                        ; implicit-def: $vgpr14
	s_delay_alu instid0(VALU_DEP_1) | instskip(NEXT) | instid1(VALU_DEP_1)
	v_cmp_gt_u32_e64 s5, s33, v4
	s_and_saveexec_b32 s6, s5
	s_cbranch_execz .LBB1119_17
; %bb.16:
	v_lshlrev_b32_e32 v5, 2, v4
	s_delay_alu instid0(VALU_DEP_1) | instskip(NEXT) | instid1(VALU_DEP_1)
	v_add_co_u32 v5, s7, s18, v5
	v_add_co_ci_u32_e64 v6, null, s14, 0, s7
	flat_load_b32 v14, v[5:6]
.LBB1119_17:
	s_or_b32 exec_lo, exec_lo, s6
	v_or_b32_e32 v5, 0x700, v0
                                        ; implicit-def: $vgpr15
	s_delay_alu instid0(VALU_DEP_1) | instskip(NEXT) | instid1(VALU_DEP_1)
	v_cmp_gt_u32_e64 s6, s33, v5
	s_and_saveexec_b32 s7, s6
	s_cbranch_execz .LBB1119_19
; %bb.18:
	v_lshlrev_b32_e32 v6, 2, v5
	s_delay_alu instid0(VALU_DEP_1) | instskip(NEXT) | instid1(VALU_DEP_1)
	v_add_co_u32 v6, s8, s18, v6
	v_add_co_ci_u32_e64 v7, null, s14, 0, s8
	flat_load_b32 v15, v[6:7]
.LBB1119_19:
	s_or_b32 exec_lo, exec_lo, s7
	v_or_b32_e32 v6, 0x800, v0
                                        ; implicit-def: $vgpr16
	s_delay_alu instid0(VALU_DEP_1) | instskip(NEXT) | instid1(VALU_DEP_1)
	v_cmp_gt_u32_e64 s7, s33, v6
	s_and_saveexec_b32 s8, s7
	s_cbranch_execz .LBB1119_21
; %bb.20:
	v_lshlrev_b32_e32 v7, 2, v6
	s_delay_alu instid0(VALU_DEP_1) | instskip(NEXT) | instid1(VALU_DEP_1)
	v_add_co_u32 v7, s9, s18, v7
	v_add_co_ci_u32_e64 v8, null, s14, 0, s9
	flat_load_b32 v16, v[7:8]
.LBB1119_21:
	s_or_b32 exec_lo, exec_lo, s8
	v_or_b32_e32 v8, 0x900, v0
                                        ; implicit-def: $vgpr17
	s_delay_alu instid0(VALU_DEP_1) | instskip(NEXT) | instid1(VALU_DEP_1)
	v_cmp_gt_u32_e64 s8, s33, v8
	s_and_saveexec_b32 s9, s8
	s_cbranch_execz .LBB1119_23
; %bb.22:
	v_lshlrev_b32_e32 v7, 2, v8
	s_delay_alu instid0(VALU_DEP_1) | instskip(NEXT) | instid1(VALU_DEP_1)
	v_add_co_u32 v17, s10, s18, v7
	v_add_co_ci_u32_e64 v18, null, s14, 0, s10
	flat_load_b32 v17, v[17:18]
.LBB1119_23:
	s_or_b32 exec_lo, exec_lo, s9
	v_or_b32_e32 v23, 0xa00, v0
                                        ; implicit-def: $vgpr18
	s_delay_alu instid0(VALU_DEP_1) | instskip(NEXT) | instid1(VALU_DEP_1)
	v_cmp_gt_u32_e64 s9, s33, v23
	s_and_saveexec_b32 s10, s9
	s_cbranch_execz .LBB1119_25
; %bb.24:
	v_lshlrev_b32_e32 v7, 2, v23
	s_delay_alu instid0(VALU_DEP_1) | instskip(NEXT) | instid1(VALU_DEP_1)
	v_add_co_u32 v18, s11, s18, v7
	v_add_co_ci_u32_e64 v19, null, s14, 0, s11
	flat_load_b32 v18, v[18:19]
.LBB1119_25:
	s_or_b32 exec_lo, exec_lo, s10
	v_or_b32_e32 v24, 0xb00, v0
                                        ; implicit-def: $vgpr19
	s_delay_alu instid0(VALU_DEP_1) | instskip(NEXT) | instid1(VALU_DEP_1)
	v_cmp_gt_u32_e64 s10, s33, v24
	s_and_saveexec_b32 s11, s10
	s_cbranch_execz .LBB1119_27
; %bb.26:
	v_lshlrev_b32_e32 v7, 2, v24
	s_delay_alu instid0(VALU_DEP_1) | instskip(NEXT) | instid1(VALU_DEP_1)
	v_add_co_u32 v19, s12, s18, v7
	v_add_co_ci_u32_e64 v20, null, s14, 0, s12
	flat_load_b32 v19, v[19:20]
.LBB1119_27:
	s_or_b32 exec_lo, exec_lo, s11
	v_or_b32_e32 v25, 0xc00, v0
                                        ; implicit-def: $vgpr20
	s_delay_alu instid0(VALU_DEP_1) | instskip(NEXT) | instid1(VALU_DEP_1)
	v_cmp_gt_u32_e64 s11, s33, v25
	s_and_saveexec_b32 s12, s11
	s_cbranch_execz .LBB1119_29
; %bb.28:
	v_lshlrev_b32_e32 v7, 2, v25
	s_delay_alu instid0(VALU_DEP_1) | instskip(NEXT) | instid1(VALU_DEP_1)
	v_add_co_u32 v20, s13, s18, v7
	v_add_co_ci_u32_e64 v21, null, s14, 0, s13
	flat_load_b32 v20, v[20:21]
.LBB1119_29:
	s_or_b32 exec_lo, exec_lo, s12
	v_or_b32_e32 v26, 0xd00, v0
                                        ; implicit-def: $vgpr21
	s_delay_alu instid0(VALU_DEP_1) | instskip(NEXT) | instid1(VALU_DEP_1)
	v_cmp_gt_u32_e64 s12, s33, v26
	s_and_saveexec_b32 s13, s12
	s_cbranch_execz .LBB1119_31
; %bb.30:
	v_lshlrev_b32_e32 v7, 2, v26
	s_delay_alu instid0(VALU_DEP_1) | instskip(NEXT) | instid1(VALU_DEP_1)
	v_add_co_u32 v21, s22, s18, v7
	v_add_co_ci_u32_e64 v22, null, s14, 0, s22
	flat_load_b32 v21, v[21:22]
.LBB1119_31:
	s_or_b32 exec_lo, exec_lo, s13
	v_or_b32_e32 v27, 0xe00, v0
                                        ; implicit-def: $vgpr22
	s_delay_alu instid0(VALU_DEP_1) | instskip(NEXT) | instid1(VALU_DEP_1)
	v_cmp_gt_u32_e64 s13, s33, v27
	s_and_saveexec_b32 s22, s13
	s_cbranch_execz .LBB1119_33
; %bb.32:
	v_lshlrev_b32_e32 v7, 2, v27
	s_delay_alu instid0(VALU_DEP_1) | instskip(NEXT) | instid1(VALU_DEP_1)
	v_add_co_u32 v28, s24, s18, v7
	v_add_co_ci_u32_e64 v29, null, s14, 0, s24
	flat_load_b32 v22, v[28:29]
.LBB1119_33:
	s_or_b32 exec_lo, exec_lo, s22
	v_lshlrev_b32_e32 v7, 2, v0
                                        ; implicit-def: $vgpr28
	s_waitcnt vmcnt(0) lgkmcnt(0)
	ds_store_2addr_stride64_b32 v7, v1, v9 offset1:4
	ds_store_2addr_stride64_b32 v7, v10, v11 offset0:8 offset1:12
	ds_store_2addr_stride64_b32 v7, v12, v13 offset0:16 offset1:20
	;; [unrolled: 1-line block ×6, first 2 shown]
	v_mad_u32_u24 v1, v0, 56, v7
	ds_store_b32 v7, v22 offset:14336
	s_waitcnt lgkmcnt(0)
	s_barrier
	buffer_gl0_inv
	ds_load_2addr_b32 v[21:22], v1 offset1:1
	ds_load_2addr_b32 v[19:20], v1 offset0:2 offset1:3
	ds_load_2addr_b32 v[17:18], v1 offset0:4 offset1:5
	;; [unrolled: 1-line block ×6, first 2 shown]
	ds_load_b32 v63, v1 offset:56
	s_waitcnt lgkmcnt(0)
	s_barrier
	buffer_gl0_inv
	s_and_saveexec_b32 s22, vcc_lo
	s_cbranch_execnz .LBB1119_57
; %bb.34:
	s_or_b32 exec_lo, exec_lo, s22
                                        ; implicit-def: $vgpr29
	s_and_saveexec_b32 s22, s0
	s_cbranch_execnz .LBB1119_58
.LBB1119_35:
	s_or_b32 exec_lo, exec_lo, s22
                                        ; implicit-def: $vgpr30
	s_and_saveexec_b32 s0, s1
	s_cbranch_execnz .LBB1119_59
.LBB1119_36:
	s_or_b32 exec_lo, exec_lo, s0
                                        ; implicit-def: $vgpr31
	s_and_saveexec_b32 s0, s2
	s_cbranch_execnz .LBB1119_60
.LBB1119_37:
	s_or_b32 exec_lo, exec_lo, s0
                                        ; implicit-def: $vgpr32
	s_and_saveexec_b32 s0, s3
	s_cbranch_execnz .LBB1119_61
.LBB1119_38:
	s_or_b32 exec_lo, exec_lo, s0
                                        ; implicit-def: $vgpr2
	s_and_saveexec_b32 s0, s4
	s_cbranch_execnz .LBB1119_62
.LBB1119_39:
	s_or_b32 exec_lo, exec_lo, s0
                                        ; implicit-def: $vgpr3
	s_and_saveexec_b32 s0, s5
	s_cbranch_execnz .LBB1119_63
.LBB1119_40:
	s_or_b32 exec_lo, exec_lo, s0
                                        ; implicit-def: $vgpr4
	s_and_saveexec_b32 s0, s6
	s_cbranch_execnz .LBB1119_64
.LBB1119_41:
	s_or_b32 exec_lo, exec_lo, s0
                                        ; implicit-def: $vgpr5
	s_and_saveexec_b32 s0, s7
	s_cbranch_execnz .LBB1119_65
.LBB1119_42:
	s_or_b32 exec_lo, exec_lo, s0
                                        ; implicit-def: $vgpr6
	s_and_saveexec_b32 s0, s8
	s_cbranch_execnz .LBB1119_66
.LBB1119_43:
	s_or_b32 exec_lo, exec_lo, s0
                                        ; implicit-def: $vgpr8
	s_and_saveexec_b32 s0, s9
	s_cbranch_execnz .LBB1119_67
.LBB1119_44:
	s_or_b32 exec_lo, exec_lo, s0
                                        ; implicit-def: $vgpr23
	s_and_saveexec_b32 s0, s10
	s_cbranch_execnz .LBB1119_68
.LBB1119_45:
	s_or_b32 exec_lo, exec_lo, s0
                                        ; implicit-def: $vgpr24
	s_and_saveexec_b32 s0, s11
	s_cbranch_execnz .LBB1119_69
.LBB1119_46:
	s_or_b32 exec_lo, exec_lo, s0
                                        ; implicit-def: $vgpr25
	s_and_saveexec_b32 s0, s12
	s_cbranch_execnz .LBB1119_70
.LBB1119_47:
	s_or_b32 exec_lo, exec_lo, s0
                                        ; implicit-def: $vgpr26
	s_and_saveexec_b32 s0, s13
	s_cbranch_execz .LBB1119_49
.LBB1119_48:
	v_lshlrev_b32_e32 v26, 2, v27
	s_delay_alu instid0(VALU_DEP_1) | instskip(NEXT) | instid1(VALU_DEP_1)
	v_add_co_u32 v26, s1, s20, v26
	v_add_co_ci_u32_e64 v27, null, s21, 0, s1
	flat_load_b32 v26, v[26:27]
.LBB1119_49:
	s_or_b32 exec_lo, exec_lo, s0
	s_waitcnt vmcnt(0) lgkmcnt(0)
	ds_store_2addr_stride64_b32 v7, v28, v29 offset1:4
	ds_store_2addr_stride64_b32 v7, v30, v31 offset0:8 offset1:12
	ds_store_2addr_stride64_b32 v7, v32, v2 offset0:16 offset1:20
	;; [unrolled: 1-line block ×6, first 2 shown]
	ds_store_b32 v7, v26 offset:14336
	s_waitcnt lgkmcnt(0)
	s_barrier
.LBB1119_50:
	buffer_gl0_inv
	ds_load_2addr_b32 v[35:36], v1 offset1:1
	ds_load_2addr_b32 v[33:34], v1 offset0:2 offset1:3
	ds_load_2addr_b32 v[31:32], v1 offset0:4 offset1:5
	;; [unrolled: 1-line block ×6, first 2 shown]
	ds_load_b32 v79, v1 offset:56
	s_cmp_eq_u64 s[16:17], 0
	s_waitcnt lgkmcnt(0)
	s_cselect_b32 s40, -1, 0
	s_cmp_lg_u64 s[16:17], 0
	s_barrier
	s_cselect_b32 s20, -1, 0
	s_and_b32 vcc_lo, exec_lo, s19
	buffer_gl0_inv
	s_cbranch_vccz .LBB1119_56
; %bb.51:
	s_and_b32 vcc_lo, exec_lo, s20
	s_cbranch_vccz .LBB1119_71
; %bb.52:
	v_add_co_u32 v1, s0, -4, s18
	s_delay_alu instid0(VALU_DEP_1)
	v_add_co_ci_u32_e64 v2, null, -1, s14, s0
	v_cmp_ne_u32_e32 vcc_lo, v10, v63
	v_cmp_ne_u32_e64 s0, v9, v10
	v_cmp_ne_u32_e64 s1, v12, v9
	flat_load_b32 v1, v[1:2]
	v_lshlrev_b32_e32 v2, 2, v0
	v_cmp_ne_u32_e64 s2, v11, v12
	v_cmp_ne_u32_e64 s3, v14, v11
	;; [unrolled: 1-line block ×11, first 2 shown]
	s_mov_b32 s41, -1
	s_mov_b32 s19, 0
	s_mov_b32 s21, exec_lo
	ds_store_b32 v2, v63
	s_waitcnt vmcnt(0) lgkmcnt(0)
	s_barrier
	buffer_gl0_inv
	v_cmpx_ne_u32_e32 0, v0
	s_cbranch_execz .LBB1119_54
; %bb.53:
	v_add_nc_u32_e32 v1, -4, v2
	ds_load_b32 v1, v1
.LBB1119_54:
	s_or_b32 exec_lo, exec_lo, s21
	v_cndmask_b32_e64 v71, 0, 1, vcc_lo
	v_cndmask_b32_e64 v64, 0, 1, s0
	v_cndmask_b32_e64 v65, 0, 1, s1
	v_cndmask_b32_e64 v66, 0, 1, s2
	v_cndmask_b32_e64 v67, 0, 1, s3
	v_cndmask_b32_e64 v68, 0, 1, s4
	v_cndmask_b32_e64 v69, 0, 1, s5
	v_cndmask_b32_e64 v70, 0, 1, s6
	v_cndmask_b32_e64 v72, 0, 1, s7
	v_cndmask_b32_e64 v73, 0, 1, s8
	v_cndmask_b32_e64 v74, 0, 1, s9
	v_cndmask_b32_e64 v75, 0, 1, s10
	v_cndmask_b32_e64 v76, 0, 1, s11
	v_cndmask_b32_e64 v77, 0, 1, s12
	s_waitcnt lgkmcnt(0)
	v_cmp_ne_u32_e64 s0, v1, v21
	s_and_b32 vcc_lo, exec_lo, s19
	s_cbranch_vccnz .LBB1119_72
.LBB1119_55:
                                        ; implicit-def: $sgpr1
	s_branch .LBB1119_83
.LBB1119_56:
	s_mov_b32 s41, 0
                                        ; implicit-def: $sgpr0
                                        ; implicit-def: $vgpr71
                                        ; implicit-def: $vgpr64
                                        ; implicit-def: $vgpr65
                                        ; implicit-def: $vgpr66
                                        ; implicit-def: $vgpr67
                                        ; implicit-def: $vgpr68
                                        ; implicit-def: $vgpr69
                                        ; implicit-def: $vgpr70
                                        ; implicit-def: $vgpr72
                                        ; implicit-def: $vgpr73
                                        ; implicit-def: $vgpr74
                                        ; implicit-def: $vgpr75
                                        ; implicit-def: $vgpr76
                                        ; implicit-def: $vgpr77
                                        ; implicit-def: $sgpr1
	s_cbranch_execnz .LBB1119_75
	s_branch .LBB1119_83
.LBB1119_57:
	v_add_co_u32 v28, s24, s20, v7
	s_delay_alu instid0(VALU_DEP_1)
	v_add_co_ci_u32_e64 v29, null, s21, 0, s24
	flat_load_b32 v28, v[28:29]
	s_or_b32 exec_lo, exec_lo, s22
                                        ; implicit-def: $vgpr29
	s_and_saveexec_b32 s22, s0
	s_cbranch_execz .LBB1119_35
.LBB1119_58:
	v_add_co_u32 v29, s0, s20, v7
	s_delay_alu instid0(VALU_DEP_1)
	v_add_co_ci_u32_e64 v30, null, s21, 0, s0
	flat_load_b32 v29, v[29:30] offset:1024
	s_or_b32 exec_lo, exec_lo, s22
                                        ; implicit-def: $vgpr30
	s_and_saveexec_b32 s0, s1
	s_cbranch_execz .LBB1119_36
.LBB1119_59:
	v_add_co_u32 v30, s1, s20, v7
	s_delay_alu instid0(VALU_DEP_1)
	v_add_co_ci_u32_e64 v31, null, s21, 0, s1
	flat_load_b32 v30, v[30:31] offset:2048
	s_or_b32 exec_lo, exec_lo, s0
                                        ; implicit-def: $vgpr31
	s_and_saveexec_b32 s0, s2
	s_cbranch_execz .LBB1119_37
.LBB1119_60:
	v_add_co_u32 v31, s1, s20, v7
	s_delay_alu instid0(VALU_DEP_1)
	v_add_co_ci_u32_e64 v32, null, s21, 0, s1
	flat_load_b32 v31, v[31:32] offset:3072
	s_or_b32 exec_lo, exec_lo, s0
                                        ; implicit-def: $vgpr32
	s_and_saveexec_b32 s0, s3
	s_cbranch_execz .LBB1119_38
.LBB1119_61:
	v_lshlrev_b32_e32 v2, 2, v2
	s_delay_alu instid0(VALU_DEP_1) | instskip(NEXT) | instid1(VALU_DEP_1)
	v_add_co_u32 v32, s1, s20, v2
	v_add_co_ci_u32_e64 v33, null, s21, 0, s1
	flat_load_b32 v32, v[32:33]
	s_or_b32 exec_lo, exec_lo, s0
                                        ; implicit-def: $vgpr2
	s_and_saveexec_b32 s0, s4
	s_cbranch_execz .LBB1119_39
.LBB1119_62:
	v_lshlrev_b32_e32 v2, 2, v3
	s_delay_alu instid0(VALU_DEP_1) | instskip(NEXT) | instid1(VALU_DEP_1)
	v_add_co_u32 v2, s1, s20, v2
	v_add_co_ci_u32_e64 v3, null, s21, 0, s1
	flat_load_b32 v2, v[2:3]
	s_or_b32 exec_lo, exec_lo, s0
                                        ; implicit-def: $vgpr3
	s_and_saveexec_b32 s0, s5
	s_cbranch_execz .LBB1119_40
.LBB1119_63:
	v_lshlrev_b32_e32 v3, 2, v4
	s_delay_alu instid0(VALU_DEP_1) | instskip(NEXT) | instid1(VALU_DEP_1)
	v_add_co_u32 v3, s1, s20, v3
	v_add_co_ci_u32_e64 v4, null, s21, 0, s1
	flat_load_b32 v3, v[3:4]
	s_or_b32 exec_lo, exec_lo, s0
                                        ; implicit-def: $vgpr4
	s_and_saveexec_b32 s0, s6
	s_cbranch_execz .LBB1119_41
.LBB1119_64:
	v_lshlrev_b32_e32 v4, 2, v5
	s_delay_alu instid0(VALU_DEP_1) | instskip(NEXT) | instid1(VALU_DEP_1)
	v_add_co_u32 v4, s1, s20, v4
	v_add_co_ci_u32_e64 v5, null, s21, 0, s1
	flat_load_b32 v4, v[4:5]
	s_or_b32 exec_lo, exec_lo, s0
                                        ; implicit-def: $vgpr5
	s_and_saveexec_b32 s0, s7
	s_cbranch_execz .LBB1119_42
.LBB1119_65:
	v_lshlrev_b32_e32 v5, 2, v6
	s_delay_alu instid0(VALU_DEP_1) | instskip(NEXT) | instid1(VALU_DEP_1)
	v_add_co_u32 v5, s1, s20, v5
	v_add_co_ci_u32_e64 v6, null, s21, 0, s1
	flat_load_b32 v5, v[5:6]
	s_or_b32 exec_lo, exec_lo, s0
                                        ; implicit-def: $vgpr6
	s_and_saveexec_b32 s0, s8
	s_cbranch_execz .LBB1119_43
.LBB1119_66:
	v_lshlrev_b32_e32 v6, 2, v8
	s_delay_alu instid0(VALU_DEP_1) | instskip(NEXT) | instid1(VALU_DEP_1)
	v_add_co_u32 v33, s1, s20, v6
	v_add_co_ci_u32_e64 v34, null, s21, 0, s1
	flat_load_b32 v6, v[33:34]
	s_or_b32 exec_lo, exec_lo, s0
                                        ; implicit-def: $vgpr8
	s_and_saveexec_b32 s0, s9
	s_cbranch_execz .LBB1119_44
.LBB1119_67:
	v_lshlrev_b32_e32 v8, 2, v23
	s_delay_alu instid0(VALU_DEP_1) | instskip(NEXT) | instid1(VALU_DEP_1)
	v_add_co_u32 v33, s1, s20, v8
	v_add_co_ci_u32_e64 v34, null, s21, 0, s1
	flat_load_b32 v8, v[33:34]
	s_or_b32 exec_lo, exec_lo, s0
                                        ; implicit-def: $vgpr23
	s_and_saveexec_b32 s0, s10
	s_cbranch_execz .LBB1119_45
.LBB1119_68:
	v_lshlrev_b32_e32 v23, 2, v24
	s_delay_alu instid0(VALU_DEP_1) | instskip(NEXT) | instid1(VALU_DEP_1)
	v_add_co_u32 v23, s1, s20, v23
	v_add_co_ci_u32_e64 v24, null, s21, 0, s1
	flat_load_b32 v23, v[23:24]
	s_or_b32 exec_lo, exec_lo, s0
                                        ; implicit-def: $vgpr24
	s_and_saveexec_b32 s0, s11
	s_cbranch_execz .LBB1119_46
.LBB1119_69:
	v_lshlrev_b32_e32 v24, 2, v25
	s_delay_alu instid0(VALU_DEP_1) | instskip(NEXT) | instid1(VALU_DEP_1)
	v_add_co_u32 v24, s1, s20, v24
	v_add_co_ci_u32_e64 v25, null, s21, 0, s1
	flat_load_b32 v24, v[24:25]
	s_or_b32 exec_lo, exec_lo, s0
                                        ; implicit-def: $vgpr25
	s_and_saveexec_b32 s0, s12
	s_cbranch_execz .LBB1119_47
.LBB1119_70:
	v_lshlrev_b32_e32 v25, 2, v26
	s_delay_alu instid0(VALU_DEP_1) | instskip(NEXT) | instid1(VALU_DEP_1)
	v_add_co_u32 v25, s1, s20, v25
	v_add_co_ci_u32_e64 v26, null, s21, 0, s1
	flat_load_b32 v25, v[25:26]
	s_or_b32 exec_lo, exec_lo, s0
                                        ; implicit-def: $vgpr26
	s_and_saveexec_b32 s0, s13
	s_cbranch_execnz .LBB1119_48
	s_branch .LBB1119_49
.LBB1119_71:
	s_mov_b32 s41, 0
                                        ; implicit-def: $sgpr0
                                        ; implicit-def: $vgpr71
                                        ; implicit-def: $vgpr64
                                        ; implicit-def: $vgpr65
                                        ; implicit-def: $vgpr66
                                        ; implicit-def: $vgpr67
                                        ; implicit-def: $vgpr68
                                        ; implicit-def: $vgpr69
                                        ; implicit-def: $vgpr70
                                        ; implicit-def: $vgpr72
                                        ; implicit-def: $vgpr73
                                        ; implicit-def: $vgpr74
                                        ; implicit-def: $vgpr75
                                        ; implicit-def: $vgpr76
                                        ; implicit-def: $vgpr77
	s_cbranch_execz .LBB1119_55
.LBB1119_72:
	v_cmp_ne_u32_e32 vcc_lo, v10, v63
	v_lshlrev_b32_e32 v1, 2, v0
	s_mov_b32 s1, exec_lo
                                        ; implicit-def: $sgpr0
	v_cndmask_b32_e64 v71, 0, 1, vcc_lo
	v_cmp_ne_u32_e32 vcc_lo, v9, v10
	ds_store_b32 v1, v63
	s_waitcnt lgkmcnt(0)
	s_barrier
	buffer_gl0_inv
	v_cndmask_b32_e64 v64, 0, 1, vcc_lo
	v_cmp_ne_u32_e32 vcc_lo, v12, v9
	v_cndmask_b32_e64 v65, 0, 1, vcc_lo
	v_cmp_ne_u32_e32 vcc_lo, v11, v12
	;; [unrolled: 2-line block ×12, first 2 shown]
	v_cndmask_b32_e64 v77, 0, 1, vcc_lo
	v_cmpx_ne_u32_e32 0, v0
	s_xor_b32 s1, exec_lo, s1
	s_cbranch_execz .LBB1119_74
; %bb.73:
	v_add_nc_u32_e32 v1, -4, v1
	s_or_b32 s41, s41, exec_lo
	ds_load_b32 v1, v1
	s_waitcnt lgkmcnt(0)
	v_cmp_ne_u32_e32 vcc_lo, v1, v21
	s_and_b32 s0, vcc_lo, exec_lo
.LBB1119_74:
	s_or_b32 exec_lo, exec_lo, s1
	s_mov_b32 s1, 1
	s_branch .LBB1119_83
.LBB1119_75:
	s_mul_hi_u32 s0, s16, 0xfffff100
	s_mul_i32 s1, s17, 0xfffff100
	s_sub_i32 s0, s0, s16
	s_mul_i32 s2, s16, 0xfffff100
	s_add_i32 s0, s0, s1
	s_add_u32 s24, s2, s44
	s_addc_u32 s25, s0, s45
	s_and_b32 vcc_lo, exec_lo, s20
	s_cbranch_vccz .LBB1119_80
; %bb.76:
	v_add_co_u32 v1, s0, -4, s18
	s_delay_alu instid0(VALU_DEP_1)
	v_add_co_ci_u32_e64 v2, null, -1, s14, s0
	v_cmp_ne_u32_e64 s6, v10, v63
	v_cmp_ne_u32_e64 s8, v9, v10
	v_lshlrev_b32_e32 v4, 2, v0
	flat_load_b32 v5, v[1:2]
	v_mad_u32_u24 v1, v0, 15, 14
	v_mov_b32_e32 v2, 0
	v_mul_u32_u24_e32 v3, 15, v0
	s_mov_b32 s41, -1
	s_mov_b32 s10, 0
	ds_store_b32 v4, v63
	v_cmp_gt_u64_e32 vcc_lo, s[24:25], v[1:2]
	v_mad_u32_u24 v1, v0, 15, 13
	s_waitcnt vmcnt(0) lgkmcnt(0)
	s_barrier
	buffer_gl0_inv
	v_cmp_gt_u64_e64 s0, s[24:25], v[1:2]
	v_mad_u32_u24 v1, v0, 15, 12
	s_and_b32 s11, vcc_lo, s6
	v_cmp_ne_u32_e64 s6, v11, v12
	s_delay_alu instid0(VALU_DEP_2) | instskip(SKIP_4) | instid1(VALU_DEP_3)
	v_cmp_gt_u64_e64 s1, s[24:25], v[1:2]
	v_mad_u32_u24 v1, v0, 15, 11
	s_and_b32 s12, s0, s8
	v_cmp_ne_u32_e64 s0, v12, v9
	v_cmp_ne_u32_e64 s8, v14, v11
	v_cmp_gt_u64_e64 s2, s[24:25], v[1:2]
	v_mad_u32_u24 v1, v0, 15, 10
	s_delay_alu instid0(VALU_DEP_4) | instskip(SKIP_1) | instid1(VALU_DEP_2)
	s_and_b32 s13, s1, s0
	v_cmp_ne_u32_e64 s0, v13, v14
	v_cmp_gt_u64_e64 s3, s[24:25], v[1:2]
	v_mad_u32_u24 v1, v0, 15, 9
	s_and_b32 s14, s2, s6
	v_cmp_ne_u32_e64 s2, v15, v16
	v_cmp_ne_u32_e64 s6, v21, v22
	s_delay_alu instid0(VALU_DEP_3) | instskip(SKIP_3) | instid1(VALU_DEP_2)
	v_cmp_gt_u64_e64 s4, s[24:25], v[1:2]
	v_mad_u32_u24 v1, v0, 15, 8
	s_and_b32 s8, s3, s8
	v_cmp_ne_u32_e64 s3, v18, v15
	v_cmp_gt_u64_e64 s5, s[24:25], v[1:2]
	v_mad_u32_u24 v1, v0, 15, 7
	s_and_b32 s16, s4, s0
	v_cmp_ne_u32_e64 s0, v16, v13
	s_delay_alu instid0(VALU_DEP_2) | instskip(SKIP_1) | instid1(VALU_DEP_3)
	v_cmp_gt_u64_e64 s7, s[24:25], v[1:2]
	v_mad_u32_u24 v1, v0, 15, 6
	s_and_b32 s17, s5, s0
	v_cmp_ne_u32_e64 s0, v17, v18
	s_delay_alu instid0(VALU_DEP_2) | instskip(SKIP_3) | instid1(VALU_DEP_2)
	v_cmp_gt_u64_e32 vcc_lo, s[24:25], v[1:2]
	v_mad_u32_u24 v1, v0, 15, 5
	s_and_b32 s18, s7, s2
	v_cmp_ne_u32_e64 s2, v19, v20
	v_cmp_gt_u64_e64 s9, s[24:25], v[1:2]
	v_mad_u32_u24 v1, v0, 15, 4
	s_and_b32 s7, vcc_lo, s3
	v_cmp_ne_u32_e64 s3, v22, v19
	s_delay_alu instid0(VALU_DEP_2) | instskip(SKIP_3) | instid1(VALU_DEP_2)
	v_cmp_gt_u64_e64 s1, s[24:25], v[1:2]
	v_mad_u32_u24 v1, v0, 15, 3
	s_and_b32 s9, s9, s0
	v_cmp_ne_u32_e64 s0, v20, v17
	v_cmp_gt_u64_e64 s4, s[24:25], v[1:2]
	v_mad_u32_u24 v1, v0, 15, 2
	s_delay_alu instid0(VALU_DEP_3) | instskip(NEXT) | instid1(VALU_DEP_1)
	s_and_b32 s0, s1, s0
	v_cmp_gt_u64_e32 vcc_lo, s[24:25], v[1:2]
	v_mad_u32_u24 v1, v0, 15, 1
	s_delay_alu instid0(VALU_DEP_4) | instskip(SKIP_1) | instid1(VALU_DEP_1)
	s_and_b32 s2, s4, s2
	s_mov_b32 s4, exec_lo
	v_cmp_gt_u64_e64 s5, s[24:25], v[1:2]
	s_and_b32 s1, vcc_lo, s3
	s_delay_alu instid0(VALU_DEP_1)
	s_and_b32 s3, s5, s6
	v_cmpx_ne_u32_e32 0, v0
	s_cbranch_execz .LBB1119_78
; %bb.77:
	v_add_nc_u32_e32 v1, -4, v4
	ds_load_b32 v5, v1
.LBB1119_78:
	s_or_b32 exec_lo, exec_lo, s4
	v_mov_b32_e32 v4, v2
	v_cndmask_b32_e64 v74, 0, 1, s0
	s_waitcnt lgkmcnt(0)
	v_cmp_ne_u32_e64 s0, v5, v21
	v_cndmask_b32_e64 v71, 0, 1, s11
	v_cndmask_b32_e64 v64, 0, 1, s12
	v_cmp_gt_u64_e32 vcc_lo, s[24:25], v[3:4]
	v_cndmask_b32_e64 v65, 0, 1, s13
	v_cndmask_b32_e64 v66, 0, 1, s14
	;; [unrolled: 1-line block ×11, first 2 shown]
	s_and_b32 s0, vcc_lo, s0
	s_and_b32 vcc_lo, exec_lo, s10
	s_cbranch_vccnz .LBB1119_81
.LBB1119_79:
                                        ; implicit-def: $sgpr1
	v_mov_b32_e32 v78, s1
	s_and_saveexec_b32 s1, s41
	s_cbranch_execnz .LBB1119_84
	s_branch .LBB1119_85
.LBB1119_80:
                                        ; implicit-def: $sgpr0
                                        ; implicit-def: $vgpr71
                                        ; implicit-def: $vgpr64
                                        ; implicit-def: $vgpr65
                                        ; implicit-def: $vgpr66
                                        ; implicit-def: $vgpr67
                                        ; implicit-def: $vgpr68
                                        ; implicit-def: $vgpr69
                                        ; implicit-def: $vgpr70
                                        ; implicit-def: $vgpr72
                                        ; implicit-def: $vgpr73
                                        ; implicit-def: $vgpr74
                                        ; implicit-def: $vgpr75
                                        ; implicit-def: $vgpr76
                                        ; implicit-def: $vgpr77
	s_cbranch_execz .LBB1119_79
.LBB1119_81:
	v_mad_u32_u24 v1, v0, 15, 14
	v_dual_mov_b32 v2, 0 :: v_dual_lshlrev_b32 v3, 2, v0
	v_cmp_ne_u32_e64 s5, v9, v10
	v_cmp_ne_u32_e64 s4, v10, v63
	;; [unrolled: 1-line block ×3, first 2 shown]
	s_delay_alu instid0(VALU_DEP_4)
	v_cmp_gt_u64_e32 vcc_lo, s[24:25], v[1:2]
	v_mad_u32_u24 v1, v0, 15, 13
	v_cmp_ne_u32_e64 s8, v11, v12
	v_cmp_ne_u32_e64 s9, v14, v11
	;; [unrolled: 1-line block ×4, first 2 shown]
	v_cmp_gt_u64_e64 s0, s[24:25], v[1:2]
	v_mad_u32_u24 v1, v0, 15, 12
	s_and_b32 s4, vcc_lo, s4
	v_cmp_ne_u32_e64 s13, v15, v16
	v_cmp_ne_u32_e64 s14, v18, v15
	;; [unrolled: 1-line block ×3, first 2 shown]
	v_cmp_gt_u64_e64 s1, s[24:25], v[1:2]
	v_mad_u32_u24 v1, v0, 15, 11
	s_and_b32 s0, s0, s5
	v_cmp_ne_u32_e64 s17, v20, v17
	v_cndmask_b32_e64 v64, 0, 1, s0
	v_cmp_ne_u32_e64 s19, v19, v20
	v_cmp_gt_u64_e64 s2, s[24:25], v[1:2]
	v_mad_u32_u24 v1, v0, 15, 10
	s_and_b32 s0, s1, s6
	v_cmp_ne_u32_e64 s20, v22, v19
	v_cndmask_b32_e64 v65, 0, 1, s0
	v_cmp_ne_u32_e64 s21, v21, v22
	v_cmp_gt_u64_e64 s3, s[24:25], v[1:2]
	v_mad_u32_u24 v1, v0, 15, 9
	s_and_b32 s0, s2, s8
	v_cndmask_b32_e64 v71, 0, 1, s4
	v_cndmask_b32_e64 v66, 0, 1, s0
	ds_store_b32 v3, v63
	v_cmp_gt_u64_e64 s7, s[24:25], v[1:2]
	v_mad_u32_u24 v1, v0, 15, 8
	s_and_b32 s1, s3, s9
	s_waitcnt lgkmcnt(0)
	v_cndmask_b32_e64 v67, 0, 1, s1
	s_barrier
	v_cmp_gt_u64_e64 s12, s[24:25], v[1:2]
	v_mad_u32_u24 v1, v0, 15, 7
	s_and_b32 s1, s7, s10
	buffer_gl0_inv
	v_cndmask_b32_e64 v68, 0, 1, s1
	v_cmp_gt_u64_e64 s18, s[24:25], v[1:2]
	v_mad_u32_u24 v1, v0, 15, 6
	s_and_b32 s2, s12, s11
	s_delay_alu instid0(SALU_CYCLE_1) | instskip(NEXT) | instid1(VALU_DEP_2)
	v_cndmask_b32_e64 v69, 0, 1, s2
	v_cmp_gt_u64_e64 s22, s[24:25], v[1:2]
	v_mad_u32_u24 v1, v0, 15, 5
	s_and_b32 s2, s18, s13
	s_delay_alu instid0(SALU_CYCLE_1) | instskip(NEXT) | instid1(VALU_DEP_2)
	v_cndmask_b32_e64 v70, 0, 1, s2
	v_cmp_gt_u64_e32 vcc_lo, s[24:25], v[1:2]
	v_mad_u32_u24 v1, v0, 15, 4
	s_and_b32 s3, s22, s14
	s_delay_alu instid0(SALU_CYCLE_1) | instskip(NEXT) | instid1(VALU_DEP_2)
	v_cndmask_b32_e64 v72, 0, 1, s3
	v_cmp_gt_u64_e64 s0, s[24:25], v[1:2]
	v_mad_u32_u24 v1, v0, 15, 3
	s_and_b32 s3, vcc_lo, s16
	s_delay_alu instid0(SALU_CYCLE_1) | instskip(NEXT) | instid1(VALU_DEP_2)
	v_cndmask_b32_e64 v73, 0, 1, s3
	v_cmp_gt_u64_e64 s1, s[24:25], v[1:2]
	v_mad_u32_u24 v1, v0, 15, 2
	s_and_b32 s0, s0, s17
	s_delay_alu instid0(SALU_CYCLE_1) | instskip(NEXT) | instid1(VALU_DEP_2)
	v_cndmask_b32_e64 v74, 0, 1, s0
	v_cmp_gt_u64_e64 s2, s[24:25], v[1:2]
	v_mad_u32_u24 v1, v0, 15, 1
	s_and_b32 s0, s1, s19
	s_mov_b32 s1, 1
	v_cndmask_b32_e64 v75, 0, 1, s0
	s_delay_alu instid0(VALU_DEP_2) | instskip(SKIP_4) | instid1(SALU_CYCLE_1)
	v_cmp_gt_u64_e32 vcc_lo, s[24:25], v[1:2]
	s_and_b32 s0, s2, s20
	s_mov_b32 s2, exec_lo
	v_cndmask_b32_e64 v76, 0, 1, s0
	s_and_b32 s0, vcc_lo, s21
	v_cndmask_b32_e64 v77, 0, 1, s0
                                        ; implicit-def: $sgpr0
	v_cmpx_ne_u32_e32 0, v0
	s_cbranch_execz .LBB1119_168
; %bb.82:
	v_add_nc_u32_e32 v1, -4, v3
	s_or_b32 s41, s41, exec_lo
	ds_load_b32 v3, v1
	v_mul_u32_u24_e32 v1, 15, v0
	s_delay_alu instid0(VALU_DEP_1) | instskip(SKIP_2) | instid1(VALU_DEP_1)
	v_cmp_gt_u64_e32 vcc_lo, s[24:25], v[1:2]
	s_waitcnt lgkmcnt(0)
	v_cmp_ne_u32_e64 s0, v3, v21
	s_and_b32 s0, vcc_lo, s0
	s_delay_alu instid0(SALU_CYCLE_1)
	s_and_b32 s0, s0, exec_lo
	s_or_b32 exec_lo, exec_lo, s2
.LBB1119_83:
	v_mov_b32_e32 v78, s1
	s_and_saveexec_b32 s1, s41
.LBB1119_84:
	v_cndmask_b32_e64 v78, 0, 1, s0
.LBB1119_85:
	s_or_b32 exec_lo, exec_lo, s1
	s_delay_alu instid0(VALU_DEP_1)
	v_add3_u32 v1, v77, v78, v76
	v_cmp_eq_u32_e64 s12, 0, v77
	v_cmp_eq_u32_e64 s11, 0, v76
	v_cmp_eq_u32_e64 s10, 0, v75
	v_cmp_eq_u32_e64 s9, 0, v74
	v_add3_u32 v84, v1, v75, v74
	v_cmp_eq_u32_e64 s8, 0, v73
	v_cmp_eq_u32_e64 s7, 0, v72
	;; [unrolled: 1-line block ×9, first 2 shown]
	v_cmp_eq_u32_e32 vcc_lo, 0, v71
	v_mbcnt_lo_u32_b32 v81, -1, 0
	v_lshrrev_b32_e32 v82, 5, v0
	v_or_b32_e32 v83, 31, v0
	s_cmp_eq_u64 s[38:39], 0
	s_cselect_b32 s16, -1, 0
	s_cmp_lg_u32 s15, 0
	s_cbranch_scc0 .LBB1119_116
; %bb.86:
	v_cndmask_b32_e64 v1, 0, v35, s12
	v_add3_u32 v2, v84, v73, v72
	s_delay_alu instid0(VALU_DEP_2) | instskip(NEXT) | instid1(VALU_DEP_2)
	v_add_nc_u32_e32 v1, v1, v36
	v_add3_u32 v2, v2, v70, v69
	s_delay_alu instid0(VALU_DEP_2) | instskip(NEXT) | instid1(VALU_DEP_2)
	v_cndmask_b32_e64 v1, 0, v1, s11
	v_add3_u32 v2, v2, v68, v67
	s_delay_alu instid0(VALU_DEP_2) | instskip(NEXT) | instid1(VALU_DEP_2)
	v_add_nc_u32_e32 v1, v1, v33
	v_add3_u32 v2, v2, v66, v65
	s_delay_alu instid0(VALU_DEP_2) | instskip(NEXT) | instid1(VALU_DEP_2)
	v_cndmask_b32_e64 v1, 0, v1, s10
	v_add3_u32 v2, v2, v64, v71
	s_delay_alu instid0(VALU_DEP_2) | instskip(NEXT) | instid1(VALU_DEP_2)
	v_add_nc_u32_e32 v1, v1, v34
	v_mov_b32_dpp v5, v2 row_shr:1 row_mask:0xf bank_mask:0xf
	s_delay_alu instid0(VALU_DEP_2) | instskip(NEXT) | instid1(VALU_DEP_1)
	v_cndmask_b32_e64 v1, 0, v1, s9
	v_add_nc_u32_e32 v1, v1, v31
	s_delay_alu instid0(VALU_DEP_1) | instskip(NEXT) | instid1(VALU_DEP_1)
	v_cndmask_b32_e64 v1, 0, v1, s8
	v_add_nc_u32_e32 v1, v1, v32
	s_delay_alu instid0(VALU_DEP_1) | instskip(NEXT) | instid1(VALU_DEP_1)
	;; [unrolled: 3-line block ×9, first 2 shown]
	v_cndmask_b32_e64 v1, 0, v1, s0
	v_add_nc_u32_e32 v1, v1, v24
	s_delay_alu instid0(VALU_DEP_1) | instskip(SKIP_1) | instid1(VALU_DEP_2)
	v_cndmask_b32_e32 v1, 0, v1, vcc_lo
	v_cmp_eq_u32_e32 vcc_lo, 0, v2
	v_add_nc_u32_e32 v1, v1, v79
	s_delay_alu instid0(VALU_DEP_1) | instskip(NEXT) | instid1(VALU_DEP_1)
	v_mov_b32_dpp v3, v1 row_shr:1 row_mask:0xf bank_mask:0xf
	v_dual_cndmask_b32 v3, 0, v3 :: v_dual_and_b32 v4, 15, v81
	s_delay_alu instid0(VALU_DEP_1) | instskip(SKIP_2) | instid1(VALU_DEP_4)
	v_cmp_eq_u32_e32 vcc_lo, 0, v4
	v_cmp_lt_u32_e64 s13, 1, v4
	v_cndmask_b32_e64 v5, v5, 0, vcc_lo
	v_cndmask_b32_e64 v3, v3, 0, vcc_lo
	s_delay_alu instid0(VALU_DEP_2) | instskip(NEXT) | instid1(VALU_DEP_2)
	v_add_nc_u32_e32 v2, v5, v2
	v_add_nc_u32_e32 v1, v3, v1
	s_delay_alu instid0(VALU_DEP_2) | instskip(SKIP_1) | instid1(VALU_DEP_3)
	v_mov_b32_dpp v3, v2 row_shr:2 row_mask:0xf bank_mask:0xf
	v_cmp_eq_u32_e32 vcc_lo, 0, v2
	v_mov_b32_dpp v5, v1 row_shr:2 row_mask:0xf bank_mask:0xf
	s_delay_alu instid0(VALU_DEP_3) | instskip(SKIP_2) | instid1(VALU_DEP_2)
	v_cndmask_b32_e64 v3, 0, v3, s13
	s_and_b32 vcc_lo, s13, vcc_lo
	v_cmp_lt_u32_e64 s13, 3, v4
	v_dual_cndmask_b32 v5, 0, v5 :: v_dual_add_nc_u32 v2, v2, v3
	s_delay_alu instid0(VALU_DEP_1) | instskip(NEXT) | instid1(VALU_DEP_2)
	v_add_nc_u32_e32 v1, v5, v1
	v_mov_b32_dpp v3, v2 row_shr:4 row_mask:0xf bank_mask:0xf
	v_cmp_eq_u32_e32 vcc_lo, 0, v2
	s_delay_alu instid0(VALU_DEP_3) | instskip(NEXT) | instid1(VALU_DEP_3)
	v_mov_b32_dpp v5, v1 row_shr:4 row_mask:0xf bank_mask:0xf
	v_cndmask_b32_e64 v3, 0, v3, s13
	s_and_b32 vcc_lo, s13, vcc_lo
	v_cmp_lt_u32_e64 s13, 7, v4
	s_delay_alu instid0(VALU_DEP_2) | instskip(NEXT) | instid1(VALU_DEP_1)
	v_dual_cndmask_b32 v5, 0, v5 :: v_dual_add_nc_u32 v2, v3, v2
	v_add_nc_u32_e32 v1, v1, v5
	v_bfe_i32 v5, v81, 4, 1
	s_delay_alu instid0(VALU_DEP_3) | instskip(SKIP_1) | instid1(VALU_DEP_4)
	v_cmp_eq_u32_e32 vcc_lo, 0, v2
	v_mov_b32_dpp v3, v2 row_shr:8 row_mask:0xf bank_mask:0xf
	v_mov_b32_dpp v4, v1 row_shr:8 row_mask:0xf bank_mask:0xf
	s_and_b32 vcc_lo, s13, vcc_lo
	s_delay_alu instid0(VALU_DEP_2) | instskip(SKIP_1) | instid1(VALU_DEP_2)
	v_cndmask_b32_e64 v3, 0, v3, s13
	s_mov_b32 s13, exec_lo
	v_cndmask_b32_e32 v4, 0, v4, vcc_lo
	s_delay_alu instid0(VALU_DEP_1) | instskip(NEXT) | instid1(VALU_DEP_3)
	v_add_nc_u32_e32 v4, v4, v1
	v_add_nc_u32_e32 v1, v3, v2
	ds_swizzle_b32 v2, v4 offset:swizzle(BROADCAST,32,15)
	ds_swizzle_b32 v3, v1 offset:swizzle(BROADCAST,32,15)
	v_cmp_eq_u32_e32 vcc_lo, 0, v1
	s_waitcnt lgkmcnt(0)
	v_dual_cndmask_b32 v2, 0, v2 :: v_dual_and_b32 v3, v5, v3
	s_delay_alu instid0(VALU_DEP_1) | instskip(NEXT) | instid1(VALU_DEP_2)
	v_and_b32_e32 v2, v5, v2
	v_add_nc_u32_e32 v1, v3, v1
	v_lshlrev_b32_e32 v3, 3, v82
	s_delay_alu instid0(VALU_DEP_3)
	v_add_nc_u32_e32 v2, v2, v4
	v_cmpx_eq_u32_e64 v83, v0
	s_cbranch_execz .LBB1119_88
; %bb.87:
	ds_store_b64 v3, v[1:2] offset:2064
.LBB1119_88:
	s_or_b32 exec_lo, exec_lo, s13
	s_delay_alu instid0(SALU_CYCLE_1)
	s_mov_b32 s14, exec_lo
	s_waitcnt lgkmcnt(0)
	s_barrier
	buffer_gl0_inv
	v_cmpx_gt_u32_e32 8, v0
	s_cbranch_execz .LBB1119_90
; %bb.89:
	v_lshlrev_b32_e32 v6, 3, v0
	v_and_b32_e32 v8, 7, v81
	ds_load_b64 v[4:5], v6 offset:2064
	v_cmp_lt_u32_e64 s13, 1, v8
	s_waitcnt lgkmcnt(0)
	v_mov_b32_dpp v7, v5 row_shr:1 row_mask:0xf bank_mask:0xf
	v_cmp_eq_u32_e32 vcc_lo, 0, v4
	v_mov_b32_dpp v37, v4 row_shr:1 row_mask:0xf bank_mask:0xf
	s_delay_alu instid0(VALU_DEP_3) | instskip(SKIP_1) | instid1(VALU_DEP_3)
	v_cndmask_b32_e32 v7, 0, v7, vcc_lo
	v_cmp_eq_u32_e32 vcc_lo, 0, v8
	v_cndmask_b32_e64 v37, v37, 0, vcc_lo
	s_delay_alu instid0(VALU_DEP_3) | instskip(NEXT) | instid1(VALU_DEP_2)
	v_cndmask_b32_e64 v7, v7, 0, vcc_lo
	v_add_nc_u32_e32 v4, v37, v4
	s_delay_alu instid0(VALU_DEP_2) | instskip(NEXT) | instid1(VALU_DEP_2)
	v_add_nc_u32_e32 v5, v7, v5
	v_cmp_eq_u32_e32 vcc_lo, 0, v4
	s_delay_alu instid0(VALU_DEP_2) | instskip(SKIP_1) | instid1(VALU_DEP_1)
	v_mov_b32_dpp v37, v5 row_shr:2 row_mask:0xf bank_mask:0xf
	s_and_b32 vcc_lo, s13, vcc_lo
	v_cndmask_b32_e32 v37, 0, v37, vcc_lo
	v_mov_b32_dpp v7, v4 row_shr:2 row_mask:0xf bank_mask:0xf
	s_delay_alu instid0(VALU_DEP_2) | instskip(NEXT) | instid1(VALU_DEP_2)
	v_add_nc_u32_e32 v5, v37, v5
	v_cndmask_b32_e64 v7, 0, v7, s13
	v_cmp_lt_u32_e64 s13, 3, v8
	s_delay_alu instid0(VALU_DEP_3) | instskip(NEXT) | instid1(VALU_DEP_3)
	v_mov_b32_dpp v8, v5 row_shr:4 row_mask:0xf bank_mask:0xf
	v_add_nc_u32_e32 v4, v7, v4
	s_delay_alu instid0(VALU_DEP_1) | instskip(SKIP_2) | instid1(VALU_DEP_1)
	v_cmp_eq_u32_e32 vcc_lo, 0, v4
	v_mov_b32_dpp v7, v4 row_shr:4 row_mask:0xf bank_mask:0xf
	s_and_b32 vcc_lo, s13, vcc_lo
	v_cndmask_b32_e64 v7, 0, v7, s13
	v_cndmask_b32_e32 v8, 0, v8, vcc_lo
	s_delay_alu instid0(VALU_DEP_2) | instskip(NEXT) | instid1(VALU_DEP_2)
	v_add_nc_u32_e32 v4, v7, v4
	v_add_nc_u32_e32 v5, v8, v5
	ds_store_b64 v6, v[4:5] offset:2064
.LBB1119_90:
	s_or_b32 exec_lo, exec_lo, s14
	v_cmp_gt_u32_e32 vcc_lo, 32, v0
	v_dual_mov_b32 v37, 0 :: v_dual_mov_b32 v38, 0
	s_mov_b32 s14, exec_lo
	s_waitcnt lgkmcnt(0)
	s_barrier
	buffer_gl0_inv
	v_cmpx_lt_u32_e32 31, v0
	s_cbranch_execz .LBB1119_92
; %bb.91:
	ds_load_b64 v[37:38], v3 offset:2056
	v_cmp_eq_u32_e64 s13, 0, v1
	s_waitcnt lgkmcnt(0)
	s_delay_alu instid0(VALU_DEP_1) | instskip(SKIP_1) | instid1(VALU_DEP_2)
	v_cndmask_b32_e64 v3, 0, v38, s13
	v_add_nc_u32_e32 v1, v37, v1
	v_add_nc_u32_e32 v2, v3, v2
.LBB1119_92:
	s_or_b32 exec_lo, exec_lo, s14
	v_add_nc_u32_e32 v3, -1, v81
	s_delay_alu instid0(VALU_DEP_1) | instskip(NEXT) | instid1(VALU_DEP_1)
	v_cmp_gt_i32_e64 s13, 0, v3
	v_cndmask_b32_e64 v3, v3, v81, s13
	v_cmp_eq_u32_e64 s13, 0, v81
	s_delay_alu instid0(VALU_DEP_2)
	v_lshlrev_b32_e32 v3, 2, v3
	ds_bpermute_b32 v43, v3, v1
	ds_bpermute_b32 v44, v3, v2
	s_and_saveexec_b32 s17, vcc_lo
	s_cbranch_execz .LBB1119_115
; %bb.93:
	v_mov_b32_e32 v4, 0
	ds_load_b64 v[1:2], v4 offset:2120
	s_waitcnt lgkmcnt(0)
	v_readfirstlane_b32 s18, v2
	s_and_saveexec_b32 s14, s13
	s_cbranch_execz .LBB1119_95
; %bb.94:
	s_add_i32 s20, s15, 32
	s_mov_b32 s21, 0
	v_mov_b32_e32 v3, 1
	s_lshl_b64 s[24:25], s[20:21], 4
	s_mov_b32 s38, s21
	s_add_u32 s24, s36, s24
	s_addc_u32 s25, s37, s25
	s_and_b32 s39, s18, 0xff000000
	s_and_b32 s43, s18, 0xff0000
	s_mov_b32 s42, s21
	v_dual_mov_b32 v5, s24 :: v_dual_mov_b32 v6, s25
	s_or_b64 s[38:39], s[42:43], s[38:39]
	s_and_b32 s43, s18, 0xff00
	s_delay_alu instid0(SALU_CYCLE_1) | instskip(SKIP_1) | instid1(SALU_CYCLE_1)
	s_or_b64 s[38:39], s[38:39], s[42:43]
	s_and_b32 s43, s18, 0xff
	s_or_b64 s[20:21], s[38:39], s[42:43]
	s_delay_alu instid0(SALU_CYCLE_1)
	v_mov_b32_e32 v2, s21
	;;#ASMSTART
	global_store_dwordx4 v[5:6], v[1:4] off	
s_waitcnt vmcnt(0)
	;;#ASMEND
.LBB1119_95:
	s_or_b32 exec_lo, exec_lo, s14
	v_xad_u32 v39, v81, -1, s15
	s_mov_b32 s19, 0
	s_mov_b32 s14, exec_lo
	s_delay_alu instid0(VALU_DEP_1) | instskip(NEXT) | instid1(VALU_DEP_1)
	v_add_nc_u32_e32 v3, 32, v39
	v_lshlrev_b64 v[2:3], 4, v[3:4]
	s_delay_alu instid0(VALU_DEP_1) | instskip(NEXT) | instid1(VALU_DEP_2)
	v_add_co_u32 v2, vcc_lo, s36, v2
	v_add_co_ci_u32_e32 v3, vcc_lo, s37, v3, vcc_lo
	;;#ASMSTART
	global_load_dwordx4 v[5:8], v[2:3] off glc	
s_waitcnt vmcnt(0)
	;;#ASMEND
	v_and_b32_e32 v4, 0xff, v6
	v_and_b32_e32 v8, 0xff00, v6
	;; [unrolled: 1-line block ×3, first 2 shown]
	v_or3_b32 v5, v5, 0, 0
	v_and_b32_e32 v6, 0xff000000, v6
	s_delay_alu instid0(VALU_DEP_4) | instskip(SKIP_1) | instid1(VALU_DEP_4)
	v_or3_b32 v4, 0, v4, v8
	v_and_b32_e32 v8, 0xff, v7
	v_or3_b32 v5, v5, 0, 0
	s_delay_alu instid0(VALU_DEP_3) | instskip(NEXT) | instid1(VALU_DEP_3)
	v_or3_b32 v6, v4, v40, v6
	v_cmpx_eq_u16_e32 0, v8
	s_cbranch_execz .LBB1119_101
; %bb.96:
	s_mov_b32 s20, 1
	.p2align	6
.LBB1119_97:                            ; =>This Loop Header: Depth=1
                                        ;     Child Loop BB1119_98 Depth 2
	s_delay_alu instid0(SALU_CYCLE_1)
	s_max_u32 s21, s20, 1
.LBB1119_98:                            ;   Parent Loop BB1119_97 Depth=1
                                        ; =>  This Inner Loop Header: Depth=2
	s_delay_alu instid0(SALU_CYCLE_1)
	s_add_i32 s21, s21, -1
	s_sleep 1
	s_cmp_eq_u32 s21, 0
	s_cbranch_scc0 .LBB1119_98
; %bb.99:                               ;   in Loop: Header=BB1119_97 Depth=1
	;;#ASMSTART
	global_load_dwordx4 v[5:8], v[2:3] off glc	
s_waitcnt vmcnt(0)
	;;#ASMEND
	v_and_b32_e32 v4, 0xff, v7
	s_cmp_lt_u32 s20, 32
	s_cselect_b32 s21, -1, 0
	s_delay_alu instid0(VALU_DEP_1) | instskip(SKIP_3) | instid1(SALU_CYCLE_1)
	v_cmp_ne_u16_e32 vcc_lo, 0, v4
	s_cmp_lg_u32 s21, 0
	s_addc_u32 s20, s20, 0
	s_or_b32 s19, vcc_lo, s19
	s_and_not1_b32 exec_lo, exec_lo, s19
	s_cbranch_execnz .LBB1119_97
; %bb.100:
	s_or_b32 exec_lo, exec_lo, s19
.LBB1119_101:
	s_delay_alu instid0(SALU_CYCLE_1)
	s_or_b32 exec_lo, exec_lo, s14
	v_cmp_ne_u32_e32 vcc_lo, 31, v81
	v_and_b32_e32 v3, 0xff, v7
	v_lshlrev_b32_e64 v45, v81, -1
	v_add_nc_u32_e32 v47, 2, v81
	v_add_nc_u32_e32 v49, 4, v81
	v_add_co_ci_u32_e32 v2, vcc_lo, 0, v81, vcc_lo
	v_cmp_eq_u16_e32 vcc_lo, 2, v3
	v_add_nc_u32_e32 v51, 8, v81
	v_add_nc_u32_e32 v53, 16, v81
	v_and_or_b32 v8, vcc_lo, v45, 0x80000000
	v_cmp_gt_u32_e32 vcc_lo, 30, v81
	s_delay_alu instid0(VALU_DEP_2) | instskip(SKIP_2) | instid1(VALU_DEP_3)
	v_ctz_i32_b32_e32 v8, v8
	v_cndmask_b32_e64 v40, 0, 1, vcc_lo
	v_cmp_eq_u32_e32 vcc_lo, 0, v5
	v_cmp_lt_u32_e64 s14, v81, v8
	s_delay_alu instid0(VALU_DEP_3) | instskip(NEXT) | instid1(VALU_DEP_2)
	v_lshlrev_b32_e32 v40, 1, v40
	s_and_b32 vcc_lo, s14, vcc_lo
	v_lshlrev_b32_e32 v2, 2, v2
	s_delay_alu instid0(VALU_DEP_2)
	v_add_lshl_u32 v46, v40, v81, 2
	ds_bpermute_b32 v3, v2, v6
	s_waitcnt lgkmcnt(0)
	v_cndmask_b32_e32 v3, 0, v3, vcc_lo
	ds_bpermute_b32 v4, v2, v5
	v_cmp_gt_u32_e32 vcc_lo, 28, v81
	v_add_nc_u32_e32 v3, v3, v6
	ds_bpermute_b32 v6, v46, v3
	s_waitcnt lgkmcnt(1)
	v_cndmask_b32_e64 v4, 0, v4, s14
	s_delay_alu instid0(VALU_DEP_1) | instskip(SKIP_1) | instid1(VALU_DEP_2)
	v_add_nc_u32_e32 v4, v4, v5
	v_cndmask_b32_e64 v5, 0, 1, vcc_lo
	v_cmp_eq_u32_e32 vcc_lo, 0, v4
	ds_bpermute_b32 v40, v46, v4
	s_waitcnt lgkmcnt(1)
	v_dual_cndmask_b32 v6, 0, v6 :: v_dual_lshlrev_b32 v5, 2, v5
	v_cmp_gt_u32_e32 vcc_lo, v47, v8
	s_delay_alu instid0(VALU_DEP_2) | instskip(NEXT) | instid1(VALU_DEP_3)
	v_add_lshl_u32 v48, v5, v81, 2
	v_cndmask_b32_e64 v6, v6, 0, vcc_lo
	s_delay_alu instid0(VALU_DEP_1) | instskip(SKIP_4) | instid1(VALU_DEP_2)
	v_add_nc_u32_e32 v3, v6, v3
	ds_bpermute_b32 v5, v48, v3
	s_waitcnt lgkmcnt(1)
	v_cndmask_b32_e64 v6, v40, 0, vcc_lo
	v_cmp_gt_u32_e32 vcc_lo, 24, v81
	v_add_nc_u32_e32 v4, v4, v6
	v_cndmask_b32_e64 v40, 0, 1, vcc_lo
	ds_bpermute_b32 v6, v48, v4
	v_cmp_eq_u32_e32 vcc_lo, 0, v4
	v_lshlrev_b32_e32 v40, 3, v40
	s_delay_alu instid0(VALU_DEP_1) | instskip(SKIP_3) | instid1(VALU_DEP_2)
	v_add_lshl_u32 v50, v40, v81, 2
	s_waitcnt lgkmcnt(1)
	v_cndmask_b32_e32 v5, 0, v5, vcc_lo
	v_cmp_gt_u32_e32 vcc_lo, v49, v8
	v_cndmask_b32_e64 v5, v5, 0, vcc_lo
	s_delay_alu instid0(VALU_DEP_1)
	v_add_nc_u32_e32 v3, v3, v5
	s_waitcnt lgkmcnt(0)
	v_cndmask_b32_e64 v6, v6, 0, vcc_lo
	v_cmp_gt_u32_e32 vcc_lo, 16, v81
	ds_bpermute_b32 v5, v50, v3
	v_add_nc_u32_e32 v4, v4, v6
	v_cndmask_b32_e64 v40, 0, 1, vcc_lo
	ds_bpermute_b32 v6, v50, v4
	v_cmp_eq_u32_e32 vcc_lo, 0, v4
	v_lshlrev_b32_e32 v40, 4, v40
	s_delay_alu instid0(VALU_DEP_1) | instskip(SKIP_3) | instid1(VALU_DEP_2)
	v_add_lshl_u32 v52, v40, v81, 2
	s_waitcnt lgkmcnt(1)
	v_dual_mov_b32 v40, 0 :: v_dual_cndmask_b32 v5, 0, v5
	v_cmp_gt_u32_e32 vcc_lo, v51, v8
	v_cndmask_b32_e64 v5, v5, 0, vcc_lo
	s_delay_alu instid0(VALU_DEP_1)
	v_add_nc_u32_e32 v3, v3, v5
	s_waitcnt lgkmcnt(0)
	v_cndmask_b32_e64 v5, v6, 0, vcc_lo
	ds_bpermute_b32 v6, v52, v3
	v_add_nc_u32_e32 v4, v4, v5
	ds_bpermute_b32 v5, v52, v4
	v_cmp_eq_u32_e32 vcc_lo, 0, v4
	s_waitcnt lgkmcnt(1)
	v_cndmask_b32_e32 v6, 0, v6, vcc_lo
	v_cmp_gt_u32_e32 vcc_lo, v53, v8
	s_delay_alu instid0(VALU_DEP_2) | instskip(SKIP_2) | instid1(VALU_DEP_2)
	v_cndmask_b32_e64 v6, v6, 0, vcc_lo
	s_waitcnt lgkmcnt(0)
	v_cndmask_b32_e64 v5, v5, 0, vcc_lo
	v_add_nc_u32_e32 v6, v6, v3
	s_delay_alu instid0(VALU_DEP_2)
	v_add_nc_u32_e32 v5, v5, v4
	s_branch .LBB1119_103
.LBB1119_102:                           ;   in Loop: Header=BB1119_103 Depth=1
	s_or_b32 exec_lo, exec_lo, s14
	v_and_b32_e32 v8, 0xff, v7
	ds_bpermute_b32 v41, v2, v5
	v_subrev_nc_u32_e32 v39, 32, v39
	v_cmp_eq_u16_e32 vcc_lo, 2, v8
	ds_bpermute_b32 v8, v2, v6
	v_and_or_b32 v42, vcc_lo, v45, 0x80000000
	v_cmp_eq_u32_e32 vcc_lo, 0, v5
	s_delay_alu instid0(VALU_DEP_2) | instskip(NEXT) | instid1(VALU_DEP_1)
	v_ctz_i32_b32_e32 v42, v42
	v_cmp_lt_u32_e64 s14, v81, v42
	s_delay_alu instid0(VALU_DEP_1) | instskip(SKIP_4) | instid1(VALU_DEP_2)
	s_and_b32 vcc_lo, s14, vcc_lo
	s_waitcnt lgkmcnt(1)
	v_cndmask_b32_e64 v41, 0, v41, s14
	s_waitcnt lgkmcnt(0)
	v_cndmask_b32_e32 v8, 0, v8, vcc_lo
	v_add_nc_u32_e32 v5, v41, v5
	s_delay_alu instid0(VALU_DEP_2)
	v_add_nc_u32_e32 v6, v8, v6
	ds_bpermute_b32 v41, v46, v5
	ds_bpermute_b32 v8, v46, v6
	v_cmp_eq_u32_e32 vcc_lo, 0, v5
	s_waitcnt lgkmcnt(0)
	v_cndmask_b32_e32 v8, 0, v8, vcc_lo
	v_cmp_gt_u32_e32 vcc_lo, v47, v42
	v_cndmask_b32_e64 v41, v41, 0, vcc_lo
	s_delay_alu instid0(VALU_DEP_1) | instskip(NEXT) | instid1(VALU_DEP_4)
	v_add_nc_u32_e32 v5, v5, v41
	v_cndmask_b32_e64 v8, v8, 0, vcc_lo
	ds_bpermute_b32 v41, v48, v5
	v_add_nc_u32_e32 v6, v8, v6
	v_cmp_eq_u32_e32 vcc_lo, 0, v5
	ds_bpermute_b32 v8, v48, v6
	s_waitcnt lgkmcnt(0)
	v_cndmask_b32_e32 v8, 0, v8, vcc_lo
	v_cmp_gt_u32_e32 vcc_lo, v49, v42
	v_cndmask_b32_e64 v41, v41, 0, vcc_lo
	s_delay_alu instid0(VALU_DEP_1) | instskip(NEXT) | instid1(VALU_DEP_4)
	v_add_nc_u32_e32 v5, v5, v41
	v_cndmask_b32_e64 v8, v8, 0, vcc_lo
	ds_bpermute_b32 v41, v50, v5
	v_add_nc_u32_e32 v6, v6, v8
	v_cmp_eq_u32_e32 vcc_lo, 0, v5
	ds_bpermute_b32 v8, v50, v6
	;; [unrolled: 11-line block ×3, first 2 shown]
	s_waitcnt lgkmcnt(0)
	v_cndmask_b32_e32 v8, 0, v8, vcc_lo
	v_cmp_gt_u32_e32 vcc_lo, v53, v42
	s_delay_alu instid0(VALU_DEP_2) | instskip(NEXT) | instid1(VALU_DEP_1)
	v_cndmask_b32_e64 v8, v8, 0, vcc_lo
	v_add_nc_u32_e32 v6, v8, v6
	v_cndmask_b32_e64 v8, v41, 0, vcc_lo
	v_cmp_eq_u32_e32 vcc_lo, 0, v3
	s_delay_alu instid0(VALU_DEP_2) | instskip(NEXT) | instid1(VALU_DEP_4)
	v_add3_u32 v5, v5, v3, v8
	v_cndmask_b32_e32 v6, 0, v6, vcc_lo
	s_delay_alu instid0(VALU_DEP_1)
	v_add_nc_u32_e32 v6, v6, v4
.LBB1119_103:                           ; =>This Loop Header: Depth=1
                                        ;     Child Loop BB1119_106 Depth 2
                                        ;       Child Loop BB1119_107 Depth 3
	s_delay_alu instid0(VALU_DEP_1) | instskip(NEXT) | instid1(VALU_DEP_1)
	v_dual_mov_b32 v4, v6 :: v_dual_and_b32 v3, 0xff, v7
	v_cmp_ne_u16_e32 vcc_lo, 2, v3
	v_cndmask_b32_e64 v3, 0, 1, vcc_lo
	;;#ASMSTART
	;;#ASMEND
	s_delay_alu instid0(VALU_DEP_1)
	v_cmp_ne_u32_e32 vcc_lo, 0, v3
	v_mov_b32_e32 v3, v5
	s_cmp_lg_u32 vcc_lo, exec_lo
	s_cbranch_scc1 .LBB1119_110
; %bb.104:                              ;   in Loop: Header=BB1119_103 Depth=1
	v_lshlrev_b64 v[5:6], 4, v[39:40]
	s_mov_b32 s14, exec_lo
	s_delay_alu instid0(VALU_DEP_1) | instskip(NEXT) | instid1(VALU_DEP_2)
	v_add_co_u32 v41, vcc_lo, s36, v5
	v_add_co_ci_u32_e32 v42, vcc_lo, s37, v6, vcc_lo
	;;#ASMSTART
	global_load_dwordx4 v[5:8], v[41:42] off glc	
s_waitcnt vmcnt(0)
	;;#ASMEND
	v_and_b32_e32 v8, 0xff, v6
	v_and_b32_e32 v54, 0xff00, v6
	v_and_b32_e32 v55, 0xff0000, v6
	v_or3_b32 v5, v5, 0, 0
	v_and_b32_e32 v6, 0xff000000, v6
	s_delay_alu instid0(VALU_DEP_4) | instskip(SKIP_1) | instid1(VALU_DEP_4)
	v_or3_b32 v8, 0, v8, v54
	v_and_b32_e32 v54, 0xff, v7
	v_or3_b32 v5, v5, 0, 0
	s_delay_alu instid0(VALU_DEP_3) | instskip(NEXT) | instid1(VALU_DEP_3)
	v_or3_b32 v6, v8, v55, v6
	v_cmpx_eq_u16_e32 0, v54
	s_cbranch_execz .LBB1119_102
; %bb.105:                              ;   in Loop: Header=BB1119_103 Depth=1
	s_mov_b32 s20, 1
	s_mov_b32 s19, 0
	.p2align	6
.LBB1119_106:                           ;   Parent Loop BB1119_103 Depth=1
                                        ; =>  This Loop Header: Depth=2
                                        ;       Child Loop BB1119_107 Depth 3
	s_max_u32 s21, s20, 1
.LBB1119_107:                           ;   Parent Loop BB1119_103 Depth=1
                                        ;     Parent Loop BB1119_106 Depth=2
                                        ; =>    This Inner Loop Header: Depth=3
	s_delay_alu instid0(SALU_CYCLE_1)
	s_add_i32 s21, s21, -1
	s_sleep 1
	s_cmp_eq_u32 s21, 0
	s_cbranch_scc0 .LBB1119_107
; %bb.108:                              ;   in Loop: Header=BB1119_106 Depth=2
	;;#ASMSTART
	global_load_dwordx4 v[5:8], v[41:42] off glc	
s_waitcnt vmcnt(0)
	;;#ASMEND
	v_and_b32_e32 v8, 0xff, v7
	s_cmp_lt_u32 s20, 32
	s_cselect_b32 s21, -1, 0
	s_delay_alu instid0(SALU_CYCLE_1) | instskip(NEXT) | instid1(VALU_DEP_1)
	s_cmp_lg_u32 s21, 0
	v_cmp_ne_u16_e32 vcc_lo, 0, v8
	s_addc_u32 s20, s20, 0
	s_or_b32 s19, vcc_lo, s19
	s_delay_alu instid0(SALU_CYCLE_1)
	s_and_not1_b32 exec_lo, exec_lo, s19
	s_cbranch_execnz .LBB1119_106
; %bb.109:                              ;   in Loop: Header=BB1119_103 Depth=1
	s_or_b32 exec_lo, exec_lo, s19
	s_branch .LBB1119_102
.LBB1119_110:                           ;   in Loop: Header=BB1119_103 Depth=1
                                        ; implicit-def: $vgpr6
                                        ; implicit-def: $vgpr5
                                        ; implicit-def: $vgpr7
	s_cbranch_execz .LBB1119_103
; %bb.111:
	s_and_saveexec_b32 s14, s13
	s_cbranch_execz .LBB1119_113
; %bb.112:
	v_cmp_eq_u32_e32 vcc_lo, 0, v1
	s_mov_b32 s21, 0
	s_add_i32 s20, s15, 32
	v_add_nc_u32_e32 v5, v3, v1
	s_lshl_b64 s[20:21], s[20:21], 4
	v_cndmask_b32_e32 v2, 0, v4, vcc_lo
	s_add_u32 s20, s36, s20
	s_addc_u32 s21, s37, s21
	v_mov_b32_e32 v8, 0
	s_delay_alu instid0(VALU_DEP_2) | instskip(NEXT) | instid1(VALU_DEP_1)
	v_add_nc_u32_e32 v2, s18, v2
	v_and_b32_e32 v6, 0xff000000, v2
	v_and_b32_e32 v7, 0xff0000, v2
	s_delay_alu instid0(VALU_DEP_1) | instskip(SKIP_3) | instid1(VALU_DEP_1)
	v_or_b32_e32 v6, v7, v6
	v_mov_b32_e32 v7, 2
	v_and_b32_e32 v39, 0xff00, v2
	v_and_b32_e32 v2, 0xff, v2
	v_or3_b32 v6, v6, v39, v2
	v_mov_b32_e32 v2, s18
	v_dual_mov_b32 v40, s21 :: v_dual_mov_b32 v39, s20
	;;#ASMSTART
	global_store_dwordx4 v[39:40], v[5:8] off	
s_waitcnt vmcnt(0)
	;;#ASMEND
	ds_store_b128 v8, v[1:4] offset:2048
.LBB1119_113:
	s_or_b32 exec_lo, exec_lo, s14
	v_cmp_eq_u32_e32 vcc_lo, 0, v0
	s_and_b32 exec_lo, exec_lo, vcc_lo
	s_cbranch_execz .LBB1119_115
; %bb.114:
	v_mov_b32_e32 v1, 0
	ds_store_b64 v1, v[3:4] offset:2120
.LBB1119_115:
	s_or_b32 exec_lo, exec_lo, s17
	s_waitcnt lgkmcnt(1)
	v_cndmask_b32_e64 v4, v43, v37, s13
	s_waitcnt lgkmcnt(0)
	s_barrier
	buffer_gl0_inv
	v_cndmask_b32_e64 v5, v44, v38, s13
	v_cmp_eq_u32_e32 vcc_lo, 0, v4
	v_mov_b32_e32 v3, 0
	v_cmp_eq_u32_e64 s13, 0, v78
	ds_load_b64 v[1:2], v3 offset:2120
	s_waitcnt lgkmcnt(0)
	s_barrier
	buffer_gl0_inv
	v_cndmask_b32_e32 v6, 0, v2, vcc_lo
	v_cmp_eq_u32_e32 vcc_lo, 0, v0
	s_delay_alu instid0(VALU_DEP_2) | instskip(NEXT) | instid1(VALU_DEP_1)
	v_add_nc_u32_e32 v5, v6, v5
	v_cndmask_b32_e32 v54, v5, v2, vcc_lo
	s_delay_alu instid0(VALU_DEP_1) | instskip(NEXT) | instid1(VALU_DEP_1)
	v_cndmask_b32_e64 v2, 0, v54, s13
	v_add_nc_u32_e32 v60, v2, v35
	s_delay_alu instid0(VALU_DEP_1) | instskip(NEXT) | instid1(VALU_DEP_1)
	v_cndmask_b32_e64 v2, 0, v60, s12
	v_add_nc_u32_e32 v56, v2, v36
	;; [unrolled: 3-line block ×6, first 2 shown]
	v_cndmask_b32_e64 v2, v4, 0, vcc_lo
	s_delay_alu instid0(VALU_DEP_2) | instskip(NEXT) | instid1(VALU_DEP_2)
	v_cndmask_b32_e64 v4, 0, v40, s7
	v_add_nc_u32_e32 v53, v1, v2
	s_delay_alu instid0(VALU_DEP_2) | instskip(NEXT) | instid1(VALU_DEP_2)
	v_add_nc_u32_e32 v44, v4, v29
	v_add_nc_u32_e32 v59, v53, v78
	s_delay_alu instid0(VALU_DEP_2) | instskip(NEXT) | instid1(VALU_DEP_2)
	v_cndmask_b32_e64 v1, 0, v44, s6
	v_add_nc_u32_e32 v55, v59, v77
	s_delay_alu instid0(VALU_DEP_2) | instskip(NEXT) | instid1(VALU_DEP_2)
	v_add_nc_u32_e32 v48, v1, v30
	v_add_nc_u32_e32 v51, v55, v76
	;; [unrolled: 6-line block ×4, first 2 shown]
	s_delay_alu instid0(VALU_DEP_2) | instskip(NEXT) | instid1(VALU_DEP_2)
	v_cndmask_b32_e64 v1, 0, v8, s3
	v_add_nc_u32_e32 v47, v43, v70
	s_delay_alu instid0(VALU_DEP_2) | instskip(SKIP_3) | instid1(VALU_DEP_2)
	v_add_nc_u32_e32 v38, v1, v25
	ds_load_b128 v[1:4], v3 offset:2048
	v_add_nc_u32_e32 v5, v47, v69
	v_cndmask_b32_e64 v37, 0, v38, s2
	v_add_nc_u32_e32 v7, v5, v68
	s_delay_alu instid0(VALU_DEP_2) | instskip(NEXT) | instid1(VALU_DEP_2)
	v_add_nc_u32_e32 v62, v37, v26
	v_add_nc_u32_e32 v37, v7, v67
	s_delay_alu instid0(VALU_DEP_2) | instskip(NEXT) | instid1(VALU_DEP_2)
	v_cndmask_b32_e64 v49, 0, v62, s1
	v_add_nc_u32_e32 v61, v37, v66
	s_delay_alu instid0(VALU_DEP_2) | instskip(SKIP_2) | instid1(VALU_DEP_3)
	v_add_nc_u32_e32 v58, v49, v23
	s_waitcnt lgkmcnt(0)
	v_cmp_eq_u32_e32 vcc_lo, 0, v1
	v_add_nc_u32_e32 v57, v61, v65
	s_delay_alu instid0(VALU_DEP_3) | instskip(SKIP_1) | instid1(VALU_DEP_3)
	v_cndmask_b32_e64 v50, 0, v58, s0
	v_cndmask_b32_e32 v4, 0, v4, vcc_lo
	v_add_nc_u32_e32 v49, v57, v64
	s_delay_alu instid0(VALU_DEP_3) | instskip(NEXT) | instid1(VALU_DEP_3)
	v_add_nc_u32_e32 v50, v50, v24
	v_add_nc_u32_e32 v80, v4, v2
	s_branch .LBB1119_128
.LBB1119_116:
                                        ; implicit-def: $vgpr1
                                        ; implicit-def: $vgpr80
                                        ; implicit-def: $vgpr53_vgpr54
                                        ; implicit-def: $vgpr59_vgpr60
                                        ; implicit-def: $vgpr55_vgpr56
                                        ; implicit-def: $vgpr51_vgpr52
                                        ; implicit-def: $vgpr45_vgpr46
                                        ; implicit-def: $vgpr41_vgpr42
                                        ; implicit-def: $vgpr39_vgpr40
                                        ; implicit-def: $vgpr43_vgpr44
                                        ; implicit-def: $vgpr47_vgpr48
                                        ; implicit-def: $vgpr5_vgpr6
                                        ; implicit-def: $vgpr7_vgpr8
                                        ; implicit-def: $vgpr37_vgpr38
                                        ; implicit-def: $vgpr61_vgpr62
                                        ; implicit-def: $vgpr57_vgpr58
                                        ; implicit-def: $vgpr49_vgpr50
	s_cbranch_execz .LBB1119_128
; %bb.117:
	s_and_b32 s0, s16, exec_lo
	v_mov_b32_e32 v49, v35
	s_cselect_b32 s1, 0, s35
	s_cselect_b32 s0, 0, s34
	s_delay_alu instid0(SALU_CYCLE_1)
	s_cmp_eq_u64 s[0:1], 0
	s_cbranch_scc1 .LBB1119_119
; %bb.118:
	v_mov_b32_e32 v1, 0
	global_load_b32 v49, v1, s[0:1]
.LBB1119_119:
	v_cmp_eq_u32_e64 s6, 0, v77
	v_cmp_eq_u32_e64 s7, 0, v76
	;; [unrolled: 1-line block ×5, first 2 shown]
	v_cndmask_b32_e64 v1, 0, v35, s6
	v_cmp_eq_u32_e64 s11, 0, v72
	v_cmp_eq_u32_e64 s5, 0, v70
	;; [unrolled: 1-line block ×4, first 2 shown]
	v_add_nc_u32_e32 v1, v1, v36
	v_cmp_eq_u32_e64 s2, 0, v67
	v_add3_u32 v2, v84, v73, v72
	v_cmp_eq_u32_e64 s1, 0, v66
	v_cmp_eq_u32_e32 vcc_lo, 0, v65
	v_cndmask_b32_e64 v1, 0, v1, s7
	v_cmp_eq_u32_e64 s0, 0, v64
	v_add3_u32 v2, v2, v70, v69
	v_cmp_eq_u32_e64 s12, 0, v71
	v_and_b32_e32 v4, 15, v81
	v_add_nc_u32_e32 v1, v1, v33
	s_delay_alu instid0(VALU_DEP_4) | instskip(NEXT) | instid1(VALU_DEP_3)
	v_add3_u32 v2, v2, v68, v67
	v_cmp_lt_u32_e64 s13, 1, v4
	s_delay_alu instid0(VALU_DEP_3) | instskip(NEXT) | instid1(VALU_DEP_3)
	v_cndmask_b32_e64 v1, 0, v1, s8
	v_add3_u32 v2, v2, v66, v65
	s_delay_alu instid0(VALU_DEP_2) | instskip(NEXT) | instid1(VALU_DEP_2)
	v_add_nc_u32_e32 v1, v1, v34
	v_add3_u32 v2, v2, v64, v71
	s_delay_alu instid0(VALU_DEP_2) | instskip(NEXT) | instid1(VALU_DEP_2)
	v_cndmask_b32_e64 v1, 0, v1, s9
	v_mov_b32_dpp v5, v2 row_shr:1 row_mask:0xf bank_mask:0xf
	s_delay_alu instid0(VALU_DEP_2) | instskip(NEXT) | instid1(VALU_DEP_1)
	v_add_nc_u32_e32 v1, v1, v31
	v_cndmask_b32_e64 v1, 0, v1, s10
	s_delay_alu instid0(VALU_DEP_1) | instskip(NEXT) | instid1(VALU_DEP_1)
	v_add_nc_u32_e32 v1, v1, v32
	v_cndmask_b32_e64 v1, 0, v1, s11
	s_delay_alu instid0(VALU_DEP_1) | instskip(NEXT) | instid1(VALU_DEP_1)
	;; [unrolled: 3-line block ×7, first 2 shown]
	v_add_nc_u32_e32 v1, v1, v26
	v_cndmask_b32_e32 v1, 0, v1, vcc_lo
	s_delay_alu instid0(VALU_DEP_1) | instskip(NEXT) | instid1(VALU_DEP_1)
	v_add_nc_u32_e32 v1, v1, v23
	v_cndmask_b32_e64 v1, 0, v1, s0
	s_delay_alu instid0(VALU_DEP_1) | instskip(NEXT) | instid1(VALU_DEP_1)
	v_add_nc_u32_e32 v1, v1, v24
	v_cndmask_b32_e64 v1, 0, v1, s12
	v_cmp_eq_u32_e64 s12, 0, v2
	s_delay_alu instid0(VALU_DEP_2) | instskip(NEXT) | instid1(VALU_DEP_1)
	v_add_nc_u32_e32 v1, v1, v79
	v_mov_b32_dpp v3, v1 row_shr:1 row_mask:0xf bank_mask:0xf
	s_delay_alu instid0(VALU_DEP_1) | instskip(SKIP_1) | instid1(VALU_DEP_1)
	v_cndmask_b32_e64 v3, 0, v3, s12
	v_cmp_eq_u32_e64 s12, 0, v4
	v_cndmask_b32_e64 v5, v5, 0, s12
	s_delay_alu instid0(VALU_DEP_3) | instskip(NEXT) | instid1(VALU_DEP_2)
	v_cndmask_b32_e64 v3, v3, 0, s12
	v_add_nc_u32_e32 v2, v5, v2
	s_delay_alu instid0(VALU_DEP_2) | instskip(NEXT) | instid1(VALU_DEP_2)
	v_add_nc_u32_e32 v1, v3, v1
	v_mov_b32_dpp v3, v2 row_shr:2 row_mask:0xf bank_mask:0xf
	v_cmp_eq_u32_e64 s12, 0, v2
	s_delay_alu instid0(VALU_DEP_3) | instskip(NEXT) | instid1(VALU_DEP_3)
	v_mov_b32_dpp v5, v1 row_shr:2 row_mask:0xf bank_mask:0xf
	v_cndmask_b32_e64 v3, 0, v3, s13
	s_delay_alu instid0(VALU_DEP_3) | instskip(SKIP_1) | instid1(VALU_DEP_3)
	s_and_b32 s12, s13, s12
	v_cmp_lt_u32_e64 s13, 3, v4
	v_cndmask_b32_e64 v5, 0, v5, s12
	s_delay_alu instid0(VALU_DEP_3) | instskip(NEXT) | instid1(VALU_DEP_2)
	v_add_nc_u32_e32 v2, v2, v3
	v_add_nc_u32_e32 v1, v5, v1
	s_delay_alu instid0(VALU_DEP_2) | instskip(SKIP_1) | instid1(VALU_DEP_3)
	v_mov_b32_dpp v3, v2 row_shr:4 row_mask:0xf bank_mask:0xf
	v_cmp_eq_u32_e64 s12, 0, v2
	v_mov_b32_dpp v5, v1 row_shr:4 row_mask:0xf bank_mask:0xf
	s_delay_alu instid0(VALU_DEP_3) | instskip(NEXT) | instid1(VALU_DEP_3)
	v_cndmask_b32_e64 v3, 0, v3, s13
	s_and_b32 s12, s13, s12
	v_cmp_lt_u32_e64 s13, 7, v4
	s_delay_alu instid0(VALU_DEP_3) | instskip(NEXT) | instid1(VALU_DEP_3)
	v_cndmask_b32_e64 v5, 0, v5, s12
	v_add_nc_u32_e32 v2, v3, v2
	s_delay_alu instid0(VALU_DEP_2) | instskip(SKIP_1) | instid1(VALU_DEP_3)
	v_add_nc_u32_e32 v1, v1, v5
	v_bfe_i32 v5, v81, 4, 1
	v_cmp_eq_u32_e64 s12, 0, v2
	v_mov_b32_dpp v3, v2 row_shr:8 row_mask:0xf bank_mask:0xf
	s_delay_alu instid0(VALU_DEP_4) | instskip(NEXT) | instid1(VALU_DEP_3)
	v_mov_b32_dpp v4, v1 row_shr:8 row_mask:0xf bank_mask:0xf
	s_and_b32 s12, s13, s12
	s_delay_alu instid0(VALU_DEP_2) | instskip(SKIP_1) | instid1(VALU_DEP_2)
	v_cndmask_b32_e64 v3, 0, v3, s13
	s_mov_b32 s13, exec_lo
	v_cndmask_b32_e64 v4, 0, v4, s12
	s_delay_alu instid0(VALU_DEP_1) | instskip(NEXT) | instid1(VALU_DEP_3)
	v_add_nc_u32_e32 v4, v4, v1
	v_add_nc_u32_e32 v1, v3, v2
	ds_swizzle_b32 v2, v4 offset:swizzle(BROADCAST,32,15)
	ds_swizzle_b32 v3, v1 offset:swizzle(BROADCAST,32,15)
	v_cmp_eq_u32_e64 s12, 0, v1
	s_waitcnt lgkmcnt(1)
	s_delay_alu instid0(VALU_DEP_1) | instskip(SKIP_2) | instid1(VALU_DEP_2)
	v_cndmask_b32_e64 v2, 0, v2, s12
	s_waitcnt lgkmcnt(0)
	v_and_b32_e32 v3, v5, v3
	v_and_b32_e32 v2, v5, v2
	s_delay_alu instid0(VALU_DEP_2) | instskip(NEXT) | instid1(VALU_DEP_2)
	v_add_nc_u32_e32 v1, v3, v1
	v_add_nc_u32_e32 v2, v2, v4
	v_cmpx_eq_u32_e64 v83, v0
	s_cbranch_execz .LBB1119_121
; %bb.120:
	v_lshlrev_b32_e32 v3, 3, v82
	ds_store_b64 v3, v[1:2] offset:2064
.LBB1119_121:
	s_or_b32 exec_lo, exec_lo, s13
	s_delay_alu instid0(SALU_CYCLE_1)
	s_mov_b32 s14, exec_lo
	s_waitcnt vmcnt(0) lgkmcnt(0)
	s_barrier
	buffer_gl0_inv
	v_cmpx_gt_u32_e32 8, v0
	s_cbranch_execz .LBB1119_123
; %bb.122:
	v_lshlrev_b32_e32 v5, 3, v0
	v_and_b32_e32 v7, 7, v81
	ds_load_b64 v[3:4], v5 offset:2064
	v_cmp_lt_u32_e64 s13, 1, v7
	s_waitcnt lgkmcnt(0)
	v_mov_b32_dpp v6, v4 row_shr:1 row_mask:0xf bank_mask:0xf
	v_cmp_eq_u32_e64 s12, 0, v3
	v_mov_b32_dpp v8, v3 row_shr:1 row_mask:0xf bank_mask:0xf
	s_delay_alu instid0(VALU_DEP_2) | instskip(SKIP_1) | instid1(VALU_DEP_1)
	v_cndmask_b32_e64 v6, 0, v6, s12
	v_cmp_eq_u32_e64 s12, 0, v7
	v_cndmask_b32_e64 v8, v8, 0, s12
	s_delay_alu instid0(VALU_DEP_3) | instskip(NEXT) | instid1(VALU_DEP_2)
	v_cndmask_b32_e64 v6, v6, 0, s12
	v_add_nc_u32_e32 v3, v8, v3
	s_delay_alu instid0(VALU_DEP_2) | instskip(NEXT) | instid1(VALU_DEP_2)
	v_add_nc_u32_e32 v4, v6, v4
	v_mov_b32_dpp v6, v3 row_shr:2 row_mask:0xf bank_mask:0xf
	v_cmp_eq_u32_e64 s12, 0, v3
	s_delay_alu instid0(VALU_DEP_3) | instskip(NEXT) | instid1(VALU_DEP_3)
	v_mov_b32_dpp v8, v4 row_shr:2 row_mask:0xf bank_mask:0xf
	v_cndmask_b32_e64 v6, 0, v6, s13
	s_delay_alu instid0(VALU_DEP_3) | instskip(SKIP_1) | instid1(VALU_DEP_3)
	s_and_b32 s12, s13, s12
	v_cmp_lt_u32_e64 s13, 3, v7
	v_cndmask_b32_e64 v8, 0, v8, s12
	s_delay_alu instid0(VALU_DEP_3) | instskip(NEXT) | instid1(VALU_DEP_2)
	v_add_nc_u32_e32 v3, v6, v3
	v_add_nc_u32_e32 v4, v8, v4
	s_delay_alu instid0(VALU_DEP_2) | instskip(SKIP_1) | instid1(VALU_DEP_3)
	v_cmp_eq_u32_e64 s12, 0, v3
	v_mov_b32_dpp v6, v3 row_shr:4 row_mask:0xf bank_mask:0xf
	v_mov_b32_dpp v7, v4 row_shr:4 row_mask:0xf bank_mask:0xf
	s_delay_alu instid0(VALU_DEP_3) | instskip(NEXT) | instid1(VALU_DEP_2)
	s_and_b32 s12, s13, s12
	v_cndmask_b32_e64 v6, 0, v6, s13
	s_delay_alu instid0(VALU_DEP_2) | instskip(NEXT) | instid1(VALU_DEP_2)
	v_cndmask_b32_e64 v7, 0, v7, s12
	v_add_nc_u32_e32 v3, v6, v3
	s_delay_alu instid0(VALU_DEP_2)
	v_add_nc_u32_e32 v4, v7, v4
	ds_store_b64 v5, v[3:4] offset:2064
.LBB1119_123:
	s_or_b32 exec_lo, exec_lo, s14
	v_dual_mov_b32 v7, 0 :: v_dual_mov_b32 v4, v49
	v_mov_b32_e32 v3, 0
	s_mov_b32 s13, exec_lo
	s_waitcnt lgkmcnt(0)
	s_barrier
	buffer_gl0_inv
	v_cmpx_lt_u32_e32 31, v0
	s_cbranch_execz .LBB1119_125
; %bb.124:
	v_lshlrev_b32_e32 v3, 3, v82
	ds_load_b64 v[3:4], v3 offset:2056
	s_waitcnt lgkmcnt(0)
	v_cmp_eq_u32_e64 s12, 0, v3
	s_delay_alu instid0(VALU_DEP_1) | instskip(NEXT) | instid1(VALU_DEP_1)
	v_cndmask_b32_e64 v5, 0, v49, s12
	v_add_nc_u32_e32 v4, v5, v4
.LBB1119_125:
	s_or_b32 exec_lo, exec_lo, s13
	v_add_nc_u32_e32 v5, -1, v81
	v_cmp_eq_u32_e64 s13, 0, v78
	s_delay_alu instid0(VALU_DEP_2) | instskip(NEXT) | instid1(VALU_DEP_1)
	v_cmp_gt_i32_e64 s12, 0, v5
	v_cndmask_b32_e64 v5, v5, v81, s12
	v_cmp_eq_u32_e64 s12, 0, v1
	v_add_nc_u32_e32 v1, v3, v1
	s_delay_alu instid0(VALU_DEP_3) | instskip(NEXT) | instid1(VALU_DEP_3)
	v_lshlrev_b32_e32 v5, 2, v5
	v_cndmask_b32_e64 v6, 0, v4, s12
	v_cmp_eq_u32_e64 s12, 0, v81
	ds_bpermute_b32 v1, v5, v1
	v_add_nc_u32_e32 v2, v6, v2
	ds_bpermute_b32 v2, v5, v2
	s_waitcnt lgkmcnt(1)
	v_cndmask_b32_e64 v1, v1, v3, s12
	s_waitcnt lgkmcnt(0)
	v_cndmask_b32_e64 v2, v2, v4, s12
	v_cmp_eq_u32_e64 s12, 0, v0
	s_delay_alu instid0(VALU_DEP_1) | instskip(SKIP_1) | instid1(VALU_DEP_2)
	v_cndmask_b32_e64 v54, v2, v49, s12
	v_cndmask_b32_e64 v53, v1, 0, s12
	;; [unrolled: 1-line block ×3, first 2 shown]
	s_delay_alu instid0(VALU_DEP_1) | instskip(NEXT) | instid1(VALU_DEP_1)
	v_add_nc_u32_e32 v60, v2, v35
	v_cndmask_b32_e64 v2, 0, v60, s6
	s_delay_alu instid0(VALU_DEP_1) | instskip(NEXT) | instid1(VALU_DEP_1)
	v_add_nc_u32_e32 v56, v2, v36
	v_cndmask_b32_e64 v2, 0, v56, s7
	;; [unrolled: 3-line block ×10, first 2 shown]
	s_delay_alu instid0(VALU_DEP_1) | instskip(SKIP_2) | instid1(VALU_DEP_1)
	v_add_nc_u32_e32 v38, v1, v25
	ds_load_b64 v[1:2], v7 offset:2120
	v_cndmask_b32_e64 v3, 0, v38, s1
	v_add_nc_u32_e32 v62, v3, v26
	s_delay_alu instid0(VALU_DEP_1) | instskip(NEXT) | instid1(VALU_DEP_1)
	v_cndmask_b32_e32 v3, 0, v62, vcc_lo
	v_add_nc_u32_e32 v58, v3, v23
	s_waitcnt lgkmcnt(0)
	v_cmp_eq_u32_e32 vcc_lo, 0, v1
	v_add_nc_u32_e32 v59, v53, v78
	s_delay_alu instid0(VALU_DEP_3) | instskip(SKIP_1) | instid1(VALU_DEP_3)
	v_cndmask_b32_e64 v3, 0, v58, s0
	v_cndmask_b32_e32 v4, 0, v49, vcc_lo
	v_add_nc_u32_e32 v55, v59, v77
	s_delay_alu instid0(VALU_DEP_3) | instskip(NEXT) | instid1(VALU_DEP_3)
	v_add_nc_u32_e32 v50, v3, v24
	v_add_nc_u32_e32 v80, v4, v2
	s_delay_alu instid0(VALU_DEP_3) | instskip(NEXT) | instid1(VALU_DEP_1)
	v_add_nc_u32_e32 v51, v55, v76
	v_add_nc_u32_e32 v45, v51, v75
	s_delay_alu instid0(VALU_DEP_1) | instskip(NEXT) | instid1(VALU_DEP_1)
	v_add_nc_u32_e32 v41, v45, v74
	v_add_nc_u32_e32 v39, v41, v73
	s_delay_alu instid0(VALU_DEP_1) | instskip(NEXT) | instid1(VALU_DEP_1)
	;; [unrolled: 3-line block ×5, first 2 shown]
	v_add_nc_u32_e32 v57, v61, v65
	v_add_nc_u32_e32 v49, v57, v64
	s_and_saveexec_b32 s0, s12
	s_cbranch_execz .LBB1119_127
; %bb.126:
	v_and_b32_e32 v2, 0xff000000, v80
	v_dual_mov_b32 v4, 0 :: v_dual_and_b32 v3, 0xff0000, v80
	s_add_u32 s2, s36, 0x200
	v_and_b32_e32 v23, 0xff00, v80
	s_addc_u32 s3, s37, 0
	v_and_b32_e32 v24, 0xff, v80
	v_or_b32_e32 v2, v3, v2
	v_mov_b32_e32 v3, 2
	s_delay_alu instid0(VALU_DEP_2)
	v_or3_b32 v2, v2, v23, v24
	v_dual_mov_b32 v24, s3 :: v_dual_mov_b32 v23, s2
	;;#ASMSTART
	global_store_dwordx4 v[23:24], v[1:4] off	
s_waitcnt vmcnt(0)
	;;#ASMEND
.LBB1119_127:
	s_or_b32 exec_lo, exec_lo, s0
	v_mov_b32_e32 v3, 0
.LBB1119_128:
	v_mov_b32_e32 v23, 0
	s_and_b32 s0, s16, exec_lo
	v_mov_b32_e32 v24, 0
	s_cselect_b32 s1, 0, s47
	s_cselect_b32 s0, 0, s46
	s_delay_alu instid0(SALU_CYCLE_1)
	s_cmp_eq_u64 s[0:1], 0
	s_barrier
	buffer_gl0_inv
	s_cbranch_scc1 .LBB1119_130
; %bb.129:
	v_mov_b32_e32 v2, 0
	global_load_b64 v[23:24], v2, s[0:1]
.LBB1119_130:
	v_cmp_eq_u32_e32 vcc_lo, 0, v78
	v_cmp_ne_u32_e64 s14, 0, v78
	v_cmp_ne_u32_e64 s13, 0, v77
	;; [unrolled: 1-line block ×4, first 2 shown]
	v_cndmask_b32_e64 v2, 1, 2, vcc_lo
	v_cmp_eq_u32_e32 vcc_lo, 0, v77
	v_cmp_ne_u32_e64 s10, 0, v74
	v_cmp_ne_u32_e64 s9, 0, v73
	;; [unrolled: 1-line block ×4, first 2 shown]
	v_cndmask_b32_e64 v4, 1, 2, vcc_lo
	v_cmp_eq_u32_e32 vcc_lo, 0, v76
	v_cmp_ne_u32_e64 s8, 0, v69
	v_cmp_ne_u32_e64 s6, 0, v68
	;; [unrolled: 1-line block ×3, first 2 shown]
	v_and_b32_e32 v2, v4, v2
	v_cndmask_b32_e64 v25, 1, 2, vcc_lo
	v_cmp_eq_u32_e32 vcc_lo, 0, v75
	v_cmp_ne_u32_e64 s3, 0, v66
	v_cmp_ne_u32_e64 s2, 0, v65
	;; [unrolled: 1-line block ×3, first 2 shown]
	v_and_b32_e32 v2, v2, v25
	v_cndmask_b32_e64 v4, 1, 2, vcc_lo
	v_cmp_eq_u32_e32 vcc_lo, 0, v74
	v_cmp_ne_u32_e64 s0, 0, v71
	s_mov_b32 s16, -1
	s_delay_alu instid0(VALU_DEP_3) | instskip(SKIP_2) | instid1(VALU_DEP_2)
	v_and_b32_e32 v2, v2, v4
	v_cndmask_b32_e64 v25, 1, 2, vcc_lo
	v_cmp_eq_u32_e32 vcc_lo, 0, v73
	v_and_b32_e32 v2, v2, v25
	v_cndmask_b32_e64 v4, 1, 2, vcc_lo
	v_cmp_eq_u32_e32 vcc_lo, 0, v72
	s_waitcnt vmcnt(0)
	v_lshlrev_b64 v[25:26], 2, v[23:24]
	s_delay_alu instid0(VALU_DEP_3) | instskip(SKIP_2) | instid1(VALU_DEP_2)
	v_and_b32_e32 v2, v2, v4
	v_cndmask_b32_e64 v27, 1, 2, vcc_lo
	v_cmp_eq_u32_e32 vcc_lo, 0, v70
	v_and_b32_e32 v2, v2, v27
	v_cndmask_b32_e64 v28, 1, 2, vcc_lo
	v_cmp_eq_u32_e32 vcc_lo, 0, v69
	s_delay_alu instid0(VALU_DEP_2) | instskip(SKIP_2) | instid1(VALU_DEP_2)
	v_and_b32_e32 v2, v2, v28
	v_cndmask_b32_e64 v27, 1, 2, vcc_lo
	v_cmp_eq_u32_e32 vcc_lo, 0, v68
	v_and_b32_e32 v2, v2, v27
	v_cndmask_b32_e64 v28, 1, 2, vcc_lo
	v_cmp_eq_u32_e32 vcc_lo, 0, v67
	s_delay_alu instid0(VALU_DEP_2) | instskip(SKIP_2) | instid1(VALU_DEP_2)
	;; [unrolled: 7-line block ×3, first 2 shown]
	v_and_b32_e32 v2, v2, v29
	v_cndmask_b32_e64 v30, 1, 2, vcc_lo
	v_cmp_eq_u32_e32 vcc_lo, 0, v64
	v_and_b32_e32 v30, v2, v30
	v_cndmask_b32_e64 v31, 1, 2, vcc_lo
	v_mov_b32_e32 v4, 0
	s_delay_alu instid0(VALU_DEP_1) | instskip(SKIP_2) | instid1(VALU_DEP_2)
	v_lshlrev_b64 v[27:28], 2, v[3:4]
	v_add_co_u32 v4, vcc_lo, s26, v25
	v_add_co_ci_u32_e32 v29, vcc_lo, s27, v26, vcc_lo
	v_add_co_u32 v2, vcc_lo, v4, v27
	s_delay_alu instid0(VALU_DEP_2) | instskip(SKIP_4) | instid1(VALU_DEP_2)
	v_add_co_ci_u32_e32 v4, vcc_lo, v29, v28, vcc_lo
	v_and_b32_e32 v29, v30, v31
	v_cmp_eq_u32_e32 vcc_lo, 0, v71
	v_cndmask_b32_e64 v30, 1, 2, vcc_lo
	v_cmp_gt_u32_e32 vcc_lo, 0x100, v1
	v_and_b32_e32 v29, v29, v30
	s_delay_alu instid0(VALU_DEP_1)
	v_cmp_gt_i16_e64 s15, 2, v29
	s_cbranch_vccz .LBB1119_137
; %bb.131:
	s_delay_alu instid0(VALU_DEP_1)
	s_and_saveexec_b32 s16, s15
	s_cbranch_execz .LBB1119_136
; %bb.132:
	s_mov_b32 s17, 0
	s_mov_b32 s15, exec_lo
	v_cmpx_ne_u16_e32 1, v29
	s_xor_b32 s15, exec_lo, s15
	s_cbranch_execnz .LBB1119_169
; %bb.133:
	s_and_not1_saveexec_b32 s15, s15
	s_cbranch_execnz .LBB1119_185
.LBB1119_134:
	s_or_b32 exec_lo, exec_lo, s15
	s_delay_alu instid0(SALU_CYCLE_1)
	s_and_b32 exec_lo, exec_lo, s17
	s_cbranch_execz .LBB1119_136
.LBB1119_135:
	v_sub_nc_u32_e32 v30, v49, v3
	v_mov_b32_e32 v31, 0
	s_delay_alu instid0(VALU_DEP_1) | instskip(NEXT) | instid1(VALU_DEP_1)
	v_lshlrev_b64 v[30:31], 2, v[30:31]
	v_add_co_u32 v30, vcc_lo, v2, v30
	s_delay_alu instid0(VALU_DEP_2)
	v_add_co_ci_u32_e32 v31, vcc_lo, v4, v31, vcc_lo
	global_store_b32 v[30:31], v63, off
.LBB1119_136:
	s_or_b32 exec_lo, exec_lo, s16
	s_mov_b32 s16, 0
.LBB1119_137:
	s_delay_alu instid0(SALU_CYCLE_1)
	s_and_b32 vcc_lo, exec_lo, s16
	s_cbranch_vccz .LBB1119_147
; %bb.138:
	s_mov_b32 s15, exec_lo
	v_cmpx_gt_i16_e32 2, v29
	s_cbranch_execz .LBB1119_143
; %bb.139:
	s_mov_b32 s17, 0
	s_mov_b32 s16, exec_lo
	v_cmpx_ne_u16_e32 1, v29
	s_xor_b32 s16, exec_lo, s16
	s_cbranch_execnz .LBB1119_186
; %bb.140:
	s_and_not1_saveexec_b32 s0, s16
	s_cbranch_execnz .LBB1119_202
.LBB1119_141:
	s_or_b32 exec_lo, exec_lo, s0
	s_delay_alu instid0(SALU_CYCLE_1)
	s_and_b32 exec_lo, exec_lo, s17
	s_cbranch_execz .LBB1119_143
.LBB1119_142:
	v_sub_nc_u32_e32 v9, v49, v3
	s_delay_alu instid0(VALU_DEP_1)
	v_lshlrev_b32_e32 v9, 2, v9
	ds_store_b32 v9, v63
.LBB1119_143:
	s_or_b32 exec_lo, exec_lo, s15
	s_delay_alu instid0(SALU_CYCLE_1)
	s_mov_b32 s1, exec_lo
	s_waitcnt lgkmcnt(0)
	s_waitcnt_vscnt null, 0x0
	s_barrier
	buffer_gl0_inv
	v_cmpx_lt_u32_e64 v0, v1
	s_cbranch_execz .LBB1119_146
; %bb.144:
	v_dual_mov_b32 v10, 0 :: v_dual_lshlrev_b32 v11, 2, v0
	v_mov_b32_e32 v9, v0
	s_mov_b32 s2, 0
	.p2align	6
.LBB1119_145:                           ; =>This Inner Loop Header: Depth=1
	ds_load_b32 v14, v11
	v_lshlrev_b64 v[12:13], 2, v[9:10]
	v_add_nc_u32_e32 v9, 0x100, v9
	v_add_nc_u32_e32 v11, 0x400, v11
	s_delay_alu instid0(VALU_DEP_2) | instskip(NEXT) | instid1(VALU_DEP_4)
	v_cmp_ge_u32_e32 vcc_lo, v9, v1
	v_add_co_u32 v12, s0, v2, v12
	s_delay_alu instid0(VALU_DEP_1)
	v_add_co_ci_u32_e64 v13, s0, v4, v13, s0
	s_or_b32 s2, vcc_lo, s2
	s_waitcnt lgkmcnt(0)
	global_store_b32 v[12:13], v14, off
	s_and_not1_b32 exec_lo, exec_lo, s2
	s_cbranch_execnz .LBB1119_145
.LBB1119_146:
	s_or_b32 exec_lo, exec_lo, s1
.LBB1119_147:
	s_cmpk_lg_i32 s33, 0xf00
	v_cmp_eq_u32_e32 vcc_lo, 0, v0
	s_cselect_b32 s0, -1, 0
	v_cndmask_b32_e64 v4, 0, 1, s40
	s_and_b32 s0, s23, s0
	v_mad_i32_i24 v10, v0, -15, s33
	v_cndmask_b32_e64 v9, 0, 1, s0
	s_mul_hi_u32 s0, s33, 0x88888889
	s_and_b32 s1, vcc_lo, s40
	s_lshr_b32 s0, s0, 3
	v_sub_nc_u32_e32 v2, v1, v4
	v_cndmask_b32_e64 v11, v78, 0, s1
	v_cmp_eq_u32_e32 vcc_lo, s0, v0
	v_cmp_ne_u32_e64 s0, 0, v10
	s_mov_b32 s16, -1
	s_waitcnt_vscnt null, 0x0
	s_barrier
	s_and_b32 vcc_lo, s23, vcc_lo
	v_add_nc_u32_e32 v2, v2, v9
	v_cndmask_b32_e64 v9, 1, v11, s0
	v_cmp_ne_u32_e64 s0, 1, v10
	buffer_gl0_inv
	v_cndmask_b32_e64 v12, 1, v77, s0
	v_cmp_ne_u32_e64 s0, 14, v10
	s_delay_alu instid0(VALU_DEP_2) | instskip(NEXT) | instid1(VALU_DEP_2)
	v_cndmask_b32_e32 v17, v77, v12, vcc_lo
	v_cndmask_b32_e64 v13, 1, v71, s0
	v_cmp_ne_u32_e64 s0, 2, v10
	s_delay_alu instid0(VALU_DEP_3) | instskip(NEXT) | instid1(VALU_DEP_3)
	v_cmp_ne_u32_e64 s13, 0, v17
	v_cndmask_b32_e32 v16, v71, v13, vcc_lo
	s_delay_alu instid0(VALU_DEP_3) | instskip(SKIP_1) | instid1(VALU_DEP_2)
	v_cndmask_b32_e64 v14, 1, v76, s0
	v_cmp_ne_u32_e64 s0, 3, v10
	v_dual_cndmask_b32 v13, v11, v9 :: v_dual_cndmask_b32 v14, v76, v14
	s_delay_alu instid0(VALU_DEP_2) | instskip(SKIP_1) | instid1(VALU_DEP_3)
	v_cndmask_b32_e64 v15, 1, v75, s0
	v_cmp_ne_u32_e64 s0, 4, v10
	v_cmp_ne_u32_e64 s14, 0, v13
	s_delay_alu instid0(VALU_DEP_4) | instskip(NEXT) | instid1(VALU_DEP_3)
	v_cmp_ne_u32_e64 s12, 0, v14
	v_cndmask_b32_e64 v9, 1, v74, s0
	v_cmp_ne_u32_e64 s0, 5, v10
	s_delay_alu instid0(VALU_DEP_1) | instskip(SKIP_1) | instid1(VALU_DEP_2)
	v_cndmask_b32_e64 v11, 1, v73, s0
	v_cmp_eq_u32_e64 s0, 0, v13
	v_cndmask_b32_e32 v29, v73, v11, vcc_lo
	s_delay_alu instid0(VALU_DEP_2) | instskip(SKIP_1) | instid1(VALU_DEP_3)
	v_cndmask_b32_e64 v12, 1, 2, s0
	v_cmp_eq_u32_e64 s0, 0, v17
	v_cmp_ne_u32_e64 s9, 0, v29
	s_delay_alu instid0(VALU_DEP_2) | instskip(SKIP_1) | instid1(VALU_DEP_2)
	v_cndmask_b32_e64 v18, 1, 2, s0
	v_cmp_ne_u32_e64 s0, 6, v10
	v_dual_cndmask_b32 v15, v75, v15 :: v_dual_and_b32 v12, v18, v12
	s_delay_alu instid0(VALU_DEP_2) | instskip(SKIP_1) | instid1(VALU_DEP_3)
	v_cndmask_b32_e64 v19, 1, v72, s0
	v_cmp_eq_u32_e64 s0, 0, v14
	v_cmp_ne_u32_e64 s11, 0, v15
	s_delay_alu instid0(VALU_DEP_2) | instskip(SKIP_1) | instid1(VALU_DEP_1)
	v_cndmask_b32_e64 v18, 1, 2, s0
	v_cmp_ne_u32_e64 s0, 7, v10
	v_cndmask_b32_e64 v20, 1, v70, s0
	v_cmp_ne_u32_e64 s0, 8, v10
	s_delay_alu instid0(VALU_DEP_2) | instskip(NEXT) | instid1(VALU_DEP_2)
	v_dual_cndmask_b32 v19, v72, v19 :: v_dual_cndmask_b32 v20, v70, v20
	v_cndmask_b32_e64 v21, 1, v69, s0
	v_cmp_eq_u32_e64 s0, 0, v15
	v_and_b32_e32 v12, v12, v18
	s_delay_alu instid0(VALU_DEP_4)
	v_cmp_ne_u32_e64 s8, 0, v19
	v_cmp_ne_u32_e64 s7, 0, v20
	v_cndmask_b32_e32 v21, v69, v21, vcc_lo
	v_cndmask_b32_e64 v18, 1, 2, s0
	v_cndmask_b32_e32 v22, v74, v9, vcc_lo
	v_cmp_ne_u32_e64 s0, 9, v10
	s_delay_alu instid0(VALU_DEP_4) | instskip(NEXT) | instid1(VALU_DEP_4)
	v_cmp_ne_u32_e64 s6, 0, v21
	v_and_b32_e32 v11, v12, v18
	s_delay_alu instid0(VALU_DEP_4) | instskip(NEXT) | instid1(VALU_DEP_4)
	v_cmp_ne_u32_e64 s10, 0, v22
	v_cndmask_b32_e64 v9, 1, v68, s0
	v_cmp_eq_u32_e64 s0, 0, v22
	s_delay_alu instid0(VALU_DEP_2) | instskip(NEXT) | instid1(VALU_DEP_2)
	v_cndmask_b32_e32 v33, v68, v9, vcc_lo
	v_cndmask_b32_e64 v12, 1, 2, s0
	v_cmp_ne_u32_e64 s0, 10, v10
	s_delay_alu instid0(VALU_DEP_1) | instskip(SKIP_1) | instid1(VALU_DEP_2)
	v_cndmask_b32_e64 v18, 1, v67, s0
	v_cmp_ne_u32_e64 s0, 12, v10
	v_cndmask_b32_e32 v18, v67, v18, vcc_lo
	s_delay_alu instid0(VALU_DEP_2) | instskip(SKIP_2) | instid1(VALU_DEP_4)
	v_cndmask_b32_e64 v30, 1, v65, s0
	v_cmp_eq_u32_e64 s0, 0, v29
	v_and_b32_e32 v11, v11, v12
	v_cmp_ne_u32_e64 s4, 0, v18
	s_delay_alu instid0(VALU_DEP_4) | instskip(NEXT) | instid1(VALU_DEP_4)
	v_cndmask_b32_e32 v30, v65, v30, vcc_lo
	v_cndmask_b32_e64 v12, 1, 2, s0
	v_cmp_ne_u32_e64 s0, 13, v10
	s_delay_alu instid0(VALU_DEP_3) | instskip(NEXT) | instid1(VALU_DEP_3)
	v_cmp_ne_u32_e64 s2, 0, v30
	v_and_b32_e32 v11, v11, v12
	s_delay_alu instid0(VALU_DEP_3) | instskip(SKIP_1) | instid1(VALU_DEP_2)
	v_cndmask_b32_e64 v31, 1, v64, s0
	v_cmp_eq_u32_e64 s0, 0, v19
	v_cndmask_b32_e32 v31, v64, v31, vcc_lo
	s_delay_alu instid0(VALU_DEP_2) | instskip(SKIP_1) | instid1(VALU_DEP_3)
	v_cndmask_b32_e64 v12, 1, 2, s0
	v_cmp_ne_u32_e64 s0, 11, v10
	v_cmp_ne_u32_e64 s1, 0, v31
	s_delay_alu instid0(VALU_DEP_2) | instskip(SKIP_1) | instid1(VALU_DEP_2)
	v_cndmask_b32_e64 v10, 1, v66, s0
	v_cmp_eq_u32_e64 s0, 0, v20
	v_dual_cndmask_b32 v32, v66, v10 :: v_dual_and_b32 v11, v11, v12
	s_delay_alu instid0(VALU_DEP_2) | instskip(SKIP_2) | instid1(VALU_DEP_4)
	v_cndmask_b32_e64 v12, 1, 2, s0
	v_cmp_eq_u32_e32 vcc_lo, 0, v21
	v_cmp_ne_u32_e64 s0, 0, v16
	v_cmp_ne_u32_e64 s3, 0, v32
	s_delay_alu instid0(VALU_DEP_4) | instskip(SKIP_4) | instid1(VALU_DEP_4)
	v_and_b32_e32 v9, v11, v12
	v_cndmask_b32_e64 v10, 1, 2, vcc_lo
	v_add_co_u32 v11, vcc_lo, s28, v25
	v_add_co_ci_u32_e32 v12, vcc_lo, s29, v26, vcc_lo
	v_cmp_eq_u32_e32 vcc_lo, 0, v33
	v_and_b32_e32 v25, v9, v10
	v_cndmask_b32_e64 v26, 1, 2, vcc_lo
	v_add_co_u32 v9, vcc_lo, v11, v27
	v_add_co_ci_u32_e32 v10, vcc_lo, v12, v28, vcc_lo
	v_lshlrev_b32_e32 v11, 2, v4
	v_cmp_eq_u32_e32 vcc_lo, 0, v18
	v_and_b32_e32 v12, v25, v26
	v_add_nc_u32_e32 v4, v3, v4
	v_cmp_ne_u32_e64 s5, 0, v33
	v_cndmask_b32_e64 v25, 1, 2, vcc_lo
	v_add_co_u32 v11, vcc_lo, v11, v9
	v_add_co_ci_u32_e32 v26, vcc_lo, 0, v10, vcc_lo
	v_cmp_eq_u32_e32 vcc_lo, 0, v32
	s_delay_alu instid0(VALU_DEP_4) | instskip(SKIP_4) | instid1(VALU_DEP_4)
	v_and_b32_e32 v25, v12, v25
	v_cndmask_b32_e64 v27, 1, 2, vcc_lo
	v_add_co_u32 v11, vcc_lo, v11, -4
	v_add_co_ci_u32_e32 v12, vcc_lo, -1, v26, vcc_lo
	v_cmp_eq_u32_e32 vcc_lo, 0, v30
	v_and_b32_e32 v25, v25, v27
	v_cndmask_b32_e64 v26, 1, 2, vcc_lo
	v_cmp_eq_u32_e32 vcc_lo, 0, v31
	s_delay_alu instid0(VALU_DEP_2) | instskip(SKIP_2) | instid1(VALU_DEP_2)
	v_and_b32_e32 v13, v25, v26
	v_cndmask_b32_e64 v14, 1, 2, vcc_lo
	v_cmp_eq_u32_e32 vcc_lo, 0, v16
	v_and_b32_e32 v13, v13, v14
	v_cndmask_b32_e64 v14, 1, 2, vcc_lo
	v_cmp_gt_u32_e32 vcc_lo, 0x100, v2
	s_delay_alu instid0(VALU_DEP_2) | instskip(NEXT) | instid1(VALU_DEP_1)
	v_and_b32_e32 v13, v13, v14
	v_cmp_gt_i16_e64 s15, 2, v13
	s_cbranch_vccnz .LBB1119_151
; %bb.148:
	s_and_b32 vcc_lo, exec_lo, s16
	s_cbranch_vccnz .LBB1119_157
.LBB1119_149:
	v_cmp_eq_u32_e32 vcc_lo, 0xff, v0
	s_and_b32 s0, vcc_lo, s23
	s_delay_alu instid0(SALU_CYCLE_1)
	s_and_saveexec_b32 s1, s0
	s_cbranch_execnz .LBB1119_166
.LBB1119_150:
	s_nop 0
	s_sendmsg sendmsg(MSG_DEALLOC_VGPRS)
	s_endpgm
.LBB1119_151:
	s_delay_alu instid0(VALU_DEP_1)
	s_and_saveexec_b32 s16, s15
	s_cbranch_execz .LBB1119_156
; %bb.152:
	s_mov_b32 s17, 0
	s_mov_b32 s15, exec_lo
	v_cmpx_ne_u16_e32 1, v13
	s_xor_b32 s15, exec_lo, s15
	s_cbranch_execnz .LBB1119_203
; %bb.153:
	s_and_not1_saveexec_b32 s15, s15
	s_cbranch_execnz .LBB1119_219
.LBB1119_154:
	s_or_b32 exec_lo, exec_lo, s15
	s_delay_alu instid0(SALU_CYCLE_1)
	s_and_b32 exec_lo, exec_lo, s17
	s_cbranch_execz .LBB1119_156
.LBB1119_155:
	v_sub_nc_u32_e32 v14, v49, v4
	v_mov_b32_e32 v15, 0
	s_delay_alu instid0(VALU_DEP_1) | instskip(NEXT) | instid1(VALU_DEP_1)
	v_lshlrev_b64 v[14:15], 2, v[14:15]
	v_add_co_u32 v14, vcc_lo, v11, v14
	s_delay_alu instid0(VALU_DEP_2)
	v_add_co_ci_u32_e32 v15, vcc_lo, v12, v15, vcc_lo
	global_store_b32 v[14:15], v50, off
.LBB1119_156:
	s_or_b32 exec_lo, exec_lo, s16
	s_branch .LBB1119_149
.LBB1119_157:
	s_mov_b32 s15, exec_lo
	v_cmpx_gt_i16_e32 2, v13
	s_cbranch_execz .LBB1119_162
; %bb.158:
	s_mov_b32 s17, 0
	s_mov_b32 s16, exec_lo
	v_cmpx_ne_u16_e32 1, v13
	s_xor_b32 s16, exec_lo, s16
	s_cbranch_execnz .LBB1119_220
; %bb.159:
	s_and_not1_saveexec_b32 s0, s16
	s_cbranch_execnz .LBB1119_236
.LBB1119_160:
	s_or_b32 exec_lo, exec_lo, s0
	s_delay_alu instid0(SALU_CYCLE_1)
	s_and_b32 exec_lo, exec_lo, s17
	s_cbranch_execz .LBB1119_162
.LBB1119_161:
	v_sub_nc_u32_e32 v4, v49, v4
	s_delay_alu instid0(VALU_DEP_1)
	v_lshlrev_b32_e32 v4, 2, v4
	ds_store_b32 v4, v50
.LBB1119_162:
	s_or_b32 exec_lo, exec_lo, s15
	s_delay_alu instid0(SALU_CYCLE_1)
	s_mov_b32 s1, exec_lo
	s_waitcnt lgkmcnt(0)
	s_waitcnt_vscnt null, 0x0
	s_barrier
	buffer_gl0_inv
	v_cmpx_lt_u32_e64 v0, v2
	s_cbranch_execz .LBB1119_165
; %bb.163:
	v_dual_mov_b32 v5, 0 :: v_dual_lshlrev_b32 v6, 2, v0
	v_mov_b32_e32 v4, v0
	s_mov_b32 s2, 0
	.p2align	6
.LBB1119_164:                           ; =>This Inner Loop Header: Depth=1
	ds_load_b32 v13, v6
	v_lshlrev_b64 v[7:8], 2, v[4:5]
	v_add_nc_u32_e32 v4, 0x100, v4
	v_add_nc_u32_e32 v6, 0x400, v6
	s_delay_alu instid0(VALU_DEP_2) | instskip(NEXT) | instid1(VALU_DEP_4)
	v_cmp_ge_u32_e32 vcc_lo, v4, v2
	v_add_co_u32 v7, s0, v11, v7
	s_delay_alu instid0(VALU_DEP_1)
	v_add_co_ci_u32_e64 v8, s0, v12, v8, s0
	s_or_b32 s2, vcc_lo, s2
	s_waitcnt lgkmcnt(0)
	global_store_b32 v[7:8], v13, off
	s_and_not1_b32 exec_lo, exec_lo, s2
	s_cbranch_execnz .LBB1119_164
.LBB1119_165:
	s_or_b32 exec_lo, exec_lo, s1
	v_cmp_eq_u32_e32 vcc_lo, 0xff, v0
	s_and_b32 s0, vcc_lo, s23
	s_delay_alu instid0(SALU_CYCLE_1)
	s_and_saveexec_b32 s1, s0
	s_cbranch_execz .LBB1119_150
.LBB1119_166:
	v_add_co_u32 v0, s0, v1, v3
	s_delay_alu instid0(VALU_DEP_1) | instskip(SKIP_1) | instid1(VALU_DEP_3)
	v_add_co_ci_u32_e64 v4, null, 0, 0, s0
	v_mov_b32_e32 v2, 0
	v_add_co_u32 v3, vcc_lo, v0, v23
	s_delay_alu instid0(VALU_DEP_3)
	v_add_co_ci_u32_e32 v4, vcc_lo, v4, v24, vcc_lo
	s_cmpk_lg_i32 s33, 0xf00
	global_store_b64 v2, v[3:4], s[30:31]
	s_cbranch_scc1 .LBB1119_150
; %bb.167:
	v_lshlrev_b64 v[0:1], 2, v[1:2]
	s_delay_alu instid0(VALU_DEP_1) | instskip(NEXT) | instid1(VALU_DEP_2)
	v_add_co_u32 v0, vcc_lo, v9, v0
	v_add_co_ci_u32_e32 v1, vcc_lo, v10, v1, vcc_lo
	global_store_b32 v[0:1], v80, off offset:-4
	s_nop 0
	s_sendmsg sendmsg(MSG_DEALLOC_VGPRS)
	s_endpgm
.LBB1119_168:
	s_or_b32 exec_lo, exec_lo, s2
	v_mov_b32_e32 v78, s1
	s_and_saveexec_b32 s1, s41
	s_cbranch_execnz .LBB1119_84
	s_branch .LBB1119_85
.LBB1119_169:
	s_and_saveexec_b32 s17, s14
	s_cbranch_execnz .LBB1119_237
; %bb.170:
	s_or_b32 exec_lo, exec_lo, s17
	s_and_saveexec_b32 s17, s13
	s_cbranch_execnz .LBB1119_238
.LBB1119_171:
	s_or_b32 exec_lo, exec_lo, s17
	s_and_saveexec_b32 s17, s12
	s_cbranch_execnz .LBB1119_239
.LBB1119_172:
	s_or_b32 exec_lo, exec_lo, s17
	s_and_saveexec_b32 s17, s11
	s_cbranch_execnz .LBB1119_240
.LBB1119_173:
	s_or_b32 exec_lo, exec_lo, s17
	s_and_saveexec_b32 s17, s10
	s_cbranch_execnz .LBB1119_241
.LBB1119_174:
	s_or_b32 exec_lo, exec_lo, s17
	s_and_saveexec_b32 s17, s9
	s_cbranch_execnz .LBB1119_242
.LBB1119_175:
	s_or_b32 exec_lo, exec_lo, s17
	s_and_saveexec_b32 s17, s7
	s_cbranch_execnz .LBB1119_243
.LBB1119_176:
	s_or_b32 exec_lo, exec_lo, s17
	s_and_saveexec_b32 s17, s5
	s_cbranch_execnz .LBB1119_244
.LBB1119_177:
	s_or_b32 exec_lo, exec_lo, s17
	s_and_saveexec_b32 s17, s8
	s_cbranch_execnz .LBB1119_245
.LBB1119_178:
	s_or_b32 exec_lo, exec_lo, s17
	s_and_saveexec_b32 s17, s6
	s_cbranch_execnz .LBB1119_246
.LBB1119_179:
	s_or_b32 exec_lo, exec_lo, s17
	s_and_saveexec_b32 s17, s4
	s_cbranch_execnz .LBB1119_247
.LBB1119_180:
	s_or_b32 exec_lo, exec_lo, s17
	s_and_saveexec_b32 s17, s3
	s_cbranch_execnz .LBB1119_248
.LBB1119_181:
	s_or_b32 exec_lo, exec_lo, s17
	s_and_saveexec_b32 s17, s2
	s_cbranch_execnz .LBB1119_249
.LBB1119_182:
	s_or_b32 exec_lo, exec_lo, s17
	s_and_saveexec_b32 s17, s1
	s_cbranch_execz .LBB1119_184
.LBB1119_183:
	v_sub_nc_u32_e32 v30, v57, v3
	v_mov_b32_e32 v31, 0
	s_delay_alu instid0(VALU_DEP_1) | instskip(NEXT) | instid1(VALU_DEP_1)
	v_lshlrev_b64 v[30:31], 2, v[30:31]
	v_add_co_u32 v30, vcc_lo, v2, v30
	s_delay_alu instid0(VALU_DEP_2)
	v_add_co_ci_u32_e32 v31, vcc_lo, v4, v31, vcc_lo
	global_store_b32 v[30:31], v10, off
.LBB1119_184:
	s_or_b32 exec_lo, exec_lo, s17
	s_delay_alu instid0(SALU_CYCLE_1)
	s_and_b32 s17, s0, exec_lo
	s_and_not1_saveexec_b32 s15, s15
	s_cbranch_execz .LBB1119_134
.LBB1119_185:
	v_sub_nc_u32_e32 v30, v53, v3
	v_mov_b32_e32 v31, 0
	s_or_b32 s17, s17, exec_lo
	s_delay_alu instid0(VALU_DEP_1) | instskip(SKIP_1) | instid1(VALU_DEP_1)
	v_lshlrev_b64 v[32:33], 2, v[30:31]
	v_sub_nc_u32_e32 v30, v59, v3
	v_lshlrev_b64 v[34:35], 2, v[30:31]
	v_sub_nc_u32_e32 v30, v55, v3
	s_delay_alu instid0(VALU_DEP_4) | instskip(SKIP_1) | instid1(VALU_DEP_3)
	v_add_co_u32 v32, vcc_lo, v2, v32
	v_add_co_ci_u32_e32 v33, vcc_lo, v4, v33, vcc_lo
	v_lshlrev_b64 v[81:82], 2, v[30:31]
	v_sub_nc_u32_e32 v30, v51, v3
	v_add_co_u32 v34, vcc_lo, v2, v34
	v_add_co_ci_u32_e32 v35, vcc_lo, v4, v35, vcc_lo
	global_store_b32 v[32:33], v21, off
	v_lshlrev_b64 v[32:33], 2, v[30:31]
	v_sub_nc_u32_e32 v30, v45, v3
	global_store_b32 v[34:35], v22, off
	v_add_co_u32 v34, vcc_lo, v2, v81
	v_add_co_ci_u32_e32 v35, vcc_lo, v4, v82, vcc_lo
	v_lshlrev_b64 v[81:82], 2, v[30:31]
	v_sub_nc_u32_e32 v30, v41, v3
	v_add_co_u32 v32, vcc_lo, v2, v32
	v_add_co_ci_u32_e32 v33, vcc_lo, v4, v33, vcc_lo
	s_delay_alu instid0(VALU_DEP_3) | instskip(SKIP_3) | instid1(VALU_DEP_3)
	v_lshlrev_b64 v[83:84], 2, v[30:31]
	v_sub_nc_u32_e32 v30, v39, v3
	v_add_co_u32 v81, vcc_lo, v2, v81
	v_add_co_ci_u32_e32 v82, vcc_lo, v4, v82, vcc_lo
	v_lshlrev_b64 v[85:86], 2, v[30:31]
	v_sub_nc_u32_e32 v30, v43, v3
	v_add_co_u32 v83, vcc_lo, v2, v83
	v_add_co_ci_u32_e32 v84, vcc_lo, v4, v84, vcc_lo
	s_clause 0x3
	global_store_b32 v[34:35], v19, off
	global_store_b32 v[32:33], v20, off
	;; [unrolled: 1-line block ×4, first 2 shown]
	v_lshlrev_b64 v[32:33], 2, v[30:31]
	v_sub_nc_u32_e32 v30, v47, v3
	v_add_co_u32 v34, vcc_lo, v2, v85
	v_add_co_ci_u32_e32 v35, vcc_lo, v4, v86, vcc_lo
	s_delay_alu instid0(VALU_DEP_3) | instskip(SKIP_3) | instid1(VALU_DEP_3)
	v_lshlrev_b64 v[81:82], 2, v[30:31]
	v_sub_nc_u32_e32 v30, v5, v3
	v_add_co_u32 v32, vcc_lo, v2, v32
	v_add_co_ci_u32_e32 v33, vcc_lo, v4, v33, vcc_lo
	v_lshlrev_b64 v[83:84], 2, v[30:31]
	v_sub_nc_u32_e32 v30, v7, v3
	v_add_co_u32 v81, vcc_lo, v2, v81
	v_add_co_ci_u32_e32 v82, vcc_lo, v4, v82, vcc_lo
	s_delay_alu instid0(VALU_DEP_3)
	v_lshlrev_b64 v[85:86], 2, v[30:31]
	v_sub_nc_u32_e32 v30, v37, v3
	v_add_co_u32 v83, vcc_lo, v2, v83
	v_add_co_ci_u32_e32 v84, vcc_lo, v4, v84, vcc_lo
	s_clause 0x3
	global_store_b32 v[34:35], v15, off
	global_store_b32 v[32:33], v16, off
	global_store_b32 v[81:82], v13, off
	global_store_b32 v[83:84], v14, off
	v_lshlrev_b64 v[32:33], 2, v[30:31]
	v_sub_nc_u32_e32 v30, v61, v3
	v_add_co_u32 v34, vcc_lo, v2, v85
	v_add_co_ci_u32_e32 v35, vcc_lo, v4, v86, vcc_lo
	s_delay_alu instid0(VALU_DEP_3) | instskip(SKIP_3) | instid1(VALU_DEP_3)
	v_lshlrev_b64 v[81:82], 2, v[30:31]
	v_sub_nc_u32_e32 v30, v57, v3
	v_add_co_u32 v32, vcc_lo, v2, v32
	v_add_co_ci_u32_e32 v33, vcc_lo, v4, v33, vcc_lo
	v_lshlrev_b64 v[30:31], 2, v[30:31]
	v_add_co_u32 v81, vcc_lo, v2, v81
	v_add_co_ci_u32_e32 v82, vcc_lo, v4, v82, vcc_lo
	s_clause 0x2
	global_store_b32 v[34:35], v11, off
	global_store_b32 v[32:33], v12, off
	;; [unrolled: 1-line block ×3, first 2 shown]
	v_add_co_u32 v30, vcc_lo, v2, v30
	v_add_co_ci_u32_e32 v31, vcc_lo, v4, v31, vcc_lo
	global_store_b32 v[30:31], v10, off
	s_or_b32 exec_lo, exec_lo, s15
	s_delay_alu instid0(SALU_CYCLE_1)
	s_and_b32 exec_lo, exec_lo, s17
	s_cbranch_execnz .LBB1119_135
	s_branch .LBB1119_136
.LBB1119_186:
	s_and_saveexec_b32 s17, s14
	s_cbranch_execnz .LBB1119_250
; %bb.187:
	s_or_b32 exec_lo, exec_lo, s17
	s_and_saveexec_b32 s14, s13
	s_cbranch_execnz .LBB1119_251
.LBB1119_188:
	s_or_b32 exec_lo, exec_lo, s14
	s_and_saveexec_b32 s13, s12
	s_cbranch_execnz .LBB1119_252
.LBB1119_189:
	s_or_b32 exec_lo, exec_lo, s13
	s_and_saveexec_b32 s12, s11
	s_cbranch_execnz .LBB1119_253
.LBB1119_190:
	s_or_b32 exec_lo, exec_lo, s12
	s_and_saveexec_b32 s11, s10
	s_cbranch_execnz .LBB1119_254
.LBB1119_191:
	s_or_b32 exec_lo, exec_lo, s11
	s_and_saveexec_b32 s10, s9
	s_cbranch_execnz .LBB1119_255
.LBB1119_192:
	s_or_b32 exec_lo, exec_lo, s10
	s_and_saveexec_b32 s9, s7
	s_cbranch_execnz .LBB1119_256
.LBB1119_193:
	s_or_b32 exec_lo, exec_lo, s9
	s_and_saveexec_b32 s7, s5
	s_cbranch_execnz .LBB1119_257
.LBB1119_194:
	s_or_b32 exec_lo, exec_lo, s7
	s_and_saveexec_b32 s5, s8
	s_cbranch_execnz .LBB1119_258
.LBB1119_195:
	s_or_b32 exec_lo, exec_lo, s5
	s_and_saveexec_b32 s5, s6
	s_cbranch_execnz .LBB1119_259
.LBB1119_196:
	s_or_b32 exec_lo, exec_lo, s5
	s_and_saveexec_b32 s5, s4
	s_cbranch_execnz .LBB1119_260
.LBB1119_197:
	s_or_b32 exec_lo, exec_lo, s5
	s_and_saveexec_b32 s4, s3
	s_cbranch_execnz .LBB1119_261
.LBB1119_198:
	s_or_b32 exec_lo, exec_lo, s4
	s_and_saveexec_b32 s3, s2
	s_cbranch_execnz .LBB1119_262
.LBB1119_199:
	s_or_b32 exec_lo, exec_lo, s3
	s_and_saveexec_b32 s2, s1
	s_cbranch_execz .LBB1119_201
.LBB1119_200:
	v_sub_nc_u32_e32 v9, v57, v3
	s_delay_alu instid0(VALU_DEP_1)
	v_lshlrev_b32_e32 v9, 2, v9
	ds_store_b32 v9, v10
.LBB1119_201:
	s_or_b32 exec_lo, exec_lo, s2
	s_delay_alu instid0(SALU_CYCLE_1)
	s_and_b32 s17, s0, exec_lo
                                        ; implicit-def: $vgpr21
                                        ; implicit-def: $vgpr19
                                        ; implicit-def: $vgpr17
                                        ; implicit-def: $vgpr15
                                        ; implicit-def: $vgpr13
                                        ; implicit-def: $vgpr11
                                        ; implicit-def: $vgpr9
	s_and_not1_saveexec_b32 s0, s16
	s_cbranch_execz .LBB1119_141
.LBB1119_202:
	v_sub_nc_u32_e32 v29, v53, v3
	v_sub_nc_u32_e32 v32, v51, v3
	;; [unrolled: 1-line block ×4, first 2 shown]
	s_or_b32 s17, s17, exec_lo
	v_lshlrev_b32_e32 v29, 2, v29
	v_lshlrev_b32_e32 v32, 2, v32
	;; [unrolled: 1-line block ×4, first 2 shown]
	ds_store_b32 v29, v21
	ds_store_b32 v30, v22
	;; [unrolled: 1-line block ×3, first 2 shown]
	v_sub_nc_u32_e32 v19, v45, v3
	ds_store_b32 v32, v20
	v_sub_nc_u32_e32 v20, v41, v3
	v_sub_nc_u32_e32 v21, v39, v3
	;; [unrolled: 1-line block ×3, first 2 shown]
	v_lshlrev_b32_e32 v19, 2, v19
	v_sub_nc_u32_e32 v29, v47, v3
	v_lshlrev_b32_e32 v20, 2, v20
	v_lshlrev_b32_e32 v21, 2, v21
	;; [unrolled: 1-line block ×3, first 2 shown]
	ds_store_b32 v19, v17
	v_lshlrev_b32_e32 v17, 2, v29
	ds_store_b32 v20, v18
	ds_store_b32 v21, v15
	;; [unrolled: 1-line block ×3, first 2 shown]
	v_sub_nc_u32_e32 v15, v5, v3
	v_sub_nc_u32_e32 v18, v57, v3
	;; [unrolled: 1-line block ×3, first 2 shown]
	ds_store_b32 v17, v13
	v_sub_nc_u32_e32 v13, v7, v3
	v_lshlrev_b32_e32 v15, 2, v15
	v_sub_nc_u32_e32 v17, v61, v3
	v_lshlrev_b32_e32 v16, 2, v16
	s_delay_alu instid0(VALU_DEP_4)
	v_lshlrev_b32_e32 v13, 2, v13
	ds_store_b32 v15, v14
	v_lshlrev_b32_e32 v14, 2, v18
	v_lshlrev_b32_e32 v17, 2, v17
	ds_store_b32 v13, v11
	ds_store_b32 v16, v12
	;; [unrolled: 1-line block ×4, first 2 shown]
	s_or_b32 exec_lo, exec_lo, s0
	s_delay_alu instid0(SALU_CYCLE_1)
	s_and_b32 exec_lo, exec_lo, s17
	s_cbranch_execnz .LBB1119_142
	s_branch .LBB1119_143
.LBB1119_203:
	s_and_saveexec_b32 s17, s14
	s_cbranch_execnz .LBB1119_263
; %bb.204:
	s_or_b32 exec_lo, exec_lo, s17
	s_and_saveexec_b32 s17, s13
	s_cbranch_execnz .LBB1119_264
.LBB1119_205:
	s_or_b32 exec_lo, exec_lo, s17
	s_and_saveexec_b32 s17, s12
	s_cbranch_execnz .LBB1119_265
.LBB1119_206:
	s_or_b32 exec_lo, exec_lo, s17
	s_and_saveexec_b32 s17, s11
	s_cbranch_execnz .LBB1119_266
.LBB1119_207:
	s_or_b32 exec_lo, exec_lo, s17
	s_and_saveexec_b32 s17, s10
	s_cbranch_execnz .LBB1119_267
.LBB1119_208:
	s_or_b32 exec_lo, exec_lo, s17
	s_and_saveexec_b32 s17, s9
	s_cbranch_execnz .LBB1119_268
.LBB1119_209:
	s_or_b32 exec_lo, exec_lo, s17
	s_and_saveexec_b32 s17, s8
	s_cbranch_execnz .LBB1119_269
.LBB1119_210:
	s_or_b32 exec_lo, exec_lo, s17
	s_and_saveexec_b32 s17, s7
	s_cbranch_execnz .LBB1119_270
.LBB1119_211:
	s_or_b32 exec_lo, exec_lo, s17
	s_and_saveexec_b32 s17, s6
	s_cbranch_execnz .LBB1119_271
.LBB1119_212:
	s_or_b32 exec_lo, exec_lo, s17
	s_and_saveexec_b32 s17, s5
	s_cbranch_execnz .LBB1119_272
.LBB1119_213:
	s_or_b32 exec_lo, exec_lo, s17
	s_and_saveexec_b32 s17, s4
	s_cbranch_execnz .LBB1119_273
.LBB1119_214:
	s_or_b32 exec_lo, exec_lo, s17
	s_and_saveexec_b32 s17, s3
	s_cbranch_execnz .LBB1119_274
.LBB1119_215:
	s_or_b32 exec_lo, exec_lo, s17
	s_and_saveexec_b32 s17, s2
	s_cbranch_execnz .LBB1119_275
.LBB1119_216:
	s_or_b32 exec_lo, exec_lo, s17
	s_and_saveexec_b32 s17, s1
	s_cbranch_execz .LBB1119_218
.LBB1119_217:
	v_sub_nc_u32_e32 v14, v57, v4
	v_mov_b32_e32 v15, 0
	s_delay_alu instid0(VALU_DEP_1) | instskip(NEXT) | instid1(VALU_DEP_1)
	v_lshlrev_b64 v[14:15], 2, v[14:15]
	v_add_co_u32 v14, vcc_lo, v11, v14
	s_delay_alu instid0(VALU_DEP_2)
	v_add_co_ci_u32_e32 v15, vcc_lo, v12, v15, vcc_lo
	global_store_b32 v[14:15], v58, off
.LBB1119_218:
	s_or_b32 exec_lo, exec_lo, s17
	s_delay_alu instid0(SALU_CYCLE_1)
	s_and_b32 s17, s0, exec_lo
	s_and_not1_saveexec_b32 s15, s15
	s_cbranch_execz .LBB1119_154
.LBB1119_219:
	v_sub_nc_u32_e32 v14, v53, v4
	v_mov_b32_e32 v15, 0
	s_or_b32 s17, s17, exec_lo
	s_delay_alu instid0(VALU_DEP_1) | instskip(SKIP_1) | instid1(VALU_DEP_1)
	v_lshlrev_b64 v[16:17], 2, v[14:15]
	v_sub_nc_u32_e32 v14, v59, v4
	v_lshlrev_b64 v[18:19], 2, v[14:15]
	v_sub_nc_u32_e32 v14, v55, v4
	s_delay_alu instid0(VALU_DEP_4) | instskip(SKIP_1) | instid1(VALU_DEP_3)
	v_add_co_u32 v16, vcc_lo, v11, v16
	v_add_co_ci_u32_e32 v17, vcc_lo, v12, v17, vcc_lo
	v_lshlrev_b64 v[20:21], 2, v[14:15]
	v_sub_nc_u32_e32 v14, v51, v4
	v_add_co_u32 v18, vcc_lo, v11, v18
	v_add_co_ci_u32_e32 v19, vcc_lo, v12, v19, vcc_lo
	global_store_b32 v[16:17], v54, off
	v_lshlrev_b64 v[16:17], 2, v[14:15]
	v_sub_nc_u32_e32 v14, v45, v4
	global_store_b32 v[18:19], v60, off
	v_add_co_u32 v18, vcc_lo, v11, v20
	v_add_co_ci_u32_e32 v19, vcc_lo, v12, v21, vcc_lo
	v_lshlrev_b64 v[20:21], 2, v[14:15]
	v_sub_nc_u32_e32 v14, v41, v4
	v_add_co_u32 v16, vcc_lo, v11, v16
	v_add_co_ci_u32_e32 v17, vcc_lo, v12, v17, vcc_lo
	s_delay_alu instid0(VALU_DEP_3) | instskip(SKIP_3) | instid1(VALU_DEP_3)
	v_lshlrev_b64 v[25:26], 2, v[14:15]
	v_sub_nc_u32_e32 v14, v39, v4
	v_add_co_u32 v20, vcc_lo, v11, v20
	v_add_co_ci_u32_e32 v21, vcc_lo, v12, v21, vcc_lo
	v_lshlrev_b64 v[27:28], 2, v[14:15]
	v_sub_nc_u32_e32 v14, v43, v4
	v_add_co_u32 v25, vcc_lo, v11, v25
	v_add_co_ci_u32_e32 v26, vcc_lo, v12, v26, vcc_lo
	s_clause 0x3
	global_store_b32 v[18:19], v56, off
	global_store_b32 v[16:17], v52, off
	global_store_b32 v[20:21], v46, off
	global_store_b32 v[25:26], v42, off
	v_lshlrev_b64 v[16:17], 2, v[14:15]
	v_sub_nc_u32_e32 v14, v47, v4
	v_add_co_u32 v18, vcc_lo, v11, v27
	v_add_co_ci_u32_e32 v19, vcc_lo, v12, v28, vcc_lo
	s_delay_alu instid0(VALU_DEP_3) | instskip(SKIP_3) | instid1(VALU_DEP_3)
	v_lshlrev_b64 v[20:21], 2, v[14:15]
	v_sub_nc_u32_e32 v14, v5, v4
	v_add_co_u32 v16, vcc_lo, v11, v16
	v_add_co_ci_u32_e32 v17, vcc_lo, v12, v17, vcc_lo
	v_lshlrev_b64 v[25:26], 2, v[14:15]
	v_sub_nc_u32_e32 v14, v7, v4
	v_add_co_u32 v20, vcc_lo, v11, v20
	v_add_co_ci_u32_e32 v21, vcc_lo, v12, v21, vcc_lo
	s_delay_alu instid0(VALU_DEP_3)
	v_lshlrev_b64 v[27:28], 2, v[14:15]
	v_sub_nc_u32_e32 v14, v37, v4
	v_add_co_u32 v25, vcc_lo, v11, v25
	v_add_co_ci_u32_e32 v26, vcc_lo, v12, v26, vcc_lo
	s_clause 0x3
	global_store_b32 v[18:19], v40, off
	global_store_b32 v[16:17], v44, off
	;; [unrolled: 1-line block ×4, first 2 shown]
	v_lshlrev_b64 v[16:17], 2, v[14:15]
	v_sub_nc_u32_e32 v14, v61, v4
	v_add_co_u32 v18, vcc_lo, v11, v27
	v_add_co_ci_u32_e32 v19, vcc_lo, v12, v28, vcc_lo
	s_delay_alu instid0(VALU_DEP_3) | instskip(SKIP_3) | instid1(VALU_DEP_3)
	v_lshlrev_b64 v[20:21], 2, v[14:15]
	v_sub_nc_u32_e32 v14, v57, v4
	v_add_co_u32 v16, vcc_lo, v11, v16
	v_add_co_ci_u32_e32 v17, vcc_lo, v12, v17, vcc_lo
	v_lshlrev_b64 v[14:15], 2, v[14:15]
	v_add_co_u32 v20, vcc_lo, v11, v20
	v_add_co_ci_u32_e32 v21, vcc_lo, v12, v21, vcc_lo
	s_clause 0x2
	global_store_b32 v[18:19], v8, off
	global_store_b32 v[16:17], v38, off
	;; [unrolled: 1-line block ×3, first 2 shown]
	v_add_co_u32 v14, vcc_lo, v11, v14
	v_add_co_ci_u32_e32 v15, vcc_lo, v12, v15, vcc_lo
	global_store_b32 v[14:15], v58, off
	s_or_b32 exec_lo, exec_lo, s15
	s_delay_alu instid0(SALU_CYCLE_1)
	s_and_b32 exec_lo, exec_lo, s17
	s_cbranch_execnz .LBB1119_155
	s_branch .LBB1119_156
.LBB1119_220:
	s_and_saveexec_b32 s17, s14
	s_cbranch_execnz .LBB1119_276
; %bb.221:
	s_or_b32 exec_lo, exec_lo, s17
	s_and_saveexec_b32 s14, s13
	s_cbranch_execnz .LBB1119_277
.LBB1119_222:
	s_or_b32 exec_lo, exec_lo, s14
	s_and_saveexec_b32 s13, s12
	s_cbranch_execnz .LBB1119_278
.LBB1119_223:
	s_or_b32 exec_lo, exec_lo, s13
	s_and_saveexec_b32 s12, s11
	s_cbranch_execnz .LBB1119_279
.LBB1119_224:
	s_or_b32 exec_lo, exec_lo, s12
	s_and_saveexec_b32 s11, s10
	s_cbranch_execnz .LBB1119_280
.LBB1119_225:
	s_or_b32 exec_lo, exec_lo, s11
	s_and_saveexec_b32 s10, s9
	s_cbranch_execnz .LBB1119_281
.LBB1119_226:
	s_or_b32 exec_lo, exec_lo, s10
	s_and_saveexec_b32 s9, s8
	s_cbranch_execnz .LBB1119_282
.LBB1119_227:
	s_or_b32 exec_lo, exec_lo, s9
	s_and_saveexec_b32 s8, s7
	s_cbranch_execnz .LBB1119_283
.LBB1119_228:
	s_or_b32 exec_lo, exec_lo, s8
	s_and_saveexec_b32 s7, s6
	s_cbranch_execnz .LBB1119_284
.LBB1119_229:
	s_or_b32 exec_lo, exec_lo, s7
	s_and_saveexec_b32 s6, s5
	s_cbranch_execnz .LBB1119_285
.LBB1119_230:
	s_or_b32 exec_lo, exec_lo, s6
	s_and_saveexec_b32 s5, s4
	s_cbranch_execnz .LBB1119_286
.LBB1119_231:
	s_or_b32 exec_lo, exec_lo, s5
	s_and_saveexec_b32 s4, s3
	s_cbranch_execnz .LBB1119_287
.LBB1119_232:
	s_or_b32 exec_lo, exec_lo, s4
	s_and_saveexec_b32 s3, s2
	s_cbranch_execnz .LBB1119_288
.LBB1119_233:
	s_or_b32 exec_lo, exec_lo, s3
	s_and_saveexec_b32 s2, s1
	s_cbranch_execz .LBB1119_235
.LBB1119_234:
	v_sub_nc_u32_e32 v5, v57, v4
	s_delay_alu instid0(VALU_DEP_1)
	v_lshlrev_b32_e32 v5, 2, v5
	ds_store_b32 v5, v58
.LBB1119_235:
	s_or_b32 exec_lo, exec_lo, s2
	s_delay_alu instid0(SALU_CYCLE_1)
	s_and_b32 s17, s0, exec_lo
                                        ; implicit-def: $vgpr53_vgpr54
                                        ; implicit-def: $vgpr59_vgpr60
                                        ; implicit-def: $vgpr55_vgpr56
                                        ; implicit-def: $vgpr51_vgpr52
                                        ; implicit-def: $vgpr45_vgpr46
                                        ; implicit-def: $vgpr41_vgpr42
                                        ; implicit-def: $vgpr39_vgpr40
                                        ; implicit-def: $vgpr43_vgpr44
                                        ; implicit-def: $vgpr47_vgpr48
                                        ; implicit-def: $vgpr5_vgpr6
                                        ; implicit-def: $vgpr7_vgpr8
                                        ; implicit-def: $vgpr37_vgpr38
                                        ; implicit-def: $vgpr61_vgpr62
                                        ; implicit-def: $vgpr57_vgpr58
	s_and_not1_saveexec_b32 s0, s16
	s_cbranch_execz .LBB1119_160
.LBB1119_236:
	v_sub_nc_u32_e32 v13, v53, v4
	v_sub_nc_u32_e32 v14, v59, v4
	;; [unrolled: 1-line block ×5, first 2 shown]
	v_lshlrev_b32_e32 v13, 2, v13
	v_lshlrev_b32_e32 v14, 2, v14
	;; [unrolled: 1-line block ×4, first 2 shown]
	v_sub_nc_u32_e32 v5, v5, v4
	ds_store_b32 v13, v54
	ds_store_b32 v14, v60
	;; [unrolled: 1-line block ×3, first 2 shown]
	v_sub_nc_u32_e32 v13, v45, v4
	v_sub_nc_u32_e32 v14, v41, v4
	;; [unrolled: 1-line block ×3, first 2 shown]
	ds_store_b32 v16, v52
	v_sub_nc_u32_e32 v16, v43, v4
	v_lshlrev_b32_e32 v13, 2, v13
	v_lshlrev_b32_e32 v14, 2, v14
	;; [unrolled: 1-line block ×3, first 2 shown]
	v_sub_nc_u32_e32 v7, v7, v4
	v_lshlrev_b32_e32 v16, 2, v16
	ds_store_b32 v13, v46
	v_lshlrev_b32_e32 v13, 2, v17
	ds_store_b32 v14, v42
	ds_store_b32 v15, v40
	;; [unrolled: 1-line block ×3, first 2 shown]
	v_lshlrev_b32_e32 v5, 2, v5
	v_sub_nc_u32_e32 v15, v57, v4
	v_sub_nc_u32_e32 v14, v61, v4
	ds_store_b32 v13, v48
	v_sub_nc_u32_e32 v13, v37, v4
	v_lshlrev_b32_e32 v7, 2, v7
	ds_store_b32 v5, v6
	v_lshlrev_b32_e32 v5, 2, v15
	v_lshlrev_b32_e32 v14, 2, v14
	;; [unrolled: 1-line block ×3, first 2 shown]
	s_or_b32 s17, s17, exec_lo
	ds_store_b32 v7, v8
	ds_store_b32 v13, v38
	ds_store_b32 v14, v62
	ds_store_b32 v5, v58
	s_or_b32 exec_lo, exec_lo, s0
	s_delay_alu instid0(SALU_CYCLE_1)
	s_and_b32 exec_lo, exec_lo, s17
	s_cbranch_execnz .LBB1119_161
	s_branch .LBB1119_162
.LBB1119_237:
	v_sub_nc_u32_e32 v30, v53, v3
	v_mov_b32_e32 v31, 0
	s_delay_alu instid0(VALU_DEP_1) | instskip(NEXT) | instid1(VALU_DEP_1)
	v_lshlrev_b64 v[30:31], 2, v[30:31]
	v_add_co_u32 v30, vcc_lo, v2, v30
	s_delay_alu instid0(VALU_DEP_2)
	v_add_co_ci_u32_e32 v31, vcc_lo, v4, v31, vcc_lo
	global_store_b32 v[30:31], v21, off
	s_or_b32 exec_lo, exec_lo, s17
	s_and_saveexec_b32 s17, s13
	s_cbranch_execz .LBB1119_171
.LBB1119_238:
	v_sub_nc_u32_e32 v30, v59, v3
	v_mov_b32_e32 v31, 0
	s_delay_alu instid0(VALU_DEP_1) | instskip(NEXT) | instid1(VALU_DEP_1)
	v_lshlrev_b64 v[30:31], 2, v[30:31]
	v_add_co_u32 v30, vcc_lo, v2, v30
	s_delay_alu instid0(VALU_DEP_2)
	v_add_co_ci_u32_e32 v31, vcc_lo, v4, v31, vcc_lo
	global_store_b32 v[30:31], v22, off
	s_or_b32 exec_lo, exec_lo, s17
	s_and_saveexec_b32 s17, s12
	s_cbranch_execz .LBB1119_172
.LBB1119_239:
	v_sub_nc_u32_e32 v30, v55, v3
	v_mov_b32_e32 v31, 0
	s_delay_alu instid0(VALU_DEP_1) | instskip(NEXT) | instid1(VALU_DEP_1)
	v_lshlrev_b64 v[30:31], 2, v[30:31]
	v_add_co_u32 v30, vcc_lo, v2, v30
	s_delay_alu instid0(VALU_DEP_2)
	v_add_co_ci_u32_e32 v31, vcc_lo, v4, v31, vcc_lo
	global_store_b32 v[30:31], v19, off
	s_or_b32 exec_lo, exec_lo, s17
	s_and_saveexec_b32 s17, s11
	s_cbranch_execz .LBB1119_173
.LBB1119_240:
	v_sub_nc_u32_e32 v30, v51, v3
	v_mov_b32_e32 v31, 0
	s_delay_alu instid0(VALU_DEP_1) | instskip(NEXT) | instid1(VALU_DEP_1)
	v_lshlrev_b64 v[30:31], 2, v[30:31]
	v_add_co_u32 v30, vcc_lo, v2, v30
	s_delay_alu instid0(VALU_DEP_2)
	v_add_co_ci_u32_e32 v31, vcc_lo, v4, v31, vcc_lo
	global_store_b32 v[30:31], v20, off
	s_or_b32 exec_lo, exec_lo, s17
	s_and_saveexec_b32 s17, s10
	s_cbranch_execz .LBB1119_174
.LBB1119_241:
	v_sub_nc_u32_e32 v30, v45, v3
	v_mov_b32_e32 v31, 0
	s_delay_alu instid0(VALU_DEP_1) | instskip(NEXT) | instid1(VALU_DEP_1)
	v_lshlrev_b64 v[30:31], 2, v[30:31]
	v_add_co_u32 v30, vcc_lo, v2, v30
	s_delay_alu instid0(VALU_DEP_2)
	v_add_co_ci_u32_e32 v31, vcc_lo, v4, v31, vcc_lo
	global_store_b32 v[30:31], v17, off
	s_or_b32 exec_lo, exec_lo, s17
	s_and_saveexec_b32 s17, s9
	s_cbranch_execz .LBB1119_175
.LBB1119_242:
	v_sub_nc_u32_e32 v30, v41, v3
	v_mov_b32_e32 v31, 0
	s_delay_alu instid0(VALU_DEP_1) | instskip(NEXT) | instid1(VALU_DEP_1)
	v_lshlrev_b64 v[30:31], 2, v[30:31]
	v_add_co_u32 v30, vcc_lo, v2, v30
	s_delay_alu instid0(VALU_DEP_2)
	v_add_co_ci_u32_e32 v31, vcc_lo, v4, v31, vcc_lo
	global_store_b32 v[30:31], v18, off
	s_or_b32 exec_lo, exec_lo, s17
	s_and_saveexec_b32 s17, s7
	s_cbranch_execz .LBB1119_176
.LBB1119_243:
	v_sub_nc_u32_e32 v30, v39, v3
	v_mov_b32_e32 v31, 0
	s_delay_alu instid0(VALU_DEP_1) | instskip(NEXT) | instid1(VALU_DEP_1)
	v_lshlrev_b64 v[30:31], 2, v[30:31]
	v_add_co_u32 v30, vcc_lo, v2, v30
	s_delay_alu instid0(VALU_DEP_2)
	v_add_co_ci_u32_e32 v31, vcc_lo, v4, v31, vcc_lo
	global_store_b32 v[30:31], v15, off
	s_or_b32 exec_lo, exec_lo, s17
	s_and_saveexec_b32 s17, s5
	s_cbranch_execz .LBB1119_177
.LBB1119_244:
	v_sub_nc_u32_e32 v30, v43, v3
	v_mov_b32_e32 v31, 0
	s_delay_alu instid0(VALU_DEP_1) | instskip(NEXT) | instid1(VALU_DEP_1)
	v_lshlrev_b64 v[30:31], 2, v[30:31]
	v_add_co_u32 v30, vcc_lo, v2, v30
	s_delay_alu instid0(VALU_DEP_2)
	v_add_co_ci_u32_e32 v31, vcc_lo, v4, v31, vcc_lo
	global_store_b32 v[30:31], v16, off
	s_or_b32 exec_lo, exec_lo, s17
	s_and_saveexec_b32 s17, s8
	s_cbranch_execz .LBB1119_178
.LBB1119_245:
	v_sub_nc_u32_e32 v30, v47, v3
	v_mov_b32_e32 v31, 0
	s_delay_alu instid0(VALU_DEP_1) | instskip(NEXT) | instid1(VALU_DEP_1)
	v_lshlrev_b64 v[30:31], 2, v[30:31]
	v_add_co_u32 v30, vcc_lo, v2, v30
	s_delay_alu instid0(VALU_DEP_2)
	v_add_co_ci_u32_e32 v31, vcc_lo, v4, v31, vcc_lo
	global_store_b32 v[30:31], v13, off
	s_or_b32 exec_lo, exec_lo, s17
	s_and_saveexec_b32 s17, s6
	s_cbranch_execz .LBB1119_179
.LBB1119_246:
	v_sub_nc_u32_e32 v30, v5, v3
	v_mov_b32_e32 v31, 0
	s_delay_alu instid0(VALU_DEP_1) | instskip(NEXT) | instid1(VALU_DEP_1)
	v_lshlrev_b64 v[30:31], 2, v[30:31]
	v_add_co_u32 v30, vcc_lo, v2, v30
	s_delay_alu instid0(VALU_DEP_2)
	v_add_co_ci_u32_e32 v31, vcc_lo, v4, v31, vcc_lo
	global_store_b32 v[30:31], v14, off
	s_or_b32 exec_lo, exec_lo, s17
	s_and_saveexec_b32 s17, s4
	s_cbranch_execz .LBB1119_180
.LBB1119_247:
	v_sub_nc_u32_e32 v30, v7, v3
	v_mov_b32_e32 v31, 0
	s_delay_alu instid0(VALU_DEP_1) | instskip(NEXT) | instid1(VALU_DEP_1)
	v_lshlrev_b64 v[30:31], 2, v[30:31]
	v_add_co_u32 v30, vcc_lo, v2, v30
	s_delay_alu instid0(VALU_DEP_2)
	v_add_co_ci_u32_e32 v31, vcc_lo, v4, v31, vcc_lo
	global_store_b32 v[30:31], v11, off
	s_or_b32 exec_lo, exec_lo, s17
	s_and_saveexec_b32 s17, s3
	s_cbranch_execz .LBB1119_181
.LBB1119_248:
	v_sub_nc_u32_e32 v30, v37, v3
	v_mov_b32_e32 v31, 0
	s_delay_alu instid0(VALU_DEP_1) | instskip(NEXT) | instid1(VALU_DEP_1)
	v_lshlrev_b64 v[30:31], 2, v[30:31]
	v_add_co_u32 v30, vcc_lo, v2, v30
	s_delay_alu instid0(VALU_DEP_2)
	v_add_co_ci_u32_e32 v31, vcc_lo, v4, v31, vcc_lo
	global_store_b32 v[30:31], v12, off
	s_or_b32 exec_lo, exec_lo, s17
	s_and_saveexec_b32 s17, s2
	s_cbranch_execz .LBB1119_182
.LBB1119_249:
	v_sub_nc_u32_e32 v30, v61, v3
	v_mov_b32_e32 v31, 0
	s_delay_alu instid0(VALU_DEP_1) | instskip(NEXT) | instid1(VALU_DEP_1)
	v_lshlrev_b64 v[30:31], 2, v[30:31]
	v_add_co_u32 v30, vcc_lo, v2, v30
	s_delay_alu instid0(VALU_DEP_2)
	v_add_co_ci_u32_e32 v31, vcc_lo, v4, v31, vcc_lo
	global_store_b32 v[30:31], v9, off
	s_or_b32 exec_lo, exec_lo, s17
	s_and_saveexec_b32 s17, s1
	s_cbranch_execnz .LBB1119_183
	s_branch .LBB1119_184
.LBB1119_250:
	v_sub_nc_u32_e32 v29, v53, v3
	s_delay_alu instid0(VALU_DEP_1)
	v_lshlrev_b32_e32 v29, 2, v29
	ds_store_b32 v29, v21
	s_or_b32 exec_lo, exec_lo, s17
	s_and_saveexec_b32 s14, s13
	s_cbranch_execz .LBB1119_188
.LBB1119_251:
	v_sub_nc_u32_e32 v21, v59, v3
	s_delay_alu instid0(VALU_DEP_1)
	v_lshlrev_b32_e32 v21, 2, v21
	ds_store_b32 v21, v22
	s_or_b32 exec_lo, exec_lo, s14
	s_and_saveexec_b32 s13, s12
	s_cbranch_execz .LBB1119_189
.LBB1119_252:
	v_sub_nc_u32_e32 v21, v55, v3
	s_delay_alu instid0(VALU_DEP_1)
	v_lshlrev_b32_e32 v21, 2, v21
	ds_store_b32 v21, v19
	s_or_b32 exec_lo, exec_lo, s13
	s_and_saveexec_b32 s12, s11
	s_cbranch_execz .LBB1119_190
.LBB1119_253:
	v_sub_nc_u32_e32 v19, v51, v3
	s_delay_alu instid0(VALU_DEP_1)
	v_lshlrev_b32_e32 v19, 2, v19
	ds_store_b32 v19, v20
	s_or_b32 exec_lo, exec_lo, s12
	s_and_saveexec_b32 s11, s10
	s_cbranch_execz .LBB1119_191
.LBB1119_254:
	v_sub_nc_u32_e32 v19, v45, v3
	s_delay_alu instid0(VALU_DEP_1)
	v_lshlrev_b32_e32 v19, 2, v19
	ds_store_b32 v19, v17
	s_or_b32 exec_lo, exec_lo, s11
	s_and_saveexec_b32 s10, s9
	s_cbranch_execz .LBB1119_192
.LBB1119_255:
	v_sub_nc_u32_e32 v17, v41, v3
	s_delay_alu instid0(VALU_DEP_1)
	v_lshlrev_b32_e32 v17, 2, v17
	ds_store_b32 v17, v18
	s_or_b32 exec_lo, exec_lo, s10
	s_and_saveexec_b32 s9, s7
	s_cbranch_execz .LBB1119_193
.LBB1119_256:
	v_sub_nc_u32_e32 v17, v39, v3
	s_delay_alu instid0(VALU_DEP_1)
	v_lshlrev_b32_e32 v17, 2, v17
	ds_store_b32 v17, v15
	s_or_b32 exec_lo, exec_lo, s9
	s_and_saveexec_b32 s7, s5
	s_cbranch_execz .LBB1119_194
.LBB1119_257:
	v_sub_nc_u32_e32 v15, v43, v3
	s_delay_alu instid0(VALU_DEP_1)
	v_lshlrev_b32_e32 v15, 2, v15
	ds_store_b32 v15, v16
	s_or_b32 exec_lo, exec_lo, s7
	s_and_saveexec_b32 s5, s8
	s_cbranch_execz .LBB1119_195
.LBB1119_258:
	v_sub_nc_u32_e32 v15, v47, v3
	s_delay_alu instid0(VALU_DEP_1)
	v_lshlrev_b32_e32 v15, 2, v15
	ds_store_b32 v15, v13
	s_or_b32 exec_lo, exec_lo, s5
	s_and_saveexec_b32 s5, s6
	s_cbranch_execz .LBB1119_196
.LBB1119_259:
	v_sub_nc_u32_e32 v13, v5, v3
	s_delay_alu instid0(VALU_DEP_1)
	v_lshlrev_b32_e32 v13, 2, v13
	ds_store_b32 v13, v14
	s_or_b32 exec_lo, exec_lo, s5
	s_and_saveexec_b32 s5, s4
	s_cbranch_execz .LBB1119_197
.LBB1119_260:
	v_sub_nc_u32_e32 v13, v7, v3
	s_delay_alu instid0(VALU_DEP_1)
	v_lshlrev_b32_e32 v13, 2, v13
	ds_store_b32 v13, v11
	s_or_b32 exec_lo, exec_lo, s5
	s_and_saveexec_b32 s4, s3
	s_cbranch_execz .LBB1119_198
.LBB1119_261:
	v_sub_nc_u32_e32 v11, v37, v3
	s_delay_alu instid0(VALU_DEP_1)
	v_lshlrev_b32_e32 v11, 2, v11
	ds_store_b32 v11, v12
	s_or_b32 exec_lo, exec_lo, s4
	s_and_saveexec_b32 s3, s2
	s_cbranch_execz .LBB1119_199
.LBB1119_262:
	v_sub_nc_u32_e32 v11, v61, v3
	s_delay_alu instid0(VALU_DEP_1)
	v_lshlrev_b32_e32 v11, 2, v11
	ds_store_b32 v11, v9
	s_or_b32 exec_lo, exec_lo, s3
	s_and_saveexec_b32 s2, s1
	s_cbranch_execnz .LBB1119_200
	s_branch .LBB1119_201
.LBB1119_263:
	v_sub_nc_u32_e32 v14, v53, v4
	v_mov_b32_e32 v15, 0
	s_delay_alu instid0(VALU_DEP_1) | instskip(NEXT) | instid1(VALU_DEP_1)
	v_lshlrev_b64 v[14:15], 2, v[14:15]
	v_add_co_u32 v14, vcc_lo, v11, v14
	s_delay_alu instid0(VALU_DEP_2)
	v_add_co_ci_u32_e32 v15, vcc_lo, v12, v15, vcc_lo
	global_store_b32 v[14:15], v54, off
	s_or_b32 exec_lo, exec_lo, s17
	s_and_saveexec_b32 s17, s13
	s_cbranch_execz .LBB1119_205
.LBB1119_264:
	v_sub_nc_u32_e32 v14, v59, v4
	v_mov_b32_e32 v15, 0
	s_delay_alu instid0(VALU_DEP_1) | instskip(NEXT) | instid1(VALU_DEP_1)
	v_lshlrev_b64 v[14:15], 2, v[14:15]
	v_add_co_u32 v14, vcc_lo, v11, v14
	s_delay_alu instid0(VALU_DEP_2)
	v_add_co_ci_u32_e32 v15, vcc_lo, v12, v15, vcc_lo
	global_store_b32 v[14:15], v60, off
	s_or_b32 exec_lo, exec_lo, s17
	s_and_saveexec_b32 s17, s12
	s_cbranch_execz .LBB1119_206
.LBB1119_265:
	v_sub_nc_u32_e32 v14, v55, v4
	v_mov_b32_e32 v15, 0
	s_delay_alu instid0(VALU_DEP_1) | instskip(NEXT) | instid1(VALU_DEP_1)
	v_lshlrev_b64 v[14:15], 2, v[14:15]
	v_add_co_u32 v14, vcc_lo, v11, v14
	s_delay_alu instid0(VALU_DEP_2)
	v_add_co_ci_u32_e32 v15, vcc_lo, v12, v15, vcc_lo
	global_store_b32 v[14:15], v56, off
	s_or_b32 exec_lo, exec_lo, s17
	s_and_saveexec_b32 s17, s11
	s_cbranch_execz .LBB1119_207
.LBB1119_266:
	v_sub_nc_u32_e32 v14, v51, v4
	v_mov_b32_e32 v15, 0
	s_delay_alu instid0(VALU_DEP_1) | instskip(NEXT) | instid1(VALU_DEP_1)
	v_lshlrev_b64 v[14:15], 2, v[14:15]
	v_add_co_u32 v14, vcc_lo, v11, v14
	s_delay_alu instid0(VALU_DEP_2)
	v_add_co_ci_u32_e32 v15, vcc_lo, v12, v15, vcc_lo
	global_store_b32 v[14:15], v52, off
	s_or_b32 exec_lo, exec_lo, s17
	s_and_saveexec_b32 s17, s10
	s_cbranch_execz .LBB1119_208
.LBB1119_267:
	v_sub_nc_u32_e32 v14, v45, v4
	v_mov_b32_e32 v15, 0
	s_delay_alu instid0(VALU_DEP_1) | instskip(NEXT) | instid1(VALU_DEP_1)
	v_lshlrev_b64 v[14:15], 2, v[14:15]
	v_add_co_u32 v14, vcc_lo, v11, v14
	s_delay_alu instid0(VALU_DEP_2)
	v_add_co_ci_u32_e32 v15, vcc_lo, v12, v15, vcc_lo
	global_store_b32 v[14:15], v46, off
	s_or_b32 exec_lo, exec_lo, s17
	s_and_saveexec_b32 s17, s9
	s_cbranch_execz .LBB1119_209
.LBB1119_268:
	v_sub_nc_u32_e32 v14, v41, v4
	v_mov_b32_e32 v15, 0
	s_delay_alu instid0(VALU_DEP_1) | instskip(NEXT) | instid1(VALU_DEP_1)
	v_lshlrev_b64 v[14:15], 2, v[14:15]
	v_add_co_u32 v14, vcc_lo, v11, v14
	s_delay_alu instid0(VALU_DEP_2)
	v_add_co_ci_u32_e32 v15, vcc_lo, v12, v15, vcc_lo
	global_store_b32 v[14:15], v42, off
	s_or_b32 exec_lo, exec_lo, s17
	s_and_saveexec_b32 s17, s8
	s_cbranch_execz .LBB1119_210
.LBB1119_269:
	v_sub_nc_u32_e32 v14, v39, v4
	v_mov_b32_e32 v15, 0
	s_delay_alu instid0(VALU_DEP_1) | instskip(NEXT) | instid1(VALU_DEP_1)
	v_lshlrev_b64 v[14:15], 2, v[14:15]
	v_add_co_u32 v14, vcc_lo, v11, v14
	s_delay_alu instid0(VALU_DEP_2)
	v_add_co_ci_u32_e32 v15, vcc_lo, v12, v15, vcc_lo
	global_store_b32 v[14:15], v40, off
	s_or_b32 exec_lo, exec_lo, s17
	s_and_saveexec_b32 s17, s7
	s_cbranch_execz .LBB1119_211
.LBB1119_270:
	v_sub_nc_u32_e32 v14, v43, v4
	v_mov_b32_e32 v15, 0
	s_delay_alu instid0(VALU_DEP_1) | instskip(NEXT) | instid1(VALU_DEP_1)
	v_lshlrev_b64 v[14:15], 2, v[14:15]
	v_add_co_u32 v14, vcc_lo, v11, v14
	s_delay_alu instid0(VALU_DEP_2)
	v_add_co_ci_u32_e32 v15, vcc_lo, v12, v15, vcc_lo
	global_store_b32 v[14:15], v44, off
	s_or_b32 exec_lo, exec_lo, s17
	s_and_saveexec_b32 s17, s6
	s_cbranch_execz .LBB1119_212
.LBB1119_271:
	v_sub_nc_u32_e32 v14, v47, v4
	v_mov_b32_e32 v15, 0
	s_delay_alu instid0(VALU_DEP_1) | instskip(NEXT) | instid1(VALU_DEP_1)
	v_lshlrev_b64 v[14:15], 2, v[14:15]
	v_add_co_u32 v14, vcc_lo, v11, v14
	s_delay_alu instid0(VALU_DEP_2)
	v_add_co_ci_u32_e32 v15, vcc_lo, v12, v15, vcc_lo
	global_store_b32 v[14:15], v48, off
	s_or_b32 exec_lo, exec_lo, s17
	s_and_saveexec_b32 s17, s5
	s_cbranch_execz .LBB1119_213
.LBB1119_272:
	v_sub_nc_u32_e32 v14, v5, v4
	v_mov_b32_e32 v15, 0
	s_delay_alu instid0(VALU_DEP_1) | instskip(NEXT) | instid1(VALU_DEP_1)
	v_lshlrev_b64 v[14:15], 2, v[14:15]
	v_add_co_u32 v14, vcc_lo, v11, v14
	s_delay_alu instid0(VALU_DEP_2)
	v_add_co_ci_u32_e32 v15, vcc_lo, v12, v15, vcc_lo
	global_store_b32 v[14:15], v6, off
	s_or_b32 exec_lo, exec_lo, s17
	s_and_saveexec_b32 s17, s4
	s_cbranch_execz .LBB1119_214
.LBB1119_273:
	v_sub_nc_u32_e32 v14, v7, v4
	v_mov_b32_e32 v15, 0
	s_delay_alu instid0(VALU_DEP_1) | instskip(NEXT) | instid1(VALU_DEP_1)
	v_lshlrev_b64 v[14:15], 2, v[14:15]
	v_add_co_u32 v14, vcc_lo, v11, v14
	s_delay_alu instid0(VALU_DEP_2)
	v_add_co_ci_u32_e32 v15, vcc_lo, v12, v15, vcc_lo
	global_store_b32 v[14:15], v8, off
	s_or_b32 exec_lo, exec_lo, s17
	s_and_saveexec_b32 s17, s3
	s_cbranch_execz .LBB1119_215
.LBB1119_274:
	v_sub_nc_u32_e32 v14, v37, v4
	v_mov_b32_e32 v15, 0
	s_delay_alu instid0(VALU_DEP_1) | instskip(NEXT) | instid1(VALU_DEP_1)
	v_lshlrev_b64 v[14:15], 2, v[14:15]
	v_add_co_u32 v14, vcc_lo, v11, v14
	s_delay_alu instid0(VALU_DEP_2)
	v_add_co_ci_u32_e32 v15, vcc_lo, v12, v15, vcc_lo
	global_store_b32 v[14:15], v38, off
	s_or_b32 exec_lo, exec_lo, s17
	s_and_saveexec_b32 s17, s2
	s_cbranch_execz .LBB1119_216
.LBB1119_275:
	v_sub_nc_u32_e32 v14, v61, v4
	v_mov_b32_e32 v15, 0
	s_delay_alu instid0(VALU_DEP_1) | instskip(NEXT) | instid1(VALU_DEP_1)
	v_lshlrev_b64 v[14:15], 2, v[14:15]
	v_add_co_u32 v14, vcc_lo, v11, v14
	s_delay_alu instid0(VALU_DEP_2)
	v_add_co_ci_u32_e32 v15, vcc_lo, v12, v15, vcc_lo
	global_store_b32 v[14:15], v62, off
	s_or_b32 exec_lo, exec_lo, s17
	s_and_saveexec_b32 s17, s1
	s_cbranch_execnz .LBB1119_217
	s_branch .LBB1119_218
.LBB1119_276:
	v_sub_nc_u32_e32 v13, v53, v4
	s_delay_alu instid0(VALU_DEP_1)
	v_lshlrev_b32_e32 v13, 2, v13
	ds_store_b32 v13, v54
	s_or_b32 exec_lo, exec_lo, s17
	s_and_saveexec_b32 s14, s13
	s_cbranch_execz .LBB1119_222
.LBB1119_277:
	v_sub_nc_u32_e32 v13, v59, v4
	s_delay_alu instid0(VALU_DEP_1)
	v_lshlrev_b32_e32 v13, 2, v13
	ds_store_b32 v13, v60
	s_or_b32 exec_lo, exec_lo, s14
	s_and_saveexec_b32 s13, s12
	s_cbranch_execz .LBB1119_223
.LBB1119_278:
	v_sub_nc_u32_e32 v13, v55, v4
	s_delay_alu instid0(VALU_DEP_1)
	v_lshlrev_b32_e32 v13, 2, v13
	ds_store_b32 v13, v56
	s_or_b32 exec_lo, exec_lo, s13
	s_and_saveexec_b32 s12, s11
	s_cbranch_execz .LBB1119_224
.LBB1119_279:
	v_sub_nc_u32_e32 v13, v51, v4
	s_delay_alu instid0(VALU_DEP_1)
	v_lshlrev_b32_e32 v13, 2, v13
	ds_store_b32 v13, v52
	s_or_b32 exec_lo, exec_lo, s12
	s_and_saveexec_b32 s11, s10
	s_cbranch_execz .LBB1119_225
.LBB1119_280:
	v_sub_nc_u32_e32 v13, v45, v4
	s_delay_alu instid0(VALU_DEP_1)
	v_lshlrev_b32_e32 v13, 2, v13
	ds_store_b32 v13, v46
	s_or_b32 exec_lo, exec_lo, s11
	s_and_saveexec_b32 s10, s9
	s_cbranch_execz .LBB1119_226
.LBB1119_281:
	v_sub_nc_u32_e32 v13, v41, v4
	s_delay_alu instid0(VALU_DEP_1)
	v_lshlrev_b32_e32 v13, 2, v13
	ds_store_b32 v13, v42
	s_or_b32 exec_lo, exec_lo, s10
	s_and_saveexec_b32 s9, s8
	s_cbranch_execz .LBB1119_227
.LBB1119_282:
	v_sub_nc_u32_e32 v13, v39, v4
	s_delay_alu instid0(VALU_DEP_1)
	v_lshlrev_b32_e32 v13, 2, v13
	ds_store_b32 v13, v40
	s_or_b32 exec_lo, exec_lo, s9
	s_and_saveexec_b32 s8, s7
	s_cbranch_execz .LBB1119_228
.LBB1119_283:
	v_sub_nc_u32_e32 v13, v43, v4
	s_delay_alu instid0(VALU_DEP_1)
	v_lshlrev_b32_e32 v13, 2, v13
	ds_store_b32 v13, v44
	s_or_b32 exec_lo, exec_lo, s8
	s_and_saveexec_b32 s7, s6
	s_cbranch_execz .LBB1119_229
.LBB1119_284:
	v_sub_nc_u32_e32 v13, v47, v4
	s_delay_alu instid0(VALU_DEP_1)
	v_lshlrev_b32_e32 v13, 2, v13
	ds_store_b32 v13, v48
	s_or_b32 exec_lo, exec_lo, s7
	s_and_saveexec_b32 s6, s5
	s_cbranch_execz .LBB1119_230
.LBB1119_285:
	v_sub_nc_u32_e32 v5, v5, v4
	s_delay_alu instid0(VALU_DEP_1)
	v_lshlrev_b32_e32 v5, 2, v5
	ds_store_b32 v5, v6
	s_or_b32 exec_lo, exec_lo, s6
	s_and_saveexec_b32 s5, s4
	s_cbranch_execz .LBB1119_231
.LBB1119_286:
	v_sub_nc_u32_e32 v5, v7, v4
	s_delay_alu instid0(VALU_DEP_1)
	v_lshlrev_b32_e32 v5, 2, v5
	ds_store_b32 v5, v8
	s_or_b32 exec_lo, exec_lo, s5
	s_and_saveexec_b32 s4, s3
	s_cbranch_execz .LBB1119_232
.LBB1119_287:
	v_sub_nc_u32_e32 v5, v37, v4
	s_delay_alu instid0(VALU_DEP_1)
	v_lshlrev_b32_e32 v5, 2, v5
	ds_store_b32 v5, v38
	s_or_b32 exec_lo, exec_lo, s4
	s_and_saveexec_b32 s3, s2
	s_cbranch_execz .LBB1119_233
.LBB1119_288:
	v_sub_nc_u32_e32 v5, v61, v4
	s_delay_alu instid0(VALU_DEP_1)
	v_lshlrev_b32_e32 v5, 2, v5
	ds_store_b32 v5, v62
	s_or_b32 exec_lo, exec_lo, s3
	s_and_saveexec_b32 s2, s1
	s_cbranch_execnz .LBB1119_234
	s_branch .LBB1119_235
	.section	.rodata,"a",@progbits
	.p2align	6, 0x0
	.amdhsa_kernel _ZN7rocprim17ROCPRIM_400000_NS6detail17trampoline_kernelINS0_14default_configENS1_29reduce_by_key_config_selectorIiiN6thrust23THRUST_200600_302600_NS4plusIiEEEEZZNS1_33reduce_by_key_impl_wrapped_configILNS1_25lookback_scan_determinismE0ES3_S9_NS6_10device_ptrIiEESD_SD_SD_PmS8_NS6_8equal_toIiEEEE10hipError_tPvRmT2_T3_mT4_T5_T6_T7_T8_P12ihipStream_tbENKUlT_T0_E_clISt17integral_constantIbLb1EESX_IbLb0EEEEDaST_SU_EUlST_E_NS1_11comp_targetILNS1_3genE9ELNS1_11target_archE1100ELNS1_3gpuE3ELNS1_3repE0EEENS1_30default_config_static_selectorELNS0_4arch9wavefront6targetE0EEEvT1_
		.amdhsa_group_segment_fixed_size 15360
		.amdhsa_private_segment_fixed_size 0
		.amdhsa_kernarg_size 120
		.amdhsa_user_sgpr_count 15
		.amdhsa_user_sgpr_dispatch_ptr 0
		.amdhsa_user_sgpr_queue_ptr 0
		.amdhsa_user_sgpr_kernarg_segment_ptr 1
		.amdhsa_user_sgpr_dispatch_id 0
		.amdhsa_user_sgpr_private_segment_size 0
		.amdhsa_wavefront_size32 1
		.amdhsa_uses_dynamic_stack 0
		.amdhsa_enable_private_segment 0
		.amdhsa_system_sgpr_workgroup_id_x 1
		.amdhsa_system_sgpr_workgroup_id_y 0
		.amdhsa_system_sgpr_workgroup_id_z 0
		.amdhsa_system_sgpr_workgroup_info 0
		.amdhsa_system_vgpr_workitem_id 0
		.amdhsa_next_free_vgpr 87
		.amdhsa_next_free_sgpr 48
		.amdhsa_reserve_vcc 1
		.amdhsa_float_round_mode_32 0
		.amdhsa_float_round_mode_16_64 0
		.amdhsa_float_denorm_mode_32 3
		.amdhsa_float_denorm_mode_16_64 3
		.amdhsa_dx10_clamp 1
		.amdhsa_ieee_mode 1
		.amdhsa_fp16_overflow 0
		.amdhsa_workgroup_processor_mode 1
		.amdhsa_memory_ordered 1
		.amdhsa_forward_progress 0
		.amdhsa_shared_vgpr_count 0
		.amdhsa_exception_fp_ieee_invalid_op 0
		.amdhsa_exception_fp_denorm_src 0
		.amdhsa_exception_fp_ieee_div_zero 0
		.amdhsa_exception_fp_ieee_overflow 0
		.amdhsa_exception_fp_ieee_underflow 0
		.amdhsa_exception_fp_ieee_inexact 0
		.amdhsa_exception_int_div_zero 0
	.end_amdhsa_kernel
	.section	.text._ZN7rocprim17ROCPRIM_400000_NS6detail17trampoline_kernelINS0_14default_configENS1_29reduce_by_key_config_selectorIiiN6thrust23THRUST_200600_302600_NS4plusIiEEEEZZNS1_33reduce_by_key_impl_wrapped_configILNS1_25lookback_scan_determinismE0ES3_S9_NS6_10device_ptrIiEESD_SD_SD_PmS8_NS6_8equal_toIiEEEE10hipError_tPvRmT2_T3_mT4_T5_T6_T7_T8_P12ihipStream_tbENKUlT_T0_E_clISt17integral_constantIbLb1EESX_IbLb0EEEEDaST_SU_EUlST_E_NS1_11comp_targetILNS1_3genE9ELNS1_11target_archE1100ELNS1_3gpuE3ELNS1_3repE0EEENS1_30default_config_static_selectorELNS0_4arch9wavefront6targetE0EEEvT1_,"axG",@progbits,_ZN7rocprim17ROCPRIM_400000_NS6detail17trampoline_kernelINS0_14default_configENS1_29reduce_by_key_config_selectorIiiN6thrust23THRUST_200600_302600_NS4plusIiEEEEZZNS1_33reduce_by_key_impl_wrapped_configILNS1_25lookback_scan_determinismE0ES3_S9_NS6_10device_ptrIiEESD_SD_SD_PmS8_NS6_8equal_toIiEEEE10hipError_tPvRmT2_T3_mT4_T5_T6_T7_T8_P12ihipStream_tbENKUlT_T0_E_clISt17integral_constantIbLb1EESX_IbLb0EEEEDaST_SU_EUlST_E_NS1_11comp_targetILNS1_3genE9ELNS1_11target_archE1100ELNS1_3gpuE3ELNS1_3repE0EEENS1_30default_config_static_selectorELNS0_4arch9wavefront6targetE0EEEvT1_,comdat
.Lfunc_end1119:
	.size	_ZN7rocprim17ROCPRIM_400000_NS6detail17trampoline_kernelINS0_14default_configENS1_29reduce_by_key_config_selectorIiiN6thrust23THRUST_200600_302600_NS4plusIiEEEEZZNS1_33reduce_by_key_impl_wrapped_configILNS1_25lookback_scan_determinismE0ES3_S9_NS6_10device_ptrIiEESD_SD_SD_PmS8_NS6_8equal_toIiEEEE10hipError_tPvRmT2_T3_mT4_T5_T6_T7_T8_P12ihipStream_tbENKUlT_T0_E_clISt17integral_constantIbLb1EESX_IbLb0EEEEDaST_SU_EUlST_E_NS1_11comp_targetILNS1_3genE9ELNS1_11target_archE1100ELNS1_3gpuE3ELNS1_3repE0EEENS1_30default_config_static_selectorELNS0_4arch9wavefront6targetE0EEEvT1_, .Lfunc_end1119-_ZN7rocprim17ROCPRIM_400000_NS6detail17trampoline_kernelINS0_14default_configENS1_29reduce_by_key_config_selectorIiiN6thrust23THRUST_200600_302600_NS4plusIiEEEEZZNS1_33reduce_by_key_impl_wrapped_configILNS1_25lookback_scan_determinismE0ES3_S9_NS6_10device_ptrIiEESD_SD_SD_PmS8_NS6_8equal_toIiEEEE10hipError_tPvRmT2_T3_mT4_T5_T6_T7_T8_P12ihipStream_tbENKUlT_T0_E_clISt17integral_constantIbLb1EESX_IbLb0EEEEDaST_SU_EUlST_E_NS1_11comp_targetILNS1_3genE9ELNS1_11target_archE1100ELNS1_3gpuE3ELNS1_3repE0EEENS1_30default_config_static_selectorELNS0_4arch9wavefront6targetE0EEEvT1_
                                        ; -- End function
	.section	.AMDGPU.csdata,"",@progbits
; Kernel info:
; codeLenInByte = 17356
; NumSgprs: 50
; NumVgprs: 87
; ScratchSize: 0
; MemoryBound: 0
; FloatMode: 240
; IeeeMode: 1
; LDSByteSize: 15360 bytes/workgroup (compile time only)
; SGPRBlocks: 6
; VGPRBlocks: 10
; NumSGPRsForWavesPerEU: 50
; NumVGPRsForWavesPerEU: 87
; Occupancy: 16
; WaveLimiterHint : 1
; COMPUTE_PGM_RSRC2:SCRATCH_EN: 0
; COMPUTE_PGM_RSRC2:USER_SGPR: 15
; COMPUTE_PGM_RSRC2:TRAP_HANDLER: 0
; COMPUTE_PGM_RSRC2:TGID_X_EN: 1
; COMPUTE_PGM_RSRC2:TGID_Y_EN: 0
; COMPUTE_PGM_RSRC2:TGID_Z_EN: 0
; COMPUTE_PGM_RSRC2:TIDIG_COMP_CNT: 0
	.section	.text._ZN7rocprim17ROCPRIM_400000_NS6detail17trampoline_kernelINS0_14default_configENS1_29reduce_by_key_config_selectorIiiN6thrust23THRUST_200600_302600_NS4plusIiEEEEZZNS1_33reduce_by_key_impl_wrapped_configILNS1_25lookback_scan_determinismE0ES3_S9_NS6_10device_ptrIiEESD_SD_SD_PmS8_NS6_8equal_toIiEEEE10hipError_tPvRmT2_T3_mT4_T5_T6_T7_T8_P12ihipStream_tbENKUlT_T0_E_clISt17integral_constantIbLb1EESX_IbLb0EEEEDaST_SU_EUlST_E_NS1_11comp_targetILNS1_3genE8ELNS1_11target_archE1030ELNS1_3gpuE2ELNS1_3repE0EEENS1_30default_config_static_selectorELNS0_4arch9wavefront6targetE0EEEvT1_,"axG",@progbits,_ZN7rocprim17ROCPRIM_400000_NS6detail17trampoline_kernelINS0_14default_configENS1_29reduce_by_key_config_selectorIiiN6thrust23THRUST_200600_302600_NS4plusIiEEEEZZNS1_33reduce_by_key_impl_wrapped_configILNS1_25lookback_scan_determinismE0ES3_S9_NS6_10device_ptrIiEESD_SD_SD_PmS8_NS6_8equal_toIiEEEE10hipError_tPvRmT2_T3_mT4_T5_T6_T7_T8_P12ihipStream_tbENKUlT_T0_E_clISt17integral_constantIbLb1EESX_IbLb0EEEEDaST_SU_EUlST_E_NS1_11comp_targetILNS1_3genE8ELNS1_11target_archE1030ELNS1_3gpuE2ELNS1_3repE0EEENS1_30default_config_static_selectorELNS0_4arch9wavefront6targetE0EEEvT1_,comdat
	.protected	_ZN7rocprim17ROCPRIM_400000_NS6detail17trampoline_kernelINS0_14default_configENS1_29reduce_by_key_config_selectorIiiN6thrust23THRUST_200600_302600_NS4plusIiEEEEZZNS1_33reduce_by_key_impl_wrapped_configILNS1_25lookback_scan_determinismE0ES3_S9_NS6_10device_ptrIiEESD_SD_SD_PmS8_NS6_8equal_toIiEEEE10hipError_tPvRmT2_T3_mT4_T5_T6_T7_T8_P12ihipStream_tbENKUlT_T0_E_clISt17integral_constantIbLb1EESX_IbLb0EEEEDaST_SU_EUlST_E_NS1_11comp_targetILNS1_3genE8ELNS1_11target_archE1030ELNS1_3gpuE2ELNS1_3repE0EEENS1_30default_config_static_selectorELNS0_4arch9wavefront6targetE0EEEvT1_ ; -- Begin function _ZN7rocprim17ROCPRIM_400000_NS6detail17trampoline_kernelINS0_14default_configENS1_29reduce_by_key_config_selectorIiiN6thrust23THRUST_200600_302600_NS4plusIiEEEEZZNS1_33reduce_by_key_impl_wrapped_configILNS1_25lookback_scan_determinismE0ES3_S9_NS6_10device_ptrIiEESD_SD_SD_PmS8_NS6_8equal_toIiEEEE10hipError_tPvRmT2_T3_mT4_T5_T6_T7_T8_P12ihipStream_tbENKUlT_T0_E_clISt17integral_constantIbLb1EESX_IbLb0EEEEDaST_SU_EUlST_E_NS1_11comp_targetILNS1_3genE8ELNS1_11target_archE1030ELNS1_3gpuE2ELNS1_3repE0EEENS1_30default_config_static_selectorELNS0_4arch9wavefront6targetE0EEEvT1_
	.globl	_ZN7rocprim17ROCPRIM_400000_NS6detail17trampoline_kernelINS0_14default_configENS1_29reduce_by_key_config_selectorIiiN6thrust23THRUST_200600_302600_NS4plusIiEEEEZZNS1_33reduce_by_key_impl_wrapped_configILNS1_25lookback_scan_determinismE0ES3_S9_NS6_10device_ptrIiEESD_SD_SD_PmS8_NS6_8equal_toIiEEEE10hipError_tPvRmT2_T3_mT4_T5_T6_T7_T8_P12ihipStream_tbENKUlT_T0_E_clISt17integral_constantIbLb1EESX_IbLb0EEEEDaST_SU_EUlST_E_NS1_11comp_targetILNS1_3genE8ELNS1_11target_archE1030ELNS1_3gpuE2ELNS1_3repE0EEENS1_30default_config_static_selectorELNS0_4arch9wavefront6targetE0EEEvT1_
	.p2align	8
	.type	_ZN7rocprim17ROCPRIM_400000_NS6detail17trampoline_kernelINS0_14default_configENS1_29reduce_by_key_config_selectorIiiN6thrust23THRUST_200600_302600_NS4plusIiEEEEZZNS1_33reduce_by_key_impl_wrapped_configILNS1_25lookback_scan_determinismE0ES3_S9_NS6_10device_ptrIiEESD_SD_SD_PmS8_NS6_8equal_toIiEEEE10hipError_tPvRmT2_T3_mT4_T5_T6_T7_T8_P12ihipStream_tbENKUlT_T0_E_clISt17integral_constantIbLb1EESX_IbLb0EEEEDaST_SU_EUlST_E_NS1_11comp_targetILNS1_3genE8ELNS1_11target_archE1030ELNS1_3gpuE2ELNS1_3repE0EEENS1_30default_config_static_selectorELNS0_4arch9wavefront6targetE0EEEvT1_,@function
_ZN7rocprim17ROCPRIM_400000_NS6detail17trampoline_kernelINS0_14default_configENS1_29reduce_by_key_config_selectorIiiN6thrust23THRUST_200600_302600_NS4plusIiEEEEZZNS1_33reduce_by_key_impl_wrapped_configILNS1_25lookback_scan_determinismE0ES3_S9_NS6_10device_ptrIiEESD_SD_SD_PmS8_NS6_8equal_toIiEEEE10hipError_tPvRmT2_T3_mT4_T5_T6_T7_T8_P12ihipStream_tbENKUlT_T0_E_clISt17integral_constantIbLb1EESX_IbLb0EEEEDaST_SU_EUlST_E_NS1_11comp_targetILNS1_3genE8ELNS1_11target_archE1030ELNS1_3gpuE2ELNS1_3repE0EEENS1_30default_config_static_selectorELNS0_4arch9wavefront6targetE0EEEvT1_: ; @_ZN7rocprim17ROCPRIM_400000_NS6detail17trampoline_kernelINS0_14default_configENS1_29reduce_by_key_config_selectorIiiN6thrust23THRUST_200600_302600_NS4plusIiEEEEZZNS1_33reduce_by_key_impl_wrapped_configILNS1_25lookback_scan_determinismE0ES3_S9_NS6_10device_ptrIiEESD_SD_SD_PmS8_NS6_8equal_toIiEEEE10hipError_tPvRmT2_T3_mT4_T5_T6_T7_T8_P12ihipStream_tbENKUlT_T0_E_clISt17integral_constantIbLb1EESX_IbLb0EEEEDaST_SU_EUlST_E_NS1_11comp_targetILNS1_3genE8ELNS1_11target_archE1030ELNS1_3gpuE2ELNS1_3repE0EEENS1_30default_config_static_selectorELNS0_4arch9wavefront6targetE0EEEvT1_
; %bb.0:
	.section	.rodata,"a",@progbits
	.p2align	6, 0x0
	.amdhsa_kernel _ZN7rocprim17ROCPRIM_400000_NS6detail17trampoline_kernelINS0_14default_configENS1_29reduce_by_key_config_selectorIiiN6thrust23THRUST_200600_302600_NS4plusIiEEEEZZNS1_33reduce_by_key_impl_wrapped_configILNS1_25lookback_scan_determinismE0ES3_S9_NS6_10device_ptrIiEESD_SD_SD_PmS8_NS6_8equal_toIiEEEE10hipError_tPvRmT2_T3_mT4_T5_T6_T7_T8_P12ihipStream_tbENKUlT_T0_E_clISt17integral_constantIbLb1EESX_IbLb0EEEEDaST_SU_EUlST_E_NS1_11comp_targetILNS1_3genE8ELNS1_11target_archE1030ELNS1_3gpuE2ELNS1_3repE0EEENS1_30default_config_static_selectorELNS0_4arch9wavefront6targetE0EEEvT1_
		.amdhsa_group_segment_fixed_size 0
		.amdhsa_private_segment_fixed_size 0
		.amdhsa_kernarg_size 120
		.amdhsa_user_sgpr_count 15
		.amdhsa_user_sgpr_dispatch_ptr 0
		.amdhsa_user_sgpr_queue_ptr 0
		.amdhsa_user_sgpr_kernarg_segment_ptr 1
		.amdhsa_user_sgpr_dispatch_id 0
		.amdhsa_user_sgpr_private_segment_size 0
		.amdhsa_wavefront_size32 1
		.amdhsa_uses_dynamic_stack 0
		.amdhsa_enable_private_segment 0
		.amdhsa_system_sgpr_workgroup_id_x 1
		.amdhsa_system_sgpr_workgroup_id_y 0
		.amdhsa_system_sgpr_workgroup_id_z 0
		.amdhsa_system_sgpr_workgroup_info 0
		.amdhsa_system_vgpr_workitem_id 0
		.amdhsa_next_free_vgpr 1
		.amdhsa_next_free_sgpr 1
		.amdhsa_reserve_vcc 0
		.amdhsa_float_round_mode_32 0
		.amdhsa_float_round_mode_16_64 0
		.amdhsa_float_denorm_mode_32 3
		.amdhsa_float_denorm_mode_16_64 3
		.amdhsa_dx10_clamp 1
		.amdhsa_ieee_mode 1
		.amdhsa_fp16_overflow 0
		.amdhsa_workgroup_processor_mode 1
		.amdhsa_memory_ordered 1
		.amdhsa_forward_progress 0
		.amdhsa_shared_vgpr_count 0
		.amdhsa_exception_fp_ieee_invalid_op 0
		.amdhsa_exception_fp_denorm_src 0
		.amdhsa_exception_fp_ieee_div_zero 0
		.amdhsa_exception_fp_ieee_overflow 0
		.amdhsa_exception_fp_ieee_underflow 0
		.amdhsa_exception_fp_ieee_inexact 0
		.amdhsa_exception_int_div_zero 0
	.end_amdhsa_kernel
	.section	.text._ZN7rocprim17ROCPRIM_400000_NS6detail17trampoline_kernelINS0_14default_configENS1_29reduce_by_key_config_selectorIiiN6thrust23THRUST_200600_302600_NS4plusIiEEEEZZNS1_33reduce_by_key_impl_wrapped_configILNS1_25lookback_scan_determinismE0ES3_S9_NS6_10device_ptrIiEESD_SD_SD_PmS8_NS6_8equal_toIiEEEE10hipError_tPvRmT2_T3_mT4_T5_T6_T7_T8_P12ihipStream_tbENKUlT_T0_E_clISt17integral_constantIbLb1EESX_IbLb0EEEEDaST_SU_EUlST_E_NS1_11comp_targetILNS1_3genE8ELNS1_11target_archE1030ELNS1_3gpuE2ELNS1_3repE0EEENS1_30default_config_static_selectorELNS0_4arch9wavefront6targetE0EEEvT1_,"axG",@progbits,_ZN7rocprim17ROCPRIM_400000_NS6detail17trampoline_kernelINS0_14default_configENS1_29reduce_by_key_config_selectorIiiN6thrust23THRUST_200600_302600_NS4plusIiEEEEZZNS1_33reduce_by_key_impl_wrapped_configILNS1_25lookback_scan_determinismE0ES3_S9_NS6_10device_ptrIiEESD_SD_SD_PmS8_NS6_8equal_toIiEEEE10hipError_tPvRmT2_T3_mT4_T5_T6_T7_T8_P12ihipStream_tbENKUlT_T0_E_clISt17integral_constantIbLb1EESX_IbLb0EEEEDaST_SU_EUlST_E_NS1_11comp_targetILNS1_3genE8ELNS1_11target_archE1030ELNS1_3gpuE2ELNS1_3repE0EEENS1_30default_config_static_selectorELNS0_4arch9wavefront6targetE0EEEvT1_,comdat
.Lfunc_end1120:
	.size	_ZN7rocprim17ROCPRIM_400000_NS6detail17trampoline_kernelINS0_14default_configENS1_29reduce_by_key_config_selectorIiiN6thrust23THRUST_200600_302600_NS4plusIiEEEEZZNS1_33reduce_by_key_impl_wrapped_configILNS1_25lookback_scan_determinismE0ES3_S9_NS6_10device_ptrIiEESD_SD_SD_PmS8_NS6_8equal_toIiEEEE10hipError_tPvRmT2_T3_mT4_T5_T6_T7_T8_P12ihipStream_tbENKUlT_T0_E_clISt17integral_constantIbLb1EESX_IbLb0EEEEDaST_SU_EUlST_E_NS1_11comp_targetILNS1_3genE8ELNS1_11target_archE1030ELNS1_3gpuE2ELNS1_3repE0EEENS1_30default_config_static_selectorELNS0_4arch9wavefront6targetE0EEEvT1_, .Lfunc_end1120-_ZN7rocprim17ROCPRIM_400000_NS6detail17trampoline_kernelINS0_14default_configENS1_29reduce_by_key_config_selectorIiiN6thrust23THRUST_200600_302600_NS4plusIiEEEEZZNS1_33reduce_by_key_impl_wrapped_configILNS1_25lookback_scan_determinismE0ES3_S9_NS6_10device_ptrIiEESD_SD_SD_PmS8_NS6_8equal_toIiEEEE10hipError_tPvRmT2_T3_mT4_T5_T6_T7_T8_P12ihipStream_tbENKUlT_T0_E_clISt17integral_constantIbLb1EESX_IbLb0EEEEDaST_SU_EUlST_E_NS1_11comp_targetILNS1_3genE8ELNS1_11target_archE1030ELNS1_3gpuE2ELNS1_3repE0EEENS1_30default_config_static_selectorELNS0_4arch9wavefront6targetE0EEEvT1_
                                        ; -- End function
	.section	.AMDGPU.csdata,"",@progbits
; Kernel info:
; codeLenInByte = 0
; NumSgprs: 0
; NumVgprs: 0
; ScratchSize: 0
; MemoryBound: 0
; FloatMode: 240
; IeeeMode: 1
; LDSByteSize: 0 bytes/workgroup (compile time only)
; SGPRBlocks: 0
; VGPRBlocks: 0
; NumSGPRsForWavesPerEU: 1
; NumVGPRsForWavesPerEU: 1
; Occupancy: 16
; WaveLimiterHint : 0
; COMPUTE_PGM_RSRC2:SCRATCH_EN: 0
; COMPUTE_PGM_RSRC2:USER_SGPR: 15
; COMPUTE_PGM_RSRC2:TRAP_HANDLER: 0
; COMPUTE_PGM_RSRC2:TGID_X_EN: 1
; COMPUTE_PGM_RSRC2:TGID_Y_EN: 0
; COMPUTE_PGM_RSRC2:TGID_Z_EN: 0
; COMPUTE_PGM_RSRC2:TIDIG_COMP_CNT: 0
	.section	.text._ZN7rocprim17ROCPRIM_400000_NS6detail17trampoline_kernelINS0_14default_configENS1_29reduce_by_key_config_selectorIiiN6thrust23THRUST_200600_302600_NS4plusIiEEEEZZNS1_33reduce_by_key_impl_wrapped_configILNS1_25lookback_scan_determinismE0ES3_S9_NS6_10device_ptrIiEESD_SD_SD_PmS8_NS6_8equal_toIiEEEE10hipError_tPvRmT2_T3_mT4_T5_T6_T7_T8_P12ihipStream_tbENKUlT_T0_E_clISt17integral_constantIbLb0EESX_IbLb1EEEEDaST_SU_EUlST_E_NS1_11comp_targetILNS1_3genE0ELNS1_11target_archE4294967295ELNS1_3gpuE0ELNS1_3repE0EEENS1_30default_config_static_selectorELNS0_4arch9wavefront6targetE0EEEvT1_,"axG",@progbits,_ZN7rocprim17ROCPRIM_400000_NS6detail17trampoline_kernelINS0_14default_configENS1_29reduce_by_key_config_selectorIiiN6thrust23THRUST_200600_302600_NS4plusIiEEEEZZNS1_33reduce_by_key_impl_wrapped_configILNS1_25lookback_scan_determinismE0ES3_S9_NS6_10device_ptrIiEESD_SD_SD_PmS8_NS6_8equal_toIiEEEE10hipError_tPvRmT2_T3_mT4_T5_T6_T7_T8_P12ihipStream_tbENKUlT_T0_E_clISt17integral_constantIbLb0EESX_IbLb1EEEEDaST_SU_EUlST_E_NS1_11comp_targetILNS1_3genE0ELNS1_11target_archE4294967295ELNS1_3gpuE0ELNS1_3repE0EEENS1_30default_config_static_selectorELNS0_4arch9wavefront6targetE0EEEvT1_,comdat
	.protected	_ZN7rocprim17ROCPRIM_400000_NS6detail17trampoline_kernelINS0_14default_configENS1_29reduce_by_key_config_selectorIiiN6thrust23THRUST_200600_302600_NS4plusIiEEEEZZNS1_33reduce_by_key_impl_wrapped_configILNS1_25lookback_scan_determinismE0ES3_S9_NS6_10device_ptrIiEESD_SD_SD_PmS8_NS6_8equal_toIiEEEE10hipError_tPvRmT2_T3_mT4_T5_T6_T7_T8_P12ihipStream_tbENKUlT_T0_E_clISt17integral_constantIbLb0EESX_IbLb1EEEEDaST_SU_EUlST_E_NS1_11comp_targetILNS1_3genE0ELNS1_11target_archE4294967295ELNS1_3gpuE0ELNS1_3repE0EEENS1_30default_config_static_selectorELNS0_4arch9wavefront6targetE0EEEvT1_ ; -- Begin function _ZN7rocprim17ROCPRIM_400000_NS6detail17trampoline_kernelINS0_14default_configENS1_29reduce_by_key_config_selectorIiiN6thrust23THRUST_200600_302600_NS4plusIiEEEEZZNS1_33reduce_by_key_impl_wrapped_configILNS1_25lookback_scan_determinismE0ES3_S9_NS6_10device_ptrIiEESD_SD_SD_PmS8_NS6_8equal_toIiEEEE10hipError_tPvRmT2_T3_mT4_T5_T6_T7_T8_P12ihipStream_tbENKUlT_T0_E_clISt17integral_constantIbLb0EESX_IbLb1EEEEDaST_SU_EUlST_E_NS1_11comp_targetILNS1_3genE0ELNS1_11target_archE4294967295ELNS1_3gpuE0ELNS1_3repE0EEENS1_30default_config_static_selectorELNS0_4arch9wavefront6targetE0EEEvT1_
	.globl	_ZN7rocprim17ROCPRIM_400000_NS6detail17trampoline_kernelINS0_14default_configENS1_29reduce_by_key_config_selectorIiiN6thrust23THRUST_200600_302600_NS4plusIiEEEEZZNS1_33reduce_by_key_impl_wrapped_configILNS1_25lookback_scan_determinismE0ES3_S9_NS6_10device_ptrIiEESD_SD_SD_PmS8_NS6_8equal_toIiEEEE10hipError_tPvRmT2_T3_mT4_T5_T6_T7_T8_P12ihipStream_tbENKUlT_T0_E_clISt17integral_constantIbLb0EESX_IbLb1EEEEDaST_SU_EUlST_E_NS1_11comp_targetILNS1_3genE0ELNS1_11target_archE4294967295ELNS1_3gpuE0ELNS1_3repE0EEENS1_30default_config_static_selectorELNS0_4arch9wavefront6targetE0EEEvT1_
	.p2align	8
	.type	_ZN7rocprim17ROCPRIM_400000_NS6detail17trampoline_kernelINS0_14default_configENS1_29reduce_by_key_config_selectorIiiN6thrust23THRUST_200600_302600_NS4plusIiEEEEZZNS1_33reduce_by_key_impl_wrapped_configILNS1_25lookback_scan_determinismE0ES3_S9_NS6_10device_ptrIiEESD_SD_SD_PmS8_NS6_8equal_toIiEEEE10hipError_tPvRmT2_T3_mT4_T5_T6_T7_T8_P12ihipStream_tbENKUlT_T0_E_clISt17integral_constantIbLb0EESX_IbLb1EEEEDaST_SU_EUlST_E_NS1_11comp_targetILNS1_3genE0ELNS1_11target_archE4294967295ELNS1_3gpuE0ELNS1_3repE0EEENS1_30default_config_static_selectorELNS0_4arch9wavefront6targetE0EEEvT1_,@function
_ZN7rocprim17ROCPRIM_400000_NS6detail17trampoline_kernelINS0_14default_configENS1_29reduce_by_key_config_selectorIiiN6thrust23THRUST_200600_302600_NS4plusIiEEEEZZNS1_33reduce_by_key_impl_wrapped_configILNS1_25lookback_scan_determinismE0ES3_S9_NS6_10device_ptrIiEESD_SD_SD_PmS8_NS6_8equal_toIiEEEE10hipError_tPvRmT2_T3_mT4_T5_T6_T7_T8_P12ihipStream_tbENKUlT_T0_E_clISt17integral_constantIbLb0EESX_IbLb1EEEEDaST_SU_EUlST_E_NS1_11comp_targetILNS1_3genE0ELNS1_11target_archE4294967295ELNS1_3gpuE0ELNS1_3repE0EEENS1_30default_config_static_selectorELNS0_4arch9wavefront6targetE0EEEvT1_: ; @_ZN7rocprim17ROCPRIM_400000_NS6detail17trampoline_kernelINS0_14default_configENS1_29reduce_by_key_config_selectorIiiN6thrust23THRUST_200600_302600_NS4plusIiEEEEZZNS1_33reduce_by_key_impl_wrapped_configILNS1_25lookback_scan_determinismE0ES3_S9_NS6_10device_ptrIiEESD_SD_SD_PmS8_NS6_8equal_toIiEEEE10hipError_tPvRmT2_T3_mT4_T5_T6_T7_T8_P12ihipStream_tbENKUlT_T0_E_clISt17integral_constantIbLb0EESX_IbLb1EEEEDaST_SU_EUlST_E_NS1_11comp_targetILNS1_3genE0ELNS1_11target_archE4294967295ELNS1_3gpuE0ELNS1_3repE0EEENS1_30default_config_static_selectorELNS0_4arch9wavefront6targetE0EEEvT1_
; %bb.0:
	.section	.rodata,"a",@progbits
	.p2align	6, 0x0
	.amdhsa_kernel _ZN7rocprim17ROCPRIM_400000_NS6detail17trampoline_kernelINS0_14default_configENS1_29reduce_by_key_config_selectorIiiN6thrust23THRUST_200600_302600_NS4plusIiEEEEZZNS1_33reduce_by_key_impl_wrapped_configILNS1_25lookback_scan_determinismE0ES3_S9_NS6_10device_ptrIiEESD_SD_SD_PmS8_NS6_8equal_toIiEEEE10hipError_tPvRmT2_T3_mT4_T5_T6_T7_T8_P12ihipStream_tbENKUlT_T0_E_clISt17integral_constantIbLb0EESX_IbLb1EEEEDaST_SU_EUlST_E_NS1_11comp_targetILNS1_3genE0ELNS1_11target_archE4294967295ELNS1_3gpuE0ELNS1_3repE0EEENS1_30default_config_static_selectorELNS0_4arch9wavefront6targetE0EEEvT1_
		.amdhsa_group_segment_fixed_size 0
		.amdhsa_private_segment_fixed_size 0
		.amdhsa_kernarg_size 120
		.amdhsa_user_sgpr_count 15
		.amdhsa_user_sgpr_dispatch_ptr 0
		.amdhsa_user_sgpr_queue_ptr 0
		.amdhsa_user_sgpr_kernarg_segment_ptr 1
		.amdhsa_user_sgpr_dispatch_id 0
		.amdhsa_user_sgpr_private_segment_size 0
		.amdhsa_wavefront_size32 1
		.amdhsa_uses_dynamic_stack 0
		.amdhsa_enable_private_segment 0
		.amdhsa_system_sgpr_workgroup_id_x 1
		.amdhsa_system_sgpr_workgroup_id_y 0
		.amdhsa_system_sgpr_workgroup_id_z 0
		.amdhsa_system_sgpr_workgroup_info 0
		.amdhsa_system_vgpr_workitem_id 0
		.amdhsa_next_free_vgpr 1
		.amdhsa_next_free_sgpr 1
		.amdhsa_reserve_vcc 0
		.amdhsa_float_round_mode_32 0
		.amdhsa_float_round_mode_16_64 0
		.amdhsa_float_denorm_mode_32 3
		.amdhsa_float_denorm_mode_16_64 3
		.amdhsa_dx10_clamp 1
		.amdhsa_ieee_mode 1
		.amdhsa_fp16_overflow 0
		.amdhsa_workgroup_processor_mode 1
		.amdhsa_memory_ordered 1
		.amdhsa_forward_progress 0
		.amdhsa_shared_vgpr_count 0
		.amdhsa_exception_fp_ieee_invalid_op 0
		.amdhsa_exception_fp_denorm_src 0
		.amdhsa_exception_fp_ieee_div_zero 0
		.amdhsa_exception_fp_ieee_overflow 0
		.amdhsa_exception_fp_ieee_underflow 0
		.amdhsa_exception_fp_ieee_inexact 0
		.amdhsa_exception_int_div_zero 0
	.end_amdhsa_kernel
	.section	.text._ZN7rocprim17ROCPRIM_400000_NS6detail17trampoline_kernelINS0_14default_configENS1_29reduce_by_key_config_selectorIiiN6thrust23THRUST_200600_302600_NS4plusIiEEEEZZNS1_33reduce_by_key_impl_wrapped_configILNS1_25lookback_scan_determinismE0ES3_S9_NS6_10device_ptrIiEESD_SD_SD_PmS8_NS6_8equal_toIiEEEE10hipError_tPvRmT2_T3_mT4_T5_T6_T7_T8_P12ihipStream_tbENKUlT_T0_E_clISt17integral_constantIbLb0EESX_IbLb1EEEEDaST_SU_EUlST_E_NS1_11comp_targetILNS1_3genE0ELNS1_11target_archE4294967295ELNS1_3gpuE0ELNS1_3repE0EEENS1_30default_config_static_selectorELNS0_4arch9wavefront6targetE0EEEvT1_,"axG",@progbits,_ZN7rocprim17ROCPRIM_400000_NS6detail17trampoline_kernelINS0_14default_configENS1_29reduce_by_key_config_selectorIiiN6thrust23THRUST_200600_302600_NS4plusIiEEEEZZNS1_33reduce_by_key_impl_wrapped_configILNS1_25lookback_scan_determinismE0ES3_S9_NS6_10device_ptrIiEESD_SD_SD_PmS8_NS6_8equal_toIiEEEE10hipError_tPvRmT2_T3_mT4_T5_T6_T7_T8_P12ihipStream_tbENKUlT_T0_E_clISt17integral_constantIbLb0EESX_IbLb1EEEEDaST_SU_EUlST_E_NS1_11comp_targetILNS1_3genE0ELNS1_11target_archE4294967295ELNS1_3gpuE0ELNS1_3repE0EEENS1_30default_config_static_selectorELNS0_4arch9wavefront6targetE0EEEvT1_,comdat
.Lfunc_end1121:
	.size	_ZN7rocprim17ROCPRIM_400000_NS6detail17trampoline_kernelINS0_14default_configENS1_29reduce_by_key_config_selectorIiiN6thrust23THRUST_200600_302600_NS4plusIiEEEEZZNS1_33reduce_by_key_impl_wrapped_configILNS1_25lookback_scan_determinismE0ES3_S9_NS6_10device_ptrIiEESD_SD_SD_PmS8_NS6_8equal_toIiEEEE10hipError_tPvRmT2_T3_mT4_T5_T6_T7_T8_P12ihipStream_tbENKUlT_T0_E_clISt17integral_constantIbLb0EESX_IbLb1EEEEDaST_SU_EUlST_E_NS1_11comp_targetILNS1_3genE0ELNS1_11target_archE4294967295ELNS1_3gpuE0ELNS1_3repE0EEENS1_30default_config_static_selectorELNS0_4arch9wavefront6targetE0EEEvT1_, .Lfunc_end1121-_ZN7rocprim17ROCPRIM_400000_NS6detail17trampoline_kernelINS0_14default_configENS1_29reduce_by_key_config_selectorIiiN6thrust23THRUST_200600_302600_NS4plusIiEEEEZZNS1_33reduce_by_key_impl_wrapped_configILNS1_25lookback_scan_determinismE0ES3_S9_NS6_10device_ptrIiEESD_SD_SD_PmS8_NS6_8equal_toIiEEEE10hipError_tPvRmT2_T3_mT4_T5_T6_T7_T8_P12ihipStream_tbENKUlT_T0_E_clISt17integral_constantIbLb0EESX_IbLb1EEEEDaST_SU_EUlST_E_NS1_11comp_targetILNS1_3genE0ELNS1_11target_archE4294967295ELNS1_3gpuE0ELNS1_3repE0EEENS1_30default_config_static_selectorELNS0_4arch9wavefront6targetE0EEEvT1_
                                        ; -- End function
	.section	.AMDGPU.csdata,"",@progbits
; Kernel info:
; codeLenInByte = 0
; NumSgprs: 0
; NumVgprs: 0
; ScratchSize: 0
; MemoryBound: 0
; FloatMode: 240
; IeeeMode: 1
; LDSByteSize: 0 bytes/workgroup (compile time only)
; SGPRBlocks: 0
; VGPRBlocks: 0
; NumSGPRsForWavesPerEU: 1
; NumVGPRsForWavesPerEU: 1
; Occupancy: 16
; WaveLimiterHint : 0
; COMPUTE_PGM_RSRC2:SCRATCH_EN: 0
; COMPUTE_PGM_RSRC2:USER_SGPR: 15
; COMPUTE_PGM_RSRC2:TRAP_HANDLER: 0
; COMPUTE_PGM_RSRC2:TGID_X_EN: 1
; COMPUTE_PGM_RSRC2:TGID_Y_EN: 0
; COMPUTE_PGM_RSRC2:TGID_Z_EN: 0
; COMPUTE_PGM_RSRC2:TIDIG_COMP_CNT: 0
	.section	.text._ZN7rocprim17ROCPRIM_400000_NS6detail17trampoline_kernelINS0_14default_configENS1_29reduce_by_key_config_selectorIiiN6thrust23THRUST_200600_302600_NS4plusIiEEEEZZNS1_33reduce_by_key_impl_wrapped_configILNS1_25lookback_scan_determinismE0ES3_S9_NS6_10device_ptrIiEESD_SD_SD_PmS8_NS6_8equal_toIiEEEE10hipError_tPvRmT2_T3_mT4_T5_T6_T7_T8_P12ihipStream_tbENKUlT_T0_E_clISt17integral_constantIbLb0EESX_IbLb1EEEEDaST_SU_EUlST_E_NS1_11comp_targetILNS1_3genE5ELNS1_11target_archE942ELNS1_3gpuE9ELNS1_3repE0EEENS1_30default_config_static_selectorELNS0_4arch9wavefront6targetE0EEEvT1_,"axG",@progbits,_ZN7rocprim17ROCPRIM_400000_NS6detail17trampoline_kernelINS0_14default_configENS1_29reduce_by_key_config_selectorIiiN6thrust23THRUST_200600_302600_NS4plusIiEEEEZZNS1_33reduce_by_key_impl_wrapped_configILNS1_25lookback_scan_determinismE0ES3_S9_NS6_10device_ptrIiEESD_SD_SD_PmS8_NS6_8equal_toIiEEEE10hipError_tPvRmT2_T3_mT4_T5_T6_T7_T8_P12ihipStream_tbENKUlT_T0_E_clISt17integral_constantIbLb0EESX_IbLb1EEEEDaST_SU_EUlST_E_NS1_11comp_targetILNS1_3genE5ELNS1_11target_archE942ELNS1_3gpuE9ELNS1_3repE0EEENS1_30default_config_static_selectorELNS0_4arch9wavefront6targetE0EEEvT1_,comdat
	.protected	_ZN7rocprim17ROCPRIM_400000_NS6detail17trampoline_kernelINS0_14default_configENS1_29reduce_by_key_config_selectorIiiN6thrust23THRUST_200600_302600_NS4plusIiEEEEZZNS1_33reduce_by_key_impl_wrapped_configILNS1_25lookback_scan_determinismE0ES3_S9_NS6_10device_ptrIiEESD_SD_SD_PmS8_NS6_8equal_toIiEEEE10hipError_tPvRmT2_T3_mT4_T5_T6_T7_T8_P12ihipStream_tbENKUlT_T0_E_clISt17integral_constantIbLb0EESX_IbLb1EEEEDaST_SU_EUlST_E_NS1_11comp_targetILNS1_3genE5ELNS1_11target_archE942ELNS1_3gpuE9ELNS1_3repE0EEENS1_30default_config_static_selectorELNS0_4arch9wavefront6targetE0EEEvT1_ ; -- Begin function _ZN7rocprim17ROCPRIM_400000_NS6detail17trampoline_kernelINS0_14default_configENS1_29reduce_by_key_config_selectorIiiN6thrust23THRUST_200600_302600_NS4plusIiEEEEZZNS1_33reduce_by_key_impl_wrapped_configILNS1_25lookback_scan_determinismE0ES3_S9_NS6_10device_ptrIiEESD_SD_SD_PmS8_NS6_8equal_toIiEEEE10hipError_tPvRmT2_T3_mT4_T5_T6_T7_T8_P12ihipStream_tbENKUlT_T0_E_clISt17integral_constantIbLb0EESX_IbLb1EEEEDaST_SU_EUlST_E_NS1_11comp_targetILNS1_3genE5ELNS1_11target_archE942ELNS1_3gpuE9ELNS1_3repE0EEENS1_30default_config_static_selectorELNS0_4arch9wavefront6targetE0EEEvT1_
	.globl	_ZN7rocprim17ROCPRIM_400000_NS6detail17trampoline_kernelINS0_14default_configENS1_29reduce_by_key_config_selectorIiiN6thrust23THRUST_200600_302600_NS4plusIiEEEEZZNS1_33reduce_by_key_impl_wrapped_configILNS1_25lookback_scan_determinismE0ES3_S9_NS6_10device_ptrIiEESD_SD_SD_PmS8_NS6_8equal_toIiEEEE10hipError_tPvRmT2_T3_mT4_T5_T6_T7_T8_P12ihipStream_tbENKUlT_T0_E_clISt17integral_constantIbLb0EESX_IbLb1EEEEDaST_SU_EUlST_E_NS1_11comp_targetILNS1_3genE5ELNS1_11target_archE942ELNS1_3gpuE9ELNS1_3repE0EEENS1_30default_config_static_selectorELNS0_4arch9wavefront6targetE0EEEvT1_
	.p2align	8
	.type	_ZN7rocprim17ROCPRIM_400000_NS6detail17trampoline_kernelINS0_14default_configENS1_29reduce_by_key_config_selectorIiiN6thrust23THRUST_200600_302600_NS4plusIiEEEEZZNS1_33reduce_by_key_impl_wrapped_configILNS1_25lookback_scan_determinismE0ES3_S9_NS6_10device_ptrIiEESD_SD_SD_PmS8_NS6_8equal_toIiEEEE10hipError_tPvRmT2_T3_mT4_T5_T6_T7_T8_P12ihipStream_tbENKUlT_T0_E_clISt17integral_constantIbLb0EESX_IbLb1EEEEDaST_SU_EUlST_E_NS1_11comp_targetILNS1_3genE5ELNS1_11target_archE942ELNS1_3gpuE9ELNS1_3repE0EEENS1_30default_config_static_selectorELNS0_4arch9wavefront6targetE0EEEvT1_,@function
_ZN7rocprim17ROCPRIM_400000_NS6detail17trampoline_kernelINS0_14default_configENS1_29reduce_by_key_config_selectorIiiN6thrust23THRUST_200600_302600_NS4plusIiEEEEZZNS1_33reduce_by_key_impl_wrapped_configILNS1_25lookback_scan_determinismE0ES3_S9_NS6_10device_ptrIiEESD_SD_SD_PmS8_NS6_8equal_toIiEEEE10hipError_tPvRmT2_T3_mT4_T5_T6_T7_T8_P12ihipStream_tbENKUlT_T0_E_clISt17integral_constantIbLb0EESX_IbLb1EEEEDaST_SU_EUlST_E_NS1_11comp_targetILNS1_3genE5ELNS1_11target_archE942ELNS1_3gpuE9ELNS1_3repE0EEENS1_30default_config_static_selectorELNS0_4arch9wavefront6targetE0EEEvT1_: ; @_ZN7rocprim17ROCPRIM_400000_NS6detail17trampoline_kernelINS0_14default_configENS1_29reduce_by_key_config_selectorIiiN6thrust23THRUST_200600_302600_NS4plusIiEEEEZZNS1_33reduce_by_key_impl_wrapped_configILNS1_25lookback_scan_determinismE0ES3_S9_NS6_10device_ptrIiEESD_SD_SD_PmS8_NS6_8equal_toIiEEEE10hipError_tPvRmT2_T3_mT4_T5_T6_T7_T8_P12ihipStream_tbENKUlT_T0_E_clISt17integral_constantIbLb0EESX_IbLb1EEEEDaST_SU_EUlST_E_NS1_11comp_targetILNS1_3genE5ELNS1_11target_archE942ELNS1_3gpuE9ELNS1_3repE0EEENS1_30default_config_static_selectorELNS0_4arch9wavefront6targetE0EEEvT1_
; %bb.0:
	.section	.rodata,"a",@progbits
	.p2align	6, 0x0
	.amdhsa_kernel _ZN7rocprim17ROCPRIM_400000_NS6detail17trampoline_kernelINS0_14default_configENS1_29reduce_by_key_config_selectorIiiN6thrust23THRUST_200600_302600_NS4plusIiEEEEZZNS1_33reduce_by_key_impl_wrapped_configILNS1_25lookback_scan_determinismE0ES3_S9_NS6_10device_ptrIiEESD_SD_SD_PmS8_NS6_8equal_toIiEEEE10hipError_tPvRmT2_T3_mT4_T5_T6_T7_T8_P12ihipStream_tbENKUlT_T0_E_clISt17integral_constantIbLb0EESX_IbLb1EEEEDaST_SU_EUlST_E_NS1_11comp_targetILNS1_3genE5ELNS1_11target_archE942ELNS1_3gpuE9ELNS1_3repE0EEENS1_30default_config_static_selectorELNS0_4arch9wavefront6targetE0EEEvT1_
		.amdhsa_group_segment_fixed_size 0
		.amdhsa_private_segment_fixed_size 0
		.amdhsa_kernarg_size 120
		.amdhsa_user_sgpr_count 15
		.amdhsa_user_sgpr_dispatch_ptr 0
		.amdhsa_user_sgpr_queue_ptr 0
		.amdhsa_user_sgpr_kernarg_segment_ptr 1
		.amdhsa_user_sgpr_dispatch_id 0
		.amdhsa_user_sgpr_private_segment_size 0
		.amdhsa_wavefront_size32 1
		.amdhsa_uses_dynamic_stack 0
		.amdhsa_enable_private_segment 0
		.amdhsa_system_sgpr_workgroup_id_x 1
		.amdhsa_system_sgpr_workgroup_id_y 0
		.amdhsa_system_sgpr_workgroup_id_z 0
		.amdhsa_system_sgpr_workgroup_info 0
		.amdhsa_system_vgpr_workitem_id 0
		.amdhsa_next_free_vgpr 1
		.amdhsa_next_free_sgpr 1
		.amdhsa_reserve_vcc 0
		.amdhsa_float_round_mode_32 0
		.amdhsa_float_round_mode_16_64 0
		.amdhsa_float_denorm_mode_32 3
		.amdhsa_float_denorm_mode_16_64 3
		.amdhsa_dx10_clamp 1
		.amdhsa_ieee_mode 1
		.amdhsa_fp16_overflow 0
		.amdhsa_workgroup_processor_mode 1
		.amdhsa_memory_ordered 1
		.amdhsa_forward_progress 0
		.amdhsa_shared_vgpr_count 0
		.amdhsa_exception_fp_ieee_invalid_op 0
		.amdhsa_exception_fp_denorm_src 0
		.amdhsa_exception_fp_ieee_div_zero 0
		.amdhsa_exception_fp_ieee_overflow 0
		.amdhsa_exception_fp_ieee_underflow 0
		.amdhsa_exception_fp_ieee_inexact 0
		.amdhsa_exception_int_div_zero 0
	.end_amdhsa_kernel
	.section	.text._ZN7rocprim17ROCPRIM_400000_NS6detail17trampoline_kernelINS0_14default_configENS1_29reduce_by_key_config_selectorIiiN6thrust23THRUST_200600_302600_NS4plusIiEEEEZZNS1_33reduce_by_key_impl_wrapped_configILNS1_25lookback_scan_determinismE0ES3_S9_NS6_10device_ptrIiEESD_SD_SD_PmS8_NS6_8equal_toIiEEEE10hipError_tPvRmT2_T3_mT4_T5_T6_T7_T8_P12ihipStream_tbENKUlT_T0_E_clISt17integral_constantIbLb0EESX_IbLb1EEEEDaST_SU_EUlST_E_NS1_11comp_targetILNS1_3genE5ELNS1_11target_archE942ELNS1_3gpuE9ELNS1_3repE0EEENS1_30default_config_static_selectorELNS0_4arch9wavefront6targetE0EEEvT1_,"axG",@progbits,_ZN7rocprim17ROCPRIM_400000_NS6detail17trampoline_kernelINS0_14default_configENS1_29reduce_by_key_config_selectorIiiN6thrust23THRUST_200600_302600_NS4plusIiEEEEZZNS1_33reduce_by_key_impl_wrapped_configILNS1_25lookback_scan_determinismE0ES3_S9_NS6_10device_ptrIiEESD_SD_SD_PmS8_NS6_8equal_toIiEEEE10hipError_tPvRmT2_T3_mT4_T5_T6_T7_T8_P12ihipStream_tbENKUlT_T0_E_clISt17integral_constantIbLb0EESX_IbLb1EEEEDaST_SU_EUlST_E_NS1_11comp_targetILNS1_3genE5ELNS1_11target_archE942ELNS1_3gpuE9ELNS1_3repE0EEENS1_30default_config_static_selectorELNS0_4arch9wavefront6targetE0EEEvT1_,comdat
.Lfunc_end1122:
	.size	_ZN7rocprim17ROCPRIM_400000_NS6detail17trampoline_kernelINS0_14default_configENS1_29reduce_by_key_config_selectorIiiN6thrust23THRUST_200600_302600_NS4plusIiEEEEZZNS1_33reduce_by_key_impl_wrapped_configILNS1_25lookback_scan_determinismE0ES3_S9_NS6_10device_ptrIiEESD_SD_SD_PmS8_NS6_8equal_toIiEEEE10hipError_tPvRmT2_T3_mT4_T5_T6_T7_T8_P12ihipStream_tbENKUlT_T0_E_clISt17integral_constantIbLb0EESX_IbLb1EEEEDaST_SU_EUlST_E_NS1_11comp_targetILNS1_3genE5ELNS1_11target_archE942ELNS1_3gpuE9ELNS1_3repE0EEENS1_30default_config_static_selectorELNS0_4arch9wavefront6targetE0EEEvT1_, .Lfunc_end1122-_ZN7rocprim17ROCPRIM_400000_NS6detail17trampoline_kernelINS0_14default_configENS1_29reduce_by_key_config_selectorIiiN6thrust23THRUST_200600_302600_NS4plusIiEEEEZZNS1_33reduce_by_key_impl_wrapped_configILNS1_25lookback_scan_determinismE0ES3_S9_NS6_10device_ptrIiEESD_SD_SD_PmS8_NS6_8equal_toIiEEEE10hipError_tPvRmT2_T3_mT4_T5_T6_T7_T8_P12ihipStream_tbENKUlT_T0_E_clISt17integral_constantIbLb0EESX_IbLb1EEEEDaST_SU_EUlST_E_NS1_11comp_targetILNS1_3genE5ELNS1_11target_archE942ELNS1_3gpuE9ELNS1_3repE0EEENS1_30default_config_static_selectorELNS0_4arch9wavefront6targetE0EEEvT1_
                                        ; -- End function
	.section	.AMDGPU.csdata,"",@progbits
; Kernel info:
; codeLenInByte = 0
; NumSgprs: 0
; NumVgprs: 0
; ScratchSize: 0
; MemoryBound: 0
; FloatMode: 240
; IeeeMode: 1
; LDSByteSize: 0 bytes/workgroup (compile time only)
; SGPRBlocks: 0
; VGPRBlocks: 0
; NumSGPRsForWavesPerEU: 1
; NumVGPRsForWavesPerEU: 1
; Occupancy: 16
; WaveLimiterHint : 0
; COMPUTE_PGM_RSRC2:SCRATCH_EN: 0
; COMPUTE_PGM_RSRC2:USER_SGPR: 15
; COMPUTE_PGM_RSRC2:TRAP_HANDLER: 0
; COMPUTE_PGM_RSRC2:TGID_X_EN: 1
; COMPUTE_PGM_RSRC2:TGID_Y_EN: 0
; COMPUTE_PGM_RSRC2:TGID_Z_EN: 0
; COMPUTE_PGM_RSRC2:TIDIG_COMP_CNT: 0
	.section	.text._ZN7rocprim17ROCPRIM_400000_NS6detail17trampoline_kernelINS0_14default_configENS1_29reduce_by_key_config_selectorIiiN6thrust23THRUST_200600_302600_NS4plusIiEEEEZZNS1_33reduce_by_key_impl_wrapped_configILNS1_25lookback_scan_determinismE0ES3_S9_NS6_10device_ptrIiEESD_SD_SD_PmS8_NS6_8equal_toIiEEEE10hipError_tPvRmT2_T3_mT4_T5_T6_T7_T8_P12ihipStream_tbENKUlT_T0_E_clISt17integral_constantIbLb0EESX_IbLb1EEEEDaST_SU_EUlST_E_NS1_11comp_targetILNS1_3genE4ELNS1_11target_archE910ELNS1_3gpuE8ELNS1_3repE0EEENS1_30default_config_static_selectorELNS0_4arch9wavefront6targetE0EEEvT1_,"axG",@progbits,_ZN7rocprim17ROCPRIM_400000_NS6detail17trampoline_kernelINS0_14default_configENS1_29reduce_by_key_config_selectorIiiN6thrust23THRUST_200600_302600_NS4plusIiEEEEZZNS1_33reduce_by_key_impl_wrapped_configILNS1_25lookback_scan_determinismE0ES3_S9_NS6_10device_ptrIiEESD_SD_SD_PmS8_NS6_8equal_toIiEEEE10hipError_tPvRmT2_T3_mT4_T5_T6_T7_T8_P12ihipStream_tbENKUlT_T0_E_clISt17integral_constantIbLb0EESX_IbLb1EEEEDaST_SU_EUlST_E_NS1_11comp_targetILNS1_3genE4ELNS1_11target_archE910ELNS1_3gpuE8ELNS1_3repE0EEENS1_30default_config_static_selectorELNS0_4arch9wavefront6targetE0EEEvT1_,comdat
	.protected	_ZN7rocprim17ROCPRIM_400000_NS6detail17trampoline_kernelINS0_14default_configENS1_29reduce_by_key_config_selectorIiiN6thrust23THRUST_200600_302600_NS4plusIiEEEEZZNS1_33reduce_by_key_impl_wrapped_configILNS1_25lookback_scan_determinismE0ES3_S9_NS6_10device_ptrIiEESD_SD_SD_PmS8_NS6_8equal_toIiEEEE10hipError_tPvRmT2_T3_mT4_T5_T6_T7_T8_P12ihipStream_tbENKUlT_T0_E_clISt17integral_constantIbLb0EESX_IbLb1EEEEDaST_SU_EUlST_E_NS1_11comp_targetILNS1_3genE4ELNS1_11target_archE910ELNS1_3gpuE8ELNS1_3repE0EEENS1_30default_config_static_selectorELNS0_4arch9wavefront6targetE0EEEvT1_ ; -- Begin function _ZN7rocprim17ROCPRIM_400000_NS6detail17trampoline_kernelINS0_14default_configENS1_29reduce_by_key_config_selectorIiiN6thrust23THRUST_200600_302600_NS4plusIiEEEEZZNS1_33reduce_by_key_impl_wrapped_configILNS1_25lookback_scan_determinismE0ES3_S9_NS6_10device_ptrIiEESD_SD_SD_PmS8_NS6_8equal_toIiEEEE10hipError_tPvRmT2_T3_mT4_T5_T6_T7_T8_P12ihipStream_tbENKUlT_T0_E_clISt17integral_constantIbLb0EESX_IbLb1EEEEDaST_SU_EUlST_E_NS1_11comp_targetILNS1_3genE4ELNS1_11target_archE910ELNS1_3gpuE8ELNS1_3repE0EEENS1_30default_config_static_selectorELNS0_4arch9wavefront6targetE0EEEvT1_
	.globl	_ZN7rocprim17ROCPRIM_400000_NS6detail17trampoline_kernelINS0_14default_configENS1_29reduce_by_key_config_selectorIiiN6thrust23THRUST_200600_302600_NS4plusIiEEEEZZNS1_33reduce_by_key_impl_wrapped_configILNS1_25lookback_scan_determinismE0ES3_S9_NS6_10device_ptrIiEESD_SD_SD_PmS8_NS6_8equal_toIiEEEE10hipError_tPvRmT2_T3_mT4_T5_T6_T7_T8_P12ihipStream_tbENKUlT_T0_E_clISt17integral_constantIbLb0EESX_IbLb1EEEEDaST_SU_EUlST_E_NS1_11comp_targetILNS1_3genE4ELNS1_11target_archE910ELNS1_3gpuE8ELNS1_3repE0EEENS1_30default_config_static_selectorELNS0_4arch9wavefront6targetE0EEEvT1_
	.p2align	8
	.type	_ZN7rocprim17ROCPRIM_400000_NS6detail17trampoline_kernelINS0_14default_configENS1_29reduce_by_key_config_selectorIiiN6thrust23THRUST_200600_302600_NS4plusIiEEEEZZNS1_33reduce_by_key_impl_wrapped_configILNS1_25lookback_scan_determinismE0ES3_S9_NS6_10device_ptrIiEESD_SD_SD_PmS8_NS6_8equal_toIiEEEE10hipError_tPvRmT2_T3_mT4_T5_T6_T7_T8_P12ihipStream_tbENKUlT_T0_E_clISt17integral_constantIbLb0EESX_IbLb1EEEEDaST_SU_EUlST_E_NS1_11comp_targetILNS1_3genE4ELNS1_11target_archE910ELNS1_3gpuE8ELNS1_3repE0EEENS1_30default_config_static_selectorELNS0_4arch9wavefront6targetE0EEEvT1_,@function
_ZN7rocprim17ROCPRIM_400000_NS6detail17trampoline_kernelINS0_14default_configENS1_29reduce_by_key_config_selectorIiiN6thrust23THRUST_200600_302600_NS4plusIiEEEEZZNS1_33reduce_by_key_impl_wrapped_configILNS1_25lookback_scan_determinismE0ES3_S9_NS6_10device_ptrIiEESD_SD_SD_PmS8_NS6_8equal_toIiEEEE10hipError_tPvRmT2_T3_mT4_T5_T6_T7_T8_P12ihipStream_tbENKUlT_T0_E_clISt17integral_constantIbLb0EESX_IbLb1EEEEDaST_SU_EUlST_E_NS1_11comp_targetILNS1_3genE4ELNS1_11target_archE910ELNS1_3gpuE8ELNS1_3repE0EEENS1_30default_config_static_selectorELNS0_4arch9wavefront6targetE0EEEvT1_: ; @_ZN7rocprim17ROCPRIM_400000_NS6detail17trampoline_kernelINS0_14default_configENS1_29reduce_by_key_config_selectorIiiN6thrust23THRUST_200600_302600_NS4plusIiEEEEZZNS1_33reduce_by_key_impl_wrapped_configILNS1_25lookback_scan_determinismE0ES3_S9_NS6_10device_ptrIiEESD_SD_SD_PmS8_NS6_8equal_toIiEEEE10hipError_tPvRmT2_T3_mT4_T5_T6_T7_T8_P12ihipStream_tbENKUlT_T0_E_clISt17integral_constantIbLb0EESX_IbLb1EEEEDaST_SU_EUlST_E_NS1_11comp_targetILNS1_3genE4ELNS1_11target_archE910ELNS1_3gpuE8ELNS1_3repE0EEENS1_30default_config_static_selectorELNS0_4arch9wavefront6targetE0EEEvT1_
; %bb.0:
	.section	.rodata,"a",@progbits
	.p2align	6, 0x0
	.amdhsa_kernel _ZN7rocprim17ROCPRIM_400000_NS6detail17trampoline_kernelINS0_14default_configENS1_29reduce_by_key_config_selectorIiiN6thrust23THRUST_200600_302600_NS4plusIiEEEEZZNS1_33reduce_by_key_impl_wrapped_configILNS1_25lookback_scan_determinismE0ES3_S9_NS6_10device_ptrIiEESD_SD_SD_PmS8_NS6_8equal_toIiEEEE10hipError_tPvRmT2_T3_mT4_T5_T6_T7_T8_P12ihipStream_tbENKUlT_T0_E_clISt17integral_constantIbLb0EESX_IbLb1EEEEDaST_SU_EUlST_E_NS1_11comp_targetILNS1_3genE4ELNS1_11target_archE910ELNS1_3gpuE8ELNS1_3repE0EEENS1_30default_config_static_selectorELNS0_4arch9wavefront6targetE0EEEvT1_
		.amdhsa_group_segment_fixed_size 0
		.amdhsa_private_segment_fixed_size 0
		.amdhsa_kernarg_size 120
		.amdhsa_user_sgpr_count 15
		.amdhsa_user_sgpr_dispatch_ptr 0
		.amdhsa_user_sgpr_queue_ptr 0
		.amdhsa_user_sgpr_kernarg_segment_ptr 1
		.amdhsa_user_sgpr_dispatch_id 0
		.amdhsa_user_sgpr_private_segment_size 0
		.amdhsa_wavefront_size32 1
		.amdhsa_uses_dynamic_stack 0
		.amdhsa_enable_private_segment 0
		.amdhsa_system_sgpr_workgroup_id_x 1
		.amdhsa_system_sgpr_workgroup_id_y 0
		.amdhsa_system_sgpr_workgroup_id_z 0
		.amdhsa_system_sgpr_workgroup_info 0
		.amdhsa_system_vgpr_workitem_id 0
		.amdhsa_next_free_vgpr 1
		.amdhsa_next_free_sgpr 1
		.amdhsa_reserve_vcc 0
		.amdhsa_float_round_mode_32 0
		.amdhsa_float_round_mode_16_64 0
		.amdhsa_float_denorm_mode_32 3
		.amdhsa_float_denorm_mode_16_64 3
		.amdhsa_dx10_clamp 1
		.amdhsa_ieee_mode 1
		.amdhsa_fp16_overflow 0
		.amdhsa_workgroup_processor_mode 1
		.amdhsa_memory_ordered 1
		.amdhsa_forward_progress 0
		.amdhsa_shared_vgpr_count 0
		.amdhsa_exception_fp_ieee_invalid_op 0
		.amdhsa_exception_fp_denorm_src 0
		.amdhsa_exception_fp_ieee_div_zero 0
		.amdhsa_exception_fp_ieee_overflow 0
		.amdhsa_exception_fp_ieee_underflow 0
		.amdhsa_exception_fp_ieee_inexact 0
		.amdhsa_exception_int_div_zero 0
	.end_amdhsa_kernel
	.section	.text._ZN7rocprim17ROCPRIM_400000_NS6detail17trampoline_kernelINS0_14default_configENS1_29reduce_by_key_config_selectorIiiN6thrust23THRUST_200600_302600_NS4plusIiEEEEZZNS1_33reduce_by_key_impl_wrapped_configILNS1_25lookback_scan_determinismE0ES3_S9_NS6_10device_ptrIiEESD_SD_SD_PmS8_NS6_8equal_toIiEEEE10hipError_tPvRmT2_T3_mT4_T5_T6_T7_T8_P12ihipStream_tbENKUlT_T0_E_clISt17integral_constantIbLb0EESX_IbLb1EEEEDaST_SU_EUlST_E_NS1_11comp_targetILNS1_3genE4ELNS1_11target_archE910ELNS1_3gpuE8ELNS1_3repE0EEENS1_30default_config_static_selectorELNS0_4arch9wavefront6targetE0EEEvT1_,"axG",@progbits,_ZN7rocprim17ROCPRIM_400000_NS6detail17trampoline_kernelINS0_14default_configENS1_29reduce_by_key_config_selectorIiiN6thrust23THRUST_200600_302600_NS4plusIiEEEEZZNS1_33reduce_by_key_impl_wrapped_configILNS1_25lookback_scan_determinismE0ES3_S9_NS6_10device_ptrIiEESD_SD_SD_PmS8_NS6_8equal_toIiEEEE10hipError_tPvRmT2_T3_mT4_T5_T6_T7_T8_P12ihipStream_tbENKUlT_T0_E_clISt17integral_constantIbLb0EESX_IbLb1EEEEDaST_SU_EUlST_E_NS1_11comp_targetILNS1_3genE4ELNS1_11target_archE910ELNS1_3gpuE8ELNS1_3repE0EEENS1_30default_config_static_selectorELNS0_4arch9wavefront6targetE0EEEvT1_,comdat
.Lfunc_end1123:
	.size	_ZN7rocprim17ROCPRIM_400000_NS6detail17trampoline_kernelINS0_14default_configENS1_29reduce_by_key_config_selectorIiiN6thrust23THRUST_200600_302600_NS4plusIiEEEEZZNS1_33reduce_by_key_impl_wrapped_configILNS1_25lookback_scan_determinismE0ES3_S9_NS6_10device_ptrIiEESD_SD_SD_PmS8_NS6_8equal_toIiEEEE10hipError_tPvRmT2_T3_mT4_T5_T6_T7_T8_P12ihipStream_tbENKUlT_T0_E_clISt17integral_constantIbLb0EESX_IbLb1EEEEDaST_SU_EUlST_E_NS1_11comp_targetILNS1_3genE4ELNS1_11target_archE910ELNS1_3gpuE8ELNS1_3repE0EEENS1_30default_config_static_selectorELNS0_4arch9wavefront6targetE0EEEvT1_, .Lfunc_end1123-_ZN7rocprim17ROCPRIM_400000_NS6detail17trampoline_kernelINS0_14default_configENS1_29reduce_by_key_config_selectorIiiN6thrust23THRUST_200600_302600_NS4plusIiEEEEZZNS1_33reduce_by_key_impl_wrapped_configILNS1_25lookback_scan_determinismE0ES3_S9_NS6_10device_ptrIiEESD_SD_SD_PmS8_NS6_8equal_toIiEEEE10hipError_tPvRmT2_T3_mT4_T5_T6_T7_T8_P12ihipStream_tbENKUlT_T0_E_clISt17integral_constantIbLb0EESX_IbLb1EEEEDaST_SU_EUlST_E_NS1_11comp_targetILNS1_3genE4ELNS1_11target_archE910ELNS1_3gpuE8ELNS1_3repE0EEENS1_30default_config_static_selectorELNS0_4arch9wavefront6targetE0EEEvT1_
                                        ; -- End function
	.section	.AMDGPU.csdata,"",@progbits
; Kernel info:
; codeLenInByte = 0
; NumSgprs: 0
; NumVgprs: 0
; ScratchSize: 0
; MemoryBound: 0
; FloatMode: 240
; IeeeMode: 1
; LDSByteSize: 0 bytes/workgroup (compile time only)
; SGPRBlocks: 0
; VGPRBlocks: 0
; NumSGPRsForWavesPerEU: 1
; NumVGPRsForWavesPerEU: 1
; Occupancy: 16
; WaveLimiterHint : 0
; COMPUTE_PGM_RSRC2:SCRATCH_EN: 0
; COMPUTE_PGM_RSRC2:USER_SGPR: 15
; COMPUTE_PGM_RSRC2:TRAP_HANDLER: 0
; COMPUTE_PGM_RSRC2:TGID_X_EN: 1
; COMPUTE_PGM_RSRC2:TGID_Y_EN: 0
; COMPUTE_PGM_RSRC2:TGID_Z_EN: 0
; COMPUTE_PGM_RSRC2:TIDIG_COMP_CNT: 0
	.section	.text._ZN7rocprim17ROCPRIM_400000_NS6detail17trampoline_kernelINS0_14default_configENS1_29reduce_by_key_config_selectorIiiN6thrust23THRUST_200600_302600_NS4plusIiEEEEZZNS1_33reduce_by_key_impl_wrapped_configILNS1_25lookback_scan_determinismE0ES3_S9_NS6_10device_ptrIiEESD_SD_SD_PmS8_NS6_8equal_toIiEEEE10hipError_tPvRmT2_T3_mT4_T5_T6_T7_T8_P12ihipStream_tbENKUlT_T0_E_clISt17integral_constantIbLb0EESX_IbLb1EEEEDaST_SU_EUlST_E_NS1_11comp_targetILNS1_3genE3ELNS1_11target_archE908ELNS1_3gpuE7ELNS1_3repE0EEENS1_30default_config_static_selectorELNS0_4arch9wavefront6targetE0EEEvT1_,"axG",@progbits,_ZN7rocprim17ROCPRIM_400000_NS6detail17trampoline_kernelINS0_14default_configENS1_29reduce_by_key_config_selectorIiiN6thrust23THRUST_200600_302600_NS4plusIiEEEEZZNS1_33reduce_by_key_impl_wrapped_configILNS1_25lookback_scan_determinismE0ES3_S9_NS6_10device_ptrIiEESD_SD_SD_PmS8_NS6_8equal_toIiEEEE10hipError_tPvRmT2_T3_mT4_T5_T6_T7_T8_P12ihipStream_tbENKUlT_T0_E_clISt17integral_constantIbLb0EESX_IbLb1EEEEDaST_SU_EUlST_E_NS1_11comp_targetILNS1_3genE3ELNS1_11target_archE908ELNS1_3gpuE7ELNS1_3repE0EEENS1_30default_config_static_selectorELNS0_4arch9wavefront6targetE0EEEvT1_,comdat
	.protected	_ZN7rocprim17ROCPRIM_400000_NS6detail17trampoline_kernelINS0_14default_configENS1_29reduce_by_key_config_selectorIiiN6thrust23THRUST_200600_302600_NS4plusIiEEEEZZNS1_33reduce_by_key_impl_wrapped_configILNS1_25lookback_scan_determinismE0ES3_S9_NS6_10device_ptrIiEESD_SD_SD_PmS8_NS6_8equal_toIiEEEE10hipError_tPvRmT2_T3_mT4_T5_T6_T7_T8_P12ihipStream_tbENKUlT_T0_E_clISt17integral_constantIbLb0EESX_IbLb1EEEEDaST_SU_EUlST_E_NS1_11comp_targetILNS1_3genE3ELNS1_11target_archE908ELNS1_3gpuE7ELNS1_3repE0EEENS1_30default_config_static_selectorELNS0_4arch9wavefront6targetE0EEEvT1_ ; -- Begin function _ZN7rocprim17ROCPRIM_400000_NS6detail17trampoline_kernelINS0_14default_configENS1_29reduce_by_key_config_selectorIiiN6thrust23THRUST_200600_302600_NS4plusIiEEEEZZNS1_33reduce_by_key_impl_wrapped_configILNS1_25lookback_scan_determinismE0ES3_S9_NS6_10device_ptrIiEESD_SD_SD_PmS8_NS6_8equal_toIiEEEE10hipError_tPvRmT2_T3_mT4_T5_T6_T7_T8_P12ihipStream_tbENKUlT_T0_E_clISt17integral_constantIbLb0EESX_IbLb1EEEEDaST_SU_EUlST_E_NS1_11comp_targetILNS1_3genE3ELNS1_11target_archE908ELNS1_3gpuE7ELNS1_3repE0EEENS1_30default_config_static_selectorELNS0_4arch9wavefront6targetE0EEEvT1_
	.globl	_ZN7rocprim17ROCPRIM_400000_NS6detail17trampoline_kernelINS0_14default_configENS1_29reduce_by_key_config_selectorIiiN6thrust23THRUST_200600_302600_NS4plusIiEEEEZZNS1_33reduce_by_key_impl_wrapped_configILNS1_25lookback_scan_determinismE0ES3_S9_NS6_10device_ptrIiEESD_SD_SD_PmS8_NS6_8equal_toIiEEEE10hipError_tPvRmT2_T3_mT4_T5_T6_T7_T8_P12ihipStream_tbENKUlT_T0_E_clISt17integral_constantIbLb0EESX_IbLb1EEEEDaST_SU_EUlST_E_NS1_11comp_targetILNS1_3genE3ELNS1_11target_archE908ELNS1_3gpuE7ELNS1_3repE0EEENS1_30default_config_static_selectorELNS0_4arch9wavefront6targetE0EEEvT1_
	.p2align	8
	.type	_ZN7rocprim17ROCPRIM_400000_NS6detail17trampoline_kernelINS0_14default_configENS1_29reduce_by_key_config_selectorIiiN6thrust23THRUST_200600_302600_NS4plusIiEEEEZZNS1_33reduce_by_key_impl_wrapped_configILNS1_25lookback_scan_determinismE0ES3_S9_NS6_10device_ptrIiEESD_SD_SD_PmS8_NS6_8equal_toIiEEEE10hipError_tPvRmT2_T3_mT4_T5_T6_T7_T8_P12ihipStream_tbENKUlT_T0_E_clISt17integral_constantIbLb0EESX_IbLb1EEEEDaST_SU_EUlST_E_NS1_11comp_targetILNS1_3genE3ELNS1_11target_archE908ELNS1_3gpuE7ELNS1_3repE0EEENS1_30default_config_static_selectorELNS0_4arch9wavefront6targetE0EEEvT1_,@function
_ZN7rocprim17ROCPRIM_400000_NS6detail17trampoline_kernelINS0_14default_configENS1_29reduce_by_key_config_selectorIiiN6thrust23THRUST_200600_302600_NS4plusIiEEEEZZNS1_33reduce_by_key_impl_wrapped_configILNS1_25lookback_scan_determinismE0ES3_S9_NS6_10device_ptrIiEESD_SD_SD_PmS8_NS6_8equal_toIiEEEE10hipError_tPvRmT2_T3_mT4_T5_T6_T7_T8_P12ihipStream_tbENKUlT_T0_E_clISt17integral_constantIbLb0EESX_IbLb1EEEEDaST_SU_EUlST_E_NS1_11comp_targetILNS1_3genE3ELNS1_11target_archE908ELNS1_3gpuE7ELNS1_3repE0EEENS1_30default_config_static_selectorELNS0_4arch9wavefront6targetE0EEEvT1_: ; @_ZN7rocprim17ROCPRIM_400000_NS6detail17trampoline_kernelINS0_14default_configENS1_29reduce_by_key_config_selectorIiiN6thrust23THRUST_200600_302600_NS4plusIiEEEEZZNS1_33reduce_by_key_impl_wrapped_configILNS1_25lookback_scan_determinismE0ES3_S9_NS6_10device_ptrIiEESD_SD_SD_PmS8_NS6_8equal_toIiEEEE10hipError_tPvRmT2_T3_mT4_T5_T6_T7_T8_P12ihipStream_tbENKUlT_T0_E_clISt17integral_constantIbLb0EESX_IbLb1EEEEDaST_SU_EUlST_E_NS1_11comp_targetILNS1_3genE3ELNS1_11target_archE908ELNS1_3gpuE7ELNS1_3repE0EEENS1_30default_config_static_selectorELNS0_4arch9wavefront6targetE0EEEvT1_
; %bb.0:
	.section	.rodata,"a",@progbits
	.p2align	6, 0x0
	.amdhsa_kernel _ZN7rocprim17ROCPRIM_400000_NS6detail17trampoline_kernelINS0_14default_configENS1_29reduce_by_key_config_selectorIiiN6thrust23THRUST_200600_302600_NS4plusIiEEEEZZNS1_33reduce_by_key_impl_wrapped_configILNS1_25lookback_scan_determinismE0ES3_S9_NS6_10device_ptrIiEESD_SD_SD_PmS8_NS6_8equal_toIiEEEE10hipError_tPvRmT2_T3_mT4_T5_T6_T7_T8_P12ihipStream_tbENKUlT_T0_E_clISt17integral_constantIbLb0EESX_IbLb1EEEEDaST_SU_EUlST_E_NS1_11comp_targetILNS1_3genE3ELNS1_11target_archE908ELNS1_3gpuE7ELNS1_3repE0EEENS1_30default_config_static_selectorELNS0_4arch9wavefront6targetE0EEEvT1_
		.amdhsa_group_segment_fixed_size 0
		.amdhsa_private_segment_fixed_size 0
		.amdhsa_kernarg_size 120
		.amdhsa_user_sgpr_count 15
		.amdhsa_user_sgpr_dispatch_ptr 0
		.amdhsa_user_sgpr_queue_ptr 0
		.amdhsa_user_sgpr_kernarg_segment_ptr 1
		.amdhsa_user_sgpr_dispatch_id 0
		.amdhsa_user_sgpr_private_segment_size 0
		.amdhsa_wavefront_size32 1
		.amdhsa_uses_dynamic_stack 0
		.amdhsa_enable_private_segment 0
		.amdhsa_system_sgpr_workgroup_id_x 1
		.amdhsa_system_sgpr_workgroup_id_y 0
		.amdhsa_system_sgpr_workgroup_id_z 0
		.amdhsa_system_sgpr_workgroup_info 0
		.amdhsa_system_vgpr_workitem_id 0
		.amdhsa_next_free_vgpr 1
		.amdhsa_next_free_sgpr 1
		.amdhsa_reserve_vcc 0
		.amdhsa_float_round_mode_32 0
		.amdhsa_float_round_mode_16_64 0
		.amdhsa_float_denorm_mode_32 3
		.amdhsa_float_denorm_mode_16_64 3
		.amdhsa_dx10_clamp 1
		.amdhsa_ieee_mode 1
		.amdhsa_fp16_overflow 0
		.amdhsa_workgroup_processor_mode 1
		.amdhsa_memory_ordered 1
		.amdhsa_forward_progress 0
		.amdhsa_shared_vgpr_count 0
		.amdhsa_exception_fp_ieee_invalid_op 0
		.amdhsa_exception_fp_denorm_src 0
		.amdhsa_exception_fp_ieee_div_zero 0
		.amdhsa_exception_fp_ieee_overflow 0
		.amdhsa_exception_fp_ieee_underflow 0
		.amdhsa_exception_fp_ieee_inexact 0
		.amdhsa_exception_int_div_zero 0
	.end_amdhsa_kernel
	.section	.text._ZN7rocprim17ROCPRIM_400000_NS6detail17trampoline_kernelINS0_14default_configENS1_29reduce_by_key_config_selectorIiiN6thrust23THRUST_200600_302600_NS4plusIiEEEEZZNS1_33reduce_by_key_impl_wrapped_configILNS1_25lookback_scan_determinismE0ES3_S9_NS6_10device_ptrIiEESD_SD_SD_PmS8_NS6_8equal_toIiEEEE10hipError_tPvRmT2_T3_mT4_T5_T6_T7_T8_P12ihipStream_tbENKUlT_T0_E_clISt17integral_constantIbLb0EESX_IbLb1EEEEDaST_SU_EUlST_E_NS1_11comp_targetILNS1_3genE3ELNS1_11target_archE908ELNS1_3gpuE7ELNS1_3repE0EEENS1_30default_config_static_selectorELNS0_4arch9wavefront6targetE0EEEvT1_,"axG",@progbits,_ZN7rocprim17ROCPRIM_400000_NS6detail17trampoline_kernelINS0_14default_configENS1_29reduce_by_key_config_selectorIiiN6thrust23THRUST_200600_302600_NS4plusIiEEEEZZNS1_33reduce_by_key_impl_wrapped_configILNS1_25lookback_scan_determinismE0ES3_S9_NS6_10device_ptrIiEESD_SD_SD_PmS8_NS6_8equal_toIiEEEE10hipError_tPvRmT2_T3_mT4_T5_T6_T7_T8_P12ihipStream_tbENKUlT_T0_E_clISt17integral_constantIbLb0EESX_IbLb1EEEEDaST_SU_EUlST_E_NS1_11comp_targetILNS1_3genE3ELNS1_11target_archE908ELNS1_3gpuE7ELNS1_3repE0EEENS1_30default_config_static_selectorELNS0_4arch9wavefront6targetE0EEEvT1_,comdat
.Lfunc_end1124:
	.size	_ZN7rocprim17ROCPRIM_400000_NS6detail17trampoline_kernelINS0_14default_configENS1_29reduce_by_key_config_selectorIiiN6thrust23THRUST_200600_302600_NS4plusIiEEEEZZNS1_33reduce_by_key_impl_wrapped_configILNS1_25lookback_scan_determinismE0ES3_S9_NS6_10device_ptrIiEESD_SD_SD_PmS8_NS6_8equal_toIiEEEE10hipError_tPvRmT2_T3_mT4_T5_T6_T7_T8_P12ihipStream_tbENKUlT_T0_E_clISt17integral_constantIbLb0EESX_IbLb1EEEEDaST_SU_EUlST_E_NS1_11comp_targetILNS1_3genE3ELNS1_11target_archE908ELNS1_3gpuE7ELNS1_3repE0EEENS1_30default_config_static_selectorELNS0_4arch9wavefront6targetE0EEEvT1_, .Lfunc_end1124-_ZN7rocprim17ROCPRIM_400000_NS6detail17trampoline_kernelINS0_14default_configENS1_29reduce_by_key_config_selectorIiiN6thrust23THRUST_200600_302600_NS4plusIiEEEEZZNS1_33reduce_by_key_impl_wrapped_configILNS1_25lookback_scan_determinismE0ES3_S9_NS6_10device_ptrIiEESD_SD_SD_PmS8_NS6_8equal_toIiEEEE10hipError_tPvRmT2_T3_mT4_T5_T6_T7_T8_P12ihipStream_tbENKUlT_T0_E_clISt17integral_constantIbLb0EESX_IbLb1EEEEDaST_SU_EUlST_E_NS1_11comp_targetILNS1_3genE3ELNS1_11target_archE908ELNS1_3gpuE7ELNS1_3repE0EEENS1_30default_config_static_selectorELNS0_4arch9wavefront6targetE0EEEvT1_
                                        ; -- End function
	.section	.AMDGPU.csdata,"",@progbits
; Kernel info:
; codeLenInByte = 0
; NumSgprs: 0
; NumVgprs: 0
; ScratchSize: 0
; MemoryBound: 0
; FloatMode: 240
; IeeeMode: 1
; LDSByteSize: 0 bytes/workgroup (compile time only)
; SGPRBlocks: 0
; VGPRBlocks: 0
; NumSGPRsForWavesPerEU: 1
; NumVGPRsForWavesPerEU: 1
; Occupancy: 16
; WaveLimiterHint : 0
; COMPUTE_PGM_RSRC2:SCRATCH_EN: 0
; COMPUTE_PGM_RSRC2:USER_SGPR: 15
; COMPUTE_PGM_RSRC2:TRAP_HANDLER: 0
; COMPUTE_PGM_RSRC2:TGID_X_EN: 1
; COMPUTE_PGM_RSRC2:TGID_Y_EN: 0
; COMPUTE_PGM_RSRC2:TGID_Z_EN: 0
; COMPUTE_PGM_RSRC2:TIDIG_COMP_CNT: 0
	.section	.text._ZN7rocprim17ROCPRIM_400000_NS6detail17trampoline_kernelINS0_14default_configENS1_29reduce_by_key_config_selectorIiiN6thrust23THRUST_200600_302600_NS4plusIiEEEEZZNS1_33reduce_by_key_impl_wrapped_configILNS1_25lookback_scan_determinismE0ES3_S9_NS6_10device_ptrIiEESD_SD_SD_PmS8_NS6_8equal_toIiEEEE10hipError_tPvRmT2_T3_mT4_T5_T6_T7_T8_P12ihipStream_tbENKUlT_T0_E_clISt17integral_constantIbLb0EESX_IbLb1EEEEDaST_SU_EUlST_E_NS1_11comp_targetILNS1_3genE2ELNS1_11target_archE906ELNS1_3gpuE6ELNS1_3repE0EEENS1_30default_config_static_selectorELNS0_4arch9wavefront6targetE0EEEvT1_,"axG",@progbits,_ZN7rocprim17ROCPRIM_400000_NS6detail17trampoline_kernelINS0_14default_configENS1_29reduce_by_key_config_selectorIiiN6thrust23THRUST_200600_302600_NS4plusIiEEEEZZNS1_33reduce_by_key_impl_wrapped_configILNS1_25lookback_scan_determinismE0ES3_S9_NS6_10device_ptrIiEESD_SD_SD_PmS8_NS6_8equal_toIiEEEE10hipError_tPvRmT2_T3_mT4_T5_T6_T7_T8_P12ihipStream_tbENKUlT_T0_E_clISt17integral_constantIbLb0EESX_IbLb1EEEEDaST_SU_EUlST_E_NS1_11comp_targetILNS1_3genE2ELNS1_11target_archE906ELNS1_3gpuE6ELNS1_3repE0EEENS1_30default_config_static_selectorELNS0_4arch9wavefront6targetE0EEEvT1_,comdat
	.protected	_ZN7rocprim17ROCPRIM_400000_NS6detail17trampoline_kernelINS0_14default_configENS1_29reduce_by_key_config_selectorIiiN6thrust23THRUST_200600_302600_NS4plusIiEEEEZZNS1_33reduce_by_key_impl_wrapped_configILNS1_25lookback_scan_determinismE0ES3_S9_NS6_10device_ptrIiEESD_SD_SD_PmS8_NS6_8equal_toIiEEEE10hipError_tPvRmT2_T3_mT4_T5_T6_T7_T8_P12ihipStream_tbENKUlT_T0_E_clISt17integral_constantIbLb0EESX_IbLb1EEEEDaST_SU_EUlST_E_NS1_11comp_targetILNS1_3genE2ELNS1_11target_archE906ELNS1_3gpuE6ELNS1_3repE0EEENS1_30default_config_static_selectorELNS0_4arch9wavefront6targetE0EEEvT1_ ; -- Begin function _ZN7rocprim17ROCPRIM_400000_NS6detail17trampoline_kernelINS0_14default_configENS1_29reduce_by_key_config_selectorIiiN6thrust23THRUST_200600_302600_NS4plusIiEEEEZZNS1_33reduce_by_key_impl_wrapped_configILNS1_25lookback_scan_determinismE0ES3_S9_NS6_10device_ptrIiEESD_SD_SD_PmS8_NS6_8equal_toIiEEEE10hipError_tPvRmT2_T3_mT4_T5_T6_T7_T8_P12ihipStream_tbENKUlT_T0_E_clISt17integral_constantIbLb0EESX_IbLb1EEEEDaST_SU_EUlST_E_NS1_11comp_targetILNS1_3genE2ELNS1_11target_archE906ELNS1_3gpuE6ELNS1_3repE0EEENS1_30default_config_static_selectorELNS0_4arch9wavefront6targetE0EEEvT1_
	.globl	_ZN7rocprim17ROCPRIM_400000_NS6detail17trampoline_kernelINS0_14default_configENS1_29reduce_by_key_config_selectorIiiN6thrust23THRUST_200600_302600_NS4plusIiEEEEZZNS1_33reduce_by_key_impl_wrapped_configILNS1_25lookback_scan_determinismE0ES3_S9_NS6_10device_ptrIiEESD_SD_SD_PmS8_NS6_8equal_toIiEEEE10hipError_tPvRmT2_T3_mT4_T5_T6_T7_T8_P12ihipStream_tbENKUlT_T0_E_clISt17integral_constantIbLb0EESX_IbLb1EEEEDaST_SU_EUlST_E_NS1_11comp_targetILNS1_3genE2ELNS1_11target_archE906ELNS1_3gpuE6ELNS1_3repE0EEENS1_30default_config_static_selectorELNS0_4arch9wavefront6targetE0EEEvT1_
	.p2align	8
	.type	_ZN7rocprim17ROCPRIM_400000_NS6detail17trampoline_kernelINS0_14default_configENS1_29reduce_by_key_config_selectorIiiN6thrust23THRUST_200600_302600_NS4plusIiEEEEZZNS1_33reduce_by_key_impl_wrapped_configILNS1_25lookback_scan_determinismE0ES3_S9_NS6_10device_ptrIiEESD_SD_SD_PmS8_NS6_8equal_toIiEEEE10hipError_tPvRmT2_T3_mT4_T5_T6_T7_T8_P12ihipStream_tbENKUlT_T0_E_clISt17integral_constantIbLb0EESX_IbLb1EEEEDaST_SU_EUlST_E_NS1_11comp_targetILNS1_3genE2ELNS1_11target_archE906ELNS1_3gpuE6ELNS1_3repE0EEENS1_30default_config_static_selectorELNS0_4arch9wavefront6targetE0EEEvT1_,@function
_ZN7rocprim17ROCPRIM_400000_NS6detail17trampoline_kernelINS0_14default_configENS1_29reduce_by_key_config_selectorIiiN6thrust23THRUST_200600_302600_NS4plusIiEEEEZZNS1_33reduce_by_key_impl_wrapped_configILNS1_25lookback_scan_determinismE0ES3_S9_NS6_10device_ptrIiEESD_SD_SD_PmS8_NS6_8equal_toIiEEEE10hipError_tPvRmT2_T3_mT4_T5_T6_T7_T8_P12ihipStream_tbENKUlT_T0_E_clISt17integral_constantIbLb0EESX_IbLb1EEEEDaST_SU_EUlST_E_NS1_11comp_targetILNS1_3genE2ELNS1_11target_archE906ELNS1_3gpuE6ELNS1_3repE0EEENS1_30default_config_static_selectorELNS0_4arch9wavefront6targetE0EEEvT1_: ; @_ZN7rocprim17ROCPRIM_400000_NS6detail17trampoline_kernelINS0_14default_configENS1_29reduce_by_key_config_selectorIiiN6thrust23THRUST_200600_302600_NS4plusIiEEEEZZNS1_33reduce_by_key_impl_wrapped_configILNS1_25lookback_scan_determinismE0ES3_S9_NS6_10device_ptrIiEESD_SD_SD_PmS8_NS6_8equal_toIiEEEE10hipError_tPvRmT2_T3_mT4_T5_T6_T7_T8_P12ihipStream_tbENKUlT_T0_E_clISt17integral_constantIbLb0EESX_IbLb1EEEEDaST_SU_EUlST_E_NS1_11comp_targetILNS1_3genE2ELNS1_11target_archE906ELNS1_3gpuE6ELNS1_3repE0EEENS1_30default_config_static_selectorELNS0_4arch9wavefront6targetE0EEEvT1_
; %bb.0:
	.section	.rodata,"a",@progbits
	.p2align	6, 0x0
	.amdhsa_kernel _ZN7rocprim17ROCPRIM_400000_NS6detail17trampoline_kernelINS0_14default_configENS1_29reduce_by_key_config_selectorIiiN6thrust23THRUST_200600_302600_NS4plusIiEEEEZZNS1_33reduce_by_key_impl_wrapped_configILNS1_25lookback_scan_determinismE0ES3_S9_NS6_10device_ptrIiEESD_SD_SD_PmS8_NS6_8equal_toIiEEEE10hipError_tPvRmT2_T3_mT4_T5_T6_T7_T8_P12ihipStream_tbENKUlT_T0_E_clISt17integral_constantIbLb0EESX_IbLb1EEEEDaST_SU_EUlST_E_NS1_11comp_targetILNS1_3genE2ELNS1_11target_archE906ELNS1_3gpuE6ELNS1_3repE0EEENS1_30default_config_static_selectorELNS0_4arch9wavefront6targetE0EEEvT1_
		.amdhsa_group_segment_fixed_size 0
		.amdhsa_private_segment_fixed_size 0
		.amdhsa_kernarg_size 120
		.amdhsa_user_sgpr_count 15
		.amdhsa_user_sgpr_dispatch_ptr 0
		.amdhsa_user_sgpr_queue_ptr 0
		.amdhsa_user_sgpr_kernarg_segment_ptr 1
		.amdhsa_user_sgpr_dispatch_id 0
		.amdhsa_user_sgpr_private_segment_size 0
		.amdhsa_wavefront_size32 1
		.amdhsa_uses_dynamic_stack 0
		.amdhsa_enable_private_segment 0
		.amdhsa_system_sgpr_workgroup_id_x 1
		.amdhsa_system_sgpr_workgroup_id_y 0
		.amdhsa_system_sgpr_workgroup_id_z 0
		.amdhsa_system_sgpr_workgroup_info 0
		.amdhsa_system_vgpr_workitem_id 0
		.amdhsa_next_free_vgpr 1
		.amdhsa_next_free_sgpr 1
		.amdhsa_reserve_vcc 0
		.amdhsa_float_round_mode_32 0
		.amdhsa_float_round_mode_16_64 0
		.amdhsa_float_denorm_mode_32 3
		.amdhsa_float_denorm_mode_16_64 3
		.amdhsa_dx10_clamp 1
		.amdhsa_ieee_mode 1
		.amdhsa_fp16_overflow 0
		.amdhsa_workgroup_processor_mode 1
		.amdhsa_memory_ordered 1
		.amdhsa_forward_progress 0
		.amdhsa_shared_vgpr_count 0
		.amdhsa_exception_fp_ieee_invalid_op 0
		.amdhsa_exception_fp_denorm_src 0
		.amdhsa_exception_fp_ieee_div_zero 0
		.amdhsa_exception_fp_ieee_overflow 0
		.amdhsa_exception_fp_ieee_underflow 0
		.amdhsa_exception_fp_ieee_inexact 0
		.amdhsa_exception_int_div_zero 0
	.end_amdhsa_kernel
	.section	.text._ZN7rocprim17ROCPRIM_400000_NS6detail17trampoline_kernelINS0_14default_configENS1_29reduce_by_key_config_selectorIiiN6thrust23THRUST_200600_302600_NS4plusIiEEEEZZNS1_33reduce_by_key_impl_wrapped_configILNS1_25lookback_scan_determinismE0ES3_S9_NS6_10device_ptrIiEESD_SD_SD_PmS8_NS6_8equal_toIiEEEE10hipError_tPvRmT2_T3_mT4_T5_T6_T7_T8_P12ihipStream_tbENKUlT_T0_E_clISt17integral_constantIbLb0EESX_IbLb1EEEEDaST_SU_EUlST_E_NS1_11comp_targetILNS1_3genE2ELNS1_11target_archE906ELNS1_3gpuE6ELNS1_3repE0EEENS1_30default_config_static_selectorELNS0_4arch9wavefront6targetE0EEEvT1_,"axG",@progbits,_ZN7rocprim17ROCPRIM_400000_NS6detail17trampoline_kernelINS0_14default_configENS1_29reduce_by_key_config_selectorIiiN6thrust23THRUST_200600_302600_NS4plusIiEEEEZZNS1_33reduce_by_key_impl_wrapped_configILNS1_25lookback_scan_determinismE0ES3_S9_NS6_10device_ptrIiEESD_SD_SD_PmS8_NS6_8equal_toIiEEEE10hipError_tPvRmT2_T3_mT4_T5_T6_T7_T8_P12ihipStream_tbENKUlT_T0_E_clISt17integral_constantIbLb0EESX_IbLb1EEEEDaST_SU_EUlST_E_NS1_11comp_targetILNS1_3genE2ELNS1_11target_archE906ELNS1_3gpuE6ELNS1_3repE0EEENS1_30default_config_static_selectorELNS0_4arch9wavefront6targetE0EEEvT1_,comdat
.Lfunc_end1125:
	.size	_ZN7rocprim17ROCPRIM_400000_NS6detail17trampoline_kernelINS0_14default_configENS1_29reduce_by_key_config_selectorIiiN6thrust23THRUST_200600_302600_NS4plusIiEEEEZZNS1_33reduce_by_key_impl_wrapped_configILNS1_25lookback_scan_determinismE0ES3_S9_NS6_10device_ptrIiEESD_SD_SD_PmS8_NS6_8equal_toIiEEEE10hipError_tPvRmT2_T3_mT4_T5_T6_T7_T8_P12ihipStream_tbENKUlT_T0_E_clISt17integral_constantIbLb0EESX_IbLb1EEEEDaST_SU_EUlST_E_NS1_11comp_targetILNS1_3genE2ELNS1_11target_archE906ELNS1_3gpuE6ELNS1_3repE0EEENS1_30default_config_static_selectorELNS0_4arch9wavefront6targetE0EEEvT1_, .Lfunc_end1125-_ZN7rocprim17ROCPRIM_400000_NS6detail17trampoline_kernelINS0_14default_configENS1_29reduce_by_key_config_selectorIiiN6thrust23THRUST_200600_302600_NS4plusIiEEEEZZNS1_33reduce_by_key_impl_wrapped_configILNS1_25lookback_scan_determinismE0ES3_S9_NS6_10device_ptrIiEESD_SD_SD_PmS8_NS6_8equal_toIiEEEE10hipError_tPvRmT2_T3_mT4_T5_T6_T7_T8_P12ihipStream_tbENKUlT_T0_E_clISt17integral_constantIbLb0EESX_IbLb1EEEEDaST_SU_EUlST_E_NS1_11comp_targetILNS1_3genE2ELNS1_11target_archE906ELNS1_3gpuE6ELNS1_3repE0EEENS1_30default_config_static_selectorELNS0_4arch9wavefront6targetE0EEEvT1_
                                        ; -- End function
	.section	.AMDGPU.csdata,"",@progbits
; Kernel info:
; codeLenInByte = 0
; NumSgprs: 0
; NumVgprs: 0
; ScratchSize: 0
; MemoryBound: 0
; FloatMode: 240
; IeeeMode: 1
; LDSByteSize: 0 bytes/workgroup (compile time only)
; SGPRBlocks: 0
; VGPRBlocks: 0
; NumSGPRsForWavesPerEU: 1
; NumVGPRsForWavesPerEU: 1
; Occupancy: 16
; WaveLimiterHint : 0
; COMPUTE_PGM_RSRC2:SCRATCH_EN: 0
; COMPUTE_PGM_RSRC2:USER_SGPR: 15
; COMPUTE_PGM_RSRC2:TRAP_HANDLER: 0
; COMPUTE_PGM_RSRC2:TGID_X_EN: 1
; COMPUTE_PGM_RSRC2:TGID_Y_EN: 0
; COMPUTE_PGM_RSRC2:TGID_Z_EN: 0
; COMPUTE_PGM_RSRC2:TIDIG_COMP_CNT: 0
	.section	.text._ZN7rocprim17ROCPRIM_400000_NS6detail17trampoline_kernelINS0_14default_configENS1_29reduce_by_key_config_selectorIiiN6thrust23THRUST_200600_302600_NS4plusIiEEEEZZNS1_33reduce_by_key_impl_wrapped_configILNS1_25lookback_scan_determinismE0ES3_S9_NS6_10device_ptrIiEESD_SD_SD_PmS8_NS6_8equal_toIiEEEE10hipError_tPvRmT2_T3_mT4_T5_T6_T7_T8_P12ihipStream_tbENKUlT_T0_E_clISt17integral_constantIbLb0EESX_IbLb1EEEEDaST_SU_EUlST_E_NS1_11comp_targetILNS1_3genE10ELNS1_11target_archE1201ELNS1_3gpuE5ELNS1_3repE0EEENS1_30default_config_static_selectorELNS0_4arch9wavefront6targetE0EEEvT1_,"axG",@progbits,_ZN7rocprim17ROCPRIM_400000_NS6detail17trampoline_kernelINS0_14default_configENS1_29reduce_by_key_config_selectorIiiN6thrust23THRUST_200600_302600_NS4plusIiEEEEZZNS1_33reduce_by_key_impl_wrapped_configILNS1_25lookback_scan_determinismE0ES3_S9_NS6_10device_ptrIiEESD_SD_SD_PmS8_NS6_8equal_toIiEEEE10hipError_tPvRmT2_T3_mT4_T5_T6_T7_T8_P12ihipStream_tbENKUlT_T0_E_clISt17integral_constantIbLb0EESX_IbLb1EEEEDaST_SU_EUlST_E_NS1_11comp_targetILNS1_3genE10ELNS1_11target_archE1201ELNS1_3gpuE5ELNS1_3repE0EEENS1_30default_config_static_selectorELNS0_4arch9wavefront6targetE0EEEvT1_,comdat
	.protected	_ZN7rocprim17ROCPRIM_400000_NS6detail17trampoline_kernelINS0_14default_configENS1_29reduce_by_key_config_selectorIiiN6thrust23THRUST_200600_302600_NS4plusIiEEEEZZNS1_33reduce_by_key_impl_wrapped_configILNS1_25lookback_scan_determinismE0ES3_S9_NS6_10device_ptrIiEESD_SD_SD_PmS8_NS6_8equal_toIiEEEE10hipError_tPvRmT2_T3_mT4_T5_T6_T7_T8_P12ihipStream_tbENKUlT_T0_E_clISt17integral_constantIbLb0EESX_IbLb1EEEEDaST_SU_EUlST_E_NS1_11comp_targetILNS1_3genE10ELNS1_11target_archE1201ELNS1_3gpuE5ELNS1_3repE0EEENS1_30default_config_static_selectorELNS0_4arch9wavefront6targetE0EEEvT1_ ; -- Begin function _ZN7rocprim17ROCPRIM_400000_NS6detail17trampoline_kernelINS0_14default_configENS1_29reduce_by_key_config_selectorIiiN6thrust23THRUST_200600_302600_NS4plusIiEEEEZZNS1_33reduce_by_key_impl_wrapped_configILNS1_25lookback_scan_determinismE0ES3_S9_NS6_10device_ptrIiEESD_SD_SD_PmS8_NS6_8equal_toIiEEEE10hipError_tPvRmT2_T3_mT4_T5_T6_T7_T8_P12ihipStream_tbENKUlT_T0_E_clISt17integral_constantIbLb0EESX_IbLb1EEEEDaST_SU_EUlST_E_NS1_11comp_targetILNS1_3genE10ELNS1_11target_archE1201ELNS1_3gpuE5ELNS1_3repE0EEENS1_30default_config_static_selectorELNS0_4arch9wavefront6targetE0EEEvT1_
	.globl	_ZN7rocprim17ROCPRIM_400000_NS6detail17trampoline_kernelINS0_14default_configENS1_29reduce_by_key_config_selectorIiiN6thrust23THRUST_200600_302600_NS4plusIiEEEEZZNS1_33reduce_by_key_impl_wrapped_configILNS1_25lookback_scan_determinismE0ES3_S9_NS6_10device_ptrIiEESD_SD_SD_PmS8_NS6_8equal_toIiEEEE10hipError_tPvRmT2_T3_mT4_T5_T6_T7_T8_P12ihipStream_tbENKUlT_T0_E_clISt17integral_constantIbLb0EESX_IbLb1EEEEDaST_SU_EUlST_E_NS1_11comp_targetILNS1_3genE10ELNS1_11target_archE1201ELNS1_3gpuE5ELNS1_3repE0EEENS1_30default_config_static_selectorELNS0_4arch9wavefront6targetE0EEEvT1_
	.p2align	8
	.type	_ZN7rocprim17ROCPRIM_400000_NS6detail17trampoline_kernelINS0_14default_configENS1_29reduce_by_key_config_selectorIiiN6thrust23THRUST_200600_302600_NS4plusIiEEEEZZNS1_33reduce_by_key_impl_wrapped_configILNS1_25lookback_scan_determinismE0ES3_S9_NS6_10device_ptrIiEESD_SD_SD_PmS8_NS6_8equal_toIiEEEE10hipError_tPvRmT2_T3_mT4_T5_T6_T7_T8_P12ihipStream_tbENKUlT_T0_E_clISt17integral_constantIbLb0EESX_IbLb1EEEEDaST_SU_EUlST_E_NS1_11comp_targetILNS1_3genE10ELNS1_11target_archE1201ELNS1_3gpuE5ELNS1_3repE0EEENS1_30default_config_static_selectorELNS0_4arch9wavefront6targetE0EEEvT1_,@function
_ZN7rocprim17ROCPRIM_400000_NS6detail17trampoline_kernelINS0_14default_configENS1_29reduce_by_key_config_selectorIiiN6thrust23THRUST_200600_302600_NS4plusIiEEEEZZNS1_33reduce_by_key_impl_wrapped_configILNS1_25lookback_scan_determinismE0ES3_S9_NS6_10device_ptrIiEESD_SD_SD_PmS8_NS6_8equal_toIiEEEE10hipError_tPvRmT2_T3_mT4_T5_T6_T7_T8_P12ihipStream_tbENKUlT_T0_E_clISt17integral_constantIbLb0EESX_IbLb1EEEEDaST_SU_EUlST_E_NS1_11comp_targetILNS1_3genE10ELNS1_11target_archE1201ELNS1_3gpuE5ELNS1_3repE0EEENS1_30default_config_static_selectorELNS0_4arch9wavefront6targetE0EEEvT1_: ; @_ZN7rocprim17ROCPRIM_400000_NS6detail17trampoline_kernelINS0_14default_configENS1_29reduce_by_key_config_selectorIiiN6thrust23THRUST_200600_302600_NS4plusIiEEEEZZNS1_33reduce_by_key_impl_wrapped_configILNS1_25lookback_scan_determinismE0ES3_S9_NS6_10device_ptrIiEESD_SD_SD_PmS8_NS6_8equal_toIiEEEE10hipError_tPvRmT2_T3_mT4_T5_T6_T7_T8_P12ihipStream_tbENKUlT_T0_E_clISt17integral_constantIbLb0EESX_IbLb1EEEEDaST_SU_EUlST_E_NS1_11comp_targetILNS1_3genE10ELNS1_11target_archE1201ELNS1_3gpuE5ELNS1_3repE0EEENS1_30default_config_static_selectorELNS0_4arch9wavefront6targetE0EEEvT1_
; %bb.0:
	.section	.rodata,"a",@progbits
	.p2align	6, 0x0
	.amdhsa_kernel _ZN7rocprim17ROCPRIM_400000_NS6detail17trampoline_kernelINS0_14default_configENS1_29reduce_by_key_config_selectorIiiN6thrust23THRUST_200600_302600_NS4plusIiEEEEZZNS1_33reduce_by_key_impl_wrapped_configILNS1_25lookback_scan_determinismE0ES3_S9_NS6_10device_ptrIiEESD_SD_SD_PmS8_NS6_8equal_toIiEEEE10hipError_tPvRmT2_T3_mT4_T5_T6_T7_T8_P12ihipStream_tbENKUlT_T0_E_clISt17integral_constantIbLb0EESX_IbLb1EEEEDaST_SU_EUlST_E_NS1_11comp_targetILNS1_3genE10ELNS1_11target_archE1201ELNS1_3gpuE5ELNS1_3repE0EEENS1_30default_config_static_selectorELNS0_4arch9wavefront6targetE0EEEvT1_
		.amdhsa_group_segment_fixed_size 0
		.amdhsa_private_segment_fixed_size 0
		.amdhsa_kernarg_size 120
		.amdhsa_user_sgpr_count 15
		.amdhsa_user_sgpr_dispatch_ptr 0
		.amdhsa_user_sgpr_queue_ptr 0
		.amdhsa_user_sgpr_kernarg_segment_ptr 1
		.amdhsa_user_sgpr_dispatch_id 0
		.amdhsa_user_sgpr_private_segment_size 0
		.amdhsa_wavefront_size32 1
		.amdhsa_uses_dynamic_stack 0
		.amdhsa_enable_private_segment 0
		.amdhsa_system_sgpr_workgroup_id_x 1
		.amdhsa_system_sgpr_workgroup_id_y 0
		.amdhsa_system_sgpr_workgroup_id_z 0
		.amdhsa_system_sgpr_workgroup_info 0
		.amdhsa_system_vgpr_workitem_id 0
		.amdhsa_next_free_vgpr 1
		.amdhsa_next_free_sgpr 1
		.amdhsa_reserve_vcc 0
		.amdhsa_float_round_mode_32 0
		.amdhsa_float_round_mode_16_64 0
		.amdhsa_float_denorm_mode_32 3
		.amdhsa_float_denorm_mode_16_64 3
		.amdhsa_dx10_clamp 1
		.amdhsa_ieee_mode 1
		.amdhsa_fp16_overflow 0
		.amdhsa_workgroup_processor_mode 1
		.amdhsa_memory_ordered 1
		.amdhsa_forward_progress 0
		.amdhsa_shared_vgpr_count 0
		.amdhsa_exception_fp_ieee_invalid_op 0
		.amdhsa_exception_fp_denorm_src 0
		.amdhsa_exception_fp_ieee_div_zero 0
		.amdhsa_exception_fp_ieee_overflow 0
		.amdhsa_exception_fp_ieee_underflow 0
		.amdhsa_exception_fp_ieee_inexact 0
		.amdhsa_exception_int_div_zero 0
	.end_amdhsa_kernel
	.section	.text._ZN7rocprim17ROCPRIM_400000_NS6detail17trampoline_kernelINS0_14default_configENS1_29reduce_by_key_config_selectorIiiN6thrust23THRUST_200600_302600_NS4plusIiEEEEZZNS1_33reduce_by_key_impl_wrapped_configILNS1_25lookback_scan_determinismE0ES3_S9_NS6_10device_ptrIiEESD_SD_SD_PmS8_NS6_8equal_toIiEEEE10hipError_tPvRmT2_T3_mT4_T5_T6_T7_T8_P12ihipStream_tbENKUlT_T0_E_clISt17integral_constantIbLb0EESX_IbLb1EEEEDaST_SU_EUlST_E_NS1_11comp_targetILNS1_3genE10ELNS1_11target_archE1201ELNS1_3gpuE5ELNS1_3repE0EEENS1_30default_config_static_selectorELNS0_4arch9wavefront6targetE0EEEvT1_,"axG",@progbits,_ZN7rocprim17ROCPRIM_400000_NS6detail17trampoline_kernelINS0_14default_configENS1_29reduce_by_key_config_selectorIiiN6thrust23THRUST_200600_302600_NS4plusIiEEEEZZNS1_33reduce_by_key_impl_wrapped_configILNS1_25lookback_scan_determinismE0ES3_S9_NS6_10device_ptrIiEESD_SD_SD_PmS8_NS6_8equal_toIiEEEE10hipError_tPvRmT2_T3_mT4_T5_T6_T7_T8_P12ihipStream_tbENKUlT_T0_E_clISt17integral_constantIbLb0EESX_IbLb1EEEEDaST_SU_EUlST_E_NS1_11comp_targetILNS1_3genE10ELNS1_11target_archE1201ELNS1_3gpuE5ELNS1_3repE0EEENS1_30default_config_static_selectorELNS0_4arch9wavefront6targetE0EEEvT1_,comdat
.Lfunc_end1126:
	.size	_ZN7rocprim17ROCPRIM_400000_NS6detail17trampoline_kernelINS0_14default_configENS1_29reduce_by_key_config_selectorIiiN6thrust23THRUST_200600_302600_NS4plusIiEEEEZZNS1_33reduce_by_key_impl_wrapped_configILNS1_25lookback_scan_determinismE0ES3_S9_NS6_10device_ptrIiEESD_SD_SD_PmS8_NS6_8equal_toIiEEEE10hipError_tPvRmT2_T3_mT4_T5_T6_T7_T8_P12ihipStream_tbENKUlT_T0_E_clISt17integral_constantIbLb0EESX_IbLb1EEEEDaST_SU_EUlST_E_NS1_11comp_targetILNS1_3genE10ELNS1_11target_archE1201ELNS1_3gpuE5ELNS1_3repE0EEENS1_30default_config_static_selectorELNS0_4arch9wavefront6targetE0EEEvT1_, .Lfunc_end1126-_ZN7rocprim17ROCPRIM_400000_NS6detail17trampoline_kernelINS0_14default_configENS1_29reduce_by_key_config_selectorIiiN6thrust23THRUST_200600_302600_NS4plusIiEEEEZZNS1_33reduce_by_key_impl_wrapped_configILNS1_25lookback_scan_determinismE0ES3_S9_NS6_10device_ptrIiEESD_SD_SD_PmS8_NS6_8equal_toIiEEEE10hipError_tPvRmT2_T3_mT4_T5_T6_T7_T8_P12ihipStream_tbENKUlT_T0_E_clISt17integral_constantIbLb0EESX_IbLb1EEEEDaST_SU_EUlST_E_NS1_11comp_targetILNS1_3genE10ELNS1_11target_archE1201ELNS1_3gpuE5ELNS1_3repE0EEENS1_30default_config_static_selectorELNS0_4arch9wavefront6targetE0EEEvT1_
                                        ; -- End function
	.section	.AMDGPU.csdata,"",@progbits
; Kernel info:
; codeLenInByte = 0
; NumSgprs: 0
; NumVgprs: 0
; ScratchSize: 0
; MemoryBound: 0
; FloatMode: 240
; IeeeMode: 1
; LDSByteSize: 0 bytes/workgroup (compile time only)
; SGPRBlocks: 0
; VGPRBlocks: 0
; NumSGPRsForWavesPerEU: 1
; NumVGPRsForWavesPerEU: 1
; Occupancy: 16
; WaveLimiterHint : 0
; COMPUTE_PGM_RSRC2:SCRATCH_EN: 0
; COMPUTE_PGM_RSRC2:USER_SGPR: 15
; COMPUTE_PGM_RSRC2:TRAP_HANDLER: 0
; COMPUTE_PGM_RSRC2:TGID_X_EN: 1
; COMPUTE_PGM_RSRC2:TGID_Y_EN: 0
; COMPUTE_PGM_RSRC2:TGID_Z_EN: 0
; COMPUTE_PGM_RSRC2:TIDIG_COMP_CNT: 0
	.section	.text._ZN7rocprim17ROCPRIM_400000_NS6detail17trampoline_kernelINS0_14default_configENS1_29reduce_by_key_config_selectorIiiN6thrust23THRUST_200600_302600_NS4plusIiEEEEZZNS1_33reduce_by_key_impl_wrapped_configILNS1_25lookback_scan_determinismE0ES3_S9_NS6_10device_ptrIiEESD_SD_SD_PmS8_NS6_8equal_toIiEEEE10hipError_tPvRmT2_T3_mT4_T5_T6_T7_T8_P12ihipStream_tbENKUlT_T0_E_clISt17integral_constantIbLb0EESX_IbLb1EEEEDaST_SU_EUlST_E_NS1_11comp_targetILNS1_3genE10ELNS1_11target_archE1200ELNS1_3gpuE4ELNS1_3repE0EEENS1_30default_config_static_selectorELNS0_4arch9wavefront6targetE0EEEvT1_,"axG",@progbits,_ZN7rocprim17ROCPRIM_400000_NS6detail17trampoline_kernelINS0_14default_configENS1_29reduce_by_key_config_selectorIiiN6thrust23THRUST_200600_302600_NS4plusIiEEEEZZNS1_33reduce_by_key_impl_wrapped_configILNS1_25lookback_scan_determinismE0ES3_S9_NS6_10device_ptrIiEESD_SD_SD_PmS8_NS6_8equal_toIiEEEE10hipError_tPvRmT2_T3_mT4_T5_T6_T7_T8_P12ihipStream_tbENKUlT_T0_E_clISt17integral_constantIbLb0EESX_IbLb1EEEEDaST_SU_EUlST_E_NS1_11comp_targetILNS1_3genE10ELNS1_11target_archE1200ELNS1_3gpuE4ELNS1_3repE0EEENS1_30default_config_static_selectorELNS0_4arch9wavefront6targetE0EEEvT1_,comdat
	.protected	_ZN7rocprim17ROCPRIM_400000_NS6detail17trampoline_kernelINS0_14default_configENS1_29reduce_by_key_config_selectorIiiN6thrust23THRUST_200600_302600_NS4plusIiEEEEZZNS1_33reduce_by_key_impl_wrapped_configILNS1_25lookback_scan_determinismE0ES3_S9_NS6_10device_ptrIiEESD_SD_SD_PmS8_NS6_8equal_toIiEEEE10hipError_tPvRmT2_T3_mT4_T5_T6_T7_T8_P12ihipStream_tbENKUlT_T0_E_clISt17integral_constantIbLb0EESX_IbLb1EEEEDaST_SU_EUlST_E_NS1_11comp_targetILNS1_3genE10ELNS1_11target_archE1200ELNS1_3gpuE4ELNS1_3repE0EEENS1_30default_config_static_selectorELNS0_4arch9wavefront6targetE0EEEvT1_ ; -- Begin function _ZN7rocprim17ROCPRIM_400000_NS6detail17trampoline_kernelINS0_14default_configENS1_29reduce_by_key_config_selectorIiiN6thrust23THRUST_200600_302600_NS4plusIiEEEEZZNS1_33reduce_by_key_impl_wrapped_configILNS1_25lookback_scan_determinismE0ES3_S9_NS6_10device_ptrIiEESD_SD_SD_PmS8_NS6_8equal_toIiEEEE10hipError_tPvRmT2_T3_mT4_T5_T6_T7_T8_P12ihipStream_tbENKUlT_T0_E_clISt17integral_constantIbLb0EESX_IbLb1EEEEDaST_SU_EUlST_E_NS1_11comp_targetILNS1_3genE10ELNS1_11target_archE1200ELNS1_3gpuE4ELNS1_3repE0EEENS1_30default_config_static_selectorELNS0_4arch9wavefront6targetE0EEEvT1_
	.globl	_ZN7rocprim17ROCPRIM_400000_NS6detail17trampoline_kernelINS0_14default_configENS1_29reduce_by_key_config_selectorIiiN6thrust23THRUST_200600_302600_NS4plusIiEEEEZZNS1_33reduce_by_key_impl_wrapped_configILNS1_25lookback_scan_determinismE0ES3_S9_NS6_10device_ptrIiEESD_SD_SD_PmS8_NS6_8equal_toIiEEEE10hipError_tPvRmT2_T3_mT4_T5_T6_T7_T8_P12ihipStream_tbENKUlT_T0_E_clISt17integral_constantIbLb0EESX_IbLb1EEEEDaST_SU_EUlST_E_NS1_11comp_targetILNS1_3genE10ELNS1_11target_archE1200ELNS1_3gpuE4ELNS1_3repE0EEENS1_30default_config_static_selectorELNS0_4arch9wavefront6targetE0EEEvT1_
	.p2align	8
	.type	_ZN7rocprim17ROCPRIM_400000_NS6detail17trampoline_kernelINS0_14default_configENS1_29reduce_by_key_config_selectorIiiN6thrust23THRUST_200600_302600_NS4plusIiEEEEZZNS1_33reduce_by_key_impl_wrapped_configILNS1_25lookback_scan_determinismE0ES3_S9_NS6_10device_ptrIiEESD_SD_SD_PmS8_NS6_8equal_toIiEEEE10hipError_tPvRmT2_T3_mT4_T5_T6_T7_T8_P12ihipStream_tbENKUlT_T0_E_clISt17integral_constantIbLb0EESX_IbLb1EEEEDaST_SU_EUlST_E_NS1_11comp_targetILNS1_3genE10ELNS1_11target_archE1200ELNS1_3gpuE4ELNS1_3repE0EEENS1_30default_config_static_selectorELNS0_4arch9wavefront6targetE0EEEvT1_,@function
_ZN7rocprim17ROCPRIM_400000_NS6detail17trampoline_kernelINS0_14default_configENS1_29reduce_by_key_config_selectorIiiN6thrust23THRUST_200600_302600_NS4plusIiEEEEZZNS1_33reduce_by_key_impl_wrapped_configILNS1_25lookback_scan_determinismE0ES3_S9_NS6_10device_ptrIiEESD_SD_SD_PmS8_NS6_8equal_toIiEEEE10hipError_tPvRmT2_T3_mT4_T5_T6_T7_T8_P12ihipStream_tbENKUlT_T0_E_clISt17integral_constantIbLb0EESX_IbLb1EEEEDaST_SU_EUlST_E_NS1_11comp_targetILNS1_3genE10ELNS1_11target_archE1200ELNS1_3gpuE4ELNS1_3repE0EEENS1_30default_config_static_selectorELNS0_4arch9wavefront6targetE0EEEvT1_: ; @_ZN7rocprim17ROCPRIM_400000_NS6detail17trampoline_kernelINS0_14default_configENS1_29reduce_by_key_config_selectorIiiN6thrust23THRUST_200600_302600_NS4plusIiEEEEZZNS1_33reduce_by_key_impl_wrapped_configILNS1_25lookback_scan_determinismE0ES3_S9_NS6_10device_ptrIiEESD_SD_SD_PmS8_NS6_8equal_toIiEEEE10hipError_tPvRmT2_T3_mT4_T5_T6_T7_T8_P12ihipStream_tbENKUlT_T0_E_clISt17integral_constantIbLb0EESX_IbLb1EEEEDaST_SU_EUlST_E_NS1_11comp_targetILNS1_3genE10ELNS1_11target_archE1200ELNS1_3gpuE4ELNS1_3repE0EEENS1_30default_config_static_selectorELNS0_4arch9wavefront6targetE0EEEvT1_
; %bb.0:
	.section	.rodata,"a",@progbits
	.p2align	6, 0x0
	.amdhsa_kernel _ZN7rocprim17ROCPRIM_400000_NS6detail17trampoline_kernelINS0_14default_configENS1_29reduce_by_key_config_selectorIiiN6thrust23THRUST_200600_302600_NS4plusIiEEEEZZNS1_33reduce_by_key_impl_wrapped_configILNS1_25lookback_scan_determinismE0ES3_S9_NS6_10device_ptrIiEESD_SD_SD_PmS8_NS6_8equal_toIiEEEE10hipError_tPvRmT2_T3_mT4_T5_T6_T7_T8_P12ihipStream_tbENKUlT_T0_E_clISt17integral_constantIbLb0EESX_IbLb1EEEEDaST_SU_EUlST_E_NS1_11comp_targetILNS1_3genE10ELNS1_11target_archE1200ELNS1_3gpuE4ELNS1_3repE0EEENS1_30default_config_static_selectorELNS0_4arch9wavefront6targetE0EEEvT1_
		.amdhsa_group_segment_fixed_size 0
		.amdhsa_private_segment_fixed_size 0
		.amdhsa_kernarg_size 120
		.amdhsa_user_sgpr_count 15
		.amdhsa_user_sgpr_dispatch_ptr 0
		.amdhsa_user_sgpr_queue_ptr 0
		.amdhsa_user_sgpr_kernarg_segment_ptr 1
		.amdhsa_user_sgpr_dispatch_id 0
		.amdhsa_user_sgpr_private_segment_size 0
		.amdhsa_wavefront_size32 1
		.amdhsa_uses_dynamic_stack 0
		.amdhsa_enable_private_segment 0
		.amdhsa_system_sgpr_workgroup_id_x 1
		.amdhsa_system_sgpr_workgroup_id_y 0
		.amdhsa_system_sgpr_workgroup_id_z 0
		.amdhsa_system_sgpr_workgroup_info 0
		.amdhsa_system_vgpr_workitem_id 0
		.amdhsa_next_free_vgpr 1
		.amdhsa_next_free_sgpr 1
		.amdhsa_reserve_vcc 0
		.amdhsa_float_round_mode_32 0
		.amdhsa_float_round_mode_16_64 0
		.amdhsa_float_denorm_mode_32 3
		.amdhsa_float_denorm_mode_16_64 3
		.amdhsa_dx10_clamp 1
		.amdhsa_ieee_mode 1
		.amdhsa_fp16_overflow 0
		.amdhsa_workgroup_processor_mode 1
		.amdhsa_memory_ordered 1
		.amdhsa_forward_progress 0
		.amdhsa_shared_vgpr_count 0
		.amdhsa_exception_fp_ieee_invalid_op 0
		.amdhsa_exception_fp_denorm_src 0
		.amdhsa_exception_fp_ieee_div_zero 0
		.amdhsa_exception_fp_ieee_overflow 0
		.amdhsa_exception_fp_ieee_underflow 0
		.amdhsa_exception_fp_ieee_inexact 0
		.amdhsa_exception_int_div_zero 0
	.end_amdhsa_kernel
	.section	.text._ZN7rocprim17ROCPRIM_400000_NS6detail17trampoline_kernelINS0_14default_configENS1_29reduce_by_key_config_selectorIiiN6thrust23THRUST_200600_302600_NS4plusIiEEEEZZNS1_33reduce_by_key_impl_wrapped_configILNS1_25lookback_scan_determinismE0ES3_S9_NS6_10device_ptrIiEESD_SD_SD_PmS8_NS6_8equal_toIiEEEE10hipError_tPvRmT2_T3_mT4_T5_T6_T7_T8_P12ihipStream_tbENKUlT_T0_E_clISt17integral_constantIbLb0EESX_IbLb1EEEEDaST_SU_EUlST_E_NS1_11comp_targetILNS1_3genE10ELNS1_11target_archE1200ELNS1_3gpuE4ELNS1_3repE0EEENS1_30default_config_static_selectorELNS0_4arch9wavefront6targetE0EEEvT1_,"axG",@progbits,_ZN7rocprim17ROCPRIM_400000_NS6detail17trampoline_kernelINS0_14default_configENS1_29reduce_by_key_config_selectorIiiN6thrust23THRUST_200600_302600_NS4plusIiEEEEZZNS1_33reduce_by_key_impl_wrapped_configILNS1_25lookback_scan_determinismE0ES3_S9_NS6_10device_ptrIiEESD_SD_SD_PmS8_NS6_8equal_toIiEEEE10hipError_tPvRmT2_T3_mT4_T5_T6_T7_T8_P12ihipStream_tbENKUlT_T0_E_clISt17integral_constantIbLb0EESX_IbLb1EEEEDaST_SU_EUlST_E_NS1_11comp_targetILNS1_3genE10ELNS1_11target_archE1200ELNS1_3gpuE4ELNS1_3repE0EEENS1_30default_config_static_selectorELNS0_4arch9wavefront6targetE0EEEvT1_,comdat
.Lfunc_end1127:
	.size	_ZN7rocprim17ROCPRIM_400000_NS6detail17trampoline_kernelINS0_14default_configENS1_29reduce_by_key_config_selectorIiiN6thrust23THRUST_200600_302600_NS4plusIiEEEEZZNS1_33reduce_by_key_impl_wrapped_configILNS1_25lookback_scan_determinismE0ES3_S9_NS6_10device_ptrIiEESD_SD_SD_PmS8_NS6_8equal_toIiEEEE10hipError_tPvRmT2_T3_mT4_T5_T6_T7_T8_P12ihipStream_tbENKUlT_T0_E_clISt17integral_constantIbLb0EESX_IbLb1EEEEDaST_SU_EUlST_E_NS1_11comp_targetILNS1_3genE10ELNS1_11target_archE1200ELNS1_3gpuE4ELNS1_3repE0EEENS1_30default_config_static_selectorELNS0_4arch9wavefront6targetE0EEEvT1_, .Lfunc_end1127-_ZN7rocprim17ROCPRIM_400000_NS6detail17trampoline_kernelINS0_14default_configENS1_29reduce_by_key_config_selectorIiiN6thrust23THRUST_200600_302600_NS4plusIiEEEEZZNS1_33reduce_by_key_impl_wrapped_configILNS1_25lookback_scan_determinismE0ES3_S9_NS6_10device_ptrIiEESD_SD_SD_PmS8_NS6_8equal_toIiEEEE10hipError_tPvRmT2_T3_mT4_T5_T6_T7_T8_P12ihipStream_tbENKUlT_T0_E_clISt17integral_constantIbLb0EESX_IbLb1EEEEDaST_SU_EUlST_E_NS1_11comp_targetILNS1_3genE10ELNS1_11target_archE1200ELNS1_3gpuE4ELNS1_3repE0EEENS1_30default_config_static_selectorELNS0_4arch9wavefront6targetE0EEEvT1_
                                        ; -- End function
	.section	.AMDGPU.csdata,"",@progbits
; Kernel info:
; codeLenInByte = 0
; NumSgprs: 0
; NumVgprs: 0
; ScratchSize: 0
; MemoryBound: 0
; FloatMode: 240
; IeeeMode: 1
; LDSByteSize: 0 bytes/workgroup (compile time only)
; SGPRBlocks: 0
; VGPRBlocks: 0
; NumSGPRsForWavesPerEU: 1
; NumVGPRsForWavesPerEU: 1
; Occupancy: 16
; WaveLimiterHint : 0
; COMPUTE_PGM_RSRC2:SCRATCH_EN: 0
; COMPUTE_PGM_RSRC2:USER_SGPR: 15
; COMPUTE_PGM_RSRC2:TRAP_HANDLER: 0
; COMPUTE_PGM_RSRC2:TGID_X_EN: 1
; COMPUTE_PGM_RSRC2:TGID_Y_EN: 0
; COMPUTE_PGM_RSRC2:TGID_Z_EN: 0
; COMPUTE_PGM_RSRC2:TIDIG_COMP_CNT: 0
	.section	.text._ZN7rocprim17ROCPRIM_400000_NS6detail17trampoline_kernelINS0_14default_configENS1_29reduce_by_key_config_selectorIiiN6thrust23THRUST_200600_302600_NS4plusIiEEEEZZNS1_33reduce_by_key_impl_wrapped_configILNS1_25lookback_scan_determinismE0ES3_S9_NS6_10device_ptrIiEESD_SD_SD_PmS8_NS6_8equal_toIiEEEE10hipError_tPvRmT2_T3_mT4_T5_T6_T7_T8_P12ihipStream_tbENKUlT_T0_E_clISt17integral_constantIbLb0EESX_IbLb1EEEEDaST_SU_EUlST_E_NS1_11comp_targetILNS1_3genE9ELNS1_11target_archE1100ELNS1_3gpuE3ELNS1_3repE0EEENS1_30default_config_static_selectorELNS0_4arch9wavefront6targetE0EEEvT1_,"axG",@progbits,_ZN7rocprim17ROCPRIM_400000_NS6detail17trampoline_kernelINS0_14default_configENS1_29reduce_by_key_config_selectorIiiN6thrust23THRUST_200600_302600_NS4plusIiEEEEZZNS1_33reduce_by_key_impl_wrapped_configILNS1_25lookback_scan_determinismE0ES3_S9_NS6_10device_ptrIiEESD_SD_SD_PmS8_NS6_8equal_toIiEEEE10hipError_tPvRmT2_T3_mT4_T5_T6_T7_T8_P12ihipStream_tbENKUlT_T0_E_clISt17integral_constantIbLb0EESX_IbLb1EEEEDaST_SU_EUlST_E_NS1_11comp_targetILNS1_3genE9ELNS1_11target_archE1100ELNS1_3gpuE3ELNS1_3repE0EEENS1_30default_config_static_selectorELNS0_4arch9wavefront6targetE0EEEvT1_,comdat
	.protected	_ZN7rocprim17ROCPRIM_400000_NS6detail17trampoline_kernelINS0_14default_configENS1_29reduce_by_key_config_selectorIiiN6thrust23THRUST_200600_302600_NS4plusIiEEEEZZNS1_33reduce_by_key_impl_wrapped_configILNS1_25lookback_scan_determinismE0ES3_S9_NS6_10device_ptrIiEESD_SD_SD_PmS8_NS6_8equal_toIiEEEE10hipError_tPvRmT2_T3_mT4_T5_T6_T7_T8_P12ihipStream_tbENKUlT_T0_E_clISt17integral_constantIbLb0EESX_IbLb1EEEEDaST_SU_EUlST_E_NS1_11comp_targetILNS1_3genE9ELNS1_11target_archE1100ELNS1_3gpuE3ELNS1_3repE0EEENS1_30default_config_static_selectorELNS0_4arch9wavefront6targetE0EEEvT1_ ; -- Begin function _ZN7rocprim17ROCPRIM_400000_NS6detail17trampoline_kernelINS0_14default_configENS1_29reduce_by_key_config_selectorIiiN6thrust23THRUST_200600_302600_NS4plusIiEEEEZZNS1_33reduce_by_key_impl_wrapped_configILNS1_25lookback_scan_determinismE0ES3_S9_NS6_10device_ptrIiEESD_SD_SD_PmS8_NS6_8equal_toIiEEEE10hipError_tPvRmT2_T3_mT4_T5_T6_T7_T8_P12ihipStream_tbENKUlT_T0_E_clISt17integral_constantIbLb0EESX_IbLb1EEEEDaST_SU_EUlST_E_NS1_11comp_targetILNS1_3genE9ELNS1_11target_archE1100ELNS1_3gpuE3ELNS1_3repE0EEENS1_30default_config_static_selectorELNS0_4arch9wavefront6targetE0EEEvT1_
	.globl	_ZN7rocprim17ROCPRIM_400000_NS6detail17trampoline_kernelINS0_14default_configENS1_29reduce_by_key_config_selectorIiiN6thrust23THRUST_200600_302600_NS4plusIiEEEEZZNS1_33reduce_by_key_impl_wrapped_configILNS1_25lookback_scan_determinismE0ES3_S9_NS6_10device_ptrIiEESD_SD_SD_PmS8_NS6_8equal_toIiEEEE10hipError_tPvRmT2_T3_mT4_T5_T6_T7_T8_P12ihipStream_tbENKUlT_T0_E_clISt17integral_constantIbLb0EESX_IbLb1EEEEDaST_SU_EUlST_E_NS1_11comp_targetILNS1_3genE9ELNS1_11target_archE1100ELNS1_3gpuE3ELNS1_3repE0EEENS1_30default_config_static_selectorELNS0_4arch9wavefront6targetE0EEEvT1_
	.p2align	8
	.type	_ZN7rocprim17ROCPRIM_400000_NS6detail17trampoline_kernelINS0_14default_configENS1_29reduce_by_key_config_selectorIiiN6thrust23THRUST_200600_302600_NS4plusIiEEEEZZNS1_33reduce_by_key_impl_wrapped_configILNS1_25lookback_scan_determinismE0ES3_S9_NS6_10device_ptrIiEESD_SD_SD_PmS8_NS6_8equal_toIiEEEE10hipError_tPvRmT2_T3_mT4_T5_T6_T7_T8_P12ihipStream_tbENKUlT_T0_E_clISt17integral_constantIbLb0EESX_IbLb1EEEEDaST_SU_EUlST_E_NS1_11comp_targetILNS1_3genE9ELNS1_11target_archE1100ELNS1_3gpuE3ELNS1_3repE0EEENS1_30default_config_static_selectorELNS0_4arch9wavefront6targetE0EEEvT1_,@function
_ZN7rocprim17ROCPRIM_400000_NS6detail17trampoline_kernelINS0_14default_configENS1_29reduce_by_key_config_selectorIiiN6thrust23THRUST_200600_302600_NS4plusIiEEEEZZNS1_33reduce_by_key_impl_wrapped_configILNS1_25lookback_scan_determinismE0ES3_S9_NS6_10device_ptrIiEESD_SD_SD_PmS8_NS6_8equal_toIiEEEE10hipError_tPvRmT2_T3_mT4_T5_T6_T7_T8_P12ihipStream_tbENKUlT_T0_E_clISt17integral_constantIbLb0EESX_IbLb1EEEEDaST_SU_EUlST_E_NS1_11comp_targetILNS1_3genE9ELNS1_11target_archE1100ELNS1_3gpuE3ELNS1_3repE0EEENS1_30default_config_static_selectorELNS0_4arch9wavefront6targetE0EEEvT1_: ; @_ZN7rocprim17ROCPRIM_400000_NS6detail17trampoline_kernelINS0_14default_configENS1_29reduce_by_key_config_selectorIiiN6thrust23THRUST_200600_302600_NS4plusIiEEEEZZNS1_33reduce_by_key_impl_wrapped_configILNS1_25lookback_scan_determinismE0ES3_S9_NS6_10device_ptrIiEESD_SD_SD_PmS8_NS6_8equal_toIiEEEE10hipError_tPvRmT2_T3_mT4_T5_T6_T7_T8_P12ihipStream_tbENKUlT_T0_E_clISt17integral_constantIbLb0EESX_IbLb1EEEEDaST_SU_EUlST_E_NS1_11comp_targetILNS1_3genE9ELNS1_11target_archE1100ELNS1_3gpuE3ELNS1_3repE0EEENS1_30default_config_static_selectorELNS0_4arch9wavefront6targetE0EEEvT1_
; %bb.0:
	s_clause 0x4
	s_load_b256 s[12:19], s[0:1], 0x0
	s_load_b128 s[28:31], s[0:1], 0x20
	s_load_b256 s[20:27], s[0:1], 0x38
	s_load_b64 s[34:35], s[0:1], 0x68
	s_load_b128 s[36:39], s[0:1], 0x58
	v_cmp_ne_u32_e64 s3, 0, v0
	v_cmp_eq_u32_e64 s2, 0, v0
	s_delay_alu instid0(VALU_DEP_1)
	s_and_saveexec_b32 s4, s2
	s_cbranch_execz .LBB1128_4
; %bb.1:
	s_mov_b32 s6, exec_lo
	s_mov_b32 s5, exec_lo
	v_mbcnt_lo_u32_b32 v1, s6, 0
                                        ; implicit-def: $vgpr2
	s_delay_alu instid0(VALU_DEP_1)
	v_cmpx_eq_u32_e32 0, v1
	s_cbranch_execz .LBB1128_3
; %bb.2:
	s_load_b64 s[0:1], s[0:1], 0x70
	s_bcnt1_i32_b32 s6, s6
	s_delay_alu instid0(SALU_CYCLE_1)
	v_dual_mov_b32 v2, 0 :: v_dual_mov_b32 v3, s6
	s_waitcnt lgkmcnt(0)
	global_atomic_add_u32 v2, v2, v3, s[0:1] glc
.LBB1128_3:
	s_or_b32 exec_lo, exec_lo, s5
	s_waitcnt vmcnt(0)
	v_readfirstlane_b32 s0, v2
	s_delay_alu instid0(VALU_DEP_1)
	v_dual_mov_b32 v2, 0 :: v_dual_add_nc_u32 v1, s0, v1
	ds_store_b32 v2, v1
.LBB1128_4:
	s_or_b32 exec_lo, exec_lo, s4
	v_mov_b32_e32 v2, 0
	s_waitcnt lgkmcnt(0)
	s_barrier
	buffer_gl0_inv
	s_lshl_b64 s[4:5], s[14:15], 2
	ds_load_b32 v1, v2
	s_add_u32 s9, s12, s4
	s_mul_i32 s1, s24, s23
	s_mul_hi_u32 s6, s24, s22
	s_addc_u32 s10, s13, s5
	s_add_u32 s11, s16, s4
	s_mul_i32 s7, s25, s22
	s_addc_u32 s12, s17, s5
	s_add_i32 s1, s6, s1
	s_mul_i32 s8, s24, s22
	s_add_i32 s1, s1, s7
	s_mov_b32 s0, 0
	s_waitcnt lgkmcnt(0)
	s_barrier
	buffer_gl0_inv
	v_readfirstlane_b32 s33, v1
	v_mul_lo_u32 v1, 0xf00, v1
	s_delay_alu instid0(VALU_DEP_2) | instskip(SKIP_3) | instid1(VALU_DEP_1)
	s_add_u32 s24, s8, s33
	s_addc_u32 s25, s1, 0
	s_add_u32 s4, s26, -1
	s_addc_u32 s5, s27, -1
	v_lshlrev_b64 v[5:6], 2, v[1:2]
	s_cmp_eq_u64 s[24:25], s[4:5]
	s_mul_i32 s26, s4, 0xfffff100
	s_cselect_b32 s17, -1, 0
	s_cmp_lg_u64 s[24:25], s[4:5]
	s_delay_alu instid0(VALU_DEP_1)
	v_add_co_u32 v4, vcc_lo, s9, v5
	v_add_co_ci_u32_e32 v2, vcc_lo, s10, v6, vcc_lo
	v_add_co_u32 v1, vcc_lo, s11, v5
	v_add_co_ci_u32_e32 v3, vcc_lo, s12, v6, vcc_lo
	s_cselect_b32 s40, -1, 0
	s_and_b32 vcc_lo, exec_lo, s17
	s_cbranch_vccnz .LBB1128_6
; %bb.5:
	v_lshlrev_b32_e32 v29, 2, v0
	s_delay_alu instid0(VALU_DEP_1) | instskip(SKIP_1) | instid1(VALU_DEP_2)
	v_add_co_u32 v5, vcc_lo, v4, v29
	v_add_co_ci_u32_e32 v6, vcc_lo, 0, v2, vcc_lo
	v_add_co_u32 v7, vcc_lo, 0x1000, v5
	s_delay_alu instid0(VALU_DEP_2)
	v_add_co_ci_u32_e32 v8, vcc_lo, 0, v6, vcc_lo
	s_clause 0x7
	flat_load_b32 v9, v[5:6]
	flat_load_b32 v10, v[5:6] offset:1024
	flat_load_b32 v11, v[5:6] offset:2048
	;; [unrolled: 1-line block ×3, first 2 shown]
	flat_load_b32 v13, v[7:8]
	flat_load_b32 v14, v[7:8] offset:1024
	flat_load_b32 v15, v[7:8] offset:2048
	;; [unrolled: 1-line block ×3, first 2 shown]
	v_add_co_u32 v7, vcc_lo, 0x2000, v5
	v_add_co_ci_u32_e32 v8, vcc_lo, 0, v6, vcc_lo
	v_add_co_u32 v5, vcc_lo, 0x3000, v5
	v_add_co_ci_u32_e32 v6, vcc_lo, 0, v6, vcc_lo
	s_clause 0x6
	flat_load_b32 v17, v[7:8]
	flat_load_b32 v18, v[7:8] offset:1024
	flat_load_b32 v19, v[7:8] offset:2048
	;; [unrolled: 1-line block ×3, first 2 shown]
	flat_load_b32 v20, v[5:6]
	flat_load_b32 v21, v[5:6] offset:1024
	flat_load_b32 v22, v[5:6] offset:2048
	v_add_co_u32 v6, vcc_lo, v1, v29
	v_add_co_ci_u32_e32 v7, vcc_lo, 0, v3, vcc_lo
	v_mad_u32_u24 v5, v0, 56, v29
	s_delay_alu instid0(VALU_DEP_3) | instskip(NEXT) | instid1(VALU_DEP_3)
	v_add_co_u32 v23, vcc_lo, 0x1000, v6
	v_add_co_ci_u32_e32 v24, vcc_lo, 0, v7, vcc_lo
	v_add_co_u32 v25, vcc_lo, 0x2000, v6
	v_add_co_ci_u32_e32 v26, vcc_lo, 0, v7, vcc_lo
	;; [unrolled: 2-line block ×3, first 2 shown]
	s_waitcnt vmcnt(13) lgkmcnt(13)
	ds_store_2addr_stride64_b32 v29, v9, v10 offset1:4
	s_waitcnt vmcnt(11) lgkmcnt(12)
	ds_store_2addr_stride64_b32 v29, v11, v12 offset0:8 offset1:12
	s_waitcnt vmcnt(9) lgkmcnt(11)
	ds_store_2addr_stride64_b32 v29, v13, v14 offset0:16 offset1:20
	;; [unrolled: 2-line block ×6, first 2 shown]
	s_waitcnt vmcnt(0) lgkmcnt(7)
	ds_store_b32 v29, v22 offset:14336
	s_waitcnt lgkmcnt(0)
	s_barrier
	buffer_gl0_inv
	ds_load_2addr_b32 v[21:22], v5 offset1:1
	ds_load_2addr_b32 v[19:20], v5 offset0:2 offset1:3
	ds_load_2addr_b32 v[17:18], v5 offset0:4 offset1:5
	;; [unrolled: 1-line block ×6, first 2 shown]
	ds_load_b32 v63, v5 offset:56
	s_waitcnt lgkmcnt(0)
	s_barrier
	buffer_gl0_inv
	s_clause 0xe
	flat_load_b32 v8, v[6:7]
	flat_load_b32 v30, v[6:7] offset:1024
	flat_load_b32 v31, v[6:7] offset:2048
	flat_load_b32 v6, v[6:7] offset:3072
	flat_load_b32 v7, v[23:24]
	flat_load_b32 v32, v[23:24] offset:1024
	flat_load_b32 v33, v[23:24] offset:2048
	flat_load_b32 v23, v[23:24] offset:3072
	;; [unrolled: 4-line block ×3, first 2 shown]
	flat_load_b32 v26, v[27:28]
	flat_load_b32 v36, v[27:28] offset:1024
	flat_load_b32 v27, v[27:28] offset:2048
	s_waitcnt vmcnt(13) lgkmcnt(13)
	ds_store_2addr_stride64_b32 v29, v8, v30 offset1:4
	s_waitcnt vmcnt(11) lgkmcnt(12)
	ds_store_2addr_stride64_b32 v29, v31, v6 offset0:8 offset1:12
	s_waitcnt vmcnt(9) lgkmcnt(11)
	ds_store_2addr_stride64_b32 v29, v7, v32 offset0:16 offset1:20
	;; [unrolled: 2-line block ×6, first 2 shown]
	s_waitcnt vmcnt(0) lgkmcnt(7)
	ds_store_b32 v29, v27 offset:14336
	s_waitcnt lgkmcnt(0)
	s_barrier
	s_and_not1_b32 vcc_lo, exec_lo, s0
	s_add_i32 s26, s26, s36
	s_cbranch_vccz .LBB1128_7
	s_branch .LBB1128_54
.LBB1128_6:
                                        ; implicit-def: $vgpr5
                                        ; implicit-def: $vgpr21
                                        ; implicit-def: $vgpr19
                                        ; implicit-def: $vgpr17
                                        ; implicit-def: $vgpr15
                                        ; implicit-def: $vgpr13
                                        ; implicit-def: $vgpr11
                                        ; implicit-def: $vgpr9
                                        ; implicit-def: $vgpr63
	s_add_i32 s26, s26, s36
.LBB1128_7:
	s_delay_alu instid0(SALU_CYCLE_1)
	v_cmp_gt_u32_e32 vcc_lo, s26, v0
                                        ; implicit-def: $vgpr5
	s_and_saveexec_b32 s1, vcc_lo
	s_cbranch_execz .LBB1128_9
; %bb.8:
	v_lshlrev_b32_e32 v5, 2, v0
	s_delay_alu instid0(VALU_DEP_1) | instskip(NEXT) | instid1(VALU_DEP_1)
	v_add_co_u32 v5, s0, v4, v5
	v_add_co_ci_u32_e64 v6, s0, 0, v2, s0
	flat_load_b32 v5, v[5:6]
.LBB1128_9:
	s_or_b32 exec_lo, exec_lo, s1
	v_or_b32_e32 v6, 0x100, v0
                                        ; implicit-def: $vgpr9
	s_delay_alu instid0(VALU_DEP_1) | instskip(NEXT) | instid1(VALU_DEP_1)
	v_cmp_gt_u32_e64 s0, s26, v6
	s_and_saveexec_b32 s4, s0
	s_cbranch_execz .LBB1128_11
; %bb.10:
	v_lshlrev_b32_e32 v6, 2, v0
	s_delay_alu instid0(VALU_DEP_1) | instskip(NEXT) | instid1(VALU_DEP_1)
	v_add_co_u32 v6, s1, v4, v6
	v_add_co_ci_u32_e64 v7, s1, 0, v2, s1
	flat_load_b32 v9, v[6:7] offset:1024
.LBB1128_11:
	s_or_b32 exec_lo, exec_lo, s4
	v_or_b32_e32 v6, 0x200, v0
                                        ; implicit-def: $vgpr10
	s_delay_alu instid0(VALU_DEP_1) | instskip(NEXT) | instid1(VALU_DEP_1)
	v_cmp_gt_u32_e64 s1, s26, v6
	s_and_saveexec_b32 s5, s1
	s_cbranch_execz .LBB1128_13
; %bb.12:
	v_lshlrev_b32_e32 v6, 2, v0
	s_delay_alu instid0(VALU_DEP_1) | instskip(NEXT) | instid1(VALU_DEP_1)
	v_add_co_u32 v6, s4, v4, v6
	v_add_co_ci_u32_e64 v7, s4, 0, v2, s4
	flat_load_b32 v10, v[6:7] offset:2048
.LBB1128_13:
	s_or_b32 exec_lo, exec_lo, s5
	v_or_b32_e32 v6, 0x300, v0
                                        ; implicit-def: $vgpr11
	s_delay_alu instid0(VALU_DEP_1) | instskip(NEXT) | instid1(VALU_DEP_1)
	v_cmp_gt_u32_e64 s4, s26, v6
	s_and_saveexec_b32 s6, s4
	s_cbranch_execz .LBB1128_15
; %bb.14:
	v_lshlrev_b32_e32 v6, 2, v0
	s_delay_alu instid0(VALU_DEP_1) | instskip(NEXT) | instid1(VALU_DEP_1)
	v_add_co_u32 v6, s5, v4, v6
	v_add_co_ci_u32_e64 v7, s5, 0, v2, s5
	flat_load_b32 v11, v[6:7] offset:3072
.LBB1128_15:
	s_or_b32 exec_lo, exec_lo, s6
	v_or_b32_e32 v6, 0x400, v0
                                        ; implicit-def: $vgpr12
	s_delay_alu instid0(VALU_DEP_1) | instskip(SKIP_1) | instid1(VALU_DEP_2)
	v_cmp_gt_u32_e64 s5, s26, v6
	v_lshlrev_b32_e32 v6, 2, v6
	s_and_saveexec_b32 s7, s5
	s_cbranch_execz .LBB1128_17
; %bb.16:
	s_delay_alu instid0(VALU_DEP_1) | instskip(NEXT) | instid1(VALU_DEP_1)
	v_add_co_u32 v7, s6, v4, v6
	v_add_co_ci_u32_e64 v8, s6, 0, v2, s6
	flat_load_b32 v12, v[7:8]
.LBB1128_17:
	s_or_b32 exec_lo, exec_lo, s7
	v_or_b32_e32 v7, 0x500, v0
                                        ; implicit-def: $vgpr13
	s_delay_alu instid0(VALU_DEP_1) | instskip(SKIP_1) | instid1(VALU_DEP_2)
	v_cmp_gt_u32_e64 s6, s26, v7
	v_lshlrev_b32_e32 v7, 2, v7
	s_and_saveexec_b32 s8, s6
	s_cbranch_execz .LBB1128_19
; %bb.18:
	s_delay_alu instid0(VALU_DEP_1) | instskip(NEXT) | instid1(VALU_DEP_1)
	v_add_co_u32 v13, s7, v4, v7
	v_add_co_ci_u32_e64 v14, s7, 0, v2, s7
	flat_load_b32 v13, v[13:14]
.LBB1128_19:
	s_or_b32 exec_lo, exec_lo, s8
	v_or_b32_e32 v8, 0x600, v0
                                        ; implicit-def: $vgpr14
	s_delay_alu instid0(VALU_DEP_1) | instskip(SKIP_1) | instid1(VALU_DEP_2)
	v_cmp_gt_u32_e64 s7, s26, v8
	v_lshlrev_b32_e32 v8, 2, v8
	s_and_saveexec_b32 s9, s7
	s_cbranch_execz .LBB1128_21
; %bb.20:
	s_delay_alu instid0(VALU_DEP_1) | instskip(NEXT) | instid1(VALU_DEP_1)
	v_add_co_u32 v14, s8, v4, v8
	v_add_co_ci_u32_e64 v15, s8, 0, v2, s8
	flat_load_b32 v14, v[14:15]
.LBB1128_21:
	s_or_b32 exec_lo, exec_lo, s9
	v_or_b32_e32 v15, 0x700, v0
	s_delay_alu instid0(VALU_DEP_1) | instskip(SKIP_1) | instid1(VALU_DEP_2)
	v_cmp_gt_u32_e64 s8, s26, v15
	v_lshlrev_b32_e32 v23, 2, v15
                                        ; implicit-def: $vgpr15
	s_and_saveexec_b32 s10, s8
	s_cbranch_execz .LBB1128_23
; %bb.22:
	s_delay_alu instid0(VALU_DEP_1) | instskip(NEXT) | instid1(VALU_DEP_1)
	v_add_co_u32 v15, s9, v4, v23
	v_add_co_ci_u32_e64 v16, s9, 0, v2, s9
	flat_load_b32 v15, v[15:16]
.LBB1128_23:
	s_or_b32 exec_lo, exec_lo, s10
	v_or_b32_e32 v16, 0x800, v0
	s_delay_alu instid0(VALU_DEP_1) | instskip(SKIP_1) | instid1(VALU_DEP_2)
	v_cmp_gt_u32_e64 s9, s26, v16
	v_lshlrev_b32_e32 v24, 2, v16
                                        ; implicit-def: $vgpr16
	s_and_saveexec_b32 s11, s9
	s_cbranch_execz .LBB1128_25
; %bb.24:
	s_delay_alu instid0(VALU_DEP_1) | instskip(NEXT) | instid1(VALU_DEP_1)
	v_add_co_u32 v16, s10, v4, v24
	v_add_co_ci_u32_e64 v17, s10, 0, v2, s10
	flat_load_b32 v16, v[16:17]
.LBB1128_25:
	s_or_b32 exec_lo, exec_lo, s11
	v_or_b32_e32 v17, 0x900, v0
	s_delay_alu instid0(VALU_DEP_1) | instskip(SKIP_1) | instid1(VALU_DEP_2)
	v_cmp_gt_u32_e64 s10, s26, v17
	v_lshlrev_b32_e32 v25, 2, v17
                                        ; implicit-def: $vgpr17
	s_and_saveexec_b32 s12, s10
	s_cbranch_execz .LBB1128_27
; %bb.26:
	s_delay_alu instid0(VALU_DEP_1) | instskip(NEXT) | instid1(VALU_DEP_1)
	v_add_co_u32 v17, s11, v4, v25
	v_add_co_ci_u32_e64 v18, s11, 0, v2, s11
	flat_load_b32 v17, v[17:18]
.LBB1128_27:
	s_or_b32 exec_lo, exec_lo, s12
	v_or_b32_e32 v18, 0xa00, v0
	s_delay_alu instid0(VALU_DEP_1) | instskip(SKIP_1) | instid1(VALU_DEP_2)
	v_cmp_gt_u32_e64 s11, s26, v18
	v_lshlrev_b32_e32 v27, 2, v18
                                        ; implicit-def: $vgpr18
	s_and_saveexec_b32 s13, s11
	s_cbranch_execz .LBB1128_29
; %bb.28:
	s_delay_alu instid0(VALU_DEP_1) | instskip(NEXT) | instid1(VALU_DEP_1)
	v_add_co_u32 v18, s12, v4, v27
	v_add_co_ci_u32_e64 v19, s12, 0, v2, s12
	flat_load_b32 v18, v[18:19]
.LBB1128_29:
	s_or_b32 exec_lo, exec_lo, s13
	v_or_b32_e32 v19, 0xb00, v0
	s_delay_alu instid0(VALU_DEP_1) | instskip(SKIP_1) | instid1(VALU_DEP_2)
	v_cmp_gt_u32_e64 s12, s26, v19
	v_lshlrev_b32_e32 v28, 2, v19
                                        ; implicit-def: $vgpr19
	s_and_saveexec_b32 s14, s12
	s_cbranch_execz .LBB1128_31
; %bb.30:
	s_delay_alu instid0(VALU_DEP_1) | instskip(NEXT) | instid1(VALU_DEP_1)
	v_add_co_u32 v19, s13, v4, v28
	v_add_co_ci_u32_e64 v20, s13, 0, v2, s13
	flat_load_b32 v19, v[19:20]
.LBB1128_31:
	s_or_b32 exec_lo, exec_lo, s14
	v_or_b32_e32 v20, 0xc00, v0
	s_delay_alu instid0(VALU_DEP_1) | instskip(SKIP_1) | instid1(VALU_DEP_2)
	v_cmp_gt_u32_e64 s13, s26, v20
	v_lshlrev_b32_e32 v29, 2, v20
                                        ; implicit-def: $vgpr20
	s_and_saveexec_b32 s15, s13
	s_cbranch_execz .LBB1128_33
; %bb.32:
	s_delay_alu instid0(VALU_DEP_1) | instskip(NEXT) | instid1(VALU_DEP_1)
	v_add_co_u32 v20, s14, v4, v29
	v_add_co_ci_u32_e64 v21, s14, 0, v2, s14
	flat_load_b32 v20, v[20:21]
.LBB1128_33:
	s_or_b32 exec_lo, exec_lo, s15
	v_or_b32_e32 v21, 0xd00, v0
	s_delay_alu instid0(VALU_DEP_1) | instskip(SKIP_1) | instid1(VALU_DEP_2)
	v_cmp_gt_u32_e64 s14, s26, v21
	v_lshlrev_b32_e32 v30, 2, v21
                                        ; implicit-def: $vgpr21
	s_and_saveexec_b32 s16, s14
	s_cbranch_execz .LBB1128_35
; %bb.34:
	s_delay_alu instid0(VALU_DEP_1) | instskip(NEXT) | instid1(VALU_DEP_1)
	v_add_co_u32 v21, s15, v4, v30
	v_add_co_ci_u32_e64 v22, s15, 0, v2, s15
	flat_load_b32 v21, v[21:22]
.LBB1128_35:
	s_or_b32 exec_lo, exec_lo, s16
	v_or_b32_e32 v22, 0xe00, v0
	s_delay_alu instid0(VALU_DEP_1) | instskip(SKIP_1) | instid1(VALU_DEP_2)
	v_cmp_gt_u32_e64 s15, s26, v22
	v_lshlrev_b32_e32 v31, 2, v22
                                        ; implicit-def: $vgpr22
	s_and_saveexec_b32 s27, s15
	s_cbranch_execz .LBB1128_37
; %bb.36:
	s_delay_alu instid0(VALU_DEP_1) | instskip(NEXT) | instid1(VALU_DEP_1)
	v_add_co_u32 v32, s16, v4, v31
	v_add_co_ci_u32_e64 v33, s16, 0, v2, s16
	flat_load_b32 v22, v[32:33]
.LBB1128_37:
	s_or_b32 exec_lo, exec_lo, s27
	v_lshlrev_b32_e32 v26, 2, v0
                                        ; implicit-def: $vgpr32
	s_waitcnt vmcnt(0) lgkmcnt(0)
	ds_store_2addr_stride64_b32 v26, v5, v9 offset1:4
	ds_store_2addr_stride64_b32 v26, v10, v11 offset0:8 offset1:12
	ds_store_2addr_stride64_b32 v26, v12, v13 offset0:16 offset1:20
	;; [unrolled: 1-line block ×6, first 2 shown]
	v_mad_u32_u24 v5, v0, 56, v26
	ds_store_b32 v26, v22 offset:14336
	s_waitcnt lgkmcnt(0)
	s_barrier
	buffer_gl0_inv
	ds_load_2addr_b32 v[21:22], v5 offset1:1
	ds_load_2addr_b32 v[19:20], v5 offset0:2 offset1:3
	ds_load_2addr_b32 v[17:18], v5 offset0:4 offset1:5
	;; [unrolled: 1-line block ×6, first 2 shown]
	ds_load_b32 v63, v5 offset:56
	s_waitcnt lgkmcnt(0)
	s_barrier
	buffer_gl0_inv
	s_and_saveexec_b32 s16, vcc_lo
	s_cbranch_execnz .LBB1128_61
; %bb.38:
	s_or_b32 exec_lo, exec_lo, s16
                                        ; implicit-def: $vgpr33
	s_and_saveexec_b32 s16, s0
	s_cbranch_execnz .LBB1128_62
.LBB1128_39:
	s_or_b32 exec_lo, exec_lo, s16
                                        ; implicit-def: $vgpr34
	s_and_saveexec_b32 s0, s1
	s_cbranch_execnz .LBB1128_63
.LBB1128_40:
	s_or_b32 exec_lo, exec_lo, s0
                                        ; implicit-def: $vgpr35
	s_and_saveexec_b32 s0, s4
	s_cbranch_execnz .LBB1128_64
.LBB1128_41:
	s_or_b32 exec_lo, exec_lo, s0
                                        ; implicit-def: $vgpr36
	s_and_saveexec_b32 s0, s5
	s_cbranch_execnz .LBB1128_65
.LBB1128_42:
	s_or_b32 exec_lo, exec_lo, s0
                                        ; implicit-def: $vgpr6
	s_and_saveexec_b32 s0, s6
	s_cbranch_execnz .LBB1128_66
.LBB1128_43:
	s_or_b32 exec_lo, exec_lo, s0
                                        ; implicit-def: $vgpr7
	s_and_saveexec_b32 s0, s7
	s_cbranch_execnz .LBB1128_67
.LBB1128_44:
	s_or_b32 exec_lo, exec_lo, s0
                                        ; implicit-def: $vgpr8
	s_and_saveexec_b32 s0, s8
	s_cbranch_execnz .LBB1128_68
.LBB1128_45:
	s_or_b32 exec_lo, exec_lo, s0
                                        ; implicit-def: $vgpr23
	s_and_saveexec_b32 s0, s9
	s_cbranch_execnz .LBB1128_69
.LBB1128_46:
	s_or_b32 exec_lo, exec_lo, s0
                                        ; implicit-def: $vgpr24
	s_and_saveexec_b32 s0, s10
	s_cbranch_execnz .LBB1128_70
.LBB1128_47:
	s_or_b32 exec_lo, exec_lo, s0
                                        ; implicit-def: $vgpr25
	s_and_saveexec_b32 s0, s11
	s_cbranch_execnz .LBB1128_71
.LBB1128_48:
	s_or_b32 exec_lo, exec_lo, s0
                                        ; implicit-def: $vgpr27
	s_and_saveexec_b32 s0, s12
	s_cbranch_execnz .LBB1128_72
.LBB1128_49:
	s_or_b32 exec_lo, exec_lo, s0
                                        ; implicit-def: $vgpr28
	s_and_saveexec_b32 s0, s13
	s_cbranch_execnz .LBB1128_73
.LBB1128_50:
	s_or_b32 exec_lo, exec_lo, s0
                                        ; implicit-def: $vgpr29
	s_and_saveexec_b32 s0, s14
	s_cbranch_execnz .LBB1128_74
.LBB1128_51:
	s_or_b32 exec_lo, exec_lo, s0
                                        ; implicit-def: $vgpr30
	s_and_saveexec_b32 s0, s15
	s_cbranch_execz .LBB1128_53
.LBB1128_52:
	v_add_co_u32 v30, vcc_lo, v1, v31
	v_add_co_ci_u32_e32 v31, vcc_lo, 0, v3, vcc_lo
	flat_load_b32 v30, v[30:31]
.LBB1128_53:
	s_or_b32 exec_lo, exec_lo, s0
	s_waitcnt vmcnt(0) lgkmcnt(0)
	ds_store_2addr_stride64_b32 v26, v32, v33 offset1:4
	ds_store_2addr_stride64_b32 v26, v34, v35 offset0:8 offset1:12
	ds_store_2addr_stride64_b32 v26, v36, v6 offset0:16 offset1:20
	;; [unrolled: 1-line block ×6, first 2 shown]
	ds_store_b32 v26, v30 offset:14336
	s_waitcnt lgkmcnt(0)
	s_barrier
.LBB1128_54:
	buffer_gl0_inv
	ds_load_2addr_b32 v[35:36], v5 offset1:1
	ds_load_2addr_b32 v[33:34], v5 offset0:2 offset1:3
	ds_load_2addr_b32 v[31:32], v5 offset0:4 offset1:5
	;; [unrolled: 1-line block ×6, first 2 shown]
	ds_load_b32 v80, v5 offset:56
	s_cmp_eq_u64 s[24:25], 0
	s_waitcnt lgkmcnt(0)
	s_cselect_b32 s27, -1, 0
	s_cmp_lg_u64 s[24:25], 0
	s_barrier
	s_cselect_b32 s15, -1, 0
	s_and_b32 vcc_lo, exec_lo, s40
	buffer_gl0_inv
	s_cbranch_vccz .LBB1128_60
; %bb.55:
	s_and_b32 vcc_lo, exec_lo, s15
	s_cbranch_vccz .LBB1128_75
; %bb.56:
	v_add_co_u32 v5, vcc_lo, -4, v4
	v_add_co_ci_u32_e32 v6, vcc_lo, -1, v2, vcc_lo
	v_lshlrev_b32_e32 v3, 2, v0
	v_cmp_ne_u32_e32 vcc_lo, v10, v63
	v_cmp_ne_u32_e64 s0, v9, v10
	flat_load_b32 v1, v[5:6]
	v_cmp_ne_u32_e64 s1, v12, v9
	v_cmp_ne_u32_e64 s4, v11, v12
	;; [unrolled: 1-line block ×12, first 2 shown]
	s_mov_b32 s40, -1
	ds_store_b32 v3, v63
	s_waitcnt vmcnt(0) lgkmcnt(0)
	s_barrier
	buffer_gl0_inv
	s_and_saveexec_b32 s16, s3
	s_cbranch_execz .LBB1128_58
; %bb.57:
	v_add_nc_u32_e32 v1, -4, v3
	ds_load_b32 v1, v1
.LBB1128_58:
	s_or_b32 exec_lo, exec_lo, s16
	v_cndmask_b32_e64 v69, 0, 1, vcc_lo
	v_cndmask_b32_e64 v64, 0, 1, s0
	v_cndmask_b32_e64 v65, 0, 1, s1
	;; [unrolled: 1-line block ×13, first 2 shown]
	s_waitcnt lgkmcnt(0)
	v_cmp_ne_u32_e64 s0, v1, v21
.LBB1128_59:
                                        ; implicit-def: $sgpr1
	s_branch .LBB1128_87
.LBB1128_60:
	s_mov_b32 s40, 0
                                        ; implicit-def: $sgpr0
                                        ; implicit-def: $vgpr69
                                        ; implicit-def: $vgpr64
                                        ; implicit-def: $vgpr65
                                        ; implicit-def: $vgpr66
                                        ; implicit-def: $vgpr67
                                        ; implicit-def: $vgpr68
                                        ; implicit-def: $vgpr70
                                        ; implicit-def: $vgpr71
                                        ; implicit-def: $vgpr72
                                        ; implicit-def: $vgpr73
                                        ; implicit-def: $vgpr74
                                        ; implicit-def: $vgpr75
                                        ; implicit-def: $vgpr76
                                        ; implicit-def: $vgpr77
                                        ; implicit-def: $sgpr1
	s_cbranch_execnz .LBB1128_79
	s_branch .LBB1128_87
.LBB1128_61:
	v_add_co_u32 v32, vcc_lo, v1, v26
	v_add_co_ci_u32_e32 v33, vcc_lo, 0, v3, vcc_lo
	flat_load_b32 v32, v[32:33]
	s_or_b32 exec_lo, exec_lo, s16
                                        ; implicit-def: $vgpr33
	s_and_saveexec_b32 s16, s0
	s_cbranch_execz .LBB1128_39
.LBB1128_62:
	v_add_co_u32 v33, vcc_lo, v1, v26
	v_add_co_ci_u32_e32 v34, vcc_lo, 0, v3, vcc_lo
	flat_load_b32 v33, v[33:34] offset:1024
	s_or_b32 exec_lo, exec_lo, s16
                                        ; implicit-def: $vgpr34
	s_and_saveexec_b32 s0, s1
	s_cbranch_execz .LBB1128_40
.LBB1128_63:
	v_add_co_u32 v34, vcc_lo, v1, v26
	v_add_co_ci_u32_e32 v35, vcc_lo, 0, v3, vcc_lo
	flat_load_b32 v34, v[34:35] offset:2048
	s_or_b32 exec_lo, exec_lo, s0
                                        ; implicit-def: $vgpr35
	s_and_saveexec_b32 s0, s4
	s_cbranch_execz .LBB1128_41
.LBB1128_64:
	v_add_co_u32 v35, vcc_lo, v1, v26
	v_add_co_ci_u32_e32 v36, vcc_lo, 0, v3, vcc_lo
	flat_load_b32 v35, v[35:36] offset:3072
	s_or_b32 exec_lo, exec_lo, s0
                                        ; implicit-def: $vgpr36
	s_and_saveexec_b32 s0, s5
	s_cbranch_execz .LBB1128_42
.LBB1128_65:
	v_add_co_u32 v36, vcc_lo, v1, v6
	v_add_co_ci_u32_e32 v37, vcc_lo, 0, v3, vcc_lo
	flat_load_b32 v36, v[36:37]
	s_or_b32 exec_lo, exec_lo, s0
                                        ; implicit-def: $vgpr6
	s_and_saveexec_b32 s0, s6
	s_cbranch_execz .LBB1128_43
.LBB1128_66:
	v_add_co_u32 v6, vcc_lo, v1, v7
	v_add_co_ci_u32_e32 v7, vcc_lo, 0, v3, vcc_lo
	flat_load_b32 v6, v[6:7]
	s_or_b32 exec_lo, exec_lo, s0
                                        ; implicit-def: $vgpr7
	s_and_saveexec_b32 s0, s7
	s_cbranch_execz .LBB1128_44
.LBB1128_67:
	v_add_co_u32 v7, vcc_lo, v1, v8
	v_add_co_ci_u32_e32 v8, vcc_lo, 0, v3, vcc_lo
	flat_load_b32 v7, v[7:8]
	s_or_b32 exec_lo, exec_lo, s0
                                        ; implicit-def: $vgpr8
	s_and_saveexec_b32 s0, s8
	s_cbranch_execz .LBB1128_45
.LBB1128_68:
	v_add_co_u32 v37, vcc_lo, v1, v23
	v_add_co_ci_u32_e32 v38, vcc_lo, 0, v3, vcc_lo
	flat_load_b32 v8, v[37:38]
	s_or_b32 exec_lo, exec_lo, s0
                                        ; implicit-def: $vgpr23
	s_and_saveexec_b32 s0, s9
	s_cbranch_execz .LBB1128_46
.LBB1128_69:
	v_add_co_u32 v23, vcc_lo, v1, v24
	v_add_co_ci_u32_e32 v24, vcc_lo, 0, v3, vcc_lo
	flat_load_b32 v23, v[23:24]
	s_or_b32 exec_lo, exec_lo, s0
                                        ; implicit-def: $vgpr24
	s_and_saveexec_b32 s0, s10
	s_cbranch_execz .LBB1128_47
.LBB1128_70:
	v_add_co_u32 v24, vcc_lo, v1, v25
	v_add_co_ci_u32_e32 v25, vcc_lo, 0, v3, vcc_lo
	flat_load_b32 v24, v[24:25]
	s_or_b32 exec_lo, exec_lo, s0
                                        ; implicit-def: $vgpr25
	s_and_saveexec_b32 s0, s11
	s_cbranch_execz .LBB1128_48
.LBB1128_71:
	v_add_co_u32 v37, vcc_lo, v1, v27
	v_add_co_ci_u32_e32 v38, vcc_lo, 0, v3, vcc_lo
	flat_load_b32 v25, v[37:38]
	s_or_b32 exec_lo, exec_lo, s0
                                        ; implicit-def: $vgpr27
	s_and_saveexec_b32 s0, s12
	s_cbranch_execz .LBB1128_49
.LBB1128_72:
	v_add_co_u32 v27, vcc_lo, v1, v28
	v_add_co_ci_u32_e32 v28, vcc_lo, 0, v3, vcc_lo
	flat_load_b32 v27, v[27:28]
	s_or_b32 exec_lo, exec_lo, s0
                                        ; implicit-def: $vgpr28
	s_and_saveexec_b32 s0, s13
	s_cbranch_execz .LBB1128_50
.LBB1128_73:
	v_add_co_u32 v28, vcc_lo, v1, v29
	v_add_co_ci_u32_e32 v29, vcc_lo, 0, v3, vcc_lo
	flat_load_b32 v28, v[28:29]
	s_or_b32 exec_lo, exec_lo, s0
                                        ; implicit-def: $vgpr29
	s_and_saveexec_b32 s0, s14
	s_cbranch_execz .LBB1128_51
.LBB1128_74:
	v_add_co_u32 v29, vcc_lo, v1, v30
	v_add_co_ci_u32_e32 v30, vcc_lo, 0, v3, vcc_lo
	flat_load_b32 v29, v[29:30]
	s_or_b32 exec_lo, exec_lo, s0
                                        ; implicit-def: $vgpr30
	s_and_saveexec_b32 s0, s15
	s_cbranch_execnz .LBB1128_52
	s_branch .LBB1128_53
.LBB1128_75:
	s_mov_b32 s40, 0
                                        ; implicit-def: $sgpr0
                                        ; implicit-def: $vgpr69
                                        ; implicit-def: $vgpr64
                                        ; implicit-def: $vgpr65
                                        ; implicit-def: $vgpr66
                                        ; implicit-def: $vgpr67
                                        ; implicit-def: $vgpr68
                                        ; implicit-def: $vgpr70
                                        ; implicit-def: $vgpr71
                                        ; implicit-def: $vgpr72
                                        ; implicit-def: $vgpr73
                                        ; implicit-def: $vgpr74
                                        ; implicit-def: $vgpr75
                                        ; implicit-def: $vgpr76
                                        ; implicit-def: $vgpr77
	s_cbranch_execz .LBB1128_59
; %bb.76:
	v_cmp_ne_u32_e32 vcc_lo, v10, v63
	v_lshlrev_b32_e32 v1, 2, v0
                                        ; implicit-def: $sgpr0
	v_cndmask_b32_e64 v69, 0, 1, vcc_lo
	v_cmp_ne_u32_e32 vcc_lo, v9, v10
	ds_store_b32 v1, v63
	s_waitcnt lgkmcnt(0)
	s_barrier
	buffer_gl0_inv
	v_cndmask_b32_e64 v64, 0, 1, vcc_lo
	v_cmp_ne_u32_e32 vcc_lo, v12, v9
	v_cndmask_b32_e64 v65, 0, 1, vcc_lo
	v_cmp_ne_u32_e32 vcc_lo, v11, v12
	;; [unrolled: 2-line block ×12, first 2 shown]
	v_cndmask_b32_e64 v77, 0, 1, vcc_lo
	s_and_saveexec_b32 s1, s3
	s_delay_alu instid0(SALU_CYCLE_1)
	s_xor_b32 s1, exec_lo, s1
	s_cbranch_execz .LBB1128_78
; %bb.77:
	v_add_nc_u32_e32 v1, -4, v1
	s_or_b32 s40, s40, exec_lo
	ds_load_b32 v1, v1
	s_waitcnt lgkmcnt(0)
	v_cmp_ne_u32_e32 vcc_lo, v1, v21
	s_and_b32 s0, vcc_lo, exec_lo
.LBB1128_78:
	s_or_b32 exec_lo, exec_lo, s1
	s_mov_b32 s1, 1
	s_branch .LBB1128_87
.LBB1128_79:
	s_mul_hi_u32 s0, s24, 0xfffff100
	s_mul_i32 s1, s25, 0xfffff100
	s_sub_i32 s0, s0, s24
	s_mul_i32 s4, s24, 0xfffff100
	s_add_i32 s0, s0, s1
	s_add_u32 s24, s4, s36
	s_addc_u32 s25, s0, s37
	s_and_b32 vcc_lo, exec_lo, s15
	v_cmp_ne_u32_e64 s14, v10, v63
	v_cmp_ne_u32_e64 s15, v9, v10
	;; [unrolled: 1-line block ×14, first 2 shown]
	v_mad_u32_u24 v1, v0, 15, 14
	v_mad_u32_u24 v55, v0, 15, 13
	;; [unrolled: 1-line block ×14, first 2 shown]
	s_cbranch_vccz .LBB1128_84
; %bb.80:
	v_add_co_u32 v56, vcc_lo, -4, v4
	v_add_co_ci_u32_e32 v57, vcc_lo, -1, v2, vcc_lo
	v_mov_b32_e32 v2, 0
	s_mov_b32 s40, -1
	s_mov_b32 s36, 0
	flat_load_b32 v58, v[56:57]
	v_lshlrev_b32_e32 v57, 2, v0
	v_cmp_gt_u64_e32 vcc_lo, s[24:25], v[1:2]
	v_mov_b32_e32 v56, v2
	v_mov_b32_e32 v54, v2
	;; [unrolled: 1-line block ×5, first 2 shown]
	v_cmp_gt_u64_e64 s16, s[24:25], v[55:56]
	s_and_b32 s37, vcc_lo, s14
	v_cmp_gt_u64_e32 vcc_lo, s[24:25], v[53:54]
	v_mov_b32_e32 v46, v2
	v_mov_b32_e32 v44, v2
	v_cmp_gt_u64_e64 s14, s[24:25], v[51:52]
	s_and_b32 s41, s16, s15
	v_mov_b32_e32 v42, v2
	s_and_b32 s42, vcc_lo, s13
	v_cmp_gt_u64_e32 vcc_lo, s[24:25], v[49:50]
	v_cmp_gt_u64_e64 s13, s[24:25], v[47:48]
	v_cmp_gt_u64_e64 s15, s[24:25], v[45:46]
	v_cmp_gt_u64_e64 s16, s[24:25], v[43:44]
	v_mov_b32_e32 v40, v2
	v_mov_b32_e32 v38, v2
	;; [unrolled: 1-line block ×5, first 2 shown]
	s_and_b32 s14, s14, s12
	s_and_b32 s43, vcc_lo, s8
	s_and_b32 s13, s13, s9
	s_and_b32 s15, s15, s10
	;; [unrolled: 1-line block ×3, first 2 shown]
	v_cmp_gt_u64_e32 vcc_lo, s[24:25], v[41:42]
	v_cmp_gt_u64_e64 s8, s[24:25], v[39:40]
	v_cmp_gt_u64_e64 s9, s[24:25], v[37:38]
	v_cmp_gt_u64_e64 s10, s[24:25], v[7:8]
	v_cmp_gt_u64_e64 s11, s[24:25], v[5:6]
	v_cmp_gt_u64_e64 s12, s[24:25], v[3:4]
	v_mul_u32_u24_e32 v56, 15, v0
	s_and_b32 s0, vcc_lo, s0
	s_and_b32 s8, s8, s1
	s_and_b32 s9, s9, s4
	;; [unrolled: 1-line block ×5, first 2 shown]
	ds_store_b32 v57, v63
	s_waitcnt vmcnt(0) lgkmcnt(0)
	s_barrier
	buffer_gl0_inv
	s_and_saveexec_b32 s6, s3
	s_cbranch_execz .LBB1128_82
; %bb.81:
	v_add_nc_u32_e32 v4, -4, v57
	ds_load_b32 v58, v4
.LBB1128_82:
	s_or_b32 exec_lo, exec_lo, s6
	v_mov_b32_e32 v57, v2
	v_cndmask_b32_e64 v72, 0, 1, s0
	s_waitcnt lgkmcnt(0)
	v_cmp_ne_u32_e64 s0, v58, v21
	v_cndmask_b32_e64 v69, 0, 1, s37
	v_cndmask_b32_e64 v64, 0, 1, s41
	v_cmp_gt_u64_e32 vcc_lo, s[24:25], v[56:57]
	v_cndmask_b32_e64 v65, 0, 1, s42
	v_cndmask_b32_e64 v66, 0, 1, s14
	;; [unrolled: 1-line block ×11, first 2 shown]
	s_and_b32 s0, vcc_lo, s0
	s_and_b32 vcc_lo, exec_lo, s36
	s_cbranch_vccnz .LBB1128_85
.LBB1128_83:
                                        ; implicit-def: $sgpr1
	v_mov_b32_e32 v78, s1
	s_and_saveexec_b32 s1, s40
	s_cbranch_execnz .LBB1128_88
	s_branch .LBB1128_89
.LBB1128_84:
                                        ; implicit-def: $sgpr0
                                        ; implicit-def: $vgpr69
                                        ; implicit-def: $vgpr64
                                        ; implicit-def: $vgpr65
                                        ; implicit-def: $vgpr66
                                        ; implicit-def: $vgpr67
                                        ; implicit-def: $vgpr68
                                        ; implicit-def: $vgpr70
                                        ; implicit-def: $vgpr71
                                        ; implicit-def: $vgpr72
                                        ; implicit-def: $vgpr73
                                        ; implicit-def: $vgpr74
                                        ; implicit-def: $vgpr75
                                        ; implicit-def: $vgpr76
                                        ; implicit-def: $vgpr77
	s_cbranch_execz .LBB1128_83
.LBB1128_85:
	v_dual_mov_b32 v2, 0 :: v_dual_lshlrev_b32 v57, 2, v0
	v_cmp_ne_u32_e64 s1, v12, v9
	v_cmp_ne_u32_e32 vcc_lo, v10, v63
	v_cmp_ne_u32_e64 s0, v9, v10
	s_delay_alu instid0(VALU_DEP_4)
	v_mov_b32_e32 v54, v2
	v_mov_b32_e32 v56, v2
	v_cmp_gt_u64_e64 s4, s[24:25], v[1:2]
	v_mov_b32_e32 v50, v2
	v_mov_b32_e32 v52, v2
	v_cmp_gt_u64_e64 s6, s[24:25], v[53:54]
	v_cmp_gt_u64_e64 s5, s[24:25], v[55:56]
	v_mov_b32_e32 v48, v2
	s_and_b32 s4, s4, vcc_lo
	v_cmp_gt_u64_e32 vcc_lo, s[24:25], v[51:52]
	v_cndmask_b32_e64 v69, 0, 1, s4
	s_and_b32 s1, s6, s1
	s_and_b32 s0, s5, s0
	v_cndmask_b32_e64 v65, 0, 1, s1
	v_cmp_gt_u64_e64 s1, s[24:25], v[49:50]
	v_cmp_ne_u32_e64 s4, v14, v11
	v_cndmask_b32_e64 v64, 0, 1, s0
	v_cmp_ne_u32_e64 s0, v11, v12
	v_mov_b32_e32 v46, v2
	v_mov_b32_e32 v44, v2
	s_and_b32 s1, s1, s4
	v_cmp_ne_u32_e64 s4, v16, v13
	s_and_b32 s0, vcc_lo, s0
	v_cmp_gt_u64_e32 vcc_lo, s[24:25], v[47:48]
	v_cndmask_b32_e64 v67, 0, 1, s1
	v_cmp_gt_u64_e64 s1, s[24:25], v[45:46]
	v_cndmask_b32_e64 v66, 0, 1, s0
	v_cmp_ne_u32_e64 s0, v13, v14
	v_mov_b32_e32 v42, v2
	v_mov_b32_e32 v40, v2
	;; [unrolled: 1-line block ×3, first 2 shown]
	s_and_b32 s1, s1, s4
	s_and_b32 s0, vcc_lo, s0
	v_cmp_gt_u64_e32 vcc_lo, s[24:25], v[43:44]
	v_cndmask_b32_e64 v68, 0, 1, s0
	v_cmp_ne_u32_e64 s0, v15, v16
	v_cndmask_b32_e64 v70, 0, 1, s1
	v_cmp_gt_u64_e64 s1, s[24:25], v[41:42]
	v_cmp_ne_u32_e64 s4, v18, v15
	v_mov_b32_e32 v8, v2
	s_and_b32 s0, vcc_lo, s0
	v_cmp_gt_u64_e32 vcc_lo, s[24:25], v[39:40]
	v_cndmask_b32_e64 v71, 0, 1, s0
	s_and_b32 s1, s1, s4
	v_cmp_ne_u32_e64 s0, v17, v18
	v_cndmask_b32_e64 v72, 0, 1, s1
	v_cmp_gt_u64_e64 s1, s[24:25], v[37:38]
	v_cmp_ne_u32_e64 s4, v20, v17
	v_mov_b32_e32 v6, v2
	s_and_b32 s0, vcc_lo, s0
	v_mov_b32_e32 v4, v2
	v_cndmask_b32_e64 v73, 0, 1, s0
	s_and_b32 s0, s1, s4
	v_cmp_gt_u64_e32 vcc_lo, s[24:25], v[7:8]
	v_cndmask_b32_e64 v74, 0, 1, s0
	v_cmp_ne_u32_e64 s0, v19, v20
	v_cmp_gt_u64_e64 s1, s[24:25], v[5:6]
	v_cmp_ne_u32_e64 s4, v22, v19
	v_cmp_gt_u64_e64 s5, s[24:25], v[3:4]
	v_cmp_ne_u32_e64 s6, v21, v22
	s_and_b32 s0, vcc_lo, s0
	ds_store_b32 v57, v63
	v_cndmask_b32_e64 v75, 0, 1, s0
	s_and_b32 s0, s1, s4
	s_mov_b32 s1, 1
	v_cndmask_b32_e64 v76, 0, 1, s0
	s_and_b32 s0, s5, s6
	s_waitcnt lgkmcnt(0)
	v_cndmask_b32_e64 v77, 0, 1, s0
	s_barrier
	buffer_gl0_inv
                                        ; implicit-def: $sgpr0
	s_and_saveexec_b32 s4, s3
	s_cbranch_execz .LBB1128_167
; %bb.86:
	v_add_nc_u32_e32 v1, -4, v57
	s_or_b32 s40, s40, exec_lo
	ds_load_b32 v3, v1
	v_mul_u32_u24_e32 v1, 15, v0
	s_delay_alu instid0(VALU_DEP_1) | instskip(SKIP_2) | instid1(VALU_DEP_1)
	v_cmp_gt_u64_e32 vcc_lo, s[24:25], v[1:2]
	s_waitcnt lgkmcnt(0)
	v_cmp_ne_u32_e64 s0, v3, v21
	s_and_b32 s0, vcc_lo, s0
	s_delay_alu instid0(SALU_CYCLE_1)
	s_and_b32 s0, s0, exec_lo
	s_or_b32 exec_lo, exec_lo, s4
.LBB1128_87:
	v_mov_b32_e32 v78, s1
	s_and_saveexec_b32 s1, s40
.LBB1128_88:
	s_delay_alu instid0(VALU_DEP_2)
	v_cndmask_b32_e64 v78, 0, 1, s0
.LBB1128_89:
	s_or_b32 exec_lo, exec_lo, s1
	s_delay_alu instid0(VALU_DEP_1)
	v_add3_u32 v1, v77, v78, v76
	v_cmp_eq_u32_e64 s13, 0, v77
	v_cmp_eq_u32_e64 s12, 0, v76
	;; [unrolled: 1-line block ×4, first 2 shown]
	v_add3_u32 v84, v1, v75, v74
	v_cmp_eq_u32_e64 s9, 0, v73
	v_cmp_eq_u32_e64 s8, 0, v72
	;; [unrolled: 1-line block ×9, first 2 shown]
	v_cmp_eq_u32_e32 vcc_lo, 0, v69
	v_mbcnt_lo_u32_b32 v81, -1, 0
	v_lshrrev_b32_e32 v82, 5, v0
	v_or_b32_e32 v83, 31, v0
	s_cmp_eq_u64 s[22:23], 0
	s_cselect_b32 s16, -1, 0
	s_cmp_lg_u32 s33, 0
	s_cbranch_scc0 .LBB1128_115
; %bb.90:
	v_cndmask_b32_e64 v1, 0, v35, s13
	v_add3_u32 v2, v84, v73, v72
	s_delay_alu instid0(VALU_DEP_2) | instskip(NEXT) | instid1(VALU_DEP_2)
	v_add_nc_u32_e32 v1, v1, v36
	v_add3_u32 v2, v2, v71, v70
	s_delay_alu instid0(VALU_DEP_2) | instskip(NEXT) | instid1(VALU_DEP_2)
	v_cndmask_b32_e64 v1, 0, v1, s12
	v_add3_u32 v2, v2, v68, v67
	s_delay_alu instid0(VALU_DEP_2) | instskip(NEXT) | instid1(VALU_DEP_2)
	v_add_nc_u32_e32 v1, v1, v33
	v_add3_u32 v2, v2, v66, v65
	s_delay_alu instid0(VALU_DEP_2) | instskip(NEXT) | instid1(VALU_DEP_2)
	v_cndmask_b32_e64 v1, 0, v1, s11
	v_add3_u32 v2, v2, v64, v69
	s_delay_alu instid0(VALU_DEP_2) | instskip(NEXT) | instid1(VALU_DEP_2)
	v_add_nc_u32_e32 v1, v1, v34
	v_mov_b32_dpp v5, v2 row_shr:1 row_mask:0xf bank_mask:0xf
	s_delay_alu instid0(VALU_DEP_2) | instskip(NEXT) | instid1(VALU_DEP_1)
	v_cndmask_b32_e64 v1, 0, v1, s10
	v_add_nc_u32_e32 v1, v1, v31
	s_delay_alu instid0(VALU_DEP_1) | instskip(NEXT) | instid1(VALU_DEP_1)
	v_cndmask_b32_e64 v1, 0, v1, s9
	v_add_nc_u32_e32 v1, v1, v32
	s_delay_alu instid0(VALU_DEP_1) | instskip(NEXT) | instid1(VALU_DEP_1)
	;; [unrolled: 3-line block ×9, first 2 shown]
	v_cndmask_b32_e64 v1, 0, v1, s0
	v_add_nc_u32_e32 v1, v1, v24
	s_delay_alu instid0(VALU_DEP_1) | instskip(SKIP_1) | instid1(VALU_DEP_2)
	v_cndmask_b32_e32 v1, 0, v1, vcc_lo
	v_cmp_eq_u32_e32 vcc_lo, 0, v2
	v_add_nc_u32_e32 v1, v1, v80
	s_delay_alu instid0(VALU_DEP_1) | instskip(NEXT) | instid1(VALU_DEP_1)
	v_mov_b32_dpp v3, v1 row_shr:1 row_mask:0xf bank_mask:0xf
	v_dual_cndmask_b32 v3, 0, v3 :: v_dual_and_b32 v4, 15, v81
	s_delay_alu instid0(VALU_DEP_1) | instskip(SKIP_2) | instid1(VALU_DEP_4)
	v_cmp_eq_u32_e32 vcc_lo, 0, v4
	v_cmp_lt_u32_e64 s14, 1, v4
	v_cndmask_b32_e64 v5, v5, 0, vcc_lo
	v_cndmask_b32_e64 v3, v3, 0, vcc_lo
	s_delay_alu instid0(VALU_DEP_2) | instskip(NEXT) | instid1(VALU_DEP_2)
	v_add_nc_u32_e32 v2, v5, v2
	v_add_nc_u32_e32 v1, v3, v1
	s_delay_alu instid0(VALU_DEP_2) | instskip(SKIP_1) | instid1(VALU_DEP_3)
	v_mov_b32_dpp v3, v2 row_shr:2 row_mask:0xf bank_mask:0xf
	v_cmp_eq_u32_e32 vcc_lo, 0, v2
	v_mov_b32_dpp v5, v1 row_shr:2 row_mask:0xf bank_mask:0xf
	s_delay_alu instid0(VALU_DEP_3) | instskip(SKIP_2) | instid1(VALU_DEP_2)
	v_cndmask_b32_e64 v3, 0, v3, s14
	s_and_b32 vcc_lo, s14, vcc_lo
	v_cmp_lt_u32_e64 s14, 3, v4
	v_dual_cndmask_b32 v5, 0, v5 :: v_dual_add_nc_u32 v2, v2, v3
	s_delay_alu instid0(VALU_DEP_1) | instskip(NEXT) | instid1(VALU_DEP_2)
	v_add_nc_u32_e32 v1, v5, v1
	v_mov_b32_dpp v3, v2 row_shr:4 row_mask:0xf bank_mask:0xf
	v_cmp_eq_u32_e32 vcc_lo, 0, v2
	s_delay_alu instid0(VALU_DEP_3) | instskip(NEXT) | instid1(VALU_DEP_3)
	v_mov_b32_dpp v5, v1 row_shr:4 row_mask:0xf bank_mask:0xf
	v_cndmask_b32_e64 v3, 0, v3, s14
	s_and_b32 vcc_lo, s14, vcc_lo
	v_cmp_lt_u32_e64 s14, 7, v4
	s_delay_alu instid0(VALU_DEP_2) | instskip(NEXT) | instid1(VALU_DEP_1)
	v_dual_cndmask_b32 v5, 0, v5 :: v_dual_add_nc_u32 v2, v3, v2
	v_add_nc_u32_e32 v1, v1, v5
	v_bfe_i32 v5, v81, 4, 1
	s_delay_alu instid0(VALU_DEP_3) | instskip(SKIP_1) | instid1(VALU_DEP_4)
	v_cmp_eq_u32_e32 vcc_lo, 0, v2
	v_mov_b32_dpp v3, v2 row_shr:8 row_mask:0xf bank_mask:0xf
	v_mov_b32_dpp v4, v1 row_shr:8 row_mask:0xf bank_mask:0xf
	s_and_b32 vcc_lo, s14, vcc_lo
	s_delay_alu instid0(VALU_DEP_2) | instskip(SKIP_1) | instid1(VALU_DEP_2)
	v_cndmask_b32_e64 v3, 0, v3, s14
	s_mov_b32 s14, exec_lo
	v_cndmask_b32_e32 v4, 0, v4, vcc_lo
	s_delay_alu instid0(VALU_DEP_1) | instskip(NEXT) | instid1(VALU_DEP_3)
	v_add_nc_u32_e32 v4, v4, v1
	v_add_nc_u32_e32 v1, v3, v2
	ds_swizzle_b32 v2, v4 offset:swizzle(BROADCAST,32,15)
	ds_swizzle_b32 v3, v1 offset:swizzle(BROADCAST,32,15)
	v_cmp_eq_u32_e32 vcc_lo, 0, v1
	s_waitcnt lgkmcnt(0)
	v_dual_cndmask_b32 v2, 0, v2 :: v_dual_and_b32 v3, v5, v3
	s_delay_alu instid0(VALU_DEP_1) | instskip(NEXT) | instid1(VALU_DEP_2)
	v_and_b32_e32 v2, v5, v2
	v_add_nc_u32_e32 v1, v3, v1
	v_lshlrev_b32_e32 v3, 3, v82
	s_delay_alu instid0(VALU_DEP_3)
	v_add_nc_u32_e32 v2, v2, v4
	v_cmpx_eq_u32_e64 v83, v0
	s_cbranch_execz .LBB1128_92
; %bb.91:
	ds_store_b64 v3, v[1:2] offset:2064
.LBB1128_92:
	s_or_b32 exec_lo, exec_lo, s14
	s_delay_alu instid0(SALU_CYCLE_1)
	s_mov_b32 s15, exec_lo
	s_waitcnt lgkmcnt(0)
	s_barrier
	buffer_gl0_inv
	v_cmpx_gt_u32_e32 8, v0
	s_cbranch_execz .LBB1128_94
; %bb.93:
	v_lshlrev_b32_e32 v6, 3, v0
	v_and_b32_e32 v8, 7, v81
	ds_load_b64 v[4:5], v6 offset:2064
	v_cmp_lt_u32_e64 s14, 1, v8
	s_waitcnt lgkmcnt(0)
	v_mov_b32_dpp v7, v5 row_shr:1 row_mask:0xf bank_mask:0xf
	v_cmp_eq_u32_e32 vcc_lo, 0, v4
	v_mov_b32_dpp v37, v4 row_shr:1 row_mask:0xf bank_mask:0xf
	s_delay_alu instid0(VALU_DEP_3) | instskip(SKIP_1) | instid1(VALU_DEP_3)
	v_cndmask_b32_e32 v7, 0, v7, vcc_lo
	v_cmp_eq_u32_e32 vcc_lo, 0, v8
	v_cndmask_b32_e64 v37, v37, 0, vcc_lo
	s_delay_alu instid0(VALU_DEP_3) | instskip(NEXT) | instid1(VALU_DEP_2)
	v_cndmask_b32_e64 v7, v7, 0, vcc_lo
	v_add_nc_u32_e32 v4, v37, v4
	s_delay_alu instid0(VALU_DEP_2) | instskip(NEXT) | instid1(VALU_DEP_2)
	v_add_nc_u32_e32 v5, v7, v5
	v_cmp_eq_u32_e32 vcc_lo, 0, v4
	s_delay_alu instid0(VALU_DEP_2) | instskip(SKIP_1) | instid1(VALU_DEP_1)
	v_mov_b32_dpp v37, v5 row_shr:2 row_mask:0xf bank_mask:0xf
	s_and_b32 vcc_lo, s14, vcc_lo
	v_cndmask_b32_e32 v37, 0, v37, vcc_lo
	v_mov_b32_dpp v7, v4 row_shr:2 row_mask:0xf bank_mask:0xf
	s_delay_alu instid0(VALU_DEP_2) | instskip(NEXT) | instid1(VALU_DEP_2)
	v_add_nc_u32_e32 v5, v37, v5
	v_cndmask_b32_e64 v7, 0, v7, s14
	v_cmp_lt_u32_e64 s14, 3, v8
	s_delay_alu instid0(VALU_DEP_3) | instskip(NEXT) | instid1(VALU_DEP_3)
	v_mov_b32_dpp v8, v5 row_shr:4 row_mask:0xf bank_mask:0xf
	v_add_nc_u32_e32 v4, v7, v4
	s_delay_alu instid0(VALU_DEP_1) | instskip(SKIP_2) | instid1(VALU_DEP_1)
	v_cmp_eq_u32_e32 vcc_lo, 0, v4
	v_mov_b32_dpp v7, v4 row_shr:4 row_mask:0xf bank_mask:0xf
	s_and_b32 vcc_lo, s14, vcc_lo
	v_cndmask_b32_e64 v7, 0, v7, s14
	v_cndmask_b32_e32 v8, 0, v8, vcc_lo
	s_delay_alu instid0(VALU_DEP_2) | instskip(NEXT) | instid1(VALU_DEP_2)
	v_add_nc_u32_e32 v4, v7, v4
	v_add_nc_u32_e32 v5, v8, v5
	ds_store_b64 v6, v[4:5] offset:2064
.LBB1128_94:
	s_or_b32 exec_lo, exec_lo, s15
	v_cmp_gt_u32_e32 vcc_lo, 32, v0
	v_dual_mov_b32 v37, 0 :: v_dual_mov_b32 v38, 0
	s_mov_b32 s15, exec_lo
	s_waitcnt lgkmcnt(0)
	s_barrier
	buffer_gl0_inv
	v_cmpx_lt_u32_e32 31, v0
	s_cbranch_execz .LBB1128_96
; %bb.95:
	ds_load_b64 v[37:38], v3 offset:2056
	v_cmp_eq_u32_e64 s14, 0, v1
	s_waitcnt lgkmcnt(0)
	s_delay_alu instid0(VALU_DEP_1) | instskip(SKIP_1) | instid1(VALU_DEP_2)
	v_cndmask_b32_e64 v3, 0, v38, s14
	v_add_nc_u32_e32 v1, v37, v1
	v_add_nc_u32_e32 v2, v3, v2
.LBB1128_96:
	s_or_b32 exec_lo, exec_lo, s15
	v_add_nc_u32_e32 v3, -1, v81
	s_delay_alu instid0(VALU_DEP_1) | instskip(NEXT) | instid1(VALU_DEP_1)
	v_cmp_gt_i32_e64 s14, 0, v3
	v_cndmask_b32_e64 v3, v3, v81, s14
	v_cmp_eq_u32_e64 s14, 0, v81
	s_delay_alu instid0(VALU_DEP_2)
	v_lshlrev_b32_e32 v3, 2, v3
	ds_bpermute_b32 v43, v3, v1
	ds_bpermute_b32 v44, v3, v2
	s_and_saveexec_b32 s22, vcc_lo
	s_cbranch_execz .LBB1128_114
; %bb.97:
	v_mov_b32_e32 v4, 0
	ds_load_b64 v[1:2], v4 offset:2120
	s_waitcnt lgkmcnt(0)
	v_readfirstlane_b32 s23, v2
	s_and_saveexec_b32 s15, s14
	s_cbranch_execz .LBB1128_99
; %bb.98:
	s_add_i32 s24, s33, 32
	s_mov_b32 s25, 0
	v_mov_b32_e32 v3, 1
	s_lshl_b64 s[36:37], s[24:25], 4
	s_mov_b32 s40, s25
	s_add_u32 s36, s20, s36
	s_addc_u32 s37, s21, s37
	s_and_b32 s41, s23, 0xff000000
	s_and_b32 s43, s23, 0xff0000
	s_mov_b32 s42, s25
	v_dual_mov_b32 v5, s36 :: v_dual_mov_b32 v6, s37
	s_or_b64 s[40:41], s[42:43], s[40:41]
	s_and_b32 s43, s23, 0xff00
	s_delay_alu instid0(SALU_CYCLE_1) | instskip(SKIP_1) | instid1(SALU_CYCLE_1)
	s_or_b64 s[40:41], s[40:41], s[42:43]
	s_and_b32 s43, s23, 0xff
	s_or_b64 s[24:25], s[40:41], s[42:43]
	s_delay_alu instid0(SALU_CYCLE_1)
	v_mov_b32_e32 v2, s25
	;;#ASMSTART
	global_store_dwordx4 v[5:6], v[1:4] off	
s_waitcnt vmcnt(0)
	;;#ASMEND
.LBB1128_99:
	s_or_b32 exec_lo, exec_lo, s15
	v_xad_u32 v39, v81, -1, s33
	s_mov_b32 s24, 0
	s_mov_b32 s15, exec_lo
	s_delay_alu instid0(VALU_DEP_1) | instskip(NEXT) | instid1(VALU_DEP_1)
	v_add_nc_u32_e32 v3, 32, v39
	v_lshlrev_b64 v[2:3], 4, v[3:4]
	s_delay_alu instid0(VALU_DEP_1) | instskip(NEXT) | instid1(VALU_DEP_2)
	v_add_co_u32 v2, vcc_lo, s20, v2
	v_add_co_ci_u32_e32 v3, vcc_lo, s21, v3, vcc_lo
	;;#ASMSTART
	global_load_dwordx4 v[5:8], v[2:3] off glc	
s_waitcnt vmcnt(0)
	;;#ASMEND
	v_and_b32_e32 v4, 0xff, v6
	v_and_b32_e32 v8, 0xff00, v6
	;; [unrolled: 1-line block ×3, first 2 shown]
	v_or3_b32 v5, v5, 0, 0
	v_and_b32_e32 v6, 0xff000000, v6
	s_delay_alu instid0(VALU_DEP_4) | instskip(SKIP_1) | instid1(VALU_DEP_4)
	v_or3_b32 v4, 0, v4, v8
	v_and_b32_e32 v8, 0xff, v7
	v_or3_b32 v5, v5, 0, 0
	s_delay_alu instid0(VALU_DEP_3) | instskip(NEXT) | instid1(VALU_DEP_3)
	v_or3_b32 v6, v4, v40, v6
	v_cmpx_eq_u16_e32 0, v8
	s_cbranch_execz .LBB1128_102
.LBB1128_100:                           ; =>This Inner Loop Header: Depth=1
	;;#ASMSTART
	global_load_dwordx4 v[5:8], v[2:3] off glc	
s_waitcnt vmcnt(0)
	;;#ASMEND
	v_and_b32_e32 v4, 0xff, v7
	s_delay_alu instid0(VALU_DEP_1) | instskip(SKIP_1) | instid1(SALU_CYCLE_1)
	v_cmp_ne_u16_e32 vcc_lo, 0, v4
	s_or_b32 s24, vcc_lo, s24
	s_and_not1_b32 exec_lo, exec_lo, s24
	s_cbranch_execnz .LBB1128_100
; %bb.101:
	s_or_b32 exec_lo, exec_lo, s24
.LBB1128_102:
	s_delay_alu instid0(SALU_CYCLE_1)
	s_or_b32 exec_lo, exec_lo, s15
	v_cmp_ne_u32_e32 vcc_lo, 31, v81
	v_and_b32_e32 v3, 0xff, v7
	v_lshlrev_b32_e64 v45, v81, -1
	v_add_nc_u32_e32 v47, 2, v81
	v_add_nc_u32_e32 v49, 4, v81
	v_add_co_ci_u32_e32 v2, vcc_lo, 0, v81, vcc_lo
	v_cmp_eq_u16_e32 vcc_lo, 2, v3
	v_add_nc_u32_e32 v51, 8, v81
	v_add_nc_u32_e32 v53, 16, v81
	v_and_or_b32 v8, vcc_lo, v45, 0x80000000
	v_cmp_gt_u32_e32 vcc_lo, 30, v81
	s_delay_alu instid0(VALU_DEP_2) | instskip(SKIP_2) | instid1(VALU_DEP_3)
	v_ctz_i32_b32_e32 v8, v8
	v_cndmask_b32_e64 v40, 0, 1, vcc_lo
	v_cmp_eq_u32_e32 vcc_lo, 0, v5
	v_cmp_lt_u32_e64 s15, v81, v8
	s_delay_alu instid0(VALU_DEP_3) | instskip(NEXT) | instid1(VALU_DEP_2)
	v_lshlrev_b32_e32 v40, 1, v40
	s_and_b32 vcc_lo, s15, vcc_lo
	v_lshlrev_b32_e32 v2, 2, v2
	s_delay_alu instid0(VALU_DEP_2)
	v_add_lshl_u32 v46, v40, v81, 2
	ds_bpermute_b32 v3, v2, v6
	s_waitcnt lgkmcnt(0)
	v_cndmask_b32_e32 v3, 0, v3, vcc_lo
	ds_bpermute_b32 v4, v2, v5
	v_cmp_gt_u32_e32 vcc_lo, 28, v81
	v_add_nc_u32_e32 v3, v3, v6
	ds_bpermute_b32 v6, v46, v3
	s_waitcnt lgkmcnt(1)
	v_cndmask_b32_e64 v4, 0, v4, s15
	s_delay_alu instid0(VALU_DEP_1) | instskip(SKIP_1) | instid1(VALU_DEP_2)
	v_add_nc_u32_e32 v4, v4, v5
	v_cndmask_b32_e64 v5, 0, 1, vcc_lo
	v_cmp_eq_u32_e32 vcc_lo, 0, v4
	ds_bpermute_b32 v40, v46, v4
	s_waitcnt lgkmcnt(1)
	v_dual_cndmask_b32 v6, 0, v6 :: v_dual_lshlrev_b32 v5, 2, v5
	v_cmp_gt_u32_e32 vcc_lo, v47, v8
	s_delay_alu instid0(VALU_DEP_2) | instskip(NEXT) | instid1(VALU_DEP_3)
	v_add_lshl_u32 v48, v5, v81, 2
	v_cndmask_b32_e64 v6, v6, 0, vcc_lo
	s_delay_alu instid0(VALU_DEP_1) | instskip(SKIP_4) | instid1(VALU_DEP_2)
	v_add_nc_u32_e32 v3, v6, v3
	ds_bpermute_b32 v5, v48, v3
	s_waitcnt lgkmcnt(1)
	v_cndmask_b32_e64 v6, v40, 0, vcc_lo
	v_cmp_gt_u32_e32 vcc_lo, 24, v81
	v_add_nc_u32_e32 v4, v4, v6
	v_cndmask_b32_e64 v40, 0, 1, vcc_lo
	ds_bpermute_b32 v6, v48, v4
	v_cmp_eq_u32_e32 vcc_lo, 0, v4
	v_lshlrev_b32_e32 v40, 3, v40
	s_delay_alu instid0(VALU_DEP_1) | instskip(SKIP_3) | instid1(VALU_DEP_2)
	v_add_lshl_u32 v50, v40, v81, 2
	s_waitcnt lgkmcnt(1)
	v_cndmask_b32_e32 v5, 0, v5, vcc_lo
	v_cmp_gt_u32_e32 vcc_lo, v49, v8
	v_cndmask_b32_e64 v5, v5, 0, vcc_lo
	s_delay_alu instid0(VALU_DEP_1)
	v_add_nc_u32_e32 v3, v3, v5
	s_waitcnt lgkmcnt(0)
	v_cndmask_b32_e64 v6, v6, 0, vcc_lo
	v_cmp_gt_u32_e32 vcc_lo, 16, v81
	ds_bpermute_b32 v5, v50, v3
	v_add_nc_u32_e32 v4, v4, v6
	v_cndmask_b32_e64 v40, 0, 1, vcc_lo
	ds_bpermute_b32 v6, v50, v4
	v_cmp_eq_u32_e32 vcc_lo, 0, v4
	v_lshlrev_b32_e32 v40, 4, v40
	s_delay_alu instid0(VALU_DEP_1) | instskip(SKIP_3) | instid1(VALU_DEP_2)
	v_add_lshl_u32 v52, v40, v81, 2
	s_waitcnt lgkmcnt(1)
	v_dual_mov_b32 v40, 0 :: v_dual_cndmask_b32 v5, 0, v5
	v_cmp_gt_u32_e32 vcc_lo, v51, v8
	v_cndmask_b32_e64 v5, v5, 0, vcc_lo
	s_delay_alu instid0(VALU_DEP_1)
	v_add_nc_u32_e32 v3, v3, v5
	s_waitcnt lgkmcnt(0)
	v_cndmask_b32_e64 v5, v6, 0, vcc_lo
	ds_bpermute_b32 v6, v52, v3
	v_add_nc_u32_e32 v4, v4, v5
	ds_bpermute_b32 v5, v52, v4
	v_cmp_eq_u32_e32 vcc_lo, 0, v4
	s_waitcnt lgkmcnt(1)
	v_cndmask_b32_e32 v6, 0, v6, vcc_lo
	v_cmp_gt_u32_e32 vcc_lo, v53, v8
	s_delay_alu instid0(VALU_DEP_2) | instskip(SKIP_2) | instid1(VALU_DEP_2)
	v_cndmask_b32_e64 v6, v6, 0, vcc_lo
	s_waitcnt lgkmcnt(0)
	v_cndmask_b32_e64 v5, v5, 0, vcc_lo
	v_add_nc_u32_e32 v6, v6, v3
	s_delay_alu instid0(VALU_DEP_2)
	v_add_nc_u32_e32 v5, v5, v4
	s_branch .LBB1128_104
.LBB1128_103:                           ;   in Loop: Header=BB1128_104 Depth=1
	s_or_b32 exec_lo, exec_lo, s15
	v_and_b32_e32 v8, 0xff, v7
	ds_bpermute_b32 v41, v2, v5
	v_subrev_nc_u32_e32 v39, 32, v39
	v_cmp_eq_u16_e32 vcc_lo, 2, v8
	ds_bpermute_b32 v8, v2, v6
	v_and_or_b32 v42, vcc_lo, v45, 0x80000000
	v_cmp_eq_u32_e32 vcc_lo, 0, v5
	s_delay_alu instid0(VALU_DEP_2) | instskip(NEXT) | instid1(VALU_DEP_1)
	v_ctz_i32_b32_e32 v42, v42
	v_cmp_lt_u32_e64 s15, v81, v42
	s_delay_alu instid0(VALU_DEP_1) | instskip(SKIP_4) | instid1(VALU_DEP_2)
	s_and_b32 vcc_lo, s15, vcc_lo
	s_waitcnt lgkmcnt(1)
	v_cndmask_b32_e64 v41, 0, v41, s15
	s_waitcnt lgkmcnt(0)
	v_cndmask_b32_e32 v8, 0, v8, vcc_lo
	v_add_nc_u32_e32 v5, v41, v5
	s_delay_alu instid0(VALU_DEP_2)
	v_add_nc_u32_e32 v6, v8, v6
	ds_bpermute_b32 v41, v46, v5
	ds_bpermute_b32 v8, v46, v6
	v_cmp_eq_u32_e32 vcc_lo, 0, v5
	s_waitcnt lgkmcnt(0)
	v_cndmask_b32_e32 v8, 0, v8, vcc_lo
	v_cmp_gt_u32_e32 vcc_lo, v47, v42
	v_cndmask_b32_e64 v41, v41, 0, vcc_lo
	s_delay_alu instid0(VALU_DEP_1) | instskip(NEXT) | instid1(VALU_DEP_4)
	v_add_nc_u32_e32 v5, v5, v41
	v_cndmask_b32_e64 v8, v8, 0, vcc_lo
	ds_bpermute_b32 v41, v48, v5
	v_add_nc_u32_e32 v6, v8, v6
	v_cmp_eq_u32_e32 vcc_lo, 0, v5
	ds_bpermute_b32 v8, v48, v6
	s_waitcnt lgkmcnt(0)
	v_cndmask_b32_e32 v8, 0, v8, vcc_lo
	v_cmp_gt_u32_e32 vcc_lo, v49, v42
	v_cndmask_b32_e64 v41, v41, 0, vcc_lo
	s_delay_alu instid0(VALU_DEP_1) | instskip(NEXT) | instid1(VALU_DEP_4)
	v_add_nc_u32_e32 v5, v5, v41
	v_cndmask_b32_e64 v8, v8, 0, vcc_lo
	ds_bpermute_b32 v41, v50, v5
	v_add_nc_u32_e32 v6, v6, v8
	v_cmp_eq_u32_e32 vcc_lo, 0, v5
	ds_bpermute_b32 v8, v50, v6
	;; [unrolled: 11-line block ×3, first 2 shown]
	s_waitcnt lgkmcnt(0)
	v_cndmask_b32_e32 v8, 0, v8, vcc_lo
	v_cmp_gt_u32_e32 vcc_lo, v53, v42
	s_delay_alu instid0(VALU_DEP_2) | instskip(NEXT) | instid1(VALU_DEP_1)
	v_cndmask_b32_e64 v8, v8, 0, vcc_lo
	v_add_nc_u32_e32 v6, v8, v6
	v_cndmask_b32_e64 v8, v41, 0, vcc_lo
	v_cmp_eq_u32_e32 vcc_lo, 0, v3
	s_delay_alu instid0(VALU_DEP_2) | instskip(NEXT) | instid1(VALU_DEP_4)
	v_add3_u32 v5, v5, v3, v8
	v_cndmask_b32_e32 v6, 0, v6, vcc_lo
	s_delay_alu instid0(VALU_DEP_1)
	v_add_nc_u32_e32 v6, v6, v4
.LBB1128_104:                           ; =>This Loop Header: Depth=1
                                        ;     Child Loop BB1128_107 Depth 2
	s_delay_alu instid0(VALU_DEP_1) | instskip(NEXT) | instid1(VALU_DEP_1)
	v_dual_mov_b32 v4, v6 :: v_dual_and_b32 v3, 0xff, v7
	v_cmp_ne_u16_e32 vcc_lo, 2, v3
	v_cndmask_b32_e64 v3, 0, 1, vcc_lo
	;;#ASMSTART
	;;#ASMEND
	s_delay_alu instid0(VALU_DEP_1)
	v_cmp_ne_u32_e32 vcc_lo, 0, v3
	v_mov_b32_e32 v3, v5
	s_cmp_lg_u32 vcc_lo, exec_lo
	s_cbranch_scc1 .LBB1128_109
; %bb.105:                              ;   in Loop: Header=BB1128_104 Depth=1
	v_lshlrev_b64 v[5:6], 4, v[39:40]
	s_mov_b32 s15, exec_lo
	s_delay_alu instid0(VALU_DEP_1) | instskip(NEXT) | instid1(VALU_DEP_2)
	v_add_co_u32 v41, vcc_lo, s20, v5
	v_add_co_ci_u32_e32 v42, vcc_lo, s21, v6, vcc_lo
	;;#ASMSTART
	global_load_dwordx4 v[5:8], v[41:42] off glc	
s_waitcnt vmcnt(0)
	;;#ASMEND
	v_and_b32_e32 v8, 0xff, v6
	v_and_b32_e32 v54, 0xff00, v6
	;; [unrolled: 1-line block ×3, first 2 shown]
	v_or3_b32 v5, v5, 0, 0
	v_and_b32_e32 v6, 0xff000000, v6
	s_delay_alu instid0(VALU_DEP_4) | instskip(SKIP_1) | instid1(VALU_DEP_4)
	v_or3_b32 v8, 0, v8, v54
	v_and_b32_e32 v54, 0xff, v7
	v_or3_b32 v5, v5, 0, 0
	s_delay_alu instid0(VALU_DEP_3) | instskip(NEXT) | instid1(VALU_DEP_3)
	v_or3_b32 v6, v8, v55, v6
	v_cmpx_eq_u16_e32 0, v54
	s_cbranch_execz .LBB1128_103
; %bb.106:                              ;   in Loop: Header=BB1128_104 Depth=1
	s_mov_b32 s24, 0
.LBB1128_107:                           ;   Parent Loop BB1128_104 Depth=1
                                        ; =>  This Inner Loop Header: Depth=2
	;;#ASMSTART
	global_load_dwordx4 v[5:8], v[41:42] off glc	
s_waitcnt vmcnt(0)
	;;#ASMEND
	v_and_b32_e32 v8, 0xff, v7
	s_delay_alu instid0(VALU_DEP_1) | instskip(SKIP_1) | instid1(SALU_CYCLE_1)
	v_cmp_ne_u16_e32 vcc_lo, 0, v8
	s_or_b32 s24, vcc_lo, s24
	s_and_not1_b32 exec_lo, exec_lo, s24
	s_cbranch_execnz .LBB1128_107
; %bb.108:                              ;   in Loop: Header=BB1128_104 Depth=1
	s_or_b32 exec_lo, exec_lo, s24
	s_branch .LBB1128_103
.LBB1128_109:                           ;   in Loop: Header=BB1128_104 Depth=1
                                        ; implicit-def: $vgpr6
                                        ; implicit-def: $vgpr5
                                        ; implicit-def: $vgpr7
	s_cbranch_execz .LBB1128_104
; %bb.110:
	s_and_saveexec_b32 s15, s14
	s_cbranch_execz .LBB1128_112
; %bb.111:
	v_cmp_eq_u32_e32 vcc_lo, 0, v1
	s_mov_b32 s25, 0
	s_add_i32 s24, s33, 32
	v_add_nc_u32_e32 v5, v3, v1
	s_lshl_b64 s[24:25], s[24:25], 4
	v_cndmask_b32_e32 v2, 0, v4, vcc_lo
	s_add_u32 s24, s20, s24
	s_addc_u32 s25, s21, s25
	v_mov_b32_e32 v8, 0
	s_delay_alu instid0(VALU_DEP_2) | instskip(NEXT) | instid1(VALU_DEP_1)
	v_add_nc_u32_e32 v2, s23, v2
	v_and_b32_e32 v6, 0xff000000, v2
	v_and_b32_e32 v7, 0xff0000, v2
	s_delay_alu instid0(VALU_DEP_1) | instskip(SKIP_3) | instid1(VALU_DEP_1)
	v_or_b32_e32 v6, v7, v6
	v_mov_b32_e32 v7, 2
	v_and_b32_e32 v39, 0xff00, v2
	v_and_b32_e32 v2, 0xff, v2
	v_or3_b32 v6, v6, v39, v2
	v_mov_b32_e32 v2, s23
	v_dual_mov_b32 v40, s25 :: v_dual_mov_b32 v39, s24
	;;#ASMSTART
	global_store_dwordx4 v[39:40], v[5:8] off	
s_waitcnt vmcnt(0)
	;;#ASMEND
	ds_store_b128 v8, v[1:4] offset:2048
.LBB1128_112:
	s_or_b32 exec_lo, exec_lo, s15
	s_delay_alu instid0(SALU_CYCLE_1)
	s_and_b32 exec_lo, exec_lo, s2
	s_cbranch_execz .LBB1128_114
; %bb.113:
	v_mov_b32_e32 v1, 0
	ds_store_b64 v1, v[3:4] offset:2120
.LBB1128_114:
	s_or_b32 exec_lo, exec_lo, s22
	s_waitcnt lgkmcnt(1)
	v_cndmask_b32_e64 v4, v43, v37, s14
	s_waitcnt lgkmcnt(0)
	s_barrier
	buffer_gl0_inv
	v_cndmask_b32_e64 v5, v44, v38, s14
	v_cmp_eq_u32_e32 vcc_lo, 0, v4
	v_mov_b32_e32 v3, 0
	ds_load_b64 v[1:2], v3 offset:2120
	s_waitcnt lgkmcnt(0)
	s_barrier
	buffer_gl0_inv
	v_cndmask_b32_e32 v6, 0, v2, vcc_lo
	v_cmp_eq_u32_e32 vcc_lo, 0, v78
	s_delay_alu instid0(VALU_DEP_2) | instskip(NEXT) | instid1(VALU_DEP_1)
	v_add_nc_u32_e32 v5, v6, v5
	v_cndmask_b32_e64 v54, v5, v2, s2
	s_delay_alu instid0(VALU_DEP_1) | instskip(NEXT) | instid1(VALU_DEP_1)
	v_cndmask_b32_e32 v2, 0, v54, vcc_lo
	v_add_nc_u32_e32 v60, v2, v35
	s_delay_alu instid0(VALU_DEP_1) | instskip(NEXT) | instid1(VALU_DEP_1)
	v_cndmask_b32_e64 v2, 0, v60, s13
	v_add_nc_u32_e32 v56, v2, v36
	s_delay_alu instid0(VALU_DEP_1) | instskip(NEXT) | instid1(VALU_DEP_1)
	v_cndmask_b32_e64 v2, 0, v56, s12
	;; [unrolled: 3-line block ×5, first 2 shown]
	v_add_nc_u32_e32 v40, v2, v32
	v_cndmask_b32_e64 v2, v4, 0, s2
	s_delay_alu instid0(VALU_DEP_2) | instskip(NEXT) | instid1(VALU_DEP_2)
	v_cndmask_b32_e64 v4, 0, v40, s8
	v_add_nc_u32_e32 v53, v1, v2
	s_delay_alu instid0(VALU_DEP_2) | instskip(NEXT) | instid1(VALU_DEP_1)
	v_add_nc_u32_e32 v44, v4, v29
	v_cndmask_b32_e64 v1, 0, v44, s7
	s_delay_alu instid0(VALU_DEP_1) | instskip(NEXT) | instid1(VALU_DEP_1)
	v_add_nc_u32_e32 v48, v1, v30
	v_cndmask_b32_e64 v1, 0, v48, s6
	s_delay_alu instid0(VALU_DEP_1) | instskip(NEXT) | instid1(VALU_DEP_1)
	v_add_nc_u32_e32 v6, v1, v27
	v_cndmask_b32_e64 v1, 0, v6, s5
	s_delay_alu instid0(VALU_DEP_1) | instskip(NEXT) | instid1(VALU_DEP_1)
	v_add_nc_u32_e32 v8, v1, v28
	v_cndmask_b32_e64 v1, 0, v8, s4
	s_delay_alu instid0(VALU_DEP_1) | instskip(SKIP_2) | instid1(VALU_DEP_1)
	v_add_nc_u32_e32 v38, v1, v25
	ds_load_b128 v[1:4], v3 offset:2048
	v_cndmask_b32_e64 v37, 0, v38, s3
	v_add_nc_u32_e32 v62, v37, v26
	s_delay_alu instid0(VALU_DEP_1) | instskip(NEXT) | instid1(VALU_DEP_1)
	v_cndmask_b32_e64 v49, 0, v62, s1
	v_add_nc_u32_e32 v58, v49, v23
	s_waitcnt lgkmcnt(0)
	v_cmp_eq_u32_e32 vcc_lo, 0, v1
	s_delay_alu instid0(VALU_DEP_2) | instskip(SKIP_1) | instid1(VALU_DEP_2)
	v_cndmask_b32_e64 v50, 0, v58, s0
	v_dual_cndmask_b32 v4, 0, v4 :: v_dual_add_nc_u32 v59, v53, v78
	v_add_nc_u32_e32 v50, v50, v24
	s_delay_alu instid0(VALU_DEP_2) | instskip(NEXT) | instid1(VALU_DEP_3)
	v_add_nc_u32_e32 v79, v4, v2
	v_add_nc_u32_e32 v55, v59, v77
	s_delay_alu instid0(VALU_DEP_1) | instskip(NEXT) | instid1(VALU_DEP_1)
	v_add_nc_u32_e32 v51, v55, v76
	v_add_nc_u32_e32 v45, v51, v75
	s_delay_alu instid0(VALU_DEP_1) | instskip(NEXT) | instid1(VALU_DEP_1)
	;; [unrolled: 3-line block ×6, first 2 shown]
	v_add_nc_u32_e32 v57, v61, v65
	v_add_nc_u32_e32 v49, v57, v64
	s_branch .LBB1128_127
.LBB1128_115:
                                        ; implicit-def: $vgpr1
                                        ; implicit-def: $vgpr79
                                        ; implicit-def: $vgpr53_vgpr54
                                        ; implicit-def: $vgpr59_vgpr60
                                        ; implicit-def: $vgpr55_vgpr56
                                        ; implicit-def: $vgpr51_vgpr52
                                        ; implicit-def: $vgpr45_vgpr46
                                        ; implicit-def: $vgpr41_vgpr42
                                        ; implicit-def: $vgpr39_vgpr40
                                        ; implicit-def: $vgpr43_vgpr44
                                        ; implicit-def: $vgpr47_vgpr48
                                        ; implicit-def: $vgpr5_vgpr6
                                        ; implicit-def: $vgpr7_vgpr8
                                        ; implicit-def: $vgpr37_vgpr38
                                        ; implicit-def: $vgpr61_vgpr62
                                        ; implicit-def: $vgpr57_vgpr58
                                        ; implicit-def: $vgpr49_vgpr50
	s_cbranch_execz .LBB1128_127
; %bb.116:
	s_and_b32 s0, s16, exec_lo
	v_mov_b32_e32 v49, v35
	s_cselect_b32 s1, 0, s35
	s_cselect_b32 s0, 0, s34
	s_delay_alu instid0(SALU_CYCLE_1)
	s_cmp_eq_u64 s[0:1], 0
	s_cbranch_scc1 .LBB1128_118
; %bb.117:
	v_mov_b32_e32 v1, 0
	global_load_b32 v49, v1, s[0:1]
.LBB1128_118:
	v_cmp_eq_u32_e64 s7, 0, v77
	v_cmp_eq_u32_e64 s8, 0, v76
	;; [unrolled: 1-line block ×5, first 2 shown]
	v_cndmask_b32_e64 v1, 0, v35, s7
	v_cmp_eq_u32_e64 s12, 0, v72
	v_cmp_eq_u32_e64 s6, 0, v71
	;; [unrolled: 1-line block ×4, first 2 shown]
	v_add_nc_u32_e32 v1, v1, v36
	v_cmp_eq_u32_e64 s3, 0, v67
	v_add3_u32 v2, v84, v73, v72
	v_cmp_eq_u32_e64 s1, 0, v66
	v_cmp_eq_u32_e32 vcc_lo, 0, v65
	v_cndmask_b32_e64 v1, 0, v1, s8
	v_cmp_eq_u32_e64 s0, 0, v64
	v_add3_u32 v2, v2, v71, v70
	v_cmp_eq_u32_e64 s13, 0, v69
	v_and_b32_e32 v4, 15, v81
	v_add_nc_u32_e32 v1, v1, v33
	s_delay_alu instid0(VALU_DEP_4) | instskip(NEXT) | instid1(VALU_DEP_3)
	v_add3_u32 v2, v2, v68, v67
	v_cmp_lt_u32_e64 s14, 1, v4
	s_delay_alu instid0(VALU_DEP_3) | instskip(NEXT) | instid1(VALU_DEP_3)
	v_cndmask_b32_e64 v1, 0, v1, s9
	v_add3_u32 v2, v2, v66, v65
	s_delay_alu instid0(VALU_DEP_2) | instskip(NEXT) | instid1(VALU_DEP_2)
	v_add_nc_u32_e32 v1, v1, v34
	v_add3_u32 v2, v2, v64, v69
	s_delay_alu instid0(VALU_DEP_2) | instskip(NEXT) | instid1(VALU_DEP_2)
	v_cndmask_b32_e64 v1, 0, v1, s10
	v_mov_b32_dpp v5, v2 row_shr:1 row_mask:0xf bank_mask:0xf
	s_delay_alu instid0(VALU_DEP_2) | instskip(NEXT) | instid1(VALU_DEP_1)
	v_add_nc_u32_e32 v1, v1, v31
	v_cndmask_b32_e64 v1, 0, v1, s11
	s_delay_alu instid0(VALU_DEP_1) | instskip(NEXT) | instid1(VALU_DEP_1)
	v_add_nc_u32_e32 v1, v1, v32
	v_cndmask_b32_e64 v1, 0, v1, s12
	s_delay_alu instid0(VALU_DEP_1) | instskip(NEXT) | instid1(VALU_DEP_1)
	;; [unrolled: 3-line block ×7, first 2 shown]
	v_add_nc_u32_e32 v1, v1, v26
	v_cndmask_b32_e32 v1, 0, v1, vcc_lo
	s_delay_alu instid0(VALU_DEP_1) | instskip(NEXT) | instid1(VALU_DEP_1)
	v_add_nc_u32_e32 v1, v1, v23
	v_cndmask_b32_e64 v1, 0, v1, s0
	s_delay_alu instid0(VALU_DEP_1) | instskip(NEXT) | instid1(VALU_DEP_1)
	v_add_nc_u32_e32 v1, v1, v24
	v_cndmask_b32_e64 v1, 0, v1, s13
	v_cmp_eq_u32_e64 s13, 0, v2
	s_delay_alu instid0(VALU_DEP_2) | instskip(NEXT) | instid1(VALU_DEP_1)
	v_add_nc_u32_e32 v1, v1, v80
	v_mov_b32_dpp v3, v1 row_shr:1 row_mask:0xf bank_mask:0xf
	s_delay_alu instid0(VALU_DEP_1) | instskip(SKIP_1) | instid1(VALU_DEP_1)
	v_cndmask_b32_e64 v3, 0, v3, s13
	v_cmp_eq_u32_e64 s13, 0, v4
	v_cndmask_b32_e64 v5, v5, 0, s13
	s_delay_alu instid0(VALU_DEP_3) | instskip(NEXT) | instid1(VALU_DEP_2)
	v_cndmask_b32_e64 v3, v3, 0, s13
	v_add_nc_u32_e32 v2, v5, v2
	s_delay_alu instid0(VALU_DEP_2) | instskip(NEXT) | instid1(VALU_DEP_2)
	v_add_nc_u32_e32 v1, v3, v1
	v_mov_b32_dpp v3, v2 row_shr:2 row_mask:0xf bank_mask:0xf
	v_cmp_eq_u32_e64 s13, 0, v2
	s_delay_alu instid0(VALU_DEP_3) | instskip(NEXT) | instid1(VALU_DEP_3)
	v_mov_b32_dpp v5, v1 row_shr:2 row_mask:0xf bank_mask:0xf
	v_cndmask_b32_e64 v3, 0, v3, s14
	s_delay_alu instid0(VALU_DEP_3) | instskip(SKIP_1) | instid1(VALU_DEP_3)
	s_and_b32 s13, s14, s13
	v_cmp_lt_u32_e64 s14, 3, v4
	v_cndmask_b32_e64 v5, 0, v5, s13
	s_delay_alu instid0(VALU_DEP_3) | instskip(NEXT) | instid1(VALU_DEP_2)
	v_add_nc_u32_e32 v2, v2, v3
	v_add_nc_u32_e32 v1, v5, v1
	s_delay_alu instid0(VALU_DEP_2) | instskip(SKIP_1) | instid1(VALU_DEP_3)
	v_mov_b32_dpp v3, v2 row_shr:4 row_mask:0xf bank_mask:0xf
	v_cmp_eq_u32_e64 s13, 0, v2
	v_mov_b32_dpp v5, v1 row_shr:4 row_mask:0xf bank_mask:0xf
	s_delay_alu instid0(VALU_DEP_3) | instskip(NEXT) | instid1(VALU_DEP_3)
	v_cndmask_b32_e64 v3, 0, v3, s14
	s_and_b32 s13, s14, s13
	v_cmp_lt_u32_e64 s14, 7, v4
	s_delay_alu instid0(VALU_DEP_3) | instskip(NEXT) | instid1(VALU_DEP_3)
	v_cndmask_b32_e64 v5, 0, v5, s13
	v_add_nc_u32_e32 v2, v3, v2
	s_delay_alu instid0(VALU_DEP_2) | instskip(SKIP_1) | instid1(VALU_DEP_3)
	v_add_nc_u32_e32 v1, v1, v5
	v_bfe_i32 v5, v81, 4, 1
	v_cmp_eq_u32_e64 s13, 0, v2
	v_mov_b32_dpp v3, v2 row_shr:8 row_mask:0xf bank_mask:0xf
	s_delay_alu instid0(VALU_DEP_4) | instskip(NEXT) | instid1(VALU_DEP_3)
	v_mov_b32_dpp v4, v1 row_shr:8 row_mask:0xf bank_mask:0xf
	s_and_b32 s13, s14, s13
	s_delay_alu instid0(VALU_DEP_2) | instskip(SKIP_1) | instid1(VALU_DEP_2)
	v_cndmask_b32_e64 v3, 0, v3, s14
	s_mov_b32 s14, exec_lo
	v_cndmask_b32_e64 v4, 0, v4, s13
	s_delay_alu instid0(VALU_DEP_1) | instskip(NEXT) | instid1(VALU_DEP_3)
	v_add_nc_u32_e32 v4, v4, v1
	v_add_nc_u32_e32 v1, v3, v2
	ds_swizzle_b32 v2, v4 offset:swizzle(BROADCAST,32,15)
	ds_swizzle_b32 v3, v1 offset:swizzle(BROADCAST,32,15)
	v_cmp_eq_u32_e64 s13, 0, v1
	s_waitcnt lgkmcnt(1)
	s_delay_alu instid0(VALU_DEP_1) | instskip(SKIP_2) | instid1(VALU_DEP_2)
	v_cndmask_b32_e64 v2, 0, v2, s13
	s_waitcnt lgkmcnt(0)
	v_and_b32_e32 v3, v5, v3
	v_and_b32_e32 v2, v5, v2
	s_delay_alu instid0(VALU_DEP_2) | instskip(NEXT) | instid1(VALU_DEP_2)
	v_add_nc_u32_e32 v1, v3, v1
	v_add_nc_u32_e32 v2, v2, v4
	v_lshlrev_b32_e32 v4, 3, v82
	v_cmpx_eq_u32_e64 v83, v0
	s_cbranch_execz .LBB1128_120
; %bb.119:
	ds_store_b64 v4, v[1:2] offset:2064
.LBB1128_120:
	s_or_b32 exec_lo, exec_lo, s14
	s_delay_alu instid0(SALU_CYCLE_1)
	s_mov_b32 s15, exec_lo
	s_waitcnt vmcnt(0) lgkmcnt(0)
	s_barrier
	buffer_gl0_inv
	v_cmpx_gt_u32_e32 8, v0
	s_cbranch_execz .LBB1128_122
; %bb.121:
	v_lshlrev_b32_e32 v3, 3, v0
	v_and_b32_e32 v8, 7, v81
	ds_load_b64 v[5:6], v3 offset:2064
	v_cmp_lt_u32_e64 s14, 1, v8
	s_waitcnt lgkmcnt(0)
	v_mov_b32_dpp v7, v6 row_shr:1 row_mask:0xf bank_mask:0xf
	v_cmp_eq_u32_e64 s13, 0, v5
	v_mov_b32_dpp v37, v5 row_shr:1 row_mask:0xf bank_mask:0xf
	s_delay_alu instid0(VALU_DEP_2) | instskip(SKIP_1) | instid1(VALU_DEP_1)
	v_cndmask_b32_e64 v7, 0, v7, s13
	v_cmp_eq_u32_e64 s13, 0, v8
	v_cndmask_b32_e64 v37, v37, 0, s13
	s_delay_alu instid0(VALU_DEP_3) | instskip(NEXT) | instid1(VALU_DEP_2)
	v_cndmask_b32_e64 v7, v7, 0, s13
	v_add_nc_u32_e32 v5, v37, v5
	s_delay_alu instid0(VALU_DEP_2) | instskip(NEXT) | instid1(VALU_DEP_2)
	v_add_nc_u32_e32 v6, v7, v6
	v_mov_b32_dpp v7, v5 row_shr:2 row_mask:0xf bank_mask:0xf
	v_cmp_eq_u32_e64 s13, 0, v5
	s_delay_alu instid0(VALU_DEP_3) | instskip(NEXT) | instid1(VALU_DEP_3)
	v_mov_b32_dpp v37, v6 row_shr:2 row_mask:0xf bank_mask:0xf
	v_cndmask_b32_e64 v7, 0, v7, s14
	s_delay_alu instid0(VALU_DEP_3) | instskip(SKIP_1) | instid1(VALU_DEP_3)
	s_and_b32 s13, s14, s13
	v_cmp_lt_u32_e64 s14, 3, v8
	v_cndmask_b32_e64 v37, 0, v37, s13
	s_delay_alu instid0(VALU_DEP_3) | instskip(NEXT) | instid1(VALU_DEP_2)
	v_add_nc_u32_e32 v5, v7, v5
	v_add_nc_u32_e32 v6, v37, v6
	s_delay_alu instid0(VALU_DEP_2) | instskip(SKIP_1) | instid1(VALU_DEP_3)
	v_cmp_eq_u32_e64 s13, 0, v5
	v_mov_b32_dpp v7, v5 row_shr:4 row_mask:0xf bank_mask:0xf
	v_mov_b32_dpp v8, v6 row_shr:4 row_mask:0xf bank_mask:0xf
	s_delay_alu instid0(VALU_DEP_3) | instskip(NEXT) | instid1(VALU_DEP_2)
	s_and_b32 s13, s14, s13
	v_cndmask_b32_e64 v7, 0, v7, s14
	s_delay_alu instid0(VALU_DEP_2) | instskip(NEXT) | instid1(VALU_DEP_2)
	v_cndmask_b32_e64 v8, 0, v8, s13
	v_add_nc_u32_e32 v5, v7, v5
	s_delay_alu instid0(VALU_DEP_2)
	v_add_nc_u32_e32 v6, v8, v6
	ds_store_b64 v3, v[5:6] offset:2064
.LBB1128_122:
	s_or_b32 exec_lo, exec_lo, s15
	v_mov_b32_e32 v7, 0
	v_mov_b32_e32 v3, 0
	;; [unrolled: 1-line block ×3, first 2 shown]
	s_mov_b32 s14, exec_lo
	s_waitcnt lgkmcnt(0)
	s_barrier
	buffer_gl0_inv
	v_cmpx_lt_u32_e32 31, v0
	s_cbranch_execz .LBB1128_124
; %bb.123:
	ds_load_b64 v[3:4], v4 offset:2056
	s_waitcnt lgkmcnt(0)
	v_cmp_eq_u32_e64 s13, 0, v3
	s_delay_alu instid0(VALU_DEP_1) | instskip(NEXT) | instid1(VALU_DEP_1)
	v_cndmask_b32_e64 v5, 0, v49, s13
	v_add_nc_u32_e32 v5, v5, v4
.LBB1128_124:
	s_or_b32 exec_lo, exec_lo, s14
	v_add_nc_u32_e32 v4, -1, v81
	s_delay_alu instid0(VALU_DEP_1) | instskip(NEXT) | instid1(VALU_DEP_1)
	v_cmp_gt_i32_e64 s13, 0, v4
	v_cndmask_b32_e64 v4, v4, v81, s13
	v_cmp_eq_u32_e64 s13, 0, v1
	v_add_nc_u32_e32 v1, v3, v1
	s_delay_alu instid0(VALU_DEP_3) | instskip(NEXT) | instid1(VALU_DEP_3)
	v_lshlrev_b32_e32 v4, 2, v4
	v_cndmask_b32_e64 v6, 0, v5, s13
	v_cmp_eq_u32_e64 s13, 0, v81
	ds_bpermute_b32 v1, v4, v1
	v_add_nc_u32_e32 v2, v6, v2
	ds_bpermute_b32 v2, v4, v2
	s_waitcnt lgkmcnt(1)
	v_cndmask_b32_e64 v1, v1, v3, s13
	s_delay_alu instid0(VALU_DEP_1) | instskip(SKIP_3) | instid1(VALU_DEP_2)
	v_cndmask_b32_e64 v53, v1, 0, s2
	s_waitcnt lgkmcnt(0)
	v_cndmask_b32_e64 v2, v2, v5, s13
	v_cmp_eq_u32_e64 s13, 0, v78
	v_cndmask_b32_e64 v54, v2, v49, s2
	s_delay_alu instid0(VALU_DEP_1) | instskip(NEXT) | instid1(VALU_DEP_1)
	v_cndmask_b32_e64 v2, 0, v54, s13
	v_add_nc_u32_e32 v60, v2, v35
	s_delay_alu instid0(VALU_DEP_1) | instskip(NEXT) | instid1(VALU_DEP_1)
	v_cndmask_b32_e64 v2, 0, v60, s7
	v_add_nc_u32_e32 v56, v2, v36
	;; [unrolled: 3-line block ×11, first 2 shown]
	ds_load_b64 v[1:2], v7 offset:2120
	v_cndmask_b32_e64 v3, 0, v38, s1
	s_delay_alu instid0(VALU_DEP_1) | instskip(NEXT) | instid1(VALU_DEP_1)
	v_add_nc_u32_e32 v62, v3, v26
	v_cndmask_b32_e32 v3, 0, v62, vcc_lo
	s_delay_alu instid0(VALU_DEP_1) | instskip(SKIP_3) | instid1(VALU_DEP_3)
	v_add_nc_u32_e32 v58, v3, v23
	s_waitcnt lgkmcnt(0)
	v_cmp_eq_u32_e32 vcc_lo, 0, v1
	v_add_nc_u32_e32 v59, v53, v78
	v_cndmask_b32_e64 v3, 0, v58, s0
	v_cndmask_b32_e32 v4, 0, v49, vcc_lo
	s_delay_alu instid0(VALU_DEP_3) | instskip(NEXT) | instid1(VALU_DEP_3)
	v_add_nc_u32_e32 v55, v59, v77
	v_add_nc_u32_e32 v50, v3, v24
	s_delay_alu instid0(VALU_DEP_3) | instskip(NEXT) | instid1(VALU_DEP_3)
	v_add_nc_u32_e32 v79, v4, v2
	v_add_nc_u32_e32 v51, v55, v76
	s_delay_alu instid0(VALU_DEP_1) | instskip(NEXT) | instid1(VALU_DEP_1)
	v_add_nc_u32_e32 v45, v51, v75
	v_add_nc_u32_e32 v41, v45, v74
	s_delay_alu instid0(VALU_DEP_1) | instskip(NEXT) | instid1(VALU_DEP_1)
	v_add_nc_u32_e32 v39, v41, v73
	v_add_nc_u32_e32 v43, v39, v72
	s_delay_alu instid0(VALU_DEP_1) | instskip(NEXT) | instid1(VALU_DEP_1)
	v_add_nc_u32_e32 v47, v43, v71
	v_add_nc_u32_e32 v5, v47, v70
	s_delay_alu instid0(VALU_DEP_1) | instskip(NEXT) | instid1(VALU_DEP_1)
	v_add_nc_u32_e32 v7, v5, v68
	v_add_nc_u32_e32 v37, v7, v67
	s_delay_alu instid0(VALU_DEP_1) | instskip(NEXT) | instid1(VALU_DEP_1)
	v_add_nc_u32_e32 v61, v37, v66
	v_add_nc_u32_e32 v57, v61, v65
	s_delay_alu instid0(VALU_DEP_1)
	v_add_nc_u32_e32 v49, v57, v64
	s_and_saveexec_b32 s0, s2
	s_cbranch_execz .LBB1128_126
; %bb.125:
	v_and_b32_e32 v2, 0xff000000, v79
	v_dual_mov_b32 v4, 0 :: v_dual_and_b32 v3, 0xff0000, v79
	s_add_u32 s4, s20, 0x200
	v_and_b32_e32 v23, 0xff00, v79
	s_addc_u32 s5, s21, 0
	v_and_b32_e32 v24, 0xff, v79
	v_or_b32_e32 v2, v3, v2
	v_mov_b32_e32 v3, 2
	s_delay_alu instid0(VALU_DEP_2)
	v_or3_b32 v2, v2, v23, v24
	v_dual_mov_b32 v24, s5 :: v_dual_mov_b32 v23, s4
	;;#ASMSTART
	global_store_dwordx4 v[23:24], v[1:4] off	
s_waitcnt vmcnt(0)
	;;#ASMEND
.LBB1128_126:
	s_or_b32 exec_lo, exec_lo, s0
	v_mov_b32_e32 v3, 0
.LBB1128_127:
	v_mov_b32_e32 v23, 0
	s_and_b32 s0, s16, exec_lo
	v_mov_b32_e32 v24, 0
	s_cselect_b32 s1, 0, s39
	s_cselect_b32 s0, 0, s38
	s_delay_alu instid0(SALU_CYCLE_1)
	s_cmp_eq_u64 s[0:1], 0
	s_barrier
	buffer_gl0_inv
	s_cbranch_scc1 .LBB1128_129
; %bb.128:
	v_mov_b32_e32 v2, 0
	global_load_b64 v[23:24], v2, s[0:1]
.LBB1128_129:
	v_cmp_eq_u32_e32 vcc_lo, 0, v78
	v_cmp_ne_u32_e64 s15, 0, v78
	v_cmp_ne_u32_e64 s14, 0, v77
	;; [unrolled: 1-line block ×4, first 2 shown]
	v_cndmask_b32_e64 v2, 1, 2, vcc_lo
	v_cmp_eq_u32_e32 vcc_lo, 0, v77
	v_cmp_ne_u32_e64 s11, 0, v74
	v_cmp_ne_u32_e64 s10, 0, v73
	;; [unrolled: 1-line block ×4, first 2 shown]
	v_cndmask_b32_e64 v4, 1, 2, vcc_lo
	v_cmp_eq_u32_e32 vcc_lo, 0, v76
	v_cmp_ne_u32_e64 s9, 0, v70
	v_cmp_ne_u32_e64 s7, 0, v68
	;; [unrolled: 1-line block ×3, first 2 shown]
	v_and_b32_e32 v2, v4, v2
	v_cndmask_b32_e64 v25, 1, 2, vcc_lo
	v_cmp_eq_u32_e32 vcc_lo, 0, v75
	v_cmp_ne_u32_e64 s4, 0, v66
	v_cmp_ne_u32_e64 s3, 0, v65
	v_cmp_ne_u32_e64 s1, 0, v64
	v_and_b32_e32 v2, v2, v25
	v_cndmask_b32_e64 v4, 1, 2, vcc_lo
	v_cmp_eq_u32_e32 vcc_lo, 0, v74
	v_cmp_ne_u32_e64 s0, 0, v69
	s_delay_alu instid0(VALU_DEP_3) | instskip(SKIP_2) | instid1(VALU_DEP_2)
	v_and_b32_e32 v2, v2, v4
	v_cndmask_b32_e64 v25, 1, 2, vcc_lo
	v_cmp_eq_u32_e32 vcc_lo, 0, v73
	v_and_b32_e32 v2, v2, v25
	v_cndmask_b32_e64 v4, 1, 2, vcc_lo
	v_cmp_eq_u32_e32 vcc_lo, 0, v72
	s_waitcnt vmcnt(0)
	v_lshlrev_b64 v[25:26], 2, v[23:24]
	s_delay_alu instid0(VALU_DEP_3) | instskip(SKIP_2) | instid1(VALU_DEP_2)
	v_and_b32_e32 v2, v2, v4
	v_cndmask_b32_e64 v27, 1, 2, vcc_lo
	v_cmp_eq_u32_e32 vcc_lo, 0, v71
	v_and_b32_e32 v2, v2, v27
	v_cndmask_b32_e64 v28, 1, 2, vcc_lo
	v_cmp_eq_u32_e32 vcc_lo, 0, v70
	s_delay_alu instid0(VALU_DEP_2) | instskip(SKIP_2) | instid1(VALU_DEP_2)
	v_and_b32_e32 v2, v2, v28
	v_cndmask_b32_e64 v27, 1, 2, vcc_lo
	v_cmp_eq_u32_e32 vcc_lo, 0, v68
	v_and_b32_e32 v2, v2, v27
	v_cndmask_b32_e64 v28, 1, 2, vcc_lo
	v_cmp_eq_u32_e32 vcc_lo, 0, v67
	s_delay_alu instid0(VALU_DEP_2) | instskip(SKIP_2) | instid1(VALU_DEP_2)
	;; [unrolled: 7-line block ×3, first 2 shown]
	v_and_b32_e32 v2, v2, v29
	v_cndmask_b32_e64 v30, 1, 2, vcc_lo
	v_cmp_eq_u32_e32 vcc_lo, 0, v64
	v_and_b32_e32 v30, v2, v30
	v_cndmask_b32_e64 v31, 1, 2, vcc_lo
	v_mov_b32_e32 v4, 0
	s_delay_alu instid0(VALU_DEP_1) | instskip(SKIP_3) | instid1(VALU_DEP_2)
	v_lshlrev_b64 v[27:28], 2, v[3:4]
	v_add_co_u32 v4, vcc_lo, s18, v25
	v_add_co_ci_u32_e32 v29, vcc_lo, s19, v26, vcc_lo
	s_mov_b32 s18, -1
	v_add_co_u32 v2, vcc_lo, v4, v27
	s_delay_alu instid0(VALU_DEP_2) | instskip(SKIP_4) | instid1(VALU_DEP_2)
	v_add_co_ci_u32_e32 v4, vcc_lo, v29, v28, vcc_lo
	v_and_b32_e32 v29, v30, v31
	v_cmp_eq_u32_e32 vcc_lo, 0, v69
	v_cndmask_b32_e64 v30, 1, 2, vcc_lo
	v_cmp_gt_u32_e32 vcc_lo, 0x100, v1
	v_and_b32_e32 v29, v29, v30
	s_delay_alu instid0(VALU_DEP_1)
	v_cmp_gt_i16_e64 s16, 2, v29
	s_cbranch_vccz .LBB1128_136
; %bb.130:
	s_delay_alu instid0(VALU_DEP_1)
	s_and_saveexec_b32 s18, s16
	s_cbranch_execz .LBB1128_135
; %bb.131:
	s_mov_b32 s19, 0
	s_mov_b32 s16, exec_lo
	v_cmpx_ne_u16_e32 1, v29
	s_xor_b32 s16, exec_lo, s16
	s_cbranch_execnz .LBB1128_168
; %bb.132:
	s_and_not1_saveexec_b32 s16, s16
	s_cbranch_execnz .LBB1128_184
.LBB1128_133:
	s_or_b32 exec_lo, exec_lo, s16
	s_delay_alu instid0(SALU_CYCLE_1)
	s_and_b32 exec_lo, exec_lo, s19
	s_cbranch_execz .LBB1128_135
.LBB1128_134:
	v_sub_nc_u32_e32 v30, v49, v3
	v_mov_b32_e32 v31, 0
	s_delay_alu instid0(VALU_DEP_1) | instskip(NEXT) | instid1(VALU_DEP_1)
	v_lshlrev_b64 v[30:31], 2, v[30:31]
	v_add_co_u32 v30, vcc_lo, v2, v30
	s_delay_alu instid0(VALU_DEP_2)
	v_add_co_ci_u32_e32 v31, vcc_lo, v4, v31, vcc_lo
	global_store_b32 v[30:31], v63, off
.LBB1128_135:
	s_or_b32 exec_lo, exec_lo, s18
	s_mov_b32 s18, 0
.LBB1128_136:
	s_delay_alu instid0(SALU_CYCLE_1)
	s_and_b32 vcc_lo, exec_lo, s18
	s_cbranch_vccz .LBB1128_146
; %bb.137:
	s_mov_b32 s16, exec_lo
	v_cmpx_gt_i16_e32 2, v29
	s_cbranch_execz .LBB1128_142
; %bb.138:
	s_mov_b32 s19, 0
	s_mov_b32 s18, exec_lo
	v_cmpx_ne_u16_e32 1, v29
	s_xor_b32 s18, exec_lo, s18
	s_cbranch_execnz .LBB1128_185
; %bb.139:
	s_and_not1_saveexec_b32 s0, s18
	s_cbranch_execnz .LBB1128_201
.LBB1128_140:
	s_or_b32 exec_lo, exec_lo, s0
	s_delay_alu instid0(SALU_CYCLE_1)
	s_and_b32 exec_lo, exec_lo, s19
	s_cbranch_execz .LBB1128_142
.LBB1128_141:
	v_sub_nc_u32_e32 v9, v49, v3
	s_delay_alu instid0(VALU_DEP_1)
	v_lshlrev_b32_e32 v9, 2, v9
	ds_store_b32 v9, v63
.LBB1128_142:
	s_or_b32 exec_lo, exec_lo, s16
	s_delay_alu instid0(SALU_CYCLE_1)
	s_mov_b32 s1, exec_lo
	s_waitcnt lgkmcnt(0)
	s_waitcnt_vscnt null, 0x0
	s_barrier
	buffer_gl0_inv
	v_cmpx_lt_u32_e64 v0, v1
	s_cbranch_execz .LBB1128_145
; %bb.143:
	v_dual_mov_b32 v10, 0 :: v_dual_lshlrev_b32 v11, 2, v0
	v_mov_b32_e32 v9, v0
	s_mov_b32 s3, 0
	.p2align	6
.LBB1128_144:                           ; =>This Inner Loop Header: Depth=1
	ds_load_b32 v14, v11
	v_lshlrev_b64 v[12:13], 2, v[9:10]
	v_add_nc_u32_e32 v9, 0x100, v9
	v_add_nc_u32_e32 v11, 0x400, v11
	s_delay_alu instid0(VALU_DEP_2) | instskip(NEXT) | instid1(VALU_DEP_4)
	v_cmp_ge_u32_e32 vcc_lo, v9, v1
	v_add_co_u32 v12, s0, v2, v12
	s_delay_alu instid0(VALU_DEP_1)
	v_add_co_ci_u32_e64 v13, s0, v4, v13, s0
	s_or_b32 s3, vcc_lo, s3
	s_waitcnt lgkmcnt(0)
	global_store_b32 v[12:13], v14, off
	s_and_not1_b32 exec_lo, exec_lo, s3
	s_cbranch_execnz .LBB1128_144
.LBB1128_145:
	s_or_b32 exec_lo, exec_lo, s1
.LBB1128_146:
	s_cmpk_lg_i32 s26, 0xf00
	v_cndmask_b32_e64 v4, 0, 1, s27
	s_cselect_b32 s0, -1, 0
	v_mad_i32_i24 v10, v0, -15, s26
	s_and_b32 s0, s0, s17
	s_and_b32 s1, s2, s27
	v_cndmask_b32_e64 v9, 0, 1, s0
	s_mul_hi_u32 s0, s26, 0x88888889
	v_sub_nc_u32_e32 v2, v1, v4
	s_lshr_b32 s0, s0, 3
	v_cndmask_b32_e64 v11, v78, 0, s1
	v_cmp_eq_u32_e32 vcc_lo, s0, v0
	v_cmp_ne_u32_e64 s0, 0, v10
	s_mov_b32 s16, -1
	s_waitcnt_vscnt null, 0x0
	s_barrier
	s_and_b32 vcc_lo, vcc_lo, s17
	v_add_nc_u32_e32 v2, v2, v9
	v_cndmask_b32_e64 v9, 1, v11, s0
	v_cmp_ne_u32_e64 s0, 1, v10
	buffer_gl0_inv
	v_cndmask_b32_e64 v12, 1, v77, s0
	v_cmp_ne_u32_e64 s0, 14, v10
	s_delay_alu instid0(VALU_DEP_2) | instskip(NEXT) | instid1(VALU_DEP_2)
	v_cndmask_b32_e32 v17, v77, v12, vcc_lo
	v_cndmask_b32_e64 v13, 1, v69, s0
	v_cmp_ne_u32_e64 s0, 2, v10
	s_delay_alu instid0(VALU_DEP_3) | instskip(NEXT) | instid1(VALU_DEP_2)
	v_cmp_ne_u32_e64 s13, 0, v17
	v_cndmask_b32_e64 v14, 1, v76, s0
	v_cmp_ne_u32_e64 s0, 3, v10
	s_delay_alu instid0(VALU_DEP_2) | instskip(NEXT) | instid1(VALU_DEP_2)
	v_cndmask_b32_e32 v14, v76, v14, vcc_lo
	v_cndmask_b32_e64 v15, 1, v75, s0
	v_cmp_ne_u32_e64 s0, 4, v10
	v_cndmask_b32_e32 v16, v69, v13, vcc_lo
	v_cndmask_b32_e32 v13, v11, v9, vcc_lo
	v_cmp_ne_u32_e64 s12, 0, v14
	v_cndmask_b32_e32 v15, v75, v15, vcc_lo
	v_cndmask_b32_e64 v9, 1, v74, s0
	v_cmp_ne_u32_e64 s0, 5, v10
	v_cmp_ne_u32_e64 s14, 0, v13
	s_delay_alu instid0(VALU_DEP_4) | instskip(NEXT) | instid1(VALU_DEP_3)
	v_cmp_ne_u32_e64 s11, 0, v15
	v_cndmask_b32_e64 v11, 1, v73, s0
	v_cmp_eq_u32_e64 s0, 0, v13
	s_delay_alu instid0(VALU_DEP_2) | instskip(NEXT) | instid1(VALU_DEP_2)
	v_cndmask_b32_e32 v29, v73, v11, vcc_lo
	v_cndmask_b32_e64 v12, 1, 2, s0
	v_cmp_eq_u32_e64 s0, 0, v17
	s_delay_alu instid0(VALU_DEP_3) | instskip(NEXT) | instid1(VALU_DEP_2)
	v_cmp_ne_u32_e64 s9, 0, v29
	v_cndmask_b32_e64 v18, 1, 2, s0
	v_cmp_ne_u32_e64 s0, 6, v10
	s_delay_alu instid0(VALU_DEP_2) | instskip(NEXT) | instid1(VALU_DEP_2)
	v_and_b32_e32 v12, v18, v12
	v_cndmask_b32_e64 v19, 1, v72, s0
	v_cmp_eq_u32_e64 s0, 0, v14
	s_delay_alu instid0(VALU_DEP_1) | instskip(SKIP_1) | instid1(VALU_DEP_1)
	v_cndmask_b32_e64 v18, 1, 2, s0
	v_cmp_ne_u32_e64 s0, 7, v10
	v_cndmask_b32_e64 v20, 1, v71, s0
	v_cmp_ne_u32_e64 s0, 8, v10
	s_delay_alu instid0(VALU_DEP_2) | instskip(NEXT) | instid1(VALU_DEP_2)
	v_dual_cndmask_b32 v19, v72, v19 :: v_dual_cndmask_b32 v20, v71, v20
	v_cndmask_b32_e64 v21, 1, v70, s0
	v_cmp_eq_u32_e64 s0, 0, v15
	v_and_b32_e32 v12, v12, v18
	s_delay_alu instid0(VALU_DEP_4)
	v_cmp_ne_u32_e64 s8, 0, v19
	v_cmp_ne_u32_e64 s7, 0, v20
	v_cndmask_b32_e32 v21, v70, v21, vcc_lo
	v_cndmask_b32_e64 v18, 1, 2, s0
	v_cndmask_b32_e32 v22, v74, v9, vcc_lo
	v_cmp_ne_u32_e64 s0, 9, v10
	s_delay_alu instid0(VALU_DEP_4) | instskip(NEXT) | instid1(VALU_DEP_4)
	v_cmp_ne_u32_e64 s6, 0, v21
	v_and_b32_e32 v11, v12, v18
	s_delay_alu instid0(VALU_DEP_4) | instskip(NEXT) | instid1(VALU_DEP_4)
	v_cmp_ne_u32_e64 s10, 0, v22
	v_cndmask_b32_e64 v9, 1, v68, s0
	v_cmp_eq_u32_e64 s0, 0, v22
	s_delay_alu instid0(VALU_DEP_2) | instskip(NEXT) | instid1(VALU_DEP_2)
	v_cndmask_b32_e32 v33, v68, v9, vcc_lo
	v_cndmask_b32_e64 v12, 1, 2, s0
	v_cmp_ne_u32_e64 s0, 10, v10
	s_delay_alu instid0(VALU_DEP_1) | instskip(SKIP_1) | instid1(VALU_DEP_2)
	v_cndmask_b32_e64 v18, 1, v67, s0
	v_cmp_ne_u32_e64 s0, 12, v10
	v_cndmask_b32_e32 v18, v67, v18, vcc_lo
	s_delay_alu instid0(VALU_DEP_2) | instskip(SKIP_2) | instid1(VALU_DEP_4)
	v_cndmask_b32_e64 v30, 1, v65, s0
	v_cmp_eq_u32_e64 s0, 0, v29
	v_and_b32_e32 v11, v11, v12
	v_cmp_ne_u32_e64 s4, 0, v18
	s_delay_alu instid0(VALU_DEP_4) | instskip(NEXT) | instid1(VALU_DEP_4)
	v_cndmask_b32_e32 v30, v65, v30, vcc_lo
	v_cndmask_b32_e64 v12, 1, 2, s0
	v_cmp_ne_u32_e64 s0, 13, v10
	s_delay_alu instid0(VALU_DEP_3) | instskip(NEXT) | instid1(VALU_DEP_3)
	v_cmp_ne_u32_e64 s2, 0, v30
	v_and_b32_e32 v11, v11, v12
	s_delay_alu instid0(VALU_DEP_3) | instskip(SKIP_1) | instid1(VALU_DEP_2)
	v_cndmask_b32_e64 v31, 1, v64, s0
	v_cmp_eq_u32_e64 s0, 0, v19
	v_cndmask_b32_e32 v31, v64, v31, vcc_lo
	s_delay_alu instid0(VALU_DEP_2) | instskip(SKIP_1) | instid1(VALU_DEP_3)
	v_cndmask_b32_e64 v12, 1, 2, s0
	v_cmp_ne_u32_e64 s0, 11, v10
	v_cmp_ne_u32_e64 s1, 0, v31
	s_delay_alu instid0(VALU_DEP_2) | instskip(SKIP_1) | instid1(VALU_DEP_2)
	v_cndmask_b32_e64 v10, 1, v66, s0
	v_cmp_eq_u32_e64 s0, 0, v20
	v_dual_cndmask_b32 v32, v66, v10 :: v_dual_and_b32 v11, v11, v12
	s_delay_alu instid0(VALU_DEP_2) | instskip(SKIP_2) | instid1(VALU_DEP_4)
	v_cndmask_b32_e64 v12, 1, 2, s0
	v_cmp_eq_u32_e32 vcc_lo, 0, v21
	v_cmp_ne_u32_e64 s0, 0, v16
	v_cmp_ne_u32_e64 s3, 0, v32
	s_delay_alu instid0(VALU_DEP_4) | instskip(SKIP_4) | instid1(VALU_DEP_4)
	v_and_b32_e32 v9, v11, v12
	v_cndmask_b32_e64 v10, 1, 2, vcc_lo
	v_add_co_u32 v11, vcc_lo, s28, v25
	v_add_co_ci_u32_e32 v12, vcc_lo, s29, v26, vcc_lo
	v_cmp_eq_u32_e32 vcc_lo, 0, v33
	v_and_b32_e32 v25, v9, v10
	v_cndmask_b32_e64 v26, 1, 2, vcc_lo
	v_add_co_u32 v9, vcc_lo, v11, v27
	v_add_co_ci_u32_e32 v10, vcc_lo, v12, v28, vcc_lo
	v_lshlrev_b32_e32 v11, 2, v4
	v_cmp_eq_u32_e32 vcc_lo, 0, v18
	v_and_b32_e32 v12, v25, v26
	v_add_nc_u32_e32 v4, v3, v4
	v_cmp_ne_u32_e64 s5, 0, v33
	v_cndmask_b32_e64 v25, 1, 2, vcc_lo
	v_add_co_u32 v11, vcc_lo, v11, v9
	v_add_co_ci_u32_e32 v26, vcc_lo, 0, v10, vcc_lo
	v_cmp_eq_u32_e32 vcc_lo, 0, v32
	s_delay_alu instid0(VALU_DEP_4) | instskip(SKIP_4) | instid1(VALU_DEP_4)
	v_and_b32_e32 v25, v12, v25
	v_cndmask_b32_e64 v27, 1, 2, vcc_lo
	v_add_co_u32 v11, vcc_lo, v11, -4
	v_add_co_ci_u32_e32 v12, vcc_lo, -1, v26, vcc_lo
	v_cmp_eq_u32_e32 vcc_lo, 0, v30
	v_and_b32_e32 v25, v25, v27
	v_cndmask_b32_e64 v26, 1, 2, vcc_lo
	v_cmp_eq_u32_e32 vcc_lo, 0, v31
	s_delay_alu instid0(VALU_DEP_2) | instskip(SKIP_2) | instid1(VALU_DEP_2)
	v_and_b32_e32 v13, v25, v26
	v_cndmask_b32_e64 v14, 1, 2, vcc_lo
	v_cmp_eq_u32_e32 vcc_lo, 0, v16
	v_and_b32_e32 v13, v13, v14
	v_cndmask_b32_e64 v14, 1, 2, vcc_lo
	v_cmp_gt_u32_e32 vcc_lo, 0x100, v2
	s_delay_alu instid0(VALU_DEP_2) | instskip(NEXT) | instid1(VALU_DEP_1)
	v_and_b32_e32 v13, v13, v14
	v_cmp_gt_i16_e64 s15, 2, v13
	s_cbranch_vccnz .LBB1128_150
; %bb.147:
	s_and_b32 vcc_lo, exec_lo, s16
	s_cbranch_vccnz .LBB1128_156
.LBB1128_148:
	v_cmp_eq_u32_e32 vcc_lo, 0xff, v0
	s_and_b32 s0, vcc_lo, s17
	s_delay_alu instid0(SALU_CYCLE_1)
	s_and_saveexec_b32 s1, s0
	s_cbranch_execnz .LBB1128_165
.LBB1128_149:
	s_nop 0
	s_sendmsg sendmsg(MSG_DEALLOC_VGPRS)
	s_endpgm
.LBB1128_150:
	s_delay_alu instid0(VALU_DEP_1)
	s_and_saveexec_b32 s16, s15
	s_cbranch_execz .LBB1128_155
; %bb.151:
	s_mov_b32 s18, 0
	s_mov_b32 s15, exec_lo
	v_cmpx_ne_u16_e32 1, v13
	s_xor_b32 s15, exec_lo, s15
	s_cbranch_execnz .LBB1128_202
; %bb.152:
	s_and_not1_saveexec_b32 s15, s15
	s_cbranch_execnz .LBB1128_218
.LBB1128_153:
	s_or_b32 exec_lo, exec_lo, s15
	s_delay_alu instid0(SALU_CYCLE_1)
	s_and_b32 exec_lo, exec_lo, s18
	s_cbranch_execz .LBB1128_155
.LBB1128_154:
	v_sub_nc_u32_e32 v14, v49, v4
	v_mov_b32_e32 v15, 0
	s_delay_alu instid0(VALU_DEP_1) | instskip(NEXT) | instid1(VALU_DEP_1)
	v_lshlrev_b64 v[14:15], 2, v[14:15]
	v_add_co_u32 v14, vcc_lo, v11, v14
	s_delay_alu instid0(VALU_DEP_2)
	v_add_co_ci_u32_e32 v15, vcc_lo, v12, v15, vcc_lo
	global_store_b32 v[14:15], v50, off
.LBB1128_155:
	s_or_b32 exec_lo, exec_lo, s16
	s_branch .LBB1128_148
.LBB1128_156:
	s_mov_b32 s15, exec_lo
	v_cmpx_gt_i16_e32 2, v13
	s_cbranch_execz .LBB1128_161
; %bb.157:
	s_mov_b32 s18, 0
	s_mov_b32 s16, exec_lo
	v_cmpx_ne_u16_e32 1, v13
	s_xor_b32 s16, exec_lo, s16
	s_cbranch_execnz .LBB1128_219
; %bb.158:
	s_and_not1_saveexec_b32 s0, s16
	s_cbranch_execnz .LBB1128_235
.LBB1128_159:
	s_or_b32 exec_lo, exec_lo, s0
	s_delay_alu instid0(SALU_CYCLE_1)
	s_and_b32 exec_lo, exec_lo, s18
	s_cbranch_execz .LBB1128_161
.LBB1128_160:
	v_sub_nc_u32_e32 v4, v49, v4
	s_delay_alu instid0(VALU_DEP_1)
	v_lshlrev_b32_e32 v4, 2, v4
	ds_store_b32 v4, v50
.LBB1128_161:
	s_or_b32 exec_lo, exec_lo, s15
	s_delay_alu instid0(SALU_CYCLE_1)
	s_mov_b32 s1, exec_lo
	s_waitcnt lgkmcnt(0)
	s_waitcnt_vscnt null, 0x0
	s_barrier
	buffer_gl0_inv
	v_cmpx_lt_u32_e64 v0, v2
	s_cbranch_execz .LBB1128_164
; %bb.162:
	v_dual_mov_b32 v5, 0 :: v_dual_lshlrev_b32 v6, 2, v0
	v_mov_b32_e32 v4, v0
	s_mov_b32 s2, 0
	.p2align	6
.LBB1128_163:                           ; =>This Inner Loop Header: Depth=1
	ds_load_b32 v13, v6
	v_lshlrev_b64 v[7:8], 2, v[4:5]
	v_add_nc_u32_e32 v4, 0x100, v4
	v_add_nc_u32_e32 v6, 0x400, v6
	s_delay_alu instid0(VALU_DEP_2) | instskip(NEXT) | instid1(VALU_DEP_4)
	v_cmp_ge_u32_e32 vcc_lo, v4, v2
	v_add_co_u32 v7, s0, v11, v7
	s_delay_alu instid0(VALU_DEP_1)
	v_add_co_ci_u32_e64 v8, s0, v12, v8, s0
	s_or_b32 s2, vcc_lo, s2
	s_waitcnt lgkmcnt(0)
	global_store_b32 v[7:8], v13, off
	s_and_not1_b32 exec_lo, exec_lo, s2
	s_cbranch_execnz .LBB1128_163
.LBB1128_164:
	s_or_b32 exec_lo, exec_lo, s1
	v_cmp_eq_u32_e32 vcc_lo, 0xff, v0
	s_and_b32 s0, vcc_lo, s17
	s_delay_alu instid0(SALU_CYCLE_1)
	s_and_saveexec_b32 s1, s0
	s_cbranch_execz .LBB1128_149
.LBB1128_165:
	v_add_co_u32 v0, s0, v1, v3
	s_delay_alu instid0(VALU_DEP_1) | instskip(SKIP_1) | instid1(VALU_DEP_3)
	v_add_co_ci_u32_e64 v4, null, 0, 0, s0
	v_mov_b32_e32 v2, 0
	v_add_co_u32 v3, vcc_lo, v0, v23
	s_delay_alu instid0(VALU_DEP_3)
	v_add_co_ci_u32_e32 v4, vcc_lo, v4, v24, vcc_lo
	s_cmpk_lg_i32 s26, 0xf00
	global_store_b64 v2, v[3:4], s[30:31]
	s_cbranch_scc1 .LBB1128_149
; %bb.166:
	v_lshlrev_b64 v[0:1], 2, v[1:2]
	s_delay_alu instid0(VALU_DEP_1) | instskip(NEXT) | instid1(VALU_DEP_2)
	v_add_co_u32 v0, vcc_lo, v9, v0
	v_add_co_ci_u32_e32 v1, vcc_lo, v10, v1, vcc_lo
	global_store_b32 v[0:1], v79, off offset:-4
	s_nop 0
	s_sendmsg sendmsg(MSG_DEALLOC_VGPRS)
	s_endpgm
.LBB1128_167:
	s_or_b32 exec_lo, exec_lo, s4
	v_mov_b32_e32 v78, s1
	s_and_saveexec_b32 s1, s40
	s_cbranch_execnz .LBB1128_88
	s_branch .LBB1128_89
.LBB1128_168:
	s_and_saveexec_b32 s19, s15
	s_cbranch_execnz .LBB1128_236
; %bb.169:
	s_or_b32 exec_lo, exec_lo, s19
	s_and_saveexec_b32 s19, s14
	s_cbranch_execnz .LBB1128_237
.LBB1128_170:
	s_or_b32 exec_lo, exec_lo, s19
	s_and_saveexec_b32 s19, s13
	s_cbranch_execnz .LBB1128_238
.LBB1128_171:
	s_or_b32 exec_lo, exec_lo, s19
	s_and_saveexec_b32 s19, s12
	s_cbranch_execnz .LBB1128_239
.LBB1128_172:
	s_or_b32 exec_lo, exec_lo, s19
	s_and_saveexec_b32 s19, s11
	s_cbranch_execnz .LBB1128_240
.LBB1128_173:
	s_or_b32 exec_lo, exec_lo, s19
	s_and_saveexec_b32 s19, s10
	s_cbranch_execnz .LBB1128_241
.LBB1128_174:
	s_or_b32 exec_lo, exec_lo, s19
	s_and_saveexec_b32 s19, s8
	s_cbranch_execnz .LBB1128_242
.LBB1128_175:
	s_or_b32 exec_lo, exec_lo, s19
	s_and_saveexec_b32 s19, s6
	s_cbranch_execnz .LBB1128_243
.LBB1128_176:
	s_or_b32 exec_lo, exec_lo, s19
	s_and_saveexec_b32 s19, s9
	s_cbranch_execnz .LBB1128_244
.LBB1128_177:
	s_or_b32 exec_lo, exec_lo, s19
	s_and_saveexec_b32 s19, s7
	s_cbranch_execnz .LBB1128_245
.LBB1128_178:
	s_or_b32 exec_lo, exec_lo, s19
	s_and_saveexec_b32 s19, s5
	s_cbranch_execnz .LBB1128_246
.LBB1128_179:
	s_or_b32 exec_lo, exec_lo, s19
	s_and_saveexec_b32 s19, s4
	s_cbranch_execnz .LBB1128_247
.LBB1128_180:
	s_or_b32 exec_lo, exec_lo, s19
	s_and_saveexec_b32 s19, s3
	s_cbranch_execnz .LBB1128_248
.LBB1128_181:
	s_or_b32 exec_lo, exec_lo, s19
	s_and_saveexec_b32 s19, s1
	s_cbranch_execz .LBB1128_183
.LBB1128_182:
	v_sub_nc_u32_e32 v30, v57, v3
	v_mov_b32_e32 v31, 0
	s_delay_alu instid0(VALU_DEP_1) | instskip(NEXT) | instid1(VALU_DEP_1)
	v_lshlrev_b64 v[30:31], 2, v[30:31]
	v_add_co_u32 v30, vcc_lo, v2, v30
	s_delay_alu instid0(VALU_DEP_2)
	v_add_co_ci_u32_e32 v31, vcc_lo, v4, v31, vcc_lo
	global_store_b32 v[30:31], v10, off
.LBB1128_183:
	s_or_b32 exec_lo, exec_lo, s19
	s_delay_alu instid0(SALU_CYCLE_1)
	s_and_b32 s19, s0, exec_lo
	s_and_not1_saveexec_b32 s16, s16
	s_cbranch_execz .LBB1128_133
.LBB1128_184:
	v_sub_nc_u32_e32 v30, v53, v3
	v_mov_b32_e32 v31, 0
	s_or_b32 s19, s19, exec_lo
	s_delay_alu instid0(VALU_DEP_1) | instskip(SKIP_1) | instid1(VALU_DEP_1)
	v_lshlrev_b64 v[32:33], 2, v[30:31]
	v_sub_nc_u32_e32 v30, v59, v3
	v_lshlrev_b64 v[34:35], 2, v[30:31]
	v_sub_nc_u32_e32 v30, v55, v3
	s_delay_alu instid0(VALU_DEP_4) | instskip(SKIP_1) | instid1(VALU_DEP_3)
	v_add_co_u32 v32, vcc_lo, v2, v32
	v_add_co_ci_u32_e32 v33, vcc_lo, v4, v33, vcc_lo
	v_lshlrev_b64 v[80:81], 2, v[30:31]
	v_sub_nc_u32_e32 v30, v51, v3
	v_add_co_u32 v34, vcc_lo, v2, v34
	v_add_co_ci_u32_e32 v35, vcc_lo, v4, v35, vcc_lo
	global_store_b32 v[32:33], v21, off
	v_lshlrev_b64 v[32:33], 2, v[30:31]
	v_sub_nc_u32_e32 v30, v45, v3
	global_store_b32 v[34:35], v22, off
	v_add_co_u32 v34, vcc_lo, v2, v80
	v_add_co_ci_u32_e32 v35, vcc_lo, v4, v81, vcc_lo
	v_lshlrev_b64 v[80:81], 2, v[30:31]
	v_sub_nc_u32_e32 v30, v41, v3
	v_add_co_u32 v32, vcc_lo, v2, v32
	v_add_co_ci_u32_e32 v33, vcc_lo, v4, v33, vcc_lo
	s_delay_alu instid0(VALU_DEP_3) | instskip(SKIP_3) | instid1(VALU_DEP_3)
	v_lshlrev_b64 v[82:83], 2, v[30:31]
	v_sub_nc_u32_e32 v30, v39, v3
	v_add_co_u32 v80, vcc_lo, v2, v80
	v_add_co_ci_u32_e32 v81, vcc_lo, v4, v81, vcc_lo
	v_lshlrev_b64 v[84:85], 2, v[30:31]
	v_sub_nc_u32_e32 v30, v43, v3
	v_add_co_u32 v82, vcc_lo, v2, v82
	v_add_co_ci_u32_e32 v83, vcc_lo, v4, v83, vcc_lo
	s_clause 0x3
	global_store_b32 v[34:35], v19, off
	global_store_b32 v[32:33], v20, off
	;; [unrolled: 1-line block ×4, first 2 shown]
	v_lshlrev_b64 v[32:33], 2, v[30:31]
	v_sub_nc_u32_e32 v30, v47, v3
	v_add_co_u32 v34, vcc_lo, v2, v84
	v_add_co_ci_u32_e32 v35, vcc_lo, v4, v85, vcc_lo
	s_delay_alu instid0(VALU_DEP_3) | instskip(SKIP_3) | instid1(VALU_DEP_3)
	v_lshlrev_b64 v[80:81], 2, v[30:31]
	v_sub_nc_u32_e32 v30, v5, v3
	v_add_co_u32 v32, vcc_lo, v2, v32
	v_add_co_ci_u32_e32 v33, vcc_lo, v4, v33, vcc_lo
	v_lshlrev_b64 v[82:83], 2, v[30:31]
	v_sub_nc_u32_e32 v30, v7, v3
	v_add_co_u32 v80, vcc_lo, v2, v80
	v_add_co_ci_u32_e32 v81, vcc_lo, v4, v81, vcc_lo
	s_delay_alu instid0(VALU_DEP_3)
	v_lshlrev_b64 v[84:85], 2, v[30:31]
	v_sub_nc_u32_e32 v30, v37, v3
	v_add_co_u32 v82, vcc_lo, v2, v82
	v_add_co_ci_u32_e32 v83, vcc_lo, v4, v83, vcc_lo
	s_clause 0x3
	global_store_b32 v[34:35], v15, off
	global_store_b32 v[32:33], v16, off
	;; [unrolled: 1-line block ×4, first 2 shown]
	v_lshlrev_b64 v[32:33], 2, v[30:31]
	v_sub_nc_u32_e32 v30, v61, v3
	v_add_co_u32 v34, vcc_lo, v2, v84
	v_add_co_ci_u32_e32 v35, vcc_lo, v4, v85, vcc_lo
	s_delay_alu instid0(VALU_DEP_3) | instskip(SKIP_3) | instid1(VALU_DEP_3)
	v_lshlrev_b64 v[80:81], 2, v[30:31]
	v_sub_nc_u32_e32 v30, v57, v3
	v_add_co_u32 v32, vcc_lo, v2, v32
	v_add_co_ci_u32_e32 v33, vcc_lo, v4, v33, vcc_lo
	v_lshlrev_b64 v[30:31], 2, v[30:31]
	v_add_co_u32 v80, vcc_lo, v2, v80
	v_add_co_ci_u32_e32 v81, vcc_lo, v4, v81, vcc_lo
	s_clause 0x2
	global_store_b32 v[34:35], v11, off
	global_store_b32 v[32:33], v12, off
	;; [unrolled: 1-line block ×3, first 2 shown]
	v_add_co_u32 v30, vcc_lo, v2, v30
	v_add_co_ci_u32_e32 v31, vcc_lo, v4, v31, vcc_lo
	global_store_b32 v[30:31], v10, off
	s_or_b32 exec_lo, exec_lo, s16
	s_delay_alu instid0(SALU_CYCLE_1)
	s_and_b32 exec_lo, exec_lo, s19
	s_cbranch_execnz .LBB1128_134
	s_branch .LBB1128_135
.LBB1128_185:
	s_and_saveexec_b32 s19, s15
	s_cbranch_execnz .LBB1128_249
; %bb.186:
	s_or_b32 exec_lo, exec_lo, s19
	s_and_saveexec_b32 s15, s14
	s_cbranch_execnz .LBB1128_250
.LBB1128_187:
	s_or_b32 exec_lo, exec_lo, s15
	s_and_saveexec_b32 s14, s13
	s_cbranch_execnz .LBB1128_251
.LBB1128_188:
	s_or_b32 exec_lo, exec_lo, s14
	s_and_saveexec_b32 s13, s12
	s_cbranch_execnz .LBB1128_252
.LBB1128_189:
	s_or_b32 exec_lo, exec_lo, s13
	s_and_saveexec_b32 s12, s11
	s_cbranch_execnz .LBB1128_253
.LBB1128_190:
	s_or_b32 exec_lo, exec_lo, s12
	s_and_saveexec_b32 s11, s10
	s_cbranch_execnz .LBB1128_254
.LBB1128_191:
	s_or_b32 exec_lo, exec_lo, s11
	s_and_saveexec_b32 s10, s8
	s_cbranch_execnz .LBB1128_255
.LBB1128_192:
	s_or_b32 exec_lo, exec_lo, s10
	s_and_saveexec_b32 s8, s6
	s_cbranch_execnz .LBB1128_256
.LBB1128_193:
	s_or_b32 exec_lo, exec_lo, s8
	s_and_saveexec_b32 s6, s9
	s_cbranch_execnz .LBB1128_257
.LBB1128_194:
	s_or_b32 exec_lo, exec_lo, s6
	s_and_saveexec_b32 s6, s7
	s_cbranch_execnz .LBB1128_258
.LBB1128_195:
	s_or_b32 exec_lo, exec_lo, s6
	s_and_saveexec_b32 s6, s5
	s_cbranch_execnz .LBB1128_259
.LBB1128_196:
	s_or_b32 exec_lo, exec_lo, s6
	s_and_saveexec_b32 s5, s4
	s_cbranch_execnz .LBB1128_260
.LBB1128_197:
	s_or_b32 exec_lo, exec_lo, s5
	s_and_saveexec_b32 s4, s3
	s_cbranch_execnz .LBB1128_261
.LBB1128_198:
	s_or_b32 exec_lo, exec_lo, s4
	s_and_saveexec_b32 s3, s1
	s_cbranch_execz .LBB1128_200
.LBB1128_199:
	v_sub_nc_u32_e32 v9, v57, v3
	s_delay_alu instid0(VALU_DEP_1)
	v_lshlrev_b32_e32 v9, 2, v9
	ds_store_b32 v9, v10
.LBB1128_200:
	s_or_b32 exec_lo, exec_lo, s3
	s_delay_alu instid0(SALU_CYCLE_1)
	s_and_b32 s19, s0, exec_lo
                                        ; implicit-def: $vgpr21
                                        ; implicit-def: $vgpr19
                                        ; implicit-def: $vgpr17
                                        ; implicit-def: $vgpr15
                                        ; implicit-def: $vgpr13
                                        ; implicit-def: $vgpr11
                                        ; implicit-def: $vgpr9
	s_and_not1_saveexec_b32 s0, s18
	s_cbranch_execz .LBB1128_140
.LBB1128_201:
	v_sub_nc_u32_e32 v29, v53, v3
	v_sub_nc_u32_e32 v32, v51, v3
	;; [unrolled: 1-line block ×4, first 2 shown]
	s_or_b32 s19, s19, exec_lo
	v_lshlrev_b32_e32 v29, 2, v29
	v_lshlrev_b32_e32 v32, 2, v32
	;; [unrolled: 1-line block ×4, first 2 shown]
	ds_store_b32 v29, v21
	ds_store_b32 v30, v22
	;; [unrolled: 1-line block ×3, first 2 shown]
	v_sub_nc_u32_e32 v19, v45, v3
	ds_store_b32 v32, v20
	v_sub_nc_u32_e32 v20, v41, v3
	v_sub_nc_u32_e32 v21, v39, v3
	;; [unrolled: 1-line block ×3, first 2 shown]
	v_lshlrev_b32_e32 v19, 2, v19
	v_sub_nc_u32_e32 v29, v47, v3
	v_lshlrev_b32_e32 v20, 2, v20
	v_lshlrev_b32_e32 v21, 2, v21
	;; [unrolled: 1-line block ×3, first 2 shown]
	ds_store_b32 v19, v17
	v_lshlrev_b32_e32 v17, 2, v29
	ds_store_b32 v20, v18
	ds_store_b32 v21, v15
	;; [unrolled: 1-line block ×3, first 2 shown]
	v_sub_nc_u32_e32 v15, v5, v3
	v_sub_nc_u32_e32 v18, v57, v3
	v_sub_nc_u32_e32 v16, v37, v3
	ds_store_b32 v17, v13
	v_sub_nc_u32_e32 v13, v7, v3
	v_lshlrev_b32_e32 v15, 2, v15
	v_sub_nc_u32_e32 v17, v61, v3
	v_lshlrev_b32_e32 v16, 2, v16
	s_delay_alu instid0(VALU_DEP_4)
	v_lshlrev_b32_e32 v13, 2, v13
	ds_store_b32 v15, v14
	v_lshlrev_b32_e32 v14, 2, v18
	v_lshlrev_b32_e32 v17, 2, v17
	ds_store_b32 v13, v11
	ds_store_b32 v16, v12
	;; [unrolled: 1-line block ×4, first 2 shown]
	s_or_b32 exec_lo, exec_lo, s0
	s_delay_alu instid0(SALU_CYCLE_1)
	s_and_b32 exec_lo, exec_lo, s19
	s_cbranch_execnz .LBB1128_141
	s_branch .LBB1128_142
.LBB1128_202:
	s_and_saveexec_b32 s18, s14
	s_cbranch_execnz .LBB1128_262
; %bb.203:
	s_or_b32 exec_lo, exec_lo, s18
	s_and_saveexec_b32 s18, s13
	s_cbranch_execnz .LBB1128_263
.LBB1128_204:
	s_or_b32 exec_lo, exec_lo, s18
	s_and_saveexec_b32 s18, s12
	s_cbranch_execnz .LBB1128_264
.LBB1128_205:
	s_or_b32 exec_lo, exec_lo, s18
	s_and_saveexec_b32 s18, s11
	s_cbranch_execnz .LBB1128_265
.LBB1128_206:
	s_or_b32 exec_lo, exec_lo, s18
	s_and_saveexec_b32 s18, s10
	s_cbranch_execnz .LBB1128_266
.LBB1128_207:
	s_or_b32 exec_lo, exec_lo, s18
	s_and_saveexec_b32 s18, s9
	s_cbranch_execnz .LBB1128_267
.LBB1128_208:
	s_or_b32 exec_lo, exec_lo, s18
	s_and_saveexec_b32 s18, s8
	s_cbranch_execnz .LBB1128_268
.LBB1128_209:
	s_or_b32 exec_lo, exec_lo, s18
	s_and_saveexec_b32 s18, s7
	s_cbranch_execnz .LBB1128_269
.LBB1128_210:
	s_or_b32 exec_lo, exec_lo, s18
	s_and_saveexec_b32 s18, s6
	s_cbranch_execnz .LBB1128_270
.LBB1128_211:
	s_or_b32 exec_lo, exec_lo, s18
	s_and_saveexec_b32 s18, s5
	s_cbranch_execnz .LBB1128_271
.LBB1128_212:
	s_or_b32 exec_lo, exec_lo, s18
	s_and_saveexec_b32 s18, s4
	s_cbranch_execnz .LBB1128_272
.LBB1128_213:
	s_or_b32 exec_lo, exec_lo, s18
	s_and_saveexec_b32 s18, s3
	s_cbranch_execnz .LBB1128_273
.LBB1128_214:
	s_or_b32 exec_lo, exec_lo, s18
	s_and_saveexec_b32 s18, s2
	s_cbranch_execnz .LBB1128_274
.LBB1128_215:
	s_or_b32 exec_lo, exec_lo, s18
	s_and_saveexec_b32 s18, s1
	s_cbranch_execz .LBB1128_217
.LBB1128_216:
	v_sub_nc_u32_e32 v14, v57, v4
	v_mov_b32_e32 v15, 0
	s_delay_alu instid0(VALU_DEP_1) | instskip(NEXT) | instid1(VALU_DEP_1)
	v_lshlrev_b64 v[14:15], 2, v[14:15]
	v_add_co_u32 v14, vcc_lo, v11, v14
	s_delay_alu instid0(VALU_DEP_2)
	v_add_co_ci_u32_e32 v15, vcc_lo, v12, v15, vcc_lo
	global_store_b32 v[14:15], v58, off
.LBB1128_217:
	s_or_b32 exec_lo, exec_lo, s18
	s_delay_alu instid0(SALU_CYCLE_1)
	s_and_b32 s18, s0, exec_lo
	s_and_not1_saveexec_b32 s15, s15
	s_cbranch_execz .LBB1128_153
.LBB1128_218:
	v_sub_nc_u32_e32 v14, v53, v4
	v_mov_b32_e32 v15, 0
	s_or_b32 s18, s18, exec_lo
	s_delay_alu instid0(VALU_DEP_1) | instskip(SKIP_1) | instid1(VALU_DEP_1)
	v_lshlrev_b64 v[16:17], 2, v[14:15]
	v_sub_nc_u32_e32 v14, v59, v4
	v_lshlrev_b64 v[18:19], 2, v[14:15]
	v_sub_nc_u32_e32 v14, v55, v4
	s_delay_alu instid0(VALU_DEP_4) | instskip(SKIP_1) | instid1(VALU_DEP_3)
	v_add_co_u32 v16, vcc_lo, v11, v16
	v_add_co_ci_u32_e32 v17, vcc_lo, v12, v17, vcc_lo
	v_lshlrev_b64 v[20:21], 2, v[14:15]
	v_sub_nc_u32_e32 v14, v51, v4
	v_add_co_u32 v18, vcc_lo, v11, v18
	v_add_co_ci_u32_e32 v19, vcc_lo, v12, v19, vcc_lo
	global_store_b32 v[16:17], v54, off
	v_lshlrev_b64 v[16:17], 2, v[14:15]
	v_sub_nc_u32_e32 v14, v45, v4
	global_store_b32 v[18:19], v60, off
	v_add_co_u32 v18, vcc_lo, v11, v20
	v_add_co_ci_u32_e32 v19, vcc_lo, v12, v21, vcc_lo
	v_lshlrev_b64 v[20:21], 2, v[14:15]
	v_sub_nc_u32_e32 v14, v41, v4
	v_add_co_u32 v16, vcc_lo, v11, v16
	v_add_co_ci_u32_e32 v17, vcc_lo, v12, v17, vcc_lo
	s_delay_alu instid0(VALU_DEP_3) | instskip(SKIP_3) | instid1(VALU_DEP_3)
	v_lshlrev_b64 v[25:26], 2, v[14:15]
	v_sub_nc_u32_e32 v14, v39, v4
	v_add_co_u32 v20, vcc_lo, v11, v20
	v_add_co_ci_u32_e32 v21, vcc_lo, v12, v21, vcc_lo
	v_lshlrev_b64 v[27:28], 2, v[14:15]
	v_sub_nc_u32_e32 v14, v43, v4
	v_add_co_u32 v25, vcc_lo, v11, v25
	v_add_co_ci_u32_e32 v26, vcc_lo, v12, v26, vcc_lo
	s_clause 0x3
	global_store_b32 v[18:19], v56, off
	global_store_b32 v[16:17], v52, off
	;; [unrolled: 1-line block ×4, first 2 shown]
	v_lshlrev_b64 v[16:17], 2, v[14:15]
	v_sub_nc_u32_e32 v14, v47, v4
	v_add_co_u32 v18, vcc_lo, v11, v27
	v_add_co_ci_u32_e32 v19, vcc_lo, v12, v28, vcc_lo
	s_delay_alu instid0(VALU_DEP_3) | instskip(SKIP_3) | instid1(VALU_DEP_3)
	v_lshlrev_b64 v[20:21], 2, v[14:15]
	v_sub_nc_u32_e32 v14, v5, v4
	v_add_co_u32 v16, vcc_lo, v11, v16
	v_add_co_ci_u32_e32 v17, vcc_lo, v12, v17, vcc_lo
	v_lshlrev_b64 v[25:26], 2, v[14:15]
	v_sub_nc_u32_e32 v14, v7, v4
	v_add_co_u32 v20, vcc_lo, v11, v20
	v_add_co_ci_u32_e32 v21, vcc_lo, v12, v21, vcc_lo
	s_delay_alu instid0(VALU_DEP_3)
	v_lshlrev_b64 v[27:28], 2, v[14:15]
	v_sub_nc_u32_e32 v14, v37, v4
	v_add_co_u32 v25, vcc_lo, v11, v25
	v_add_co_ci_u32_e32 v26, vcc_lo, v12, v26, vcc_lo
	s_clause 0x3
	global_store_b32 v[18:19], v40, off
	global_store_b32 v[16:17], v44, off
	;; [unrolled: 1-line block ×4, first 2 shown]
	v_lshlrev_b64 v[16:17], 2, v[14:15]
	v_sub_nc_u32_e32 v14, v61, v4
	v_add_co_u32 v18, vcc_lo, v11, v27
	v_add_co_ci_u32_e32 v19, vcc_lo, v12, v28, vcc_lo
	s_delay_alu instid0(VALU_DEP_3) | instskip(SKIP_3) | instid1(VALU_DEP_3)
	v_lshlrev_b64 v[20:21], 2, v[14:15]
	v_sub_nc_u32_e32 v14, v57, v4
	v_add_co_u32 v16, vcc_lo, v11, v16
	v_add_co_ci_u32_e32 v17, vcc_lo, v12, v17, vcc_lo
	v_lshlrev_b64 v[14:15], 2, v[14:15]
	v_add_co_u32 v20, vcc_lo, v11, v20
	v_add_co_ci_u32_e32 v21, vcc_lo, v12, v21, vcc_lo
	s_clause 0x2
	global_store_b32 v[18:19], v8, off
	global_store_b32 v[16:17], v38, off
	;; [unrolled: 1-line block ×3, first 2 shown]
	v_add_co_u32 v14, vcc_lo, v11, v14
	v_add_co_ci_u32_e32 v15, vcc_lo, v12, v15, vcc_lo
	global_store_b32 v[14:15], v58, off
	s_or_b32 exec_lo, exec_lo, s15
	s_delay_alu instid0(SALU_CYCLE_1)
	s_and_b32 exec_lo, exec_lo, s18
	s_cbranch_execnz .LBB1128_154
	s_branch .LBB1128_155
.LBB1128_219:
	s_and_saveexec_b32 s18, s14
	s_cbranch_execnz .LBB1128_275
; %bb.220:
	s_or_b32 exec_lo, exec_lo, s18
	s_and_saveexec_b32 s14, s13
	s_cbranch_execnz .LBB1128_276
.LBB1128_221:
	s_or_b32 exec_lo, exec_lo, s14
	s_and_saveexec_b32 s13, s12
	s_cbranch_execnz .LBB1128_277
.LBB1128_222:
	s_or_b32 exec_lo, exec_lo, s13
	s_and_saveexec_b32 s12, s11
	s_cbranch_execnz .LBB1128_278
.LBB1128_223:
	s_or_b32 exec_lo, exec_lo, s12
	s_and_saveexec_b32 s11, s10
	s_cbranch_execnz .LBB1128_279
.LBB1128_224:
	s_or_b32 exec_lo, exec_lo, s11
	s_and_saveexec_b32 s10, s9
	s_cbranch_execnz .LBB1128_280
.LBB1128_225:
	s_or_b32 exec_lo, exec_lo, s10
	s_and_saveexec_b32 s9, s8
	s_cbranch_execnz .LBB1128_281
.LBB1128_226:
	s_or_b32 exec_lo, exec_lo, s9
	s_and_saveexec_b32 s8, s7
	s_cbranch_execnz .LBB1128_282
.LBB1128_227:
	s_or_b32 exec_lo, exec_lo, s8
	s_and_saveexec_b32 s7, s6
	s_cbranch_execnz .LBB1128_283
.LBB1128_228:
	s_or_b32 exec_lo, exec_lo, s7
	s_and_saveexec_b32 s6, s5
	s_cbranch_execnz .LBB1128_284
.LBB1128_229:
	s_or_b32 exec_lo, exec_lo, s6
	s_and_saveexec_b32 s5, s4
	s_cbranch_execnz .LBB1128_285
.LBB1128_230:
	s_or_b32 exec_lo, exec_lo, s5
	s_and_saveexec_b32 s4, s3
	s_cbranch_execnz .LBB1128_286
.LBB1128_231:
	s_or_b32 exec_lo, exec_lo, s4
	s_and_saveexec_b32 s3, s2
	s_cbranch_execnz .LBB1128_287
.LBB1128_232:
	s_or_b32 exec_lo, exec_lo, s3
	s_and_saveexec_b32 s2, s1
	s_cbranch_execz .LBB1128_234
.LBB1128_233:
	v_sub_nc_u32_e32 v5, v57, v4
	s_delay_alu instid0(VALU_DEP_1)
	v_lshlrev_b32_e32 v5, 2, v5
	ds_store_b32 v5, v58
.LBB1128_234:
	s_or_b32 exec_lo, exec_lo, s2
	s_delay_alu instid0(SALU_CYCLE_1)
	s_and_b32 s18, s0, exec_lo
                                        ; implicit-def: $vgpr53_vgpr54
                                        ; implicit-def: $vgpr59_vgpr60
                                        ; implicit-def: $vgpr55_vgpr56
                                        ; implicit-def: $vgpr51_vgpr52
                                        ; implicit-def: $vgpr45_vgpr46
                                        ; implicit-def: $vgpr41_vgpr42
                                        ; implicit-def: $vgpr39_vgpr40
                                        ; implicit-def: $vgpr43_vgpr44
                                        ; implicit-def: $vgpr47_vgpr48
                                        ; implicit-def: $vgpr5_vgpr6
                                        ; implicit-def: $vgpr7_vgpr8
                                        ; implicit-def: $vgpr37_vgpr38
                                        ; implicit-def: $vgpr61_vgpr62
                                        ; implicit-def: $vgpr57_vgpr58
	s_and_not1_saveexec_b32 s0, s16
	s_cbranch_execz .LBB1128_159
.LBB1128_235:
	v_sub_nc_u32_e32 v13, v53, v4
	v_sub_nc_u32_e32 v14, v59, v4
	;; [unrolled: 1-line block ×5, first 2 shown]
	v_lshlrev_b32_e32 v13, 2, v13
	v_lshlrev_b32_e32 v14, 2, v14
	;; [unrolled: 1-line block ×4, first 2 shown]
	v_sub_nc_u32_e32 v5, v5, v4
	ds_store_b32 v13, v54
	ds_store_b32 v14, v60
	;; [unrolled: 1-line block ×3, first 2 shown]
	v_sub_nc_u32_e32 v13, v45, v4
	v_sub_nc_u32_e32 v14, v41, v4
	;; [unrolled: 1-line block ×3, first 2 shown]
	ds_store_b32 v16, v52
	v_sub_nc_u32_e32 v16, v43, v4
	v_lshlrev_b32_e32 v13, 2, v13
	v_lshlrev_b32_e32 v14, 2, v14
	;; [unrolled: 1-line block ×3, first 2 shown]
	v_sub_nc_u32_e32 v7, v7, v4
	v_lshlrev_b32_e32 v16, 2, v16
	ds_store_b32 v13, v46
	v_lshlrev_b32_e32 v13, 2, v17
	ds_store_b32 v14, v42
	ds_store_b32 v15, v40
	;; [unrolled: 1-line block ×3, first 2 shown]
	v_lshlrev_b32_e32 v5, 2, v5
	v_sub_nc_u32_e32 v15, v57, v4
	v_sub_nc_u32_e32 v14, v61, v4
	ds_store_b32 v13, v48
	v_sub_nc_u32_e32 v13, v37, v4
	v_lshlrev_b32_e32 v7, 2, v7
	ds_store_b32 v5, v6
	v_lshlrev_b32_e32 v5, 2, v15
	v_lshlrev_b32_e32 v14, 2, v14
	;; [unrolled: 1-line block ×3, first 2 shown]
	s_or_b32 s18, s18, exec_lo
	ds_store_b32 v7, v8
	ds_store_b32 v13, v38
	;; [unrolled: 1-line block ×4, first 2 shown]
	s_or_b32 exec_lo, exec_lo, s0
	s_delay_alu instid0(SALU_CYCLE_1)
	s_and_b32 exec_lo, exec_lo, s18
	s_cbranch_execnz .LBB1128_160
	s_branch .LBB1128_161
.LBB1128_236:
	v_sub_nc_u32_e32 v30, v53, v3
	v_mov_b32_e32 v31, 0
	s_delay_alu instid0(VALU_DEP_1) | instskip(NEXT) | instid1(VALU_DEP_1)
	v_lshlrev_b64 v[30:31], 2, v[30:31]
	v_add_co_u32 v30, vcc_lo, v2, v30
	s_delay_alu instid0(VALU_DEP_2)
	v_add_co_ci_u32_e32 v31, vcc_lo, v4, v31, vcc_lo
	global_store_b32 v[30:31], v21, off
	s_or_b32 exec_lo, exec_lo, s19
	s_and_saveexec_b32 s19, s14
	s_cbranch_execz .LBB1128_170
.LBB1128_237:
	v_sub_nc_u32_e32 v30, v59, v3
	v_mov_b32_e32 v31, 0
	s_delay_alu instid0(VALU_DEP_1) | instskip(NEXT) | instid1(VALU_DEP_1)
	v_lshlrev_b64 v[30:31], 2, v[30:31]
	v_add_co_u32 v30, vcc_lo, v2, v30
	s_delay_alu instid0(VALU_DEP_2)
	v_add_co_ci_u32_e32 v31, vcc_lo, v4, v31, vcc_lo
	global_store_b32 v[30:31], v22, off
	s_or_b32 exec_lo, exec_lo, s19
	s_and_saveexec_b32 s19, s13
	s_cbranch_execz .LBB1128_171
.LBB1128_238:
	v_sub_nc_u32_e32 v30, v55, v3
	v_mov_b32_e32 v31, 0
	s_delay_alu instid0(VALU_DEP_1) | instskip(NEXT) | instid1(VALU_DEP_1)
	v_lshlrev_b64 v[30:31], 2, v[30:31]
	v_add_co_u32 v30, vcc_lo, v2, v30
	s_delay_alu instid0(VALU_DEP_2)
	v_add_co_ci_u32_e32 v31, vcc_lo, v4, v31, vcc_lo
	global_store_b32 v[30:31], v19, off
	s_or_b32 exec_lo, exec_lo, s19
	s_and_saveexec_b32 s19, s12
	s_cbranch_execz .LBB1128_172
.LBB1128_239:
	v_sub_nc_u32_e32 v30, v51, v3
	v_mov_b32_e32 v31, 0
	s_delay_alu instid0(VALU_DEP_1) | instskip(NEXT) | instid1(VALU_DEP_1)
	v_lshlrev_b64 v[30:31], 2, v[30:31]
	v_add_co_u32 v30, vcc_lo, v2, v30
	s_delay_alu instid0(VALU_DEP_2)
	v_add_co_ci_u32_e32 v31, vcc_lo, v4, v31, vcc_lo
	global_store_b32 v[30:31], v20, off
	s_or_b32 exec_lo, exec_lo, s19
	s_and_saveexec_b32 s19, s11
	s_cbranch_execz .LBB1128_173
.LBB1128_240:
	v_sub_nc_u32_e32 v30, v45, v3
	v_mov_b32_e32 v31, 0
	s_delay_alu instid0(VALU_DEP_1) | instskip(NEXT) | instid1(VALU_DEP_1)
	v_lshlrev_b64 v[30:31], 2, v[30:31]
	v_add_co_u32 v30, vcc_lo, v2, v30
	s_delay_alu instid0(VALU_DEP_2)
	v_add_co_ci_u32_e32 v31, vcc_lo, v4, v31, vcc_lo
	global_store_b32 v[30:31], v17, off
	s_or_b32 exec_lo, exec_lo, s19
	s_and_saveexec_b32 s19, s10
	s_cbranch_execz .LBB1128_174
.LBB1128_241:
	v_sub_nc_u32_e32 v30, v41, v3
	v_mov_b32_e32 v31, 0
	s_delay_alu instid0(VALU_DEP_1) | instskip(NEXT) | instid1(VALU_DEP_1)
	v_lshlrev_b64 v[30:31], 2, v[30:31]
	v_add_co_u32 v30, vcc_lo, v2, v30
	s_delay_alu instid0(VALU_DEP_2)
	v_add_co_ci_u32_e32 v31, vcc_lo, v4, v31, vcc_lo
	global_store_b32 v[30:31], v18, off
	s_or_b32 exec_lo, exec_lo, s19
	s_and_saveexec_b32 s19, s8
	s_cbranch_execz .LBB1128_175
.LBB1128_242:
	v_sub_nc_u32_e32 v30, v39, v3
	v_mov_b32_e32 v31, 0
	s_delay_alu instid0(VALU_DEP_1) | instskip(NEXT) | instid1(VALU_DEP_1)
	v_lshlrev_b64 v[30:31], 2, v[30:31]
	v_add_co_u32 v30, vcc_lo, v2, v30
	s_delay_alu instid0(VALU_DEP_2)
	v_add_co_ci_u32_e32 v31, vcc_lo, v4, v31, vcc_lo
	global_store_b32 v[30:31], v15, off
	s_or_b32 exec_lo, exec_lo, s19
	s_and_saveexec_b32 s19, s6
	s_cbranch_execz .LBB1128_176
.LBB1128_243:
	v_sub_nc_u32_e32 v30, v43, v3
	v_mov_b32_e32 v31, 0
	s_delay_alu instid0(VALU_DEP_1) | instskip(NEXT) | instid1(VALU_DEP_1)
	v_lshlrev_b64 v[30:31], 2, v[30:31]
	v_add_co_u32 v30, vcc_lo, v2, v30
	s_delay_alu instid0(VALU_DEP_2)
	v_add_co_ci_u32_e32 v31, vcc_lo, v4, v31, vcc_lo
	global_store_b32 v[30:31], v16, off
	s_or_b32 exec_lo, exec_lo, s19
	s_and_saveexec_b32 s19, s9
	s_cbranch_execz .LBB1128_177
.LBB1128_244:
	v_sub_nc_u32_e32 v30, v47, v3
	v_mov_b32_e32 v31, 0
	s_delay_alu instid0(VALU_DEP_1) | instskip(NEXT) | instid1(VALU_DEP_1)
	v_lshlrev_b64 v[30:31], 2, v[30:31]
	v_add_co_u32 v30, vcc_lo, v2, v30
	s_delay_alu instid0(VALU_DEP_2)
	v_add_co_ci_u32_e32 v31, vcc_lo, v4, v31, vcc_lo
	global_store_b32 v[30:31], v13, off
	s_or_b32 exec_lo, exec_lo, s19
	s_and_saveexec_b32 s19, s7
	s_cbranch_execz .LBB1128_178
.LBB1128_245:
	v_sub_nc_u32_e32 v30, v5, v3
	v_mov_b32_e32 v31, 0
	s_delay_alu instid0(VALU_DEP_1) | instskip(NEXT) | instid1(VALU_DEP_1)
	v_lshlrev_b64 v[30:31], 2, v[30:31]
	v_add_co_u32 v30, vcc_lo, v2, v30
	s_delay_alu instid0(VALU_DEP_2)
	v_add_co_ci_u32_e32 v31, vcc_lo, v4, v31, vcc_lo
	global_store_b32 v[30:31], v14, off
	s_or_b32 exec_lo, exec_lo, s19
	s_and_saveexec_b32 s19, s5
	s_cbranch_execz .LBB1128_179
.LBB1128_246:
	v_sub_nc_u32_e32 v30, v7, v3
	v_mov_b32_e32 v31, 0
	s_delay_alu instid0(VALU_DEP_1) | instskip(NEXT) | instid1(VALU_DEP_1)
	v_lshlrev_b64 v[30:31], 2, v[30:31]
	v_add_co_u32 v30, vcc_lo, v2, v30
	s_delay_alu instid0(VALU_DEP_2)
	v_add_co_ci_u32_e32 v31, vcc_lo, v4, v31, vcc_lo
	global_store_b32 v[30:31], v11, off
	s_or_b32 exec_lo, exec_lo, s19
	s_and_saveexec_b32 s19, s4
	s_cbranch_execz .LBB1128_180
.LBB1128_247:
	v_sub_nc_u32_e32 v30, v37, v3
	v_mov_b32_e32 v31, 0
	s_delay_alu instid0(VALU_DEP_1) | instskip(NEXT) | instid1(VALU_DEP_1)
	v_lshlrev_b64 v[30:31], 2, v[30:31]
	v_add_co_u32 v30, vcc_lo, v2, v30
	s_delay_alu instid0(VALU_DEP_2)
	v_add_co_ci_u32_e32 v31, vcc_lo, v4, v31, vcc_lo
	global_store_b32 v[30:31], v12, off
	s_or_b32 exec_lo, exec_lo, s19
	s_and_saveexec_b32 s19, s3
	s_cbranch_execz .LBB1128_181
.LBB1128_248:
	v_sub_nc_u32_e32 v30, v61, v3
	v_mov_b32_e32 v31, 0
	s_delay_alu instid0(VALU_DEP_1) | instskip(NEXT) | instid1(VALU_DEP_1)
	v_lshlrev_b64 v[30:31], 2, v[30:31]
	v_add_co_u32 v30, vcc_lo, v2, v30
	s_delay_alu instid0(VALU_DEP_2)
	v_add_co_ci_u32_e32 v31, vcc_lo, v4, v31, vcc_lo
	global_store_b32 v[30:31], v9, off
	s_or_b32 exec_lo, exec_lo, s19
	s_and_saveexec_b32 s19, s1
	s_cbranch_execnz .LBB1128_182
	s_branch .LBB1128_183
.LBB1128_249:
	v_sub_nc_u32_e32 v29, v53, v3
	s_delay_alu instid0(VALU_DEP_1)
	v_lshlrev_b32_e32 v29, 2, v29
	ds_store_b32 v29, v21
	s_or_b32 exec_lo, exec_lo, s19
	s_and_saveexec_b32 s15, s14
	s_cbranch_execz .LBB1128_187
.LBB1128_250:
	v_sub_nc_u32_e32 v21, v59, v3
	s_delay_alu instid0(VALU_DEP_1)
	v_lshlrev_b32_e32 v21, 2, v21
	ds_store_b32 v21, v22
	s_or_b32 exec_lo, exec_lo, s15
	s_and_saveexec_b32 s14, s13
	s_cbranch_execz .LBB1128_188
.LBB1128_251:
	v_sub_nc_u32_e32 v21, v55, v3
	s_delay_alu instid0(VALU_DEP_1)
	v_lshlrev_b32_e32 v21, 2, v21
	ds_store_b32 v21, v19
	s_or_b32 exec_lo, exec_lo, s14
	s_and_saveexec_b32 s13, s12
	s_cbranch_execz .LBB1128_189
.LBB1128_252:
	v_sub_nc_u32_e32 v19, v51, v3
	s_delay_alu instid0(VALU_DEP_1)
	v_lshlrev_b32_e32 v19, 2, v19
	ds_store_b32 v19, v20
	s_or_b32 exec_lo, exec_lo, s13
	s_and_saveexec_b32 s12, s11
	s_cbranch_execz .LBB1128_190
.LBB1128_253:
	v_sub_nc_u32_e32 v19, v45, v3
	s_delay_alu instid0(VALU_DEP_1)
	v_lshlrev_b32_e32 v19, 2, v19
	ds_store_b32 v19, v17
	s_or_b32 exec_lo, exec_lo, s12
	s_and_saveexec_b32 s11, s10
	s_cbranch_execz .LBB1128_191
.LBB1128_254:
	v_sub_nc_u32_e32 v17, v41, v3
	s_delay_alu instid0(VALU_DEP_1)
	v_lshlrev_b32_e32 v17, 2, v17
	ds_store_b32 v17, v18
	s_or_b32 exec_lo, exec_lo, s11
	s_and_saveexec_b32 s10, s8
	s_cbranch_execz .LBB1128_192
.LBB1128_255:
	v_sub_nc_u32_e32 v17, v39, v3
	s_delay_alu instid0(VALU_DEP_1)
	v_lshlrev_b32_e32 v17, 2, v17
	ds_store_b32 v17, v15
	s_or_b32 exec_lo, exec_lo, s10
	s_and_saveexec_b32 s8, s6
	s_cbranch_execz .LBB1128_193
.LBB1128_256:
	v_sub_nc_u32_e32 v15, v43, v3
	s_delay_alu instid0(VALU_DEP_1)
	v_lshlrev_b32_e32 v15, 2, v15
	ds_store_b32 v15, v16
	s_or_b32 exec_lo, exec_lo, s8
	s_and_saveexec_b32 s6, s9
	s_cbranch_execz .LBB1128_194
.LBB1128_257:
	v_sub_nc_u32_e32 v15, v47, v3
	s_delay_alu instid0(VALU_DEP_1)
	v_lshlrev_b32_e32 v15, 2, v15
	ds_store_b32 v15, v13
	s_or_b32 exec_lo, exec_lo, s6
	s_and_saveexec_b32 s6, s7
	s_cbranch_execz .LBB1128_195
.LBB1128_258:
	v_sub_nc_u32_e32 v13, v5, v3
	s_delay_alu instid0(VALU_DEP_1)
	v_lshlrev_b32_e32 v13, 2, v13
	ds_store_b32 v13, v14
	s_or_b32 exec_lo, exec_lo, s6
	s_and_saveexec_b32 s6, s5
	s_cbranch_execz .LBB1128_196
.LBB1128_259:
	v_sub_nc_u32_e32 v13, v7, v3
	s_delay_alu instid0(VALU_DEP_1)
	v_lshlrev_b32_e32 v13, 2, v13
	ds_store_b32 v13, v11
	s_or_b32 exec_lo, exec_lo, s6
	s_and_saveexec_b32 s5, s4
	s_cbranch_execz .LBB1128_197
.LBB1128_260:
	v_sub_nc_u32_e32 v11, v37, v3
	s_delay_alu instid0(VALU_DEP_1)
	v_lshlrev_b32_e32 v11, 2, v11
	ds_store_b32 v11, v12
	s_or_b32 exec_lo, exec_lo, s5
	s_and_saveexec_b32 s4, s3
	s_cbranch_execz .LBB1128_198
.LBB1128_261:
	v_sub_nc_u32_e32 v11, v61, v3
	s_delay_alu instid0(VALU_DEP_1)
	v_lshlrev_b32_e32 v11, 2, v11
	ds_store_b32 v11, v9
	s_or_b32 exec_lo, exec_lo, s4
	s_and_saveexec_b32 s3, s1
	s_cbranch_execnz .LBB1128_199
	s_branch .LBB1128_200
.LBB1128_262:
	v_sub_nc_u32_e32 v14, v53, v4
	v_mov_b32_e32 v15, 0
	s_delay_alu instid0(VALU_DEP_1) | instskip(NEXT) | instid1(VALU_DEP_1)
	v_lshlrev_b64 v[14:15], 2, v[14:15]
	v_add_co_u32 v14, vcc_lo, v11, v14
	s_delay_alu instid0(VALU_DEP_2)
	v_add_co_ci_u32_e32 v15, vcc_lo, v12, v15, vcc_lo
	global_store_b32 v[14:15], v54, off
	s_or_b32 exec_lo, exec_lo, s18
	s_and_saveexec_b32 s18, s13
	s_cbranch_execz .LBB1128_204
.LBB1128_263:
	v_sub_nc_u32_e32 v14, v59, v4
	v_mov_b32_e32 v15, 0
	s_delay_alu instid0(VALU_DEP_1) | instskip(NEXT) | instid1(VALU_DEP_1)
	v_lshlrev_b64 v[14:15], 2, v[14:15]
	v_add_co_u32 v14, vcc_lo, v11, v14
	s_delay_alu instid0(VALU_DEP_2)
	v_add_co_ci_u32_e32 v15, vcc_lo, v12, v15, vcc_lo
	global_store_b32 v[14:15], v60, off
	s_or_b32 exec_lo, exec_lo, s18
	s_and_saveexec_b32 s18, s12
	s_cbranch_execz .LBB1128_205
.LBB1128_264:
	v_sub_nc_u32_e32 v14, v55, v4
	v_mov_b32_e32 v15, 0
	s_delay_alu instid0(VALU_DEP_1) | instskip(NEXT) | instid1(VALU_DEP_1)
	v_lshlrev_b64 v[14:15], 2, v[14:15]
	v_add_co_u32 v14, vcc_lo, v11, v14
	s_delay_alu instid0(VALU_DEP_2)
	v_add_co_ci_u32_e32 v15, vcc_lo, v12, v15, vcc_lo
	global_store_b32 v[14:15], v56, off
	s_or_b32 exec_lo, exec_lo, s18
	s_and_saveexec_b32 s18, s11
	s_cbranch_execz .LBB1128_206
.LBB1128_265:
	v_sub_nc_u32_e32 v14, v51, v4
	v_mov_b32_e32 v15, 0
	s_delay_alu instid0(VALU_DEP_1) | instskip(NEXT) | instid1(VALU_DEP_1)
	v_lshlrev_b64 v[14:15], 2, v[14:15]
	v_add_co_u32 v14, vcc_lo, v11, v14
	s_delay_alu instid0(VALU_DEP_2)
	v_add_co_ci_u32_e32 v15, vcc_lo, v12, v15, vcc_lo
	global_store_b32 v[14:15], v52, off
	s_or_b32 exec_lo, exec_lo, s18
	s_and_saveexec_b32 s18, s10
	s_cbranch_execz .LBB1128_207
.LBB1128_266:
	v_sub_nc_u32_e32 v14, v45, v4
	v_mov_b32_e32 v15, 0
	s_delay_alu instid0(VALU_DEP_1) | instskip(NEXT) | instid1(VALU_DEP_1)
	v_lshlrev_b64 v[14:15], 2, v[14:15]
	v_add_co_u32 v14, vcc_lo, v11, v14
	s_delay_alu instid0(VALU_DEP_2)
	v_add_co_ci_u32_e32 v15, vcc_lo, v12, v15, vcc_lo
	global_store_b32 v[14:15], v46, off
	s_or_b32 exec_lo, exec_lo, s18
	s_and_saveexec_b32 s18, s9
	s_cbranch_execz .LBB1128_208
.LBB1128_267:
	v_sub_nc_u32_e32 v14, v41, v4
	v_mov_b32_e32 v15, 0
	s_delay_alu instid0(VALU_DEP_1) | instskip(NEXT) | instid1(VALU_DEP_1)
	v_lshlrev_b64 v[14:15], 2, v[14:15]
	v_add_co_u32 v14, vcc_lo, v11, v14
	s_delay_alu instid0(VALU_DEP_2)
	v_add_co_ci_u32_e32 v15, vcc_lo, v12, v15, vcc_lo
	global_store_b32 v[14:15], v42, off
	s_or_b32 exec_lo, exec_lo, s18
	s_and_saveexec_b32 s18, s8
	s_cbranch_execz .LBB1128_209
.LBB1128_268:
	v_sub_nc_u32_e32 v14, v39, v4
	v_mov_b32_e32 v15, 0
	s_delay_alu instid0(VALU_DEP_1) | instskip(NEXT) | instid1(VALU_DEP_1)
	v_lshlrev_b64 v[14:15], 2, v[14:15]
	v_add_co_u32 v14, vcc_lo, v11, v14
	s_delay_alu instid0(VALU_DEP_2)
	v_add_co_ci_u32_e32 v15, vcc_lo, v12, v15, vcc_lo
	global_store_b32 v[14:15], v40, off
	s_or_b32 exec_lo, exec_lo, s18
	s_and_saveexec_b32 s18, s7
	s_cbranch_execz .LBB1128_210
.LBB1128_269:
	v_sub_nc_u32_e32 v14, v43, v4
	v_mov_b32_e32 v15, 0
	s_delay_alu instid0(VALU_DEP_1) | instskip(NEXT) | instid1(VALU_DEP_1)
	v_lshlrev_b64 v[14:15], 2, v[14:15]
	v_add_co_u32 v14, vcc_lo, v11, v14
	s_delay_alu instid0(VALU_DEP_2)
	v_add_co_ci_u32_e32 v15, vcc_lo, v12, v15, vcc_lo
	global_store_b32 v[14:15], v44, off
	s_or_b32 exec_lo, exec_lo, s18
	s_and_saveexec_b32 s18, s6
	s_cbranch_execz .LBB1128_211
.LBB1128_270:
	v_sub_nc_u32_e32 v14, v47, v4
	v_mov_b32_e32 v15, 0
	s_delay_alu instid0(VALU_DEP_1) | instskip(NEXT) | instid1(VALU_DEP_1)
	v_lshlrev_b64 v[14:15], 2, v[14:15]
	v_add_co_u32 v14, vcc_lo, v11, v14
	s_delay_alu instid0(VALU_DEP_2)
	v_add_co_ci_u32_e32 v15, vcc_lo, v12, v15, vcc_lo
	global_store_b32 v[14:15], v48, off
	s_or_b32 exec_lo, exec_lo, s18
	s_and_saveexec_b32 s18, s5
	s_cbranch_execz .LBB1128_212
.LBB1128_271:
	v_sub_nc_u32_e32 v14, v5, v4
	v_mov_b32_e32 v15, 0
	s_delay_alu instid0(VALU_DEP_1) | instskip(NEXT) | instid1(VALU_DEP_1)
	v_lshlrev_b64 v[14:15], 2, v[14:15]
	v_add_co_u32 v14, vcc_lo, v11, v14
	s_delay_alu instid0(VALU_DEP_2)
	v_add_co_ci_u32_e32 v15, vcc_lo, v12, v15, vcc_lo
	global_store_b32 v[14:15], v6, off
	s_or_b32 exec_lo, exec_lo, s18
	s_and_saveexec_b32 s18, s4
	s_cbranch_execz .LBB1128_213
.LBB1128_272:
	v_sub_nc_u32_e32 v14, v7, v4
	v_mov_b32_e32 v15, 0
	s_delay_alu instid0(VALU_DEP_1) | instskip(NEXT) | instid1(VALU_DEP_1)
	v_lshlrev_b64 v[14:15], 2, v[14:15]
	v_add_co_u32 v14, vcc_lo, v11, v14
	s_delay_alu instid0(VALU_DEP_2)
	v_add_co_ci_u32_e32 v15, vcc_lo, v12, v15, vcc_lo
	global_store_b32 v[14:15], v8, off
	s_or_b32 exec_lo, exec_lo, s18
	s_and_saveexec_b32 s18, s3
	s_cbranch_execz .LBB1128_214
.LBB1128_273:
	v_sub_nc_u32_e32 v14, v37, v4
	v_mov_b32_e32 v15, 0
	s_delay_alu instid0(VALU_DEP_1) | instskip(NEXT) | instid1(VALU_DEP_1)
	v_lshlrev_b64 v[14:15], 2, v[14:15]
	v_add_co_u32 v14, vcc_lo, v11, v14
	s_delay_alu instid0(VALU_DEP_2)
	v_add_co_ci_u32_e32 v15, vcc_lo, v12, v15, vcc_lo
	global_store_b32 v[14:15], v38, off
	s_or_b32 exec_lo, exec_lo, s18
	s_and_saveexec_b32 s18, s2
	s_cbranch_execz .LBB1128_215
.LBB1128_274:
	v_sub_nc_u32_e32 v14, v61, v4
	v_mov_b32_e32 v15, 0
	s_delay_alu instid0(VALU_DEP_1) | instskip(NEXT) | instid1(VALU_DEP_1)
	v_lshlrev_b64 v[14:15], 2, v[14:15]
	v_add_co_u32 v14, vcc_lo, v11, v14
	s_delay_alu instid0(VALU_DEP_2)
	v_add_co_ci_u32_e32 v15, vcc_lo, v12, v15, vcc_lo
	global_store_b32 v[14:15], v62, off
	s_or_b32 exec_lo, exec_lo, s18
	s_and_saveexec_b32 s18, s1
	s_cbranch_execnz .LBB1128_216
	s_branch .LBB1128_217
.LBB1128_275:
	v_sub_nc_u32_e32 v13, v53, v4
	s_delay_alu instid0(VALU_DEP_1)
	v_lshlrev_b32_e32 v13, 2, v13
	ds_store_b32 v13, v54
	s_or_b32 exec_lo, exec_lo, s18
	s_and_saveexec_b32 s14, s13
	s_cbranch_execz .LBB1128_221
.LBB1128_276:
	v_sub_nc_u32_e32 v13, v59, v4
	s_delay_alu instid0(VALU_DEP_1)
	v_lshlrev_b32_e32 v13, 2, v13
	ds_store_b32 v13, v60
	s_or_b32 exec_lo, exec_lo, s14
	s_and_saveexec_b32 s13, s12
	s_cbranch_execz .LBB1128_222
.LBB1128_277:
	v_sub_nc_u32_e32 v13, v55, v4
	s_delay_alu instid0(VALU_DEP_1)
	v_lshlrev_b32_e32 v13, 2, v13
	ds_store_b32 v13, v56
	s_or_b32 exec_lo, exec_lo, s13
	s_and_saveexec_b32 s12, s11
	s_cbranch_execz .LBB1128_223
.LBB1128_278:
	v_sub_nc_u32_e32 v13, v51, v4
	s_delay_alu instid0(VALU_DEP_1)
	v_lshlrev_b32_e32 v13, 2, v13
	ds_store_b32 v13, v52
	s_or_b32 exec_lo, exec_lo, s12
	s_and_saveexec_b32 s11, s10
	s_cbranch_execz .LBB1128_224
.LBB1128_279:
	v_sub_nc_u32_e32 v13, v45, v4
	s_delay_alu instid0(VALU_DEP_1)
	v_lshlrev_b32_e32 v13, 2, v13
	ds_store_b32 v13, v46
	s_or_b32 exec_lo, exec_lo, s11
	s_and_saveexec_b32 s10, s9
	s_cbranch_execz .LBB1128_225
.LBB1128_280:
	v_sub_nc_u32_e32 v13, v41, v4
	s_delay_alu instid0(VALU_DEP_1)
	v_lshlrev_b32_e32 v13, 2, v13
	ds_store_b32 v13, v42
	s_or_b32 exec_lo, exec_lo, s10
	s_and_saveexec_b32 s9, s8
	s_cbranch_execz .LBB1128_226
.LBB1128_281:
	v_sub_nc_u32_e32 v13, v39, v4
	s_delay_alu instid0(VALU_DEP_1)
	v_lshlrev_b32_e32 v13, 2, v13
	ds_store_b32 v13, v40
	s_or_b32 exec_lo, exec_lo, s9
	s_and_saveexec_b32 s8, s7
	s_cbranch_execz .LBB1128_227
.LBB1128_282:
	v_sub_nc_u32_e32 v13, v43, v4
	s_delay_alu instid0(VALU_DEP_1)
	v_lshlrev_b32_e32 v13, 2, v13
	ds_store_b32 v13, v44
	s_or_b32 exec_lo, exec_lo, s8
	s_and_saveexec_b32 s7, s6
	s_cbranch_execz .LBB1128_228
.LBB1128_283:
	v_sub_nc_u32_e32 v13, v47, v4
	s_delay_alu instid0(VALU_DEP_1)
	v_lshlrev_b32_e32 v13, 2, v13
	ds_store_b32 v13, v48
	s_or_b32 exec_lo, exec_lo, s7
	s_and_saveexec_b32 s6, s5
	s_cbranch_execz .LBB1128_229
.LBB1128_284:
	v_sub_nc_u32_e32 v5, v5, v4
	s_delay_alu instid0(VALU_DEP_1)
	v_lshlrev_b32_e32 v5, 2, v5
	ds_store_b32 v5, v6
	s_or_b32 exec_lo, exec_lo, s6
	s_and_saveexec_b32 s5, s4
	s_cbranch_execz .LBB1128_230
.LBB1128_285:
	v_sub_nc_u32_e32 v5, v7, v4
	s_delay_alu instid0(VALU_DEP_1)
	v_lshlrev_b32_e32 v5, 2, v5
	ds_store_b32 v5, v8
	s_or_b32 exec_lo, exec_lo, s5
	s_and_saveexec_b32 s4, s3
	s_cbranch_execz .LBB1128_231
.LBB1128_286:
	v_sub_nc_u32_e32 v5, v37, v4
	s_delay_alu instid0(VALU_DEP_1)
	v_lshlrev_b32_e32 v5, 2, v5
	ds_store_b32 v5, v38
	s_or_b32 exec_lo, exec_lo, s4
	s_and_saveexec_b32 s3, s2
	s_cbranch_execz .LBB1128_232
.LBB1128_287:
	v_sub_nc_u32_e32 v5, v61, v4
	s_delay_alu instid0(VALU_DEP_1)
	v_lshlrev_b32_e32 v5, 2, v5
	ds_store_b32 v5, v62
	s_or_b32 exec_lo, exec_lo, s3
	s_and_saveexec_b32 s2, s1
	s_cbranch_execnz .LBB1128_233
	s_branch .LBB1128_234
	.section	.rodata,"a",@progbits
	.p2align	6, 0x0
	.amdhsa_kernel _ZN7rocprim17ROCPRIM_400000_NS6detail17trampoline_kernelINS0_14default_configENS1_29reduce_by_key_config_selectorIiiN6thrust23THRUST_200600_302600_NS4plusIiEEEEZZNS1_33reduce_by_key_impl_wrapped_configILNS1_25lookback_scan_determinismE0ES3_S9_NS6_10device_ptrIiEESD_SD_SD_PmS8_NS6_8equal_toIiEEEE10hipError_tPvRmT2_T3_mT4_T5_T6_T7_T8_P12ihipStream_tbENKUlT_T0_E_clISt17integral_constantIbLb0EESX_IbLb1EEEEDaST_SU_EUlST_E_NS1_11comp_targetILNS1_3genE9ELNS1_11target_archE1100ELNS1_3gpuE3ELNS1_3repE0EEENS1_30default_config_static_selectorELNS0_4arch9wavefront6targetE0EEEvT1_
		.amdhsa_group_segment_fixed_size 15360
		.amdhsa_private_segment_fixed_size 0
		.amdhsa_kernarg_size 120
		.amdhsa_user_sgpr_count 15
		.amdhsa_user_sgpr_dispatch_ptr 0
		.amdhsa_user_sgpr_queue_ptr 0
		.amdhsa_user_sgpr_kernarg_segment_ptr 1
		.amdhsa_user_sgpr_dispatch_id 0
		.amdhsa_user_sgpr_private_segment_size 0
		.amdhsa_wavefront_size32 1
		.amdhsa_uses_dynamic_stack 0
		.amdhsa_enable_private_segment 0
		.amdhsa_system_sgpr_workgroup_id_x 1
		.amdhsa_system_sgpr_workgroup_id_y 0
		.amdhsa_system_sgpr_workgroup_id_z 0
		.amdhsa_system_sgpr_workgroup_info 0
		.amdhsa_system_vgpr_workitem_id 0
		.amdhsa_next_free_vgpr 86
		.amdhsa_next_free_sgpr 44
		.amdhsa_reserve_vcc 1
		.amdhsa_float_round_mode_32 0
		.amdhsa_float_round_mode_16_64 0
		.amdhsa_float_denorm_mode_32 3
		.amdhsa_float_denorm_mode_16_64 3
		.amdhsa_dx10_clamp 1
		.amdhsa_ieee_mode 1
		.amdhsa_fp16_overflow 0
		.amdhsa_workgroup_processor_mode 1
		.amdhsa_memory_ordered 1
		.amdhsa_forward_progress 0
		.amdhsa_shared_vgpr_count 0
		.amdhsa_exception_fp_ieee_invalid_op 0
		.amdhsa_exception_fp_denorm_src 0
		.amdhsa_exception_fp_ieee_div_zero 0
		.amdhsa_exception_fp_ieee_overflow 0
		.amdhsa_exception_fp_ieee_underflow 0
		.amdhsa_exception_fp_ieee_inexact 0
		.amdhsa_exception_int_div_zero 0
	.end_amdhsa_kernel
	.section	.text._ZN7rocprim17ROCPRIM_400000_NS6detail17trampoline_kernelINS0_14default_configENS1_29reduce_by_key_config_selectorIiiN6thrust23THRUST_200600_302600_NS4plusIiEEEEZZNS1_33reduce_by_key_impl_wrapped_configILNS1_25lookback_scan_determinismE0ES3_S9_NS6_10device_ptrIiEESD_SD_SD_PmS8_NS6_8equal_toIiEEEE10hipError_tPvRmT2_T3_mT4_T5_T6_T7_T8_P12ihipStream_tbENKUlT_T0_E_clISt17integral_constantIbLb0EESX_IbLb1EEEEDaST_SU_EUlST_E_NS1_11comp_targetILNS1_3genE9ELNS1_11target_archE1100ELNS1_3gpuE3ELNS1_3repE0EEENS1_30default_config_static_selectorELNS0_4arch9wavefront6targetE0EEEvT1_,"axG",@progbits,_ZN7rocprim17ROCPRIM_400000_NS6detail17trampoline_kernelINS0_14default_configENS1_29reduce_by_key_config_selectorIiiN6thrust23THRUST_200600_302600_NS4plusIiEEEEZZNS1_33reduce_by_key_impl_wrapped_configILNS1_25lookback_scan_determinismE0ES3_S9_NS6_10device_ptrIiEESD_SD_SD_PmS8_NS6_8equal_toIiEEEE10hipError_tPvRmT2_T3_mT4_T5_T6_T7_T8_P12ihipStream_tbENKUlT_T0_E_clISt17integral_constantIbLb0EESX_IbLb1EEEEDaST_SU_EUlST_E_NS1_11comp_targetILNS1_3genE9ELNS1_11target_archE1100ELNS1_3gpuE3ELNS1_3repE0EEENS1_30default_config_static_selectorELNS0_4arch9wavefront6targetE0EEEvT1_,comdat
.Lfunc_end1128:
	.size	_ZN7rocprim17ROCPRIM_400000_NS6detail17trampoline_kernelINS0_14default_configENS1_29reduce_by_key_config_selectorIiiN6thrust23THRUST_200600_302600_NS4plusIiEEEEZZNS1_33reduce_by_key_impl_wrapped_configILNS1_25lookback_scan_determinismE0ES3_S9_NS6_10device_ptrIiEESD_SD_SD_PmS8_NS6_8equal_toIiEEEE10hipError_tPvRmT2_T3_mT4_T5_T6_T7_T8_P12ihipStream_tbENKUlT_T0_E_clISt17integral_constantIbLb0EESX_IbLb1EEEEDaST_SU_EUlST_E_NS1_11comp_targetILNS1_3genE9ELNS1_11target_archE1100ELNS1_3gpuE3ELNS1_3repE0EEENS1_30default_config_static_selectorELNS0_4arch9wavefront6targetE0EEEvT1_, .Lfunc_end1128-_ZN7rocprim17ROCPRIM_400000_NS6detail17trampoline_kernelINS0_14default_configENS1_29reduce_by_key_config_selectorIiiN6thrust23THRUST_200600_302600_NS4plusIiEEEEZZNS1_33reduce_by_key_impl_wrapped_configILNS1_25lookback_scan_determinismE0ES3_S9_NS6_10device_ptrIiEESD_SD_SD_PmS8_NS6_8equal_toIiEEEE10hipError_tPvRmT2_T3_mT4_T5_T6_T7_T8_P12ihipStream_tbENKUlT_T0_E_clISt17integral_constantIbLb0EESX_IbLb1EEEEDaST_SU_EUlST_E_NS1_11comp_targetILNS1_3genE9ELNS1_11target_archE1100ELNS1_3gpuE3ELNS1_3repE0EEENS1_30default_config_static_selectorELNS0_4arch9wavefront6targetE0EEEvT1_
                                        ; -- End function
	.section	.AMDGPU.csdata,"",@progbits
; Kernel info:
; codeLenInByte = 17132
; NumSgprs: 46
; NumVgprs: 86
; ScratchSize: 0
; MemoryBound: 0
; FloatMode: 240
; IeeeMode: 1
; LDSByteSize: 15360 bytes/workgroup (compile time only)
; SGPRBlocks: 5
; VGPRBlocks: 10
; NumSGPRsForWavesPerEU: 46
; NumVGPRsForWavesPerEU: 86
; Occupancy: 16
; WaveLimiterHint : 1
; COMPUTE_PGM_RSRC2:SCRATCH_EN: 0
; COMPUTE_PGM_RSRC2:USER_SGPR: 15
; COMPUTE_PGM_RSRC2:TRAP_HANDLER: 0
; COMPUTE_PGM_RSRC2:TGID_X_EN: 1
; COMPUTE_PGM_RSRC2:TGID_Y_EN: 0
; COMPUTE_PGM_RSRC2:TGID_Z_EN: 0
; COMPUTE_PGM_RSRC2:TIDIG_COMP_CNT: 0
	.section	.text._ZN7rocprim17ROCPRIM_400000_NS6detail17trampoline_kernelINS0_14default_configENS1_29reduce_by_key_config_selectorIiiN6thrust23THRUST_200600_302600_NS4plusIiEEEEZZNS1_33reduce_by_key_impl_wrapped_configILNS1_25lookback_scan_determinismE0ES3_S9_NS6_10device_ptrIiEESD_SD_SD_PmS8_NS6_8equal_toIiEEEE10hipError_tPvRmT2_T3_mT4_T5_T6_T7_T8_P12ihipStream_tbENKUlT_T0_E_clISt17integral_constantIbLb0EESX_IbLb1EEEEDaST_SU_EUlST_E_NS1_11comp_targetILNS1_3genE8ELNS1_11target_archE1030ELNS1_3gpuE2ELNS1_3repE0EEENS1_30default_config_static_selectorELNS0_4arch9wavefront6targetE0EEEvT1_,"axG",@progbits,_ZN7rocprim17ROCPRIM_400000_NS6detail17trampoline_kernelINS0_14default_configENS1_29reduce_by_key_config_selectorIiiN6thrust23THRUST_200600_302600_NS4plusIiEEEEZZNS1_33reduce_by_key_impl_wrapped_configILNS1_25lookback_scan_determinismE0ES3_S9_NS6_10device_ptrIiEESD_SD_SD_PmS8_NS6_8equal_toIiEEEE10hipError_tPvRmT2_T3_mT4_T5_T6_T7_T8_P12ihipStream_tbENKUlT_T0_E_clISt17integral_constantIbLb0EESX_IbLb1EEEEDaST_SU_EUlST_E_NS1_11comp_targetILNS1_3genE8ELNS1_11target_archE1030ELNS1_3gpuE2ELNS1_3repE0EEENS1_30default_config_static_selectorELNS0_4arch9wavefront6targetE0EEEvT1_,comdat
	.protected	_ZN7rocprim17ROCPRIM_400000_NS6detail17trampoline_kernelINS0_14default_configENS1_29reduce_by_key_config_selectorIiiN6thrust23THRUST_200600_302600_NS4plusIiEEEEZZNS1_33reduce_by_key_impl_wrapped_configILNS1_25lookback_scan_determinismE0ES3_S9_NS6_10device_ptrIiEESD_SD_SD_PmS8_NS6_8equal_toIiEEEE10hipError_tPvRmT2_T3_mT4_T5_T6_T7_T8_P12ihipStream_tbENKUlT_T0_E_clISt17integral_constantIbLb0EESX_IbLb1EEEEDaST_SU_EUlST_E_NS1_11comp_targetILNS1_3genE8ELNS1_11target_archE1030ELNS1_3gpuE2ELNS1_3repE0EEENS1_30default_config_static_selectorELNS0_4arch9wavefront6targetE0EEEvT1_ ; -- Begin function _ZN7rocprim17ROCPRIM_400000_NS6detail17trampoline_kernelINS0_14default_configENS1_29reduce_by_key_config_selectorIiiN6thrust23THRUST_200600_302600_NS4plusIiEEEEZZNS1_33reduce_by_key_impl_wrapped_configILNS1_25lookback_scan_determinismE0ES3_S9_NS6_10device_ptrIiEESD_SD_SD_PmS8_NS6_8equal_toIiEEEE10hipError_tPvRmT2_T3_mT4_T5_T6_T7_T8_P12ihipStream_tbENKUlT_T0_E_clISt17integral_constantIbLb0EESX_IbLb1EEEEDaST_SU_EUlST_E_NS1_11comp_targetILNS1_3genE8ELNS1_11target_archE1030ELNS1_3gpuE2ELNS1_3repE0EEENS1_30default_config_static_selectorELNS0_4arch9wavefront6targetE0EEEvT1_
	.globl	_ZN7rocprim17ROCPRIM_400000_NS6detail17trampoline_kernelINS0_14default_configENS1_29reduce_by_key_config_selectorIiiN6thrust23THRUST_200600_302600_NS4plusIiEEEEZZNS1_33reduce_by_key_impl_wrapped_configILNS1_25lookback_scan_determinismE0ES3_S9_NS6_10device_ptrIiEESD_SD_SD_PmS8_NS6_8equal_toIiEEEE10hipError_tPvRmT2_T3_mT4_T5_T6_T7_T8_P12ihipStream_tbENKUlT_T0_E_clISt17integral_constantIbLb0EESX_IbLb1EEEEDaST_SU_EUlST_E_NS1_11comp_targetILNS1_3genE8ELNS1_11target_archE1030ELNS1_3gpuE2ELNS1_3repE0EEENS1_30default_config_static_selectorELNS0_4arch9wavefront6targetE0EEEvT1_
	.p2align	8
	.type	_ZN7rocprim17ROCPRIM_400000_NS6detail17trampoline_kernelINS0_14default_configENS1_29reduce_by_key_config_selectorIiiN6thrust23THRUST_200600_302600_NS4plusIiEEEEZZNS1_33reduce_by_key_impl_wrapped_configILNS1_25lookback_scan_determinismE0ES3_S9_NS6_10device_ptrIiEESD_SD_SD_PmS8_NS6_8equal_toIiEEEE10hipError_tPvRmT2_T3_mT4_T5_T6_T7_T8_P12ihipStream_tbENKUlT_T0_E_clISt17integral_constantIbLb0EESX_IbLb1EEEEDaST_SU_EUlST_E_NS1_11comp_targetILNS1_3genE8ELNS1_11target_archE1030ELNS1_3gpuE2ELNS1_3repE0EEENS1_30default_config_static_selectorELNS0_4arch9wavefront6targetE0EEEvT1_,@function
_ZN7rocprim17ROCPRIM_400000_NS6detail17trampoline_kernelINS0_14default_configENS1_29reduce_by_key_config_selectorIiiN6thrust23THRUST_200600_302600_NS4plusIiEEEEZZNS1_33reduce_by_key_impl_wrapped_configILNS1_25lookback_scan_determinismE0ES3_S9_NS6_10device_ptrIiEESD_SD_SD_PmS8_NS6_8equal_toIiEEEE10hipError_tPvRmT2_T3_mT4_T5_T6_T7_T8_P12ihipStream_tbENKUlT_T0_E_clISt17integral_constantIbLb0EESX_IbLb1EEEEDaST_SU_EUlST_E_NS1_11comp_targetILNS1_3genE8ELNS1_11target_archE1030ELNS1_3gpuE2ELNS1_3repE0EEENS1_30default_config_static_selectorELNS0_4arch9wavefront6targetE0EEEvT1_: ; @_ZN7rocprim17ROCPRIM_400000_NS6detail17trampoline_kernelINS0_14default_configENS1_29reduce_by_key_config_selectorIiiN6thrust23THRUST_200600_302600_NS4plusIiEEEEZZNS1_33reduce_by_key_impl_wrapped_configILNS1_25lookback_scan_determinismE0ES3_S9_NS6_10device_ptrIiEESD_SD_SD_PmS8_NS6_8equal_toIiEEEE10hipError_tPvRmT2_T3_mT4_T5_T6_T7_T8_P12ihipStream_tbENKUlT_T0_E_clISt17integral_constantIbLb0EESX_IbLb1EEEEDaST_SU_EUlST_E_NS1_11comp_targetILNS1_3genE8ELNS1_11target_archE1030ELNS1_3gpuE2ELNS1_3repE0EEENS1_30default_config_static_selectorELNS0_4arch9wavefront6targetE0EEEvT1_
; %bb.0:
	.section	.rodata,"a",@progbits
	.p2align	6, 0x0
	.amdhsa_kernel _ZN7rocprim17ROCPRIM_400000_NS6detail17trampoline_kernelINS0_14default_configENS1_29reduce_by_key_config_selectorIiiN6thrust23THRUST_200600_302600_NS4plusIiEEEEZZNS1_33reduce_by_key_impl_wrapped_configILNS1_25lookback_scan_determinismE0ES3_S9_NS6_10device_ptrIiEESD_SD_SD_PmS8_NS6_8equal_toIiEEEE10hipError_tPvRmT2_T3_mT4_T5_T6_T7_T8_P12ihipStream_tbENKUlT_T0_E_clISt17integral_constantIbLb0EESX_IbLb1EEEEDaST_SU_EUlST_E_NS1_11comp_targetILNS1_3genE8ELNS1_11target_archE1030ELNS1_3gpuE2ELNS1_3repE0EEENS1_30default_config_static_selectorELNS0_4arch9wavefront6targetE0EEEvT1_
		.amdhsa_group_segment_fixed_size 0
		.amdhsa_private_segment_fixed_size 0
		.amdhsa_kernarg_size 120
		.amdhsa_user_sgpr_count 15
		.amdhsa_user_sgpr_dispatch_ptr 0
		.amdhsa_user_sgpr_queue_ptr 0
		.amdhsa_user_sgpr_kernarg_segment_ptr 1
		.amdhsa_user_sgpr_dispatch_id 0
		.amdhsa_user_sgpr_private_segment_size 0
		.amdhsa_wavefront_size32 1
		.amdhsa_uses_dynamic_stack 0
		.amdhsa_enable_private_segment 0
		.amdhsa_system_sgpr_workgroup_id_x 1
		.amdhsa_system_sgpr_workgroup_id_y 0
		.amdhsa_system_sgpr_workgroup_id_z 0
		.amdhsa_system_sgpr_workgroup_info 0
		.amdhsa_system_vgpr_workitem_id 0
		.amdhsa_next_free_vgpr 1
		.amdhsa_next_free_sgpr 1
		.amdhsa_reserve_vcc 0
		.amdhsa_float_round_mode_32 0
		.amdhsa_float_round_mode_16_64 0
		.amdhsa_float_denorm_mode_32 3
		.amdhsa_float_denorm_mode_16_64 3
		.amdhsa_dx10_clamp 1
		.amdhsa_ieee_mode 1
		.amdhsa_fp16_overflow 0
		.amdhsa_workgroup_processor_mode 1
		.amdhsa_memory_ordered 1
		.amdhsa_forward_progress 0
		.amdhsa_shared_vgpr_count 0
		.amdhsa_exception_fp_ieee_invalid_op 0
		.amdhsa_exception_fp_denorm_src 0
		.amdhsa_exception_fp_ieee_div_zero 0
		.amdhsa_exception_fp_ieee_overflow 0
		.amdhsa_exception_fp_ieee_underflow 0
		.amdhsa_exception_fp_ieee_inexact 0
		.amdhsa_exception_int_div_zero 0
	.end_amdhsa_kernel
	.section	.text._ZN7rocprim17ROCPRIM_400000_NS6detail17trampoline_kernelINS0_14default_configENS1_29reduce_by_key_config_selectorIiiN6thrust23THRUST_200600_302600_NS4plusIiEEEEZZNS1_33reduce_by_key_impl_wrapped_configILNS1_25lookback_scan_determinismE0ES3_S9_NS6_10device_ptrIiEESD_SD_SD_PmS8_NS6_8equal_toIiEEEE10hipError_tPvRmT2_T3_mT4_T5_T6_T7_T8_P12ihipStream_tbENKUlT_T0_E_clISt17integral_constantIbLb0EESX_IbLb1EEEEDaST_SU_EUlST_E_NS1_11comp_targetILNS1_3genE8ELNS1_11target_archE1030ELNS1_3gpuE2ELNS1_3repE0EEENS1_30default_config_static_selectorELNS0_4arch9wavefront6targetE0EEEvT1_,"axG",@progbits,_ZN7rocprim17ROCPRIM_400000_NS6detail17trampoline_kernelINS0_14default_configENS1_29reduce_by_key_config_selectorIiiN6thrust23THRUST_200600_302600_NS4plusIiEEEEZZNS1_33reduce_by_key_impl_wrapped_configILNS1_25lookback_scan_determinismE0ES3_S9_NS6_10device_ptrIiEESD_SD_SD_PmS8_NS6_8equal_toIiEEEE10hipError_tPvRmT2_T3_mT4_T5_T6_T7_T8_P12ihipStream_tbENKUlT_T0_E_clISt17integral_constantIbLb0EESX_IbLb1EEEEDaST_SU_EUlST_E_NS1_11comp_targetILNS1_3genE8ELNS1_11target_archE1030ELNS1_3gpuE2ELNS1_3repE0EEENS1_30default_config_static_selectorELNS0_4arch9wavefront6targetE0EEEvT1_,comdat
.Lfunc_end1129:
	.size	_ZN7rocprim17ROCPRIM_400000_NS6detail17trampoline_kernelINS0_14default_configENS1_29reduce_by_key_config_selectorIiiN6thrust23THRUST_200600_302600_NS4plusIiEEEEZZNS1_33reduce_by_key_impl_wrapped_configILNS1_25lookback_scan_determinismE0ES3_S9_NS6_10device_ptrIiEESD_SD_SD_PmS8_NS6_8equal_toIiEEEE10hipError_tPvRmT2_T3_mT4_T5_T6_T7_T8_P12ihipStream_tbENKUlT_T0_E_clISt17integral_constantIbLb0EESX_IbLb1EEEEDaST_SU_EUlST_E_NS1_11comp_targetILNS1_3genE8ELNS1_11target_archE1030ELNS1_3gpuE2ELNS1_3repE0EEENS1_30default_config_static_selectorELNS0_4arch9wavefront6targetE0EEEvT1_, .Lfunc_end1129-_ZN7rocprim17ROCPRIM_400000_NS6detail17trampoline_kernelINS0_14default_configENS1_29reduce_by_key_config_selectorIiiN6thrust23THRUST_200600_302600_NS4plusIiEEEEZZNS1_33reduce_by_key_impl_wrapped_configILNS1_25lookback_scan_determinismE0ES3_S9_NS6_10device_ptrIiEESD_SD_SD_PmS8_NS6_8equal_toIiEEEE10hipError_tPvRmT2_T3_mT4_T5_T6_T7_T8_P12ihipStream_tbENKUlT_T0_E_clISt17integral_constantIbLb0EESX_IbLb1EEEEDaST_SU_EUlST_E_NS1_11comp_targetILNS1_3genE8ELNS1_11target_archE1030ELNS1_3gpuE2ELNS1_3repE0EEENS1_30default_config_static_selectorELNS0_4arch9wavefront6targetE0EEEvT1_
                                        ; -- End function
	.section	.AMDGPU.csdata,"",@progbits
; Kernel info:
; codeLenInByte = 0
; NumSgprs: 0
; NumVgprs: 0
; ScratchSize: 0
; MemoryBound: 0
; FloatMode: 240
; IeeeMode: 1
; LDSByteSize: 0 bytes/workgroup (compile time only)
; SGPRBlocks: 0
; VGPRBlocks: 0
; NumSGPRsForWavesPerEU: 1
; NumVGPRsForWavesPerEU: 1
; Occupancy: 16
; WaveLimiterHint : 0
; COMPUTE_PGM_RSRC2:SCRATCH_EN: 0
; COMPUTE_PGM_RSRC2:USER_SGPR: 15
; COMPUTE_PGM_RSRC2:TRAP_HANDLER: 0
; COMPUTE_PGM_RSRC2:TGID_X_EN: 1
; COMPUTE_PGM_RSRC2:TGID_Y_EN: 0
; COMPUTE_PGM_RSRC2:TGID_Z_EN: 0
; COMPUTE_PGM_RSRC2:TIDIG_COMP_CNT: 0
	.section	.text._ZN6thrust23THRUST_200600_302600_NS11hip_rocprim14__parallel_for6kernelILj256ENS1_20__uninitialized_fill7functorINS0_10device_ptrIlEElEEmLj1EEEvT0_T1_SA_,"axG",@progbits,_ZN6thrust23THRUST_200600_302600_NS11hip_rocprim14__parallel_for6kernelILj256ENS1_20__uninitialized_fill7functorINS0_10device_ptrIlEElEEmLj1EEEvT0_T1_SA_,comdat
	.protected	_ZN6thrust23THRUST_200600_302600_NS11hip_rocprim14__parallel_for6kernelILj256ENS1_20__uninitialized_fill7functorINS0_10device_ptrIlEElEEmLj1EEEvT0_T1_SA_ ; -- Begin function _ZN6thrust23THRUST_200600_302600_NS11hip_rocprim14__parallel_for6kernelILj256ENS1_20__uninitialized_fill7functorINS0_10device_ptrIlEElEEmLj1EEEvT0_T1_SA_
	.globl	_ZN6thrust23THRUST_200600_302600_NS11hip_rocprim14__parallel_for6kernelILj256ENS1_20__uninitialized_fill7functorINS0_10device_ptrIlEElEEmLj1EEEvT0_T1_SA_
	.p2align	8
	.type	_ZN6thrust23THRUST_200600_302600_NS11hip_rocprim14__parallel_for6kernelILj256ENS1_20__uninitialized_fill7functorINS0_10device_ptrIlEElEEmLj1EEEvT0_T1_SA_,@function
_ZN6thrust23THRUST_200600_302600_NS11hip_rocprim14__parallel_for6kernelILj256ENS1_20__uninitialized_fill7functorINS0_10device_ptrIlEElEEmLj1EEEvT0_T1_SA_: ; @_ZN6thrust23THRUST_200600_302600_NS11hip_rocprim14__parallel_for6kernelILj256ENS1_20__uninitialized_fill7functorINS0_10device_ptrIlEElEEmLj1EEEvT0_T1_SA_
; %bb.0:
	s_load_b256 s[0:7], s[0:1], 0x0
	s_lshl_b32 s8, s15, 8
	s_waitcnt lgkmcnt(0)
	s_add_u32 s6, s8, s6
	s_addc_u32 s7, 0, s7
	s_sub_u32 s4, s4, s6
	s_subb_u32 s5, s5, s7
	s_delay_alu instid0(SALU_CYCLE_1) | instskip(NEXT) | instid1(VALU_DEP_1)
	v_cmp_gt_u64_e64 s5, 0x100, s[4:5]
	s_and_b32 vcc_lo, exec_lo, s5
	s_mov_b32 s5, 0
	s_cbranch_vccz .LBB1130_2
; %bb.1:
	v_cmp_gt_u32_e32 vcc_lo, s4, v0
	s_and_b32 s5, vcc_lo, exec_lo
	s_cbranch_execz .LBB1130_3
	s_branch .LBB1130_4
.LBB1130_2:
.LBB1130_3:
	s_or_b32 s5, s5, exec_lo
.LBB1130_4:
	s_delay_alu instid0(SALU_CYCLE_1)
	s_and_saveexec_b32 s4, s5
	s_cbranch_execnz .LBB1130_6
; %bb.5:
	s_endpgm
.LBB1130_6:
	v_dual_mov_b32 v1, 0 :: v_dual_mov_b32 v2, s2
	s_lshl_b64 s[4:5], s[6:7], 3
	v_mov_b32_e32 v3, s3
	s_add_u32 s0, s0, s4
	s_delay_alu instid0(VALU_DEP_2) | instskip(SKIP_1) | instid1(VALU_DEP_1)
	v_lshlrev_b64 v[0:1], 3, v[0:1]
	s_addc_u32 s1, s1, s5
	v_add_co_u32 v0, vcc_lo, s0, v0
	s_delay_alu instid0(VALU_DEP_2)
	v_add_co_ci_u32_e32 v1, vcc_lo, s1, v1, vcc_lo
	flat_store_b64 v[0:1], v[2:3]
	s_endpgm
	.section	.rodata,"a",@progbits
	.p2align	6, 0x0
	.amdhsa_kernel _ZN6thrust23THRUST_200600_302600_NS11hip_rocprim14__parallel_for6kernelILj256ENS1_20__uninitialized_fill7functorINS0_10device_ptrIlEElEEmLj1EEEvT0_T1_SA_
		.amdhsa_group_segment_fixed_size 0
		.amdhsa_private_segment_fixed_size 0
		.amdhsa_kernarg_size 32
		.amdhsa_user_sgpr_count 15
		.amdhsa_user_sgpr_dispatch_ptr 0
		.amdhsa_user_sgpr_queue_ptr 0
		.amdhsa_user_sgpr_kernarg_segment_ptr 1
		.amdhsa_user_sgpr_dispatch_id 0
		.amdhsa_user_sgpr_private_segment_size 0
		.amdhsa_wavefront_size32 1
		.amdhsa_uses_dynamic_stack 0
		.amdhsa_enable_private_segment 0
		.amdhsa_system_sgpr_workgroup_id_x 1
		.amdhsa_system_sgpr_workgroup_id_y 0
		.amdhsa_system_sgpr_workgroup_id_z 0
		.amdhsa_system_sgpr_workgroup_info 0
		.amdhsa_system_vgpr_workitem_id 0
		.amdhsa_next_free_vgpr 4
		.amdhsa_next_free_sgpr 16
		.amdhsa_reserve_vcc 1
		.amdhsa_float_round_mode_32 0
		.amdhsa_float_round_mode_16_64 0
		.amdhsa_float_denorm_mode_32 3
		.amdhsa_float_denorm_mode_16_64 3
		.amdhsa_dx10_clamp 1
		.amdhsa_ieee_mode 1
		.amdhsa_fp16_overflow 0
		.amdhsa_workgroup_processor_mode 1
		.amdhsa_memory_ordered 1
		.amdhsa_forward_progress 0
		.amdhsa_shared_vgpr_count 0
		.amdhsa_exception_fp_ieee_invalid_op 0
		.amdhsa_exception_fp_denorm_src 0
		.amdhsa_exception_fp_ieee_div_zero 0
		.amdhsa_exception_fp_ieee_overflow 0
		.amdhsa_exception_fp_ieee_underflow 0
		.amdhsa_exception_fp_ieee_inexact 0
		.amdhsa_exception_int_div_zero 0
	.end_amdhsa_kernel
	.section	.text._ZN6thrust23THRUST_200600_302600_NS11hip_rocprim14__parallel_for6kernelILj256ENS1_20__uninitialized_fill7functorINS0_10device_ptrIlEElEEmLj1EEEvT0_T1_SA_,"axG",@progbits,_ZN6thrust23THRUST_200600_302600_NS11hip_rocprim14__parallel_for6kernelILj256ENS1_20__uninitialized_fill7functorINS0_10device_ptrIlEElEEmLj1EEEvT0_T1_SA_,comdat
.Lfunc_end1130:
	.size	_ZN6thrust23THRUST_200600_302600_NS11hip_rocprim14__parallel_for6kernelILj256ENS1_20__uninitialized_fill7functorINS0_10device_ptrIlEElEEmLj1EEEvT0_T1_SA_, .Lfunc_end1130-_ZN6thrust23THRUST_200600_302600_NS11hip_rocprim14__parallel_for6kernelILj256ENS1_20__uninitialized_fill7functorINS0_10device_ptrIlEElEEmLj1EEEvT0_T1_SA_
                                        ; -- End function
	.section	.AMDGPU.csdata,"",@progbits
; Kernel info:
; codeLenInByte = 160
; NumSgprs: 18
; NumVgprs: 4
; ScratchSize: 0
; MemoryBound: 0
; FloatMode: 240
; IeeeMode: 1
; LDSByteSize: 0 bytes/workgroup (compile time only)
; SGPRBlocks: 2
; VGPRBlocks: 0
; NumSGPRsForWavesPerEU: 18
; NumVGPRsForWavesPerEU: 4
; Occupancy: 16
; WaveLimiterHint : 0
; COMPUTE_PGM_RSRC2:SCRATCH_EN: 0
; COMPUTE_PGM_RSRC2:USER_SGPR: 15
; COMPUTE_PGM_RSRC2:TRAP_HANDLER: 0
; COMPUTE_PGM_RSRC2:TGID_X_EN: 1
; COMPUTE_PGM_RSRC2:TGID_Y_EN: 0
; COMPUTE_PGM_RSRC2:TGID_Z_EN: 0
; COMPUTE_PGM_RSRC2:TIDIG_COMP_CNT: 0
	.section	.text._ZN7rocprim17ROCPRIM_400000_NS6detail25reduce_by_key_init_kernelINS1_19lookback_scan_stateINS0_5tupleIJjlEEELb0ELb0EEElNS1_16block_id_wrapperIjLb0EEEEEvT_jbjPmPT0_T1_,"axG",@progbits,_ZN7rocprim17ROCPRIM_400000_NS6detail25reduce_by_key_init_kernelINS1_19lookback_scan_stateINS0_5tupleIJjlEEELb0ELb0EEElNS1_16block_id_wrapperIjLb0EEEEEvT_jbjPmPT0_T1_,comdat
	.protected	_ZN7rocprim17ROCPRIM_400000_NS6detail25reduce_by_key_init_kernelINS1_19lookback_scan_stateINS0_5tupleIJjlEEELb0ELb0EEElNS1_16block_id_wrapperIjLb0EEEEEvT_jbjPmPT0_T1_ ; -- Begin function _ZN7rocprim17ROCPRIM_400000_NS6detail25reduce_by_key_init_kernelINS1_19lookback_scan_stateINS0_5tupleIJjlEEELb0ELb0EEElNS1_16block_id_wrapperIjLb0EEEEEvT_jbjPmPT0_T1_
	.globl	_ZN7rocprim17ROCPRIM_400000_NS6detail25reduce_by_key_init_kernelINS1_19lookback_scan_stateINS0_5tupleIJjlEEELb0ELb0EEElNS1_16block_id_wrapperIjLb0EEEEEvT_jbjPmPT0_T1_
	.p2align	8
	.type	_ZN7rocprim17ROCPRIM_400000_NS6detail25reduce_by_key_init_kernelINS1_19lookback_scan_stateINS0_5tupleIJjlEEELb0ELb0EEElNS1_16block_id_wrapperIjLb0EEEEEvT_jbjPmPT0_T1_,@function
_ZN7rocprim17ROCPRIM_400000_NS6detail25reduce_by_key_init_kernelINS1_19lookback_scan_stateINS0_5tupleIJjlEEELb0ELb0EEElNS1_16block_id_wrapperIjLb0EEEEEvT_jbjPmPT0_T1_: ; @_ZN7rocprim17ROCPRIM_400000_NS6detail25reduce_by_key_init_kernelINS1_19lookback_scan_stateINS0_5tupleIJjlEEELb0ELb0EEElNS1_16block_id_wrapperIjLb0EEEEEvT_jbjPmPT0_T1_
; %bb.0:
	s_clause 0x2
	s_load_b32 s2, s[0:1], 0x4c
	s_load_b256 s[4:11], s[0:1], 0x18
	s_load_b64 s[12:13], s[0:1], 0x10
	s_waitcnt lgkmcnt(0)
	s_and_b32 s2, s2, 0xffff
	s_delay_alu instid0(SALU_CYCLE_1) | instskip(SKIP_1) | instid1(SALU_CYCLE_1)
	v_mad_u64_u32 v[1:2], null, s15, s2, v[0:1]
	s_and_b32 s2, s5, 1
	s_cmp_eq_u32 s2, 0
	s_mov_b32 s2, -1
	s_cbranch_scc1 .LBB1131_7
; %bb.1:
	s_and_not1_b32 vcc_lo, exec_lo, s2
	s_cbranch_vccz .LBB1131_13
.LBB1131_2:
	s_mov_b32 s0, exec_lo
	v_cmpx_gt_u32_e64 s4, v1
	s_cbranch_execz .LBB1131_4
.LBB1131_3:
	v_add_nc_u32_e32 v0, 32, v1
	v_mov_b32_e32 v2, 0
	global_store_b8 v0, v2, s[12:13]
.LBB1131_4:
	s_or_b32 exec_lo, exec_lo, s0
	s_delay_alu instid0(SALU_CYCLE_1)
	s_mov_b32 s0, exec_lo
	v_cmpx_gt_u32_e32 32, v1
	s_cbranch_execz .LBB1131_6
; %bb.5:
	v_mov_b32_e32 v0, 0xff
	global_store_b8 v1, v0, s[12:13]
.LBB1131_6:
	s_nop 0
	s_sendmsg sendmsg(MSG_DEALLOC_VGPRS)
	s_endpgm
.LBB1131_7:
	s_cmp_lt_u32 s6, s4
	s_mov_b32 s5, exec_lo
	s_cselect_b32 s2, s6, 0
	s_delay_alu instid0(SALU_CYCLE_1)
	v_cmpx_eq_u32_e64 s2, v1
	s_cbranch_execz .LBB1131_12
; %bb.8:
	s_add_i32 s6, s6, 32
	s_load_b128 s[0:3], s[0:1], 0x0
	v_mov_b32_e32 v0, s6
	s_add_u32 s14, s12, s6
	s_addc_u32 s15, s13, 0
	s_mov_b32 s7, 0
	global_load_u8 v0, v0, s[12:13] glc
	s_waitcnt vmcnt(0)
	v_cmp_ne_u16_e32 vcc_lo, 0, v0
	v_readfirstlane_b32 s16, v0
	s_cbranch_vccnz .LBB1131_11
; %bb.9:
	v_mov_b32_e32 v0, 0
.LBB1131_10:                            ; =>This Inner Loop Header: Depth=1
	global_load_u8 v2, v0, s[14:15] glc
	s_waitcnt vmcnt(0)
	v_cmp_eq_u16_e32 vcc_lo, 0, v2
	v_readfirstlane_b32 s16, v2
	s_cbranch_vccnz .LBB1131_10
.LBB1131_11:
	s_delay_alu instid0(VALU_DEP_1)
	s_and_b32 s14, 0xffff, s16
	v_mov_b32_e32 v0, 0
	s_cmp_eq_u32 s14, 1
	s_waitcnt lgkmcnt(0)
	buffer_gl1_inv
	buffer_gl0_inv
	s_cselect_b32 s3, s1, s3
	s_cselect_b32 s2, s0, s2
	s_lshl_b64 s[0:1], s[6:7], 4
	s_delay_alu instid0(SALU_CYCLE_1)
	s_add_u32 s0, s2, s0
	s_addc_u32 s1, s3, s1
	s_clause 0x2
	global_load_b64 v[2:3], v0, s[8:9]
	global_load_b32 v6, v0, s[0:1]
	global_load_b64 v[4:5], v0, s[0:1] offset:8
	s_waitcnt vmcnt(1)
	v_add_co_u32 v2, vcc_lo, v2, v6
	v_add_co_ci_u32_e32 v3, vcc_lo, 0, v3, vcc_lo
	global_store_b64 v0, v[2:3], s[8:9]
	s_waitcnt vmcnt(0)
	global_store_b64 v0, v[4:5], s[10:11]
.LBB1131_12:
	s_or_b32 exec_lo, exec_lo, s5
	s_cbranch_execnz .LBB1131_2
.LBB1131_13:
	s_delay_alu instid0(VALU_DEP_1) | instskip(SKIP_2) | instid1(SALU_CYCLE_1)
	v_cmp_eq_u32_e32 vcc_lo, 0, v1
	s_cmp_lg_u64 s[8:9], 0
	s_cselect_b32 s0, -1, 0
	s_and_b32 s1, s0, vcc_lo
	s_delay_alu instid0(SALU_CYCLE_1)
	s_and_saveexec_b32 s0, s1
	s_cbranch_execz .LBB1131_15
; %bb.14:
	v_mov_b32_e32 v2, 0
	s_delay_alu instid0(VALU_DEP_1)
	v_mov_b32_e32 v3, v2
	global_store_b64 v2, v[2:3], s[8:9]
.LBB1131_15:
	s_or_b32 exec_lo, exec_lo, s0
	s_delay_alu instid0(SALU_CYCLE_1)
	s_mov_b32 s0, exec_lo
	v_cmpx_gt_u32_e64 s4, v1
	s_cbranch_execnz .LBB1131_3
	s_branch .LBB1131_4
	.section	.rodata,"a",@progbits
	.p2align	6, 0x0
	.amdhsa_kernel _ZN7rocprim17ROCPRIM_400000_NS6detail25reduce_by_key_init_kernelINS1_19lookback_scan_stateINS0_5tupleIJjlEEELb0ELb0EEElNS1_16block_id_wrapperIjLb0EEEEEvT_jbjPmPT0_T1_
		.amdhsa_group_segment_fixed_size 0
		.amdhsa_private_segment_fixed_size 0
		.amdhsa_kernarg_size 320
		.amdhsa_user_sgpr_count 15
		.amdhsa_user_sgpr_dispatch_ptr 0
		.amdhsa_user_sgpr_queue_ptr 0
		.amdhsa_user_sgpr_kernarg_segment_ptr 1
		.amdhsa_user_sgpr_dispatch_id 0
		.amdhsa_user_sgpr_private_segment_size 0
		.amdhsa_wavefront_size32 1
		.amdhsa_uses_dynamic_stack 0
		.amdhsa_enable_private_segment 0
		.amdhsa_system_sgpr_workgroup_id_x 1
		.amdhsa_system_sgpr_workgroup_id_y 0
		.amdhsa_system_sgpr_workgroup_id_z 0
		.amdhsa_system_sgpr_workgroup_info 0
		.amdhsa_system_vgpr_workitem_id 0
		.amdhsa_next_free_vgpr 7
		.amdhsa_next_free_sgpr 17
		.amdhsa_reserve_vcc 1
		.amdhsa_float_round_mode_32 0
		.amdhsa_float_round_mode_16_64 0
		.amdhsa_float_denorm_mode_32 3
		.amdhsa_float_denorm_mode_16_64 3
		.amdhsa_dx10_clamp 1
		.amdhsa_ieee_mode 1
		.amdhsa_fp16_overflow 0
		.amdhsa_workgroup_processor_mode 1
		.amdhsa_memory_ordered 1
		.amdhsa_forward_progress 0
		.amdhsa_shared_vgpr_count 0
		.amdhsa_exception_fp_ieee_invalid_op 0
		.amdhsa_exception_fp_denorm_src 0
		.amdhsa_exception_fp_ieee_div_zero 0
		.amdhsa_exception_fp_ieee_overflow 0
		.amdhsa_exception_fp_ieee_underflow 0
		.amdhsa_exception_fp_ieee_inexact 0
		.amdhsa_exception_int_div_zero 0
	.end_amdhsa_kernel
	.section	.text._ZN7rocprim17ROCPRIM_400000_NS6detail25reduce_by_key_init_kernelINS1_19lookback_scan_stateINS0_5tupleIJjlEEELb0ELb0EEElNS1_16block_id_wrapperIjLb0EEEEEvT_jbjPmPT0_T1_,"axG",@progbits,_ZN7rocprim17ROCPRIM_400000_NS6detail25reduce_by_key_init_kernelINS1_19lookback_scan_stateINS0_5tupleIJjlEEELb0ELb0EEElNS1_16block_id_wrapperIjLb0EEEEEvT_jbjPmPT0_T1_,comdat
.Lfunc_end1131:
	.size	_ZN7rocprim17ROCPRIM_400000_NS6detail25reduce_by_key_init_kernelINS1_19lookback_scan_stateINS0_5tupleIJjlEEELb0ELb0EEElNS1_16block_id_wrapperIjLb0EEEEEvT_jbjPmPT0_T1_, .Lfunc_end1131-_ZN7rocprim17ROCPRIM_400000_NS6detail25reduce_by_key_init_kernelINS1_19lookback_scan_stateINS0_5tupleIJjlEEELb0ELb0EEElNS1_16block_id_wrapperIjLb0EEEEEvT_jbjPmPT0_T1_
                                        ; -- End function
	.section	.AMDGPU.csdata,"",@progbits
; Kernel info:
; codeLenInByte = 480
; NumSgprs: 19
; NumVgprs: 7
; ScratchSize: 0
; MemoryBound: 0
; FloatMode: 240
; IeeeMode: 1
; LDSByteSize: 0 bytes/workgroup (compile time only)
; SGPRBlocks: 2
; VGPRBlocks: 0
; NumSGPRsForWavesPerEU: 19
; NumVGPRsForWavesPerEU: 7
; Occupancy: 16
; WaveLimiterHint : 0
; COMPUTE_PGM_RSRC2:SCRATCH_EN: 0
; COMPUTE_PGM_RSRC2:USER_SGPR: 15
; COMPUTE_PGM_RSRC2:TRAP_HANDLER: 0
; COMPUTE_PGM_RSRC2:TGID_X_EN: 1
; COMPUTE_PGM_RSRC2:TGID_Y_EN: 0
; COMPUTE_PGM_RSRC2:TGID_Z_EN: 0
; COMPUTE_PGM_RSRC2:TIDIG_COMP_CNT: 0
	.section	.text._ZN7rocprim17ROCPRIM_400000_NS6detail17trampoline_kernelINS0_14default_configENS1_29reduce_by_key_config_selectorIllN6thrust23THRUST_200600_302600_NS4plusIlEEEEZZNS1_33reduce_by_key_impl_wrapped_configILNS1_25lookback_scan_determinismE0ES3_S9_NS6_18transform_iteratorI6div_opNS6_17counting_iteratorIlNS6_11use_defaultESF_SF_EESF_SF_EENSC_I6mod_opSG_SF_SF_EENS6_6detail15normal_iteratorINS6_10device_ptrIlEEEESO_PmS8_NS6_8equal_toIlEEEE10hipError_tPvRmT2_T3_mT4_T5_T6_T7_T8_P12ihipStream_tbENKUlT_T0_E_clISt17integral_constantIbLb0EES19_EEDaS14_S15_EUlS14_E_NS1_11comp_targetILNS1_3genE0ELNS1_11target_archE4294967295ELNS1_3gpuE0ELNS1_3repE0EEENS1_30default_config_static_selectorELNS0_4arch9wavefront6targetE0EEEvT1_,"axG",@progbits,_ZN7rocprim17ROCPRIM_400000_NS6detail17trampoline_kernelINS0_14default_configENS1_29reduce_by_key_config_selectorIllN6thrust23THRUST_200600_302600_NS4plusIlEEEEZZNS1_33reduce_by_key_impl_wrapped_configILNS1_25lookback_scan_determinismE0ES3_S9_NS6_18transform_iteratorI6div_opNS6_17counting_iteratorIlNS6_11use_defaultESF_SF_EESF_SF_EENSC_I6mod_opSG_SF_SF_EENS6_6detail15normal_iteratorINS6_10device_ptrIlEEEESO_PmS8_NS6_8equal_toIlEEEE10hipError_tPvRmT2_T3_mT4_T5_T6_T7_T8_P12ihipStream_tbENKUlT_T0_E_clISt17integral_constantIbLb0EES19_EEDaS14_S15_EUlS14_E_NS1_11comp_targetILNS1_3genE0ELNS1_11target_archE4294967295ELNS1_3gpuE0ELNS1_3repE0EEENS1_30default_config_static_selectorELNS0_4arch9wavefront6targetE0EEEvT1_,comdat
	.protected	_ZN7rocprim17ROCPRIM_400000_NS6detail17trampoline_kernelINS0_14default_configENS1_29reduce_by_key_config_selectorIllN6thrust23THRUST_200600_302600_NS4plusIlEEEEZZNS1_33reduce_by_key_impl_wrapped_configILNS1_25lookback_scan_determinismE0ES3_S9_NS6_18transform_iteratorI6div_opNS6_17counting_iteratorIlNS6_11use_defaultESF_SF_EESF_SF_EENSC_I6mod_opSG_SF_SF_EENS6_6detail15normal_iteratorINS6_10device_ptrIlEEEESO_PmS8_NS6_8equal_toIlEEEE10hipError_tPvRmT2_T3_mT4_T5_T6_T7_T8_P12ihipStream_tbENKUlT_T0_E_clISt17integral_constantIbLb0EES19_EEDaS14_S15_EUlS14_E_NS1_11comp_targetILNS1_3genE0ELNS1_11target_archE4294967295ELNS1_3gpuE0ELNS1_3repE0EEENS1_30default_config_static_selectorELNS0_4arch9wavefront6targetE0EEEvT1_ ; -- Begin function _ZN7rocprim17ROCPRIM_400000_NS6detail17trampoline_kernelINS0_14default_configENS1_29reduce_by_key_config_selectorIllN6thrust23THRUST_200600_302600_NS4plusIlEEEEZZNS1_33reduce_by_key_impl_wrapped_configILNS1_25lookback_scan_determinismE0ES3_S9_NS6_18transform_iteratorI6div_opNS6_17counting_iteratorIlNS6_11use_defaultESF_SF_EESF_SF_EENSC_I6mod_opSG_SF_SF_EENS6_6detail15normal_iteratorINS6_10device_ptrIlEEEESO_PmS8_NS6_8equal_toIlEEEE10hipError_tPvRmT2_T3_mT4_T5_T6_T7_T8_P12ihipStream_tbENKUlT_T0_E_clISt17integral_constantIbLb0EES19_EEDaS14_S15_EUlS14_E_NS1_11comp_targetILNS1_3genE0ELNS1_11target_archE4294967295ELNS1_3gpuE0ELNS1_3repE0EEENS1_30default_config_static_selectorELNS0_4arch9wavefront6targetE0EEEvT1_
	.globl	_ZN7rocprim17ROCPRIM_400000_NS6detail17trampoline_kernelINS0_14default_configENS1_29reduce_by_key_config_selectorIllN6thrust23THRUST_200600_302600_NS4plusIlEEEEZZNS1_33reduce_by_key_impl_wrapped_configILNS1_25lookback_scan_determinismE0ES3_S9_NS6_18transform_iteratorI6div_opNS6_17counting_iteratorIlNS6_11use_defaultESF_SF_EESF_SF_EENSC_I6mod_opSG_SF_SF_EENS6_6detail15normal_iteratorINS6_10device_ptrIlEEEESO_PmS8_NS6_8equal_toIlEEEE10hipError_tPvRmT2_T3_mT4_T5_T6_T7_T8_P12ihipStream_tbENKUlT_T0_E_clISt17integral_constantIbLb0EES19_EEDaS14_S15_EUlS14_E_NS1_11comp_targetILNS1_3genE0ELNS1_11target_archE4294967295ELNS1_3gpuE0ELNS1_3repE0EEENS1_30default_config_static_selectorELNS0_4arch9wavefront6targetE0EEEvT1_
	.p2align	8
	.type	_ZN7rocprim17ROCPRIM_400000_NS6detail17trampoline_kernelINS0_14default_configENS1_29reduce_by_key_config_selectorIllN6thrust23THRUST_200600_302600_NS4plusIlEEEEZZNS1_33reduce_by_key_impl_wrapped_configILNS1_25lookback_scan_determinismE0ES3_S9_NS6_18transform_iteratorI6div_opNS6_17counting_iteratorIlNS6_11use_defaultESF_SF_EESF_SF_EENSC_I6mod_opSG_SF_SF_EENS6_6detail15normal_iteratorINS6_10device_ptrIlEEEESO_PmS8_NS6_8equal_toIlEEEE10hipError_tPvRmT2_T3_mT4_T5_T6_T7_T8_P12ihipStream_tbENKUlT_T0_E_clISt17integral_constantIbLb0EES19_EEDaS14_S15_EUlS14_E_NS1_11comp_targetILNS1_3genE0ELNS1_11target_archE4294967295ELNS1_3gpuE0ELNS1_3repE0EEENS1_30default_config_static_selectorELNS0_4arch9wavefront6targetE0EEEvT1_,@function
_ZN7rocprim17ROCPRIM_400000_NS6detail17trampoline_kernelINS0_14default_configENS1_29reduce_by_key_config_selectorIllN6thrust23THRUST_200600_302600_NS4plusIlEEEEZZNS1_33reduce_by_key_impl_wrapped_configILNS1_25lookback_scan_determinismE0ES3_S9_NS6_18transform_iteratorI6div_opNS6_17counting_iteratorIlNS6_11use_defaultESF_SF_EESF_SF_EENSC_I6mod_opSG_SF_SF_EENS6_6detail15normal_iteratorINS6_10device_ptrIlEEEESO_PmS8_NS6_8equal_toIlEEEE10hipError_tPvRmT2_T3_mT4_T5_T6_T7_T8_P12ihipStream_tbENKUlT_T0_E_clISt17integral_constantIbLb0EES19_EEDaS14_S15_EUlS14_E_NS1_11comp_targetILNS1_3genE0ELNS1_11target_archE4294967295ELNS1_3gpuE0ELNS1_3repE0EEENS1_30default_config_static_selectorELNS0_4arch9wavefront6targetE0EEEvT1_: ; @_ZN7rocprim17ROCPRIM_400000_NS6detail17trampoline_kernelINS0_14default_configENS1_29reduce_by_key_config_selectorIllN6thrust23THRUST_200600_302600_NS4plusIlEEEEZZNS1_33reduce_by_key_impl_wrapped_configILNS1_25lookback_scan_determinismE0ES3_S9_NS6_18transform_iteratorI6div_opNS6_17counting_iteratorIlNS6_11use_defaultESF_SF_EESF_SF_EENSC_I6mod_opSG_SF_SF_EENS6_6detail15normal_iteratorINS6_10device_ptrIlEEEESO_PmS8_NS6_8equal_toIlEEEE10hipError_tPvRmT2_T3_mT4_T5_T6_T7_T8_P12ihipStream_tbENKUlT_T0_E_clISt17integral_constantIbLb0EES19_EEDaS14_S15_EUlS14_E_NS1_11comp_targetILNS1_3genE0ELNS1_11target_archE4294967295ELNS1_3gpuE0ELNS1_3repE0EEENS1_30default_config_static_selectorELNS0_4arch9wavefront6targetE0EEEvT1_
; %bb.0:
	.section	.rodata,"a",@progbits
	.p2align	6, 0x0
	.amdhsa_kernel _ZN7rocprim17ROCPRIM_400000_NS6detail17trampoline_kernelINS0_14default_configENS1_29reduce_by_key_config_selectorIllN6thrust23THRUST_200600_302600_NS4plusIlEEEEZZNS1_33reduce_by_key_impl_wrapped_configILNS1_25lookback_scan_determinismE0ES3_S9_NS6_18transform_iteratorI6div_opNS6_17counting_iteratorIlNS6_11use_defaultESF_SF_EESF_SF_EENSC_I6mod_opSG_SF_SF_EENS6_6detail15normal_iteratorINS6_10device_ptrIlEEEESO_PmS8_NS6_8equal_toIlEEEE10hipError_tPvRmT2_T3_mT4_T5_T6_T7_T8_P12ihipStream_tbENKUlT_T0_E_clISt17integral_constantIbLb0EES19_EEDaS14_S15_EUlS14_E_NS1_11comp_targetILNS1_3genE0ELNS1_11target_archE4294967295ELNS1_3gpuE0ELNS1_3repE0EEENS1_30default_config_static_selectorELNS0_4arch9wavefront6targetE0EEEvT1_
		.amdhsa_group_segment_fixed_size 0
		.amdhsa_private_segment_fixed_size 0
		.amdhsa_kernarg_size 152
		.amdhsa_user_sgpr_count 15
		.amdhsa_user_sgpr_dispatch_ptr 0
		.amdhsa_user_sgpr_queue_ptr 0
		.amdhsa_user_sgpr_kernarg_segment_ptr 1
		.amdhsa_user_sgpr_dispatch_id 0
		.amdhsa_user_sgpr_private_segment_size 0
		.amdhsa_wavefront_size32 1
		.amdhsa_uses_dynamic_stack 0
		.amdhsa_enable_private_segment 0
		.amdhsa_system_sgpr_workgroup_id_x 1
		.amdhsa_system_sgpr_workgroup_id_y 0
		.amdhsa_system_sgpr_workgroup_id_z 0
		.amdhsa_system_sgpr_workgroup_info 0
		.amdhsa_system_vgpr_workitem_id 0
		.amdhsa_next_free_vgpr 1
		.amdhsa_next_free_sgpr 1
		.amdhsa_reserve_vcc 0
		.amdhsa_float_round_mode_32 0
		.amdhsa_float_round_mode_16_64 0
		.amdhsa_float_denorm_mode_32 3
		.amdhsa_float_denorm_mode_16_64 3
		.amdhsa_dx10_clamp 1
		.amdhsa_ieee_mode 1
		.amdhsa_fp16_overflow 0
		.amdhsa_workgroup_processor_mode 1
		.amdhsa_memory_ordered 1
		.amdhsa_forward_progress 0
		.amdhsa_shared_vgpr_count 0
		.amdhsa_exception_fp_ieee_invalid_op 0
		.amdhsa_exception_fp_denorm_src 0
		.amdhsa_exception_fp_ieee_div_zero 0
		.amdhsa_exception_fp_ieee_overflow 0
		.amdhsa_exception_fp_ieee_underflow 0
		.amdhsa_exception_fp_ieee_inexact 0
		.amdhsa_exception_int_div_zero 0
	.end_amdhsa_kernel
	.section	.text._ZN7rocprim17ROCPRIM_400000_NS6detail17trampoline_kernelINS0_14default_configENS1_29reduce_by_key_config_selectorIllN6thrust23THRUST_200600_302600_NS4plusIlEEEEZZNS1_33reduce_by_key_impl_wrapped_configILNS1_25lookback_scan_determinismE0ES3_S9_NS6_18transform_iteratorI6div_opNS6_17counting_iteratorIlNS6_11use_defaultESF_SF_EESF_SF_EENSC_I6mod_opSG_SF_SF_EENS6_6detail15normal_iteratorINS6_10device_ptrIlEEEESO_PmS8_NS6_8equal_toIlEEEE10hipError_tPvRmT2_T3_mT4_T5_T6_T7_T8_P12ihipStream_tbENKUlT_T0_E_clISt17integral_constantIbLb0EES19_EEDaS14_S15_EUlS14_E_NS1_11comp_targetILNS1_3genE0ELNS1_11target_archE4294967295ELNS1_3gpuE0ELNS1_3repE0EEENS1_30default_config_static_selectorELNS0_4arch9wavefront6targetE0EEEvT1_,"axG",@progbits,_ZN7rocprim17ROCPRIM_400000_NS6detail17trampoline_kernelINS0_14default_configENS1_29reduce_by_key_config_selectorIllN6thrust23THRUST_200600_302600_NS4plusIlEEEEZZNS1_33reduce_by_key_impl_wrapped_configILNS1_25lookback_scan_determinismE0ES3_S9_NS6_18transform_iteratorI6div_opNS6_17counting_iteratorIlNS6_11use_defaultESF_SF_EESF_SF_EENSC_I6mod_opSG_SF_SF_EENS6_6detail15normal_iteratorINS6_10device_ptrIlEEEESO_PmS8_NS6_8equal_toIlEEEE10hipError_tPvRmT2_T3_mT4_T5_T6_T7_T8_P12ihipStream_tbENKUlT_T0_E_clISt17integral_constantIbLb0EES19_EEDaS14_S15_EUlS14_E_NS1_11comp_targetILNS1_3genE0ELNS1_11target_archE4294967295ELNS1_3gpuE0ELNS1_3repE0EEENS1_30default_config_static_selectorELNS0_4arch9wavefront6targetE0EEEvT1_,comdat
.Lfunc_end1132:
	.size	_ZN7rocprim17ROCPRIM_400000_NS6detail17trampoline_kernelINS0_14default_configENS1_29reduce_by_key_config_selectorIllN6thrust23THRUST_200600_302600_NS4plusIlEEEEZZNS1_33reduce_by_key_impl_wrapped_configILNS1_25lookback_scan_determinismE0ES3_S9_NS6_18transform_iteratorI6div_opNS6_17counting_iteratorIlNS6_11use_defaultESF_SF_EESF_SF_EENSC_I6mod_opSG_SF_SF_EENS6_6detail15normal_iteratorINS6_10device_ptrIlEEEESO_PmS8_NS6_8equal_toIlEEEE10hipError_tPvRmT2_T3_mT4_T5_T6_T7_T8_P12ihipStream_tbENKUlT_T0_E_clISt17integral_constantIbLb0EES19_EEDaS14_S15_EUlS14_E_NS1_11comp_targetILNS1_3genE0ELNS1_11target_archE4294967295ELNS1_3gpuE0ELNS1_3repE0EEENS1_30default_config_static_selectorELNS0_4arch9wavefront6targetE0EEEvT1_, .Lfunc_end1132-_ZN7rocprim17ROCPRIM_400000_NS6detail17trampoline_kernelINS0_14default_configENS1_29reduce_by_key_config_selectorIllN6thrust23THRUST_200600_302600_NS4plusIlEEEEZZNS1_33reduce_by_key_impl_wrapped_configILNS1_25lookback_scan_determinismE0ES3_S9_NS6_18transform_iteratorI6div_opNS6_17counting_iteratorIlNS6_11use_defaultESF_SF_EESF_SF_EENSC_I6mod_opSG_SF_SF_EENS6_6detail15normal_iteratorINS6_10device_ptrIlEEEESO_PmS8_NS6_8equal_toIlEEEE10hipError_tPvRmT2_T3_mT4_T5_T6_T7_T8_P12ihipStream_tbENKUlT_T0_E_clISt17integral_constantIbLb0EES19_EEDaS14_S15_EUlS14_E_NS1_11comp_targetILNS1_3genE0ELNS1_11target_archE4294967295ELNS1_3gpuE0ELNS1_3repE0EEENS1_30default_config_static_selectorELNS0_4arch9wavefront6targetE0EEEvT1_
                                        ; -- End function
	.section	.AMDGPU.csdata,"",@progbits
; Kernel info:
; codeLenInByte = 0
; NumSgprs: 0
; NumVgprs: 0
; ScratchSize: 0
; MemoryBound: 0
; FloatMode: 240
; IeeeMode: 1
; LDSByteSize: 0 bytes/workgroup (compile time only)
; SGPRBlocks: 0
; VGPRBlocks: 0
; NumSGPRsForWavesPerEU: 1
; NumVGPRsForWavesPerEU: 1
; Occupancy: 16
; WaveLimiterHint : 0
; COMPUTE_PGM_RSRC2:SCRATCH_EN: 0
; COMPUTE_PGM_RSRC2:USER_SGPR: 15
; COMPUTE_PGM_RSRC2:TRAP_HANDLER: 0
; COMPUTE_PGM_RSRC2:TGID_X_EN: 1
; COMPUTE_PGM_RSRC2:TGID_Y_EN: 0
; COMPUTE_PGM_RSRC2:TGID_Z_EN: 0
; COMPUTE_PGM_RSRC2:TIDIG_COMP_CNT: 0
	.section	.text._ZN7rocprim17ROCPRIM_400000_NS6detail17trampoline_kernelINS0_14default_configENS1_29reduce_by_key_config_selectorIllN6thrust23THRUST_200600_302600_NS4plusIlEEEEZZNS1_33reduce_by_key_impl_wrapped_configILNS1_25lookback_scan_determinismE0ES3_S9_NS6_18transform_iteratorI6div_opNS6_17counting_iteratorIlNS6_11use_defaultESF_SF_EESF_SF_EENSC_I6mod_opSG_SF_SF_EENS6_6detail15normal_iteratorINS6_10device_ptrIlEEEESO_PmS8_NS6_8equal_toIlEEEE10hipError_tPvRmT2_T3_mT4_T5_T6_T7_T8_P12ihipStream_tbENKUlT_T0_E_clISt17integral_constantIbLb0EES19_EEDaS14_S15_EUlS14_E_NS1_11comp_targetILNS1_3genE5ELNS1_11target_archE942ELNS1_3gpuE9ELNS1_3repE0EEENS1_30default_config_static_selectorELNS0_4arch9wavefront6targetE0EEEvT1_,"axG",@progbits,_ZN7rocprim17ROCPRIM_400000_NS6detail17trampoline_kernelINS0_14default_configENS1_29reduce_by_key_config_selectorIllN6thrust23THRUST_200600_302600_NS4plusIlEEEEZZNS1_33reduce_by_key_impl_wrapped_configILNS1_25lookback_scan_determinismE0ES3_S9_NS6_18transform_iteratorI6div_opNS6_17counting_iteratorIlNS6_11use_defaultESF_SF_EESF_SF_EENSC_I6mod_opSG_SF_SF_EENS6_6detail15normal_iteratorINS6_10device_ptrIlEEEESO_PmS8_NS6_8equal_toIlEEEE10hipError_tPvRmT2_T3_mT4_T5_T6_T7_T8_P12ihipStream_tbENKUlT_T0_E_clISt17integral_constantIbLb0EES19_EEDaS14_S15_EUlS14_E_NS1_11comp_targetILNS1_3genE5ELNS1_11target_archE942ELNS1_3gpuE9ELNS1_3repE0EEENS1_30default_config_static_selectorELNS0_4arch9wavefront6targetE0EEEvT1_,comdat
	.protected	_ZN7rocprim17ROCPRIM_400000_NS6detail17trampoline_kernelINS0_14default_configENS1_29reduce_by_key_config_selectorIllN6thrust23THRUST_200600_302600_NS4plusIlEEEEZZNS1_33reduce_by_key_impl_wrapped_configILNS1_25lookback_scan_determinismE0ES3_S9_NS6_18transform_iteratorI6div_opNS6_17counting_iteratorIlNS6_11use_defaultESF_SF_EESF_SF_EENSC_I6mod_opSG_SF_SF_EENS6_6detail15normal_iteratorINS6_10device_ptrIlEEEESO_PmS8_NS6_8equal_toIlEEEE10hipError_tPvRmT2_T3_mT4_T5_T6_T7_T8_P12ihipStream_tbENKUlT_T0_E_clISt17integral_constantIbLb0EES19_EEDaS14_S15_EUlS14_E_NS1_11comp_targetILNS1_3genE5ELNS1_11target_archE942ELNS1_3gpuE9ELNS1_3repE0EEENS1_30default_config_static_selectorELNS0_4arch9wavefront6targetE0EEEvT1_ ; -- Begin function _ZN7rocprim17ROCPRIM_400000_NS6detail17trampoline_kernelINS0_14default_configENS1_29reduce_by_key_config_selectorIllN6thrust23THRUST_200600_302600_NS4plusIlEEEEZZNS1_33reduce_by_key_impl_wrapped_configILNS1_25lookback_scan_determinismE0ES3_S9_NS6_18transform_iteratorI6div_opNS6_17counting_iteratorIlNS6_11use_defaultESF_SF_EESF_SF_EENSC_I6mod_opSG_SF_SF_EENS6_6detail15normal_iteratorINS6_10device_ptrIlEEEESO_PmS8_NS6_8equal_toIlEEEE10hipError_tPvRmT2_T3_mT4_T5_T6_T7_T8_P12ihipStream_tbENKUlT_T0_E_clISt17integral_constantIbLb0EES19_EEDaS14_S15_EUlS14_E_NS1_11comp_targetILNS1_3genE5ELNS1_11target_archE942ELNS1_3gpuE9ELNS1_3repE0EEENS1_30default_config_static_selectorELNS0_4arch9wavefront6targetE0EEEvT1_
	.globl	_ZN7rocprim17ROCPRIM_400000_NS6detail17trampoline_kernelINS0_14default_configENS1_29reduce_by_key_config_selectorIllN6thrust23THRUST_200600_302600_NS4plusIlEEEEZZNS1_33reduce_by_key_impl_wrapped_configILNS1_25lookback_scan_determinismE0ES3_S9_NS6_18transform_iteratorI6div_opNS6_17counting_iteratorIlNS6_11use_defaultESF_SF_EESF_SF_EENSC_I6mod_opSG_SF_SF_EENS6_6detail15normal_iteratorINS6_10device_ptrIlEEEESO_PmS8_NS6_8equal_toIlEEEE10hipError_tPvRmT2_T3_mT4_T5_T6_T7_T8_P12ihipStream_tbENKUlT_T0_E_clISt17integral_constantIbLb0EES19_EEDaS14_S15_EUlS14_E_NS1_11comp_targetILNS1_3genE5ELNS1_11target_archE942ELNS1_3gpuE9ELNS1_3repE0EEENS1_30default_config_static_selectorELNS0_4arch9wavefront6targetE0EEEvT1_
	.p2align	8
	.type	_ZN7rocprim17ROCPRIM_400000_NS6detail17trampoline_kernelINS0_14default_configENS1_29reduce_by_key_config_selectorIllN6thrust23THRUST_200600_302600_NS4plusIlEEEEZZNS1_33reduce_by_key_impl_wrapped_configILNS1_25lookback_scan_determinismE0ES3_S9_NS6_18transform_iteratorI6div_opNS6_17counting_iteratorIlNS6_11use_defaultESF_SF_EESF_SF_EENSC_I6mod_opSG_SF_SF_EENS6_6detail15normal_iteratorINS6_10device_ptrIlEEEESO_PmS8_NS6_8equal_toIlEEEE10hipError_tPvRmT2_T3_mT4_T5_T6_T7_T8_P12ihipStream_tbENKUlT_T0_E_clISt17integral_constantIbLb0EES19_EEDaS14_S15_EUlS14_E_NS1_11comp_targetILNS1_3genE5ELNS1_11target_archE942ELNS1_3gpuE9ELNS1_3repE0EEENS1_30default_config_static_selectorELNS0_4arch9wavefront6targetE0EEEvT1_,@function
_ZN7rocprim17ROCPRIM_400000_NS6detail17trampoline_kernelINS0_14default_configENS1_29reduce_by_key_config_selectorIllN6thrust23THRUST_200600_302600_NS4plusIlEEEEZZNS1_33reduce_by_key_impl_wrapped_configILNS1_25lookback_scan_determinismE0ES3_S9_NS6_18transform_iteratorI6div_opNS6_17counting_iteratorIlNS6_11use_defaultESF_SF_EESF_SF_EENSC_I6mod_opSG_SF_SF_EENS6_6detail15normal_iteratorINS6_10device_ptrIlEEEESO_PmS8_NS6_8equal_toIlEEEE10hipError_tPvRmT2_T3_mT4_T5_T6_T7_T8_P12ihipStream_tbENKUlT_T0_E_clISt17integral_constantIbLb0EES19_EEDaS14_S15_EUlS14_E_NS1_11comp_targetILNS1_3genE5ELNS1_11target_archE942ELNS1_3gpuE9ELNS1_3repE0EEENS1_30default_config_static_selectorELNS0_4arch9wavefront6targetE0EEEvT1_: ; @_ZN7rocprim17ROCPRIM_400000_NS6detail17trampoline_kernelINS0_14default_configENS1_29reduce_by_key_config_selectorIllN6thrust23THRUST_200600_302600_NS4plusIlEEEEZZNS1_33reduce_by_key_impl_wrapped_configILNS1_25lookback_scan_determinismE0ES3_S9_NS6_18transform_iteratorI6div_opNS6_17counting_iteratorIlNS6_11use_defaultESF_SF_EESF_SF_EENSC_I6mod_opSG_SF_SF_EENS6_6detail15normal_iteratorINS6_10device_ptrIlEEEESO_PmS8_NS6_8equal_toIlEEEE10hipError_tPvRmT2_T3_mT4_T5_T6_T7_T8_P12ihipStream_tbENKUlT_T0_E_clISt17integral_constantIbLb0EES19_EEDaS14_S15_EUlS14_E_NS1_11comp_targetILNS1_3genE5ELNS1_11target_archE942ELNS1_3gpuE9ELNS1_3repE0EEENS1_30default_config_static_selectorELNS0_4arch9wavefront6targetE0EEEvT1_
; %bb.0:
	.section	.rodata,"a",@progbits
	.p2align	6, 0x0
	.amdhsa_kernel _ZN7rocprim17ROCPRIM_400000_NS6detail17trampoline_kernelINS0_14default_configENS1_29reduce_by_key_config_selectorIllN6thrust23THRUST_200600_302600_NS4plusIlEEEEZZNS1_33reduce_by_key_impl_wrapped_configILNS1_25lookback_scan_determinismE0ES3_S9_NS6_18transform_iteratorI6div_opNS6_17counting_iteratorIlNS6_11use_defaultESF_SF_EESF_SF_EENSC_I6mod_opSG_SF_SF_EENS6_6detail15normal_iteratorINS6_10device_ptrIlEEEESO_PmS8_NS6_8equal_toIlEEEE10hipError_tPvRmT2_T3_mT4_T5_T6_T7_T8_P12ihipStream_tbENKUlT_T0_E_clISt17integral_constantIbLb0EES19_EEDaS14_S15_EUlS14_E_NS1_11comp_targetILNS1_3genE5ELNS1_11target_archE942ELNS1_3gpuE9ELNS1_3repE0EEENS1_30default_config_static_selectorELNS0_4arch9wavefront6targetE0EEEvT1_
		.amdhsa_group_segment_fixed_size 0
		.amdhsa_private_segment_fixed_size 0
		.amdhsa_kernarg_size 152
		.amdhsa_user_sgpr_count 15
		.amdhsa_user_sgpr_dispatch_ptr 0
		.amdhsa_user_sgpr_queue_ptr 0
		.amdhsa_user_sgpr_kernarg_segment_ptr 1
		.amdhsa_user_sgpr_dispatch_id 0
		.amdhsa_user_sgpr_private_segment_size 0
		.amdhsa_wavefront_size32 1
		.amdhsa_uses_dynamic_stack 0
		.amdhsa_enable_private_segment 0
		.amdhsa_system_sgpr_workgroup_id_x 1
		.amdhsa_system_sgpr_workgroup_id_y 0
		.amdhsa_system_sgpr_workgroup_id_z 0
		.amdhsa_system_sgpr_workgroup_info 0
		.amdhsa_system_vgpr_workitem_id 0
		.amdhsa_next_free_vgpr 1
		.amdhsa_next_free_sgpr 1
		.amdhsa_reserve_vcc 0
		.amdhsa_float_round_mode_32 0
		.amdhsa_float_round_mode_16_64 0
		.amdhsa_float_denorm_mode_32 3
		.amdhsa_float_denorm_mode_16_64 3
		.amdhsa_dx10_clamp 1
		.amdhsa_ieee_mode 1
		.amdhsa_fp16_overflow 0
		.amdhsa_workgroup_processor_mode 1
		.amdhsa_memory_ordered 1
		.amdhsa_forward_progress 0
		.amdhsa_shared_vgpr_count 0
		.amdhsa_exception_fp_ieee_invalid_op 0
		.amdhsa_exception_fp_denorm_src 0
		.amdhsa_exception_fp_ieee_div_zero 0
		.amdhsa_exception_fp_ieee_overflow 0
		.amdhsa_exception_fp_ieee_underflow 0
		.amdhsa_exception_fp_ieee_inexact 0
		.amdhsa_exception_int_div_zero 0
	.end_amdhsa_kernel
	.section	.text._ZN7rocprim17ROCPRIM_400000_NS6detail17trampoline_kernelINS0_14default_configENS1_29reduce_by_key_config_selectorIllN6thrust23THRUST_200600_302600_NS4plusIlEEEEZZNS1_33reduce_by_key_impl_wrapped_configILNS1_25lookback_scan_determinismE0ES3_S9_NS6_18transform_iteratorI6div_opNS6_17counting_iteratorIlNS6_11use_defaultESF_SF_EESF_SF_EENSC_I6mod_opSG_SF_SF_EENS6_6detail15normal_iteratorINS6_10device_ptrIlEEEESO_PmS8_NS6_8equal_toIlEEEE10hipError_tPvRmT2_T3_mT4_T5_T6_T7_T8_P12ihipStream_tbENKUlT_T0_E_clISt17integral_constantIbLb0EES19_EEDaS14_S15_EUlS14_E_NS1_11comp_targetILNS1_3genE5ELNS1_11target_archE942ELNS1_3gpuE9ELNS1_3repE0EEENS1_30default_config_static_selectorELNS0_4arch9wavefront6targetE0EEEvT1_,"axG",@progbits,_ZN7rocprim17ROCPRIM_400000_NS6detail17trampoline_kernelINS0_14default_configENS1_29reduce_by_key_config_selectorIllN6thrust23THRUST_200600_302600_NS4plusIlEEEEZZNS1_33reduce_by_key_impl_wrapped_configILNS1_25lookback_scan_determinismE0ES3_S9_NS6_18transform_iteratorI6div_opNS6_17counting_iteratorIlNS6_11use_defaultESF_SF_EESF_SF_EENSC_I6mod_opSG_SF_SF_EENS6_6detail15normal_iteratorINS6_10device_ptrIlEEEESO_PmS8_NS6_8equal_toIlEEEE10hipError_tPvRmT2_T3_mT4_T5_T6_T7_T8_P12ihipStream_tbENKUlT_T0_E_clISt17integral_constantIbLb0EES19_EEDaS14_S15_EUlS14_E_NS1_11comp_targetILNS1_3genE5ELNS1_11target_archE942ELNS1_3gpuE9ELNS1_3repE0EEENS1_30default_config_static_selectorELNS0_4arch9wavefront6targetE0EEEvT1_,comdat
.Lfunc_end1133:
	.size	_ZN7rocprim17ROCPRIM_400000_NS6detail17trampoline_kernelINS0_14default_configENS1_29reduce_by_key_config_selectorIllN6thrust23THRUST_200600_302600_NS4plusIlEEEEZZNS1_33reduce_by_key_impl_wrapped_configILNS1_25lookback_scan_determinismE0ES3_S9_NS6_18transform_iteratorI6div_opNS6_17counting_iteratorIlNS6_11use_defaultESF_SF_EESF_SF_EENSC_I6mod_opSG_SF_SF_EENS6_6detail15normal_iteratorINS6_10device_ptrIlEEEESO_PmS8_NS6_8equal_toIlEEEE10hipError_tPvRmT2_T3_mT4_T5_T6_T7_T8_P12ihipStream_tbENKUlT_T0_E_clISt17integral_constantIbLb0EES19_EEDaS14_S15_EUlS14_E_NS1_11comp_targetILNS1_3genE5ELNS1_11target_archE942ELNS1_3gpuE9ELNS1_3repE0EEENS1_30default_config_static_selectorELNS0_4arch9wavefront6targetE0EEEvT1_, .Lfunc_end1133-_ZN7rocprim17ROCPRIM_400000_NS6detail17trampoline_kernelINS0_14default_configENS1_29reduce_by_key_config_selectorIllN6thrust23THRUST_200600_302600_NS4plusIlEEEEZZNS1_33reduce_by_key_impl_wrapped_configILNS1_25lookback_scan_determinismE0ES3_S9_NS6_18transform_iteratorI6div_opNS6_17counting_iteratorIlNS6_11use_defaultESF_SF_EESF_SF_EENSC_I6mod_opSG_SF_SF_EENS6_6detail15normal_iteratorINS6_10device_ptrIlEEEESO_PmS8_NS6_8equal_toIlEEEE10hipError_tPvRmT2_T3_mT4_T5_T6_T7_T8_P12ihipStream_tbENKUlT_T0_E_clISt17integral_constantIbLb0EES19_EEDaS14_S15_EUlS14_E_NS1_11comp_targetILNS1_3genE5ELNS1_11target_archE942ELNS1_3gpuE9ELNS1_3repE0EEENS1_30default_config_static_selectorELNS0_4arch9wavefront6targetE0EEEvT1_
                                        ; -- End function
	.section	.AMDGPU.csdata,"",@progbits
; Kernel info:
; codeLenInByte = 0
; NumSgprs: 0
; NumVgprs: 0
; ScratchSize: 0
; MemoryBound: 0
; FloatMode: 240
; IeeeMode: 1
; LDSByteSize: 0 bytes/workgroup (compile time only)
; SGPRBlocks: 0
; VGPRBlocks: 0
; NumSGPRsForWavesPerEU: 1
; NumVGPRsForWavesPerEU: 1
; Occupancy: 16
; WaveLimiterHint : 0
; COMPUTE_PGM_RSRC2:SCRATCH_EN: 0
; COMPUTE_PGM_RSRC2:USER_SGPR: 15
; COMPUTE_PGM_RSRC2:TRAP_HANDLER: 0
; COMPUTE_PGM_RSRC2:TGID_X_EN: 1
; COMPUTE_PGM_RSRC2:TGID_Y_EN: 0
; COMPUTE_PGM_RSRC2:TGID_Z_EN: 0
; COMPUTE_PGM_RSRC2:TIDIG_COMP_CNT: 0
	.section	.text._ZN7rocprim17ROCPRIM_400000_NS6detail17trampoline_kernelINS0_14default_configENS1_29reduce_by_key_config_selectorIllN6thrust23THRUST_200600_302600_NS4plusIlEEEEZZNS1_33reduce_by_key_impl_wrapped_configILNS1_25lookback_scan_determinismE0ES3_S9_NS6_18transform_iteratorI6div_opNS6_17counting_iteratorIlNS6_11use_defaultESF_SF_EESF_SF_EENSC_I6mod_opSG_SF_SF_EENS6_6detail15normal_iteratorINS6_10device_ptrIlEEEESO_PmS8_NS6_8equal_toIlEEEE10hipError_tPvRmT2_T3_mT4_T5_T6_T7_T8_P12ihipStream_tbENKUlT_T0_E_clISt17integral_constantIbLb0EES19_EEDaS14_S15_EUlS14_E_NS1_11comp_targetILNS1_3genE4ELNS1_11target_archE910ELNS1_3gpuE8ELNS1_3repE0EEENS1_30default_config_static_selectorELNS0_4arch9wavefront6targetE0EEEvT1_,"axG",@progbits,_ZN7rocprim17ROCPRIM_400000_NS6detail17trampoline_kernelINS0_14default_configENS1_29reduce_by_key_config_selectorIllN6thrust23THRUST_200600_302600_NS4plusIlEEEEZZNS1_33reduce_by_key_impl_wrapped_configILNS1_25lookback_scan_determinismE0ES3_S9_NS6_18transform_iteratorI6div_opNS6_17counting_iteratorIlNS6_11use_defaultESF_SF_EESF_SF_EENSC_I6mod_opSG_SF_SF_EENS6_6detail15normal_iteratorINS6_10device_ptrIlEEEESO_PmS8_NS6_8equal_toIlEEEE10hipError_tPvRmT2_T3_mT4_T5_T6_T7_T8_P12ihipStream_tbENKUlT_T0_E_clISt17integral_constantIbLb0EES19_EEDaS14_S15_EUlS14_E_NS1_11comp_targetILNS1_3genE4ELNS1_11target_archE910ELNS1_3gpuE8ELNS1_3repE0EEENS1_30default_config_static_selectorELNS0_4arch9wavefront6targetE0EEEvT1_,comdat
	.protected	_ZN7rocprim17ROCPRIM_400000_NS6detail17trampoline_kernelINS0_14default_configENS1_29reduce_by_key_config_selectorIllN6thrust23THRUST_200600_302600_NS4plusIlEEEEZZNS1_33reduce_by_key_impl_wrapped_configILNS1_25lookback_scan_determinismE0ES3_S9_NS6_18transform_iteratorI6div_opNS6_17counting_iteratorIlNS6_11use_defaultESF_SF_EESF_SF_EENSC_I6mod_opSG_SF_SF_EENS6_6detail15normal_iteratorINS6_10device_ptrIlEEEESO_PmS8_NS6_8equal_toIlEEEE10hipError_tPvRmT2_T3_mT4_T5_T6_T7_T8_P12ihipStream_tbENKUlT_T0_E_clISt17integral_constantIbLb0EES19_EEDaS14_S15_EUlS14_E_NS1_11comp_targetILNS1_3genE4ELNS1_11target_archE910ELNS1_3gpuE8ELNS1_3repE0EEENS1_30default_config_static_selectorELNS0_4arch9wavefront6targetE0EEEvT1_ ; -- Begin function _ZN7rocprim17ROCPRIM_400000_NS6detail17trampoline_kernelINS0_14default_configENS1_29reduce_by_key_config_selectorIllN6thrust23THRUST_200600_302600_NS4plusIlEEEEZZNS1_33reduce_by_key_impl_wrapped_configILNS1_25lookback_scan_determinismE0ES3_S9_NS6_18transform_iteratorI6div_opNS6_17counting_iteratorIlNS6_11use_defaultESF_SF_EESF_SF_EENSC_I6mod_opSG_SF_SF_EENS6_6detail15normal_iteratorINS6_10device_ptrIlEEEESO_PmS8_NS6_8equal_toIlEEEE10hipError_tPvRmT2_T3_mT4_T5_T6_T7_T8_P12ihipStream_tbENKUlT_T0_E_clISt17integral_constantIbLb0EES19_EEDaS14_S15_EUlS14_E_NS1_11comp_targetILNS1_3genE4ELNS1_11target_archE910ELNS1_3gpuE8ELNS1_3repE0EEENS1_30default_config_static_selectorELNS0_4arch9wavefront6targetE0EEEvT1_
	.globl	_ZN7rocprim17ROCPRIM_400000_NS6detail17trampoline_kernelINS0_14default_configENS1_29reduce_by_key_config_selectorIllN6thrust23THRUST_200600_302600_NS4plusIlEEEEZZNS1_33reduce_by_key_impl_wrapped_configILNS1_25lookback_scan_determinismE0ES3_S9_NS6_18transform_iteratorI6div_opNS6_17counting_iteratorIlNS6_11use_defaultESF_SF_EESF_SF_EENSC_I6mod_opSG_SF_SF_EENS6_6detail15normal_iteratorINS6_10device_ptrIlEEEESO_PmS8_NS6_8equal_toIlEEEE10hipError_tPvRmT2_T3_mT4_T5_T6_T7_T8_P12ihipStream_tbENKUlT_T0_E_clISt17integral_constantIbLb0EES19_EEDaS14_S15_EUlS14_E_NS1_11comp_targetILNS1_3genE4ELNS1_11target_archE910ELNS1_3gpuE8ELNS1_3repE0EEENS1_30default_config_static_selectorELNS0_4arch9wavefront6targetE0EEEvT1_
	.p2align	8
	.type	_ZN7rocprim17ROCPRIM_400000_NS6detail17trampoline_kernelINS0_14default_configENS1_29reduce_by_key_config_selectorIllN6thrust23THRUST_200600_302600_NS4plusIlEEEEZZNS1_33reduce_by_key_impl_wrapped_configILNS1_25lookback_scan_determinismE0ES3_S9_NS6_18transform_iteratorI6div_opNS6_17counting_iteratorIlNS6_11use_defaultESF_SF_EESF_SF_EENSC_I6mod_opSG_SF_SF_EENS6_6detail15normal_iteratorINS6_10device_ptrIlEEEESO_PmS8_NS6_8equal_toIlEEEE10hipError_tPvRmT2_T3_mT4_T5_T6_T7_T8_P12ihipStream_tbENKUlT_T0_E_clISt17integral_constantIbLb0EES19_EEDaS14_S15_EUlS14_E_NS1_11comp_targetILNS1_3genE4ELNS1_11target_archE910ELNS1_3gpuE8ELNS1_3repE0EEENS1_30default_config_static_selectorELNS0_4arch9wavefront6targetE0EEEvT1_,@function
_ZN7rocprim17ROCPRIM_400000_NS6detail17trampoline_kernelINS0_14default_configENS1_29reduce_by_key_config_selectorIllN6thrust23THRUST_200600_302600_NS4plusIlEEEEZZNS1_33reduce_by_key_impl_wrapped_configILNS1_25lookback_scan_determinismE0ES3_S9_NS6_18transform_iteratorI6div_opNS6_17counting_iteratorIlNS6_11use_defaultESF_SF_EESF_SF_EENSC_I6mod_opSG_SF_SF_EENS6_6detail15normal_iteratorINS6_10device_ptrIlEEEESO_PmS8_NS6_8equal_toIlEEEE10hipError_tPvRmT2_T3_mT4_T5_T6_T7_T8_P12ihipStream_tbENKUlT_T0_E_clISt17integral_constantIbLb0EES19_EEDaS14_S15_EUlS14_E_NS1_11comp_targetILNS1_3genE4ELNS1_11target_archE910ELNS1_3gpuE8ELNS1_3repE0EEENS1_30default_config_static_selectorELNS0_4arch9wavefront6targetE0EEEvT1_: ; @_ZN7rocprim17ROCPRIM_400000_NS6detail17trampoline_kernelINS0_14default_configENS1_29reduce_by_key_config_selectorIllN6thrust23THRUST_200600_302600_NS4plusIlEEEEZZNS1_33reduce_by_key_impl_wrapped_configILNS1_25lookback_scan_determinismE0ES3_S9_NS6_18transform_iteratorI6div_opNS6_17counting_iteratorIlNS6_11use_defaultESF_SF_EESF_SF_EENSC_I6mod_opSG_SF_SF_EENS6_6detail15normal_iteratorINS6_10device_ptrIlEEEESO_PmS8_NS6_8equal_toIlEEEE10hipError_tPvRmT2_T3_mT4_T5_T6_T7_T8_P12ihipStream_tbENKUlT_T0_E_clISt17integral_constantIbLb0EES19_EEDaS14_S15_EUlS14_E_NS1_11comp_targetILNS1_3genE4ELNS1_11target_archE910ELNS1_3gpuE8ELNS1_3repE0EEENS1_30default_config_static_selectorELNS0_4arch9wavefront6targetE0EEEvT1_
; %bb.0:
	.section	.rodata,"a",@progbits
	.p2align	6, 0x0
	.amdhsa_kernel _ZN7rocprim17ROCPRIM_400000_NS6detail17trampoline_kernelINS0_14default_configENS1_29reduce_by_key_config_selectorIllN6thrust23THRUST_200600_302600_NS4plusIlEEEEZZNS1_33reduce_by_key_impl_wrapped_configILNS1_25lookback_scan_determinismE0ES3_S9_NS6_18transform_iteratorI6div_opNS6_17counting_iteratorIlNS6_11use_defaultESF_SF_EESF_SF_EENSC_I6mod_opSG_SF_SF_EENS6_6detail15normal_iteratorINS6_10device_ptrIlEEEESO_PmS8_NS6_8equal_toIlEEEE10hipError_tPvRmT2_T3_mT4_T5_T6_T7_T8_P12ihipStream_tbENKUlT_T0_E_clISt17integral_constantIbLb0EES19_EEDaS14_S15_EUlS14_E_NS1_11comp_targetILNS1_3genE4ELNS1_11target_archE910ELNS1_3gpuE8ELNS1_3repE0EEENS1_30default_config_static_selectorELNS0_4arch9wavefront6targetE0EEEvT1_
		.amdhsa_group_segment_fixed_size 0
		.amdhsa_private_segment_fixed_size 0
		.amdhsa_kernarg_size 152
		.amdhsa_user_sgpr_count 15
		.amdhsa_user_sgpr_dispatch_ptr 0
		.amdhsa_user_sgpr_queue_ptr 0
		.amdhsa_user_sgpr_kernarg_segment_ptr 1
		.amdhsa_user_sgpr_dispatch_id 0
		.amdhsa_user_sgpr_private_segment_size 0
		.amdhsa_wavefront_size32 1
		.amdhsa_uses_dynamic_stack 0
		.amdhsa_enable_private_segment 0
		.amdhsa_system_sgpr_workgroup_id_x 1
		.amdhsa_system_sgpr_workgroup_id_y 0
		.amdhsa_system_sgpr_workgroup_id_z 0
		.amdhsa_system_sgpr_workgroup_info 0
		.amdhsa_system_vgpr_workitem_id 0
		.amdhsa_next_free_vgpr 1
		.amdhsa_next_free_sgpr 1
		.amdhsa_reserve_vcc 0
		.amdhsa_float_round_mode_32 0
		.amdhsa_float_round_mode_16_64 0
		.amdhsa_float_denorm_mode_32 3
		.amdhsa_float_denorm_mode_16_64 3
		.amdhsa_dx10_clamp 1
		.amdhsa_ieee_mode 1
		.amdhsa_fp16_overflow 0
		.amdhsa_workgroup_processor_mode 1
		.amdhsa_memory_ordered 1
		.amdhsa_forward_progress 0
		.amdhsa_shared_vgpr_count 0
		.amdhsa_exception_fp_ieee_invalid_op 0
		.amdhsa_exception_fp_denorm_src 0
		.amdhsa_exception_fp_ieee_div_zero 0
		.amdhsa_exception_fp_ieee_overflow 0
		.amdhsa_exception_fp_ieee_underflow 0
		.amdhsa_exception_fp_ieee_inexact 0
		.amdhsa_exception_int_div_zero 0
	.end_amdhsa_kernel
	.section	.text._ZN7rocprim17ROCPRIM_400000_NS6detail17trampoline_kernelINS0_14default_configENS1_29reduce_by_key_config_selectorIllN6thrust23THRUST_200600_302600_NS4plusIlEEEEZZNS1_33reduce_by_key_impl_wrapped_configILNS1_25lookback_scan_determinismE0ES3_S9_NS6_18transform_iteratorI6div_opNS6_17counting_iteratorIlNS6_11use_defaultESF_SF_EESF_SF_EENSC_I6mod_opSG_SF_SF_EENS6_6detail15normal_iteratorINS6_10device_ptrIlEEEESO_PmS8_NS6_8equal_toIlEEEE10hipError_tPvRmT2_T3_mT4_T5_T6_T7_T8_P12ihipStream_tbENKUlT_T0_E_clISt17integral_constantIbLb0EES19_EEDaS14_S15_EUlS14_E_NS1_11comp_targetILNS1_3genE4ELNS1_11target_archE910ELNS1_3gpuE8ELNS1_3repE0EEENS1_30default_config_static_selectorELNS0_4arch9wavefront6targetE0EEEvT1_,"axG",@progbits,_ZN7rocprim17ROCPRIM_400000_NS6detail17trampoline_kernelINS0_14default_configENS1_29reduce_by_key_config_selectorIllN6thrust23THRUST_200600_302600_NS4plusIlEEEEZZNS1_33reduce_by_key_impl_wrapped_configILNS1_25lookback_scan_determinismE0ES3_S9_NS6_18transform_iteratorI6div_opNS6_17counting_iteratorIlNS6_11use_defaultESF_SF_EESF_SF_EENSC_I6mod_opSG_SF_SF_EENS6_6detail15normal_iteratorINS6_10device_ptrIlEEEESO_PmS8_NS6_8equal_toIlEEEE10hipError_tPvRmT2_T3_mT4_T5_T6_T7_T8_P12ihipStream_tbENKUlT_T0_E_clISt17integral_constantIbLb0EES19_EEDaS14_S15_EUlS14_E_NS1_11comp_targetILNS1_3genE4ELNS1_11target_archE910ELNS1_3gpuE8ELNS1_3repE0EEENS1_30default_config_static_selectorELNS0_4arch9wavefront6targetE0EEEvT1_,comdat
.Lfunc_end1134:
	.size	_ZN7rocprim17ROCPRIM_400000_NS6detail17trampoline_kernelINS0_14default_configENS1_29reduce_by_key_config_selectorIllN6thrust23THRUST_200600_302600_NS4plusIlEEEEZZNS1_33reduce_by_key_impl_wrapped_configILNS1_25lookback_scan_determinismE0ES3_S9_NS6_18transform_iteratorI6div_opNS6_17counting_iteratorIlNS6_11use_defaultESF_SF_EESF_SF_EENSC_I6mod_opSG_SF_SF_EENS6_6detail15normal_iteratorINS6_10device_ptrIlEEEESO_PmS8_NS6_8equal_toIlEEEE10hipError_tPvRmT2_T3_mT4_T5_T6_T7_T8_P12ihipStream_tbENKUlT_T0_E_clISt17integral_constantIbLb0EES19_EEDaS14_S15_EUlS14_E_NS1_11comp_targetILNS1_3genE4ELNS1_11target_archE910ELNS1_3gpuE8ELNS1_3repE0EEENS1_30default_config_static_selectorELNS0_4arch9wavefront6targetE0EEEvT1_, .Lfunc_end1134-_ZN7rocprim17ROCPRIM_400000_NS6detail17trampoline_kernelINS0_14default_configENS1_29reduce_by_key_config_selectorIllN6thrust23THRUST_200600_302600_NS4plusIlEEEEZZNS1_33reduce_by_key_impl_wrapped_configILNS1_25lookback_scan_determinismE0ES3_S9_NS6_18transform_iteratorI6div_opNS6_17counting_iteratorIlNS6_11use_defaultESF_SF_EESF_SF_EENSC_I6mod_opSG_SF_SF_EENS6_6detail15normal_iteratorINS6_10device_ptrIlEEEESO_PmS8_NS6_8equal_toIlEEEE10hipError_tPvRmT2_T3_mT4_T5_T6_T7_T8_P12ihipStream_tbENKUlT_T0_E_clISt17integral_constantIbLb0EES19_EEDaS14_S15_EUlS14_E_NS1_11comp_targetILNS1_3genE4ELNS1_11target_archE910ELNS1_3gpuE8ELNS1_3repE0EEENS1_30default_config_static_selectorELNS0_4arch9wavefront6targetE0EEEvT1_
                                        ; -- End function
	.section	.AMDGPU.csdata,"",@progbits
; Kernel info:
; codeLenInByte = 0
; NumSgprs: 0
; NumVgprs: 0
; ScratchSize: 0
; MemoryBound: 0
; FloatMode: 240
; IeeeMode: 1
; LDSByteSize: 0 bytes/workgroup (compile time only)
; SGPRBlocks: 0
; VGPRBlocks: 0
; NumSGPRsForWavesPerEU: 1
; NumVGPRsForWavesPerEU: 1
; Occupancy: 16
; WaveLimiterHint : 0
; COMPUTE_PGM_RSRC2:SCRATCH_EN: 0
; COMPUTE_PGM_RSRC2:USER_SGPR: 15
; COMPUTE_PGM_RSRC2:TRAP_HANDLER: 0
; COMPUTE_PGM_RSRC2:TGID_X_EN: 1
; COMPUTE_PGM_RSRC2:TGID_Y_EN: 0
; COMPUTE_PGM_RSRC2:TGID_Z_EN: 0
; COMPUTE_PGM_RSRC2:TIDIG_COMP_CNT: 0
	.section	.text._ZN7rocprim17ROCPRIM_400000_NS6detail17trampoline_kernelINS0_14default_configENS1_29reduce_by_key_config_selectorIllN6thrust23THRUST_200600_302600_NS4plusIlEEEEZZNS1_33reduce_by_key_impl_wrapped_configILNS1_25lookback_scan_determinismE0ES3_S9_NS6_18transform_iteratorI6div_opNS6_17counting_iteratorIlNS6_11use_defaultESF_SF_EESF_SF_EENSC_I6mod_opSG_SF_SF_EENS6_6detail15normal_iteratorINS6_10device_ptrIlEEEESO_PmS8_NS6_8equal_toIlEEEE10hipError_tPvRmT2_T3_mT4_T5_T6_T7_T8_P12ihipStream_tbENKUlT_T0_E_clISt17integral_constantIbLb0EES19_EEDaS14_S15_EUlS14_E_NS1_11comp_targetILNS1_3genE3ELNS1_11target_archE908ELNS1_3gpuE7ELNS1_3repE0EEENS1_30default_config_static_selectorELNS0_4arch9wavefront6targetE0EEEvT1_,"axG",@progbits,_ZN7rocprim17ROCPRIM_400000_NS6detail17trampoline_kernelINS0_14default_configENS1_29reduce_by_key_config_selectorIllN6thrust23THRUST_200600_302600_NS4plusIlEEEEZZNS1_33reduce_by_key_impl_wrapped_configILNS1_25lookback_scan_determinismE0ES3_S9_NS6_18transform_iteratorI6div_opNS6_17counting_iteratorIlNS6_11use_defaultESF_SF_EESF_SF_EENSC_I6mod_opSG_SF_SF_EENS6_6detail15normal_iteratorINS6_10device_ptrIlEEEESO_PmS8_NS6_8equal_toIlEEEE10hipError_tPvRmT2_T3_mT4_T5_T6_T7_T8_P12ihipStream_tbENKUlT_T0_E_clISt17integral_constantIbLb0EES19_EEDaS14_S15_EUlS14_E_NS1_11comp_targetILNS1_3genE3ELNS1_11target_archE908ELNS1_3gpuE7ELNS1_3repE0EEENS1_30default_config_static_selectorELNS0_4arch9wavefront6targetE0EEEvT1_,comdat
	.protected	_ZN7rocprim17ROCPRIM_400000_NS6detail17trampoline_kernelINS0_14default_configENS1_29reduce_by_key_config_selectorIllN6thrust23THRUST_200600_302600_NS4plusIlEEEEZZNS1_33reduce_by_key_impl_wrapped_configILNS1_25lookback_scan_determinismE0ES3_S9_NS6_18transform_iteratorI6div_opNS6_17counting_iteratorIlNS6_11use_defaultESF_SF_EESF_SF_EENSC_I6mod_opSG_SF_SF_EENS6_6detail15normal_iteratorINS6_10device_ptrIlEEEESO_PmS8_NS6_8equal_toIlEEEE10hipError_tPvRmT2_T3_mT4_T5_T6_T7_T8_P12ihipStream_tbENKUlT_T0_E_clISt17integral_constantIbLb0EES19_EEDaS14_S15_EUlS14_E_NS1_11comp_targetILNS1_3genE3ELNS1_11target_archE908ELNS1_3gpuE7ELNS1_3repE0EEENS1_30default_config_static_selectorELNS0_4arch9wavefront6targetE0EEEvT1_ ; -- Begin function _ZN7rocprim17ROCPRIM_400000_NS6detail17trampoline_kernelINS0_14default_configENS1_29reduce_by_key_config_selectorIllN6thrust23THRUST_200600_302600_NS4plusIlEEEEZZNS1_33reduce_by_key_impl_wrapped_configILNS1_25lookback_scan_determinismE0ES3_S9_NS6_18transform_iteratorI6div_opNS6_17counting_iteratorIlNS6_11use_defaultESF_SF_EESF_SF_EENSC_I6mod_opSG_SF_SF_EENS6_6detail15normal_iteratorINS6_10device_ptrIlEEEESO_PmS8_NS6_8equal_toIlEEEE10hipError_tPvRmT2_T3_mT4_T5_T6_T7_T8_P12ihipStream_tbENKUlT_T0_E_clISt17integral_constantIbLb0EES19_EEDaS14_S15_EUlS14_E_NS1_11comp_targetILNS1_3genE3ELNS1_11target_archE908ELNS1_3gpuE7ELNS1_3repE0EEENS1_30default_config_static_selectorELNS0_4arch9wavefront6targetE0EEEvT1_
	.globl	_ZN7rocprim17ROCPRIM_400000_NS6detail17trampoline_kernelINS0_14default_configENS1_29reduce_by_key_config_selectorIllN6thrust23THRUST_200600_302600_NS4plusIlEEEEZZNS1_33reduce_by_key_impl_wrapped_configILNS1_25lookback_scan_determinismE0ES3_S9_NS6_18transform_iteratorI6div_opNS6_17counting_iteratorIlNS6_11use_defaultESF_SF_EESF_SF_EENSC_I6mod_opSG_SF_SF_EENS6_6detail15normal_iteratorINS6_10device_ptrIlEEEESO_PmS8_NS6_8equal_toIlEEEE10hipError_tPvRmT2_T3_mT4_T5_T6_T7_T8_P12ihipStream_tbENKUlT_T0_E_clISt17integral_constantIbLb0EES19_EEDaS14_S15_EUlS14_E_NS1_11comp_targetILNS1_3genE3ELNS1_11target_archE908ELNS1_3gpuE7ELNS1_3repE0EEENS1_30default_config_static_selectorELNS0_4arch9wavefront6targetE0EEEvT1_
	.p2align	8
	.type	_ZN7rocprim17ROCPRIM_400000_NS6detail17trampoline_kernelINS0_14default_configENS1_29reduce_by_key_config_selectorIllN6thrust23THRUST_200600_302600_NS4plusIlEEEEZZNS1_33reduce_by_key_impl_wrapped_configILNS1_25lookback_scan_determinismE0ES3_S9_NS6_18transform_iteratorI6div_opNS6_17counting_iteratorIlNS6_11use_defaultESF_SF_EESF_SF_EENSC_I6mod_opSG_SF_SF_EENS6_6detail15normal_iteratorINS6_10device_ptrIlEEEESO_PmS8_NS6_8equal_toIlEEEE10hipError_tPvRmT2_T3_mT4_T5_T6_T7_T8_P12ihipStream_tbENKUlT_T0_E_clISt17integral_constantIbLb0EES19_EEDaS14_S15_EUlS14_E_NS1_11comp_targetILNS1_3genE3ELNS1_11target_archE908ELNS1_3gpuE7ELNS1_3repE0EEENS1_30default_config_static_selectorELNS0_4arch9wavefront6targetE0EEEvT1_,@function
_ZN7rocprim17ROCPRIM_400000_NS6detail17trampoline_kernelINS0_14default_configENS1_29reduce_by_key_config_selectorIllN6thrust23THRUST_200600_302600_NS4plusIlEEEEZZNS1_33reduce_by_key_impl_wrapped_configILNS1_25lookback_scan_determinismE0ES3_S9_NS6_18transform_iteratorI6div_opNS6_17counting_iteratorIlNS6_11use_defaultESF_SF_EESF_SF_EENSC_I6mod_opSG_SF_SF_EENS6_6detail15normal_iteratorINS6_10device_ptrIlEEEESO_PmS8_NS6_8equal_toIlEEEE10hipError_tPvRmT2_T3_mT4_T5_T6_T7_T8_P12ihipStream_tbENKUlT_T0_E_clISt17integral_constantIbLb0EES19_EEDaS14_S15_EUlS14_E_NS1_11comp_targetILNS1_3genE3ELNS1_11target_archE908ELNS1_3gpuE7ELNS1_3repE0EEENS1_30default_config_static_selectorELNS0_4arch9wavefront6targetE0EEEvT1_: ; @_ZN7rocprim17ROCPRIM_400000_NS6detail17trampoline_kernelINS0_14default_configENS1_29reduce_by_key_config_selectorIllN6thrust23THRUST_200600_302600_NS4plusIlEEEEZZNS1_33reduce_by_key_impl_wrapped_configILNS1_25lookback_scan_determinismE0ES3_S9_NS6_18transform_iteratorI6div_opNS6_17counting_iteratorIlNS6_11use_defaultESF_SF_EESF_SF_EENSC_I6mod_opSG_SF_SF_EENS6_6detail15normal_iteratorINS6_10device_ptrIlEEEESO_PmS8_NS6_8equal_toIlEEEE10hipError_tPvRmT2_T3_mT4_T5_T6_T7_T8_P12ihipStream_tbENKUlT_T0_E_clISt17integral_constantIbLb0EES19_EEDaS14_S15_EUlS14_E_NS1_11comp_targetILNS1_3genE3ELNS1_11target_archE908ELNS1_3gpuE7ELNS1_3repE0EEENS1_30default_config_static_selectorELNS0_4arch9wavefront6targetE0EEEvT1_
; %bb.0:
	.section	.rodata,"a",@progbits
	.p2align	6, 0x0
	.amdhsa_kernel _ZN7rocprim17ROCPRIM_400000_NS6detail17trampoline_kernelINS0_14default_configENS1_29reduce_by_key_config_selectorIllN6thrust23THRUST_200600_302600_NS4plusIlEEEEZZNS1_33reduce_by_key_impl_wrapped_configILNS1_25lookback_scan_determinismE0ES3_S9_NS6_18transform_iteratorI6div_opNS6_17counting_iteratorIlNS6_11use_defaultESF_SF_EESF_SF_EENSC_I6mod_opSG_SF_SF_EENS6_6detail15normal_iteratorINS6_10device_ptrIlEEEESO_PmS8_NS6_8equal_toIlEEEE10hipError_tPvRmT2_T3_mT4_T5_T6_T7_T8_P12ihipStream_tbENKUlT_T0_E_clISt17integral_constantIbLb0EES19_EEDaS14_S15_EUlS14_E_NS1_11comp_targetILNS1_3genE3ELNS1_11target_archE908ELNS1_3gpuE7ELNS1_3repE0EEENS1_30default_config_static_selectorELNS0_4arch9wavefront6targetE0EEEvT1_
		.amdhsa_group_segment_fixed_size 0
		.amdhsa_private_segment_fixed_size 0
		.amdhsa_kernarg_size 152
		.amdhsa_user_sgpr_count 15
		.amdhsa_user_sgpr_dispatch_ptr 0
		.amdhsa_user_sgpr_queue_ptr 0
		.amdhsa_user_sgpr_kernarg_segment_ptr 1
		.amdhsa_user_sgpr_dispatch_id 0
		.amdhsa_user_sgpr_private_segment_size 0
		.amdhsa_wavefront_size32 1
		.amdhsa_uses_dynamic_stack 0
		.amdhsa_enable_private_segment 0
		.amdhsa_system_sgpr_workgroup_id_x 1
		.amdhsa_system_sgpr_workgroup_id_y 0
		.amdhsa_system_sgpr_workgroup_id_z 0
		.amdhsa_system_sgpr_workgroup_info 0
		.amdhsa_system_vgpr_workitem_id 0
		.amdhsa_next_free_vgpr 1
		.amdhsa_next_free_sgpr 1
		.amdhsa_reserve_vcc 0
		.amdhsa_float_round_mode_32 0
		.amdhsa_float_round_mode_16_64 0
		.amdhsa_float_denorm_mode_32 3
		.amdhsa_float_denorm_mode_16_64 3
		.amdhsa_dx10_clamp 1
		.amdhsa_ieee_mode 1
		.amdhsa_fp16_overflow 0
		.amdhsa_workgroup_processor_mode 1
		.amdhsa_memory_ordered 1
		.amdhsa_forward_progress 0
		.amdhsa_shared_vgpr_count 0
		.amdhsa_exception_fp_ieee_invalid_op 0
		.amdhsa_exception_fp_denorm_src 0
		.amdhsa_exception_fp_ieee_div_zero 0
		.amdhsa_exception_fp_ieee_overflow 0
		.amdhsa_exception_fp_ieee_underflow 0
		.amdhsa_exception_fp_ieee_inexact 0
		.amdhsa_exception_int_div_zero 0
	.end_amdhsa_kernel
	.section	.text._ZN7rocprim17ROCPRIM_400000_NS6detail17trampoline_kernelINS0_14default_configENS1_29reduce_by_key_config_selectorIllN6thrust23THRUST_200600_302600_NS4plusIlEEEEZZNS1_33reduce_by_key_impl_wrapped_configILNS1_25lookback_scan_determinismE0ES3_S9_NS6_18transform_iteratorI6div_opNS6_17counting_iteratorIlNS6_11use_defaultESF_SF_EESF_SF_EENSC_I6mod_opSG_SF_SF_EENS6_6detail15normal_iteratorINS6_10device_ptrIlEEEESO_PmS8_NS6_8equal_toIlEEEE10hipError_tPvRmT2_T3_mT4_T5_T6_T7_T8_P12ihipStream_tbENKUlT_T0_E_clISt17integral_constantIbLb0EES19_EEDaS14_S15_EUlS14_E_NS1_11comp_targetILNS1_3genE3ELNS1_11target_archE908ELNS1_3gpuE7ELNS1_3repE0EEENS1_30default_config_static_selectorELNS0_4arch9wavefront6targetE0EEEvT1_,"axG",@progbits,_ZN7rocprim17ROCPRIM_400000_NS6detail17trampoline_kernelINS0_14default_configENS1_29reduce_by_key_config_selectorIllN6thrust23THRUST_200600_302600_NS4plusIlEEEEZZNS1_33reduce_by_key_impl_wrapped_configILNS1_25lookback_scan_determinismE0ES3_S9_NS6_18transform_iteratorI6div_opNS6_17counting_iteratorIlNS6_11use_defaultESF_SF_EESF_SF_EENSC_I6mod_opSG_SF_SF_EENS6_6detail15normal_iteratorINS6_10device_ptrIlEEEESO_PmS8_NS6_8equal_toIlEEEE10hipError_tPvRmT2_T3_mT4_T5_T6_T7_T8_P12ihipStream_tbENKUlT_T0_E_clISt17integral_constantIbLb0EES19_EEDaS14_S15_EUlS14_E_NS1_11comp_targetILNS1_3genE3ELNS1_11target_archE908ELNS1_3gpuE7ELNS1_3repE0EEENS1_30default_config_static_selectorELNS0_4arch9wavefront6targetE0EEEvT1_,comdat
.Lfunc_end1135:
	.size	_ZN7rocprim17ROCPRIM_400000_NS6detail17trampoline_kernelINS0_14default_configENS1_29reduce_by_key_config_selectorIllN6thrust23THRUST_200600_302600_NS4plusIlEEEEZZNS1_33reduce_by_key_impl_wrapped_configILNS1_25lookback_scan_determinismE0ES3_S9_NS6_18transform_iteratorI6div_opNS6_17counting_iteratorIlNS6_11use_defaultESF_SF_EESF_SF_EENSC_I6mod_opSG_SF_SF_EENS6_6detail15normal_iteratorINS6_10device_ptrIlEEEESO_PmS8_NS6_8equal_toIlEEEE10hipError_tPvRmT2_T3_mT4_T5_T6_T7_T8_P12ihipStream_tbENKUlT_T0_E_clISt17integral_constantIbLb0EES19_EEDaS14_S15_EUlS14_E_NS1_11comp_targetILNS1_3genE3ELNS1_11target_archE908ELNS1_3gpuE7ELNS1_3repE0EEENS1_30default_config_static_selectorELNS0_4arch9wavefront6targetE0EEEvT1_, .Lfunc_end1135-_ZN7rocprim17ROCPRIM_400000_NS6detail17trampoline_kernelINS0_14default_configENS1_29reduce_by_key_config_selectorIllN6thrust23THRUST_200600_302600_NS4plusIlEEEEZZNS1_33reduce_by_key_impl_wrapped_configILNS1_25lookback_scan_determinismE0ES3_S9_NS6_18transform_iteratorI6div_opNS6_17counting_iteratorIlNS6_11use_defaultESF_SF_EESF_SF_EENSC_I6mod_opSG_SF_SF_EENS6_6detail15normal_iteratorINS6_10device_ptrIlEEEESO_PmS8_NS6_8equal_toIlEEEE10hipError_tPvRmT2_T3_mT4_T5_T6_T7_T8_P12ihipStream_tbENKUlT_T0_E_clISt17integral_constantIbLb0EES19_EEDaS14_S15_EUlS14_E_NS1_11comp_targetILNS1_3genE3ELNS1_11target_archE908ELNS1_3gpuE7ELNS1_3repE0EEENS1_30default_config_static_selectorELNS0_4arch9wavefront6targetE0EEEvT1_
                                        ; -- End function
	.section	.AMDGPU.csdata,"",@progbits
; Kernel info:
; codeLenInByte = 0
; NumSgprs: 0
; NumVgprs: 0
; ScratchSize: 0
; MemoryBound: 0
; FloatMode: 240
; IeeeMode: 1
; LDSByteSize: 0 bytes/workgroup (compile time only)
; SGPRBlocks: 0
; VGPRBlocks: 0
; NumSGPRsForWavesPerEU: 1
; NumVGPRsForWavesPerEU: 1
; Occupancy: 16
; WaveLimiterHint : 0
; COMPUTE_PGM_RSRC2:SCRATCH_EN: 0
; COMPUTE_PGM_RSRC2:USER_SGPR: 15
; COMPUTE_PGM_RSRC2:TRAP_HANDLER: 0
; COMPUTE_PGM_RSRC2:TGID_X_EN: 1
; COMPUTE_PGM_RSRC2:TGID_Y_EN: 0
; COMPUTE_PGM_RSRC2:TGID_Z_EN: 0
; COMPUTE_PGM_RSRC2:TIDIG_COMP_CNT: 0
	.section	.text._ZN7rocprim17ROCPRIM_400000_NS6detail17trampoline_kernelINS0_14default_configENS1_29reduce_by_key_config_selectorIllN6thrust23THRUST_200600_302600_NS4plusIlEEEEZZNS1_33reduce_by_key_impl_wrapped_configILNS1_25lookback_scan_determinismE0ES3_S9_NS6_18transform_iteratorI6div_opNS6_17counting_iteratorIlNS6_11use_defaultESF_SF_EESF_SF_EENSC_I6mod_opSG_SF_SF_EENS6_6detail15normal_iteratorINS6_10device_ptrIlEEEESO_PmS8_NS6_8equal_toIlEEEE10hipError_tPvRmT2_T3_mT4_T5_T6_T7_T8_P12ihipStream_tbENKUlT_T0_E_clISt17integral_constantIbLb0EES19_EEDaS14_S15_EUlS14_E_NS1_11comp_targetILNS1_3genE2ELNS1_11target_archE906ELNS1_3gpuE6ELNS1_3repE0EEENS1_30default_config_static_selectorELNS0_4arch9wavefront6targetE0EEEvT1_,"axG",@progbits,_ZN7rocprim17ROCPRIM_400000_NS6detail17trampoline_kernelINS0_14default_configENS1_29reduce_by_key_config_selectorIllN6thrust23THRUST_200600_302600_NS4plusIlEEEEZZNS1_33reduce_by_key_impl_wrapped_configILNS1_25lookback_scan_determinismE0ES3_S9_NS6_18transform_iteratorI6div_opNS6_17counting_iteratorIlNS6_11use_defaultESF_SF_EESF_SF_EENSC_I6mod_opSG_SF_SF_EENS6_6detail15normal_iteratorINS6_10device_ptrIlEEEESO_PmS8_NS6_8equal_toIlEEEE10hipError_tPvRmT2_T3_mT4_T5_T6_T7_T8_P12ihipStream_tbENKUlT_T0_E_clISt17integral_constantIbLb0EES19_EEDaS14_S15_EUlS14_E_NS1_11comp_targetILNS1_3genE2ELNS1_11target_archE906ELNS1_3gpuE6ELNS1_3repE0EEENS1_30default_config_static_selectorELNS0_4arch9wavefront6targetE0EEEvT1_,comdat
	.protected	_ZN7rocprim17ROCPRIM_400000_NS6detail17trampoline_kernelINS0_14default_configENS1_29reduce_by_key_config_selectorIllN6thrust23THRUST_200600_302600_NS4plusIlEEEEZZNS1_33reduce_by_key_impl_wrapped_configILNS1_25lookback_scan_determinismE0ES3_S9_NS6_18transform_iteratorI6div_opNS6_17counting_iteratorIlNS6_11use_defaultESF_SF_EESF_SF_EENSC_I6mod_opSG_SF_SF_EENS6_6detail15normal_iteratorINS6_10device_ptrIlEEEESO_PmS8_NS6_8equal_toIlEEEE10hipError_tPvRmT2_T3_mT4_T5_T6_T7_T8_P12ihipStream_tbENKUlT_T0_E_clISt17integral_constantIbLb0EES19_EEDaS14_S15_EUlS14_E_NS1_11comp_targetILNS1_3genE2ELNS1_11target_archE906ELNS1_3gpuE6ELNS1_3repE0EEENS1_30default_config_static_selectorELNS0_4arch9wavefront6targetE0EEEvT1_ ; -- Begin function _ZN7rocprim17ROCPRIM_400000_NS6detail17trampoline_kernelINS0_14default_configENS1_29reduce_by_key_config_selectorIllN6thrust23THRUST_200600_302600_NS4plusIlEEEEZZNS1_33reduce_by_key_impl_wrapped_configILNS1_25lookback_scan_determinismE0ES3_S9_NS6_18transform_iteratorI6div_opNS6_17counting_iteratorIlNS6_11use_defaultESF_SF_EESF_SF_EENSC_I6mod_opSG_SF_SF_EENS6_6detail15normal_iteratorINS6_10device_ptrIlEEEESO_PmS8_NS6_8equal_toIlEEEE10hipError_tPvRmT2_T3_mT4_T5_T6_T7_T8_P12ihipStream_tbENKUlT_T0_E_clISt17integral_constantIbLb0EES19_EEDaS14_S15_EUlS14_E_NS1_11comp_targetILNS1_3genE2ELNS1_11target_archE906ELNS1_3gpuE6ELNS1_3repE0EEENS1_30default_config_static_selectorELNS0_4arch9wavefront6targetE0EEEvT1_
	.globl	_ZN7rocprim17ROCPRIM_400000_NS6detail17trampoline_kernelINS0_14default_configENS1_29reduce_by_key_config_selectorIllN6thrust23THRUST_200600_302600_NS4plusIlEEEEZZNS1_33reduce_by_key_impl_wrapped_configILNS1_25lookback_scan_determinismE0ES3_S9_NS6_18transform_iteratorI6div_opNS6_17counting_iteratorIlNS6_11use_defaultESF_SF_EESF_SF_EENSC_I6mod_opSG_SF_SF_EENS6_6detail15normal_iteratorINS6_10device_ptrIlEEEESO_PmS8_NS6_8equal_toIlEEEE10hipError_tPvRmT2_T3_mT4_T5_T6_T7_T8_P12ihipStream_tbENKUlT_T0_E_clISt17integral_constantIbLb0EES19_EEDaS14_S15_EUlS14_E_NS1_11comp_targetILNS1_3genE2ELNS1_11target_archE906ELNS1_3gpuE6ELNS1_3repE0EEENS1_30default_config_static_selectorELNS0_4arch9wavefront6targetE0EEEvT1_
	.p2align	8
	.type	_ZN7rocprim17ROCPRIM_400000_NS6detail17trampoline_kernelINS0_14default_configENS1_29reduce_by_key_config_selectorIllN6thrust23THRUST_200600_302600_NS4plusIlEEEEZZNS1_33reduce_by_key_impl_wrapped_configILNS1_25lookback_scan_determinismE0ES3_S9_NS6_18transform_iteratorI6div_opNS6_17counting_iteratorIlNS6_11use_defaultESF_SF_EESF_SF_EENSC_I6mod_opSG_SF_SF_EENS6_6detail15normal_iteratorINS6_10device_ptrIlEEEESO_PmS8_NS6_8equal_toIlEEEE10hipError_tPvRmT2_T3_mT4_T5_T6_T7_T8_P12ihipStream_tbENKUlT_T0_E_clISt17integral_constantIbLb0EES19_EEDaS14_S15_EUlS14_E_NS1_11comp_targetILNS1_3genE2ELNS1_11target_archE906ELNS1_3gpuE6ELNS1_3repE0EEENS1_30default_config_static_selectorELNS0_4arch9wavefront6targetE0EEEvT1_,@function
_ZN7rocprim17ROCPRIM_400000_NS6detail17trampoline_kernelINS0_14default_configENS1_29reduce_by_key_config_selectorIllN6thrust23THRUST_200600_302600_NS4plusIlEEEEZZNS1_33reduce_by_key_impl_wrapped_configILNS1_25lookback_scan_determinismE0ES3_S9_NS6_18transform_iteratorI6div_opNS6_17counting_iteratorIlNS6_11use_defaultESF_SF_EESF_SF_EENSC_I6mod_opSG_SF_SF_EENS6_6detail15normal_iteratorINS6_10device_ptrIlEEEESO_PmS8_NS6_8equal_toIlEEEE10hipError_tPvRmT2_T3_mT4_T5_T6_T7_T8_P12ihipStream_tbENKUlT_T0_E_clISt17integral_constantIbLb0EES19_EEDaS14_S15_EUlS14_E_NS1_11comp_targetILNS1_3genE2ELNS1_11target_archE906ELNS1_3gpuE6ELNS1_3repE0EEENS1_30default_config_static_selectorELNS0_4arch9wavefront6targetE0EEEvT1_: ; @_ZN7rocprim17ROCPRIM_400000_NS6detail17trampoline_kernelINS0_14default_configENS1_29reduce_by_key_config_selectorIllN6thrust23THRUST_200600_302600_NS4plusIlEEEEZZNS1_33reduce_by_key_impl_wrapped_configILNS1_25lookback_scan_determinismE0ES3_S9_NS6_18transform_iteratorI6div_opNS6_17counting_iteratorIlNS6_11use_defaultESF_SF_EESF_SF_EENSC_I6mod_opSG_SF_SF_EENS6_6detail15normal_iteratorINS6_10device_ptrIlEEEESO_PmS8_NS6_8equal_toIlEEEE10hipError_tPvRmT2_T3_mT4_T5_T6_T7_T8_P12ihipStream_tbENKUlT_T0_E_clISt17integral_constantIbLb0EES19_EEDaS14_S15_EUlS14_E_NS1_11comp_targetILNS1_3genE2ELNS1_11target_archE906ELNS1_3gpuE6ELNS1_3repE0EEENS1_30default_config_static_selectorELNS0_4arch9wavefront6targetE0EEEvT1_
; %bb.0:
	.section	.rodata,"a",@progbits
	.p2align	6, 0x0
	.amdhsa_kernel _ZN7rocprim17ROCPRIM_400000_NS6detail17trampoline_kernelINS0_14default_configENS1_29reduce_by_key_config_selectorIllN6thrust23THRUST_200600_302600_NS4plusIlEEEEZZNS1_33reduce_by_key_impl_wrapped_configILNS1_25lookback_scan_determinismE0ES3_S9_NS6_18transform_iteratorI6div_opNS6_17counting_iteratorIlNS6_11use_defaultESF_SF_EESF_SF_EENSC_I6mod_opSG_SF_SF_EENS6_6detail15normal_iteratorINS6_10device_ptrIlEEEESO_PmS8_NS6_8equal_toIlEEEE10hipError_tPvRmT2_T3_mT4_T5_T6_T7_T8_P12ihipStream_tbENKUlT_T0_E_clISt17integral_constantIbLb0EES19_EEDaS14_S15_EUlS14_E_NS1_11comp_targetILNS1_3genE2ELNS1_11target_archE906ELNS1_3gpuE6ELNS1_3repE0EEENS1_30default_config_static_selectorELNS0_4arch9wavefront6targetE0EEEvT1_
		.amdhsa_group_segment_fixed_size 0
		.amdhsa_private_segment_fixed_size 0
		.amdhsa_kernarg_size 152
		.amdhsa_user_sgpr_count 15
		.amdhsa_user_sgpr_dispatch_ptr 0
		.amdhsa_user_sgpr_queue_ptr 0
		.amdhsa_user_sgpr_kernarg_segment_ptr 1
		.amdhsa_user_sgpr_dispatch_id 0
		.amdhsa_user_sgpr_private_segment_size 0
		.amdhsa_wavefront_size32 1
		.amdhsa_uses_dynamic_stack 0
		.amdhsa_enable_private_segment 0
		.amdhsa_system_sgpr_workgroup_id_x 1
		.amdhsa_system_sgpr_workgroup_id_y 0
		.amdhsa_system_sgpr_workgroup_id_z 0
		.amdhsa_system_sgpr_workgroup_info 0
		.amdhsa_system_vgpr_workitem_id 0
		.amdhsa_next_free_vgpr 1
		.amdhsa_next_free_sgpr 1
		.amdhsa_reserve_vcc 0
		.amdhsa_float_round_mode_32 0
		.amdhsa_float_round_mode_16_64 0
		.amdhsa_float_denorm_mode_32 3
		.amdhsa_float_denorm_mode_16_64 3
		.amdhsa_dx10_clamp 1
		.amdhsa_ieee_mode 1
		.amdhsa_fp16_overflow 0
		.amdhsa_workgroup_processor_mode 1
		.amdhsa_memory_ordered 1
		.amdhsa_forward_progress 0
		.amdhsa_shared_vgpr_count 0
		.amdhsa_exception_fp_ieee_invalid_op 0
		.amdhsa_exception_fp_denorm_src 0
		.amdhsa_exception_fp_ieee_div_zero 0
		.amdhsa_exception_fp_ieee_overflow 0
		.amdhsa_exception_fp_ieee_underflow 0
		.amdhsa_exception_fp_ieee_inexact 0
		.amdhsa_exception_int_div_zero 0
	.end_amdhsa_kernel
	.section	.text._ZN7rocprim17ROCPRIM_400000_NS6detail17trampoline_kernelINS0_14default_configENS1_29reduce_by_key_config_selectorIllN6thrust23THRUST_200600_302600_NS4plusIlEEEEZZNS1_33reduce_by_key_impl_wrapped_configILNS1_25lookback_scan_determinismE0ES3_S9_NS6_18transform_iteratorI6div_opNS6_17counting_iteratorIlNS6_11use_defaultESF_SF_EESF_SF_EENSC_I6mod_opSG_SF_SF_EENS6_6detail15normal_iteratorINS6_10device_ptrIlEEEESO_PmS8_NS6_8equal_toIlEEEE10hipError_tPvRmT2_T3_mT4_T5_T6_T7_T8_P12ihipStream_tbENKUlT_T0_E_clISt17integral_constantIbLb0EES19_EEDaS14_S15_EUlS14_E_NS1_11comp_targetILNS1_3genE2ELNS1_11target_archE906ELNS1_3gpuE6ELNS1_3repE0EEENS1_30default_config_static_selectorELNS0_4arch9wavefront6targetE0EEEvT1_,"axG",@progbits,_ZN7rocprim17ROCPRIM_400000_NS6detail17trampoline_kernelINS0_14default_configENS1_29reduce_by_key_config_selectorIllN6thrust23THRUST_200600_302600_NS4plusIlEEEEZZNS1_33reduce_by_key_impl_wrapped_configILNS1_25lookback_scan_determinismE0ES3_S9_NS6_18transform_iteratorI6div_opNS6_17counting_iteratorIlNS6_11use_defaultESF_SF_EESF_SF_EENSC_I6mod_opSG_SF_SF_EENS6_6detail15normal_iteratorINS6_10device_ptrIlEEEESO_PmS8_NS6_8equal_toIlEEEE10hipError_tPvRmT2_T3_mT4_T5_T6_T7_T8_P12ihipStream_tbENKUlT_T0_E_clISt17integral_constantIbLb0EES19_EEDaS14_S15_EUlS14_E_NS1_11comp_targetILNS1_3genE2ELNS1_11target_archE906ELNS1_3gpuE6ELNS1_3repE0EEENS1_30default_config_static_selectorELNS0_4arch9wavefront6targetE0EEEvT1_,comdat
.Lfunc_end1136:
	.size	_ZN7rocprim17ROCPRIM_400000_NS6detail17trampoline_kernelINS0_14default_configENS1_29reduce_by_key_config_selectorIllN6thrust23THRUST_200600_302600_NS4plusIlEEEEZZNS1_33reduce_by_key_impl_wrapped_configILNS1_25lookback_scan_determinismE0ES3_S9_NS6_18transform_iteratorI6div_opNS6_17counting_iteratorIlNS6_11use_defaultESF_SF_EESF_SF_EENSC_I6mod_opSG_SF_SF_EENS6_6detail15normal_iteratorINS6_10device_ptrIlEEEESO_PmS8_NS6_8equal_toIlEEEE10hipError_tPvRmT2_T3_mT4_T5_T6_T7_T8_P12ihipStream_tbENKUlT_T0_E_clISt17integral_constantIbLb0EES19_EEDaS14_S15_EUlS14_E_NS1_11comp_targetILNS1_3genE2ELNS1_11target_archE906ELNS1_3gpuE6ELNS1_3repE0EEENS1_30default_config_static_selectorELNS0_4arch9wavefront6targetE0EEEvT1_, .Lfunc_end1136-_ZN7rocprim17ROCPRIM_400000_NS6detail17trampoline_kernelINS0_14default_configENS1_29reduce_by_key_config_selectorIllN6thrust23THRUST_200600_302600_NS4plusIlEEEEZZNS1_33reduce_by_key_impl_wrapped_configILNS1_25lookback_scan_determinismE0ES3_S9_NS6_18transform_iteratorI6div_opNS6_17counting_iteratorIlNS6_11use_defaultESF_SF_EESF_SF_EENSC_I6mod_opSG_SF_SF_EENS6_6detail15normal_iteratorINS6_10device_ptrIlEEEESO_PmS8_NS6_8equal_toIlEEEE10hipError_tPvRmT2_T3_mT4_T5_T6_T7_T8_P12ihipStream_tbENKUlT_T0_E_clISt17integral_constantIbLb0EES19_EEDaS14_S15_EUlS14_E_NS1_11comp_targetILNS1_3genE2ELNS1_11target_archE906ELNS1_3gpuE6ELNS1_3repE0EEENS1_30default_config_static_selectorELNS0_4arch9wavefront6targetE0EEEvT1_
                                        ; -- End function
	.section	.AMDGPU.csdata,"",@progbits
; Kernel info:
; codeLenInByte = 0
; NumSgprs: 0
; NumVgprs: 0
; ScratchSize: 0
; MemoryBound: 0
; FloatMode: 240
; IeeeMode: 1
; LDSByteSize: 0 bytes/workgroup (compile time only)
; SGPRBlocks: 0
; VGPRBlocks: 0
; NumSGPRsForWavesPerEU: 1
; NumVGPRsForWavesPerEU: 1
; Occupancy: 16
; WaveLimiterHint : 0
; COMPUTE_PGM_RSRC2:SCRATCH_EN: 0
; COMPUTE_PGM_RSRC2:USER_SGPR: 15
; COMPUTE_PGM_RSRC2:TRAP_HANDLER: 0
; COMPUTE_PGM_RSRC2:TGID_X_EN: 1
; COMPUTE_PGM_RSRC2:TGID_Y_EN: 0
; COMPUTE_PGM_RSRC2:TGID_Z_EN: 0
; COMPUTE_PGM_RSRC2:TIDIG_COMP_CNT: 0
	.section	.text._ZN7rocprim17ROCPRIM_400000_NS6detail17trampoline_kernelINS0_14default_configENS1_29reduce_by_key_config_selectorIllN6thrust23THRUST_200600_302600_NS4plusIlEEEEZZNS1_33reduce_by_key_impl_wrapped_configILNS1_25lookback_scan_determinismE0ES3_S9_NS6_18transform_iteratorI6div_opNS6_17counting_iteratorIlNS6_11use_defaultESF_SF_EESF_SF_EENSC_I6mod_opSG_SF_SF_EENS6_6detail15normal_iteratorINS6_10device_ptrIlEEEESO_PmS8_NS6_8equal_toIlEEEE10hipError_tPvRmT2_T3_mT4_T5_T6_T7_T8_P12ihipStream_tbENKUlT_T0_E_clISt17integral_constantIbLb0EES19_EEDaS14_S15_EUlS14_E_NS1_11comp_targetILNS1_3genE10ELNS1_11target_archE1201ELNS1_3gpuE5ELNS1_3repE0EEENS1_30default_config_static_selectorELNS0_4arch9wavefront6targetE0EEEvT1_,"axG",@progbits,_ZN7rocprim17ROCPRIM_400000_NS6detail17trampoline_kernelINS0_14default_configENS1_29reduce_by_key_config_selectorIllN6thrust23THRUST_200600_302600_NS4plusIlEEEEZZNS1_33reduce_by_key_impl_wrapped_configILNS1_25lookback_scan_determinismE0ES3_S9_NS6_18transform_iteratorI6div_opNS6_17counting_iteratorIlNS6_11use_defaultESF_SF_EESF_SF_EENSC_I6mod_opSG_SF_SF_EENS6_6detail15normal_iteratorINS6_10device_ptrIlEEEESO_PmS8_NS6_8equal_toIlEEEE10hipError_tPvRmT2_T3_mT4_T5_T6_T7_T8_P12ihipStream_tbENKUlT_T0_E_clISt17integral_constantIbLb0EES19_EEDaS14_S15_EUlS14_E_NS1_11comp_targetILNS1_3genE10ELNS1_11target_archE1201ELNS1_3gpuE5ELNS1_3repE0EEENS1_30default_config_static_selectorELNS0_4arch9wavefront6targetE0EEEvT1_,comdat
	.protected	_ZN7rocprim17ROCPRIM_400000_NS6detail17trampoline_kernelINS0_14default_configENS1_29reduce_by_key_config_selectorIllN6thrust23THRUST_200600_302600_NS4plusIlEEEEZZNS1_33reduce_by_key_impl_wrapped_configILNS1_25lookback_scan_determinismE0ES3_S9_NS6_18transform_iteratorI6div_opNS6_17counting_iteratorIlNS6_11use_defaultESF_SF_EESF_SF_EENSC_I6mod_opSG_SF_SF_EENS6_6detail15normal_iteratorINS6_10device_ptrIlEEEESO_PmS8_NS6_8equal_toIlEEEE10hipError_tPvRmT2_T3_mT4_T5_T6_T7_T8_P12ihipStream_tbENKUlT_T0_E_clISt17integral_constantIbLb0EES19_EEDaS14_S15_EUlS14_E_NS1_11comp_targetILNS1_3genE10ELNS1_11target_archE1201ELNS1_3gpuE5ELNS1_3repE0EEENS1_30default_config_static_selectorELNS0_4arch9wavefront6targetE0EEEvT1_ ; -- Begin function _ZN7rocprim17ROCPRIM_400000_NS6detail17trampoline_kernelINS0_14default_configENS1_29reduce_by_key_config_selectorIllN6thrust23THRUST_200600_302600_NS4plusIlEEEEZZNS1_33reduce_by_key_impl_wrapped_configILNS1_25lookback_scan_determinismE0ES3_S9_NS6_18transform_iteratorI6div_opNS6_17counting_iteratorIlNS6_11use_defaultESF_SF_EESF_SF_EENSC_I6mod_opSG_SF_SF_EENS6_6detail15normal_iteratorINS6_10device_ptrIlEEEESO_PmS8_NS6_8equal_toIlEEEE10hipError_tPvRmT2_T3_mT4_T5_T6_T7_T8_P12ihipStream_tbENKUlT_T0_E_clISt17integral_constantIbLb0EES19_EEDaS14_S15_EUlS14_E_NS1_11comp_targetILNS1_3genE10ELNS1_11target_archE1201ELNS1_3gpuE5ELNS1_3repE0EEENS1_30default_config_static_selectorELNS0_4arch9wavefront6targetE0EEEvT1_
	.globl	_ZN7rocprim17ROCPRIM_400000_NS6detail17trampoline_kernelINS0_14default_configENS1_29reduce_by_key_config_selectorIllN6thrust23THRUST_200600_302600_NS4plusIlEEEEZZNS1_33reduce_by_key_impl_wrapped_configILNS1_25lookback_scan_determinismE0ES3_S9_NS6_18transform_iteratorI6div_opNS6_17counting_iteratorIlNS6_11use_defaultESF_SF_EESF_SF_EENSC_I6mod_opSG_SF_SF_EENS6_6detail15normal_iteratorINS6_10device_ptrIlEEEESO_PmS8_NS6_8equal_toIlEEEE10hipError_tPvRmT2_T3_mT4_T5_T6_T7_T8_P12ihipStream_tbENKUlT_T0_E_clISt17integral_constantIbLb0EES19_EEDaS14_S15_EUlS14_E_NS1_11comp_targetILNS1_3genE10ELNS1_11target_archE1201ELNS1_3gpuE5ELNS1_3repE0EEENS1_30default_config_static_selectorELNS0_4arch9wavefront6targetE0EEEvT1_
	.p2align	8
	.type	_ZN7rocprim17ROCPRIM_400000_NS6detail17trampoline_kernelINS0_14default_configENS1_29reduce_by_key_config_selectorIllN6thrust23THRUST_200600_302600_NS4plusIlEEEEZZNS1_33reduce_by_key_impl_wrapped_configILNS1_25lookback_scan_determinismE0ES3_S9_NS6_18transform_iteratorI6div_opNS6_17counting_iteratorIlNS6_11use_defaultESF_SF_EESF_SF_EENSC_I6mod_opSG_SF_SF_EENS6_6detail15normal_iteratorINS6_10device_ptrIlEEEESO_PmS8_NS6_8equal_toIlEEEE10hipError_tPvRmT2_T3_mT4_T5_T6_T7_T8_P12ihipStream_tbENKUlT_T0_E_clISt17integral_constantIbLb0EES19_EEDaS14_S15_EUlS14_E_NS1_11comp_targetILNS1_3genE10ELNS1_11target_archE1201ELNS1_3gpuE5ELNS1_3repE0EEENS1_30default_config_static_selectorELNS0_4arch9wavefront6targetE0EEEvT1_,@function
_ZN7rocprim17ROCPRIM_400000_NS6detail17trampoline_kernelINS0_14default_configENS1_29reduce_by_key_config_selectorIllN6thrust23THRUST_200600_302600_NS4plusIlEEEEZZNS1_33reduce_by_key_impl_wrapped_configILNS1_25lookback_scan_determinismE0ES3_S9_NS6_18transform_iteratorI6div_opNS6_17counting_iteratorIlNS6_11use_defaultESF_SF_EESF_SF_EENSC_I6mod_opSG_SF_SF_EENS6_6detail15normal_iteratorINS6_10device_ptrIlEEEESO_PmS8_NS6_8equal_toIlEEEE10hipError_tPvRmT2_T3_mT4_T5_T6_T7_T8_P12ihipStream_tbENKUlT_T0_E_clISt17integral_constantIbLb0EES19_EEDaS14_S15_EUlS14_E_NS1_11comp_targetILNS1_3genE10ELNS1_11target_archE1201ELNS1_3gpuE5ELNS1_3repE0EEENS1_30default_config_static_selectorELNS0_4arch9wavefront6targetE0EEEvT1_: ; @_ZN7rocprim17ROCPRIM_400000_NS6detail17trampoline_kernelINS0_14default_configENS1_29reduce_by_key_config_selectorIllN6thrust23THRUST_200600_302600_NS4plusIlEEEEZZNS1_33reduce_by_key_impl_wrapped_configILNS1_25lookback_scan_determinismE0ES3_S9_NS6_18transform_iteratorI6div_opNS6_17counting_iteratorIlNS6_11use_defaultESF_SF_EESF_SF_EENSC_I6mod_opSG_SF_SF_EENS6_6detail15normal_iteratorINS6_10device_ptrIlEEEESO_PmS8_NS6_8equal_toIlEEEE10hipError_tPvRmT2_T3_mT4_T5_T6_T7_T8_P12ihipStream_tbENKUlT_T0_E_clISt17integral_constantIbLb0EES19_EEDaS14_S15_EUlS14_E_NS1_11comp_targetILNS1_3genE10ELNS1_11target_archE1201ELNS1_3gpuE5ELNS1_3repE0EEENS1_30default_config_static_selectorELNS0_4arch9wavefront6targetE0EEEvT1_
; %bb.0:
	.section	.rodata,"a",@progbits
	.p2align	6, 0x0
	.amdhsa_kernel _ZN7rocprim17ROCPRIM_400000_NS6detail17trampoline_kernelINS0_14default_configENS1_29reduce_by_key_config_selectorIllN6thrust23THRUST_200600_302600_NS4plusIlEEEEZZNS1_33reduce_by_key_impl_wrapped_configILNS1_25lookback_scan_determinismE0ES3_S9_NS6_18transform_iteratorI6div_opNS6_17counting_iteratorIlNS6_11use_defaultESF_SF_EESF_SF_EENSC_I6mod_opSG_SF_SF_EENS6_6detail15normal_iteratorINS6_10device_ptrIlEEEESO_PmS8_NS6_8equal_toIlEEEE10hipError_tPvRmT2_T3_mT4_T5_T6_T7_T8_P12ihipStream_tbENKUlT_T0_E_clISt17integral_constantIbLb0EES19_EEDaS14_S15_EUlS14_E_NS1_11comp_targetILNS1_3genE10ELNS1_11target_archE1201ELNS1_3gpuE5ELNS1_3repE0EEENS1_30default_config_static_selectorELNS0_4arch9wavefront6targetE0EEEvT1_
		.amdhsa_group_segment_fixed_size 0
		.amdhsa_private_segment_fixed_size 0
		.amdhsa_kernarg_size 152
		.amdhsa_user_sgpr_count 15
		.amdhsa_user_sgpr_dispatch_ptr 0
		.amdhsa_user_sgpr_queue_ptr 0
		.amdhsa_user_sgpr_kernarg_segment_ptr 1
		.amdhsa_user_sgpr_dispatch_id 0
		.amdhsa_user_sgpr_private_segment_size 0
		.amdhsa_wavefront_size32 1
		.amdhsa_uses_dynamic_stack 0
		.amdhsa_enable_private_segment 0
		.amdhsa_system_sgpr_workgroup_id_x 1
		.amdhsa_system_sgpr_workgroup_id_y 0
		.amdhsa_system_sgpr_workgroup_id_z 0
		.amdhsa_system_sgpr_workgroup_info 0
		.amdhsa_system_vgpr_workitem_id 0
		.amdhsa_next_free_vgpr 1
		.amdhsa_next_free_sgpr 1
		.amdhsa_reserve_vcc 0
		.amdhsa_float_round_mode_32 0
		.amdhsa_float_round_mode_16_64 0
		.amdhsa_float_denorm_mode_32 3
		.amdhsa_float_denorm_mode_16_64 3
		.amdhsa_dx10_clamp 1
		.amdhsa_ieee_mode 1
		.amdhsa_fp16_overflow 0
		.amdhsa_workgroup_processor_mode 1
		.amdhsa_memory_ordered 1
		.amdhsa_forward_progress 0
		.amdhsa_shared_vgpr_count 0
		.amdhsa_exception_fp_ieee_invalid_op 0
		.amdhsa_exception_fp_denorm_src 0
		.amdhsa_exception_fp_ieee_div_zero 0
		.amdhsa_exception_fp_ieee_overflow 0
		.amdhsa_exception_fp_ieee_underflow 0
		.amdhsa_exception_fp_ieee_inexact 0
		.amdhsa_exception_int_div_zero 0
	.end_amdhsa_kernel
	.section	.text._ZN7rocprim17ROCPRIM_400000_NS6detail17trampoline_kernelINS0_14default_configENS1_29reduce_by_key_config_selectorIllN6thrust23THRUST_200600_302600_NS4plusIlEEEEZZNS1_33reduce_by_key_impl_wrapped_configILNS1_25lookback_scan_determinismE0ES3_S9_NS6_18transform_iteratorI6div_opNS6_17counting_iteratorIlNS6_11use_defaultESF_SF_EESF_SF_EENSC_I6mod_opSG_SF_SF_EENS6_6detail15normal_iteratorINS6_10device_ptrIlEEEESO_PmS8_NS6_8equal_toIlEEEE10hipError_tPvRmT2_T3_mT4_T5_T6_T7_T8_P12ihipStream_tbENKUlT_T0_E_clISt17integral_constantIbLb0EES19_EEDaS14_S15_EUlS14_E_NS1_11comp_targetILNS1_3genE10ELNS1_11target_archE1201ELNS1_3gpuE5ELNS1_3repE0EEENS1_30default_config_static_selectorELNS0_4arch9wavefront6targetE0EEEvT1_,"axG",@progbits,_ZN7rocprim17ROCPRIM_400000_NS6detail17trampoline_kernelINS0_14default_configENS1_29reduce_by_key_config_selectorIllN6thrust23THRUST_200600_302600_NS4plusIlEEEEZZNS1_33reduce_by_key_impl_wrapped_configILNS1_25lookback_scan_determinismE0ES3_S9_NS6_18transform_iteratorI6div_opNS6_17counting_iteratorIlNS6_11use_defaultESF_SF_EESF_SF_EENSC_I6mod_opSG_SF_SF_EENS6_6detail15normal_iteratorINS6_10device_ptrIlEEEESO_PmS8_NS6_8equal_toIlEEEE10hipError_tPvRmT2_T3_mT4_T5_T6_T7_T8_P12ihipStream_tbENKUlT_T0_E_clISt17integral_constantIbLb0EES19_EEDaS14_S15_EUlS14_E_NS1_11comp_targetILNS1_3genE10ELNS1_11target_archE1201ELNS1_3gpuE5ELNS1_3repE0EEENS1_30default_config_static_selectorELNS0_4arch9wavefront6targetE0EEEvT1_,comdat
.Lfunc_end1137:
	.size	_ZN7rocprim17ROCPRIM_400000_NS6detail17trampoline_kernelINS0_14default_configENS1_29reduce_by_key_config_selectorIllN6thrust23THRUST_200600_302600_NS4plusIlEEEEZZNS1_33reduce_by_key_impl_wrapped_configILNS1_25lookback_scan_determinismE0ES3_S9_NS6_18transform_iteratorI6div_opNS6_17counting_iteratorIlNS6_11use_defaultESF_SF_EESF_SF_EENSC_I6mod_opSG_SF_SF_EENS6_6detail15normal_iteratorINS6_10device_ptrIlEEEESO_PmS8_NS6_8equal_toIlEEEE10hipError_tPvRmT2_T3_mT4_T5_T6_T7_T8_P12ihipStream_tbENKUlT_T0_E_clISt17integral_constantIbLb0EES19_EEDaS14_S15_EUlS14_E_NS1_11comp_targetILNS1_3genE10ELNS1_11target_archE1201ELNS1_3gpuE5ELNS1_3repE0EEENS1_30default_config_static_selectorELNS0_4arch9wavefront6targetE0EEEvT1_, .Lfunc_end1137-_ZN7rocprim17ROCPRIM_400000_NS6detail17trampoline_kernelINS0_14default_configENS1_29reduce_by_key_config_selectorIllN6thrust23THRUST_200600_302600_NS4plusIlEEEEZZNS1_33reduce_by_key_impl_wrapped_configILNS1_25lookback_scan_determinismE0ES3_S9_NS6_18transform_iteratorI6div_opNS6_17counting_iteratorIlNS6_11use_defaultESF_SF_EESF_SF_EENSC_I6mod_opSG_SF_SF_EENS6_6detail15normal_iteratorINS6_10device_ptrIlEEEESO_PmS8_NS6_8equal_toIlEEEE10hipError_tPvRmT2_T3_mT4_T5_T6_T7_T8_P12ihipStream_tbENKUlT_T0_E_clISt17integral_constantIbLb0EES19_EEDaS14_S15_EUlS14_E_NS1_11comp_targetILNS1_3genE10ELNS1_11target_archE1201ELNS1_3gpuE5ELNS1_3repE0EEENS1_30default_config_static_selectorELNS0_4arch9wavefront6targetE0EEEvT1_
                                        ; -- End function
	.section	.AMDGPU.csdata,"",@progbits
; Kernel info:
; codeLenInByte = 0
; NumSgprs: 0
; NumVgprs: 0
; ScratchSize: 0
; MemoryBound: 0
; FloatMode: 240
; IeeeMode: 1
; LDSByteSize: 0 bytes/workgroup (compile time only)
; SGPRBlocks: 0
; VGPRBlocks: 0
; NumSGPRsForWavesPerEU: 1
; NumVGPRsForWavesPerEU: 1
; Occupancy: 16
; WaveLimiterHint : 0
; COMPUTE_PGM_RSRC2:SCRATCH_EN: 0
; COMPUTE_PGM_RSRC2:USER_SGPR: 15
; COMPUTE_PGM_RSRC2:TRAP_HANDLER: 0
; COMPUTE_PGM_RSRC2:TGID_X_EN: 1
; COMPUTE_PGM_RSRC2:TGID_Y_EN: 0
; COMPUTE_PGM_RSRC2:TGID_Z_EN: 0
; COMPUTE_PGM_RSRC2:TIDIG_COMP_CNT: 0
	.section	.text._ZN7rocprim17ROCPRIM_400000_NS6detail17trampoline_kernelINS0_14default_configENS1_29reduce_by_key_config_selectorIllN6thrust23THRUST_200600_302600_NS4plusIlEEEEZZNS1_33reduce_by_key_impl_wrapped_configILNS1_25lookback_scan_determinismE0ES3_S9_NS6_18transform_iteratorI6div_opNS6_17counting_iteratorIlNS6_11use_defaultESF_SF_EESF_SF_EENSC_I6mod_opSG_SF_SF_EENS6_6detail15normal_iteratorINS6_10device_ptrIlEEEESO_PmS8_NS6_8equal_toIlEEEE10hipError_tPvRmT2_T3_mT4_T5_T6_T7_T8_P12ihipStream_tbENKUlT_T0_E_clISt17integral_constantIbLb0EES19_EEDaS14_S15_EUlS14_E_NS1_11comp_targetILNS1_3genE10ELNS1_11target_archE1200ELNS1_3gpuE4ELNS1_3repE0EEENS1_30default_config_static_selectorELNS0_4arch9wavefront6targetE0EEEvT1_,"axG",@progbits,_ZN7rocprim17ROCPRIM_400000_NS6detail17trampoline_kernelINS0_14default_configENS1_29reduce_by_key_config_selectorIllN6thrust23THRUST_200600_302600_NS4plusIlEEEEZZNS1_33reduce_by_key_impl_wrapped_configILNS1_25lookback_scan_determinismE0ES3_S9_NS6_18transform_iteratorI6div_opNS6_17counting_iteratorIlNS6_11use_defaultESF_SF_EESF_SF_EENSC_I6mod_opSG_SF_SF_EENS6_6detail15normal_iteratorINS6_10device_ptrIlEEEESO_PmS8_NS6_8equal_toIlEEEE10hipError_tPvRmT2_T3_mT4_T5_T6_T7_T8_P12ihipStream_tbENKUlT_T0_E_clISt17integral_constantIbLb0EES19_EEDaS14_S15_EUlS14_E_NS1_11comp_targetILNS1_3genE10ELNS1_11target_archE1200ELNS1_3gpuE4ELNS1_3repE0EEENS1_30default_config_static_selectorELNS0_4arch9wavefront6targetE0EEEvT1_,comdat
	.protected	_ZN7rocprim17ROCPRIM_400000_NS6detail17trampoline_kernelINS0_14default_configENS1_29reduce_by_key_config_selectorIllN6thrust23THRUST_200600_302600_NS4plusIlEEEEZZNS1_33reduce_by_key_impl_wrapped_configILNS1_25lookback_scan_determinismE0ES3_S9_NS6_18transform_iteratorI6div_opNS6_17counting_iteratorIlNS6_11use_defaultESF_SF_EESF_SF_EENSC_I6mod_opSG_SF_SF_EENS6_6detail15normal_iteratorINS6_10device_ptrIlEEEESO_PmS8_NS6_8equal_toIlEEEE10hipError_tPvRmT2_T3_mT4_T5_T6_T7_T8_P12ihipStream_tbENKUlT_T0_E_clISt17integral_constantIbLb0EES19_EEDaS14_S15_EUlS14_E_NS1_11comp_targetILNS1_3genE10ELNS1_11target_archE1200ELNS1_3gpuE4ELNS1_3repE0EEENS1_30default_config_static_selectorELNS0_4arch9wavefront6targetE0EEEvT1_ ; -- Begin function _ZN7rocprim17ROCPRIM_400000_NS6detail17trampoline_kernelINS0_14default_configENS1_29reduce_by_key_config_selectorIllN6thrust23THRUST_200600_302600_NS4plusIlEEEEZZNS1_33reduce_by_key_impl_wrapped_configILNS1_25lookback_scan_determinismE0ES3_S9_NS6_18transform_iteratorI6div_opNS6_17counting_iteratorIlNS6_11use_defaultESF_SF_EESF_SF_EENSC_I6mod_opSG_SF_SF_EENS6_6detail15normal_iteratorINS6_10device_ptrIlEEEESO_PmS8_NS6_8equal_toIlEEEE10hipError_tPvRmT2_T3_mT4_T5_T6_T7_T8_P12ihipStream_tbENKUlT_T0_E_clISt17integral_constantIbLb0EES19_EEDaS14_S15_EUlS14_E_NS1_11comp_targetILNS1_3genE10ELNS1_11target_archE1200ELNS1_3gpuE4ELNS1_3repE0EEENS1_30default_config_static_selectorELNS0_4arch9wavefront6targetE0EEEvT1_
	.globl	_ZN7rocprim17ROCPRIM_400000_NS6detail17trampoline_kernelINS0_14default_configENS1_29reduce_by_key_config_selectorIllN6thrust23THRUST_200600_302600_NS4plusIlEEEEZZNS1_33reduce_by_key_impl_wrapped_configILNS1_25lookback_scan_determinismE0ES3_S9_NS6_18transform_iteratorI6div_opNS6_17counting_iteratorIlNS6_11use_defaultESF_SF_EESF_SF_EENSC_I6mod_opSG_SF_SF_EENS6_6detail15normal_iteratorINS6_10device_ptrIlEEEESO_PmS8_NS6_8equal_toIlEEEE10hipError_tPvRmT2_T3_mT4_T5_T6_T7_T8_P12ihipStream_tbENKUlT_T0_E_clISt17integral_constantIbLb0EES19_EEDaS14_S15_EUlS14_E_NS1_11comp_targetILNS1_3genE10ELNS1_11target_archE1200ELNS1_3gpuE4ELNS1_3repE0EEENS1_30default_config_static_selectorELNS0_4arch9wavefront6targetE0EEEvT1_
	.p2align	8
	.type	_ZN7rocprim17ROCPRIM_400000_NS6detail17trampoline_kernelINS0_14default_configENS1_29reduce_by_key_config_selectorIllN6thrust23THRUST_200600_302600_NS4plusIlEEEEZZNS1_33reduce_by_key_impl_wrapped_configILNS1_25lookback_scan_determinismE0ES3_S9_NS6_18transform_iteratorI6div_opNS6_17counting_iteratorIlNS6_11use_defaultESF_SF_EESF_SF_EENSC_I6mod_opSG_SF_SF_EENS6_6detail15normal_iteratorINS6_10device_ptrIlEEEESO_PmS8_NS6_8equal_toIlEEEE10hipError_tPvRmT2_T3_mT4_T5_T6_T7_T8_P12ihipStream_tbENKUlT_T0_E_clISt17integral_constantIbLb0EES19_EEDaS14_S15_EUlS14_E_NS1_11comp_targetILNS1_3genE10ELNS1_11target_archE1200ELNS1_3gpuE4ELNS1_3repE0EEENS1_30default_config_static_selectorELNS0_4arch9wavefront6targetE0EEEvT1_,@function
_ZN7rocprim17ROCPRIM_400000_NS6detail17trampoline_kernelINS0_14default_configENS1_29reduce_by_key_config_selectorIllN6thrust23THRUST_200600_302600_NS4plusIlEEEEZZNS1_33reduce_by_key_impl_wrapped_configILNS1_25lookback_scan_determinismE0ES3_S9_NS6_18transform_iteratorI6div_opNS6_17counting_iteratorIlNS6_11use_defaultESF_SF_EESF_SF_EENSC_I6mod_opSG_SF_SF_EENS6_6detail15normal_iteratorINS6_10device_ptrIlEEEESO_PmS8_NS6_8equal_toIlEEEE10hipError_tPvRmT2_T3_mT4_T5_T6_T7_T8_P12ihipStream_tbENKUlT_T0_E_clISt17integral_constantIbLb0EES19_EEDaS14_S15_EUlS14_E_NS1_11comp_targetILNS1_3genE10ELNS1_11target_archE1200ELNS1_3gpuE4ELNS1_3repE0EEENS1_30default_config_static_selectorELNS0_4arch9wavefront6targetE0EEEvT1_: ; @_ZN7rocprim17ROCPRIM_400000_NS6detail17trampoline_kernelINS0_14default_configENS1_29reduce_by_key_config_selectorIllN6thrust23THRUST_200600_302600_NS4plusIlEEEEZZNS1_33reduce_by_key_impl_wrapped_configILNS1_25lookback_scan_determinismE0ES3_S9_NS6_18transform_iteratorI6div_opNS6_17counting_iteratorIlNS6_11use_defaultESF_SF_EESF_SF_EENSC_I6mod_opSG_SF_SF_EENS6_6detail15normal_iteratorINS6_10device_ptrIlEEEESO_PmS8_NS6_8equal_toIlEEEE10hipError_tPvRmT2_T3_mT4_T5_T6_T7_T8_P12ihipStream_tbENKUlT_T0_E_clISt17integral_constantIbLb0EES19_EEDaS14_S15_EUlS14_E_NS1_11comp_targetILNS1_3genE10ELNS1_11target_archE1200ELNS1_3gpuE4ELNS1_3repE0EEENS1_30default_config_static_selectorELNS0_4arch9wavefront6targetE0EEEvT1_
; %bb.0:
	.section	.rodata,"a",@progbits
	.p2align	6, 0x0
	.amdhsa_kernel _ZN7rocprim17ROCPRIM_400000_NS6detail17trampoline_kernelINS0_14default_configENS1_29reduce_by_key_config_selectorIllN6thrust23THRUST_200600_302600_NS4plusIlEEEEZZNS1_33reduce_by_key_impl_wrapped_configILNS1_25lookback_scan_determinismE0ES3_S9_NS6_18transform_iteratorI6div_opNS6_17counting_iteratorIlNS6_11use_defaultESF_SF_EESF_SF_EENSC_I6mod_opSG_SF_SF_EENS6_6detail15normal_iteratorINS6_10device_ptrIlEEEESO_PmS8_NS6_8equal_toIlEEEE10hipError_tPvRmT2_T3_mT4_T5_T6_T7_T8_P12ihipStream_tbENKUlT_T0_E_clISt17integral_constantIbLb0EES19_EEDaS14_S15_EUlS14_E_NS1_11comp_targetILNS1_3genE10ELNS1_11target_archE1200ELNS1_3gpuE4ELNS1_3repE0EEENS1_30default_config_static_selectorELNS0_4arch9wavefront6targetE0EEEvT1_
		.amdhsa_group_segment_fixed_size 0
		.amdhsa_private_segment_fixed_size 0
		.amdhsa_kernarg_size 152
		.amdhsa_user_sgpr_count 15
		.amdhsa_user_sgpr_dispatch_ptr 0
		.amdhsa_user_sgpr_queue_ptr 0
		.amdhsa_user_sgpr_kernarg_segment_ptr 1
		.amdhsa_user_sgpr_dispatch_id 0
		.amdhsa_user_sgpr_private_segment_size 0
		.amdhsa_wavefront_size32 1
		.amdhsa_uses_dynamic_stack 0
		.amdhsa_enable_private_segment 0
		.amdhsa_system_sgpr_workgroup_id_x 1
		.amdhsa_system_sgpr_workgroup_id_y 0
		.amdhsa_system_sgpr_workgroup_id_z 0
		.amdhsa_system_sgpr_workgroup_info 0
		.amdhsa_system_vgpr_workitem_id 0
		.amdhsa_next_free_vgpr 1
		.amdhsa_next_free_sgpr 1
		.amdhsa_reserve_vcc 0
		.amdhsa_float_round_mode_32 0
		.amdhsa_float_round_mode_16_64 0
		.amdhsa_float_denorm_mode_32 3
		.amdhsa_float_denorm_mode_16_64 3
		.amdhsa_dx10_clamp 1
		.amdhsa_ieee_mode 1
		.amdhsa_fp16_overflow 0
		.amdhsa_workgroup_processor_mode 1
		.amdhsa_memory_ordered 1
		.amdhsa_forward_progress 0
		.amdhsa_shared_vgpr_count 0
		.amdhsa_exception_fp_ieee_invalid_op 0
		.amdhsa_exception_fp_denorm_src 0
		.amdhsa_exception_fp_ieee_div_zero 0
		.amdhsa_exception_fp_ieee_overflow 0
		.amdhsa_exception_fp_ieee_underflow 0
		.amdhsa_exception_fp_ieee_inexact 0
		.amdhsa_exception_int_div_zero 0
	.end_amdhsa_kernel
	.section	.text._ZN7rocprim17ROCPRIM_400000_NS6detail17trampoline_kernelINS0_14default_configENS1_29reduce_by_key_config_selectorIllN6thrust23THRUST_200600_302600_NS4plusIlEEEEZZNS1_33reduce_by_key_impl_wrapped_configILNS1_25lookback_scan_determinismE0ES3_S9_NS6_18transform_iteratorI6div_opNS6_17counting_iteratorIlNS6_11use_defaultESF_SF_EESF_SF_EENSC_I6mod_opSG_SF_SF_EENS6_6detail15normal_iteratorINS6_10device_ptrIlEEEESO_PmS8_NS6_8equal_toIlEEEE10hipError_tPvRmT2_T3_mT4_T5_T6_T7_T8_P12ihipStream_tbENKUlT_T0_E_clISt17integral_constantIbLb0EES19_EEDaS14_S15_EUlS14_E_NS1_11comp_targetILNS1_3genE10ELNS1_11target_archE1200ELNS1_3gpuE4ELNS1_3repE0EEENS1_30default_config_static_selectorELNS0_4arch9wavefront6targetE0EEEvT1_,"axG",@progbits,_ZN7rocprim17ROCPRIM_400000_NS6detail17trampoline_kernelINS0_14default_configENS1_29reduce_by_key_config_selectorIllN6thrust23THRUST_200600_302600_NS4plusIlEEEEZZNS1_33reduce_by_key_impl_wrapped_configILNS1_25lookback_scan_determinismE0ES3_S9_NS6_18transform_iteratorI6div_opNS6_17counting_iteratorIlNS6_11use_defaultESF_SF_EESF_SF_EENSC_I6mod_opSG_SF_SF_EENS6_6detail15normal_iteratorINS6_10device_ptrIlEEEESO_PmS8_NS6_8equal_toIlEEEE10hipError_tPvRmT2_T3_mT4_T5_T6_T7_T8_P12ihipStream_tbENKUlT_T0_E_clISt17integral_constantIbLb0EES19_EEDaS14_S15_EUlS14_E_NS1_11comp_targetILNS1_3genE10ELNS1_11target_archE1200ELNS1_3gpuE4ELNS1_3repE0EEENS1_30default_config_static_selectorELNS0_4arch9wavefront6targetE0EEEvT1_,comdat
.Lfunc_end1138:
	.size	_ZN7rocprim17ROCPRIM_400000_NS6detail17trampoline_kernelINS0_14default_configENS1_29reduce_by_key_config_selectorIllN6thrust23THRUST_200600_302600_NS4plusIlEEEEZZNS1_33reduce_by_key_impl_wrapped_configILNS1_25lookback_scan_determinismE0ES3_S9_NS6_18transform_iteratorI6div_opNS6_17counting_iteratorIlNS6_11use_defaultESF_SF_EESF_SF_EENSC_I6mod_opSG_SF_SF_EENS6_6detail15normal_iteratorINS6_10device_ptrIlEEEESO_PmS8_NS6_8equal_toIlEEEE10hipError_tPvRmT2_T3_mT4_T5_T6_T7_T8_P12ihipStream_tbENKUlT_T0_E_clISt17integral_constantIbLb0EES19_EEDaS14_S15_EUlS14_E_NS1_11comp_targetILNS1_3genE10ELNS1_11target_archE1200ELNS1_3gpuE4ELNS1_3repE0EEENS1_30default_config_static_selectorELNS0_4arch9wavefront6targetE0EEEvT1_, .Lfunc_end1138-_ZN7rocprim17ROCPRIM_400000_NS6detail17trampoline_kernelINS0_14default_configENS1_29reduce_by_key_config_selectorIllN6thrust23THRUST_200600_302600_NS4plusIlEEEEZZNS1_33reduce_by_key_impl_wrapped_configILNS1_25lookback_scan_determinismE0ES3_S9_NS6_18transform_iteratorI6div_opNS6_17counting_iteratorIlNS6_11use_defaultESF_SF_EESF_SF_EENSC_I6mod_opSG_SF_SF_EENS6_6detail15normal_iteratorINS6_10device_ptrIlEEEESO_PmS8_NS6_8equal_toIlEEEE10hipError_tPvRmT2_T3_mT4_T5_T6_T7_T8_P12ihipStream_tbENKUlT_T0_E_clISt17integral_constantIbLb0EES19_EEDaS14_S15_EUlS14_E_NS1_11comp_targetILNS1_3genE10ELNS1_11target_archE1200ELNS1_3gpuE4ELNS1_3repE0EEENS1_30default_config_static_selectorELNS0_4arch9wavefront6targetE0EEEvT1_
                                        ; -- End function
	.section	.AMDGPU.csdata,"",@progbits
; Kernel info:
; codeLenInByte = 0
; NumSgprs: 0
; NumVgprs: 0
; ScratchSize: 0
; MemoryBound: 0
; FloatMode: 240
; IeeeMode: 1
; LDSByteSize: 0 bytes/workgroup (compile time only)
; SGPRBlocks: 0
; VGPRBlocks: 0
; NumSGPRsForWavesPerEU: 1
; NumVGPRsForWavesPerEU: 1
; Occupancy: 16
; WaveLimiterHint : 0
; COMPUTE_PGM_RSRC2:SCRATCH_EN: 0
; COMPUTE_PGM_RSRC2:USER_SGPR: 15
; COMPUTE_PGM_RSRC2:TRAP_HANDLER: 0
; COMPUTE_PGM_RSRC2:TGID_X_EN: 1
; COMPUTE_PGM_RSRC2:TGID_Y_EN: 0
; COMPUTE_PGM_RSRC2:TGID_Z_EN: 0
; COMPUTE_PGM_RSRC2:TIDIG_COMP_CNT: 0
	.section	.text._ZN7rocprim17ROCPRIM_400000_NS6detail17trampoline_kernelINS0_14default_configENS1_29reduce_by_key_config_selectorIllN6thrust23THRUST_200600_302600_NS4plusIlEEEEZZNS1_33reduce_by_key_impl_wrapped_configILNS1_25lookback_scan_determinismE0ES3_S9_NS6_18transform_iteratorI6div_opNS6_17counting_iteratorIlNS6_11use_defaultESF_SF_EESF_SF_EENSC_I6mod_opSG_SF_SF_EENS6_6detail15normal_iteratorINS6_10device_ptrIlEEEESO_PmS8_NS6_8equal_toIlEEEE10hipError_tPvRmT2_T3_mT4_T5_T6_T7_T8_P12ihipStream_tbENKUlT_T0_E_clISt17integral_constantIbLb0EES19_EEDaS14_S15_EUlS14_E_NS1_11comp_targetILNS1_3genE9ELNS1_11target_archE1100ELNS1_3gpuE3ELNS1_3repE0EEENS1_30default_config_static_selectorELNS0_4arch9wavefront6targetE0EEEvT1_,"axG",@progbits,_ZN7rocprim17ROCPRIM_400000_NS6detail17trampoline_kernelINS0_14default_configENS1_29reduce_by_key_config_selectorIllN6thrust23THRUST_200600_302600_NS4plusIlEEEEZZNS1_33reduce_by_key_impl_wrapped_configILNS1_25lookback_scan_determinismE0ES3_S9_NS6_18transform_iteratorI6div_opNS6_17counting_iteratorIlNS6_11use_defaultESF_SF_EESF_SF_EENSC_I6mod_opSG_SF_SF_EENS6_6detail15normal_iteratorINS6_10device_ptrIlEEEESO_PmS8_NS6_8equal_toIlEEEE10hipError_tPvRmT2_T3_mT4_T5_T6_T7_T8_P12ihipStream_tbENKUlT_T0_E_clISt17integral_constantIbLb0EES19_EEDaS14_S15_EUlS14_E_NS1_11comp_targetILNS1_3genE9ELNS1_11target_archE1100ELNS1_3gpuE3ELNS1_3repE0EEENS1_30default_config_static_selectorELNS0_4arch9wavefront6targetE0EEEvT1_,comdat
	.protected	_ZN7rocprim17ROCPRIM_400000_NS6detail17trampoline_kernelINS0_14default_configENS1_29reduce_by_key_config_selectorIllN6thrust23THRUST_200600_302600_NS4plusIlEEEEZZNS1_33reduce_by_key_impl_wrapped_configILNS1_25lookback_scan_determinismE0ES3_S9_NS6_18transform_iteratorI6div_opNS6_17counting_iteratorIlNS6_11use_defaultESF_SF_EESF_SF_EENSC_I6mod_opSG_SF_SF_EENS6_6detail15normal_iteratorINS6_10device_ptrIlEEEESO_PmS8_NS6_8equal_toIlEEEE10hipError_tPvRmT2_T3_mT4_T5_T6_T7_T8_P12ihipStream_tbENKUlT_T0_E_clISt17integral_constantIbLb0EES19_EEDaS14_S15_EUlS14_E_NS1_11comp_targetILNS1_3genE9ELNS1_11target_archE1100ELNS1_3gpuE3ELNS1_3repE0EEENS1_30default_config_static_selectorELNS0_4arch9wavefront6targetE0EEEvT1_ ; -- Begin function _ZN7rocprim17ROCPRIM_400000_NS6detail17trampoline_kernelINS0_14default_configENS1_29reduce_by_key_config_selectorIllN6thrust23THRUST_200600_302600_NS4plusIlEEEEZZNS1_33reduce_by_key_impl_wrapped_configILNS1_25lookback_scan_determinismE0ES3_S9_NS6_18transform_iteratorI6div_opNS6_17counting_iteratorIlNS6_11use_defaultESF_SF_EESF_SF_EENSC_I6mod_opSG_SF_SF_EENS6_6detail15normal_iteratorINS6_10device_ptrIlEEEESO_PmS8_NS6_8equal_toIlEEEE10hipError_tPvRmT2_T3_mT4_T5_T6_T7_T8_P12ihipStream_tbENKUlT_T0_E_clISt17integral_constantIbLb0EES19_EEDaS14_S15_EUlS14_E_NS1_11comp_targetILNS1_3genE9ELNS1_11target_archE1100ELNS1_3gpuE3ELNS1_3repE0EEENS1_30default_config_static_selectorELNS0_4arch9wavefront6targetE0EEEvT1_
	.globl	_ZN7rocprim17ROCPRIM_400000_NS6detail17trampoline_kernelINS0_14default_configENS1_29reduce_by_key_config_selectorIllN6thrust23THRUST_200600_302600_NS4plusIlEEEEZZNS1_33reduce_by_key_impl_wrapped_configILNS1_25lookback_scan_determinismE0ES3_S9_NS6_18transform_iteratorI6div_opNS6_17counting_iteratorIlNS6_11use_defaultESF_SF_EESF_SF_EENSC_I6mod_opSG_SF_SF_EENS6_6detail15normal_iteratorINS6_10device_ptrIlEEEESO_PmS8_NS6_8equal_toIlEEEE10hipError_tPvRmT2_T3_mT4_T5_T6_T7_T8_P12ihipStream_tbENKUlT_T0_E_clISt17integral_constantIbLb0EES19_EEDaS14_S15_EUlS14_E_NS1_11comp_targetILNS1_3genE9ELNS1_11target_archE1100ELNS1_3gpuE3ELNS1_3repE0EEENS1_30default_config_static_selectorELNS0_4arch9wavefront6targetE0EEEvT1_
	.p2align	8
	.type	_ZN7rocprim17ROCPRIM_400000_NS6detail17trampoline_kernelINS0_14default_configENS1_29reduce_by_key_config_selectorIllN6thrust23THRUST_200600_302600_NS4plusIlEEEEZZNS1_33reduce_by_key_impl_wrapped_configILNS1_25lookback_scan_determinismE0ES3_S9_NS6_18transform_iteratorI6div_opNS6_17counting_iteratorIlNS6_11use_defaultESF_SF_EESF_SF_EENSC_I6mod_opSG_SF_SF_EENS6_6detail15normal_iteratorINS6_10device_ptrIlEEEESO_PmS8_NS6_8equal_toIlEEEE10hipError_tPvRmT2_T3_mT4_T5_T6_T7_T8_P12ihipStream_tbENKUlT_T0_E_clISt17integral_constantIbLb0EES19_EEDaS14_S15_EUlS14_E_NS1_11comp_targetILNS1_3genE9ELNS1_11target_archE1100ELNS1_3gpuE3ELNS1_3repE0EEENS1_30default_config_static_selectorELNS0_4arch9wavefront6targetE0EEEvT1_,@function
_ZN7rocprim17ROCPRIM_400000_NS6detail17trampoline_kernelINS0_14default_configENS1_29reduce_by_key_config_selectorIllN6thrust23THRUST_200600_302600_NS4plusIlEEEEZZNS1_33reduce_by_key_impl_wrapped_configILNS1_25lookback_scan_determinismE0ES3_S9_NS6_18transform_iteratorI6div_opNS6_17counting_iteratorIlNS6_11use_defaultESF_SF_EESF_SF_EENSC_I6mod_opSG_SF_SF_EENS6_6detail15normal_iteratorINS6_10device_ptrIlEEEESO_PmS8_NS6_8equal_toIlEEEE10hipError_tPvRmT2_T3_mT4_T5_T6_T7_T8_P12ihipStream_tbENKUlT_T0_E_clISt17integral_constantIbLb0EES19_EEDaS14_S15_EUlS14_E_NS1_11comp_targetILNS1_3genE9ELNS1_11target_archE1100ELNS1_3gpuE3ELNS1_3repE0EEENS1_30default_config_static_selectorELNS0_4arch9wavefront6targetE0EEEvT1_: ; @_ZN7rocprim17ROCPRIM_400000_NS6detail17trampoline_kernelINS0_14default_configENS1_29reduce_by_key_config_selectorIllN6thrust23THRUST_200600_302600_NS4plusIlEEEEZZNS1_33reduce_by_key_impl_wrapped_configILNS1_25lookback_scan_determinismE0ES3_S9_NS6_18transform_iteratorI6div_opNS6_17counting_iteratorIlNS6_11use_defaultESF_SF_EESF_SF_EENSC_I6mod_opSG_SF_SF_EENS6_6detail15normal_iteratorINS6_10device_ptrIlEEEESO_PmS8_NS6_8equal_toIlEEEE10hipError_tPvRmT2_T3_mT4_T5_T6_T7_T8_P12ihipStream_tbENKUlT_T0_E_clISt17integral_constantIbLb0EES19_EEDaS14_S15_EUlS14_E_NS1_11comp_targetILNS1_3genE9ELNS1_11target_archE1100ELNS1_3gpuE3ELNS1_3repE0EEENS1_30default_config_static_selectorELNS0_4arch9wavefront6targetE0EEEvT1_
; %bb.0:
	s_clause 0x1
	s_load_b512 s[52:67], s[0:1], 0x48
	s_load_b512 s[36:51], s[0:1], 0x0
	s_mul_i32 s2, s15, 0xf00
	s_waitcnt lgkmcnt(0)
	s_mul_i32 s3, s60, s59
	s_mul_hi_u32 s4, s60, s58
	s_mul_i32 s5, s61, s58
	s_add_i32 s3, s4, s3
	s_mul_i32 s4, s60, s58
	s_add_i32 s3, s3, s5
	s_add_u32 s2, s40, s2
	s_addc_u32 s5, s41, 0
	s_add_u32 s24, s2, s36
	s_addc_u32 s25, s5, s37
	;; [unrolled: 2-line block ×4, first 2 shown]
	s_add_u32 s2, s62, -1
	s_addc_u32 s3, s63, -1
	s_mul_i32 s33, s2, 0xfffff100
	s_cmp_eq_u64 s[18:19], s[2:3]
	s_cselect_b32 s27, -1, 0
	s_cmp_lg_u64 s[18:19], s[2:3]
	s_cselect_b32 s26, -1, 0
	s_and_b32 vcc_lo, exec_lo, s27
	s_cbranch_vccnz .LBB1139_122
; %bb.1:
	v_add_co_u32 v29, s2, s24, v0
	s_delay_alu instid0(VALU_DEP_1) | instskip(SKIP_1) | instid1(VALU_DEP_2)
	v_add_co_ci_u32_e64 v30, null, s25, 0, s2
	v_mov_b32_e32 v1, 0
	v_or_b32_e32 v2, s39, v30
	s_delay_alu instid0(VALU_DEP_1) | instskip(SKIP_1) | instid1(SALU_CYCLE_1)
	v_cmp_ne_u64_e32 vcc_lo, 0, v[1:2]
                                        ; implicit-def: $vgpr1_vgpr2
	s_and_saveexec_b32 s2, vcc_lo
	s_xor_b32 s3, exec_lo, s2
	s_cbranch_execz .LBB1139_3
; %bb.2:
	s_ashr_i32 s4, s39, 31
	s_delay_alu instid0(SALU_CYCLE_1) | instskip(SKIP_2) | instid1(SALU_CYCLE_1)
	s_add_u32 s6, s38, s4
	s_mov_b32 s5, s4
	s_addc_u32 s7, s39, s4
	s_xor_b64 s[6:7], s[6:7], s[4:5]
	s_delay_alu instid0(SALU_CYCLE_1) | instskip(SKIP_3) | instid1(VALU_DEP_1)
	v_cvt_f32_u32_e32 v1, s6
	v_cvt_f32_u32_e32 v2, s7
	s_sub_u32 s2, 0, s6
	s_subb_u32 s5, 0, s7
	v_fmamk_f32 v1, v2, 0x4f800000, v1
	s_delay_alu instid0(VALU_DEP_1) | instskip(SKIP_2) | instid1(VALU_DEP_1)
	v_rcp_f32_e32 v1, v1
	s_waitcnt_depctr 0xfff
	v_mul_f32_e32 v1, 0x5f7ffffc, v1
	v_mul_f32_e32 v2, 0x2f800000, v1
	s_delay_alu instid0(VALU_DEP_1) | instskip(NEXT) | instid1(VALU_DEP_1)
	v_trunc_f32_e32 v2, v2
	v_fmamk_f32 v1, v2, 0xcf800000, v1
	v_cvt_u32_f32_e32 v2, v2
	s_delay_alu instid0(VALU_DEP_2) | instskip(NEXT) | instid1(VALU_DEP_2)
	v_cvt_u32_f32_e32 v1, v1
	v_mul_lo_u32 v3, s2, v2
	s_delay_alu instid0(VALU_DEP_2) | instskip(SKIP_1) | instid1(VALU_DEP_2)
	v_mul_hi_u32 v4, s2, v1
	v_mul_lo_u32 v5, s5, v1
	v_add_nc_u32_e32 v3, v4, v3
	v_mul_lo_u32 v4, s2, v1
	s_delay_alu instid0(VALU_DEP_2) | instskip(NEXT) | instid1(VALU_DEP_2)
	v_add_nc_u32_e32 v3, v3, v5
	v_mul_hi_u32 v5, v1, v4
	s_delay_alu instid0(VALU_DEP_2)
	v_mul_lo_u32 v6, v1, v3
	v_mul_hi_u32 v7, v1, v3
	v_mul_hi_u32 v8, v2, v4
	v_mul_lo_u32 v4, v2, v4
	v_mul_hi_u32 v9, v2, v3
	v_mul_lo_u32 v3, v2, v3
	v_add_co_u32 v5, vcc_lo, v5, v6
	v_add_co_ci_u32_e32 v6, vcc_lo, 0, v7, vcc_lo
	s_delay_alu instid0(VALU_DEP_2) | instskip(NEXT) | instid1(VALU_DEP_2)
	v_add_co_u32 v4, vcc_lo, v5, v4
	v_add_co_ci_u32_e32 v4, vcc_lo, v6, v8, vcc_lo
	v_add_co_ci_u32_e32 v5, vcc_lo, 0, v9, vcc_lo
	v_ashrrev_i32_e32 v8, 31, v30
	s_delay_alu instid0(VALU_DEP_3) | instskip(NEXT) | instid1(VALU_DEP_3)
	v_add_co_u32 v3, vcc_lo, v4, v3
	v_add_co_ci_u32_e32 v4, vcc_lo, 0, v5, vcc_lo
	s_delay_alu instid0(VALU_DEP_2) | instskip(NEXT) | instid1(VALU_DEP_2)
	v_add_co_u32 v1, vcc_lo, v1, v3
	v_add_co_ci_u32_e32 v2, vcc_lo, v2, v4, vcc_lo
	s_delay_alu instid0(VALU_DEP_2) | instskip(SKIP_1) | instid1(VALU_DEP_3)
	v_mul_hi_u32 v3, s2, v1
	v_mul_lo_u32 v5, s5, v1
	v_mul_lo_u32 v4, s2, v2
	s_delay_alu instid0(VALU_DEP_1) | instskip(SKIP_1) | instid1(VALU_DEP_2)
	v_add_nc_u32_e32 v3, v3, v4
	v_mul_lo_u32 v4, s2, v1
	v_add_nc_u32_e32 v3, v3, v5
	s_delay_alu instid0(VALU_DEP_2) | instskip(NEXT) | instid1(VALU_DEP_2)
	v_mul_hi_u32 v5, v1, v4
	v_mul_lo_u32 v6, v1, v3
	v_mul_hi_u32 v7, v1, v3
	v_mul_hi_u32 v9, v2, v4
	v_mul_lo_u32 v4, v2, v4
	v_mul_hi_u32 v10, v2, v3
	v_mul_lo_u32 v3, v2, v3
	v_add_co_u32 v5, vcc_lo, v5, v6
	v_add_co_ci_u32_e32 v6, vcc_lo, 0, v7, vcc_lo
	s_delay_alu instid0(VALU_DEP_2) | instskip(NEXT) | instid1(VALU_DEP_2)
	v_add_co_u32 v4, vcc_lo, v5, v4
	v_add_co_ci_u32_e32 v4, vcc_lo, v6, v9, vcc_lo
	v_add_co_ci_u32_e32 v5, vcc_lo, 0, v10, vcc_lo
	v_add_co_u32 v6, vcc_lo, v29, v8
	v_add_co_ci_u32_e32 v7, vcc_lo, v30, v8, vcc_lo
	s_delay_alu instid0(VALU_DEP_4) | instskip(NEXT) | instid1(VALU_DEP_4)
	v_add_co_u32 v3, vcc_lo, v4, v3
	v_add_co_ci_u32_e32 v4, vcc_lo, 0, v5, vcc_lo
	s_delay_alu instid0(VALU_DEP_4) | instskip(NEXT) | instid1(VALU_DEP_3)
	v_xor_b32_e32 v9, v6, v8
	v_add_co_u32 v5, vcc_lo, v1, v3
	s_delay_alu instid0(VALU_DEP_3) | instskip(SKIP_1) | instid1(VALU_DEP_3)
	v_add_co_ci_u32_e32 v10, vcc_lo, v2, v4, vcc_lo
	v_xor_b32_e32 v7, v7, v8
	v_mul_hi_u32 v11, v9, v5
	s_delay_alu instid0(VALU_DEP_3) | instskip(NEXT) | instid1(VALU_DEP_3)
	v_mad_u64_u32 v[1:2], null, v9, v10, 0
	v_mad_u64_u32 v[3:4], null, v7, v5, 0
	;; [unrolled: 1-line block ×3, first 2 shown]
	s_delay_alu instid0(VALU_DEP_3) | instskip(NEXT) | instid1(VALU_DEP_4)
	v_add_co_u32 v1, vcc_lo, v11, v1
	v_add_co_ci_u32_e32 v2, vcc_lo, 0, v2, vcc_lo
	s_delay_alu instid0(VALU_DEP_2) | instskip(NEXT) | instid1(VALU_DEP_2)
	v_add_co_u32 v1, vcc_lo, v1, v3
	v_add_co_ci_u32_e32 v1, vcc_lo, v2, v4, vcc_lo
	v_add_co_ci_u32_e32 v2, vcc_lo, 0, v6, vcc_lo
	s_delay_alu instid0(VALU_DEP_2) | instskip(NEXT) | instid1(VALU_DEP_2)
	v_add_co_u32 v3, vcc_lo, v1, v5
	v_add_co_ci_u32_e32 v4, vcc_lo, 0, v2, vcc_lo
	s_delay_alu instid0(VALU_DEP_2) | instskip(SKIP_1) | instid1(VALU_DEP_3)
	v_mul_lo_u32 v5, s7, v3
	v_mad_u64_u32 v[1:2], null, s6, v3, 0
	v_mul_lo_u32 v6, s6, v4
	s_delay_alu instid0(VALU_DEP_2) | instskip(NEXT) | instid1(VALU_DEP_2)
	v_sub_co_u32 v1, vcc_lo, v9, v1
	v_add3_u32 v2, v2, v6, v5
	s_delay_alu instid0(VALU_DEP_1) | instskip(NEXT) | instid1(VALU_DEP_1)
	v_sub_nc_u32_e32 v5, v7, v2
	v_subrev_co_ci_u32_e64 v5, s2, s7, v5, vcc_lo
	v_add_co_u32 v6, s2, v3, 2
	s_delay_alu instid0(VALU_DEP_1) | instskip(SKIP_3) | instid1(VALU_DEP_3)
	v_add_co_ci_u32_e64 v9, s2, 0, v4, s2
	v_sub_co_u32 v10, s2, v1, s6
	v_sub_co_ci_u32_e32 v2, vcc_lo, v7, v2, vcc_lo
	v_subrev_co_ci_u32_e64 v5, s2, 0, v5, s2
	v_cmp_le_u32_e32 vcc_lo, s6, v10
	s_delay_alu instid0(VALU_DEP_3) | instskip(SKIP_1) | instid1(VALU_DEP_4)
	v_cmp_eq_u32_e64 s2, s7, v2
	v_cndmask_b32_e64 v7, 0, -1, vcc_lo
	v_cmp_le_u32_e32 vcc_lo, s7, v5
	v_cndmask_b32_e64 v10, 0, -1, vcc_lo
	v_cmp_le_u32_e32 vcc_lo, s6, v1
	;; [unrolled: 2-line block ×3, first 2 shown]
	v_cndmask_b32_e64 v11, 0, -1, vcc_lo
	v_cmp_eq_u32_e32 vcc_lo, s7, v5
	s_delay_alu instid0(VALU_DEP_2) | instskip(SKIP_3) | instid1(VALU_DEP_3)
	v_cndmask_b32_e64 v1, v11, v1, s2
	v_cndmask_b32_e32 v5, v10, v7, vcc_lo
	v_add_co_u32 v7, vcc_lo, v3, 1
	v_add_co_ci_u32_e32 v10, vcc_lo, 0, v4, vcc_lo
	v_cmp_ne_u32_e32 vcc_lo, 0, v5
	s_delay_alu instid0(VALU_DEP_2) | instskip(SKIP_2) | instid1(VALU_DEP_3)
	v_dual_cndmask_b32 v2, v10, v9 :: v_dual_cndmask_b32 v5, v7, v6
	v_cmp_ne_u32_e32 vcc_lo, 0, v1
	v_xor_b32_e32 v6, s4, v8
	v_dual_cndmask_b32 v1, v4, v2 :: v_dual_cndmask_b32 v2, v3, v5
	s_delay_alu instid0(VALU_DEP_1) | instskip(NEXT) | instid1(VALU_DEP_2)
	v_xor_b32_e32 v3, v1, v6
	v_xor_b32_e32 v2, v2, v6
	s_delay_alu instid0(VALU_DEP_1) | instskip(NEXT) | instid1(VALU_DEP_3)
	v_sub_co_u32 v1, vcc_lo, v2, v6
	v_sub_co_ci_u32_e32 v2, vcc_lo, v3, v6, vcc_lo
.LBB1139_3:
	s_and_not1_saveexec_b32 s2, s3
	s_cbranch_execz .LBB1139_5
; %bb.4:
	v_cvt_f32_u32_e32 v1, s38
	s_sub_i32 s3, 0, s38
	s_delay_alu instid0(VALU_DEP_1) | instskip(SKIP_2) | instid1(VALU_DEP_1)
	v_rcp_iflag_f32_e32 v1, v1
	s_waitcnt_depctr 0xfff
	v_mul_f32_e32 v1, 0x4f7ffffe, v1
	v_cvt_u32_f32_e32 v1, v1
	s_delay_alu instid0(VALU_DEP_1) | instskip(NEXT) | instid1(VALU_DEP_1)
	v_mul_lo_u32 v2, s3, v1
	v_mul_hi_u32 v2, v1, v2
	s_delay_alu instid0(VALU_DEP_1) | instskip(NEXT) | instid1(VALU_DEP_1)
	v_add_nc_u32_e32 v1, v1, v2
	v_mul_hi_u32 v1, v29, v1
	s_delay_alu instid0(VALU_DEP_1) | instskip(SKIP_1) | instid1(VALU_DEP_2)
	v_mul_lo_u32 v2, v1, s38
	v_add_nc_u32_e32 v3, 1, v1
	v_sub_nc_u32_e32 v2, v29, v2
	s_delay_alu instid0(VALU_DEP_1) | instskip(SKIP_1) | instid1(VALU_DEP_2)
	v_subrev_nc_u32_e32 v4, s38, v2
	v_cmp_le_u32_e32 vcc_lo, s38, v2
	v_dual_cndmask_b32 v2, v2, v4 :: v_dual_cndmask_b32 v1, v1, v3
	s_delay_alu instid0(VALU_DEP_1) | instskip(NEXT) | instid1(VALU_DEP_2)
	v_cmp_le_u32_e32 vcc_lo, s38, v2
	v_dual_mov_b32 v2, 0 :: v_dual_add_nc_u32 v3, 1, v1
	s_delay_alu instid0(VALU_DEP_1)
	v_cndmask_b32_e32 v1, v1, v3, vcc_lo
.LBB1139_5:
	s_or_b32 exec_lo, exec_lo, s2
	v_add_co_u32 v5, vcc_lo, 0x100, v29
	v_add_co_ci_u32_e32 v6, vcc_lo, 0, v30, vcc_lo
	v_mov_b32_e32 v3, 0
	s_delay_alu instid0(VALU_DEP_2) | instskip(NEXT) | instid1(VALU_DEP_1)
	v_or_b32_e32 v4, s39, v6
	v_cmp_ne_u64_e32 vcc_lo, 0, v[3:4]
                                        ; implicit-def: $vgpr3_vgpr4
	s_and_saveexec_b32 s2, vcc_lo
	s_delay_alu instid0(SALU_CYCLE_1)
	s_xor_b32 s3, exec_lo, s2
	s_cbranch_execz .LBB1139_7
; %bb.6:
	s_ashr_i32 s4, s39, 31
	s_delay_alu instid0(SALU_CYCLE_1) | instskip(SKIP_2) | instid1(SALU_CYCLE_1)
	s_add_u32 s6, s38, s4
	s_mov_b32 s5, s4
	s_addc_u32 s7, s39, s4
	s_xor_b64 s[6:7], s[6:7], s[4:5]
	s_delay_alu instid0(SALU_CYCLE_1) | instskip(SKIP_3) | instid1(VALU_DEP_1)
	v_cvt_f32_u32_e32 v3, s6
	v_cvt_f32_u32_e32 v4, s7
	s_sub_u32 s2, 0, s6
	s_subb_u32 s5, 0, s7
	v_fmamk_f32 v3, v4, 0x4f800000, v3
	s_delay_alu instid0(VALU_DEP_1) | instskip(SKIP_2) | instid1(VALU_DEP_1)
	v_rcp_f32_e32 v3, v3
	s_waitcnt_depctr 0xfff
	v_mul_f32_e32 v3, 0x5f7ffffc, v3
	v_mul_f32_e32 v4, 0x2f800000, v3
	s_delay_alu instid0(VALU_DEP_1) | instskip(NEXT) | instid1(VALU_DEP_1)
	v_trunc_f32_e32 v4, v4
	v_fmamk_f32 v3, v4, 0xcf800000, v3
	v_cvt_u32_f32_e32 v4, v4
	s_delay_alu instid0(VALU_DEP_2) | instskip(NEXT) | instid1(VALU_DEP_2)
	v_cvt_u32_f32_e32 v3, v3
	v_mul_lo_u32 v7, s2, v4
	s_delay_alu instid0(VALU_DEP_2) | instskip(SKIP_1) | instid1(VALU_DEP_2)
	v_mul_hi_u32 v8, s2, v3
	v_mul_lo_u32 v9, s5, v3
	v_add_nc_u32_e32 v7, v8, v7
	v_mul_lo_u32 v8, s2, v3
	s_delay_alu instid0(VALU_DEP_2) | instskip(NEXT) | instid1(VALU_DEP_2)
	v_add_nc_u32_e32 v7, v7, v9
	v_mul_hi_u32 v9, v3, v8
	s_delay_alu instid0(VALU_DEP_2)
	v_mul_lo_u32 v10, v3, v7
	v_mul_hi_u32 v11, v3, v7
	v_mul_hi_u32 v12, v4, v8
	v_mul_lo_u32 v8, v4, v8
	v_mul_hi_u32 v13, v4, v7
	v_mul_lo_u32 v7, v4, v7
	v_add_co_u32 v9, vcc_lo, v9, v10
	v_add_co_ci_u32_e32 v10, vcc_lo, 0, v11, vcc_lo
	s_delay_alu instid0(VALU_DEP_2) | instskip(NEXT) | instid1(VALU_DEP_2)
	v_add_co_u32 v8, vcc_lo, v9, v8
	v_add_co_ci_u32_e32 v8, vcc_lo, v10, v12, vcc_lo
	v_add_co_ci_u32_e32 v9, vcc_lo, 0, v13, vcc_lo
	v_ashrrev_i32_e32 v12, 31, v6
	s_delay_alu instid0(VALU_DEP_3) | instskip(NEXT) | instid1(VALU_DEP_3)
	v_add_co_u32 v7, vcc_lo, v8, v7
	v_add_co_ci_u32_e32 v8, vcc_lo, 0, v9, vcc_lo
	s_delay_alu instid0(VALU_DEP_2) | instskip(NEXT) | instid1(VALU_DEP_2)
	v_add_co_u32 v3, vcc_lo, v3, v7
	v_add_co_ci_u32_e32 v4, vcc_lo, v4, v8, vcc_lo
	s_delay_alu instid0(VALU_DEP_2) | instskip(SKIP_1) | instid1(VALU_DEP_3)
	v_mul_hi_u32 v7, s2, v3
	v_mul_lo_u32 v9, s5, v3
	v_mul_lo_u32 v8, s2, v4
	s_delay_alu instid0(VALU_DEP_1) | instskip(SKIP_1) | instid1(VALU_DEP_2)
	v_add_nc_u32_e32 v7, v7, v8
	v_mul_lo_u32 v8, s2, v3
	v_add_nc_u32_e32 v7, v7, v9
	s_delay_alu instid0(VALU_DEP_2) | instskip(NEXT) | instid1(VALU_DEP_2)
	v_mul_hi_u32 v9, v3, v8
	v_mul_lo_u32 v10, v3, v7
	v_mul_hi_u32 v11, v3, v7
	v_mul_hi_u32 v13, v4, v8
	v_mul_lo_u32 v8, v4, v8
	v_mul_hi_u32 v14, v4, v7
	v_mul_lo_u32 v7, v4, v7
	v_add_co_u32 v9, vcc_lo, v9, v10
	v_add_co_ci_u32_e32 v10, vcc_lo, 0, v11, vcc_lo
	s_delay_alu instid0(VALU_DEP_2) | instskip(NEXT) | instid1(VALU_DEP_2)
	v_add_co_u32 v8, vcc_lo, v9, v8
	v_add_co_ci_u32_e32 v8, vcc_lo, v10, v13, vcc_lo
	v_add_co_ci_u32_e32 v9, vcc_lo, 0, v14, vcc_lo
	v_add_co_u32 v5, vcc_lo, v5, v12
	v_add_co_ci_u32_e32 v6, vcc_lo, v6, v12, vcc_lo
	s_delay_alu instid0(VALU_DEP_4) | instskip(NEXT) | instid1(VALU_DEP_4)
	v_add_co_u32 v7, vcc_lo, v8, v7
	v_add_co_ci_u32_e32 v8, vcc_lo, 0, v9, vcc_lo
	s_delay_alu instid0(VALU_DEP_4) | instskip(NEXT) | instid1(VALU_DEP_3)
	v_xor_b32_e32 v9, v5, v12
	v_add_co_u32 v7, vcc_lo, v3, v7
	s_delay_alu instid0(VALU_DEP_3) | instskip(SKIP_1) | instid1(VALU_DEP_3)
	v_add_co_ci_u32_e32 v10, vcc_lo, v4, v8, vcc_lo
	v_xor_b32_e32 v11, v6, v12
	v_mul_hi_u32 v13, v9, v7
	s_delay_alu instid0(VALU_DEP_3) | instskip(NEXT) | instid1(VALU_DEP_3)
	v_mad_u64_u32 v[3:4], null, v9, v10, 0
	v_mad_u64_u32 v[5:6], null, v11, v7, 0
	;; [unrolled: 1-line block ×3, first 2 shown]
	s_delay_alu instid0(VALU_DEP_3) | instskip(NEXT) | instid1(VALU_DEP_4)
	v_add_co_u32 v3, vcc_lo, v13, v3
	v_add_co_ci_u32_e32 v4, vcc_lo, 0, v4, vcc_lo
	s_delay_alu instid0(VALU_DEP_2) | instskip(NEXT) | instid1(VALU_DEP_2)
	v_add_co_u32 v3, vcc_lo, v3, v5
	v_add_co_ci_u32_e32 v3, vcc_lo, v4, v6, vcc_lo
	v_add_co_ci_u32_e32 v4, vcc_lo, 0, v8, vcc_lo
	s_delay_alu instid0(VALU_DEP_2) | instskip(NEXT) | instid1(VALU_DEP_2)
	v_add_co_u32 v5, vcc_lo, v3, v7
	v_add_co_ci_u32_e32 v6, vcc_lo, 0, v4, vcc_lo
	s_delay_alu instid0(VALU_DEP_2) | instskip(SKIP_1) | instid1(VALU_DEP_3)
	v_mul_lo_u32 v7, s7, v5
	v_mad_u64_u32 v[3:4], null, s6, v5, 0
	v_mul_lo_u32 v8, s6, v6
	s_delay_alu instid0(VALU_DEP_2) | instskip(NEXT) | instid1(VALU_DEP_2)
	v_sub_co_u32 v3, vcc_lo, v9, v3
	v_add3_u32 v4, v4, v8, v7
	s_delay_alu instid0(VALU_DEP_1) | instskip(NEXT) | instid1(VALU_DEP_1)
	v_sub_nc_u32_e32 v7, v11, v4
	v_subrev_co_ci_u32_e64 v7, s2, s7, v7, vcc_lo
	v_add_co_u32 v8, s2, v5, 2
	s_delay_alu instid0(VALU_DEP_1) | instskip(SKIP_3) | instid1(VALU_DEP_3)
	v_add_co_ci_u32_e64 v9, s2, 0, v6, s2
	v_sub_co_u32 v10, s2, v3, s6
	v_sub_co_ci_u32_e32 v4, vcc_lo, v11, v4, vcc_lo
	v_subrev_co_ci_u32_e64 v7, s2, 0, v7, s2
	v_cmp_le_u32_e32 vcc_lo, s6, v10
	s_delay_alu instid0(VALU_DEP_3) | instskip(SKIP_1) | instid1(VALU_DEP_4)
	v_cmp_eq_u32_e64 s2, s7, v4
	v_cndmask_b32_e64 v10, 0, -1, vcc_lo
	v_cmp_le_u32_e32 vcc_lo, s7, v7
	v_cndmask_b32_e64 v11, 0, -1, vcc_lo
	v_cmp_le_u32_e32 vcc_lo, s6, v3
	;; [unrolled: 2-line block ×3, first 2 shown]
	v_cndmask_b32_e64 v13, 0, -1, vcc_lo
	v_cmp_eq_u32_e32 vcc_lo, s7, v7
	s_delay_alu instid0(VALU_DEP_2) | instskip(SKIP_3) | instid1(VALU_DEP_3)
	v_cndmask_b32_e64 v3, v13, v3, s2
	v_cndmask_b32_e32 v7, v11, v10, vcc_lo
	v_add_co_u32 v10, vcc_lo, v5, 1
	v_add_co_ci_u32_e32 v11, vcc_lo, 0, v6, vcc_lo
	v_cmp_ne_u32_e32 vcc_lo, 0, v7
	s_delay_alu instid0(VALU_DEP_2) | instskip(SKIP_2) | instid1(VALU_DEP_3)
	v_dual_cndmask_b32 v4, v11, v9 :: v_dual_cndmask_b32 v7, v10, v8
	v_cmp_ne_u32_e32 vcc_lo, 0, v3
	v_xor_b32_e32 v8, s4, v12
	v_dual_cndmask_b32 v3, v6, v4 :: v_dual_cndmask_b32 v4, v5, v7
	s_delay_alu instid0(VALU_DEP_1) | instskip(NEXT) | instid1(VALU_DEP_2)
	v_xor_b32_e32 v5, v3, v8
	v_xor_b32_e32 v4, v4, v8
	s_delay_alu instid0(VALU_DEP_1) | instskip(NEXT) | instid1(VALU_DEP_3)
	v_sub_co_u32 v3, vcc_lo, v4, v8
	v_sub_co_ci_u32_e32 v4, vcc_lo, v5, v8, vcc_lo
                                        ; implicit-def: $vgpr5
.LBB1139_7:
	s_and_not1_saveexec_b32 s2, s3
	s_cbranch_execz .LBB1139_9
; %bb.8:
	v_cvt_f32_u32_e32 v3, s38
	s_sub_i32 s3, 0, s38
	s_delay_alu instid0(VALU_DEP_1) | instskip(SKIP_2) | instid1(VALU_DEP_1)
	v_rcp_iflag_f32_e32 v3, v3
	s_waitcnt_depctr 0xfff
	v_mul_f32_e32 v3, 0x4f7ffffe, v3
	v_cvt_u32_f32_e32 v3, v3
	s_delay_alu instid0(VALU_DEP_1) | instskip(NEXT) | instid1(VALU_DEP_1)
	v_mul_lo_u32 v4, s3, v3
	v_mul_hi_u32 v4, v3, v4
	s_delay_alu instid0(VALU_DEP_1) | instskip(NEXT) | instid1(VALU_DEP_1)
	v_add_nc_u32_e32 v3, v3, v4
	v_mul_hi_u32 v3, v5, v3
	s_delay_alu instid0(VALU_DEP_1) | instskip(NEXT) | instid1(VALU_DEP_1)
	v_mul_lo_u32 v4, v3, s38
	v_sub_nc_u32_e32 v4, v5, v4
	v_add_nc_u32_e32 v5, 1, v3
	s_delay_alu instid0(VALU_DEP_2) | instskip(SKIP_1) | instid1(VALU_DEP_2)
	v_subrev_nc_u32_e32 v6, s38, v4
	v_cmp_le_u32_e32 vcc_lo, s38, v4
	v_dual_cndmask_b32 v4, v4, v6 :: v_dual_cndmask_b32 v3, v3, v5
	s_delay_alu instid0(VALU_DEP_1) | instskip(NEXT) | instid1(VALU_DEP_2)
	v_cmp_le_u32_e32 vcc_lo, s38, v4
	v_dual_mov_b32 v4, 0 :: v_dual_add_nc_u32 v5, 1, v3
	s_delay_alu instid0(VALU_DEP_1)
	v_cndmask_b32_e32 v3, v3, v5, vcc_lo
.LBB1139_9:
	s_or_b32 exec_lo, exec_lo, s2
	v_add_co_u32 v7, vcc_lo, 0x200, v29
	v_add_co_ci_u32_e32 v8, vcc_lo, 0, v30, vcc_lo
	v_mov_b32_e32 v5, 0
	s_delay_alu instid0(VALU_DEP_2) | instskip(NEXT) | instid1(VALU_DEP_1)
	v_or_b32_e32 v6, s39, v8
	v_cmp_ne_u64_e32 vcc_lo, 0, v[5:6]
                                        ; implicit-def: $vgpr5_vgpr6
	s_and_saveexec_b32 s2, vcc_lo
	s_delay_alu instid0(SALU_CYCLE_1)
	s_xor_b32 s3, exec_lo, s2
	s_cbranch_execz .LBB1139_11
; %bb.10:
	s_ashr_i32 s4, s39, 31
	s_delay_alu instid0(SALU_CYCLE_1) | instskip(SKIP_2) | instid1(SALU_CYCLE_1)
	s_add_u32 s6, s38, s4
	s_mov_b32 s5, s4
	s_addc_u32 s7, s39, s4
	s_xor_b64 s[6:7], s[6:7], s[4:5]
	s_delay_alu instid0(SALU_CYCLE_1) | instskip(SKIP_3) | instid1(VALU_DEP_1)
	v_cvt_f32_u32_e32 v5, s6
	v_cvt_f32_u32_e32 v6, s7
	s_sub_u32 s2, 0, s6
	s_subb_u32 s5, 0, s7
	v_fmamk_f32 v5, v6, 0x4f800000, v5
	s_delay_alu instid0(VALU_DEP_1) | instskip(SKIP_2) | instid1(VALU_DEP_1)
	v_rcp_f32_e32 v5, v5
	s_waitcnt_depctr 0xfff
	v_mul_f32_e32 v5, 0x5f7ffffc, v5
	v_mul_f32_e32 v6, 0x2f800000, v5
	s_delay_alu instid0(VALU_DEP_1) | instskip(NEXT) | instid1(VALU_DEP_1)
	v_trunc_f32_e32 v6, v6
	v_fmamk_f32 v5, v6, 0xcf800000, v5
	v_cvt_u32_f32_e32 v6, v6
	s_delay_alu instid0(VALU_DEP_2) | instskip(NEXT) | instid1(VALU_DEP_2)
	v_cvt_u32_f32_e32 v5, v5
	v_mul_lo_u32 v9, s2, v6
	s_delay_alu instid0(VALU_DEP_2) | instskip(SKIP_1) | instid1(VALU_DEP_2)
	v_mul_hi_u32 v10, s2, v5
	v_mul_lo_u32 v11, s5, v5
	v_add_nc_u32_e32 v9, v10, v9
	v_mul_lo_u32 v10, s2, v5
	s_delay_alu instid0(VALU_DEP_2) | instskip(NEXT) | instid1(VALU_DEP_2)
	v_add_nc_u32_e32 v9, v9, v11
	v_mul_hi_u32 v11, v5, v10
	s_delay_alu instid0(VALU_DEP_2)
	v_mul_lo_u32 v12, v5, v9
	v_mul_hi_u32 v13, v5, v9
	v_mul_hi_u32 v14, v6, v10
	v_mul_lo_u32 v10, v6, v10
	v_mul_hi_u32 v15, v6, v9
	v_mul_lo_u32 v9, v6, v9
	v_add_co_u32 v11, vcc_lo, v11, v12
	v_add_co_ci_u32_e32 v12, vcc_lo, 0, v13, vcc_lo
	s_delay_alu instid0(VALU_DEP_2) | instskip(NEXT) | instid1(VALU_DEP_2)
	v_add_co_u32 v10, vcc_lo, v11, v10
	v_add_co_ci_u32_e32 v10, vcc_lo, v12, v14, vcc_lo
	v_add_co_ci_u32_e32 v11, vcc_lo, 0, v15, vcc_lo
	v_ashrrev_i32_e32 v14, 31, v8
	s_delay_alu instid0(VALU_DEP_3) | instskip(NEXT) | instid1(VALU_DEP_3)
	v_add_co_u32 v9, vcc_lo, v10, v9
	v_add_co_ci_u32_e32 v10, vcc_lo, 0, v11, vcc_lo
	s_delay_alu instid0(VALU_DEP_2) | instskip(NEXT) | instid1(VALU_DEP_2)
	v_add_co_u32 v5, vcc_lo, v5, v9
	v_add_co_ci_u32_e32 v6, vcc_lo, v6, v10, vcc_lo
	s_delay_alu instid0(VALU_DEP_2) | instskip(SKIP_1) | instid1(VALU_DEP_3)
	v_mul_hi_u32 v9, s2, v5
	v_mul_lo_u32 v11, s5, v5
	v_mul_lo_u32 v10, s2, v6
	s_delay_alu instid0(VALU_DEP_1) | instskip(SKIP_1) | instid1(VALU_DEP_2)
	v_add_nc_u32_e32 v9, v9, v10
	v_mul_lo_u32 v10, s2, v5
	v_add_nc_u32_e32 v9, v9, v11
	s_delay_alu instid0(VALU_DEP_2) | instskip(NEXT) | instid1(VALU_DEP_2)
	v_mul_hi_u32 v11, v5, v10
	v_mul_lo_u32 v12, v5, v9
	v_mul_hi_u32 v13, v5, v9
	v_mul_hi_u32 v15, v6, v10
	v_mul_lo_u32 v10, v6, v10
	v_mul_hi_u32 v16, v6, v9
	v_mul_lo_u32 v9, v6, v9
	v_add_co_u32 v11, vcc_lo, v11, v12
	v_add_co_ci_u32_e32 v12, vcc_lo, 0, v13, vcc_lo
	s_delay_alu instid0(VALU_DEP_2) | instskip(NEXT) | instid1(VALU_DEP_2)
	v_add_co_u32 v10, vcc_lo, v11, v10
	v_add_co_ci_u32_e32 v10, vcc_lo, v12, v15, vcc_lo
	v_add_co_ci_u32_e32 v11, vcc_lo, 0, v16, vcc_lo
	v_add_co_u32 v7, vcc_lo, v7, v14
	v_add_co_ci_u32_e32 v8, vcc_lo, v8, v14, vcc_lo
	s_delay_alu instid0(VALU_DEP_4) | instskip(NEXT) | instid1(VALU_DEP_4)
	v_add_co_u32 v9, vcc_lo, v10, v9
	v_add_co_ci_u32_e32 v10, vcc_lo, 0, v11, vcc_lo
	s_delay_alu instid0(VALU_DEP_4) | instskip(NEXT) | instid1(VALU_DEP_3)
	v_xor_b32_e32 v11, v7, v14
	v_add_co_u32 v9, vcc_lo, v5, v9
	s_delay_alu instid0(VALU_DEP_3) | instskip(SKIP_1) | instid1(VALU_DEP_3)
	v_add_co_ci_u32_e32 v12, vcc_lo, v6, v10, vcc_lo
	v_xor_b32_e32 v13, v8, v14
	v_mul_hi_u32 v15, v11, v9
	s_delay_alu instid0(VALU_DEP_3) | instskip(NEXT) | instid1(VALU_DEP_3)
	v_mad_u64_u32 v[5:6], null, v11, v12, 0
	v_mad_u64_u32 v[7:8], null, v13, v9, 0
	;; [unrolled: 1-line block ×3, first 2 shown]
	s_delay_alu instid0(VALU_DEP_3) | instskip(NEXT) | instid1(VALU_DEP_4)
	v_add_co_u32 v5, vcc_lo, v15, v5
	v_add_co_ci_u32_e32 v6, vcc_lo, 0, v6, vcc_lo
	s_delay_alu instid0(VALU_DEP_2) | instskip(NEXT) | instid1(VALU_DEP_2)
	v_add_co_u32 v5, vcc_lo, v5, v7
	v_add_co_ci_u32_e32 v5, vcc_lo, v6, v8, vcc_lo
	v_add_co_ci_u32_e32 v6, vcc_lo, 0, v10, vcc_lo
	s_delay_alu instid0(VALU_DEP_2) | instskip(NEXT) | instid1(VALU_DEP_2)
	v_add_co_u32 v7, vcc_lo, v5, v9
	v_add_co_ci_u32_e32 v8, vcc_lo, 0, v6, vcc_lo
	s_delay_alu instid0(VALU_DEP_2) | instskip(SKIP_1) | instid1(VALU_DEP_3)
	v_mul_lo_u32 v9, s7, v7
	v_mad_u64_u32 v[5:6], null, s6, v7, 0
	v_mul_lo_u32 v10, s6, v8
	s_delay_alu instid0(VALU_DEP_2) | instskip(NEXT) | instid1(VALU_DEP_2)
	v_sub_co_u32 v5, vcc_lo, v11, v5
	v_add3_u32 v6, v6, v10, v9
	s_delay_alu instid0(VALU_DEP_1) | instskip(NEXT) | instid1(VALU_DEP_1)
	v_sub_nc_u32_e32 v9, v13, v6
	v_subrev_co_ci_u32_e64 v9, s2, s7, v9, vcc_lo
	v_add_co_u32 v10, s2, v7, 2
	s_delay_alu instid0(VALU_DEP_1) | instskip(SKIP_3) | instid1(VALU_DEP_3)
	v_add_co_ci_u32_e64 v11, s2, 0, v8, s2
	v_sub_co_u32 v12, s2, v5, s6
	v_sub_co_ci_u32_e32 v6, vcc_lo, v13, v6, vcc_lo
	v_subrev_co_ci_u32_e64 v9, s2, 0, v9, s2
	v_cmp_le_u32_e32 vcc_lo, s6, v12
	s_delay_alu instid0(VALU_DEP_3) | instskip(SKIP_1) | instid1(VALU_DEP_4)
	v_cmp_eq_u32_e64 s2, s7, v6
	v_cndmask_b32_e64 v12, 0, -1, vcc_lo
	v_cmp_le_u32_e32 vcc_lo, s7, v9
	v_cndmask_b32_e64 v13, 0, -1, vcc_lo
	v_cmp_le_u32_e32 vcc_lo, s6, v5
	;; [unrolled: 2-line block ×3, first 2 shown]
	v_cndmask_b32_e64 v15, 0, -1, vcc_lo
	v_cmp_eq_u32_e32 vcc_lo, s7, v9
	s_delay_alu instid0(VALU_DEP_2) | instskip(SKIP_3) | instid1(VALU_DEP_3)
	v_cndmask_b32_e64 v5, v15, v5, s2
	v_cndmask_b32_e32 v9, v13, v12, vcc_lo
	v_add_co_u32 v12, vcc_lo, v7, 1
	v_add_co_ci_u32_e32 v13, vcc_lo, 0, v8, vcc_lo
	v_cmp_ne_u32_e32 vcc_lo, 0, v9
	s_delay_alu instid0(VALU_DEP_2) | instskip(SKIP_2) | instid1(VALU_DEP_3)
	v_dual_cndmask_b32 v6, v13, v11 :: v_dual_cndmask_b32 v9, v12, v10
	v_cmp_ne_u32_e32 vcc_lo, 0, v5
	v_xor_b32_e32 v10, s4, v14
	v_dual_cndmask_b32 v5, v8, v6 :: v_dual_cndmask_b32 v6, v7, v9
	s_delay_alu instid0(VALU_DEP_1) | instskip(NEXT) | instid1(VALU_DEP_2)
	v_xor_b32_e32 v7, v5, v10
	v_xor_b32_e32 v6, v6, v10
	s_delay_alu instid0(VALU_DEP_1) | instskip(NEXT) | instid1(VALU_DEP_3)
	v_sub_co_u32 v5, vcc_lo, v6, v10
	v_sub_co_ci_u32_e32 v6, vcc_lo, v7, v10, vcc_lo
                                        ; implicit-def: $vgpr7
.LBB1139_11:
	s_and_not1_saveexec_b32 s2, s3
	s_cbranch_execz .LBB1139_13
; %bb.12:
	v_cvt_f32_u32_e32 v5, s38
	s_sub_i32 s3, 0, s38
	s_delay_alu instid0(VALU_DEP_1) | instskip(SKIP_2) | instid1(VALU_DEP_1)
	v_rcp_iflag_f32_e32 v5, v5
	s_waitcnt_depctr 0xfff
	v_mul_f32_e32 v5, 0x4f7ffffe, v5
	v_cvt_u32_f32_e32 v5, v5
	s_delay_alu instid0(VALU_DEP_1) | instskip(NEXT) | instid1(VALU_DEP_1)
	v_mul_lo_u32 v6, s3, v5
	v_mul_hi_u32 v6, v5, v6
	s_delay_alu instid0(VALU_DEP_1) | instskip(NEXT) | instid1(VALU_DEP_1)
	v_add_nc_u32_e32 v5, v5, v6
	v_mul_hi_u32 v5, v7, v5
	s_delay_alu instid0(VALU_DEP_1) | instskip(NEXT) | instid1(VALU_DEP_1)
	v_mul_lo_u32 v6, v5, s38
	v_sub_nc_u32_e32 v6, v7, v6
	v_add_nc_u32_e32 v7, 1, v5
	s_delay_alu instid0(VALU_DEP_2) | instskip(SKIP_1) | instid1(VALU_DEP_2)
	v_subrev_nc_u32_e32 v8, s38, v6
	v_cmp_le_u32_e32 vcc_lo, s38, v6
	v_dual_cndmask_b32 v6, v6, v8 :: v_dual_cndmask_b32 v5, v5, v7
	s_delay_alu instid0(VALU_DEP_1) | instskip(NEXT) | instid1(VALU_DEP_2)
	v_cmp_le_u32_e32 vcc_lo, s38, v6
	v_dual_mov_b32 v6, 0 :: v_dual_add_nc_u32 v7, 1, v5
	s_delay_alu instid0(VALU_DEP_1)
	v_cndmask_b32_e32 v5, v5, v7, vcc_lo
.LBB1139_13:
	s_or_b32 exec_lo, exec_lo, s2
	v_add_co_u32 v9, vcc_lo, 0x300, v29
	v_add_co_ci_u32_e32 v10, vcc_lo, 0, v30, vcc_lo
	v_mov_b32_e32 v7, 0
	s_delay_alu instid0(VALU_DEP_2) | instskip(NEXT) | instid1(VALU_DEP_1)
	v_or_b32_e32 v8, s39, v10
	v_cmp_ne_u64_e32 vcc_lo, 0, v[7:8]
                                        ; implicit-def: $vgpr7_vgpr8
	s_and_saveexec_b32 s2, vcc_lo
	s_delay_alu instid0(SALU_CYCLE_1)
	s_xor_b32 s3, exec_lo, s2
	s_cbranch_execz .LBB1139_15
; %bb.14:
	s_ashr_i32 s4, s39, 31
	s_delay_alu instid0(SALU_CYCLE_1) | instskip(SKIP_2) | instid1(SALU_CYCLE_1)
	s_add_u32 s6, s38, s4
	s_mov_b32 s5, s4
	s_addc_u32 s7, s39, s4
	s_xor_b64 s[6:7], s[6:7], s[4:5]
	s_delay_alu instid0(SALU_CYCLE_1) | instskip(SKIP_3) | instid1(VALU_DEP_1)
	v_cvt_f32_u32_e32 v7, s6
	v_cvt_f32_u32_e32 v8, s7
	s_sub_u32 s2, 0, s6
	s_subb_u32 s5, 0, s7
	v_fmamk_f32 v7, v8, 0x4f800000, v7
	s_delay_alu instid0(VALU_DEP_1) | instskip(SKIP_2) | instid1(VALU_DEP_1)
	v_rcp_f32_e32 v7, v7
	s_waitcnt_depctr 0xfff
	v_mul_f32_e32 v7, 0x5f7ffffc, v7
	v_mul_f32_e32 v8, 0x2f800000, v7
	s_delay_alu instid0(VALU_DEP_1) | instskip(NEXT) | instid1(VALU_DEP_1)
	v_trunc_f32_e32 v8, v8
	v_fmamk_f32 v7, v8, 0xcf800000, v7
	v_cvt_u32_f32_e32 v8, v8
	s_delay_alu instid0(VALU_DEP_2) | instskip(NEXT) | instid1(VALU_DEP_2)
	v_cvt_u32_f32_e32 v7, v7
	v_mul_lo_u32 v11, s2, v8
	s_delay_alu instid0(VALU_DEP_2) | instskip(SKIP_1) | instid1(VALU_DEP_2)
	v_mul_hi_u32 v12, s2, v7
	v_mul_lo_u32 v13, s5, v7
	v_add_nc_u32_e32 v11, v12, v11
	v_mul_lo_u32 v12, s2, v7
	s_delay_alu instid0(VALU_DEP_2) | instskip(NEXT) | instid1(VALU_DEP_2)
	v_add_nc_u32_e32 v11, v11, v13
	v_mul_hi_u32 v13, v7, v12
	s_delay_alu instid0(VALU_DEP_2)
	v_mul_lo_u32 v14, v7, v11
	v_mul_hi_u32 v15, v7, v11
	v_mul_hi_u32 v16, v8, v12
	v_mul_lo_u32 v12, v8, v12
	v_mul_hi_u32 v17, v8, v11
	v_mul_lo_u32 v11, v8, v11
	v_add_co_u32 v13, vcc_lo, v13, v14
	v_add_co_ci_u32_e32 v14, vcc_lo, 0, v15, vcc_lo
	s_delay_alu instid0(VALU_DEP_2) | instskip(NEXT) | instid1(VALU_DEP_2)
	v_add_co_u32 v12, vcc_lo, v13, v12
	v_add_co_ci_u32_e32 v12, vcc_lo, v14, v16, vcc_lo
	v_add_co_ci_u32_e32 v13, vcc_lo, 0, v17, vcc_lo
	v_ashrrev_i32_e32 v16, 31, v10
	s_delay_alu instid0(VALU_DEP_3) | instskip(NEXT) | instid1(VALU_DEP_3)
	v_add_co_u32 v11, vcc_lo, v12, v11
	v_add_co_ci_u32_e32 v12, vcc_lo, 0, v13, vcc_lo
	s_delay_alu instid0(VALU_DEP_2) | instskip(NEXT) | instid1(VALU_DEP_2)
	v_add_co_u32 v7, vcc_lo, v7, v11
	v_add_co_ci_u32_e32 v8, vcc_lo, v8, v12, vcc_lo
	s_delay_alu instid0(VALU_DEP_2) | instskip(SKIP_1) | instid1(VALU_DEP_3)
	v_mul_hi_u32 v11, s2, v7
	v_mul_lo_u32 v13, s5, v7
	v_mul_lo_u32 v12, s2, v8
	s_delay_alu instid0(VALU_DEP_1) | instskip(SKIP_1) | instid1(VALU_DEP_2)
	v_add_nc_u32_e32 v11, v11, v12
	v_mul_lo_u32 v12, s2, v7
	v_add_nc_u32_e32 v11, v11, v13
	s_delay_alu instid0(VALU_DEP_2) | instskip(NEXT) | instid1(VALU_DEP_2)
	v_mul_hi_u32 v13, v7, v12
	v_mul_lo_u32 v14, v7, v11
	v_mul_hi_u32 v15, v7, v11
	v_mul_hi_u32 v17, v8, v12
	v_mul_lo_u32 v12, v8, v12
	v_mul_hi_u32 v18, v8, v11
	v_mul_lo_u32 v11, v8, v11
	v_add_co_u32 v13, vcc_lo, v13, v14
	v_add_co_ci_u32_e32 v14, vcc_lo, 0, v15, vcc_lo
	s_delay_alu instid0(VALU_DEP_2) | instskip(NEXT) | instid1(VALU_DEP_2)
	v_add_co_u32 v12, vcc_lo, v13, v12
	v_add_co_ci_u32_e32 v12, vcc_lo, v14, v17, vcc_lo
	v_add_co_ci_u32_e32 v13, vcc_lo, 0, v18, vcc_lo
	v_add_co_u32 v9, vcc_lo, v9, v16
	v_add_co_ci_u32_e32 v10, vcc_lo, v10, v16, vcc_lo
	s_delay_alu instid0(VALU_DEP_4) | instskip(NEXT) | instid1(VALU_DEP_4)
	v_add_co_u32 v11, vcc_lo, v12, v11
	v_add_co_ci_u32_e32 v12, vcc_lo, 0, v13, vcc_lo
	s_delay_alu instid0(VALU_DEP_4) | instskip(NEXT) | instid1(VALU_DEP_3)
	v_xor_b32_e32 v13, v9, v16
	v_add_co_u32 v11, vcc_lo, v7, v11
	s_delay_alu instid0(VALU_DEP_3) | instskip(SKIP_1) | instid1(VALU_DEP_3)
	v_add_co_ci_u32_e32 v14, vcc_lo, v8, v12, vcc_lo
	v_xor_b32_e32 v15, v10, v16
	v_mul_hi_u32 v17, v13, v11
	s_delay_alu instid0(VALU_DEP_3) | instskip(NEXT) | instid1(VALU_DEP_3)
	v_mad_u64_u32 v[7:8], null, v13, v14, 0
	v_mad_u64_u32 v[9:10], null, v15, v11, 0
	;; [unrolled: 1-line block ×3, first 2 shown]
	s_delay_alu instid0(VALU_DEP_3) | instskip(NEXT) | instid1(VALU_DEP_4)
	v_add_co_u32 v7, vcc_lo, v17, v7
	v_add_co_ci_u32_e32 v8, vcc_lo, 0, v8, vcc_lo
	s_delay_alu instid0(VALU_DEP_2) | instskip(NEXT) | instid1(VALU_DEP_2)
	v_add_co_u32 v7, vcc_lo, v7, v9
	v_add_co_ci_u32_e32 v7, vcc_lo, v8, v10, vcc_lo
	v_add_co_ci_u32_e32 v8, vcc_lo, 0, v12, vcc_lo
	s_delay_alu instid0(VALU_DEP_2) | instskip(NEXT) | instid1(VALU_DEP_2)
	v_add_co_u32 v9, vcc_lo, v7, v11
	v_add_co_ci_u32_e32 v10, vcc_lo, 0, v8, vcc_lo
	s_delay_alu instid0(VALU_DEP_2) | instskip(SKIP_1) | instid1(VALU_DEP_3)
	v_mul_lo_u32 v11, s7, v9
	v_mad_u64_u32 v[7:8], null, s6, v9, 0
	v_mul_lo_u32 v12, s6, v10
	s_delay_alu instid0(VALU_DEP_2) | instskip(NEXT) | instid1(VALU_DEP_2)
	v_sub_co_u32 v7, vcc_lo, v13, v7
	v_add3_u32 v8, v8, v12, v11
	s_delay_alu instid0(VALU_DEP_1) | instskip(NEXT) | instid1(VALU_DEP_1)
	v_sub_nc_u32_e32 v11, v15, v8
	v_subrev_co_ci_u32_e64 v11, s2, s7, v11, vcc_lo
	v_add_co_u32 v12, s2, v9, 2
	s_delay_alu instid0(VALU_DEP_1) | instskip(SKIP_3) | instid1(VALU_DEP_3)
	v_add_co_ci_u32_e64 v13, s2, 0, v10, s2
	v_sub_co_u32 v14, s2, v7, s6
	v_sub_co_ci_u32_e32 v8, vcc_lo, v15, v8, vcc_lo
	v_subrev_co_ci_u32_e64 v11, s2, 0, v11, s2
	v_cmp_le_u32_e32 vcc_lo, s6, v14
	s_delay_alu instid0(VALU_DEP_3) | instskip(SKIP_1) | instid1(VALU_DEP_4)
	v_cmp_eq_u32_e64 s2, s7, v8
	v_cndmask_b32_e64 v14, 0, -1, vcc_lo
	v_cmp_le_u32_e32 vcc_lo, s7, v11
	v_cndmask_b32_e64 v15, 0, -1, vcc_lo
	v_cmp_le_u32_e32 vcc_lo, s6, v7
	;; [unrolled: 2-line block ×3, first 2 shown]
	v_cndmask_b32_e64 v17, 0, -1, vcc_lo
	v_cmp_eq_u32_e32 vcc_lo, s7, v11
	s_delay_alu instid0(VALU_DEP_2) | instskip(SKIP_3) | instid1(VALU_DEP_3)
	v_cndmask_b32_e64 v7, v17, v7, s2
	v_cndmask_b32_e32 v11, v15, v14, vcc_lo
	v_add_co_u32 v14, vcc_lo, v9, 1
	v_add_co_ci_u32_e32 v15, vcc_lo, 0, v10, vcc_lo
	v_cmp_ne_u32_e32 vcc_lo, 0, v11
	s_delay_alu instid0(VALU_DEP_2) | instskip(SKIP_2) | instid1(VALU_DEP_3)
	v_dual_cndmask_b32 v8, v15, v13 :: v_dual_cndmask_b32 v11, v14, v12
	v_cmp_ne_u32_e32 vcc_lo, 0, v7
	v_xor_b32_e32 v12, s4, v16
	v_dual_cndmask_b32 v7, v10, v8 :: v_dual_cndmask_b32 v8, v9, v11
	s_delay_alu instid0(VALU_DEP_1) | instskip(NEXT) | instid1(VALU_DEP_2)
	v_xor_b32_e32 v9, v7, v12
	v_xor_b32_e32 v8, v8, v12
	s_delay_alu instid0(VALU_DEP_1) | instskip(NEXT) | instid1(VALU_DEP_3)
	v_sub_co_u32 v7, vcc_lo, v8, v12
	v_sub_co_ci_u32_e32 v8, vcc_lo, v9, v12, vcc_lo
                                        ; implicit-def: $vgpr9
.LBB1139_15:
	s_and_not1_saveexec_b32 s2, s3
	s_cbranch_execz .LBB1139_17
; %bb.16:
	v_cvt_f32_u32_e32 v7, s38
	s_sub_i32 s3, 0, s38
	s_delay_alu instid0(VALU_DEP_1) | instskip(SKIP_2) | instid1(VALU_DEP_1)
	v_rcp_iflag_f32_e32 v7, v7
	s_waitcnt_depctr 0xfff
	v_mul_f32_e32 v7, 0x4f7ffffe, v7
	v_cvt_u32_f32_e32 v7, v7
	s_delay_alu instid0(VALU_DEP_1) | instskip(NEXT) | instid1(VALU_DEP_1)
	v_mul_lo_u32 v8, s3, v7
	v_mul_hi_u32 v8, v7, v8
	s_delay_alu instid0(VALU_DEP_1) | instskip(NEXT) | instid1(VALU_DEP_1)
	v_add_nc_u32_e32 v7, v7, v8
	v_mul_hi_u32 v7, v9, v7
	s_delay_alu instid0(VALU_DEP_1) | instskip(NEXT) | instid1(VALU_DEP_1)
	v_mul_lo_u32 v8, v7, s38
	v_sub_nc_u32_e32 v8, v9, v8
	v_add_nc_u32_e32 v9, 1, v7
	s_delay_alu instid0(VALU_DEP_2) | instskip(SKIP_1) | instid1(VALU_DEP_2)
	v_subrev_nc_u32_e32 v10, s38, v8
	v_cmp_le_u32_e32 vcc_lo, s38, v8
	v_dual_cndmask_b32 v8, v8, v10 :: v_dual_cndmask_b32 v7, v7, v9
	s_delay_alu instid0(VALU_DEP_1) | instskip(NEXT) | instid1(VALU_DEP_2)
	v_cmp_le_u32_e32 vcc_lo, s38, v8
	v_dual_mov_b32 v8, 0 :: v_dual_add_nc_u32 v9, 1, v7
	s_delay_alu instid0(VALU_DEP_1)
	v_cndmask_b32_e32 v7, v7, v9, vcc_lo
.LBB1139_17:
	s_or_b32 exec_lo, exec_lo, s2
	v_add_co_u32 v11, vcc_lo, 0x400, v29
	v_add_co_ci_u32_e32 v12, vcc_lo, 0, v30, vcc_lo
	v_mov_b32_e32 v9, 0
	s_delay_alu instid0(VALU_DEP_2) | instskip(NEXT) | instid1(VALU_DEP_1)
	v_or_b32_e32 v10, s39, v12
	v_cmp_ne_u64_e32 vcc_lo, 0, v[9:10]
                                        ; implicit-def: $vgpr9_vgpr10
	s_and_saveexec_b32 s2, vcc_lo
	s_delay_alu instid0(SALU_CYCLE_1)
	s_xor_b32 s3, exec_lo, s2
	s_cbranch_execz .LBB1139_19
; %bb.18:
	s_ashr_i32 s4, s39, 31
	s_delay_alu instid0(SALU_CYCLE_1) | instskip(SKIP_2) | instid1(SALU_CYCLE_1)
	s_add_u32 s6, s38, s4
	s_mov_b32 s5, s4
	s_addc_u32 s7, s39, s4
	s_xor_b64 s[6:7], s[6:7], s[4:5]
	s_delay_alu instid0(SALU_CYCLE_1) | instskip(SKIP_3) | instid1(VALU_DEP_1)
	v_cvt_f32_u32_e32 v9, s6
	v_cvt_f32_u32_e32 v10, s7
	s_sub_u32 s2, 0, s6
	s_subb_u32 s5, 0, s7
	v_fmamk_f32 v9, v10, 0x4f800000, v9
	s_delay_alu instid0(VALU_DEP_1) | instskip(SKIP_2) | instid1(VALU_DEP_1)
	v_rcp_f32_e32 v9, v9
	s_waitcnt_depctr 0xfff
	v_mul_f32_e32 v9, 0x5f7ffffc, v9
	v_mul_f32_e32 v10, 0x2f800000, v9
	s_delay_alu instid0(VALU_DEP_1) | instskip(NEXT) | instid1(VALU_DEP_1)
	v_trunc_f32_e32 v10, v10
	v_fmamk_f32 v9, v10, 0xcf800000, v9
	v_cvt_u32_f32_e32 v10, v10
	s_delay_alu instid0(VALU_DEP_2) | instskip(NEXT) | instid1(VALU_DEP_2)
	v_cvt_u32_f32_e32 v9, v9
	v_mul_lo_u32 v13, s2, v10
	s_delay_alu instid0(VALU_DEP_2) | instskip(SKIP_1) | instid1(VALU_DEP_2)
	v_mul_hi_u32 v14, s2, v9
	v_mul_lo_u32 v15, s5, v9
	v_add_nc_u32_e32 v13, v14, v13
	v_mul_lo_u32 v14, s2, v9
	s_delay_alu instid0(VALU_DEP_2) | instskip(NEXT) | instid1(VALU_DEP_2)
	v_add_nc_u32_e32 v13, v13, v15
	v_mul_hi_u32 v15, v9, v14
	s_delay_alu instid0(VALU_DEP_2)
	v_mul_lo_u32 v16, v9, v13
	v_mul_hi_u32 v17, v9, v13
	v_mul_hi_u32 v18, v10, v14
	v_mul_lo_u32 v14, v10, v14
	v_mul_hi_u32 v19, v10, v13
	v_mul_lo_u32 v13, v10, v13
	v_add_co_u32 v15, vcc_lo, v15, v16
	v_add_co_ci_u32_e32 v16, vcc_lo, 0, v17, vcc_lo
	s_delay_alu instid0(VALU_DEP_2) | instskip(NEXT) | instid1(VALU_DEP_2)
	v_add_co_u32 v14, vcc_lo, v15, v14
	v_add_co_ci_u32_e32 v14, vcc_lo, v16, v18, vcc_lo
	v_add_co_ci_u32_e32 v15, vcc_lo, 0, v19, vcc_lo
	v_ashrrev_i32_e32 v18, 31, v12
	s_delay_alu instid0(VALU_DEP_3) | instskip(NEXT) | instid1(VALU_DEP_3)
	v_add_co_u32 v13, vcc_lo, v14, v13
	v_add_co_ci_u32_e32 v14, vcc_lo, 0, v15, vcc_lo
	s_delay_alu instid0(VALU_DEP_2) | instskip(NEXT) | instid1(VALU_DEP_2)
	v_add_co_u32 v9, vcc_lo, v9, v13
	v_add_co_ci_u32_e32 v10, vcc_lo, v10, v14, vcc_lo
	s_delay_alu instid0(VALU_DEP_2) | instskip(SKIP_1) | instid1(VALU_DEP_3)
	v_mul_hi_u32 v13, s2, v9
	v_mul_lo_u32 v15, s5, v9
	v_mul_lo_u32 v14, s2, v10
	s_delay_alu instid0(VALU_DEP_1) | instskip(SKIP_1) | instid1(VALU_DEP_2)
	v_add_nc_u32_e32 v13, v13, v14
	v_mul_lo_u32 v14, s2, v9
	v_add_nc_u32_e32 v13, v13, v15
	s_delay_alu instid0(VALU_DEP_2) | instskip(NEXT) | instid1(VALU_DEP_2)
	v_mul_hi_u32 v15, v9, v14
	v_mul_lo_u32 v16, v9, v13
	v_mul_hi_u32 v17, v9, v13
	v_mul_hi_u32 v19, v10, v14
	v_mul_lo_u32 v14, v10, v14
	v_mul_hi_u32 v20, v10, v13
	v_mul_lo_u32 v13, v10, v13
	v_add_co_u32 v15, vcc_lo, v15, v16
	v_add_co_ci_u32_e32 v16, vcc_lo, 0, v17, vcc_lo
	s_delay_alu instid0(VALU_DEP_2) | instskip(NEXT) | instid1(VALU_DEP_2)
	v_add_co_u32 v14, vcc_lo, v15, v14
	v_add_co_ci_u32_e32 v14, vcc_lo, v16, v19, vcc_lo
	v_add_co_ci_u32_e32 v15, vcc_lo, 0, v20, vcc_lo
	v_add_co_u32 v11, vcc_lo, v11, v18
	v_add_co_ci_u32_e32 v12, vcc_lo, v12, v18, vcc_lo
	s_delay_alu instid0(VALU_DEP_4) | instskip(NEXT) | instid1(VALU_DEP_4)
	v_add_co_u32 v13, vcc_lo, v14, v13
	v_add_co_ci_u32_e32 v14, vcc_lo, 0, v15, vcc_lo
	s_delay_alu instid0(VALU_DEP_4) | instskip(NEXT) | instid1(VALU_DEP_3)
	v_xor_b32_e32 v15, v11, v18
	v_add_co_u32 v13, vcc_lo, v9, v13
	s_delay_alu instid0(VALU_DEP_3) | instskip(SKIP_1) | instid1(VALU_DEP_3)
	v_add_co_ci_u32_e32 v16, vcc_lo, v10, v14, vcc_lo
	v_xor_b32_e32 v17, v12, v18
	v_mul_hi_u32 v19, v15, v13
	s_delay_alu instid0(VALU_DEP_3) | instskip(NEXT) | instid1(VALU_DEP_3)
	v_mad_u64_u32 v[9:10], null, v15, v16, 0
	v_mad_u64_u32 v[11:12], null, v17, v13, 0
	;; [unrolled: 1-line block ×3, first 2 shown]
	s_delay_alu instid0(VALU_DEP_3) | instskip(NEXT) | instid1(VALU_DEP_4)
	v_add_co_u32 v9, vcc_lo, v19, v9
	v_add_co_ci_u32_e32 v10, vcc_lo, 0, v10, vcc_lo
	s_delay_alu instid0(VALU_DEP_2) | instskip(NEXT) | instid1(VALU_DEP_2)
	v_add_co_u32 v9, vcc_lo, v9, v11
	v_add_co_ci_u32_e32 v9, vcc_lo, v10, v12, vcc_lo
	v_add_co_ci_u32_e32 v10, vcc_lo, 0, v14, vcc_lo
	s_delay_alu instid0(VALU_DEP_2) | instskip(NEXT) | instid1(VALU_DEP_2)
	v_add_co_u32 v11, vcc_lo, v9, v13
	v_add_co_ci_u32_e32 v12, vcc_lo, 0, v10, vcc_lo
	s_delay_alu instid0(VALU_DEP_2) | instskip(SKIP_1) | instid1(VALU_DEP_3)
	v_mul_lo_u32 v13, s7, v11
	v_mad_u64_u32 v[9:10], null, s6, v11, 0
	v_mul_lo_u32 v14, s6, v12
	s_delay_alu instid0(VALU_DEP_2) | instskip(NEXT) | instid1(VALU_DEP_2)
	v_sub_co_u32 v9, vcc_lo, v15, v9
	v_add3_u32 v10, v10, v14, v13
	s_delay_alu instid0(VALU_DEP_1) | instskip(NEXT) | instid1(VALU_DEP_1)
	v_sub_nc_u32_e32 v13, v17, v10
	v_subrev_co_ci_u32_e64 v13, s2, s7, v13, vcc_lo
	v_add_co_u32 v14, s2, v11, 2
	s_delay_alu instid0(VALU_DEP_1) | instskip(SKIP_3) | instid1(VALU_DEP_3)
	v_add_co_ci_u32_e64 v15, s2, 0, v12, s2
	v_sub_co_u32 v16, s2, v9, s6
	v_sub_co_ci_u32_e32 v10, vcc_lo, v17, v10, vcc_lo
	v_subrev_co_ci_u32_e64 v13, s2, 0, v13, s2
	v_cmp_le_u32_e32 vcc_lo, s6, v16
	s_delay_alu instid0(VALU_DEP_3) | instskip(SKIP_1) | instid1(VALU_DEP_4)
	v_cmp_eq_u32_e64 s2, s7, v10
	v_cndmask_b32_e64 v16, 0, -1, vcc_lo
	v_cmp_le_u32_e32 vcc_lo, s7, v13
	v_cndmask_b32_e64 v17, 0, -1, vcc_lo
	v_cmp_le_u32_e32 vcc_lo, s6, v9
	v_cndmask_b32_e64 v9, 0, -1, vcc_lo
	v_cmp_le_u32_e32 vcc_lo, s7, v10
	v_cndmask_b32_e64 v19, 0, -1, vcc_lo
	v_cmp_eq_u32_e32 vcc_lo, s7, v13
	s_delay_alu instid0(VALU_DEP_2) | instskip(SKIP_3) | instid1(VALU_DEP_3)
	v_cndmask_b32_e64 v9, v19, v9, s2
	v_cndmask_b32_e32 v13, v17, v16, vcc_lo
	v_add_co_u32 v16, vcc_lo, v11, 1
	v_add_co_ci_u32_e32 v17, vcc_lo, 0, v12, vcc_lo
	v_cmp_ne_u32_e32 vcc_lo, 0, v13
	s_delay_alu instid0(VALU_DEP_2) | instskip(SKIP_2) | instid1(VALU_DEP_3)
	v_dual_cndmask_b32 v10, v17, v15 :: v_dual_cndmask_b32 v13, v16, v14
	v_cmp_ne_u32_e32 vcc_lo, 0, v9
	v_xor_b32_e32 v14, s4, v18
	v_dual_cndmask_b32 v9, v12, v10 :: v_dual_cndmask_b32 v10, v11, v13
	s_delay_alu instid0(VALU_DEP_1) | instskip(NEXT) | instid1(VALU_DEP_2)
	v_xor_b32_e32 v11, v9, v14
	v_xor_b32_e32 v10, v10, v14
	s_delay_alu instid0(VALU_DEP_1) | instskip(NEXT) | instid1(VALU_DEP_3)
	v_sub_co_u32 v9, vcc_lo, v10, v14
	v_sub_co_ci_u32_e32 v10, vcc_lo, v11, v14, vcc_lo
                                        ; implicit-def: $vgpr11
.LBB1139_19:
	s_and_not1_saveexec_b32 s2, s3
	s_cbranch_execz .LBB1139_21
; %bb.20:
	v_cvt_f32_u32_e32 v9, s38
	s_sub_i32 s3, 0, s38
	s_delay_alu instid0(VALU_DEP_1) | instskip(SKIP_2) | instid1(VALU_DEP_1)
	v_rcp_iflag_f32_e32 v9, v9
	s_waitcnt_depctr 0xfff
	v_mul_f32_e32 v9, 0x4f7ffffe, v9
	v_cvt_u32_f32_e32 v9, v9
	s_delay_alu instid0(VALU_DEP_1) | instskip(NEXT) | instid1(VALU_DEP_1)
	v_mul_lo_u32 v10, s3, v9
	v_mul_hi_u32 v10, v9, v10
	s_delay_alu instid0(VALU_DEP_1) | instskip(NEXT) | instid1(VALU_DEP_1)
	v_add_nc_u32_e32 v9, v9, v10
	v_mul_hi_u32 v9, v11, v9
	s_delay_alu instid0(VALU_DEP_1) | instskip(NEXT) | instid1(VALU_DEP_1)
	v_mul_lo_u32 v10, v9, s38
	v_sub_nc_u32_e32 v10, v11, v10
	v_add_nc_u32_e32 v11, 1, v9
	s_delay_alu instid0(VALU_DEP_2) | instskip(SKIP_1) | instid1(VALU_DEP_2)
	v_subrev_nc_u32_e32 v12, s38, v10
	v_cmp_le_u32_e32 vcc_lo, s38, v10
	v_dual_cndmask_b32 v10, v10, v12 :: v_dual_cndmask_b32 v9, v9, v11
	s_delay_alu instid0(VALU_DEP_1) | instskip(NEXT) | instid1(VALU_DEP_2)
	v_cmp_le_u32_e32 vcc_lo, s38, v10
	v_dual_mov_b32 v10, 0 :: v_dual_add_nc_u32 v11, 1, v9
	s_delay_alu instid0(VALU_DEP_1)
	v_cndmask_b32_e32 v9, v9, v11, vcc_lo
.LBB1139_21:
	s_or_b32 exec_lo, exec_lo, s2
	v_add_co_u32 v13, vcc_lo, 0x500, v29
	v_add_co_ci_u32_e32 v14, vcc_lo, 0, v30, vcc_lo
	v_mov_b32_e32 v11, 0
	s_delay_alu instid0(VALU_DEP_2) | instskip(NEXT) | instid1(VALU_DEP_1)
	v_or_b32_e32 v12, s39, v14
	v_cmp_ne_u64_e32 vcc_lo, 0, v[11:12]
                                        ; implicit-def: $vgpr11_vgpr12
	s_and_saveexec_b32 s2, vcc_lo
	s_delay_alu instid0(SALU_CYCLE_1)
	s_xor_b32 s3, exec_lo, s2
	s_cbranch_execz .LBB1139_23
; %bb.22:
	s_ashr_i32 s4, s39, 31
	s_delay_alu instid0(SALU_CYCLE_1) | instskip(SKIP_2) | instid1(SALU_CYCLE_1)
	s_add_u32 s6, s38, s4
	s_mov_b32 s5, s4
	s_addc_u32 s7, s39, s4
	s_xor_b64 s[6:7], s[6:7], s[4:5]
	s_delay_alu instid0(SALU_CYCLE_1) | instskip(SKIP_3) | instid1(VALU_DEP_1)
	v_cvt_f32_u32_e32 v11, s6
	v_cvt_f32_u32_e32 v12, s7
	s_sub_u32 s2, 0, s6
	s_subb_u32 s5, 0, s7
	v_fmamk_f32 v11, v12, 0x4f800000, v11
	s_delay_alu instid0(VALU_DEP_1) | instskip(SKIP_2) | instid1(VALU_DEP_1)
	v_rcp_f32_e32 v11, v11
	s_waitcnt_depctr 0xfff
	v_mul_f32_e32 v11, 0x5f7ffffc, v11
	v_mul_f32_e32 v12, 0x2f800000, v11
	s_delay_alu instid0(VALU_DEP_1) | instskip(NEXT) | instid1(VALU_DEP_1)
	v_trunc_f32_e32 v12, v12
	v_fmamk_f32 v11, v12, 0xcf800000, v11
	v_cvt_u32_f32_e32 v12, v12
	s_delay_alu instid0(VALU_DEP_2) | instskip(NEXT) | instid1(VALU_DEP_2)
	v_cvt_u32_f32_e32 v11, v11
	v_mul_lo_u32 v15, s2, v12
	s_delay_alu instid0(VALU_DEP_2) | instskip(SKIP_1) | instid1(VALU_DEP_2)
	v_mul_hi_u32 v16, s2, v11
	v_mul_lo_u32 v17, s5, v11
	v_add_nc_u32_e32 v15, v16, v15
	v_mul_lo_u32 v16, s2, v11
	s_delay_alu instid0(VALU_DEP_2) | instskip(NEXT) | instid1(VALU_DEP_2)
	v_add_nc_u32_e32 v15, v15, v17
	v_mul_hi_u32 v17, v11, v16
	s_delay_alu instid0(VALU_DEP_2)
	v_mul_lo_u32 v18, v11, v15
	v_mul_hi_u32 v19, v11, v15
	v_mul_hi_u32 v20, v12, v16
	v_mul_lo_u32 v16, v12, v16
	v_mul_hi_u32 v21, v12, v15
	v_mul_lo_u32 v15, v12, v15
	v_add_co_u32 v17, vcc_lo, v17, v18
	v_add_co_ci_u32_e32 v18, vcc_lo, 0, v19, vcc_lo
	s_delay_alu instid0(VALU_DEP_2) | instskip(NEXT) | instid1(VALU_DEP_2)
	v_add_co_u32 v16, vcc_lo, v17, v16
	v_add_co_ci_u32_e32 v16, vcc_lo, v18, v20, vcc_lo
	v_add_co_ci_u32_e32 v17, vcc_lo, 0, v21, vcc_lo
	v_ashrrev_i32_e32 v20, 31, v14
	s_delay_alu instid0(VALU_DEP_3) | instskip(NEXT) | instid1(VALU_DEP_3)
	v_add_co_u32 v15, vcc_lo, v16, v15
	v_add_co_ci_u32_e32 v16, vcc_lo, 0, v17, vcc_lo
	s_delay_alu instid0(VALU_DEP_2) | instskip(NEXT) | instid1(VALU_DEP_2)
	v_add_co_u32 v11, vcc_lo, v11, v15
	v_add_co_ci_u32_e32 v12, vcc_lo, v12, v16, vcc_lo
	s_delay_alu instid0(VALU_DEP_2) | instskip(SKIP_1) | instid1(VALU_DEP_3)
	v_mul_hi_u32 v15, s2, v11
	v_mul_lo_u32 v17, s5, v11
	v_mul_lo_u32 v16, s2, v12
	s_delay_alu instid0(VALU_DEP_1) | instskip(SKIP_1) | instid1(VALU_DEP_2)
	v_add_nc_u32_e32 v15, v15, v16
	v_mul_lo_u32 v16, s2, v11
	v_add_nc_u32_e32 v15, v15, v17
	s_delay_alu instid0(VALU_DEP_2) | instskip(NEXT) | instid1(VALU_DEP_2)
	v_mul_hi_u32 v17, v11, v16
	v_mul_lo_u32 v18, v11, v15
	v_mul_hi_u32 v19, v11, v15
	v_mul_hi_u32 v21, v12, v16
	v_mul_lo_u32 v16, v12, v16
	v_mul_hi_u32 v22, v12, v15
	v_mul_lo_u32 v15, v12, v15
	v_add_co_u32 v17, vcc_lo, v17, v18
	v_add_co_ci_u32_e32 v18, vcc_lo, 0, v19, vcc_lo
	s_delay_alu instid0(VALU_DEP_2) | instskip(NEXT) | instid1(VALU_DEP_2)
	v_add_co_u32 v16, vcc_lo, v17, v16
	v_add_co_ci_u32_e32 v16, vcc_lo, v18, v21, vcc_lo
	v_add_co_ci_u32_e32 v17, vcc_lo, 0, v22, vcc_lo
	v_add_co_u32 v13, vcc_lo, v13, v20
	v_add_co_ci_u32_e32 v14, vcc_lo, v14, v20, vcc_lo
	s_delay_alu instid0(VALU_DEP_4) | instskip(NEXT) | instid1(VALU_DEP_4)
	v_add_co_u32 v15, vcc_lo, v16, v15
	v_add_co_ci_u32_e32 v16, vcc_lo, 0, v17, vcc_lo
	s_delay_alu instid0(VALU_DEP_4) | instskip(NEXT) | instid1(VALU_DEP_3)
	v_xor_b32_e32 v17, v13, v20
	v_add_co_u32 v15, vcc_lo, v11, v15
	s_delay_alu instid0(VALU_DEP_3) | instskip(SKIP_1) | instid1(VALU_DEP_3)
	v_add_co_ci_u32_e32 v18, vcc_lo, v12, v16, vcc_lo
	v_xor_b32_e32 v19, v14, v20
	v_mul_hi_u32 v21, v17, v15
	s_delay_alu instid0(VALU_DEP_3) | instskip(NEXT) | instid1(VALU_DEP_3)
	v_mad_u64_u32 v[11:12], null, v17, v18, 0
	v_mad_u64_u32 v[13:14], null, v19, v15, 0
	;; [unrolled: 1-line block ×3, first 2 shown]
	s_delay_alu instid0(VALU_DEP_3) | instskip(NEXT) | instid1(VALU_DEP_4)
	v_add_co_u32 v11, vcc_lo, v21, v11
	v_add_co_ci_u32_e32 v12, vcc_lo, 0, v12, vcc_lo
	s_delay_alu instid0(VALU_DEP_2) | instskip(NEXT) | instid1(VALU_DEP_2)
	v_add_co_u32 v11, vcc_lo, v11, v13
	v_add_co_ci_u32_e32 v11, vcc_lo, v12, v14, vcc_lo
	v_add_co_ci_u32_e32 v12, vcc_lo, 0, v16, vcc_lo
	s_delay_alu instid0(VALU_DEP_2) | instskip(NEXT) | instid1(VALU_DEP_2)
	v_add_co_u32 v13, vcc_lo, v11, v15
	v_add_co_ci_u32_e32 v14, vcc_lo, 0, v12, vcc_lo
	s_delay_alu instid0(VALU_DEP_2) | instskip(SKIP_1) | instid1(VALU_DEP_3)
	v_mul_lo_u32 v15, s7, v13
	v_mad_u64_u32 v[11:12], null, s6, v13, 0
	v_mul_lo_u32 v16, s6, v14
	s_delay_alu instid0(VALU_DEP_2) | instskip(NEXT) | instid1(VALU_DEP_2)
	v_sub_co_u32 v11, vcc_lo, v17, v11
	v_add3_u32 v12, v12, v16, v15
	s_delay_alu instid0(VALU_DEP_1) | instskip(NEXT) | instid1(VALU_DEP_1)
	v_sub_nc_u32_e32 v15, v19, v12
	v_subrev_co_ci_u32_e64 v15, s2, s7, v15, vcc_lo
	v_add_co_u32 v16, s2, v13, 2
	s_delay_alu instid0(VALU_DEP_1) | instskip(SKIP_3) | instid1(VALU_DEP_3)
	v_add_co_ci_u32_e64 v17, s2, 0, v14, s2
	v_sub_co_u32 v18, s2, v11, s6
	v_sub_co_ci_u32_e32 v12, vcc_lo, v19, v12, vcc_lo
	v_subrev_co_ci_u32_e64 v15, s2, 0, v15, s2
	v_cmp_le_u32_e32 vcc_lo, s6, v18
	s_delay_alu instid0(VALU_DEP_3) | instskip(SKIP_1) | instid1(VALU_DEP_4)
	v_cmp_eq_u32_e64 s2, s7, v12
	v_cndmask_b32_e64 v18, 0, -1, vcc_lo
	v_cmp_le_u32_e32 vcc_lo, s7, v15
	v_cndmask_b32_e64 v19, 0, -1, vcc_lo
	v_cmp_le_u32_e32 vcc_lo, s6, v11
	;; [unrolled: 2-line block ×3, first 2 shown]
	v_cndmask_b32_e64 v21, 0, -1, vcc_lo
	v_cmp_eq_u32_e32 vcc_lo, s7, v15
	s_delay_alu instid0(VALU_DEP_2) | instskip(SKIP_3) | instid1(VALU_DEP_3)
	v_cndmask_b32_e64 v11, v21, v11, s2
	v_cndmask_b32_e32 v15, v19, v18, vcc_lo
	v_add_co_u32 v18, vcc_lo, v13, 1
	v_add_co_ci_u32_e32 v19, vcc_lo, 0, v14, vcc_lo
	v_cmp_ne_u32_e32 vcc_lo, 0, v15
	s_delay_alu instid0(VALU_DEP_2) | instskip(SKIP_2) | instid1(VALU_DEP_3)
	v_dual_cndmask_b32 v12, v19, v17 :: v_dual_cndmask_b32 v15, v18, v16
	v_cmp_ne_u32_e32 vcc_lo, 0, v11
	v_xor_b32_e32 v16, s4, v20
	v_dual_cndmask_b32 v11, v14, v12 :: v_dual_cndmask_b32 v12, v13, v15
	s_delay_alu instid0(VALU_DEP_1) | instskip(NEXT) | instid1(VALU_DEP_2)
	v_xor_b32_e32 v13, v11, v16
	v_xor_b32_e32 v12, v12, v16
	s_delay_alu instid0(VALU_DEP_1) | instskip(NEXT) | instid1(VALU_DEP_3)
	v_sub_co_u32 v11, vcc_lo, v12, v16
	v_sub_co_ci_u32_e32 v12, vcc_lo, v13, v16, vcc_lo
                                        ; implicit-def: $vgpr13
.LBB1139_23:
	s_and_not1_saveexec_b32 s2, s3
	s_cbranch_execz .LBB1139_25
; %bb.24:
	v_cvt_f32_u32_e32 v11, s38
	s_sub_i32 s3, 0, s38
	s_delay_alu instid0(VALU_DEP_1) | instskip(SKIP_2) | instid1(VALU_DEP_1)
	v_rcp_iflag_f32_e32 v11, v11
	s_waitcnt_depctr 0xfff
	v_mul_f32_e32 v11, 0x4f7ffffe, v11
	v_cvt_u32_f32_e32 v11, v11
	s_delay_alu instid0(VALU_DEP_1) | instskip(NEXT) | instid1(VALU_DEP_1)
	v_mul_lo_u32 v12, s3, v11
	v_mul_hi_u32 v12, v11, v12
	s_delay_alu instid0(VALU_DEP_1) | instskip(NEXT) | instid1(VALU_DEP_1)
	v_add_nc_u32_e32 v11, v11, v12
	v_mul_hi_u32 v11, v13, v11
	s_delay_alu instid0(VALU_DEP_1) | instskip(NEXT) | instid1(VALU_DEP_1)
	v_mul_lo_u32 v12, v11, s38
	v_sub_nc_u32_e32 v12, v13, v12
	v_add_nc_u32_e32 v13, 1, v11
	s_delay_alu instid0(VALU_DEP_2) | instskip(SKIP_1) | instid1(VALU_DEP_2)
	v_subrev_nc_u32_e32 v14, s38, v12
	v_cmp_le_u32_e32 vcc_lo, s38, v12
	v_dual_cndmask_b32 v12, v12, v14 :: v_dual_cndmask_b32 v11, v11, v13
	s_delay_alu instid0(VALU_DEP_1) | instskip(NEXT) | instid1(VALU_DEP_2)
	v_cmp_le_u32_e32 vcc_lo, s38, v12
	v_dual_mov_b32 v12, 0 :: v_dual_add_nc_u32 v13, 1, v11
	s_delay_alu instid0(VALU_DEP_1)
	v_cndmask_b32_e32 v11, v11, v13, vcc_lo
.LBB1139_25:
	s_or_b32 exec_lo, exec_lo, s2
	v_add_co_u32 v15, vcc_lo, 0x600, v29
	v_add_co_ci_u32_e32 v16, vcc_lo, 0, v30, vcc_lo
	v_mov_b32_e32 v13, 0
	s_delay_alu instid0(VALU_DEP_2) | instskip(NEXT) | instid1(VALU_DEP_1)
	v_or_b32_e32 v14, s39, v16
	v_cmp_ne_u64_e32 vcc_lo, 0, v[13:14]
                                        ; implicit-def: $vgpr13_vgpr14
	s_and_saveexec_b32 s2, vcc_lo
	s_delay_alu instid0(SALU_CYCLE_1)
	s_xor_b32 s3, exec_lo, s2
	s_cbranch_execz .LBB1139_27
; %bb.26:
	s_ashr_i32 s4, s39, 31
	s_delay_alu instid0(SALU_CYCLE_1) | instskip(SKIP_2) | instid1(SALU_CYCLE_1)
	s_add_u32 s6, s38, s4
	s_mov_b32 s5, s4
	s_addc_u32 s7, s39, s4
	s_xor_b64 s[6:7], s[6:7], s[4:5]
	s_delay_alu instid0(SALU_CYCLE_1) | instskip(SKIP_3) | instid1(VALU_DEP_1)
	v_cvt_f32_u32_e32 v13, s6
	v_cvt_f32_u32_e32 v14, s7
	s_sub_u32 s2, 0, s6
	s_subb_u32 s5, 0, s7
	v_fmamk_f32 v13, v14, 0x4f800000, v13
	s_delay_alu instid0(VALU_DEP_1) | instskip(SKIP_2) | instid1(VALU_DEP_1)
	v_rcp_f32_e32 v13, v13
	s_waitcnt_depctr 0xfff
	v_mul_f32_e32 v13, 0x5f7ffffc, v13
	v_mul_f32_e32 v14, 0x2f800000, v13
	s_delay_alu instid0(VALU_DEP_1) | instskip(NEXT) | instid1(VALU_DEP_1)
	v_trunc_f32_e32 v14, v14
	v_fmamk_f32 v13, v14, 0xcf800000, v13
	v_cvt_u32_f32_e32 v14, v14
	s_delay_alu instid0(VALU_DEP_2) | instskip(NEXT) | instid1(VALU_DEP_2)
	v_cvt_u32_f32_e32 v13, v13
	v_mul_lo_u32 v17, s2, v14
	s_delay_alu instid0(VALU_DEP_2) | instskip(SKIP_1) | instid1(VALU_DEP_2)
	v_mul_hi_u32 v18, s2, v13
	v_mul_lo_u32 v19, s5, v13
	v_add_nc_u32_e32 v17, v18, v17
	v_mul_lo_u32 v18, s2, v13
	s_delay_alu instid0(VALU_DEP_2) | instskip(NEXT) | instid1(VALU_DEP_2)
	v_add_nc_u32_e32 v17, v17, v19
	v_mul_hi_u32 v19, v13, v18
	s_delay_alu instid0(VALU_DEP_2)
	v_mul_lo_u32 v20, v13, v17
	v_mul_hi_u32 v21, v13, v17
	v_mul_hi_u32 v22, v14, v18
	v_mul_lo_u32 v18, v14, v18
	v_mul_hi_u32 v23, v14, v17
	v_mul_lo_u32 v17, v14, v17
	v_add_co_u32 v19, vcc_lo, v19, v20
	v_add_co_ci_u32_e32 v20, vcc_lo, 0, v21, vcc_lo
	s_delay_alu instid0(VALU_DEP_2) | instskip(NEXT) | instid1(VALU_DEP_2)
	v_add_co_u32 v18, vcc_lo, v19, v18
	v_add_co_ci_u32_e32 v18, vcc_lo, v20, v22, vcc_lo
	v_add_co_ci_u32_e32 v19, vcc_lo, 0, v23, vcc_lo
	v_ashrrev_i32_e32 v22, 31, v16
	s_delay_alu instid0(VALU_DEP_3) | instskip(NEXT) | instid1(VALU_DEP_3)
	v_add_co_u32 v17, vcc_lo, v18, v17
	v_add_co_ci_u32_e32 v18, vcc_lo, 0, v19, vcc_lo
	s_delay_alu instid0(VALU_DEP_2) | instskip(NEXT) | instid1(VALU_DEP_2)
	v_add_co_u32 v13, vcc_lo, v13, v17
	v_add_co_ci_u32_e32 v14, vcc_lo, v14, v18, vcc_lo
	s_delay_alu instid0(VALU_DEP_2) | instskip(SKIP_1) | instid1(VALU_DEP_3)
	v_mul_hi_u32 v17, s2, v13
	v_mul_lo_u32 v19, s5, v13
	v_mul_lo_u32 v18, s2, v14
	s_delay_alu instid0(VALU_DEP_1) | instskip(SKIP_1) | instid1(VALU_DEP_2)
	v_add_nc_u32_e32 v17, v17, v18
	v_mul_lo_u32 v18, s2, v13
	v_add_nc_u32_e32 v17, v17, v19
	s_delay_alu instid0(VALU_DEP_2) | instskip(NEXT) | instid1(VALU_DEP_2)
	v_mul_hi_u32 v19, v13, v18
	v_mul_lo_u32 v20, v13, v17
	v_mul_hi_u32 v21, v13, v17
	v_mul_hi_u32 v23, v14, v18
	v_mul_lo_u32 v18, v14, v18
	v_mul_hi_u32 v24, v14, v17
	v_mul_lo_u32 v17, v14, v17
	v_add_co_u32 v19, vcc_lo, v19, v20
	v_add_co_ci_u32_e32 v20, vcc_lo, 0, v21, vcc_lo
	s_delay_alu instid0(VALU_DEP_2) | instskip(NEXT) | instid1(VALU_DEP_2)
	v_add_co_u32 v18, vcc_lo, v19, v18
	v_add_co_ci_u32_e32 v18, vcc_lo, v20, v23, vcc_lo
	v_add_co_ci_u32_e32 v19, vcc_lo, 0, v24, vcc_lo
	v_add_co_u32 v15, vcc_lo, v15, v22
	v_add_co_ci_u32_e32 v16, vcc_lo, v16, v22, vcc_lo
	s_delay_alu instid0(VALU_DEP_4) | instskip(NEXT) | instid1(VALU_DEP_4)
	v_add_co_u32 v17, vcc_lo, v18, v17
	v_add_co_ci_u32_e32 v18, vcc_lo, 0, v19, vcc_lo
	s_delay_alu instid0(VALU_DEP_4) | instskip(NEXT) | instid1(VALU_DEP_3)
	v_xor_b32_e32 v19, v15, v22
	v_add_co_u32 v17, vcc_lo, v13, v17
	s_delay_alu instid0(VALU_DEP_3) | instskip(SKIP_1) | instid1(VALU_DEP_3)
	v_add_co_ci_u32_e32 v20, vcc_lo, v14, v18, vcc_lo
	v_xor_b32_e32 v21, v16, v22
	v_mul_hi_u32 v23, v19, v17
	s_delay_alu instid0(VALU_DEP_3) | instskip(NEXT) | instid1(VALU_DEP_3)
	v_mad_u64_u32 v[13:14], null, v19, v20, 0
	v_mad_u64_u32 v[15:16], null, v21, v17, 0
	;; [unrolled: 1-line block ×3, first 2 shown]
	s_delay_alu instid0(VALU_DEP_3) | instskip(NEXT) | instid1(VALU_DEP_4)
	v_add_co_u32 v13, vcc_lo, v23, v13
	v_add_co_ci_u32_e32 v14, vcc_lo, 0, v14, vcc_lo
	s_delay_alu instid0(VALU_DEP_2) | instskip(NEXT) | instid1(VALU_DEP_2)
	v_add_co_u32 v13, vcc_lo, v13, v15
	v_add_co_ci_u32_e32 v13, vcc_lo, v14, v16, vcc_lo
	v_add_co_ci_u32_e32 v14, vcc_lo, 0, v18, vcc_lo
	s_delay_alu instid0(VALU_DEP_2) | instskip(NEXT) | instid1(VALU_DEP_2)
	v_add_co_u32 v15, vcc_lo, v13, v17
	v_add_co_ci_u32_e32 v16, vcc_lo, 0, v14, vcc_lo
	s_delay_alu instid0(VALU_DEP_2) | instskip(SKIP_1) | instid1(VALU_DEP_3)
	v_mul_lo_u32 v17, s7, v15
	v_mad_u64_u32 v[13:14], null, s6, v15, 0
	v_mul_lo_u32 v18, s6, v16
	s_delay_alu instid0(VALU_DEP_2) | instskip(NEXT) | instid1(VALU_DEP_2)
	v_sub_co_u32 v13, vcc_lo, v19, v13
	v_add3_u32 v14, v14, v18, v17
	s_delay_alu instid0(VALU_DEP_1) | instskip(NEXT) | instid1(VALU_DEP_1)
	v_sub_nc_u32_e32 v17, v21, v14
	v_subrev_co_ci_u32_e64 v17, s2, s7, v17, vcc_lo
	v_add_co_u32 v18, s2, v15, 2
	s_delay_alu instid0(VALU_DEP_1) | instskip(SKIP_3) | instid1(VALU_DEP_3)
	v_add_co_ci_u32_e64 v19, s2, 0, v16, s2
	v_sub_co_u32 v20, s2, v13, s6
	v_sub_co_ci_u32_e32 v14, vcc_lo, v21, v14, vcc_lo
	v_subrev_co_ci_u32_e64 v17, s2, 0, v17, s2
	v_cmp_le_u32_e32 vcc_lo, s6, v20
	s_delay_alu instid0(VALU_DEP_3) | instskip(SKIP_1) | instid1(VALU_DEP_4)
	v_cmp_eq_u32_e64 s2, s7, v14
	v_cndmask_b32_e64 v20, 0, -1, vcc_lo
	v_cmp_le_u32_e32 vcc_lo, s7, v17
	v_cndmask_b32_e64 v21, 0, -1, vcc_lo
	v_cmp_le_u32_e32 vcc_lo, s6, v13
	;; [unrolled: 2-line block ×3, first 2 shown]
	v_cndmask_b32_e64 v23, 0, -1, vcc_lo
	v_cmp_eq_u32_e32 vcc_lo, s7, v17
	s_delay_alu instid0(VALU_DEP_2) | instskip(SKIP_3) | instid1(VALU_DEP_3)
	v_cndmask_b32_e64 v13, v23, v13, s2
	v_cndmask_b32_e32 v17, v21, v20, vcc_lo
	v_add_co_u32 v20, vcc_lo, v15, 1
	v_add_co_ci_u32_e32 v21, vcc_lo, 0, v16, vcc_lo
	v_cmp_ne_u32_e32 vcc_lo, 0, v17
	s_delay_alu instid0(VALU_DEP_2) | instskip(SKIP_2) | instid1(VALU_DEP_3)
	v_dual_cndmask_b32 v14, v21, v19 :: v_dual_cndmask_b32 v17, v20, v18
	v_cmp_ne_u32_e32 vcc_lo, 0, v13
	v_xor_b32_e32 v18, s4, v22
	v_dual_cndmask_b32 v13, v16, v14 :: v_dual_cndmask_b32 v14, v15, v17
	s_delay_alu instid0(VALU_DEP_1) | instskip(NEXT) | instid1(VALU_DEP_2)
	v_xor_b32_e32 v15, v13, v18
	v_xor_b32_e32 v14, v14, v18
	s_delay_alu instid0(VALU_DEP_1) | instskip(NEXT) | instid1(VALU_DEP_3)
	v_sub_co_u32 v13, vcc_lo, v14, v18
	v_sub_co_ci_u32_e32 v14, vcc_lo, v15, v18, vcc_lo
                                        ; implicit-def: $vgpr15
.LBB1139_27:
	s_and_not1_saveexec_b32 s2, s3
	s_cbranch_execz .LBB1139_29
; %bb.28:
	v_cvt_f32_u32_e32 v13, s38
	s_sub_i32 s3, 0, s38
	s_delay_alu instid0(VALU_DEP_1) | instskip(SKIP_2) | instid1(VALU_DEP_1)
	v_rcp_iflag_f32_e32 v13, v13
	s_waitcnt_depctr 0xfff
	v_mul_f32_e32 v13, 0x4f7ffffe, v13
	v_cvt_u32_f32_e32 v13, v13
	s_delay_alu instid0(VALU_DEP_1) | instskip(NEXT) | instid1(VALU_DEP_1)
	v_mul_lo_u32 v14, s3, v13
	v_mul_hi_u32 v14, v13, v14
	s_delay_alu instid0(VALU_DEP_1) | instskip(NEXT) | instid1(VALU_DEP_1)
	v_add_nc_u32_e32 v13, v13, v14
	v_mul_hi_u32 v13, v15, v13
	s_delay_alu instid0(VALU_DEP_1) | instskip(NEXT) | instid1(VALU_DEP_1)
	v_mul_lo_u32 v14, v13, s38
	v_sub_nc_u32_e32 v14, v15, v14
	v_add_nc_u32_e32 v15, 1, v13
	s_delay_alu instid0(VALU_DEP_2) | instskip(SKIP_1) | instid1(VALU_DEP_2)
	v_subrev_nc_u32_e32 v16, s38, v14
	v_cmp_le_u32_e32 vcc_lo, s38, v14
	v_dual_cndmask_b32 v14, v14, v16 :: v_dual_cndmask_b32 v13, v13, v15
	s_delay_alu instid0(VALU_DEP_1) | instskip(NEXT) | instid1(VALU_DEP_2)
	v_cmp_le_u32_e32 vcc_lo, s38, v14
	v_dual_mov_b32 v14, 0 :: v_dual_add_nc_u32 v15, 1, v13
	s_delay_alu instid0(VALU_DEP_1)
	v_cndmask_b32_e32 v13, v13, v15, vcc_lo
.LBB1139_29:
	s_or_b32 exec_lo, exec_lo, s2
	v_add_co_u32 v17, vcc_lo, 0x700, v29
	v_add_co_ci_u32_e32 v18, vcc_lo, 0, v30, vcc_lo
	v_mov_b32_e32 v15, 0
	s_delay_alu instid0(VALU_DEP_2) | instskip(NEXT) | instid1(VALU_DEP_1)
	v_or_b32_e32 v16, s39, v18
	v_cmp_ne_u64_e32 vcc_lo, 0, v[15:16]
                                        ; implicit-def: $vgpr15_vgpr16
	s_and_saveexec_b32 s2, vcc_lo
	s_delay_alu instid0(SALU_CYCLE_1)
	s_xor_b32 s3, exec_lo, s2
	s_cbranch_execz .LBB1139_31
; %bb.30:
	s_ashr_i32 s4, s39, 31
	s_delay_alu instid0(SALU_CYCLE_1) | instskip(SKIP_2) | instid1(SALU_CYCLE_1)
	s_add_u32 s6, s38, s4
	s_mov_b32 s5, s4
	s_addc_u32 s7, s39, s4
	s_xor_b64 s[6:7], s[6:7], s[4:5]
	s_delay_alu instid0(SALU_CYCLE_1) | instskip(SKIP_3) | instid1(VALU_DEP_1)
	v_cvt_f32_u32_e32 v15, s6
	v_cvt_f32_u32_e32 v16, s7
	s_sub_u32 s2, 0, s6
	s_subb_u32 s5, 0, s7
	v_fmamk_f32 v15, v16, 0x4f800000, v15
	s_delay_alu instid0(VALU_DEP_1) | instskip(SKIP_2) | instid1(VALU_DEP_1)
	v_rcp_f32_e32 v15, v15
	s_waitcnt_depctr 0xfff
	v_mul_f32_e32 v15, 0x5f7ffffc, v15
	v_mul_f32_e32 v16, 0x2f800000, v15
	s_delay_alu instid0(VALU_DEP_1) | instskip(NEXT) | instid1(VALU_DEP_1)
	v_trunc_f32_e32 v16, v16
	v_fmamk_f32 v15, v16, 0xcf800000, v15
	v_cvt_u32_f32_e32 v16, v16
	s_delay_alu instid0(VALU_DEP_2) | instskip(NEXT) | instid1(VALU_DEP_2)
	v_cvt_u32_f32_e32 v15, v15
	v_mul_lo_u32 v19, s2, v16
	s_delay_alu instid0(VALU_DEP_2) | instskip(SKIP_1) | instid1(VALU_DEP_2)
	v_mul_hi_u32 v20, s2, v15
	v_mul_lo_u32 v21, s5, v15
	v_add_nc_u32_e32 v19, v20, v19
	v_mul_lo_u32 v20, s2, v15
	s_delay_alu instid0(VALU_DEP_2) | instskip(NEXT) | instid1(VALU_DEP_2)
	v_add_nc_u32_e32 v19, v19, v21
	v_mul_hi_u32 v21, v15, v20
	s_delay_alu instid0(VALU_DEP_2)
	v_mul_lo_u32 v22, v15, v19
	v_mul_hi_u32 v23, v15, v19
	v_mul_hi_u32 v24, v16, v20
	v_mul_lo_u32 v20, v16, v20
	v_mul_hi_u32 v25, v16, v19
	v_mul_lo_u32 v19, v16, v19
	v_add_co_u32 v21, vcc_lo, v21, v22
	v_add_co_ci_u32_e32 v22, vcc_lo, 0, v23, vcc_lo
	s_delay_alu instid0(VALU_DEP_2) | instskip(NEXT) | instid1(VALU_DEP_2)
	v_add_co_u32 v20, vcc_lo, v21, v20
	v_add_co_ci_u32_e32 v20, vcc_lo, v22, v24, vcc_lo
	v_add_co_ci_u32_e32 v21, vcc_lo, 0, v25, vcc_lo
	v_ashrrev_i32_e32 v24, 31, v18
	s_delay_alu instid0(VALU_DEP_3) | instskip(NEXT) | instid1(VALU_DEP_3)
	v_add_co_u32 v19, vcc_lo, v20, v19
	v_add_co_ci_u32_e32 v20, vcc_lo, 0, v21, vcc_lo
	s_delay_alu instid0(VALU_DEP_2) | instskip(NEXT) | instid1(VALU_DEP_2)
	v_add_co_u32 v15, vcc_lo, v15, v19
	v_add_co_ci_u32_e32 v16, vcc_lo, v16, v20, vcc_lo
	s_delay_alu instid0(VALU_DEP_2) | instskip(SKIP_1) | instid1(VALU_DEP_3)
	v_mul_hi_u32 v19, s2, v15
	v_mul_lo_u32 v21, s5, v15
	v_mul_lo_u32 v20, s2, v16
	s_delay_alu instid0(VALU_DEP_1) | instskip(SKIP_1) | instid1(VALU_DEP_2)
	v_add_nc_u32_e32 v19, v19, v20
	v_mul_lo_u32 v20, s2, v15
	v_add_nc_u32_e32 v19, v19, v21
	s_delay_alu instid0(VALU_DEP_2) | instskip(NEXT) | instid1(VALU_DEP_2)
	v_mul_hi_u32 v21, v15, v20
	v_mul_lo_u32 v22, v15, v19
	v_mul_hi_u32 v23, v15, v19
	v_mul_hi_u32 v25, v16, v20
	v_mul_lo_u32 v20, v16, v20
	v_mul_hi_u32 v26, v16, v19
	v_mul_lo_u32 v19, v16, v19
	v_add_co_u32 v21, vcc_lo, v21, v22
	v_add_co_ci_u32_e32 v22, vcc_lo, 0, v23, vcc_lo
	s_delay_alu instid0(VALU_DEP_2) | instskip(NEXT) | instid1(VALU_DEP_2)
	v_add_co_u32 v20, vcc_lo, v21, v20
	v_add_co_ci_u32_e32 v20, vcc_lo, v22, v25, vcc_lo
	v_add_co_ci_u32_e32 v21, vcc_lo, 0, v26, vcc_lo
	v_add_co_u32 v17, vcc_lo, v17, v24
	v_add_co_ci_u32_e32 v18, vcc_lo, v18, v24, vcc_lo
	s_delay_alu instid0(VALU_DEP_4) | instskip(NEXT) | instid1(VALU_DEP_4)
	v_add_co_u32 v19, vcc_lo, v20, v19
	v_add_co_ci_u32_e32 v20, vcc_lo, 0, v21, vcc_lo
	s_delay_alu instid0(VALU_DEP_4) | instskip(NEXT) | instid1(VALU_DEP_3)
	v_xor_b32_e32 v21, v17, v24
	v_add_co_u32 v19, vcc_lo, v15, v19
	s_delay_alu instid0(VALU_DEP_3) | instskip(SKIP_1) | instid1(VALU_DEP_3)
	v_add_co_ci_u32_e32 v22, vcc_lo, v16, v20, vcc_lo
	v_xor_b32_e32 v23, v18, v24
	v_mul_hi_u32 v25, v21, v19
	s_delay_alu instid0(VALU_DEP_3) | instskip(NEXT) | instid1(VALU_DEP_3)
	v_mad_u64_u32 v[15:16], null, v21, v22, 0
	v_mad_u64_u32 v[17:18], null, v23, v19, 0
	;; [unrolled: 1-line block ×3, first 2 shown]
	s_delay_alu instid0(VALU_DEP_3) | instskip(NEXT) | instid1(VALU_DEP_4)
	v_add_co_u32 v15, vcc_lo, v25, v15
	v_add_co_ci_u32_e32 v16, vcc_lo, 0, v16, vcc_lo
	s_delay_alu instid0(VALU_DEP_2) | instskip(NEXT) | instid1(VALU_DEP_2)
	v_add_co_u32 v15, vcc_lo, v15, v17
	v_add_co_ci_u32_e32 v15, vcc_lo, v16, v18, vcc_lo
	v_add_co_ci_u32_e32 v16, vcc_lo, 0, v20, vcc_lo
	s_delay_alu instid0(VALU_DEP_2) | instskip(NEXT) | instid1(VALU_DEP_2)
	v_add_co_u32 v17, vcc_lo, v15, v19
	v_add_co_ci_u32_e32 v18, vcc_lo, 0, v16, vcc_lo
	s_delay_alu instid0(VALU_DEP_2) | instskip(SKIP_1) | instid1(VALU_DEP_3)
	v_mul_lo_u32 v19, s7, v17
	v_mad_u64_u32 v[15:16], null, s6, v17, 0
	v_mul_lo_u32 v20, s6, v18
	s_delay_alu instid0(VALU_DEP_2) | instskip(NEXT) | instid1(VALU_DEP_2)
	v_sub_co_u32 v15, vcc_lo, v21, v15
	v_add3_u32 v16, v16, v20, v19
	s_delay_alu instid0(VALU_DEP_1) | instskip(NEXT) | instid1(VALU_DEP_1)
	v_sub_nc_u32_e32 v19, v23, v16
	v_subrev_co_ci_u32_e64 v19, s2, s7, v19, vcc_lo
	v_add_co_u32 v20, s2, v17, 2
	s_delay_alu instid0(VALU_DEP_1) | instskip(SKIP_3) | instid1(VALU_DEP_3)
	v_add_co_ci_u32_e64 v21, s2, 0, v18, s2
	v_sub_co_u32 v22, s2, v15, s6
	v_sub_co_ci_u32_e32 v16, vcc_lo, v23, v16, vcc_lo
	v_subrev_co_ci_u32_e64 v19, s2, 0, v19, s2
	v_cmp_le_u32_e32 vcc_lo, s6, v22
	s_delay_alu instid0(VALU_DEP_3) | instskip(SKIP_1) | instid1(VALU_DEP_4)
	v_cmp_eq_u32_e64 s2, s7, v16
	v_cndmask_b32_e64 v22, 0, -1, vcc_lo
	v_cmp_le_u32_e32 vcc_lo, s7, v19
	v_cndmask_b32_e64 v23, 0, -1, vcc_lo
	v_cmp_le_u32_e32 vcc_lo, s6, v15
	;; [unrolled: 2-line block ×3, first 2 shown]
	v_cndmask_b32_e64 v25, 0, -1, vcc_lo
	v_cmp_eq_u32_e32 vcc_lo, s7, v19
	s_delay_alu instid0(VALU_DEP_2) | instskip(SKIP_3) | instid1(VALU_DEP_3)
	v_cndmask_b32_e64 v15, v25, v15, s2
	v_cndmask_b32_e32 v19, v23, v22, vcc_lo
	v_add_co_u32 v22, vcc_lo, v17, 1
	v_add_co_ci_u32_e32 v23, vcc_lo, 0, v18, vcc_lo
	v_cmp_ne_u32_e32 vcc_lo, 0, v19
	s_delay_alu instid0(VALU_DEP_2) | instskip(SKIP_2) | instid1(VALU_DEP_3)
	v_dual_cndmask_b32 v16, v23, v21 :: v_dual_cndmask_b32 v19, v22, v20
	v_cmp_ne_u32_e32 vcc_lo, 0, v15
	v_xor_b32_e32 v20, s4, v24
	v_dual_cndmask_b32 v15, v18, v16 :: v_dual_cndmask_b32 v16, v17, v19
	s_delay_alu instid0(VALU_DEP_1) | instskip(NEXT) | instid1(VALU_DEP_2)
	v_xor_b32_e32 v17, v15, v20
	v_xor_b32_e32 v16, v16, v20
	s_delay_alu instid0(VALU_DEP_1) | instskip(NEXT) | instid1(VALU_DEP_3)
	v_sub_co_u32 v15, vcc_lo, v16, v20
	v_sub_co_ci_u32_e32 v16, vcc_lo, v17, v20, vcc_lo
                                        ; implicit-def: $vgpr17
.LBB1139_31:
	s_and_not1_saveexec_b32 s2, s3
	s_cbranch_execz .LBB1139_33
; %bb.32:
	v_cvt_f32_u32_e32 v15, s38
	s_sub_i32 s3, 0, s38
	s_delay_alu instid0(VALU_DEP_1) | instskip(SKIP_2) | instid1(VALU_DEP_1)
	v_rcp_iflag_f32_e32 v15, v15
	s_waitcnt_depctr 0xfff
	v_mul_f32_e32 v15, 0x4f7ffffe, v15
	v_cvt_u32_f32_e32 v15, v15
	s_delay_alu instid0(VALU_DEP_1) | instskip(NEXT) | instid1(VALU_DEP_1)
	v_mul_lo_u32 v16, s3, v15
	v_mul_hi_u32 v16, v15, v16
	s_delay_alu instid0(VALU_DEP_1) | instskip(NEXT) | instid1(VALU_DEP_1)
	v_add_nc_u32_e32 v15, v15, v16
	v_mul_hi_u32 v15, v17, v15
	s_delay_alu instid0(VALU_DEP_1) | instskip(NEXT) | instid1(VALU_DEP_1)
	v_mul_lo_u32 v16, v15, s38
	v_sub_nc_u32_e32 v16, v17, v16
	v_add_nc_u32_e32 v17, 1, v15
	s_delay_alu instid0(VALU_DEP_2) | instskip(SKIP_1) | instid1(VALU_DEP_2)
	v_subrev_nc_u32_e32 v18, s38, v16
	v_cmp_le_u32_e32 vcc_lo, s38, v16
	v_dual_cndmask_b32 v16, v16, v18 :: v_dual_cndmask_b32 v15, v15, v17
	s_delay_alu instid0(VALU_DEP_1) | instskip(NEXT) | instid1(VALU_DEP_2)
	v_cmp_le_u32_e32 vcc_lo, s38, v16
	v_dual_mov_b32 v16, 0 :: v_dual_add_nc_u32 v17, 1, v15
	s_delay_alu instid0(VALU_DEP_1)
	v_cndmask_b32_e32 v15, v15, v17, vcc_lo
.LBB1139_33:
	s_or_b32 exec_lo, exec_lo, s2
	v_add_co_u32 v19, vcc_lo, 0x800, v29
	v_add_co_ci_u32_e32 v20, vcc_lo, 0, v30, vcc_lo
	v_mov_b32_e32 v17, 0
	s_delay_alu instid0(VALU_DEP_2) | instskip(NEXT) | instid1(VALU_DEP_1)
	v_or_b32_e32 v18, s39, v20
	v_cmp_ne_u64_e32 vcc_lo, 0, v[17:18]
                                        ; implicit-def: $vgpr17_vgpr18
	s_and_saveexec_b32 s2, vcc_lo
	s_delay_alu instid0(SALU_CYCLE_1)
	s_xor_b32 s3, exec_lo, s2
	s_cbranch_execz .LBB1139_35
; %bb.34:
	s_ashr_i32 s4, s39, 31
	s_delay_alu instid0(SALU_CYCLE_1) | instskip(SKIP_2) | instid1(SALU_CYCLE_1)
	s_add_u32 s6, s38, s4
	s_mov_b32 s5, s4
	s_addc_u32 s7, s39, s4
	s_xor_b64 s[6:7], s[6:7], s[4:5]
	s_delay_alu instid0(SALU_CYCLE_1) | instskip(SKIP_3) | instid1(VALU_DEP_1)
	v_cvt_f32_u32_e32 v17, s6
	v_cvt_f32_u32_e32 v18, s7
	s_sub_u32 s2, 0, s6
	s_subb_u32 s5, 0, s7
	v_fmamk_f32 v17, v18, 0x4f800000, v17
	s_delay_alu instid0(VALU_DEP_1) | instskip(SKIP_2) | instid1(VALU_DEP_1)
	v_rcp_f32_e32 v17, v17
	s_waitcnt_depctr 0xfff
	v_mul_f32_e32 v17, 0x5f7ffffc, v17
	v_mul_f32_e32 v18, 0x2f800000, v17
	s_delay_alu instid0(VALU_DEP_1) | instskip(NEXT) | instid1(VALU_DEP_1)
	v_trunc_f32_e32 v18, v18
	v_fmamk_f32 v17, v18, 0xcf800000, v17
	v_cvt_u32_f32_e32 v18, v18
	s_delay_alu instid0(VALU_DEP_2) | instskip(NEXT) | instid1(VALU_DEP_2)
	v_cvt_u32_f32_e32 v17, v17
	v_mul_lo_u32 v21, s2, v18
	s_delay_alu instid0(VALU_DEP_2) | instskip(SKIP_1) | instid1(VALU_DEP_2)
	v_mul_hi_u32 v22, s2, v17
	v_mul_lo_u32 v23, s5, v17
	v_add_nc_u32_e32 v21, v22, v21
	v_mul_lo_u32 v22, s2, v17
	s_delay_alu instid0(VALU_DEP_2) | instskip(NEXT) | instid1(VALU_DEP_2)
	v_add_nc_u32_e32 v21, v21, v23
	v_mul_hi_u32 v23, v17, v22
	s_delay_alu instid0(VALU_DEP_2)
	v_mul_lo_u32 v24, v17, v21
	v_mul_hi_u32 v25, v17, v21
	v_mul_hi_u32 v26, v18, v22
	v_mul_lo_u32 v22, v18, v22
	v_mul_hi_u32 v27, v18, v21
	v_mul_lo_u32 v21, v18, v21
	v_add_co_u32 v23, vcc_lo, v23, v24
	v_add_co_ci_u32_e32 v24, vcc_lo, 0, v25, vcc_lo
	s_delay_alu instid0(VALU_DEP_2) | instskip(NEXT) | instid1(VALU_DEP_2)
	v_add_co_u32 v22, vcc_lo, v23, v22
	v_add_co_ci_u32_e32 v22, vcc_lo, v24, v26, vcc_lo
	v_add_co_ci_u32_e32 v23, vcc_lo, 0, v27, vcc_lo
	v_ashrrev_i32_e32 v26, 31, v20
	s_delay_alu instid0(VALU_DEP_3) | instskip(NEXT) | instid1(VALU_DEP_3)
	v_add_co_u32 v21, vcc_lo, v22, v21
	v_add_co_ci_u32_e32 v22, vcc_lo, 0, v23, vcc_lo
	s_delay_alu instid0(VALU_DEP_2) | instskip(NEXT) | instid1(VALU_DEP_2)
	v_add_co_u32 v17, vcc_lo, v17, v21
	v_add_co_ci_u32_e32 v18, vcc_lo, v18, v22, vcc_lo
	s_delay_alu instid0(VALU_DEP_2) | instskip(SKIP_1) | instid1(VALU_DEP_3)
	v_mul_hi_u32 v21, s2, v17
	v_mul_lo_u32 v23, s5, v17
	v_mul_lo_u32 v22, s2, v18
	s_delay_alu instid0(VALU_DEP_1) | instskip(SKIP_1) | instid1(VALU_DEP_2)
	v_add_nc_u32_e32 v21, v21, v22
	v_mul_lo_u32 v22, s2, v17
	v_add_nc_u32_e32 v21, v21, v23
	s_delay_alu instid0(VALU_DEP_2) | instskip(NEXT) | instid1(VALU_DEP_2)
	v_mul_hi_u32 v23, v17, v22
	v_mul_lo_u32 v24, v17, v21
	v_mul_hi_u32 v25, v17, v21
	v_mul_hi_u32 v27, v18, v22
	v_mul_lo_u32 v22, v18, v22
	v_mul_hi_u32 v28, v18, v21
	v_mul_lo_u32 v21, v18, v21
	v_add_co_u32 v23, vcc_lo, v23, v24
	v_add_co_ci_u32_e32 v24, vcc_lo, 0, v25, vcc_lo
	s_delay_alu instid0(VALU_DEP_2) | instskip(NEXT) | instid1(VALU_DEP_2)
	v_add_co_u32 v22, vcc_lo, v23, v22
	v_add_co_ci_u32_e32 v22, vcc_lo, v24, v27, vcc_lo
	v_add_co_ci_u32_e32 v23, vcc_lo, 0, v28, vcc_lo
	v_add_co_u32 v19, vcc_lo, v19, v26
	v_add_co_ci_u32_e32 v20, vcc_lo, v20, v26, vcc_lo
	s_delay_alu instid0(VALU_DEP_4) | instskip(NEXT) | instid1(VALU_DEP_4)
	v_add_co_u32 v21, vcc_lo, v22, v21
	v_add_co_ci_u32_e32 v22, vcc_lo, 0, v23, vcc_lo
	s_delay_alu instid0(VALU_DEP_4) | instskip(NEXT) | instid1(VALU_DEP_3)
	v_xor_b32_e32 v23, v19, v26
	v_add_co_u32 v21, vcc_lo, v17, v21
	s_delay_alu instid0(VALU_DEP_3) | instskip(SKIP_1) | instid1(VALU_DEP_3)
	v_add_co_ci_u32_e32 v24, vcc_lo, v18, v22, vcc_lo
	v_xor_b32_e32 v25, v20, v26
	v_mul_hi_u32 v27, v23, v21
	s_delay_alu instid0(VALU_DEP_3) | instskip(NEXT) | instid1(VALU_DEP_3)
	v_mad_u64_u32 v[17:18], null, v23, v24, 0
	v_mad_u64_u32 v[19:20], null, v25, v21, 0
	;; [unrolled: 1-line block ×3, first 2 shown]
	s_delay_alu instid0(VALU_DEP_3) | instskip(NEXT) | instid1(VALU_DEP_4)
	v_add_co_u32 v17, vcc_lo, v27, v17
	v_add_co_ci_u32_e32 v18, vcc_lo, 0, v18, vcc_lo
	s_delay_alu instid0(VALU_DEP_2) | instskip(NEXT) | instid1(VALU_DEP_2)
	v_add_co_u32 v17, vcc_lo, v17, v19
	v_add_co_ci_u32_e32 v17, vcc_lo, v18, v20, vcc_lo
	v_add_co_ci_u32_e32 v18, vcc_lo, 0, v22, vcc_lo
	s_delay_alu instid0(VALU_DEP_2) | instskip(NEXT) | instid1(VALU_DEP_2)
	v_add_co_u32 v19, vcc_lo, v17, v21
	v_add_co_ci_u32_e32 v20, vcc_lo, 0, v18, vcc_lo
	s_delay_alu instid0(VALU_DEP_2) | instskip(SKIP_1) | instid1(VALU_DEP_3)
	v_mul_lo_u32 v21, s7, v19
	v_mad_u64_u32 v[17:18], null, s6, v19, 0
	v_mul_lo_u32 v22, s6, v20
	s_delay_alu instid0(VALU_DEP_2) | instskip(NEXT) | instid1(VALU_DEP_2)
	v_sub_co_u32 v17, vcc_lo, v23, v17
	v_add3_u32 v18, v18, v22, v21
	s_delay_alu instid0(VALU_DEP_1) | instskip(NEXT) | instid1(VALU_DEP_1)
	v_sub_nc_u32_e32 v21, v25, v18
	v_subrev_co_ci_u32_e64 v21, s2, s7, v21, vcc_lo
	v_add_co_u32 v22, s2, v19, 2
	s_delay_alu instid0(VALU_DEP_1) | instskip(SKIP_3) | instid1(VALU_DEP_3)
	v_add_co_ci_u32_e64 v23, s2, 0, v20, s2
	v_sub_co_u32 v24, s2, v17, s6
	v_sub_co_ci_u32_e32 v18, vcc_lo, v25, v18, vcc_lo
	v_subrev_co_ci_u32_e64 v21, s2, 0, v21, s2
	v_cmp_le_u32_e32 vcc_lo, s6, v24
	s_delay_alu instid0(VALU_DEP_3) | instskip(SKIP_1) | instid1(VALU_DEP_4)
	v_cmp_eq_u32_e64 s2, s7, v18
	v_cndmask_b32_e64 v24, 0, -1, vcc_lo
	v_cmp_le_u32_e32 vcc_lo, s7, v21
	v_cndmask_b32_e64 v25, 0, -1, vcc_lo
	v_cmp_le_u32_e32 vcc_lo, s6, v17
	;; [unrolled: 2-line block ×3, first 2 shown]
	v_cndmask_b32_e64 v27, 0, -1, vcc_lo
	v_cmp_eq_u32_e32 vcc_lo, s7, v21
	s_delay_alu instid0(VALU_DEP_2) | instskip(SKIP_3) | instid1(VALU_DEP_3)
	v_cndmask_b32_e64 v17, v27, v17, s2
	v_cndmask_b32_e32 v21, v25, v24, vcc_lo
	v_add_co_u32 v24, vcc_lo, v19, 1
	v_add_co_ci_u32_e32 v25, vcc_lo, 0, v20, vcc_lo
	v_cmp_ne_u32_e32 vcc_lo, 0, v21
	s_delay_alu instid0(VALU_DEP_2) | instskip(SKIP_2) | instid1(VALU_DEP_3)
	v_dual_cndmask_b32 v18, v25, v23 :: v_dual_cndmask_b32 v21, v24, v22
	v_cmp_ne_u32_e32 vcc_lo, 0, v17
	v_xor_b32_e32 v22, s4, v26
	v_dual_cndmask_b32 v17, v20, v18 :: v_dual_cndmask_b32 v18, v19, v21
	s_delay_alu instid0(VALU_DEP_1) | instskip(NEXT) | instid1(VALU_DEP_2)
	v_xor_b32_e32 v19, v17, v22
	v_xor_b32_e32 v18, v18, v22
	s_delay_alu instid0(VALU_DEP_1) | instskip(NEXT) | instid1(VALU_DEP_3)
	v_sub_co_u32 v17, vcc_lo, v18, v22
	v_sub_co_ci_u32_e32 v18, vcc_lo, v19, v22, vcc_lo
                                        ; implicit-def: $vgpr19
.LBB1139_35:
	s_and_not1_saveexec_b32 s2, s3
	s_cbranch_execz .LBB1139_37
; %bb.36:
	v_cvt_f32_u32_e32 v17, s38
	s_sub_i32 s3, 0, s38
	s_delay_alu instid0(VALU_DEP_1) | instskip(SKIP_2) | instid1(VALU_DEP_1)
	v_rcp_iflag_f32_e32 v17, v17
	s_waitcnt_depctr 0xfff
	v_mul_f32_e32 v17, 0x4f7ffffe, v17
	v_cvt_u32_f32_e32 v17, v17
	s_delay_alu instid0(VALU_DEP_1) | instskip(NEXT) | instid1(VALU_DEP_1)
	v_mul_lo_u32 v18, s3, v17
	v_mul_hi_u32 v18, v17, v18
	s_delay_alu instid0(VALU_DEP_1) | instskip(NEXT) | instid1(VALU_DEP_1)
	v_add_nc_u32_e32 v17, v17, v18
	v_mul_hi_u32 v17, v19, v17
	s_delay_alu instid0(VALU_DEP_1) | instskip(NEXT) | instid1(VALU_DEP_1)
	v_mul_lo_u32 v18, v17, s38
	v_sub_nc_u32_e32 v18, v19, v18
	v_add_nc_u32_e32 v19, 1, v17
	s_delay_alu instid0(VALU_DEP_2) | instskip(SKIP_1) | instid1(VALU_DEP_2)
	v_subrev_nc_u32_e32 v20, s38, v18
	v_cmp_le_u32_e32 vcc_lo, s38, v18
	v_dual_cndmask_b32 v18, v18, v20 :: v_dual_cndmask_b32 v17, v17, v19
	s_delay_alu instid0(VALU_DEP_1) | instskip(NEXT) | instid1(VALU_DEP_2)
	v_cmp_le_u32_e32 vcc_lo, s38, v18
	v_dual_mov_b32 v18, 0 :: v_dual_add_nc_u32 v19, 1, v17
	s_delay_alu instid0(VALU_DEP_1)
	v_cndmask_b32_e32 v17, v17, v19, vcc_lo
.LBB1139_37:
	s_or_b32 exec_lo, exec_lo, s2
	v_add_co_u32 v21, vcc_lo, 0x900, v29
	v_add_co_ci_u32_e32 v22, vcc_lo, 0, v30, vcc_lo
	v_mov_b32_e32 v19, 0
	s_delay_alu instid0(VALU_DEP_2) | instskip(NEXT) | instid1(VALU_DEP_1)
	v_or_b32_e32 v20, s39, v22
	v_cmp_ne_u64_e32 vcc_lo, 0, v[19:20]
                                        ; implicit-def: $vgpr19_vgpr20
	s_and_saveexec_b32 s2, vcc_lo
	s_delay_alu instid0(SALU_CYCLE_1)
	s_xor_b32 s3, exec_lo, s2
	s_cbranch_execz .LBB1139_39
; %bb.38:
	s_ashr_i32 s4, s39, 31
	s_delay_alu instid0(SALU_CYCLE_1) | instskip(SKIP_2) | instid1(SALU_CYCLE_1)
	s_add_u32 s6, s38, s4
	s_mov_b32 s5, s4
	s_addc_u32 s7, s39, s4
	s_xor_b64 s[6:7], s[6:7], s[4:5]
	s_delay_alu instid0(SALU_CYCLE_1) | instskip(SKIP_3) | instid1(VALU_DEP_1)
	v_cvt_f32_u32_e32 v19, s6
	v_cvt_f32_u32_e32 v20, s7
	s_sub_u32 s2, 0, s6
	s_subb_u32 s5, 0, s7
	v_fmamk_f32 v19, v20, 0x4f800000, v19
	s_delay_alu instid0(VALU_DEP_1) | instskip(SKIP_2) | instid1(VALU_DEP_1)
	v_rcp_f32_e32 v19, v19
	s_waitcnt_depctr 0xfff
	v_mul_f32_e32 v19, 0x5f7ffffc, v19
	v_mul_f32_e32 v20, 0x2f800000, v19
	s_delay_alu instid0(VALU_DEP_1) | instskip(NEXT) | instid1(VALU_DEP_1)
	v_trunc_f32_e32 v20, v20
	v_fmamk_f32 v19, v20, 0xcf800000, v19
	v_cvt_u32_f32_e32 v20, v20
	s_delay_alu instid0(VALU_DEP_2) | instskip(NEXT) | instid1(VALU_DEP_2)
	v_cvt_u32_f32_e32 v19, v19
	v_mul_lo_u32 v23, s2, v20
	s_delay_alu instid0(VALU_DEP_2) | instskip(SKIP_1) | instid1(VALU_DEP_2)
	v_mul_hi_u32 v24, s2, v19
	v_mul_lo_u32 v25, s5, v19
	v_add_nc_u32_e32 v23, v24, v23
	v_mul_lo_u32 v24, s2, v19
	s_delay_alu instid0(VALU_DEP_2) | instskip(NEXT) | instid1(VALU_DEP_2)
	v_add_nc_u32_e32 v23, v23, v25
	v_mul_hi_u32 v25, v19, v24
	s_delay_alu instid0(VALU_DEP_2)
	v_mul_lo_u32 v26, v19, v23
	v_mul_hi_u32 v27, v19, v23
	v_mul_hi_u32 v28, v20, v24
	v_mul_lo_u32 v24, v20, v24
	v_mul_hi_u32 v31, v20, v23
	v_mul_lo_u32 v23, v20, v23
	v_add_co_u32 v25, vcc_lo, v25, v26
	v_add_co_ci_u32_e32 v26, vcc_lo, 0, v27, vcc_lo
	s_delay_alu instid0(VALU_DEP_2) | instskip(NEXT) | instid1(VALU_DEP_2)
	v_add_co_u32 v24, vcc_lo, v25, v24
	v_add_co_ci_u32_e32 v24, vcc_lo, v26, v28, vcc_lo
	v_add_co_ci_u32_e32 v25, vcc_lo, 0, v31, vcc_lo
	v_ashrrev_i32_e32 v28, 31, v22
	s_delay_alu instid0(VALU_DEP_3) | instskip(NEXT) | instid1(VALU_DEP_3)
	v_add_co_u32 v23, vcc_lo, v24, v23
	v_add_co_ci_u32_e32 v24, vcc_lo, 0, v25, vcc_lo
	s_delay_alu instid0(VALU_DEP_2) | instskip(NEXT) | instid1(VALU_DEP_2)
	v_add_co_u32 v19, vcc_lo, v19, v23
	v_add_co_ci_u32_e32 v20, vcc_lo, v20, v24, vcc_lo
	s_delay_alu instid0(VALU_DEP_2) | instskip(SKIP_1) | instid1(VALU_DEP_3)
	v_mul_hi_u32 v23, s2, v19
	v_mul_lo_u32 v25, s5, v19
	v_mul_lo_u32 v24, s2, v20
	s_delay_alu instid0(VALU_DEP_1) | instskip(SKIP_1) | instid1(VALU_DEP_2)
	v_add_nc_u32_e32 v23, v23, v24
	v_mul_lo_u32 v24, s2, v19
	v_add_nc_u32_e32 v23, v23, v25
	s_delay_alu instid0(VALU_DEP_2) | instskip(NEXT) | instid1(VALU_DEP_2)
	v_mul_hi_u32 v25, v19, v24
	v_mul_lo_u32 v26, v19, v23
	v_mul_hi_u32 v27, v19, v23
	v_mul_hi_u32 v31, v20, v24
	v_mul_lo_u32 v24, v20, v24
	v_mul_hi_u32 v32, v20, v23
	v_mul_lo_u32 v23, v20, v23
	v_add_co_u32 v25, vcc_lo, v25, v26
	v_add_co_ci_u32_e32 v26, vcc_lo, 0, v27, vcc_lo
	s_delay_alu instid0(VALU_DEP_2) | instskip(NEXT) | instid1(VALU_DEP_2)
	v_add_co_u32 v24, vcc_lo, v25, v24
	v_add_co_ci_u32_e32 v24, vcc_lo, v26, v31, vcc_lo
	v_add_co_ci_u32_e32 v25, vcc_lo, 0, v32, vcc_lo
	v_add_co_u32 v21, vcc_lo, v21, v28
	v_add_co_ci_u32_e32 v22, vcc_lo, v22, v28, vcc_lo
	s_delay_alu instid0(VALU_DEP_4) | instskip(NEXT) | instid1(VALU_DEP_4)
	v_add_co_u32 v23, vcc_lo, v24, v23
	v_add_co_ci_u32_e32 v24, vcc_lo, 0, v25, vcc_lo
	s_delay_alu instid0(VALU_DEP_4) | instskip(NEXT) | instid1(VALU_DEP_3)
	v_xor_b32_e32 v25, v21, v28
	v_add_co_u32 v23, vcc_lo, v19, v23
	s_delay_alu instid0(VALU_DEP_3) | instskip(SKIP_1) | instid1(VALU_DEP_3)
	v_add_co_ci_u32_e32 v26, vcc_lo, v20, v24, vcc_lo
	v_xor_b32_e32 v27, v22, v28
	v_mul_hi_u32 v31, v25, v23
	s_delay_alu instid0(VALU_DEP_3) | instskip(NEXT) | instid1(VALU_DEP_3)
	v_mad_u64_u32 v[19:20], null, v25, v26, 0
	v_mad_u64_u32 v[21:22], null, v27, v23, 0
	;; [unrolled: 1-line block ×3, first 2 shown]
	s_delay_alu instid0(VALU_DEP_3) | instskip(NEXT) | instid1(VALU_DEP_4)
	v_add_co_u32 v19, vcc_lo, v31, v19
	v_add_co_ci_u32_e32 v20, vcc_lo, 0, v20, vcc_lo
	s_delay_alu instid0(VALU_DEP_2) | instskip(NEXT) | instid1(VALU_DEP_2)
	v_add_co_u32 v19, vcc_lo, v19, v21
	v_add_co_ci_u32_e32 v19, vcc_lo, v20, v22, vcc_lo
	v_add_co_ci_u32_e32 v20, vcc_lo, 0, v24, vcc_lo
	s_delay_alu instid0(VALU_DEP_2) | instskip(NEXT) | instid1(VALU_DEP_2)
	v_add_co_u32 v21, vcc_lo, v19, v23
	v_add_co_ci_u32_e32 v22, vcc_lo, 0, v20, vcc_lo
	s_delay_alu instid0(VALU_DEP_2) | instskip(SKIP_1) | instid1(VALU_DEP_3)
	v_mul_lo_u32 v23, s7, v21
	v_mad_u64_u32 v[19:20], null, s6, v21, 0
	v_mul_lo_u32 v24, s6, v22
	s_delay_alu instid0(VALU_DEP_2) | instskip(NEXT) | instid1(VALU_DEP_2)
	v_sub_co_u32 v19, vcc_lo, v25, v19
	v_add3_u32 v20, v20, v24, v23
	s_delay_alu instid0(VALU_DEP_1) | instskip(NEXT) | instid1(VALU_DEP_1)
	v_sub_nc_u32_e32 v23, v27, v20
	v_subrev_co_ci_u32_e64 v23, s2, s7, v23, vcc_lo
	v_add_co_u32 v24, s2, v21, 2
	s_delay_alu instid0(VALU_DEP_1) | instskip(SKIP_3) | instid1(VALU_DEP_3)
	v_add_co_ci_u32_e64 v25, s2, 0, v22, s2
	v_sub_co_u32 v26, s2, v19, s6
	v_sub_co_ci_u32_e32 v20, vcc_lo, v27, v20, vcc_lo
	v_subrev_co_ci_u32_e64 v23, s2, 0, v23, s2
	v_cmp_le_u32_e32 vcc_lo, s6, v26
	s_delay_alu instid0(VALU_DEP_3) | instskip(SKIP_1) | instid1(VALU_DEP_4)
	v_cmp_eq_u32_e64 s2, s7, v20
	v_cndmask_b32_e64 v26, 0, -1, vcc_lo
	v_cmp_le_u32_e32 vcc_lo, s7, v23
	v_cndmask_b32_e64 v27, 0, -1, vcc_lo
	v_cmp_le_u32_e32 vcc_lo, s6, v19
	;; [unrolled: 2-line block ×3, first 2 shown]
	v_cndmask_b32_e64 v31, 0, -1, vcc_lo
	v_cmp_eq_u32_e32 vcc_lo, s7, v23
	s_delay_alu instid0(VALU_DEP_2) | instskip(SKIP_3) | instid1(VALU_DEP_3)
	v_cndmask_b32_e64 v19, v31, v19, s2
	v_cndmask_b32_e32 v23, v27, v26, vcc_lo
	v_add_co_u32 v26, vcc_lo, v21, 1
	v_add_co_ci_u32_e32 v27, vcc_lo, 0, v22, vcc_lo
	v_cmp_ne_u32_e32 vcc_lo, 0, v23
	s_delay_alu instid0(VALU_DEP_2) | instskip(SKIP_2) | instid1(VALU_DEP_3)
	v_dual_cndmask_b32 v20, v27, v25 :: v_dual_cndmask_b32 v23, v26, v24
	v_cmp_ne_u32_e32 vcc_lo, 0, v19
	v_xor_b32_e32 v24, s4, v28
	v_dual_cndmask_b32 v19, v22, v20 :: v_dual_cndmask_b32 v20, v21, v23
	s_delay_alu instid0(VALU_DEP_1) | instskip(NEXT) | instid1(VALU_DEP_2)
	v_xor_b32_e32 v21, v19, v24
	v_xor_b32_e32 v20, v20, v24
	s_delay_alu instid0(VALU_DEP_1) | instskip(NEXT) | instid1(VALU_DEP_3)
	v_sub_co_u32 v19, vcc_lo, v20, v24
	v_sub_co_ci_u32_e32 v20, vcc_lo, v21, v24, vcc_lo
                                        ; implicit-def: $vgpr21
.LBB1139_39:
	s_and_not1_saveexec_b32 s2, s3
	s_cbranch_execz .LBB1139_41
; %bb.40:
	v_cvt_f32_u32_e32 v19, s38
	s_sub_i32 s3, 0, s38
	s_delay_alu instid0(VALU_DEP_1) | instskip(SKIP_2) | instid1(VALU_DEP_1)
	v_rcp_iflag_f32_e32 v19, v19
	s_waitcnt_depctr 0xfff
	v_mul_f32_e32 v19, 0x4f7ffffe, v19
	v_cvt_u32_f32_e32 v19, v19
	s_delay_alu instid0(VALU_DEP_1) | instskip(NEXT) | instid1(VALU_DEP_1)
	v_mul_lo_u32 v20, s3, v19
	v_mul_hi_u32 v20, v19, v20
	s_delay_alu instid0(VALU_DEP_1) | instskip(NEXT) | instid1(VALU_DEP_1)
	v_add_nc_u32_e32 v19, v19, v20
	v_mul_hi_u32 v19, v21, v19
	s_delay_alu instid0(VALU_DEP_1) | instskip(NEXT) | instid1(VALU_DEP_1)
	v_mul_lo_u32 v20, v19, s38
	v_sub_nc_u32_e32 v20, v21, v20
	v_add_nc_u32_e32 v21, 1, v19
	s_delay_alu instid0(VALU_DEP_2) | instskip(SKIP_1) | instid1(VALU_DEP_2)
	v_subrev_nc_u32_e32 v22, s38, v20
	v_cmp_le_u32_e32 vcc_lo, s38, v20
	v_dual_cndmask_b32 v20, v20, v22 :: v_dual_cndmask_b32 v19, v19, v21
	s_delay_alu instid0(VALU_DEP_1) | instskip(NEXT) | instid1(VALU_DEP_2)
	v_cmp_le_u32_e32 vcc_lo, s38, v20
	v_dual_mov_b32 v20, 0 :: v_dual_add_nc_u32 v21, 1, v19
	s_delay_alu instid0(VALU_DEP_1)
	v_cndmask_b32_e32 v19, v19, v21, vcc_lo
.LBB1139_41:
	s_or_b32 exec_lo, exec_lo, s2
	v_add_co_u32 v23, vcc_lo, 0xa00, v29
	v_add_co_ci_u32_e32 v24, vcc_lo, 0, v30, vcc_lo
	v_mov_b32_e32 v21, 0
	s_delay_alu instid0(VALU_DEP_2) | instskip(NEXT) | instid1(VALU_DEP_1)
	v_or_b32_e32 v22, s39, v24
	v_cmp_ne_u64_e32 vcc_lo, 0, v[21:22]
                                        ; implicit-def: $vgpr21_vgpr22
	s_and_saveexec_b32 s2, vcc_lo
	s_delay_alu instid0(SALU_CYCLE_1)
	s_xor_b32 s3, exec_lo, s2
	s_cbranch_execz .LBB1139_43
; %bb.42:
	s_ashr_i32 s4, s39, 31
	s_delay_alu instid0(SALU_CYCLE_1) | instskip(SKIP_2) | instid1(SALU_CYCLE_1)
	s_add_u32 s6, s38, s4
	s_mov_b32 s5, s4
	s_addc_u32 s7, s39, s4
	s_xor_b64 s[6:7], s[6:7], s[4:5]
	s_delay_alu instid0(SALU_CYCLE_1) | instskip(SKIP_3) | instid1(VALU_DEP_1)
	v_cvt_f32_u32_e32 v21, s6
	v_cvt_f32_u32_e32 v22, s7
	s_sub_u32 s2, 0, s6
	s_subb_u32 s5, 0, s7
	v_fmamk_f32 v21, v22, 0x4f800000, v21
	s_delay_alu instid0(VALU_DEP_1) | instskip(SKIP_2) | instid1(VALU_DEP_1)
	v_rcp_f32_e32 v21, v21
	s_waitcnt_depctr 0xfff
	v_mul_f32_e32 v21, 0x5f7ffffc, v21
	v_mul_f32_e32 v22, 0x2f800000, v21
	s_delay_alu instid0(VALU_DEP_1) | instskip(NEXT) | instid1(VALU_DEP_1)
	v_trunc_f32_e32 v22, v22
	v_fmamk_f32 v21, v22, 0xcf800000, v21
	v_cvt_u32_f32_e32 v22, v22
	s_delay_alu instid0(VALU_DEP_2) | instskip(NEXT) | instid1(VALU_DEP_2)
	v_cvt_u32_f32_e32 v21, v21
	v_mul_lo_u32 v25, s2, v22
	s_delay_alu instid0(VALU_DEP_2) | instskip(SKIP_1) | instid1(VALU_DEP_2)
	v_mul_hi_u32 v26, s2, v21
	v_mul_lo_u32 v27, s5, v21
	v_add_nc_u32_e32 v25, v26, v25
	v_mul_lo_u32 v26, s2, v21
	s_delay_alu instid0(VALU_DEP_2) | instskip(NEXT) | instid1(VALU_DEP_2)
	v_add_nc_u32_e32 v25, v25, v27
	v_mul_hi_u32 v27, v21, v26
	s_delay_alu instid0(VALU_DEP_2)
	v_mul_lo_u32 v28, v21, v25
	v_mul_hi_u32 v31, v21, v25
	v_mul_hi_u32 v32, v22, v26
	v_mul_lo_u32 v26, v22, v26
	v_mul_hi_u32 v33, v22, v25
	v_mul_lo_u32 v25, v22, v25
	v_add_co_u32 v27, vcc_lo, v27, v28
	v_add_co_ci_u32_e32 v28, vcc_lo, 0, v31, vcc_lo
	s_delay_alu instid0(VALU_DEP_2) | instskip(NEXT) | instid1(VALU_DEP_2)
	v_add_co_u32 v26, vcc_lo, v27, v26
	v_add_co_ci_u32_e32 v26, vcc_lo, v28, v32, vcc_lo
	v_add_co_ci_u32_e32 v27, vcc_lo, 0, v33, vcc_lo
	v_ashrrev_i32_e32 v32, 31, v24
	s_delay_alu instid0(VALU_DEP_3) | instskip(NEXT) | instid1(VALU_DEP_3)
	v_add_co_u32 v25, vcc_lo, v26, v25
	v_add_co_ci_u32_e32 v26, vcc_lo, 0, v27, vcc_lo
	s_delay_alu instid0(VALU_DEP_2) | instskip(NEXT) | instid1(VALU_DEP_2)
	v_add_co_u32 v21, vcc_lo, v21, v25
	v_add_co_ci_u32_e32 v22, vcc_lo, v22, v26, vcc_lo
	s_delay_alu instid0(VALU_DEP_2) | instskip(SKIP_1) | instid1(VALU_DEP_3)
	v_mul_hi_u32 v25, s2, v21
	v_mul_lo_u32 v27, s5, v21
	v_mul_lo_u32 v26, s2, v22
	s_delay_alu instid0(VALU_DEP_1) | instskip(SKIP_1) | instid1(VALU_DEP_2)
	v_add_nc_u32_e32 v25, v25, v26
	v_mul_lo_u32 v26, s2, v21
	v_add_nc_u32_e32 v25, v25, v27
	s_delay_alu instid0(VALU_DEP_2) | instskip(NEXT) | instid1(VALU_DEP_2)
	v_mul_hi_u32 v27, v21, v26
	v_mul_lo_u32 v28, v21, v25
	v_mul_hi_u32 v31, v21, v25
	v_mul_hi_u32 v33, v22, v26
	v_mul_lo_u32 v26, v22, v26
	v_mul_hi_u32 v34, v22, v25
	v_mul_lo_u32 v25, v22, v25
	v_add_co_u32 v27, vcc_lo, v27, v28
	v_add_co_ci_u32_e32 v28, vcc_lo, 0, v31, vcc_lo
	s_delay_alu instid0(VALU_DEP_2) | instskip(NEXT) | instid1(VALU_DEP_2)
	v_add_co_u32 v26, vcc_lo, v27, v26
	v_add_co_ci_u32_e32 v26, vcc_lo, v28, v33, vcc_lo
	v_add_co_ci_u32_e32 v27, vcc_lo, 0, v34, vcc_lo
	v_add_co_u32 v23, vcc_lo, v23, v32
	v_add_co_ci_u32_e32 v24, vcc_lo, v24, v32, vcc_lo
	s_delay_alu instid0(VALU_DEP_4) | instskip(NEXT) | instid1(VALU_DEP_4)
	v_add_co_u32 v25, vcc_lo, v26, v25
	v_add_co_ci_u32_e32 v26, vcc_lo, 0, v27, vcc_lo
	s_delay_alu instid0(VALU_DEP_4) | instskip(NEXT) | instid1(VALU_DEP_3)
	v_xor_b32_e32 v27, v23, v32
	v_add_co_u32 v25, vcc_lo, v21, v25
	s_delay_alu instid0(VALU_DEP_3) | instskip(SKIP_1) | instid1(VALU_DEP_3)
	v_add_co_ci_u32_e32 v28, vcc_lo, v22, v26, vcc_lo
	v_xor_b32_e32 v31, v24, v32
	v_mul_hi_u32 v33, v27, v25
	s_delay_alu instid0(VALU_DEP_3) | instskip(NEXT) | instid1(VALU_DEP_3)
	v_mad_u64_u32 v[21:22], null, v27, v28, 0
	v_mad_u64_u32 v[23:24], null, v31, v25, 0
	;; [unrolled: 1-line block ×3, first 2 shown]
	s_delay_alu instid0(VALU_DEP_3) | instskip(NEXT) | instid1(VALU_DEP_4)
	v_add_co_u32 v21, vcc_lo, v33, v21
	v_add_co_ci_u32_e32 v22, vcc_lo, 0, v22, vcc_lo
	s_delay_alu instid0(VALU_DEP_2) | instskip(NEXT) | instid1(VALU_DEP_2)
	v_add_co_u32 v21, vcc_lo, v21, v23
	v_add_co_ci_u32_e32 v21, vcc_lo, v22, v24, vcc_lo
	v_add_co_ci_u32_e32 v22, vcc_lo, 0, v26, vcc_lo
	s_delay_alu instid0(VALU_DEP_2) | instskip(NEXT) | instid1(VALU_DEP_2)
	v_add_co_u32 v23, vcc_lo, v21, v25
	v_add_co_ci_u32_e32 v24, vcc_lo, 0, v22, vcc_lo
	s_delay_alu instid0(VALU_DEP_2) | instskip(SKIP_1) | instid1(VALU_DEP_3)
	v_mul_lo_u32 v25, s7, v23
	v_mad_u64_u32 v[21:22], null, s6, v23, 0
	v_mul_lo_u32 v26, s6, v24
	s_delay_alu instid0(VALU_DEP_2) | instskip(NEXT) | instid1(VALU_DEP_2)
	v_sub_co_u32 v21, vcc_lo, v27, v21
	v_add3_u32 v22, v22, v26, v25
	s_delay_alu instid0(VALU_DEP_1) | instskip(NEXT) | instid1(VALU_DEP_1)
	v_sub_nc_u32_e32 v25, v31, v22
	v_subrev_co_ci_u32_e64 v25, s2, s7, v25, vcc_lo
	v_add_co_u32 v26, s2, v23, 2
	s_delay_alu instid0(VALU_DEP_1) | instskip(SKIP_3) | instid1(VALU_DEP_3)
	v_add_co_ci_u32_e64 v27, s2, 0, v24, s2
	v_sub_co_u32 v28, s2, v21, s6
	v_sub_co_ci_u32_e32 v22, vcc_lo, v31, v22, vcc_lo
	v_subrev_co_ci_u32_e64 v25, s2, 0, v25, s2
	v_cmp_le_u32_e32 vcc_lo, s6, v28
	s_delay_alu instid0(VALU_DEP_3) | instskip(SKIP_1) | instid1(VALU_DEP_4)
	v_cmp_eq_u32_e64 s2, s7, v22
	v_cndmask_b32_e64 v28, 0, -1, vcc_lo
	v_cmp_le_u32_e32 vcc_lo, s7, v25
	v_cndmask_b32_e64 v31, 0, -1, vcc_lo
	v_cmp_le_u32_e32 vcc_lo, s6, v21
	;; [unrolled: 2-line block ×3, first 2 shown]
	v_cndmask_b32_e64 v33, 0, -1, vcc_lo
	v_cmp_eq_u32_e32 vcc_lo, s7, v25
	s_delay_alu instid0(VALU_DEP_2) | instskip(SKIP_3) | instid1(VALU_DEP_3)
	v_cndmask_b32_e64 v21, v33, v21, s2
	v_cndmask_b32_e32 v25, v31, v28, vcc_lo
	v_add_co_u32 v28, vcc_lo, v23, 1
	v_add_co_ci_u32_e32 v31, vcc_lo, 0, v24, vcc_lo
	v_cmp_ne_u32_e32 vcc_lo, 0, v25
	s_delay_alu instid0(VALU_DEP_2) | instskip(SKIP_2) | instid1(VALU_DEP_3)
	v_dual_cndmask_b32 v22, v31, v27 :: v_dual_cndmask_b32 v25, v28, v26
	v_cmp_ne_u32_e32 vcc_lo, 0, v21
	v_xor_b32_e32 v26, s4, v32
	v_dual_cndmask_b32 v21, v24, v22 :: v_dual_cndmask_b32 v22, v23, v25
	s_delay_alu instid0(VALU_DEP_1) | instskip(NEXT) | instid1(VALU_DEP_2)
	v_xor_b32_e32 v23, v21, v26
	v_xor_b32_e32 v22, v22, v26
	s_delay_alu instid0(VALU_DEP_1) | instskip(NEXT) | instid1(VALU_DEP_3)
	v_sub_co_u32 v21, vcc_lo, v22, v26
	v_sub_co_ci_u32_e32 v22, vcc_lo, v23, v26, vcc_lo
                                        ; implicit-def: $vgpr23
.LBB1139_43:
	s_and_not1_saveexec_b32 s2, s3
	s_cbranch_execz .LBB1139_45
; %bb.44:
	v_cvt_f32_u32_e32 v21, s38
	s_sub_i32 s3, 0, s38
	s_delay_alu instid0(VALU_DEP_1) | instskip(SKIP_2) | instid1(VALU_DEP_1)
	v_rcp_iflag_f32_e32 v21, v21
	s_waitcnt_depctr 0xfff
	v_mul_f32_e32 v21, 0x4f7ffffe, v21
	v_cvt_u32_f32_e32 v21, v21
	s_delay_alu instid0(VALU_DEP_1) | instskip(NEXT) | instid1(VALU_DEP_1)
	v_mul_lo_u32 v22, s3, v21
	v_mul_hi_u32 v22, v21, v22
	s_delay_alu instid0(VALU_DEP_1) | instskip(NEXT) | instid1(VALU_DEP_1)
	v_add_nc_u32_e32 v21, v21, v22
	v_mul_hi_u32 v21, v23, v21
	s_delay_alu instid0(VALU_DEP_1) | instskip(NEXT) | instid1(VALU_DEP_1)
	v_mul_lo_u32 v22, v21, s38
	v_sub_nc_u32_e32 v22, v23, v22
	v_add_nc_u32_e32 v23, 1, v21
	s_delay_alu instid0(VALU_DEP_2) | instskip(SKIP_1) | instid1(VALU_DEP_2)
	v_subrev_nc_u32_e32 v24, s38, v22
	v_cmp_le_u32_e32 vcc_lo, s38, v22
	v_dual_cndmask_b32 v22, v22, v24 :: v_dual_cndmask_b32 v21, v21, v23
	s_delay_alu instid0(VALU_DEP_1) | instskip(NEXT) | instid1(VALU_DEP_2)
	v_cmp_le_u32_e32 vcc_lo, s38, v22
	v_dual_mov_b32 v22, 0 :: v_dual_add_nc_u32 v23, 1, v21
	s_delay_alu instid0(VALU_DEP_1)
	v_cndmask_b32_e32 v21, v21, v23, vcc_lo
.LBB1139_45:
	s_or_b32 exec_lo, exec_lo, s2
	v_add_co_u32 v25, vcc_lo, 0xb00, v29
	v_add_co_ci_u32_e32 v26, vcc_lo, 0, v30, vcc_lo
	v_mov_b32_e32 v23, 0
	s_delay_alu instid0(VALU_DEP_2) | instskip(NEXT) | instid1(VALU_DEP_1)
	v_or_b32_e32 v24, s39, v26
	v_cmp_ne_u64_e32 vcc_lo, 0, v[23:24]
                                        ; implicit-def: $vgpr23_vgpr24
	s_and_saveexec_b32 s2, vcc_lo
	s_delay_alu instid0(SALU_CYCLE_1)
	s_xor_b32 s3, exec_lo, s2
	s_cbranch_execz .LBB1139_47
; %bb.46:
	s_ashr_i32 s4, s39, 31
	s_delay_alu instid0(SALU_CYCLE_1) | instskip(SKIP_2) | instid1(SALU_CYCLE_1)
	s_add_u32 s6, s38, s4
	s_mov_b32 s5, s4
	s_addc_u32 s7, s39, s4
	s_xor_b64 s[6:7], s[6:7], s[4:5]
	s_delay_alu instid0(SALU_CYCLE_1) | instskip(SKIP_3) | instid1(VALU_DEP_1)
	v_cvt_f32_u32_e32 v23, s6
	v_cvt_f32_u32_e32 v24, s7
	s_sub_u32 s2, 0, s6
	s_subb_u32 s5, 0, s7
	v_fmamk_f32 v23, v24, 0x4f800000, v23
	s_delay_alu instid0(VALU_DEP_1) | instskip(SKIP_2) | instid1(VALU_DEP_1)
	v_rcp_f32_e32 v23, v23
	s_waitcnt_depctr 0xfff
	v_mul_f32_e32 v23, 0x5f7ffffc, v23
	v_mul_f32_e32 v24, 0x2f800000, v23
	s_delay_alu instid0(VALU_DEP_1) | instskip(NEXT) | instid1(VALU_DEP_1)
	v_trunc_f32_e32 v24, v24
	v_fmamk_f32 v23, v24, 0xcf800000, v23
	v_cvt_u32_f32_e32 v24, v24
	s_delay_alu instid0(VALU_DEP_2) | instskip(NEXT) | instid1(VALU_DEP_2)
	v_cvt_u32_f32_e32 v23, v23
	v_mul_lo_u32 v27, s2, v24
	s_delay_alu instid0(VALU_DEP_2) | instskip(SKIP_1) | instid1(VALU_DEP_2)
	v_mul_hi_u32 v28, s2, v23
	v_mul_lo_u32 v31, s5, v23
	v_add_nc_u32_e32 v27, v28, v27
	v_mul_lo_u32 v28, s2, v23
	s_delay_alu instid0(VALU_DEP_2) | instskip(NEXT) | instid1(VALU_DEP_2)
	v_add_nc_u32_e32 v27, v27, v31
	v_mul_hi_u32 v31, v23, v28
	s_delay_alu instid0(VALU_DEP_2)
	v_mul_lo_u32 v32, v23, v27
	v_mul_hi_u32 v33, v23, v27
	v_mul_hi_u32 v34, v24, v28
	v_mul_lo_u32 v28, v24, v28
	v_mul_hi_u32 v35, v24, v27
	v_mul_lo_u32 v27, v24, v27
	v_add_co_u32 v31, vcc_lo, v31, v32
	v_add_co_ci_u32_e32 v32, vcc_lo, 0, v33, vcc_lo
	s_delay_alu instid0(VALU_DEP_2) | instskip(NEXT) | instid1(VALU_DEP_2)
	v_add_co_u32 v28, vcc_lo, v31, v28
	v_add_co_ci_u32_e32 v28, vcc_lo, v32, v34, vcc_lo
	v_add_co_ci_u32_e32 v31, vcc_lo, 0, v35, vcc_lo
	v_ashrrev_i32_e32 v34, 31, v26
	s_delay_alu instid0(VALU_DEP_3) | instskip(NEXT) | instid1(VALU_DEP_3)
	v_add_co_u32 v27, vcc_lo, v28, v27
	v_add_co_ci_u32_e32 v28, vcc_lo, 0, v31, vcc_lo
	s_delay_alu instid0(VALU_DEP_2) | instskip(NEXT) | instid1(VALU_DEP_2)
	v_add_co_u32 v23, vcc_lo, v23, v27
	v_add_co_ci_u32_e32 v24, vcc_lo, v24, v28, vcc_lo
	s_delay_alu instid0(VALU_DEP_2) | instskip(SKIP_1) | instid1(VALU_DEP_3)
	v_mul_hi_u32 v27, s2, v23
	v_mul_lo_u32 v31, s5, v23
	v_mul_lo_u32 v28, s2, v24
	s_delay_alu instid0(VALU_DEP_1) | instskip(SKIP_1) | instid1(VALU_DEP_2)
	v_add_nc_u32_e32 v27, v27, v28
	v_mul_lo_u32 v28, s2, v23
	v_add_nc_u32_e32 v27, v27, v31
	s_delay_alu instid0(VALU_DEP_2) | instskip(NEXT) | instid1(VALU_DEP_2)
	v_mul_hi_u32 v31, v23, v28
	v_mul_lo_u32 v32, v23, v27
	v_mul_hi_u32 v33, v23, v27
	v_mul_hi_u32 v35, v24, v28
	v_mul_lo_u32 v28, v24, v28
	v_mul_hi_u32 v36, v24, v27
	v_mul_lo_u32 v27, v24, v27
	v_add_co_u32 v31, vcc_lo, v31, v32
	v_add_co_ci_u32_e32 v32, vcc_lo, 0, v33, vcc_lo
	s_delay_alu instid0(VALU_DEP_2) | instskip(NEXT) | instid1(VALU_DEP_2)
	v_add_co_u32 v28, vcc_lo, v31, v28
	v_add_co_ci_u32_e32 v28, vcc_lo, v32, v35, vcc_lo
	v_add_co_ci_u32_e32 v31, vcc_lo, 0, v36, vcc_lo
	v_add_co_u32 v25, vcc_lo, v25, v34
	v_add_co_ci_u32_e32 v26, vcc_lo, v26, v34, vcc_lo
	s_delay_alu instid0(VALU_DEP_4) | instskip(NEXT) | instid1(VALU_DEP_4)
	v_add_co_u32 v27, vcc_lo, v28, v27
	v_add_co_ci_u32_e32 v28, vcc_lo, 0, v31, vcc_lo
	s_delay_alu instid0(VALU_DEP_4) | instskip(NEXT) | instid1(VALU_DEP_3)
	v_xor_b32_e32 v31, v25, v34
	v_add_co_u32 v27, vcc_lo, v23, v27
	s_delay_alu instid0(VALU_DEP_3) | instskip(SKIP_1) | instid1(VALU_DEP_3)
	v_add_co_ci_u32_e32 v32, vcc_lo, v24, v28, vcc_lo
	v_xor_b32_e32 v33, v26, v34
	v_mul_hi_u32 v35, v31, v27
	s_delay_alu instid0(VALU_DEP_3) | instskip(NEXT) | instid1(VALU_DEP_3)
	v_mad_u64_u32 v[23:24], null, v31, v32, 0
	v_mad_u64_u32 v[25:26], null, v33, v27, 0
	;; [unrolled: 1-line block ×3, first 2 shown]
	s_delay_alu instid0(VALU_DEP_3) | instskip(NEXT) | instid1(VALU_DEP_4)
	v_add_co_u32 v23, vcc_lo, v35, v23
	v_add_co_ci_u32_e32 v24, vcc_lo, 0, v24, vcc_lo
	s_delay_alu instid0(VALU_DEP_2) | instskip(NEXT) | instid1(VALU_DEP_2)
	v_add_co_u32 v23, vcc_lo, v23, v25
	v_add_co_ci_u32_e32 v23, vcc_lo, v24, v26, vcc_lo
	v_add_co_ci_u32_e32 v24, vcc_lo, 0, v28, vcc_lo
	s_delay_alu instid0(VALU_DEP_2) | instskip(NEXT) | instid1(VALU_DEP_2)
	v_add_co_u32 v25, vcc_lo, v23, v27
	v_add_co_ci_u32_e32 v26, vcc_lo, 0, v24, vcc_lo
	s_delay_alu instid0(VALU_DEP_2) | instskip(SKIP_1) | instid1(VALU_DEP_3)
	v_mul_lo_u32 v27, s7, v25
	v_mad_u64_u32 v[23:24], null, s6, v25, 0
	v_mul_lo_u32 v28, s6, v26
	s_delay_alu instid0(VALU_DEP_2) | instskip(NEXT) | instid1(VALU_DEP_2)
	v_sub_co_u32 v23, vcc_lo, v31, v23
	v_add3_u32 v24, v24, v28, v27
	s_delay_alu instid0(VALU_DEP_1) | instskip(NEXT) | instid1(VALU_DEP_1)
	v_sub_nc_u32_e32 v27, v33, v24
	v_subrev_co_ci_u32_e64 v27, s2, s7, v27, vcc_lo
	v_add_co_u32 v28, s2, v25, 2
	s_delay_alu instid0(VALU_DEP_1) | instskip(SKIP_3) | instid1(VALU_DEP_3)
	v_add_co_ci_u32_e64 v31, s2, 0, v26, s2
	v_sub_co_u32 v32, s2, v23, s6
	v_sub_co_ci_u32_e32 v24, vcc_lo, v33, v24, vcc_lo
	v_subrev_co_ci_u32_e64 v27, s2, 0, v27, s2
	v_cmp_le_u32_e32 vcc_lo, s6, v32
	s_delay_alu instid0(VALU_DEP_3) | instskip(SKIP_1) | instid1(VALU_DEP_4)
	v_cmp_eq_u32_e64 s2, s7, v24
	v_cndmask_b32_e64 v32, 0, -1, vcc_lo
	v_cmp_le_u32_e32 vcc_lo, s7, v27
	v_cndmask_b32_e64 v33, 0, -1, vcc_lo
	v_cmp_le_u32_e32 vcc_lo, s6, v23
	;; [unrolled: 2-line block ×3, first 2 shown]
	v_cndmask_b32_e64 v35, 0, -1, vcc_lo
	v_cmp_eq_u32_e32 vcc_lo, s7, v27
	s_delay_alu instid0(VALU_DEP_2) | instskip(SKIP_3) | instid1(VALU_DEP_3)
	v_cndmask_b32_e64 v23, v35, v23, s2
	v_cndmask_b32_e32 v27, v33, v32, vcc_lo
	v_add_co_u32 v32, vcc_lo, v25, 1
	v_add_co_ci_u32_e32 v33, vcc_lo, 0, v26, vcc_lo
	v_cmp_ne_u32_e32 vcc_lo, 0, v27
	s_delay_alu instid0(VALU_DEP_2) | instskip(SKIP_2) | instid1(VALU_DEP_3)
	v_dual_cndmask_b32 v24, v33, v31 :: v_dual_cndmask_b32 v27, v32, v28
	v_cmp_ne_u32_e32 vcc_lo, 0, v23
	v_xor_b32_e32 v28, s4, v34
	v_dual_cndmask_b32 v23, v26, v24 :: v_dual_cndmask_b32 v24, v25, v27
	s_delay_alu instid0(VALU_DEP_1) | instskip(NEXT) | instid1(VALU_DEP_2)
	v_xor_b32_e32 v25, v23, v28
	v_xor_b32_e32 v24, v24, v28
	s_delay_alu instid0(VALU_DEP_1) | instskip(NEXT) | instid1(VALU_DEP_3)
	v_sub_co_u32 v23, vcc_lo, v24, v28
	v_sub_co_ci_u32_e32 v24, vcc_lo, v25, v28, vcc_lo
                                        ; implicit-def: $vgpr25
.LBB1139_47:
	s_and_not1_saveexec_b32 s2, s3
	s_cbranch_execz .LBB1139_49
; %bb.48:
	v_cvt_f32_u32_e32 v23, s38
	s_sub_i32 s3, 0, s38
	s_delay_alu instid0(VALU_DEP_1) | instskip(SKIP_2) | instid1(VALU_DEP_1)
	v_rcp_iflag_f32_e32 v23, v23
	s_waitcnt_depctr 0xfff
	v_mul_f32_e32 v23, 0x4f7ffffe, v23
	v_cvt_u32_f32_e32 v23, v23
	s_delay_alu instid0(VALU_DEP_1) | instskip(NEXT) | instid1(VALU_DEP_1)
	v_mul_lo_u32 v24, s3, v23
	v_mul_hi_u32 v24, v23, v24
	s_delay_alu instid0(VALU_DEP_1) | instskip(NEXT) | instid1(VALU_DEP_1)
	v_add_nc_u32_e32 v23, v23, v24
	v_mul_hi_u32 v23, v25, v23
	s_delay_alu instid0(VALU_DEP_1) | instskip(NEXT) | instid1(VALU_DEP_1)
	v_mul_lo_u32 v24, v23, s38
	v_sub_nc_u32_e32 v24, v25, v24
	v_add_nc_u32_e32 v25, 1, v23
	s_delay_alu instid0(VALU_DEP_2) | instskip(SKIP_1) | instid1(VALU_DEP_2)
	v_subrev_nc_u32_e32 v26, s38, v24
	v_cmp_le_u32_e32 vcc_lo, s38, v24
	v_dual_cndmask_b32 v24, v24, v26 :: v_dual_cndmask_b32 v23, v23, v25
	s_delay_alu instid0(VALU_DEP_1) | instskip(NEXT) | instid1(VALU_DEP_2)
	v_cmp_le_u32_e32 vcc_lo, s38, v24
	v_dual_mov_b32 v24, 0 :: v_dual_add_nc_u32 v25, 1, v23
	s_delay_alu instid0(VALU_DEP_1)
	v_cndmask_b32_e32 v23, v23, v25, vcc_lo
.LBB1139_49:
	s_or_b32 exec_lo, exec_lo, s2
	v_add_co_u32 v27, vcc_lo, 0xc00, v29
	v_add_co_ci_u32_e32 v28, vcc_lo, 0, v30, vcc_lo
	v_mov_b32_e32 v25, 0
	s_delay_alu instid0(VALU_DEP_2) | instskip(NEXT) | instid1(VALU_DEP_1)
	v_or_b32_e32 v26, s39, v28
	v_cmp_ne_u64_e32 vcc_lo, 0, v[25:26]
                                        ; implicit-def: $vgpr25_vgpr26
	s_and_saveexec_b32 s2, vcc_lo
	s_delay_alu instid0(SALU_CYCLE_1)
	s_xor_b32 s3, exec_lo, s2
	s_cbranch_execz .LBB1139_51
; %bb.50:
	s_ashr_i32 s4, s39, 31
	s_delay_alu instid0(SALU_CYCLE_1) | instskip(SKIP_2) | instid1(SALU_CYCLE_1)
	s_add_u32 s6, s38, s4
	s_mov_b32 s5, s4
	s_addc_u32 s7, s39, s4
	s_xor_b64 s[6:7], s[6:7], s[4:5]
	s_delay_alu instid0(SALU_CYCLE_1) | instskip(SKIP_3) | instid1(VALU_DEP_1)
	v_cvt_f32_u32_e32 v25, s6
	v_cvt_f32_u32_e32 v26, s7
	s_sub_u32 s2, 0, s6
	s_subb_u32 s5, 0, s7
	v_fmamk_f32 v25, v26, 0x4f800000, v25
	s_delay_alu instid0(VALU_DEP_1) | instskip(SKIP_2) | instid1(VALU_DEP_1)
	v_rcp_f32_e32 v25, v25
	s_waitcnt_depctr 0xfff
	v_mul_f32_e32 v25, 0x5f7ffffc, v25
	v_mul_f32_e32 v26, 0x2f800000, v25
	s_delay_alu instid0(VALU_DEP_1) | instskip(NEXT) | instid1(VALU_DEP_1)
	v_trunc_f32_e32 v26, v26
	v_fmamk_f32 v25, v26, 0xcf800000, v25
	v_cvt_u32_f32_e32 v26, v26
	s_delay_alu instid0(VALU_DEP_2) | instskip(NEXT) | instid1(VALU_DEP_2)
	v_cvt_u32_f32_e32 v25, v25
	v_mul_lo_u32 v31, s2, v26
	s_delay_alu instid0(VALU_DEP_2) | instskip(SKIP_1) | instid1(VALU_DEP_2)
	v_mul_hi_u32 v32, s2, v25
	v_mul_lo_u32 v33, s5, v25
	v_add_nc_u32_e32 v31, v32, v31
	v_mul_lo_u32 v32, s2, v25
	s_delay_alu instid0(VALU_DEP_2) | instskip(NEXT) | instid1(VALU_DEP_2)
	v_add_nc_u32_e32 v31, v31, v33
	v_mul_hi_u32 v33, v25, v32
	s_delay_alu instid0(VALU_DEP_2)
	v_mul_lo_u32 v34, v25, v31
	v_mul_hi_u32 v35, v25, v31
	v_mul_hi_u32 v36, v26, v32
	v_mul_lo_u32 v32, v26, v32
	v_mul_hi_u32 v37, v26, v31
	v_mul_lo_u32 v31, v26, v31
	v_add_co_u32 v33, vcc_lo, v33, v34
	v_add_co_ci_u32_e32 v34, vcc_lo, 0, v35, vcc_lo
	s_delay_alu instid0(VALU_DEP_2) | instskip(NEXT) | instid1(VALU_DEP_2)
	v_add_co_u32 v32, vcc_lo, v33, v32
	v_add_co_ci_u32_e32 v32, vcc_lo, v34, v36, vcc_lo
	v_add_co_ci_u32_e32 v33, vcc_lo, 0, v37, vcc_lo
	v_ashrrev_i32_e32 v36, 31, v28
	s_delay_alu instid0(VALU_DEP_3) | instskip(NEXT) | instid1(VALU_DEP_3)
	v_add_co_u32 v31, vcc_lo, v32, v31
	v_add_co_ci_u32_e32 v32, vcc_lo, 0, v33, vcc_lo
	s_delay_alu instid0(VALU_DEP_2) | instskip(NEXT) | instid1(VALU_DEP_2)
	v_add_co_u32 v25, vcc_lo, v25, v31
	v_add_co_ci_u32_e32 v26, vcc_lo, v26, v32, vcc_lo
	s_delay_alu instid0(VALU_DEP_2) | instskip(SKIP_1) | instid1(VALU_DEP_3)
	v_mul_hi_u32 v31, s2, v25
	v_mul_lo_u32 v33, s5, v25
	v_mul_lo_u32 v32, s2, v26
	s_delay_alu instid0(VALU_DEP_1) | instskip(SKIP_1) | instid1(VALU_DEP_2)
	v_add_nc_u32_e32 v31, v31, v32
	v_mul_lo_u32 v32, s2, v25
	v_add_nc_u32_e32 v31, v31, v33
	s_delay_alu instid0(VALU_DEP_2) | instskip(NEXT) | instid1(VALU_DEP_2)
	v_mul_hi_u32 v33, v25, v32
	v_mul_lo_u32 v34, v25, v31
	v_mul_hi_u32 v35, v25, v31
	v_mul_hi_u32 v37, v26, v32
	v_mul_lo_u32 v32, v26, v32
	v_mul_hi_u32 v38, v26, v31
	v_mul_lo_u32 v31, v26, v31
	v_add_co_u32 v33, vcc_lo, v33, v34
	v_add_co_ci_u32_e32 v34, vcc_lo, 0, v35, vcc_lo
	s_delay_alu instid0(VALU_DEP_2) | instskip(NEXT) | instid1(VALU_DEP_2)
	v_add_co_u32 v32, vcc_lo, v33, v32
	v_add_co_ci_u32_e32 v32, vcc_lo, v34, v37, vcc_lo
	v_add_co_ci_u32_e32 v33, vcc_lo, 0, v38, vcc_lo
	v_add_co_u32 v27, vcc_lo, v27, v36
	v_add_co_ci_u32_e32 v28, vcc_lo, v28, v36, vcc_lo
	s_delay_alu instid0(VALU_DEP_4) | instskip(NEXT) | instid1(VALU_DEP_4)
	v_add_co_u32 v31, vcc_lo, v32, v31
	v_add_co_ci_u32_e32 v32, vcc_lo, 0, v33, vcc_lo
	s_delay_alu instid0(VALU_DEP_4) | instskip(NEXT) | instid1(VALU_DEP_3)
	v_xor_b32_e32 v33, v27, v36
	v_add_co_u32 v31, vcc_lo, v25, v31
	s_delay_alu instid0(VALU_DEP_3) | instskip(SKIP_1) | instid1(VALU_DEP_3)
	v_add_co_ci_u32_e32 v34, vcc_lo, v26, v32, vcc_lo
	v_xor_b32_e32 v35, v28, v36
	v_mul_hi_u32 v37, v33, v31
	s_delay_alu instid0(VALU_DEP_3) | instskip(NEXT) | instid1(VALU_DEP_3)
	v_mad_u64_u32 v[25:26], null, v33, v34, 0
	v_mad_u64_u32 v[27:28], null, v35, v31, 0
	;; [unrolled: 1-line block ×3, first 2 shown]
	s_delay_alu instid0(VALU_DEP_3) | instskip(NEXT) | instid1(VALU_DEP_4)
	v_add_co_u32 v25, vcc_lo, v37, v25
	v_add_co_ci_u32_e32 v26, vcc_lo, 0, v26, vcc_lo
	s_delay_alu instid0(VALU_DEP_2) | instskip(NEXT) | instid1(VALU_DEP_2)
	v_add_co_u32 v25, vcc_lo, v25, v27
	v_add_co_ci_u32_e32 v25, vcc_lo, v26, v28, vcc_lo
	v_add_co_ci_u32_e32 v26, vcc_lo, 0, v32, vcc_lo
	s_delay_alu instid0(VALU_DEP_2) | instskip(NEXT) | instid1(VALU_DEP_2)
	v_add_co_u32 v27, vcc_lo, v25, v31
	v_add_co_ci_u32_e32 v28, vcc_lo, 0, v26, vcc_lo
	s_delay_alu instid0(VALU_DEP_2) | instskip(SKIP_1) | instid1(VALU_DEP_3)
	v_mul_lo_u32 v31, s7, v27
	v_mad_u64_u32 v[25:26], null, s6, v27, 0
	v_mul_lo_u32 v32, s6, v28
	s_delay_alu instid0(VALU_DEP_2) | instskip(NEXT) | instid1(VALU_DEP_2)
	v_sub_co_u32 v25, vcc_lo, v33, v25
	v_add3_u32 v26, v26, v32, v31
	s_delay_alu instid0(VALU_DEP_1) | instskip(NEXT) | instid1(VALU_DEP_1)
	v_sub_nc_u32_e32 v31, v35, v26
	v_subrev_co_ci_u32_e64 v31, s2, s7, v31, vcc_lo
	v_add_co_u32 v32, s2, v27, 2
	s_delay_alu instid0(VALU_DEP_1) | instskip(SKIP_3) | instid1(VALU_DEP_3)
	v_add_co_ci_u32_e64 v33, s2, 0, v28, s2
	v_sub_co_u32 v34, s2, v25, s6
	v_sub_co_ci_u32_e32 v26, vcc_lo, v35, v26, vcc_lo
	v_subrev_co_ci_u32_e64 v31, s2, 0, v31, s2
	v_cmp_le_u32_e32 vcc_lo, s6, v34
	s_delay_alu instid0(VALU_DEP_3) | instskip(SKIP_1) | instid1(VALU_DEP_4)
	v_cmp_eq_u32_e64 s2, s7, v26
	v_cndmask_b32_e64 v34, 0, -1, vcc_lo
	v_cmp_le_u32_e32 vcc_lo, s7, v31
	v_cndmask_b32_e64 v35, 0, -1, vcc_lo
	v_cmp_le_u32_e32 vcc_lo, s6, v25
	v_cndmask_b32_e64 v25, 0, -1, vcc_lo
	v_cmp_le_u32_e32 vcc_lo, s7, v26
	v_cndmask_b32_e64 v37, 0, -1, vcc_lo
	v_cmp_eq_u32_e32 vcc_lo, s7, v31
	s_delay_alu instid0(VALU_DEP_2) | instskip(SKIP_3) | instid1(VALU_DEP_3)
	v_cndmask_b32_e64 v25, v37, v25, s2
	v_cndmask_b32_e32 v31, v35, v34, vcc_lo
	v_add_co_u32 v34, vcc_lo, v27, 1
	v_add_co_ci_u32_e32 v35, vcc_lo, 0, v28, vcc_lo
	v_cmp_ne_u32_e32 vcc_lo, 0, v31
	s_delay_alu instid0(VALU_DEP_2) | instskip(SKIP_2) | instid1(VALU_DEP_3)
	v_dual_cndmask_b32 v26, v35, v33 :: v_dual_cndmask_b32 v31, v34, v32
	v_cmp_ne_u32_e32 vcc_lo, 0, v25
	v_xor_b32_e32 v32, s4, v36
	v_dual_cndmask_b32 v25, v28, v26 :: v_dual_cndmask_b32 v26, v27, v31
	s_delay_alu instid0(VALU_DEP_1) | instskip(NEXT) | instid1(VALU_DEP_2)
	v_xor_b32_e32 v27, v25, v32
	v_xor_b32_e32 v26, v26, v32
	s_delay_alu instid0(VALU_DEP_1) | instskip(NEXT) | instid1(VALU_DEP_3)
	v_sub_co_u32 v25, vcc_lo, v26, v32
	v_sub_co_ci_u32_e32 v26, vcc_lo, v27, v32, vcc_lo
                                        ; implicit-def: $vgpr27
.LBB1139_51:
	s_and_not1_saveexec_b32 s2, s3
	s_cbranch_execz .LBB1139_53
; %bb.52:
	v_cvt_f32_u32_e32 v25, s38
	s_sub_i32 s3, 0, s38
	s_delay_alu instid0(VALU_DEP_1) | instskip(SKIP_2) | instid1(VALU_DEP_1)
	v_rcp_iflag_f32_e32 v25, v25
	s_waitcnt_depctr 0xfff
	v_mul_f32_e32 v25, 0x4f7ffffe, v25
	v_cvt_u32_f32_e32 v25, v25
	s_delay_alu instid0(VALU_DEP_1) | instskip(NEXT) | instid1(VALU_DEP_1)
	v_mul_lo_u32 v26, s3, v25
	v_mul_hi_u32 v26, v25, v26
	s_delay_alu instid0(VALU_DEP_1) | instskip(NEXT) | instid1(VALU_DEP_1)
	v_add_nc_u32_e32 v25, v25, v26
	v_mul_hi_u32 v25, v27, v25
	s_delay_alu instid0(VALU_DEP_1) | instskip(NEXT) | instid1(VALU_DEP_1)
	v_mul_lo_u32 v26, v25, s38
	v_sub_nc_u32_e32 v26, v27, v26
	v_add_nc_u32_e32 v27, 1, v25
	s_delay_alu instid0(VALU_DEP_2) | instskip(SKIP_1) | instid1(VALU_DEP_2)
	v_subrev_nc_u32_e32 v28, s38, v26
	v_cmp_le_u32_e32 vcc_lo, s38, v26
	v_dual_cndmask_b32 v26, v26, v28 :: v_dual_cndmask_b32 v25, v25, v27
	s_delay_alu instid0(VALU_DEP_1) | instskip(NEXT) | instid1(VALU_DEP_2)
	v_cmp_le_u32_e32 vcc_lo, s38, v26
	v_dual_mov_b32 v26, 0 :: v_dual_add_nc_u32 v27, 1, v25
	s_delay_alu instid0(VALU_DEP_1)
	v_cndmask_b32_e32 v25, v25, v27, vcc_lo
.LBB1139_53:
	s_or_b32 exec_lo, exec_lo, s2
	v_add_co_u32 v31, vcc_lo, 0xd00, v29
	v_add_co_ci_u32_e32 v32, vcc_lo, 0, v30, vcc_lo
	v_mov_b32_e32 v27, 0
	s_delay_alu instid0(VALU_DEP_2) | instskip(NEXT) | instid1(VALU_DEP_1)
	v_or_b32_e32 v28, s39, v32
	v_cmp_ne_u64_e32 vcc_lo, 0, v[27:28]
                                        ; implicit-def: $vgpr27_vgpr28
	s_and_saveexec_b32 s2, vcc_lo
	s_delay_alu instid0(SALU_CYCLE_1)
	s_xor_b32 s3, exec_lo, s2
	s_cbranch_execz .LBB1139_55
; %bb.54:
	s_ashr_i32 s4, s39, 31
	s_delay_alu instid0(SALU_CYCLE_1) | instskip(SKIP_2) | instid1(SALU_CYCLE_1)
	s_add_u32 s6, s38, s4
	s_mov_b32 s5, s4
	s_addc_u32 s7, s39, s4
	s_xor_b64 s[6:7], s[6:7], s[4:5]
	s_delay_alu instid0(SALU_CYCLE_1) | instskip(SKIP_3) | instid1(VALU_DEP_1)
	v_cvt_f32_u32_e32 v27, s6
	v_cvt_f32_u32_e32 v28, s7
	s_sub_u32 s2, 0, s6
	s_subb_u32 s5, 0, s7
	v_fmamk_f32 v27, v28, 0x4f800000, v27
	s_delay_alu instid0(VALU_DEP_1) | instskip(SKIP_2) | instid1(VALU_DEP_1)
	v_rcp_f32_e32 v27, v27
	s_waitcnt_depctr 0xfff
	v_mul_f32_e32 v27, 0x5f7ffffc, v27
	v_mul_f32_e32 v28, 0x2f800000, v27
	s_delay_alu instid0(VALU_DEP_1) | instskip(NEXT) | instid1(VALU_DEP_1)
	v_trunc_f32_e32 v28, v28
	v_fmamk_f32 v27, v28, 0xcf800000, v27
	v_cvt_u32_f32_e32 v28, v28
	s_delay_alu instid0(VALU_DEP_2) | instskip(NEXT) | instid1(VALU_DEP_2)
	v_cvt_u32_f32_e32 v27, v27
	v_mul_lo_u32 v33, s2, v28
	s_delay_alu instid0(VALU_DEP_2) | instskip(SKIP_1) | instid1(VALU_DEP_2)
	v_mul_hi_u32 v34, s2, v27
	v_mul_lo_u32 v35, s5, v27
	v_add_nc_u32_e32 v33, v34, v33
	v_mul_lo_u32 v34, s2, v27
	s_delay_alu instid0(VALU_DEP_2) | instskip(NEXT) | instid1(VALU_DEP_2)
	v_add_nc_u32_e32 v33, v33, v35
	v_mul_hi_u32 v35, v27, v34
	s_delay_alu instid0(VALU_DEP_2)
	v_mul_lo_u32 v36, v27, v33
	v_mul_hi_u32 v37, v27, v33
	v_mul_hi_u32 v38, v28, v34
	v_mul_lo_u32 v34, v28, v34
	v_mul_hi_u32 v39, v28, v33
	v_mul_lo_u32 v33, v28, v33
	v_add_co_u32 v35, vcc_lo, v35, v36
	v_add_co_ci_u32_e32 v36, vcc_lo, 0, v37, vcc_lo
	s_delay_alu instid0(VALU_DEP_2) | instskip(NEXT) | instid1(VALU_DEP_2)
	v_add_co_u32 v34, vcc_lo, v35, v34
	v_add_co_ci_u32_e32 v34, vcc_lo, v36, v38, vcc_lo
	v_add_co_ci_u32_e32 v35, vcc_lo, 0, v39, vcc_lo
	v_ashrrev_i32_e32 v38, 31, v32
	s_delay_alu instid0(VALU_DEP_3) | instskip(NEXT) | instid1(VALU_DEP_3)
	v_add_co_u32 v33, vcc_lo, v34, v33
	v_add_co_ci_u32_e32 v34, vcc_lo, 0, v35, vcc_lo
	s_delay_alu instid0(VALU_DEP_2) | instskip(NEXT) | instid1(VALU_DEP_2)
	v_add_co_u32 v27, vcc_lo, v27, v33
	v_add_co_ci_u32_e32 v28, vcc_lo, v28, v34, vcc_lo
	s_delay_alu instid0(VALU_DEP_2) | instskip(SKIP_1) | instid1(VALU_DEP_3)
	v_mul_hi_u32 v33, s2, v27
	v_mul_lo_u32 v35, s5, v27
	v_mul_lo_u32 v34, s2, v28
	s_delay_alu instid0(VALU_DEP_1) | instskip(SKIP_1) | instid1(VALU_DEP_2)
	v_add_nc_u32_e32 v33, v33, v34
	v_mul_lo_u32 v34, s2, v27
	v_add_nc_u32_e32 v33, v33, v35
	s_delay_alu instid0(VALU_DEP_2) | instskip(NEXT) | instid1(VALU_DEP_2)
	v_mul_hi_u32 v35, v27, v34
	v_mul_lo_u32 v36, v27, v33
	v_mul_hi_u32 v37, v27, v33
	v_mul_hi_u32 v39, v28, v34
	v_mul_lo_u32 v34, v28, v34
	v_mul_hi_u32 v40, v28, v33
	v_mul_lo_u32 v33, v28, v33
	v_add_co_u32 v35, vcc_lo, v35, v36
	v_add_co_ci_u32_e32 v36, vcc_lo, 0, v37, vcc_lo
	s_delay_alu instid0(VALU_DEP_2) | instskip(NEXT) | instid1(VALU_DEP_2)
	v_add_co_u32 v34, vcc_lo, v35, v34
	v_add_co_ci_u32_e32 v34, vcc_lo, v36, v39, vcc_lo
	v_add_co_ci_u32_e32 v35, vcc_lo, 0, v40, vcc_lo
	v_add_co_u32 v31, vcc_lo, v31, v38
	v_add_co_ci_u32_e32 v32, vcc_lo, v32, v38, vcc_lo
	s_delay_alu instid0(VALU_DEP_4) | instskip(NEXT) | instid1(VALU_DEP_4)
	v_add_co_u32 v33, vcc_lo, v34, v33
	v_add_co_ci_u32_e32 v34, vcc_lo, 0, v35, vcc_lo
	s_delay_alu instid0(VALU_DEP_4) | instskip(NEXT) | instid1(VALU_DEP_3)
	v_xor_b32_e32 v35, v31, v38
	v_add_co_u32 v33, vcc_lo, v27, v33
	s_delay_alu instid0(VALU_DEP_3) | instskip(SKIP_1) | instid1(VALU_DEP_3)
	v_add_co_ci_u32_e32 v36, vcc_lo, v28, v34, vcc_lo
	v_xor_b32_e32 v37, v32, v38
	v_mul_hi_u32 v39, v35, v33
	s_delay_alu instid0(VALU_DEP_3) | instskip(NEXT) | instid1(VALU_DEP_3)
	v_mad_u64_u32 v[27:28], null, v35, v36, 0
	v_mad_u64_u32 v[31:32], null, v37, v33, 0
	;; [unrolled: 1-line block ×3, first 2 shown]
	s_delay_alu instid0(VALU_DEP_3) | instskip(NEXT) | instid1(VALU_DEP_4)
	v_add_co_u32 v27, vcc_lo, v39, v27
	v_add_co_ci_u32_e32 v28, vcc_lo, 0, v28, vcc_lo
	s_delay_alu instid0(VALU_DEP_2) | instskip(NEXT) | instid1(VALU_DEP_2)
	v_add_co_u32 v27, vcc_lo, v27, v31
	v_add_co_ci_u32_e32 v27, vcc_lo, v28, v32, vcc_lo
	v_add_co_ci_u32_e32 v28, vcc_lo, 0, v34, vcc_lo
	s_delay_alu instid0(VALU_DEP_2) | instskip(NEXT) | instid1(VALU_DEP_2)
	v_add_co_u32 v31, vcc_lo, v27, v33
	v_add_co_ci_u32_e32 v32, vcc_lo, 0, v28, vcc_lo
	s_delay_alu instid0(VALU_DEP_2) | instskip(SKIP_1) | instid1(VALU_DEP_3)
	v_mul_lo_u32 v33, s7, v31
	v_mad_u64_u32 v[27:28], null, s6, v31, 0
	v_mul_lo_u32 v34, s6, v32
	s_delay_alu instid0(VALU_DEP_2) | instskip(NEXT) | instid1(VALU_DEP_2)
	v_sub_co_u32 v27, vcc_lo, v35, v27
	v_add3_u32 v28, v28, v34, v33
	s_delay_alu instid0(VALU_DEP_1) | instskip(NEXT) | instid1(VALU_DEP_1)
	v_sub_nc_u32_e32 v33, v37, v28
	v_subrev_co_ci_u32_e64 v33, s2, s7, v33, vcc_lo
	v_add_co_u32 v34, s2, v31, 2
	s_delay_alu instid0(VALU_DEP_1) | instskip(SKIP_3) | instid1(VALU_DEP_3)
	v_add_co_ci_u32_e64 v35, s2, 0, v32, s2
	v_sub_co_u32 v36, s2, v27, s6
	v_sub_co_ci_u32_e32 v28, vcc_lo, v37, v28, vcc_lo
	v_subrev_co_ci_u32_e64 v33, s2, 0, v33, s2
	v_cmp_le_u32_e32 vcc_lo, s6, v36
	s_delay_alu instid0(VALU_DEP_3) | instskip(SKIP_1) | instid1(VALU_DEP_4)
	v_cmp_eq_u32_e64 s2, s7, v28
	v_cndmask_b32_e64 v36, 0, -1, vcc_lo
	v_cmp_le_u32_e32 vcc_lo, s7, v33
	v_cndmask_b32_e64 v37, 0, -1, vcc_lo
	v_cmp_le_u32_e32 vcc_lo, s6, v27
	v_cndmask_b32_e64 v27, 0, -1, vcc_lo
	v_cmp_le_u32_e32 vcc_lo, s7, v28
	v_cndmask_b32_e64 v39, 0, -1, vcc_lo
	v_cmp_eq_u32_e32 vcc_lo, s7, v33
	s_delay_alu instid0(VALU_DEP_2) | instskip(SKIP_3) | instid1(VALU_DEP_3)
	v_cndmask_b32_e64 v27, v39, v27, s2
	v_cndmask_b32_e32 v33, v37, v36, vcc_lo
	v_add_co_u32 v36, vcc_lo, v31, 1
	v_add_co_ci_u32_e32 v37, vcc_lo, 0, v32, vcc_lo
	v_cmp_ne_u32_e32 vcc_lo, 0, v33
	s_delay_alu instid0(VALU_DEP_2) | instskip(SKIP_2) | instid1(VALU_DEP_3)
	v_dual_cndmask_b32 v28, v37, v35 :: v_dual_cndmask_b32 v33, v36, v34
	v_cmp_ne_u32_e32 vcc_lo, 0, v27
	v_xor_b32_e32 v34, s4, v38
	v_dual_cndmask_b32 v27, v32, v28 :: v_dual_cndmask_b32 v28, v31, v33
	s_delay_alu instid0(VALU_DEP_1) | instskip(NEXT) | instid1(VALU_DEP_2)
	v_xor_b32_e32 v31, v27, v34
	v_xor_b32_e32 v28, v28, v34
	s_delay_alu instid0(VALU_DEP_1) | instskip(NEXT) | instid1(VALU_DEP_3)
	v_sub_co_u32 v27, vcc_lo, v28, v34
	v_sub_co_ci_u32_e32 v28, vcc_lo, v31, v34, vcc_lo
                                        ; implicit-def: $vgpr31
.LBB1139_55:
	s_and_not1_saveexec_b32 s2, s3
	s_cbranch_execz .LBB1139_57
; %bb.56:
	v_cvt_f32_u32_e32 v27, s38
	s_sub_i32 s3, 0, s38
	s_delay_alu instid0(VALU_DEP_1) | instskip(SKIP_2) | instid1(VALU_DEP_1)
	v_rcp_iflag_f32_e32 v27, v27
	s_waitcnt_depctr 0xfff
	v_mul_f32_e32 v27, 0x4f7ffffe, v27
	v_cvt_u32_f32_e32 v27, v27
	s_delay_alu instid0(VALU_DEP_1) | instskip(NEXT) | instid1(VALU_DEP_1)
	v_mul_lo_u32 v28, s3, v27
	v_mul_hi_u32 v28, v27, v28
	s_delay_alu instid0(VALU_DEP_1) | instskip(NEXT) | instid1(VALU_DEP_1)
	v_add_nc_u32_e32 v27, v27, v28
	v_mul_hi_u32 v27, v31, v27
	s_delay_alu instid0(VALU_DEP_1) | instskip(NEXT) | instid1(VALU_DEP_1)
	v_mul_lo_u32 v28, v27, s38
	v_sub_nc_u32_e32 v28, v31, v28
	v_add_nc_u32_e32 v31, 1, v27
	s_delay_alu instid0(VALU_DEP_2) | instskip(SKIP_1) | instid1(VALU_DEP_2)
	v_subrev_nc_u32_e32 v32, s38, v28
	v_cmp_le_u32_e32 vcc_lo, s38, v28
	v_dual_cndmask_b32 v28, v28, v32 :: v_dual_cndmask_b32 v27, v27, v31
	s_delay_alu instid0(VALU_DEP_1) | instskip(NEXT) | instid1(VALU_DEP_2)
	v_cmp_le_u32_e32 vcc_lo, s38, v28
	v_dual_mov_b32 v28, 0 :: v_dual_add_nc_u32 v31, 1, v27
	s_delay_alu instid0(VALU_DEP_1)
	v_cndmask_b32_e32 v27, v27, v31, vcc_lo
.LBB1139_57:
	s_or_b32 exec_lo, exec_lo, s2
	v_add_co_u32 v31, vcc_lo, 0xe00, v29
	v_add_co_ci_u32_e32 v32, vcc_lo, 0, v30, vcc_lo
	v_mov_b32_e32 v29, 0
	s_delay_alu instid0(VALU_DEP_2) | instskip(NEXT) | instid1(VALU_DEP_1)
	v_or_b32_e32 v30, s39, v32
	v_cmp_ne_u64_e32 vcc_lo, 0, v[29:30]
                                        ; implicit-def: $vgpr29_vgpr30
	s_and_saveexec_b32 s2, vcc_lo
	s_delay_alu instid0(SALU_CYCLE_1)
	s_xor_b32 s3, exec_lo, s2
	s_cbranch_execz .LBB1139_59
; %bb.58:
	s_ashr_i32 s4, s39, 31
	s_delay_alu instid0(SALU_CYCLE_1) | instskip(SKIP_2) | instid1(SALU_CYCLE_1)
	s_add_u32 s6, s38, s4
	s_mov_b32 s5, s4
	s_addc_u32 s7, s39, s4
	s_xor_b64 s[6:7], s[6:7], s[4:5]
	s_delay_alu instid0(SALU_CYCLE_1) | instskip(SKIP_3) | instid1(VALU_DEP_1)
	v_cvt_f32_u32_e32 v29, s6
	v_cvt_f32_u32_e32 v30, s7
	s_sub_u32 s2, 0, s6
	s_subb_u32 s5, 0, s7
	v_fmamk_f32 v29, v30, 0x4f800000, v29
	s_delay_alu instid0(VALU_DEP_1) | instskip(SKIP_2) | instid1(VALU_DEP_1)
	v_rcp_f32_e32 v29, v29
	s_waitcnt_depctr 0xfff
	v_mul_f32_e32 v29, 0x5f7ffffc, v29
	v_mul_f32_e32 v30, 0x2f800000, v29
	s_delay_alu instid0(VALU_DEP_1) | instskip(NEXT) | instid1(VALU_DEP_1)
	v_trunc_f32_e32 v30, v30
	v_fmamk_f32 v29, v30, 0xcf800000, v29
	v_cvt_u32_f32_e32 v30, v30
	s_delay_alu instid0(VALU_DEP_2) | instskip(NEXT) | instid1(VALU_DEP_2)
	v_cvt_u32_f32_e32 v29, v29
	v_mul_lo_u32 v33, s2, v30
	s_delay_alu instid0(VALU_DEP_2) | instskip(SKIP_1) | instid1(VALU_DEP_2)
	v_mul_hi_u32 v34, s2, v29
	v_mul_lo_u32 v35, s5, v29
	v_add_nc_u32_e32 v33, v34, v33
	v_mul_lo_u32 v34, s2, v29
	s_delay_alu instid0(VALU_DEP_2) | instskip(NEXT) | instid1(VALU_DEP_2)
	v_add_nc_u32_e32 v33, v33, v35
	v_mul_hi_u32 v35, v29, v34
	s_delay_alu instid0(VALU_DEP_2)
	v_mul_lo_u32 v36, v29, v33
	v_mul_hi_u32 v37, v29, v33
	v_mul_hi_u32 v38, v30, v34
	v_mul_lo_u32 v34, v30, v34
	v_mul_hi_u32 v39, v30, v33
	v_mul_lo_u32 v33, v30, v33
	v_add_co_u32 v35, vcc_lo, v35, v36
	v_add_co_ci_u32_e32 v36, vcc_lo, 0, v37, vcc_lo
	s_delay_alu instid0(VALU_DEP_2) | instskip(NEXT) | instid1(VALU_DEP_2)
	v_add_co_u32 v34, vcc_lo, v35, v34
	v_add_co_ci_u32_e32 v34, vcc_lo, v36, v38, vcc_lo
	v_add_co_ci_u32_e32 v35, vcc_lo, 0, v39, vcc_lo
	v_ashrrev_i32_e32 v38, 31, v32
	s_delay_alu instid0(VALU_DEP_3) | instskip(NEXT) | instid1(VALU_DEP_3)
	v_add_co_u32 v33, vcc_lo, v34, v33
	v_add_co_ci_u32_e32 v34, vcc_lo, 0, v35, vcc_lo
	s_delay_alu instid0(VALU_DEP_2) | instskip(NEXT) | instid1(VALU_DEP_2)
	v_add_co_u32 v29, vcc_lo, v29, v33
	v_add_co_ci_u32_e32 v30, vcc_lo, v30, v34, vcc_lo
	s_delay_alu instid0(VALU_DEP_2) | instskip(SKIP_1) | instid1(VALU_DEP_3)
	v_mul_hi_u32 v33, s2, v29
	v_mul_lo_u32 v35, s5, v29
	v_mul_lo_u32 v34, s2, v30
	s_delay_alu instid0(VALU_DEP_1) | instskip(SKIP_1) | instid1(VALU_DEP_2)
	v_add_nc_u32_e32 v33, v33, v34
	v_mul_lo_u32 v34, s2, v29
	v_add_nc_u32_e32 v33, v33, v35
	s_delay_alu instid0(VALU_DEP_2) | instskip(NEXT) | instid1(VALU_DEP_2)
	v_mul_hi_u32 v35, v29, v34
	v_mul_lo_u32 v36, v29, v33
	v_mul_hi_u32 v37, v29, v33
	v_mul_hi_u32 v39, v30, v34
	v_mul_lo_u32 v34, v30, v34
	v_mul_hi_u32 v40, v30, v33
	v_mul_lo_u32 v33, v30, v33
	v_add_co_u32 v35, vcc_lo, v35, v36
	v_add_co_ci_u32_e32 v36, vcc_lo, 0, v37, vcc_lo
	s_delay_alu instid0(VALU_DEP_2) | instskip(NEXT) | instid1(VALU_DEP_2)
	v_add_co_u32 v34, vcc_lo, v35, v34
	v_add_co_ci_u32_e32 v34, vcc_lo, v36, v39, vcc_lo
	v_add_co_ci_u32_e32 v35, vcc_lo, 0, v40, vcc_lo
	v_add_co_u32 v31, vcc_lo, v31, v38
	v_add_co_ci_u32_e32 v32, vcc_lo, v32, v38, vcc_lo
	s_delay_alu instid0(VALU_DEP_4) | instskip(NEXT) | instid1(VALU_DEP_4)
	v_add_co_u32 v33, vcc_lo, v34, v33
	v_add_co_ci_u32_e32 v34, vcc_lo, 0, v35, vcc_lo
	s_delay_alu instid0(VALU_DEP_4) | instskip(NEXT) | instid1(VALU_DEP_3)
	v_xor_b32_e32 v35, v31, v38
	v_add_co_u32 v33, vcc_lo, v29, v33
	s_delay_alu instid0(VALU_DEP_3) | instskip(SKIP_1) | instid1(VALU_DEP_3)
	v_add_co_ci_u32_e32 v36, vcc_lo, v30, v34, vcc_lo
	v_xor_b32_e32 v37, v32, v38
	v_mul_hi_u32 v39, v35, v33
	s_delay_alu instid0(VALU_DEP_3) | instskip(NEXT) | instid1(VALU_DEP_3)
	v_mad_u64_u32 v[29:30], null, v35, v36, 0
	v_mad_u64_u32 v[31:32], null, v37, v33, 0
	;; [unrolled: 1-line block ×3, first 2 shown]
	s_delay_alu instid0(VALU_DEP_3) | instskip(NEXT) | instid1(VALU_DEP_4)
	v_add_co_u32 v29, vcc_lo, v39, v29
	v_add_co_ci_u32_e32 v30, vcc_lo, 0, v30, vcc_lo
	s_delay_alu instid0(VALU_DEP_2) | instskip(NEXT) | instid1(VALU_DEP_2)
	v_add_co_u32 v29, vcc_lo, v29, v31
	v_add_co_ci_u32_e32 v29, vcc_lo, v30, v32, vcc_lo
	v_add_co_ci_u32_e32 v30, vcc_lo, 0, v34, vcc_lo
	s_delay_alu instid0(VALU_DEP_2) | instskip(NEXT) | instid1(VALU_DEP_2)
	v_add_co_u32 v31, vcc_lo, v29, v33
	v_add_co_ci_u32_e32 v32, vcc_lo, 0, v30, vcc_lo
	s_delay_alu instid0(VALU_DEP_2) | instskip(SKIP_1) | instid1(VALU_DEP_3)
	v_mul_lo_u32 v33, s7, v31
	v_mad_u64_u32 v[29:30], null, s6, v31, 0
	v_mul_lo_u32 v34, s6, v32
	s_delay_alu instid0(VALU_DEP_2) | instskip(NEXT) | instid1(VALU_DEP_2)
	v_sub_co_u32 v29, vcc_lo, v35, v29
	v_add3_u32 v30, v30, v34, v33
	s_delay_alu instid0(VALU_DEP_1) | instskip(NEXT) | instid1(VALU_DEP_1)
	v_sub_nc_u32_e32 v33, v37, v30
	v_subrev_co_ci_u32_e64 v33, s2, s7, v33, vcc_lo
	v_add_co_u32 v34, s2, v31, 2
	s_delay_alu instid0(VALU_DEP_1) | instskip(SKIP_3) | instid1(VALU_DEP_3)
	v_add_co_ci_u32_e64 v35, s2, 0, v32, s2
	v_sub_co_u32 v36, s2, v29, s6
	v_sub_co_ci_u32_e32 v30, vcc_lo, v37, v30, vcc_lo
	v_subrev_co_ci_u32_e64 v33, s2, 0, v33, s2
	v_cmp_le_u32_e32 vcc_lo, s6, v36
	s_delay_alu instid0(VALU_DEP_3) | instskip(SKIP_1) | instid1(VALU_DEP_4)
	v_cmp_eq_u32_e64 s2, s7, v30
	v_cndmask_b32_e64 v36, 0, -1, vcc_lo
	v_cmp_le_u32_e32 vcc_lo, s7, v33
	v_cndmask_b32_e64 v37, 0, -1, vcc_lo
	v_cmp_le_u32_e32 vcc_lo, s6, v29
	;; [unrolled: 2-line block ×3, first 2 shown]
	v_cndmask_b32_e64 v39, 0, -1, vcc_lo
	v_cmp_eq_u32_e32 vcc_lo, s7, v33
	s_delay_alu instid0(VALU_DEP_2) | instskip(SKIP_3) | instid1(VALU_DEP_3)
	v_cndmask_b32_e64 v29, v39, v29, s2
	v_cndmask_b32_e32 v33, v37, v36, vcc_lo
	v_add_co_u32 v36, vcc_lo, v31, 1
	v_add_co_ci_u32_e32 v37, vcc_lo, 0, v32, vcc_lo
	v_cmp_ne_u32_e32 vcc_lo, 0, v33
	s_delay_alu instid0(VALU_DEP_2) | instskip(SKIP_2) | instid1(VALU_DEP_3)
	v_dual_cndmask_b32 v30, v37, v35 :: v_dual_cndmask_b32 v33, v36, v34
	v_cmp_ne_u32_e32 vcc_lo, 0, v29
	v_xor_b32_e32 v34, s4, v38
	v_dual_cndmask_b32 v29, v32, v30 :: v_dual_cndmask_b32 v30, v31, v33
	s_delay_alu instid0(VALU_DEP_1) | instskip(NEXT) | instid1(VALU_DEP_2)
	v_xor_b32_e32 v31, v29, v34
	v_xor_b32_e32 v30, v30, v34
	s_delay_alu instid0(VALU_DEP_1) | instskip(NEXT) | instid1(VALU_DEP_3)
	v_sub_co_u32 v29, vcc_lo, v30, v34
	v_sub_co_ci_u32_e32 v30, vcc_lo, v31, v34, vcc_lo
                                        ; implicit-def: $vgpr31
.LBB1139_59:
	s_and_not1_saveexec_b32 s2, s3
	s_cbranch_execz .LBB1139_61
; %bb.60:
	v_cvt_f32_u32_e32 v29, s38
	s_sub_i32 s3, 0, s38
	s_delay_alu instid0(VALU_DEP_1) | instskip(SKIP_2) | instid1(VALU_DEP_1)
	v_rcp_iflag_f32_e32 v29, v29
	s_waitcnt_depctr 0xfff
	v_mul_f32_e32 v29, 0x4f7ffffe, v29
	v_cvt_u32_f32_e32 v29, v29
	s_delay_alu instid0(VALU_DEP_1) | instskip(NEXT) | instid1(VALU_DEP_1)
	v_mul_lo_u32 v30, s3, v29
	v_mul_hi_u32 v30, v29, v30
	s_delay_alu instid0(VALU_DEP_1) | instskip(NEXT) | instid1(VALU_DEP_1)
	v_add_nc_u32_e32 v29, v29, v30
	v_mul_hi_u32 v29, v31, v29
	s_delay_alu instid0(VALU_DEP_1) | instskip(NEXT) | instid1(VALU_DEP_1)
	v_mul_lo_u32 v30, v29, s38
	v_sub_nc_u32_e32 v30, v31, v30
	v_add_nc_u32_e32 v31, 1, v29
	s_delay_alu instid0(VALU_DEP_2) | instskip(SKIP_1) | instid1(VALU_DEP_2)
	v_subrev_nc_u32_e32 v32, s38, v30
	v_cmp_le_u32_e32 vcc_lo, s38, v30
	v_dual_cndmask_b32 v30, v30, v32 :: v_dual_cndmask_b32 v29, v29, v31
	s_delay_alu instid0(VALU_DEP_1) | instskip(NEXT) | instid1(VALU_DEP_2)
	v_cmp_le_u32_e32 vcc_lo, s38, v30
	v_dual_mov_b32 v30, 0 :: v_dual_add_nc_u32 v31, 1, v29
	s_delay_alu instid0(VALU_DEP_1)
	v_cndmask_b32_e32 v29, v29, v31, vcc_lo
.LBB1139_61:
	s_or_b32 exec_lo, exec_lo, s2
	v_lshlrev_b32_e32 v62, 3, v0
	v_add_co_u32 v63, s2, s30, v0
	s_delay_alu instid0(VALU_DEP_1)
	v_add_co_ci_u32_e64 v64, null, s31, 0, s2
	ds_store_2addr_stride64_b64 v62, v[1:2], v[3:4] offset1:4
	ds_store_2addr_stride64_b64 v62, v[5:6], v[7:8] offset0:8 offset1:12
	ds_store_2addr_stride64_b64 v62, v[9:10], v[11:12] offset0:16 offset1:20
	;; [unrolled: 1-line block ×6, first 2 shown]
	ds_store_b64 v62, v[29:30] offset:28672
	v_mov_b32_e32 v29, 0
	v_mad_u32_u24 v61, 0x70, v0, v62
	s_waitcnt lgkmcnt(0)
	s_barrier
	buffer_gl0_inv
	ds_load_2addr_b64 v[25:28], v61 offset1:1
	ds_load_2addr_b64 v[21:24], v61 offset0:2 offset1:3
	ds_load_2addr_b64 v[17:20], v61 offset0:4 offset1:5
	;; [unrolled: 1-line block ×6, first 2 shown]
	ds_load_b64 v[57:58], v61 offset:112
	v_or_b32_e32 v30, s45, v64
	s_waitcnt lgkmcnt(0)
	s_barrier
	buffer_gl0_inv
	v_cmp_ne_u64_e32 vcc_lo, 0, v[29:30]
                                        ; implicit-def: $vgpr29_vgpr30
	s_and_saveexec_b32 s2, vcc_lo
	s_delay_alu instid0(SALU_CYCLE_1)
	s_xor_b32 s3, exec_lo, s2
	s_cbranch_execz .LBB1139_63
; %bb.62:
	s_ashr_i32 s4, s45, 31
	s_delay_alu instid0(SALU_CYCLE_1) | instskip(SKIP_2) | instid1(SALU_CYCLE_1)
	s_add_u32 s6, s44, s4
	s_mov_b32 s5, s4
	s_addc_u32 s7, s45, s4
	s_xor_b64 s[6:7], s[6:7], s[4:5]
	s_delay_alu instid0(SALU_CYCLE_1) | instskip(SKIP_3) | instid1(VALU_DEP_1)
	v_cvt_f32_u32_e32 v29, s6
	v_cvt_f32_u32_e32 v30, s7
	s_sub_u32 s2, 0, s6
	s_subb_u32 s5, 0, s7
	v_fmamk_f32 v29, v30, 0x4f800000, v29
	s_delay_alu instid0(VALU_DEP_1) | instskip(SKIP_2) | instid1(VALU_DEP_1)
	v_rcp_f32_e32 v29, v29
	s_waitcnt_depctr 0xfff
	v_mul_f32_e32 v29, 0x5f7ffffc, v29
	v_mul_f32_e32 v30, 0x2f800000, v29
	s_delay_alu instid0(VALU_DEP_1) | instskip(NEXT) | instid1(VALU_DEP_1)
	v_trunc_f32_e32 v30, v30
	v_fmamk_f32 v29, v30, 0xcf800000, v29
	v_cvt_u32_f32_e32 v30, v30
	s_delay_alu instid0(VALU_DEP_2) | instskip(NEXT) | instid1(VALU_DEP_2)
	v_cvt_u32_f32_e32 v29, v29
	v_mul_lo_u32 v31, s2, v30
	s_delay_alu instid0(VALU_DEP_2) | instskip(SKIP_1) | instid1(VALU_DEP_2)
	v_mul_hi_u32 v32, s2, v29
	v_mul_lo_u32 v33, s5, v29
	v_add_nc_u32_e32 v31, v32, v31
	v_mul_lo_u32 v32, s2, v29
	s_delay_alu instid0(VALU_DEP_2) | instskip(NEXT) | instid1(VALU_DEP_2)
	v_add_nc_u32_e32 v31, v31, v33
	v_mul_hi_u32 v33, v29, v32
	s_delay_alu instid0(VALU_DEP_2)
	v_mul_lo_u32 v34, v29, v31
	v_mul_hi_u32 v35, v29, v31
	v_mul_hi_u32 v36, v30, v32
	v_mul_lo_u32 v32, v30, v32
	v_mul_hi_u32 v37, v30, v31
	v_mul_lo_u32 v31, v30, v31
	v_add_co_u32 v33, vcc_lo, v33, v34
	v_add_co_ci_u32_e32 v34, vcc_lo, 0, v35, vcc_lo
	s_delay_alu instid0(VALU_DEP_2) | instskip(NEXT) | instid1(VALU_DEP_2)
	v_add_co_u32 v32, vcc_lo, v33, v32
	v_add_co_ci_u32_e32 v32, vcc_lo, v34, v36, vcc_lo
	v_add_co_ci_u32_e32 v33, vcc_lo, 0, v37, vcc_lo
	v_ashrrev_i32_e32 v36, 31, v64
	s_delay_alu instid0(VALU_DEP_3) | instskip(NEXT) | instid1(VALU_DEP_3)
	v_add_co_u32 v31, vcc_lo, v32, v31
	v_add_co_ci_u32_e32 v32, vcc_lo, 0, v33, vcc_lo
	s_delay_alu instid0(VALU_DEP_2) | instskip(NEXT) | instid1(VALU_DEP_2)
	v_add_co_u32 v29, vcc_lo, v29, v31
	v_add_co_ci_u32_e32 v30, vcc_lo, v30, v32, vcc_lo
	s_delay_alu instid0(VALU_DEP_2) | instskip(SKIP_1) | instid1(VALU_DEP_3)
	v_mul_hi_u32 v31, s2, v29
	v_mul_lo_u32 v33, s5, v29
	v_mul_lo_u32 v32, s2, v30
	s_delay_alu instid0(VALU_DEP_1) | instskip(SKIP_1) | instid1(VALU_DEP_2)
	v_add_nc_u32_e32 v31, v31, v32
	v_mul_lo_u32 v32, s2, v29
	v_add_nc_u32_e32 v31, v31, v33
	s_delay_alu instid0(VALU_DEP_2) | instskip(NEXT) | instid1(VALU_DEP_2)
	v_mul_hi_u32 v33, v29, v32
	v_mul_lo_u32 v34, v29, v31
	v_mul_hi_u32 v35, v29, v31
	v_mul_hi_u32 v37, v30, v32
	v_mul_lo_u32 v32, v30, v32
	v_mul_hi_u32 v38, v30, v31
	v_mul_lo_u32 v31, v30, v31
	v_add_co_u32 v33, vcc_lo, v33, v34
	v_add_co_ci_u32_e32 v34, vcc_lo, 0, v35, vcc_lo
	s_delay_alu instid0(VALU_DEP_2) | instskip(NEXT) | instid1(VALU_DEP_2)
	v_add_co_u32 v32, vcc_lo, v33, v32
	v_add_co_ci_u32_e32 v32, vcc_lo, v34, v37, vcc_lo
	v_add_co_ci_u32_e32 v33, vcc_lo, 0, v38, vcc_lo
	v_add_co_u32 v34, vcc_lo, v63, v36
	v_add_co_ci_u32_e32 v35, vcc_lo, v64, v36, vcc_lo
	s_delay_alu instid0(VALU_DEP_4) | instskip(NEXT) | instid1(VALU_DEP_4)
	v_add_co_u32 v31, vcc_lo, v32, v31
	v_add_co_ci_u32_e32 v32, vcc_lo, 0, v33, vcc_lo
	s_delay_alu instid0(VALU_DEP_4) | instskip(NEXT) | instid1(VALU_DEP_3)
	v_xor_b32_e32 v37, v34, v36
	v_add_co_u32 v33, vcc_lo, v29, v31
	s_delay_alu instid0(VALU_DEP_3) | instskip(SKIP_1) | instid1(VALU_DEP_3)
	v_add_co_ci_u32_e32 v38, vcc_lo, v30, v32, vcc_lo
	v_xor_b32_e32 v35, v35, v36
	v_mul_hi_u32 v39, v37, v33
	s_delay_alu instid0(VALU_DEP_3) | instskip(NEXT) | instid1(VALU_DEP_3)
	v_mad_u64_u32 v[29:30], null, v37, v38, 0
	v_mad_u64_u32 v[31:32], null, v35, v33, 0
	;; [unrolled: 1-line block ×3, first 2 shown]
	s_delay_alu instid0(VALU_DEP_3) | instskip(NEXT) | instid1(VALU_DEP_4)
	v_add_co_u32 v29, vcc_lo, v39, v29
	v_add_co_ci_u32_e32 v30, vcc_lo, 0, v30, vcc_lo
	s_delay_alu instid0(VALU_DEP_2) | instskip(NEXT) | instid1(VALU_DEP_2)
	v_add_co_u32 v29, vcc_lo, v29, v31
	v_add_co_ci_u32_e32 v29, vcc_lo, v30, v32, vcc_lo
	v_add_co_ci_u32_e32 v30, vcc_lo, 0, v34, vcc_lo
	s_delay_alu instid0(VALU_DEP_2) | instskip(NEXT) | instid1(VALU_DEP_2)
	v_add_co_u32 v31, vcc_lo, v29, v33
	v_add_co_ci_u32_e32 v32, vcc_lo, 0, v30, vcc_lo
	s_delay_alu instid0(VALU_DEP_2) | instskip(SKIP_1) | instid1(VALU_DEP_3)
	v_mul_lo_u32 v33, s7, v31
	v_mad_u64_u32 v[29:30], null, s6, v31, 0
	v_mul_lo_u32 v34, s6, v32
	s_delay_alu instid0(VALU_DEP_2) | instskip(NEXT) | instid1(VALU_DEP_2)
	v_sub_co_u32 v29, vcc_lo, v37, v29
	v_add3_u32 v30, v30, v34, v33
	s_delay_alu instid0(VALU_DEP_1) | instskip(NEXT) | instid1(VALU_DEP_1)
	v_sub_nc_u32_e32 v33, v35, v30
	v_subrev_co_ci_u32_e64 v33, s2, s7, v33, vcc_lo
	v_add_co_u32 v34, s2, v31, 2
	s_delay_alu instid0(VALU_DEP_1) | instskip(SKIP_3) | instid1(VALU_DEP_3)
	v_add_co_ci_u32_e64 v37, s2, 0, v32, s2
	v_sub_co_u32 v38, s2, v29, s6
	v_sub_co_ci_u32_e32 v30, vcc_lo, v35, v30, vcc_lo
	v_subrev_co_ci_u32_e64 v33, s2, 0, v33, s2
	v_cmp_le_u32_e32 vcc_lo, s6, v38
	s_delay_alu instid0(VALU_DEP_3) | instskip(SKIP_1) | instid1(VALU_DEP_4)
	v_cmp_eq_u32_e64 s2, s7, v30
	v_cndmask_b32_e64 v35, 0, -1, vcc_lo
	v_cmp_le_u32_e32 vcc_lo, s7, v33
	v_cndmask_b32_e64 v38, 0, -1, vcc_lo
	v_cmp_le_u32_e32 vcc_lo, s6, v29
	;; [unrolled: 2-line block ×3, first 2 shown]
	v_cndmask_b32_e64 v39, 0, -1, vcc_lo
	v_cmp_eq_u32_e32 vcc_lo, s7, v33
	s_delay_alu instid0(VALU_DEP_2) | instskip(SKIP_3) | instid1(VALU_DEP_3)
	v_cndmask_b32_e64 v29, v39, v29, s2
	v_cndmask_b32_e32 v33, v38, v35, vcc_lo
	v_add_co_u32 v35, vcc_lo, v31, 1
	v_add_co_ci_u32_e32 v38, vcc_lo, 0, v32, vcc_lo
	v_cmp_ne_u32_e32 vcc_lo, 0, v33
	s_delay_alu instid0(VALU_DEP_2) | instskip(SKIP_2) | instid1(VALU_DEP_3)
	v_dual_cndmask_b32 v30, v38, v37 :: v_dual_cndmask_b32 v33, v35, v34
	v_cmp_ne_u32_e32 vcc_lo, 0, v29
	v_xor_b32_e32 v34, s4, v36
	v_dual_cndmask_b32 v29, v32, v30 :: v_dual_cndmask_b32 v30, v31, v33
	s_delay_alu instid0(VALU_DEP_1) | instskip(NEXT) | instid1(VALU_DEP_2)
	v_xor_b32_e32 v31, v29, v34
	v_xor_b32_e32 v30, v30, v34
	s_delay_alu instid0(VALU_DEP_1) | instskip(NEXT) | instid1(VALU_DEP_3)
	v_sub_co_u32 v29, vcc_lo, v30, v34
	v_sub_co_ci_u32_e32 v30, vcc_lo, v31, v34, vcc_lo
.LBB1139_63:
	s_or_saveexec_b32 s2, s3
	v_cvt_f32_u32_e32 v69, s44
	s_xor_b32 exec_lo, exec_lo, s2
	s_cbranch_execz .LBB1139_65
; %bb.64:
	s_delay_alu instid0(VALU_DEP_1) | instskip(SKIP_3) | instid1(VALU_DEP_1)
	v_rcp_iflag_f32_e32 v29, v69
	s_sub_i32 s3, 0, s44
	s_waitcnt_depctr 0xfff
	v_mul_f32_e32 v29, 0x4f7ffffe, v29
	v_cvt_u32_f32_e32 v29, v29
	s_delay_alu instid0(VALU_DEP_1) | instskip(NEXT) | instid1(VALU_DEP_1)
	v_mul_lo_u32 v30, s3, v29
	v_mul_hi_u32 v30, v29, v30
	s_delay_alu instid0(VALU_DEP_1) | instskip(NEXT) | instid1(VALU_DEP_1)
	v_add_nc_u32_e32 v29, v29, v30
	v_mul_hi_u32 v29, v63, v29
	s_delay_alu instid0(VALU_DEP_1) | instskip(SKIP_1) | instid1(VALU_DEP_2)
	v_mul_lo_u32 v30, v29, s44
	v_add_nc_u32_e32 v31, 1, v29
	v_sub_nc_u32_e32 v30, v63, v30
	s_delay_alu instid0(VALU_DEP_1) | instskip(SKIP_1) | instid1(VALU_DEP_2)
	v_subrev_nc_u32_e32 v32, s44, v30
	v_cmp_le_u32_e32 vcc_lo, s44, v30
	v_dual_cndmask_b32 v30, v30, v32 :: v_dual_cndmask_b32 v29, v29, v31
	s_delay_alu instid0(VALU_DEP_1) | instskip(NEXT) | instid1(VALU_DEP_2)
	v_cmp_le_u32_e32 vcc_lo, s44, v30
	v_dual_mov_b32 v30, 0 :: v_dual_add_nc_u32 v31, 1, v29
	s_delay_alu instid0(VALU_DEP_1)
	v_cndmask_b32_e32 v29, v29, v31, vcc_lo
.LBB1139_65:
	s_or_b32 exec_lo, exec_lo, s2
	v_add_co_u32 v65, vcc_lo, 0x100, v63
	v_add_co_ci_u32_e32 v66, vcc_lo, 0, v64, vcc_lo
	v_mov_b32_e32 v31, 0
	s_delay_alu instid0(VALU_DEP_2) | instskip(NEXT) | instid1(VALU_DEP_1)
	v_or_b32_e32 v32, s45, v66
	v_cmp_ne_u64_e32 vcc_lo, 0, v[31:32]
                                        ; implicit-def: $vgpr31_vgpr32
	s_and_saveexec_b32 s2, vcc_lo
	s_delay_alu instid0(SALU_CYCLE_1)
	s_xor_b32 s3, exec_lo, s2
	s_cbranch_execz .LBB1139_67
; %bb.66:
	s_ashr_i32 s4, s45, 31
	s_delay_alu instid0(SALU_CYCLE_1) | instskip(SKIP_2) | instid1(SALU_CYCLE_1)
	s_add_u32 s6, s44, s4
	s_mov_b32 s5, s4
	s_addc_u32 s7, s45, s4
	s_xor_b64 s[6:7], s[6:7], s[4:5]
	s_delay_alu instid0(SALU_CYCLE_1) | instskip(SKIP_3) | instid1(VALU_DEP_1)
	v_cvt_f32_u32_e32 v31, s6
	v_cvt_f32_u32_e32 v32, s7
	s_sub_u32 s2, 0, s6
	s_subb_u32 s5, 0, s7
	v_fmamk_f32 v31, v32, 0x4f800000, v31
	s_delay_alu instid0(VALU_DEP_1) | instskip(SKIP_2) | instid1(VALU_DEP_1)
	v_rcp_f32_e32 v31, v31
	s_waitcnt_depctr 0xfff
	v_mul_f32_e32 v31, 0x5f7ffffc, v31
	v_mul_f32_e32 v32, 0x2f800000, v31
	s_delay_alu instid0(VALU_DEP_1) | instskip(NEXT) | instid1(VALU_DEP_1)
	v_trunc_f32_e32 v32, v32
	v_fmamk_f32 v31, v32, 0xcf800000, v31
	v_cvt_u32_f32_e32 v32, v32
	s_delay_alu instid0(VALU_DEP_2) | instskip(NEXT) | instid1(VALU_DEP_2)
	v_cvt_u32_f32_e32 v31, v31
	v_mul_lo_u32 v33, s2, v32
	s_delay_alu instid0(VALU_DEP_2) | instskip(SKIP_1) | instid1(VALU_DEP_2)
	v_mul_hi_u32 v34, s2, v31
	v_mul_lo_u32 v35, s5, v31
	v_add_nc_u32_e32 v33, v34, v33
	v_mul_lo_u32 v34, s2, v31
	s_delay_alu instid0(VALU_DEP_2) | instskip(NEXT) | instid1(VALU_DEP_2)
	v_add_nc_u32_e32 v33, v33, v35
	v_mul_hi_u32 v35, v31, v34
	s_delay_alu instid0(VALU_DEP_2)
	v_mul_lo_u32 v36, v31, v33
	v_mul_hi_u32 v37, v31, v33
	v_mul_hi_u32 v38, v32, v34
	v_mul_lo_u32 v34, v32, v34
	v_mul_hi_u32 v39, v32, v33
	v_mul_lo_u32 v33, v32, v33
	v_add_co_u32 v35, vcc_lo, v35, v36
	v_add_co_ci_u32_e32 v36, vcc_lo, 0, v37, vcc_lo
	s_delay_alu instid0(VALU_DEP_2) | instskip(NEXT) | instid1(VALU_DEP_2)
	v_add_co_u32 v34, vcc_lo, v35, v34
	v_add_co_ci_u32_e32 v34, vcc_lo, v36, v38, vcc_lo
	v_add_co_ci_u32_e32 v35, vcc_lo, 0, v39, vcc_lo
	v_ashrrev_i32_e32 v38, 31, v66
	s_delay_alu instid0(VALU_DEP_3) | instskip(NEXT) | instid1(VALU_DEP_3)
	v_add_co_u32 v33, vcc_lo, v34, v33
	v_add_co_ci_u32_e32 v34, vcc_lo, 0, v35, vcc_lo
	s_delay_alu instid0(VALU_DEP_2) | instskip(NEXT) | instid1(VALU_DEP_2)
	v_add_co_u32 v31, vcc_lo, v31, v33
	v_add_co_ci_u32_e32 v32, vcc_lo, v32, v34, vcc_lo
	s_delay_alu instid0(VALU_DEP_2) | instskip(SKIP_1) | instid1(VALU_DEP_3)
	v_mul_hi_u32 v33, s2, v31
	v_mul_lo_u32 v35, s5, v31
	v_mul_lo_u32 v34, s2, v32
	s_delay_alu instid0(VALU_DEP_1) | instskip(SKIP_1) | instid1(VALU_DEP_2)
	v_add_nc_u32_e32 v33, v33, v34
	v_mul_lo_u32 v34, s2, v31
	v_add_nc_u32_e32 v33, v33, v35
	s_delay_alu instid0(VALU_DEP_2) | instskip(NEXT) | instid1(VALU_DEP_2)
	v_mul_hi_u32 v35, v31, v34
	v_mul_lo_u32 v36, v31, v33
	v_mul_hi_u32 v37, v31, v33
	v_mul_hi_u32 v39, v32, v34
	v_mul_lo_u32 v34, v32, v34
	v_mul_hi_u32 v40, v32, v33
	v_mul_lo_u32 v33, v32, v33
	v_add_co_u32 v35, vcc_lo, v35, v36
	v_add_co_ci_u32_e32 v36, vcc_lo, 0, v37, vcc_lo
	s_delay_alu instid0(VALU_DEP_2) | instskip(NEXT) | instid1(VALU_DEP_2)
	v_add_co_u32 v34, vcc_lo, v35, v34
	v_add_co_ci_u32_e32 v34, vcc_lo, v36, v39, vcc_lo
	v_add_co_ci_u32_e32 v35, vcc_lo, 0, v40, vcc_lo
	v_add_co_u32 v36, vcc_lo, v65, v38
	v_add_co_ci_u32_e32 v37, vcc_lo, v66, v38, vcc_lo
	s_delay_alu instid0(VALU_DEP_4) | instskip(NEXT) | instid1(VALU_DEP_4)
	v_add_co_u32 v33, vcc_lo, v34, v33
	v_add_co_ci_u32_e32 v34, vcc_lo, 0, v35, vcc_lo
	s_delay_alu instid0(VALU_DEP_4) | instskip(NEXT) | instid1(VALU_DEP_3)
	v_xor_b32_e32 v39, v36, v38
	v_add_co_u32 v35, vcc_lo, v31, v33
	s_delay_alu instid0(VALU_DEP_3) | instskip(SKIP_1) | instid1(VALU_DEP_3)
	v_add_co_ci_u32_e32 v40, vcc_lo, v32, v34, vcc_lo
	v_xor_b32_e32 v37, v37, v38
	v_mul_hi_u32 v41, v39, v35
	s_delay_alu instid0(VALU_DEP_3) | instskip(NEXT) | instid1(VALU_DEP_3)
	v_mad_u64_u32 v[31:32], null, v39, v40, 0
	v_mad_u64_u32 v[33:34], null, v37, v35, 0
	;; [unrolled: 1-line block ×3, first 2 shown]
	s_delay_alu instid0(VALU_DEP_3) | instskip(NEXT) | instid1(VALU_DEP_4)
	v_add_co_u32 v31, vcc_lo, v41, v31
	v_add_co_ci_u32_e32 v32, vcc_lo, 0, v32, vcc_lo
	s_delay_alu instid0(VALU_DEP_2) | instskip(NEXT) | instid1(VALU_DEP_2)
	v_add_co_u32 v31, vcc_lo, v31, v33
	v_add_co_ci_u32_e32 v31, vcc_lo, v32, v34, vcc_lo
	v_add_co_ci_u32_e32 v32, vcc_lo, 0, v36, vcc_lo
	s_delay_alu instid0(VALU_DEP_2) | instskip(NEXT) | instid1(VALU_DEP_2)
	v_add_co_u32 v33, vcc_lo, v31, v35
	v_add_co_ci_u32_e32 v34, vcc_lo, 0, v32, vcc_lo
	s_delay_alu instid0(VALU_DEP_2) | instskip(SKIP_1) | instid1(VALU_DEP_3)
	v_mul_lo_u32 v35, s7, v33
	v_mad_u64_u32 v[31:32], null, s6, v33, 0
	v_mul_lo_u32 v36, s6, v34
	s_delay_alu instid0(VALU_DEP_2) | instskip(NEXT) | instid1(VALU_DEP_2)
	v_sub_co_u32 v31, vcc_lo, v39, v31
	v_add3_u32 v32, v32, v36, v35
	s_delay_alu instid0(VALU_DEP_1) | instskip(NEXT) | instid1(VALU_DEP_1)
	v_sub_nc_u32_e32 v35, v37, v32
	v_subrev_co_ci_u32_e64 v35, s2, s7, v35, vcc_lo
	v_add_co_u32 v36, s2, v33, 2
	s_delay_alu instid0(VALU_DEP_1) | instskip(SKIP_3) | instid1(VALU_DEP_3)
	v_add_co_ci_u32_e64 v39, s2, 0, v34, s2
	v_sub_co_u32 v40, s2, v31, s6
	v_sub_co_ci_u32_e32 v32, vcc_lo, v37, v32, vcc_lo
	v_subrev_co_ci_u32_e64 v35, s2, 0, v35, s2
	v_cmp_le_u32_e32 vcc_lo, s6, v40
	s_delay_alu instid0(VALU_DEP_3) | instskip(SKIP_1) | instid1(VALU_DEP_4)
	v_cmp_eq_u32_e64 s2, s7, v32
	v_cndmask_b32_e64 v37, 0, -1, vcc_lo
	v_cmp_le_u32_e32 vcc_lo, s7, v35
	v_cndmask_b32_e64 v40, 0, -1, vcc_lo
	v_cmp_le_u32_e32 vcc_lo, s6, v31
	;; [unrolled: 2-line block ×3, first 2 shown]
	v_cndmask_b32_e64 v41, 0, -1, vcc_lo
	v_cmp_eq_u32_e32 vcc_lo, s7, v35
	s_delay_alu instid0(VALU_DEP_2) | instskip(SKIP_3) | instid1(VALU_DEP_3)
	v_cndmask_b32_e64 v31, v41, v31, s2
	v_cndmask_b32_e32 v35, v40, v37, vcc_lo
	v_add_co_u32 v37, vcc_lo, v33, 1
	v_add_co_ci_u32_e32 v40, vcc_lo, 0, v34, vcc_lo
	v_cmp_ne_u32_e32 vcc_lo, 0, v35
	s_delay_alu instid0(VALU_DEP_2) | instskip(SKIP_2) | instid1(VALU_DEP_3)
	v_dual_cndmask_b32 v32, v40, v39 :: v_dual_cndmask_b32 v35, v37, v36
	v_cmp_ne_u32_e32 vcc_lo, 0, v31
	v_xor_b32_e32 v36, s4, v38
	v_dual_cndmask_b32 v31, v34, v32 :: v_dual_cndmask_b32 v32, v33, v35
	s_delay_alu instid0(VALU_DEP_1) | instskip(NEXT) | instid1(VALU_DEP_2)
	v_xor_b32_e32 v33, v31, v36
	v_xor_b32_e32 v32, v32, v36
	s_delay_alu instid0(VALU_DEP_1) | instskip(NEXT) | instid1(VALU_DEP_3)
	v_sub_co_u32 v31, vcc_lo, v32, v36
	v_sub_co_ci_u32_e32 v32, vcc_lo, v33, v36, vcc_lo
.LBB1139_67:
	s_and_not1_saveexec_b32 s2, s3
	s_cbranch_execz .LBB1139_69
; %bb.68:
	v_rcp_iflag_f32_e32 v31, v69
	s_sub_i32 s3, 0, s44
	s_waitcnt_depctr 0xfff
	v_mul_f32_e32 v31, 0x4f7ffffe, v31
	s_delay_alu instid0(VALU_DEP_1) | instskip(NEXT) | instid1(VALU_DEP_1)
	v_cvt_u32_f32_e32 v31, v31
	v_mul_lo_u32 v32, s3, v31
	s_delay_alu instid0(VALU_DEP_1) | instskip(NEXT) | instid1(VALU_DEP_1)
	v_mul_hi_u32 v32, v31, v32
	v_add_nc_u32_e32 v31, v31, v32
	s_delay_alu instid0(VALU_DEP_1) | instskip(NEXT) | instid1(VALU_DEP_1)
	v_mul_hi_u32 v31, v65, v31
	v_mul_lo_u32 v32, v31, s44
	v_add_nc_u32_e32 v33, 1, v31
	s_delay_alu instid0(VALU_DEP_2) | instskip(NEXT) | instid1(VALU_DEP_1)
	v_sub_nc_u32_e32 v32, v65, v32
	v_subrev_nc_u32_e32 v34, s44, v32
	v_cmp_le_u32_e32 vcc_lo, s44, v32
	s_delay_alu instid0(VALU_DEP_2) | instskip(NEXT) | instid1(VALU_DEP_1)
	v_dual_cndmask_b32 v32, v32, v34 :: v_dual_cndmask_b32 v31, v31, v33
	v_cmp_le_u32_e32 vcc_lo, s44, v32
	s_delay_alu instid0(VALU_DEP_2) | instskip(NEXT) | instid1(VALU_DEP_1)
	v_dual_mov_b32 v32, 0 :: v_dual_add_nc_u32 v33, 1, v31
	v_cndmask_b32_e32 v31, v31, v33, vcc_lo
.LBB1139_69:
	s_or_b32 exec_lo, exec_lo, s2
	v_add_co_u32 v67, vcc_lo, 0x200, v63
	v_add_co_ci_u32_e32 v68, vcc_lo, 0, v64, vcc_lo
	v_mov_b32_e32 v33, 0
	s_delay_alu instid0(VALU_DEP_2) | instskip(NEXT) | instid1(VALU_DEP_1)
	v_or_b32_e32 v34, s45, v68
	v_cmp_ne_u64_e32 vcc_lo, 0, v[33:34]
                                        ; implicit-def: $vgpr33_vgpr34
	s_and_saveexec_b32 s2, vcc_lo
	s_delay_alu instid0(SALU_CYCLE_1)
	s_xor_b32 s3, exec_lo, s2
	s_cbranch_execz .LBB1139_71
; %bb.70:
	s_ashr_i32 s4, s45, 31
	s_delay_alu instid0(SALU_CYCLE_1) | instskip(SKIP_2) | instid1(SALU_CYCLE_1)
	s_add_u32 s6, s44, s4
	s_mov_b32 s5, s4
	s_addc_u32 s7, s45, s4
	s_xor_b64 s[6:7], s[6:7], s[4:5]
	s_delay_alu instid0(SALU_CYCLE_1) | instskip(SKIP_3) | instid1(VALU_DEP_1)
	v_cvt_f32_u32_e32 v33, s6
	v_cvt_f32_u32_e32 v34, s7
	s_sub_u32 s2, 0, s6
	s_subb_u32 s5, 0, s7
	v_fmamk_f32 v33, v34, 0x4f800000, v33
	s_delay_alu instid0(VALU_DEP_1) | instskip(SKIP_2) | instid1(VALU_DEP_1)
	v_rcp_f32_e32 v33, v33
	s_waitcnt_depctr 0xfff
	v_mul_f32_e32 v33, 0x5f7ffffc, v33
	v_mul_f32_e32 v34, 0x2f800000, v33
	s_delay_alu instid0(VALU_DEP_1) | instskip(NEXT) | instid1(VALU_DEP_1)
	v_trunc_f32_e32 v34, v34
	v_fmamk_f32 v33, v34, 0xcf800000, v33
	v_cvt_u32_f32_e32 v34, v34
	s_delay_alu instid0(VALU_DEP_2) | instskip(NEXT) | instid1(VALU_DEP_2)
	v_cvt_u32_f32_e32 v33, v33
	v_mul_lo_u32 v35, s2, v34
	s_delay_alu instid0(VALU_DEP_2) | instskip(SKIP_1) | instid1(VALU_DEP_2)
	v_mul_hi_u32 v36, s2, v33
	v_mul_lo_u32 v37, s5, v33
	v_add_nc_u32_e32 v35, v36, v35
	v_mul_lo_u32 v36, s2, v33
	s_delay_alu instid0(VALU_DEP_2) | instskip(NEXT) | instid1(VALU_DEP_2)
	v_add_nc_u32_e32 v35, v35, v37
	v_mul_hi_u32 v37, v33, v36
	s_delay_alu instid0(VALU_DEP_2)
	v_mul_lo_u32 v38, v33, v35
	v_mul_hi_u32 v39, v33, v35
	v_mul_hi_u32 v40, v34, v36
	v_mul_lo_u32 v36, v34, v36
	v_mul_hi_u32 v41, v34, v35
	v_mul_lo_u32 v35, v34, v35
	v_add_co_u32 v37, vcc_lo, v37, v38
	v_add_co_ci_u32_e32 v38, vcc_lo, 0, v39, vcc_lo
	s_delay_alu instid0(VALU_DEP_2) | instskip(NEXT) | instid1(VALU_DEP_2)
	v_add_co_u32 v36, vcc_lo, v37, v36
	v_add_co_ci_u32_e32 v36, vcc_lo, v38, v40, vcc_lo
	v_add_co_ci_u32_e32 v37, vcc_lo, 0, v41, vcc_lo
	v_ashrrev_i32_e32 v40, 31, v68
	s_delay_alu instid0(VALU_DEP_3) | instskip(NEXT) | instid1(VALU_DEP_3)
	v_add_co_u32 v35, vcc_lo, v36, v35
	v_add_co_ci_u32_e32 v36, vcc_lo, 0, v37, vcc_lo
	s_delay_alu instid0(VALU_DEP_2) | instskip(NEXT) | instid1(VALU_DEP_2)
	v_add_co_u32 v33, vcc_lo, v33, v35
	v_add_co_ci_u32_e32 v34, vcc_lo, v34, v36, vcc_lo
	s_delay_alu instid0(VALU_DEP_2) | instskip(SKIP_1) | instid1(VALU_DEP_3)
	v_mul_hi_u32 v35, s2, v33
	v_mul_lo_u32 v37, s5, v33
	v_mul_lo_u32 v36, s2, v34
	s_delay_alu instid0(VALU_DEP_1) | instskip(SKIP_1) | instid1(VALU_DEP_2)
	v_add_nc_u32_e32 v35, v35, v36
	v_mul_lo_u32 v36, s2, v33
	v_add_nc_u32_e32 v35, v35, v37
	s_delay_alu instid0(VALU_DEP_2) | instskip(NEXT) | instid1(VALU_DEP_2)
	v_mul_hi_u32 v37, v33, v36
	v_mul_lo_u32 v38, v33, v35
	v_mul_hi_u32 v39, v33, v35
	v_mul_hi_u32 v41, v34, v36
	v_mul_lo_u32 v36, v34, v36
	v_mul_hi_u32 v42, v34, v35
	v_mul_lo_u32 v35, v34, v35
	v_add_co_u32 v37, vcc_lo, v37, v38
	v_add_co_ci_u32_e32 v38, vcc_lo, 0, v39, vcc_lo
	s_delay_alu instid0(VALU_DEP_2) | instskip(NEXT) | instid1(VALU_DEP_2)
	v_add_co_u32 v36, vcc_lo, v37, v36
	v_add_co_ci_u32_e32 v36, vcc_lo, v38, v41, vcc_lo
	v_add_co_ci_u32_e32 v37, vcc_lo, 0, v42, vcc_lo
	v_add_co_u32 v38, vcc_lo, v67, v40
	v_add_co_ci_u32_e32 v39, vcc_lo, v68, v40, vcc_lo
	s_delay_alu instid0(VALU_DEP_4) | instskip(NEXT) | instid1(VALU_DEP_4)
	v_add_co_u32 v35, vcc_lo, v36, v35
	v_add_co_ci_u32_e32 v36, vcc_lo, 0, v37, vcc_lo
	s_delay_alu instid0(VALU_DEP_4) | instskip(NEXT) | instid1(VALU_DEP_3)
	v_xor_b32_e32 v41, v38, v40
	v_add_co_u32 v37, vcc_lo, v33, v35
	s_delay_alu instid0(VALU_DEP_3) | instskip(SKIP_1) | instid1(VALU_DEP_3)
	v_add_co_ci_u32_e32 v42, vcc_lo, v34, v36, vcc_lo
	v_xor_b32_e32 v39, v39, v40
	v_mul_hi_u32 v43, v41, v37
	s_delay_alu instid0(VALU_DEP_3) | instskip(NEXT) | instid1(VALU_DEP_3)
	v_mad_u64_u32 v[33:34], null, v41, v42, 0
	v_mad_u64_u32 v[35:36], null, v39, v37, 0
	;; [unrolled: 1-line block ×3, first 2 shown]
	s_delay_alu instid0(VALU_DEP_3) | instskip(NEXT) | instid1(VALU_DEP_4)
	v_add_co_u32 v33, vcc_lo, v43, v33
	v_add_co_ci_u32_e32 v34, vcc_lo, 0, v34, vcc_lo
	s_delay_alu instid0(VALU_DEP_2) | instskip(NEXT) | instid1(VALU_DEP_2)
	v_add_co_u32 v33, vcc_lo, v33, v35
	v_add_co_ci_u32_e32 v33, vcc_lo, v34, v36, vcc_lo
	v_add_co_ci_u32_e32 v34, vcc_lo, 0, v38, vcc_lo
	s_delay_alu instid0(VALU_DEP_2) | instskip(NEXT) | instid1(VALU_DEP_2)
	v_add_co_u32 v35, vcc_lo, v33, v37
	v_add_co_ci_u32_e32 v36, vcc_lo, 0, v34, vcc_lo
	s_delay_alu instid0(VALU_DEP_2) | instskip(SKIP_1) | instid1(VALU_DEP_3)
	v_mul_lo_u32 v37, s7, v35
	v_mad_u64_u32 v[33:34], null, s6, v35, 0
	v_mul_lo_u32 v38, s6, v36
	s_delay_alu instid0(VALU_DEP_2) | instskip(NEXT) | instid1(VALU_DEP_2)
	v_sub_co_u32 v33, vcc_lo, v41, v33
	v_add3_u32 v34, v34, v38, v37
	s_delay_alu instid0(VALU_DEP_1) | instskip(NEXT) | instid1(VALU_DEP_1)
	v_sub_nc_u32_e32 v37, v39, v34
	v_subrev_co_ci_u32_e64 v37, s2, s7, v37, vcc_lo
	v_add_co_u32 v38, s2, v35, 2
	s_delay_alu instid0(VALU_DEP_1) | instskip(SKIP_3) | instid1(VALU_DEP_3)
	v_add_co_ci_u32_e64 v41, s2, 0, v36, s2
	v_sub_co_u32 v42, s2, v33, s6
	v_sub_co_ci_u32_e32 v34, vcc_lo, v39, v34, vcc_lo
	v_subrev_co_ci_u32_e64 v37, s2, 0, v37, s2
	v_cmp_le_u32_e32 vcc_lo, s6, v42
	s_delay_alu instid0(VALU_DEP_3) | instskip(SKIP_1) | instid1(VALU_DEP_4)
	v_cmp_eq_u32_e64 s2, s7, v34
	v_cndmask_b32_e64 v39, 0, -1, vcc_lo
	v_cmp_le_u32_e32 vcc_lo, s7, v37
	v_cndmask_b32_e64 v42, 0, -1, vcc_lo
	v_cmp_le_u32_e32 vcc_lo, s6, v33
	;; [unrolled: 2-line block ×3, first 2 shown]
	v_cndmask_b32_e64 v43, 0, -1, vcc_lo
	v_cmp_eq_u32_e32 vcc_lo, s7, v37
	s_delay_alu instid0(VALU_DEP_2) | instskip(SKIP_3) | instid1(VALU_DEP_3)
	v_cndmask_b32_e64 v33, v43, v33, s2
	v_cndmask_b32_e32 v37, v42, v39, vcc_lo
	v_add_co_u32 v39, vcc_lo, v35, 1
	v_add_co_ci_u32_e32 v42, vcc_lo, 0, v36, vcc_lo
	v_cmp_ne_u32_e32 vcc_lo, 0, v37
	s_delay_alu instid0(VALU_DEP_2) | instskip(SKIP_2) | instid1(VALU_DEP_3)
	v_dual_cndmask_b32 v34, v42, v41 :: v_dual_cndmask_b32 v37, v39, v38
	v_cmp_ne_u32_e32 vcc_lo, 0, v33
	v_xor_b32_e32 v38, s4, v40
	v_dual_cndmask_b32 v33, v36, v34 :: v_dual_cndmask_b32 v34, v35, v37
	s_delay_alu instid0(VALU_DEP_1) | instskip(NEXT) | instid1(VALU_DEP_2)
	v_xor_b32_e32 v35, v33, v38
	v_xor_b32_e32 v34, v34, v38
	s_delay_alu instid0(VALU_DEP_1) | instskip(NEXT) | instid1(VALU_DEP_3)
	v_sub_co_u32 v33, vcc_lo, v34, v38
	v_sub_co_ci_u32_e32 v34, vcc_lo, v35, v38, vcc_lo
.LBB1139_71:
	s_and_not1_saveexec_b32 s2, s3
	s_cbranch_execz .LBB1139_73
; %bb.72:
	v_rcp_iflag_f32_e32 v33, v69
	s_sub_i32 s3, 0, s44
	s_waitcnt_depctr 0xfff
	v_mul_f32_e32 v33, 0x4f7ffffe, v33
	s_delay_alu instid0(VALU_DEP_1) | instskip(NEXT) | instid1(VALU_DEP_1)
	v_cvt_u32_f32_e32 v33, v33
	v_mul_lo_u32 v34, s3, v33
	s_delay_alu instid0(VALU_DEP_1) | instskip(NEXT) | instid1(VALU_DEP_1)
	v_mul_hi_u32 v34, v33, v34
	v_add_nc_u32_e32 v33, v33, v34
	s_delay_alu instid0(VALU_DEP_1) | instskip(NEXT) | instid1(VALU_DEP_1)
	v_mul_hi_u32 v33, v67, v33
	v_mul_lo_u32 v34, v33, s44
	v_add_nc_u32_e32 v35, 1, v33
	s_delay_alu instid0(VALU_DEP_2) | instskip(NEXT) | instid1(VALU_DEP_1)
	v_sub_nc_u32_e32 v34, v67, v34
	v_subrev_nc_u32_e32 v36, s44, v34
	v_cmp_le_u32_e32 vcc_lo, s44, v34
	s_delay_alu instid0(VALU_DEP_2) | instskip(NEXT) | instid1(VALU_DEP_1)
	v_dual_cndmask_b32 v34, v34, v36 :: v_dual_cndmask_b32 v33, v33, v35
	v_cmp_le_u32_e32 vcc_lo, s44, v34
	s_delay_alu instid0(VALU_DEP_2) | instskip(NEXT) | instid1(VALU_DEP_1)
	v_dual_mov_b32 v34, 0 :: v_dual_add_nc_u32 v35, 1, v33
	v_cndmask_b32_e32 v33, v33, v35, vcc_lo
.LBB1139_73:
	s_or_b32 exec_lo, exec_lo, s2
	v_add_co_u32 v70, vcc_lo, 0x300, v63
	v_add_co_ci_u32_e32 v71, vcc_lo, 0, v64, vcc_lo
	v_mov_b32_e32 v35, 0
	s_delay_alu instid0(VALU_DEP_2) | instskip(NEXT) | instid1(VALU_DEP_1)
	v_or_b32_e32 v36, s45, v71
	v_cmp_ne_u64_e32 vcc_lo, 0, v[35:36]
                                        ; implicit-def: $vgpr35_vgpr36
	s_and_saveexec_b32 s2, vcc_lo
	s_delay_alu instid0(SALU_CYCLE_1)
	s_xor_b32 s3, exec_lo, s2
	s_cbranch_execz .LBB1139_75
; %bb.74:
	s_ashr_i32 s4, s45, 31
	s_delay_alu instid0(SALU_CYCLE_1) | instskip(SKIP_2) | instid1(SALU_CYCLE_1)
	s_add_u32 s6, s44, s4
	s_mov_b32 s5, s4
	s_addc_u32 s7, s45, s4
	s_xor_b64 s[6:7], s[6:7], s[4:5]
	s_delay_alu instid0(SALU_CYCLE_1) | instskip(SKIP_3) | instid1(VALU_DEP_1)
	v_cvt_f32_u32_e32 v35, s6
	v_cvt_f32_u32_e32 v36, s7
	s_sub_u32 s2, 0, s6
	s_subb_u32 s5, 0, s7
	v_fmamk_f32 v35, v36, 0x4f800000, v35
	s_delay_alu instid0(VALU_DEP_1) | instskip(SKIP_2) | instid1(VALU_DEP_1)
	v_rcp_f32_e32 v35, v35
	s_waitcnt_depctr 0xfff
	v_mul_f32_e32 v35, 0x5f7ffffc, v35
	v_mul_f32_e32 v36, 0x2f800000, v35
	s_delay_alu instid0(VALU_DEP_1) | instskip(NEXT) | instid1(VALU_DEP_1)
	v_trunc_f32_e32 v36, v36
	v_fmamk_f32 v35, v36, 0xcf800000, v35
	v_cvt_u32_f32_e32 v36, v36
	s_delay_alu instid0(VALU_DEP_2) | instskip(NEXT) | instid1(VALU_DEP_2)
	v_cvt_u32_f32_e32 v35, v35
	v_mul_lo_u32 v37, s2, v36
	s_delay_alu instid0(VALU_DEP_2) | instskip(SKIP_1) | instid1(VALU_DEP_2)
	v_mul_hi_u32 v38, s2, v35
	v_mul_lo_u32 v39, s5, v35
	v_add_nc_u32_e32 v37, v38, v37
	v_mul_lo_u32 v38, s2, v35
	s_delay_alu instid0(VALU_DEP_2) | instskip(NEXT) | instid1(VALU_DEP_2)
	v_add_nc_u32_e32 v37, v37, v39
	v_mul_hi_u32 v39, v35, v38
	s_delay_alu instid0(VALU_DEP_2)
	v_mul_lo_u32 v40, v35, v37
	v_mul_hi_u32 v41, v35, v37
	v_mul_hi_u32 v42, v36, v38
	v_mul_lo_u32 v38, v36, v38
	v_mul_hi_u32 v43, v36, v37
	v_mul_lo_u32 v37, v36, v37
	v_add_co_u32 v39, vcc_lo, v39, v40
	v_add_co_ci_u32_e32 v40, vcc_lo, 0, v41, vcc_lo
	s_delay_alu instid0(VALU_DEP_2) | instskip(NEXT) | instid1(VALU_DEP_2)
	v_add_co_u32 v38, vcc_lo, v39, v38
	v_add_co_ci_u32_e32 v38, vcc_lo, v40, v42, vcc_lo
	v_add_co_ci_u32_e32 v39, vcc_lo, 0, v43, vcc_lo
	v_ashrrev_i32_e32 v42, 31, v71
	s_delay_alu instid0(VALU_DEP_3) | instskip(NEXT) | instid1(VALU_DEP_3)
	v_add_co_u32 v37, vcc_lo, v38, v37
	v_add_co_ci_u32_e32 v38, vcc_lo, 0, v39, vcc_lo
	s_delay_alu instid0(VALU_DEP_2) | instskip(NEXT) | instid1(VALU_DEP_2)
	v_add_co_u32 v35, vcc_lo, v35, v37
	v_add_co_ci_u32_e32 v36, vcc_lo, v36, v38, vcc_lo
	s_delay_alu instid0(VALU_DEP_2) | instskip(SKIP_1) | instid1(VALU_DEP_3)
	v_mul_hi_u32 v37, s2, v35
	v_mul_lo_u32 v39, s5, v35
	v_mul_lo_u32 v38, s2, v36
	s_delay_alu instid0(VALU_DEP_1) | instskip(SKIP_1) | instid1(VALU_DEP_2)
	v_add_nc_u32_e32 v37, v37, v38
	v_mul_lo_u32 v38, s2, v35
	v_add_nc_u32_e32 v37, v37, v39
	s_delay_alu instid0(VALU_DEP_2) | instskip(NEXT) | instid1(VALU_DEP_2)
	v_mul_hi_u32 v39, v35, v38
	v_mul_lo_u32 v40, v35, v37
	v_mul_hi_u32 v41, v35, v37
	v_mul_hi_u32 v43, v36, v38
	v_mul_lo_u32 v38, v36, v38
	v_mul_hi_u32 v44, v36, v37
	v_mul_lo_u32 v37, v36, v37
	v_add_co_u32 v39, vcc_lo, v39, v40
	v_add_co_ci_u32_e32 v40, vcc_lo, 0, v41, vcc_lo
	s_delay_alu instid0(VALU_DEP_2) | instskip(NEXT) | instid1(VALU_DEP_2)
	v_add_co_u32 v38, vcc_lo, v39, v38
	v_add_co_ci_u32_e32 v38, vcc_lo, v40, v43, vcc_lo
	v_add_co_ci_u32_e32 v39, vcc_lo, 0, v44, vcc_lo
	v_add_co_u32 v40, vcc_lo, v70, v42
	v_add_co_ci_u32_e32 v41, vcc_lo, v71, v42, vcc_lo
	s_delay_alu instid0(VALU_DEP_4) | instskip(NEXT) | instid1(VALU_DEP_4)
	v_add_co_u32 v37, vcc_lo, v38, v37
	v_add_co_ci_u32_e32 v38, vcc_lo, 0, v39, vcc_lo
	s_delay_alu instid0(VALU_DEP_4) | instskip(NEXT) | instid1(VALU_DEP_3)
	v_xor_b32_e32 v43, v40, v42
	v_add_co_u32 v39, vcc_lo, v35, v37
	s_delay_alu instid0(VALU_DEP_3) | instskip(SKIP_1) | instid1(VALU_DEP_3)
	v_add_co_ci_u32_e32 v44, vcc_lo, v36, v38, vcc_lo
	v_xor_b32_e32 v41, v41, v42
	v_mul_hi_u32 v45, v43, v39
	s_delay_alu instid0(VALU_DEP_3) | instskip(NEXT) | instid1(VALU_DEP_3)
	v_mad_u64_u32 v[35:36], null, v43, v44, 0
	v_mad_u64_u32 v[37:38], null, v41, v39, 0
	;; [unrolled: 1-line block ×3, first 2 shown]
	s_delay_alu instid0(VALU_DEP_3) | instskip(NEXT) | instid1(VALU_DEP_4)
	v_add_co_u32 v35, vcc_lo, v45, v35
	v_add_co_ci_u32_e32 v36, vcc_lo, 0, v36, vcc_lo
	s_delay_alu instid0(VALU_DEP_2) | instskip(NEXT) | instid1(VALU_DEP_2)
	v_add_co_u32 v35, vcc_lo, v35, v37
	v_add_co_ci_u32_e32 v35, vcc_lo, v36, v38, vcc_lo
	v_add_co_ci_u32_e32 v36, vcc_lo, 0, v40, vcc_lo
	s_delay_alu instid0(VALU_DEP_2) | instskip(NEXT) | instid1(VALU_DEP_2)
	v_add_co_u32 v37, vcc_lo, v35, v39
	v_add_co_ci_u32_e32 v38, vcc_lo, 0, v36, vcc_lo
	s_delay_alu instid0(VALU_DEP_2) | instskip(SKIP_1) | instid1(VALU_DEP_3)
	v_mul_lo_u32 v39, s7, v37
	v_mad_u64_u32 v[35:36], null, s6, v37, 0
	v_mul_lo_u32 v40, s6, v38
	s_delay_alu instid0(VALU_DEP_2) | instskip(NEXT) | instid1(VALU_DEP_2)
	v_sub_co_u32 v35, vcc_lo, v43, v35
	v_add3_u32 v36, v36, v40, v39
	s_delay_alu instid0(VALU_DEP_1) | instskip(NEXT) | instid1(VALU_DEP_1)
	v_sub_nc_u32_e32 v39, v41, v36
	v_subrev_co_ci_u32_e64 v39, s2, s7, v39, vcc_lo
	v_add_co_u32 v40, s2, v37, 2
	s_delay_alu instid0(VALU_DEP_1) | instskip(SKIP_3) | instid1(VALU_DEP_3)
	v_add_co_ci_u32_e64 v43, s2, 0, v38, s2
	v_sub_co_u32 v44, s2, v35, s6
	v_sub_co_ci_u32_e32 v36, vcc_lo, v41, v36, vcc_lo
	v_subrev_co_ci_u32_e64 v39, s2, 0, v39, s2
	v_cmp_le_u32_e32 vcc_lo, s6, v44
	s_delay_alu instid0(VALU_DEP_3) | instskip(SKIP_1) | instid1(VALU_DEP_4)
	v_cmp_eq_u32_e64 s2, s7, v36
	v_cndmask_b32_e64 v41, 0, -1, vcc_lo
	v_cmp_le_u32_e32 vcc_lo, s7, v39
	v_cndmask_b32_e64 v44, 0, -1, vcc_lo
	v_cmp_le_u32_e32 vcc_lo, s6, v35
	;; [unrolled: 2-line block ×3, first 2 shown]
	v_cndmask_b32_e64 v45, 0, -1, vcc_lo
	v_cmp_eq_u32_e32 vcc_lo, s7, v39
	s_delay_alu instid0(VALU_DEP_2) | instskip(SKIP_3) | instid1(VALU_DEP_3)
	v_cndmask_b32_e64 v35, v45, v35, s2
	v_cndmask_b32_e32 v39, v44, v41, vcc_lo
	v_add_co_u32 v41, vcc_lo, v37, 1
	v_add_co_ci_u32_e32 v44, vcc_lo, 0, v38, vcc_lo
	v_cmp_ne_u32_e32 vcc_lo, 0, v39
	s_delay_alu instid0(VALU_DEP_2) | instskip(SKIP_2) | instid1(VALU_DEP_3)
	v_dual_cndmask_b32 v36, v44, v43 :: v_dual_cndmask_b32 v39, v41, v40
	v_cmp_ne_u32_e32 vcc_lo, 0, v35
	v_xor_b32_e32 v40, s4, v42
	v_dual_cndmask_b32 v35, v38, v36 :: v_dual_cndmask_b32 v36, v37, v39
	s_delay_alu instid0(VALU_DEP_1) | instskip(NEXT) | instid1(VALU_DEP_2)
	v_xor_b32_e32 v37, v35, v40
	v_xor_b32_e32 v36, v36, v40
	s_delay_alu instid0(VALU_DEP_1) | instskip(NEXT) | instid1(VALU_DEP_3)
	v_sub_co_u32 v35, vcc_lo, v36, v40
	v_sub_co_ci_u32_e32 v36, vcc_lo, v37, v40, vcc_lo
.LBB1139_75:
	s_and_not1_saveexec_b32 s2, s3
	s_cbranch_execz .LBB1139_77
; %bb.76:
	v_rcp_iflag_f32_e32 v35, v69
	s_sub_i32 s3, 0, s44
	s_waitcnt_depctr 0xfff
	v_mul_f32_e32 v35, 0x4f7ffffe, v35
	s_delay_alu instid0(VALU_DEP_1) | instskip(NEXT) | instid1(VALU_DEP_1)
	v_cvt_u32_f32_e32 v35, v35
	v_mul_lo_u32 v36, s3, v35
	s_delay_alu instid0(VALU_DEP_1) | instskip(NEXT) | instid1(VALU_DEP_1)
	v_mul_hi_u32 v36, v35, v36
	v_add_nc_u32_e32 v35, v35, v36
	s_delay_alu instid0(VALU_DEP_1) | instskip(NEXT) | instid1(VALU_DEP_1)
	v_mul_hi_u32 v35, v70, v35
	v_mul_lo_u32 v36, v35, s44
	v_add_nc_u32_e32 v37, 1, v35
	s_delay_alu instid0(VALU_DEP_2) | instskip(NEXT) | instid1(VALU_DEP_1)
	v_sub_nc_u32_e32 v36, v70, v36
	v_subrev_nc_u32_e32 v38, s44, v36
	v_cmp_le_u32_e32 vcc_lo, s44, v36
	s_delay_alu instid0(VALU_DEP_2) | instskip(NEXT) | instid1(VALU_DEP_1)
	v_dual_cndmask_b32 v36, v36, v38 :: v_dual_cndmask_b32 v35, v35, v37
	v_cmp_le_u32_e32 vcc_lo, s44, v36
	s_delay_alu instid0(VALU_DEP_2) | instskip(NEXT) | instid1(VALU_DEP_1)
	v_dual_mov_b32 v36, 0 :: v_dual_add_nc_u32 v37, 1, v35
	v_cndmask_b32_e32 v35, v35, v37, vcc_lo
.LBB1139_77:
	s_or_b32 exec_lo, exec_lo, s2
	v_add_co_u32 v72, vcc_lo, 0x400, v63
	v_add_co_ci_u32_e32 v73, vcc_lo, 0, v64, vcc_lo
	v_mov_b32_e32 v37, 0
	s_delay_alu instid0(VALU_DEP_2) | instskip(NEXT) | instid1(VALU_DEP_1)
	v_or_b32_e32 v38, s45, v73
	v_cmp_ne_u64_e32 vcc_lo, 0, v[37:38]
                                        ; implicit-def: $vgpr37_vgpr38
	s_and_saveexec_b32 s2, vcc_lo
	s_delay_alu instid0(SALU_CYCLE_1)
	s_xor_b32 s3, exec_lo, s2
	s_cbranch_execz .LBB1139_79
; %bb.78:
	s_ashr_i32 s4, s45, 31
	s_delay_alu instid0(SALU_CYCLE_1) | instskip(SKIP_2) | instid1(SALU_CYCLE_1)
	s_add_u32 s6, s44, s4
	s_mov_b32 s5, s4
	s_addc_u32 s7, s45, s4
	s_xor_b64 s[6:7], s[6:7], s[4:5]
	s_delay_alu instid0(SALU_CYCLE_1) | instskip(SKIP_3) | instid1(VALU_DEP_1)
	v_cvt_f32_u32_e32 v37, s6
	v_cvt_f32_u32_e32 v38, s7
	s_sub_u32 s2, 0, s6
	s_subb_u32 s5, 0, s7
	v_fmamk_f32 v37, v38, 0x4f800000, v37
	s_delay_alu instid0(VALU_DEP_1) | instskip(SKIP_2) | instid1(VALU_DEP_1)
	v_rcp_f32_e32 v37, v37
	s_waitcnt_depctr 0xfff
	v_mul_f32_e32 v37, 0x5f7ffffc, v37
	v_mul_f32_e32 v38, 0x2f800000, v37
	s_delay_alu instid0(VALU_DEP_1) | instskip(NEXT) | instid1(VALU_DEP_1)
	v_trunc_f32_e32 v38, v38
	v_fmamk_f32 v37, v38, 0xcf800000, v37
	v_cvt_u32_f32_e32 v38, v38
	s_delay_alu instid0(VALU_DEP_2) | instskip(NEXT) | instid1(VALU_DEP_2)
	v_cvt_u32_f32_e32 v37, v37
	v_mul_lo_u32 v39, s2, v38
	s_delay_alu instid0(VALU_DEP_2) | instskip(SKIP_1) | instid1(VALU_DEP_2)
	v_mul_hi_u32 v40, s2, v37
	v_mul_lo_u32 v41, s5, v37
	v_add_nc_u32_e32 v39, v40, v39
	v_mul_lo_u32 v40, s2, v37
	s_delay_alu instid0(VALU_DEP_2) | instskip(NEXT) | instid1(VALU_DEP_2)
	v_add_nc_u32_e32 v39, v39, v41
	v_mul_hi_u32 v41, v37, v40
	s_delay_alu instid0(VALU_DEP_2)
	v_mul_lo_u32 v42, v37, v39
	v_mul_hi_u32 v43, v37, v39
	v_mul_hi_u32 v44, v38, v40
	v_mul_lo_u32 v40, v38, v40
	v_mul_hi_u32 v45, v38, v39
	v_mul_lo_u32 v39, v38, v39
	v_add_co_u32 v41, vcc_lo, v41, v42
	v_add_co_ci_u32_e32 v42, vcc_lo, 0, v43, vcc_lo
	s_delay_alu instid0(VALU_DEP_2) | instskip(NEXT) | instid1(VALU_DEP_2)
	v_add_co_u32 v40, vcc_lo, v41, v40
	v_add_co_ci_u32_e32 v40, vcc_lo, v42, v44, vcc_lo
	v_add_co_ci_u32_e32 v41, vcc_lo, 0, v45, vcc_lo
	v_ashrrev_i32_e32 v44, 31, v73
	s_delay_alu instid0(VALU_DEP_3) | instskip(NEXT) | instid1(VALU_DEP_3)
	v_add_co_u32 v39, vcc_lo, v40, v39
	v_add_co_ci_u32_e32 v40, vcc_lo, 0, v41, vcc_lo
	s_delay_alu instid0(VALU_DEP_2) | instskip(NEXT) | instid1(VALU_DEP_2)
	v_add_co_u32 v37, vcc_lo, v37, v39
	v_add_co_ci_u32_e32 v38, vcc_lo, v38, v40, vcc_lo
	s_delay_alu instid0(VALU_DEP_2) | instskip(SKIP_1) | instid1(VALU_DEP_3)
	v_mul_hi_u32 v39, s2, v37
	v_mul_lo_u32 v41, s5, v37
	v_mul_lo_u32 v40, s2, v38
	s_delay_alu instid0(VALU_DEP_1) | instskip(SKIP_1) | instid1(VALU_DEP_2)
	v_add_nc_u32_e32 v39, v39, v40
	v_mul_lo_u32 v40, s2, v37
	v_add_nc_u32_e32 v39, v39, v41
	s_delay_alu instid0(VALU_DEP_2) | instskip(NEXT) | instid1(VALU_DEP_2)
	v_mul_hi_u32 v41, v37, v40
	v_mul_lo_u32 v42, v37, v39
	v_mul_hi_u32 v43, v37, v39
	v_mul_hi_u32 v45, v38, v40
	v_mul_lo_u32 v40, v38, v40
	v_mul_hi_u32 v46, v38, v39
	v_mul_lo_u32 v39, v38, v39
	v_add_co_u32 v41, vcc_lo, v41, v42
	v_add_co_ci_u32_e32 v42, vcc_lo, 0, v43, vcc_lo
	s_delay_alu instid0(VALU_DEP_2) | instskip(NEXT) | instid1(VALU_DEP_2)
	v_add_co_u32 v40, vcc_lo, v41, v40
	v_add_co_ci_u32_e32 v40, vcc_lo, v42, v45, vcc_lo
	v_add_co_ci_u32_e32 v41, vcc_lo, 0, v46, vcc_lo
	v_add_co_u32 v42, vcc_lo, v72, v44
	v_add_co_ci_u32_e32 v43, vcc_lo, v73, v44, vcc_lo
	s_delay_alu instid0(VALU_DEP_4) | instskip(NEXT) | instid1(VALU_DEP_4)
	v_add_co_u32 v39, vcc_lo, v40, v39
	v_add_co_ci_u32_e32 v40, vcc_lo, 0, v41, vcc_lo
	s_delay_alu instid0(VALU_DEP_4) | instskip(NEXT) | instid1(VALU_DEP_3)
	v_xor_b32_e32 v45, v42, v44
	v_add_co_u32 v41, vcc_lo, v37, v39
	s_delay_alu instid0(VALU_DEP_3) | instskip(SKIP_1) | instid1(VALU_DEP_3)
	v_add_co_ci_u32_e32 v46, vcc_lo, v38, v40, vcc_lo
	v_xor_b32_e32 v43, v43, v44
	v_mul_hi_u32 v47, v45, v41
	s_delay_alu instid0(VALU_DEP_3) | instskip(NEXT) | instid1(VALU_DEP_3)
	v_mad_u64_u32 v[37:38], null, v45, v46, 0
	v_mad_u64_u32 v[39:40], null, v43, v41, 0
	;; [unrolled: 1-line block ×3, first 2 shown]
	s_delay_alu instid0(VALU_DEP_3) | instskip(NEXT) | instid1(VALU_DEP_4)
	v_add_co_u32 v37, vcc_lo, v47, v37
	v_add_co_ci_u32_e32 v38, vcc_lo, 0, v38, vcc_lo
	s_delay_alu instid0(VALU_DEP_2) | instskip(NEXT) | instid1(VALU_DEP_2)
	v_add_co_u32 v37, vcc_lo, v37, v39
	v_add_co_ci_u32_e32 v37, vcc_lo, v38, v40, vcc_lo
	v_add_co_ci_u32_e32 v38, vcc_lo, 0, v42, vcc_lo
	s_delay_alu instid0(VALU_DEP_2) | instskip(NEXT) | instid1(VALU_DEP_2)
	v_add_co_u32 v39, vcc_lo, v37, v41
	v_add_co_ci_u32_e32 v40, vcc_lo, 0, v38, vcc_lo
	s_delay_alu instid0(VALU_DEP_2) | instskip(SKIP_1) | instid1(VALU_DEP_3)
	v_mul_lo_u32 v41, s7, v39
	v_mad_u64_u32 v[37:38], null, s6, v39, 0
	v_mul_lo_u32 v42, s6, v40
	s_delay_alu instid0(VALU_DEP_2) | instskip(NEXT) | instid1(VALU_DEP_2)
	v_sub_co_u32 v37, vcc_lo, v45, v37
	v_add3_u32 v38, v38, v42, v41
	s_delay_alu instid0(VALU_DEP_1) | instskip(NEXT) | instid1(VALU_DEP_1)
	v_sub_nc_u32_e32 v41, v43, v38
	v_subrev_co_ci_u32_e64 v41, s2, s7, v41, vcc_lo
	v_add_co_u32 v42, s2, v39, 2
	s_delay_alu instid0(VALU_DEP_1) | instskip(SKIP_3) | instid1(VALU_DEP_3)
	v_add_co_ci_u32_e64 v45, s2, 0, v40, s2
	v_sub_co_u32 v46, s2, v37, s6
	v_sub_co_ci_u32_e32 v38, vcc_lo, v43, v38, vcc_lo
	v_subrev_co_ci_u32_e64 v41, s2, 0, v41, s2
	v_cmp_le_u32_e32 vcc_lo, s6, v46
	s_delay_alu instid0(VALU_DEP_3) | instskip(SKIP_1) | instid1(VALU_DEP_4)
	v_cmp_eq_u32_e64 s2, s7, v38
	v_cndmask_b32_e64 v43, 0, -1, vcc_lo
	v_cmp_le_u32_e32 vcc_lo, s7, v41
	v_cndmask_b32_e64 v46, 0, -1, vcc_lo
	v_cmp_le_u32_e32 vcc_lo, s6, v37
	;; [unrolled: 2-line block ×3, first 2 shown]
	v_cndmask_b32_e64 v47, 0, -1, vcc_lo
	v_cmp_eq_u32_e32 vcc_lo, s7, v41
	s_delay_alu instid0(VALU_DEP_2) | instskip(SKIP_3) | instid1(VALU_DEP_3)
	v_cndmask_b32_e64 v37, v47, v37, s2
	v_cndmask_b32_e32 v41, v46, v43, vcc_lo
	v_add_co_u32 v43, vcc_lo, v39, 1
	v_add_co_ci_u32_e32 v46, vcc_lo, 0, v40, vcc_lo
	v_cmp_ne_u32_e32 vcc_lo, 0, v41
	s_delay_alu instid0(VALU_DEP_2) | instskip(SKIP_2) | instid1(VALU_DEP_3)
	v_dual_cndmask_b32 v38, v46, v45 :: v_dual_cndmask_b32 v41, v43, v42
	v_cmp_ne_u32_e32 vcc_lo, 0, v37
	v_xor_b32_e32 v42, s4, v44
	v_dual_cndmask_b32 v37, v40, v38 :: v_dual_cndmask_b32 v38, v39, v41
	s_delay_alu instid0(VALU_DEP_1) | instskip(NEXT) | instid1(VALU_DEP_2)
	v_xor_b32_e32 v39, v37, v42
	v_xor_b32_e32 v38, v38, v42
	s_delay_alu instid0(VALU_DEP_1) | instskip(NEXT) | instid1(VALU_DEP_3)
	v_sub_co_u32 v37, vcc_lo, v38, v42
	v_sub_co_ci_u32_e32 v38, vcc_lo, v39, v42, vcc_lo
.LBB1139_79:
	s_and_not1_saveexec_b32 s2, s3
	s_cbranch_execz .LBB1139_81
; %bb.80:
	v_rcp_iflag_f32_e32 v37, v69
	s_sub_i32 s3, 0, s44
	s_waitcnt_depctr 0xfff
	v_mul_f32_e32 v37, 0x4f7ffffe, v37
	s_delay_alu instid0(VALU_DEP_1) | instskip(NEXT) | instid1(VALU_DEP_1)
	v_cvt_u32_f32_e32 v37, v37
	v_mul_lo_u32 v38, s3, v37
	s_delay_alu instid0(VALU_DEP_1) | instskip(NEXT) | instid1(VALU_DEP_1)
	v_mul_hi_u32 v38, v37, v38
	v_add_nc_u32_e32 v37, v37, v38
	s_delay_alu instid0(VALU_DEP_1) | instskip(NEXT) | instid1(VALU_DEP_1)
	v_mul_hi_u32 v37, v72, v37
	v_mul_lo_u32 v38, v37, s44
	v_add_nc_u32_e32 v39, 1, v37
	s_delay_alu instid0(VALU_DEP_2) | instskip(NEXT) | instid1(VALU_DEP_1)
	v_sub_nc_u32_e32 v38, v72, v38
	v_subrev_nc_u32_e32 v40, s44, v38
	v_cmp_le_u32_e32 vcc_lo, s44, v38
	s_delay_alu instid0(VALU_DEP_2) | instskip(NEXT) | instid1(VALU_DEP_1)
	v_dual_cndmask_b32 v38, v38, v40 :: v_dual_cndmask_b32 v37, v37, v39
	v_cmp_le_u32_e32 vcc_lo, s44, v38
	s_delay_alu instid0(VALU_DEP_2) | instskip(NEXT) | instid1(VALU_DEP_1)
	v_dual_mov_b32 v38, 0 :: v_dual_add_nc_u32 v39, 1, v37
	v_cndmask_b32_e32 v37, v37, v39, vcc_lo
.LBB1139_81:
	s_or_b32 exec_lo, exec_lo, s2
	v_add_co_u32 v74, vcc_lo, 0x500, v63
	v_add_co_ci_u32_e32 v75, vcc_lo, 0, v64, vcc_lo
	v_mov_b32_e32 v39, 0
	s_delay_alu instid0(VALU_DEP_2) | instskip(NEXT) | instid1(VALU_DEP_1)
	v_or_b32_e32 v40, s45, v75
	v_cmp_ne_u64_e32 vcc_lo, 0, v[39:40]
                                        ; implicit-def: $vgpr39_vgpr40
	s_and_saveexec_b32 s2, vcc_lo
	s_delay_alu instid0(SALU_CYCLE_1)
	s_xor_b32 s3, exec_lo, s2
	s_cbranch_execz .LBB1139_83
; %bb.82:
	s_ashr_i32 s4, s45, 31
	s_delay_alu instid0(SALU_CYCLE_1) | instskip(SKIP_2) | instid1(SALU_CYCLE_1)
	s_add_u32 s6, s44, s4
	s_mov_b32 s5, s4
	s_addc_u32 s7, s45, s4
	s_xor_b64 s[6:7], s[6:7], s[4:5]
	s_delay_alu instid0(SALU_CYCLE_1) | instskip(SKIP_3) | instid1(VALU_DEP_1)
	v_cvt_f32_u32_e32 v39, s6
	v_cvt_f32_u32_e32 v40, s7
	s_sub_u32 s2, 0, s6
	s_subb_u32 s5, 0, s7
	v_fmamk_f32 v39, v40, 0x4f800000, v39
	s_delay_alu instid0(VALU_DEP_1) | instskip(SKIP_2) | instid1(VALU_DEP_1)
	v_rcp_f32_e32 v39, v39
	s_waitcnt_depctr 0xfff
	v_mul_f32_e32 v39, 0x5f7ffffc, v39
	v_mul_f32_e32 v40, 0x2f800000, v39
	s_delay_alu instid0(VALU_DEP_1) | instskip(NEXT) | instid1(VALU_DEP_1)
	v_trunc_f32_e32 v40, v40
	v_fmamk_f32 v39, v40, 0xcf800000, v39
	v_cvt_u32_f32_e32 v40, v40
	s_delay_alu instid0(VALU_DEP_2) | instskip(NEXT) | instid1(VALU_DEP_2)
	v_cvt_u32_f32_e32 v39, v39
	v_mul_lo_u32 v41, s2, v40
	s_delay_alu instid0(VALU_DEP_2) | instskip(SKIP_1) | instid1(VALU_DEP_2)
	v_mul_hi_u32 v42, s2, v39
	v_mul_lo_u32 v43, s5, v39
	v_add_nc_u32_e32 v41, v42, v41
	v_mul_lo_u32 v42, s2, v39
	s_delay_alu instid0(VALU_DEP_2) | instskip(NEXT) | instid1(VALU_DEP_2)
	v_add_nc_u32_e32 v41, v41, v43
	v_mul_hi_u32 v43, v39, v42
	s_delay_alu instid0(VALU_DEP_2)
	v_mul_lo_u32 v44, v39, v41
	v_mul_hi_u32 v45, v39, v41
	v_mul_hi_u32 v46, v40, v42
	v_mul_lo_u32 v42, v40, v42
	v_mul_hi_u32 v47, v40, v41
	v_mul_lo_u32 v41, v40, v41
	v_add_co_u32 v43, vcc_lo, v43, v44
	v_add_co_ci_u32_e32 v44, vcc_lo, 0, v45, vcc_lo
	s_delay_alu instid0(VALU_DEP_2) | instskip(NEXT) | instid1(VALU_DEP_2)
	v_add_co_u32 v42, vcc_lo, v43, v42
	v_add_co_ci_u32_e32 v42, vcc_lo, v44, v46, vcc_lo
	v_add_co_ci_u32_e32 v43, vcc_lo, 0, v47, vcc_lo
	v_ashrrev_i32_e32 v46, 31, v75
	s_delay_alu instid0(VALU_DEP_3) | instskip(NEXT) | instid1(VALU_DEP_3)
	v_add_co_u32 v41, vcc_lo, v42, v41
	v_add_co_ci_u32_e32 v42, vcc_lo, 0, v43, vcc_lo
	s_delay_alu instid0(VALU_DEP_2) | instskip(NEXT) | instid1(VALU_DEP_2)
	v_add_co_u32 v39, vcc_lo, v39, v41
	v_add_co_ci_u32_e32 v40, vcc_lo, v40, v42, vcc_lo
	s_delay_alu instid0(VALU_DEP_2) | instskip(SKIP_1) | instid1(VALU_DEP_3)
	v_mul_hi_u32 v41, s2, v39
	v_mul_lo_u32 v43, s5, v39
	v_mul_lo_u32 v42, s2, v40
	s_delay_alu instid0(VALU_DEP_1) | instskip(SKIP_1) | instid1(VALU_DEP_2)
	v_add_nc_u32_e32 v41, v41, v42
	v_mul_lo_u32 v42, s2, v39
	v_add_nc_u32_e32 v41, v41, v43
	s_delay_alu instid0(VALU_DEP_2) | instskip(NEXT) | instid1(VALU_DEP_2)
	v_mul_hi_u32 v43, v39, v42
	v_mul_lo_u32 v44, v39, v41
	v_mul_hi_u32 v45, v39, v41
	v_mul_hi_u32 v47, v40, v42
	v_mul_lo_u32 v42, v40, v42
	v_mul_hi_u32 v48, v40, v41
	v_mul_lo_u32 v41, v40, v41
	v_add_co_u32 v43, vcc_lo, v43, v44
	v_add_co_ci_u32_e32 v44, vcc_lo, 0, v45, vcc_lo
	s_delay_alu instid0(VALU_DEP_2) | instskip(NEXT) | instid1(VALU_DEP_2)
	v_add_co_u32 v42, vcc_lo, v43, v42
	v_add_co_ci_u32_e32 v42, vcc_lo, v44, v47, vcc_lo
	v_add_co_ci_u32_e32 v43, vcc_lo, 0, v48, vcc_lo
	v_add_co_u32 v44, vcc_lo, v74, v46
	v_add_co_ci_u32_e32 v45, vcc_lo, v75, v46, vcc_lo
	s_delay_alu instid0(VALU_DEP_4) | instskip(NEXT) | instid1(VALU_DEP_4)
	v_add_co_u32 v41, vcc_lo, v42, v41
	v_add_co_ci_u32_e32 v42, vcc_lo, 0, v43, vcc_lo
	s_delay_alu instid0(VALU_DEP_4) | instskip(NEXT) | instid1(VALU_DEP_3)
	v_xor_b32_e32 v47, v44, v46
	v_add_co_u32 v43, vcc_lo, v39, v41
	s_delay_alu instid0(VALU_DEP_3) | instskip(SKIP_1) | instid1(VALU_DEP_3)
	v_add_co_ci_u32_e32 v48, vcc_lo, v40, v42, vcc_lo
	v_xor_b32_e32 v45, v45, v46
	v_mul_hi_u32 v49, v47, v43
	s_delay_alu instid0(VALU_DEP_3) | instskip(NEXT) | instid1(VALU_DEP_3)
	v_mad_u64_u32 v[39:40], null, v47, v48, 0
	v_mad_u64_u32 v[41:42], null, v45, v43, 0
	;; [unrolled: 1-line block ×3, first 2 shown]
	s_delay_alu instid0(VALU_DEP_3) | instskip(NEXT) | instid1(VALU_DEP_4)
	v_add_co_u32 v39, vcc_lo, v49, v39
	v_add_co_ci_u32_e32 v40, vcc_lo, 0, v40, vcc_lo
	s_delay_alu instid0(VALU_DEP_2) | instskip(NEXT) | instid1(VALU_DEP_2)
	v_add_co_u32 v39, vcc_lo, v39, v41
	v_add_co_ci_u32_e32 v39, vcc_lo, v40, v42, vcc_lo
	v_add_co_ci_u32_e32 v40, vcc_lo, 0, v44, vcc_lo
	s_delay_alu instid0(VALU_DEP_2) | instskip(NEXT) | instid1(VALU_DEP_2)
	v_add_co_u32 v41, vcc_lo, v39, v43
	v_add_co_ci_u32_e32 v42, vcc_lo, 0, v40, vcc_lo
	s_delay_alu instid0(VALU_DEP_2) | instskip(SKIP_1) | instid1(VALU_DEP_3)
	v_mul_lo_u32 v43, s7, v41
	v_mad_u64_u32 v[39:40], null, s6, v41, 0
	v_mul_lo_u32 v44, s6, v42
	s_delay_alu instid0(VALU_DEP_2) | instskip(NEXT) | instid1(VALU_DEP_2)
	v_sub_co_u32 v39, vcc_lo, v47, v39
	v_add3_u32 v40, v40, v44, v43
	s_delay_alu instid0(VALU_DEP_1) | instskip(NEXT) | instid1(VALU_DEP_1)
	v_sub_nc_u32_e32 v43, v45, v40
	v_subrev_co_ci_u32_e64 v43, s2, s7, v43, vcc_lo
	v_add_co_u32 v44, s2, v41, 2
	s_delay_alu instid0(VALU_DEP_1) | instskip(SKIP_3) | instid1(VALU_DEP_3)
	v_add_co_ci_u32_e64 v47, s2, 0, v42, s2
	v_sub_co_u32 v48, s2, v39, s6
	v_sub_co_ci_u32_e32 v40, vcc_lo, v45, v40, vcc_lo
	v_subrev_co_ci_u32_e64 v43, s2, 0, v43, s2
	v_cmp_le_u32_e32 vcc_lo, s6, v48
	s_delay_alu instid0(VALU_DEP_3) | instskip(SKIP_1) | instid1(VALU_DEP_4)
	v_cmp_eq_u32_e64 s2, s7, v40
	v_cndmask_b32_e64 v45, 0, -1, vcc_lo
	v_cmp_le_u32_e32 vcc_lo, s7, v43
	v_cndmask_b32_e64 v48, 0, -1, vcc_lo
	v_cmp_le_u32_e32 vcc_lo, s6, v39
	;; [unrolled: 2-line block ×3, first 2 shown]
	v_cndmask_b32_e64 v49, 0, -1, vcc_lo
	v_cmp_eq_u32_e32 vcc_lo, s7, v43
	s_delay_alu instid0(VALU_DEP_2) | instskip(SKIP_3) | instid1(VALU_DEP_3)
	v_cndmask_b32_e64 v39, v49, v39, s2
	v_cndmask_b32_e32 v43, v48, v45, vcc_lo
	v_add_co_u32 v45, vcc_lo, v41, 1
	v_add_co_ci_u32_e32 v48, vcc_lo, 0, v42, vcc_lo
	v_cmp_ne_u32_e32 vcc_lo, 0, v43
	s_delay_alu instid0(VALU_DEP_2) | instskip(SKIP_2) | instid1(VALU_DEP_3)
	v_dual_cndmask_b32 v40, v48, v47 :: v_dual_cndmask_b32 v43, v45, v44
	v_cmp_ne_u32_e32 vcc_lo, 0, v39
	v_xor_b32_e32 v44, s4, v46
	v_dual_cndmask_b32 v39, v42, v40 :: v_dual_cndmask_b32 v40, v41, v43
	s_delay_alu instid0(VALU_DEP_1) | instskip(NEXT) | instid1(VALU_DEP_2)
	v_xor_b32_e32 v41, v39, v44
	v_xor_b32_e32 v40, v40, v44
	s_delay_alu instid0(VALU_DEP_1) | instskip(NEXT) | instid1(VALU_DEP_3)
	v_sub_co_u32 v39, vcc_lo, v40, v44
	v_sub_co_ci_u32_e32 v40, vcc_lo, v41, v44, vcc_lo
.LBB1139_83:
	s_and_not1_saveexec_b32 s2, s3
	s_cbranch_execz .LBB1139_85
; %bb.84:
	v_rcp_iflag_f32_e32 v39, v69
	s_sub_i32 s3, 0, s44
	s_waitcnt_depctr 0xfff
	v_mul_f32_e32 v39, 0x4f7ffffe, v39
	s_delay_alu instid0(VALU_DEP_1) | instskip(NEXT) | instid1(VALU_DEP_1)
	v_cvt_u32_f32_e32 v39, v39
	v_mul_lo_u32 v40, s3, v39
	s_delay_alu instid0(VALU_DEP_1) | instskip(NEXT) | instid1(VALU_DEP_1)
	v_mul_hi_u32 v40, v39, v40
	v_add_nc_u32_e32 v39, v39, v40
	s_delay_alu instid0(VALU_DEP_1) | instskip(NEXT) | instid1(VALU_DEP_1)
	v_mul_hi_u32 v39, v74, v39
	v_mul_lo_u32 v40, v39, s44
	v_add_nc_u32_e32 v41, 1, v39
	s_delay_alu instid0(VALU_DEP_2) | instskip(NEXT) | instid1(VALU_DEP_1)
	v_sub_nc_u32_e32 v40, v74, v40
	v_subrev_nc_u32_e32 v42, s44, v40
	v_cmp_le_u32_e32 vcc_lo, s44, v40
	s_delay_alu instid0(VALU_DEP_2) | instskip(NEXT) | instid1(VALU_DEP_1)
	v_dual_cndmask_b32 v40, v40, v42 :: v_dual_cndmask_b32 v39, v39, v41
	v_cmp_le_u32_e32 vcc_lo, s44, v40
	s_delay_alu instid0(VALU_DEP_2) | instskip(NEXT) | instid1(VALU_DEP_1)
	v_dual_mov_b32 v40, 0 :: v_dual_add_nc_u32 v41, 1, v39
	v_cndmask_b32_e32 v39, v39, v41, vcc_lo
.LBB1139_85:
	s_or_b32 exec_lo, exec_lo, s2
	v_add_co_u32 v76, vcc_lo, 0x600, v63
	v_add_co_ci_u32_e32 v77, vcc_lo, 0, v64, vcc_lo
	v_mov_b32_e32 v41, 0
	s_delay_alu instid0(VALU_DEP_2) | instskip(NEXT) | instid1(VALU_DEP_1)
	v_or_b32_e32 v42, s45, v77
	v_cmp_ne_u64_e32 vcc_lo, 0, v[41:42]
                                        ; implicit-def: $vgpr41_vgpr42
	s_and_saveexec_b32 s2, vcc_lo
	s_delay_alu instid0(SALU_CYCLE_1)
	s_xor_b32 s3, exec_lo, s2
	s_cbranch_execz .LBB1139_87
; %bb.86:
	s_ashr_i32 s4, s45, 31
	s_delay_alu instid0(SALU_CYCLE_1) | instskip(SKIP_2) | instid1(SALU_CYCLE_1)
	s_add_u32 s6, s44, s4
	s_mov_b32 s5, s4
	s_addc_u32 s7, s45, s4
	s_xor_b64 s[6:7], s[6:7], s[4:5]
	s_delay_alu instid0(SALU_CYCLE_1) | instskip(SKIP_3) | instid1(VALU_DEP_1)
	v_cvt_f32_u32_e32 v41, s6
	v_cvt_f32_u32_e32 v42, s7
	s_sub_u32 s2, 0, s6
	s_subb_u32 s5, 0, s7
	v_fmamk_f32 v41, v42, 0x4f800000, v41
	s_delay_alu instid0(VALU_DEP_1) | instskip(SKIP_2) | instid1(VALU_DEP_1)
	v_rcp_f32_e32 v41, v41
	s_waitcnt_depctr 0xfff
	v_mul_f32_e32 v41, 0x5f7ffffc, v41
	v_mul_f32_e32 v42, 0x2f800000, v41
	s_delay_alu instid0(VALU_DEP_1) | instskip(NEXT) | instid1(VALU_DEP_1)
	v_trunc_f32_e32 v42, v42
	v_fmamk_f32 v41, v42, 0xcf800000, v41
	v_cvt_u32_f32_e32 v42, v42
	s_delay_alu instid0(VALU_DEP_2) | instskip(NEXT) | instid1(VALU_DEP_2)
	v_cvt_u32_f32_e32 v41, v41
	v_mul_lo_u32 v43, s2, v42
	s_delay_alu instid0(VALU_DEP_2) | instskip(SKIP_1) | instid1(VALU_DEP_2)
	v_mul_hi_u32 v44, s2, v41
	v_mul_lo_u32 v45, s5, v41
	v_add_nc_u32_e32 v43, v44, v43
	v_mul_lo_u32 v44, s2, v41
	s_delay_alu instid0(VALU_DEP_2) | instskip(NEXT) | instid1(VALU_DEP_2)
	v_add_nc_u32_e32 v43, v43, v45
	v_mul_hi_u32 v45, v41, v44
	s_delay_alu instid0(VALU_DEP_2)
	v_mul_lo_u32 v46, v41, v43
	v_mul_hi_u32 v47, v41, v43
	v_mul_hi_u32 v48, v42, v44
	v_mul_lo_u32 v44, v42, v44
	v_mul_hi_u32 v49, v42, v43
	v_mul_lo_u32 v43, v42, v43
	v_add_co_u32 v45, vcc_lo, v45, v46
	v_add_co_ci_u32_e32 v46, vcc_lo, 0, v47, vcc_lo
	s_delay_alu instid0(VALU_DEP_2) | instskip(NEXT) | instid1(VALU_DEP_2)
	v_add_co_u32 v44, vcc_lo, v45, v44
	v_add_co_ci_u32_e32 v44, vcc_lo, v46, v48, vcc_lo
	v_add_co_ci_u32_e32 v45, vcc_lo, 0, v49, vcc_lo
	v_ashrrev_i32_e32 v48, 31, v77
	s_delay_alu instid0(VALU_DEP_3) | instskip(NEXT) | instid1(VALU_DEP_3)
	v_add_co_u32 v43, vcc_lo, v44, v43
	v_add_co_ci_u32_e32 v44, vcc_lo, 0, v45, vcc_lo
	s_delay_alu instid0(VALU_DEP_2) | instskip(NEXT) | instid1(VALU_DEP_2)
	v_add_co_u32 v41, vcc_lo, v41, v43
	v_add_co_ci_u32_e32 v42, vcc_lo, v42, v44, vcc_lo
	s_delay_alu instid0(VALU_DEP_2) | instskip(SKIP_1) | instid1(VALU_DEP_3)
	v_mul_hi_u32 v43, s2, v41
	v_mul_lo_u32 v45, s5, v41
	v_mul_lo_u32 v44, s2, v42
	s_delay_alu instid0(VALU_DEP_1) | instskip(SKIP_1) | instid1(VALU_DEP_2)
	v_add_nc_u32_e32 v43, v43, v44
	v_mul_lo_u32 v44, s2, v41
	v_add_nc_u32_e32 v43, v43, v45
	s_delay_alu instid0(VALU_DEP_2) | instskip(NEXT) | instid1(VALU_DEP_2)
	v_mul_hi_u32 v45, v41, v44
	v_mul_lo_u32 v46, v41, v43
	v_mul_hi_u32 v47, v41, v43
	v_mul_hi_u32 v49, v42, v44
	v_mul_lo_u32 v44, v42, v44
	v_mul_hi_u32 v50, v42, v43
	v_mul_lo_u32 v43, v42, v43
	v_add_co_u32 v45, vcc_lo, v45, v46
	v_add_co_ci_u32_e32 v46, vcc_lo, 0, v47, vcc_lo
	s_delay_alu instid0(VALU_DEP_2) | instskip(NEXT) | instid1(VALU_DEP_2)
	v_add_co_u32 v44, vcc_lo, v45, v44
	v_add_co_ci_u32_e32 v44, vcc_lo, v46, v49, vcc_lo
	v_add_co_ci_u32_e32 v45, vcc_lo, 0, v50, vcc_lo
	v_add_co_u32 v46, vcc_lo, v76, v48
	v_add_co_ci_u32_e32 v47, vcc_lo, v77, v48, vcc_lo
	s_delay_alu instid0(VALU_DEP_4) | instskip(NEXT) | instid1(VALU_DEP_4)
	v_add_co_u32 v43, vcc_lo, v44, v43
	v_add_co_ci_u32_e32 v44, vcc_lo, 0, v45, vcc_lo
	s_delay_alu instid0(VALU_DEP_4) | instskip(NEXT) | instid1(VALU_DEP_3)
	v_xor_b32_e32 v49, v46, v48
	v_add_co_u32 v45, vcc_lo, v41, v43
	s_delay_alu instid0(VALU_DEP_3) | instskip(SKIP_1) | instid1(VALU_DEP_3)
	v_add_co_ci_u32_e32 v50, vcc_lo, v42, v44, vcc_lo
	v_xor_b32_e32 v47, v47, v48
	v_mul_hi_u32 v51, v49, v45
	s_delay_alu instid0(VALU_DEP_3) | instskip(NEXT) | instid1(VALU_DEP_3)
	v_mad_u64_u32 v[41:42], null, v49, v50, 0
	v_mad_u64_u32 v[43:44], null, v47, v45, 0
	;; [unrolled: 1-line block ×3, first 2 shown]
	s_delay_alu instid0(VALU_DEP_3) | instskip(NEXT) | instid1(VALU_DEP_4)
	v_add_co_u32 v41, vcc_lo, v51, v41
	v_add_co_ci_u32_e32 v42, vcc_lo, 0, v42, vcc_lo
	s_delay_alu instid0(VALU_DEP_2) | instskip(NEXT) | instid1(VALU_DEP_2)
	v_add_co_u32 v41, vcc_lo, v41, v43
	v_add_co_ci_u32_e32 v41, vcc_lo, v42, v44, vcc_lo
	v_add_co_ci_u32_e32 v42, vcc_lo, 0, v46, vcc_lo
	s_delay_alu instid0(VALU_DEP_2) | instskip(NEXT) | instid1(VALU_DEP_2)
	v_add_co_u32 v43, vcc_lo, v41, v45
	v_add_co_ci_u32_e32 v44, vcc_lo, 0, v42, vcc_lo
	s_delay_alu instid0(VALU_DEP_2) | instskip(SKIP_1) | instid1(VALU_DEP_3)
	v_mul_lo_u32 v45, s7, v43
	v_mad_u64_u32 v[41:42], null, s6, v43, 0
	v_mul_lo_u32 v46, s6, v44
	s_delay_alu instid0(VALU_DEP_2) | instskip(NEXT) | instid1(VALU_DEP_2)
	v_sub_co_u32 v41, vcc_lo, v49, v41
	v_add3_u32 v42, v42, v46, v45
	s_delay_alu instid0(VALU_DEP_1) | instskip(NEXT) | instid1(VALU_DEP_1)
	v_sub_nc_u32_e32 v45, v47, v42
	v_subrev_co_ci_u32_e64 v45, s2, s7, v45, vcc_lo
	v_add_co_u32 v46, s2, v43, 2
	s_delay_alu instid0(VALU_DEP_1) | instskip(SKIP_3) | instid1(VALU_DEP_3)
	v_add_co_ci_u32_e64 v49, s2, 0, v44, s2
	v_sub_co_u32 v50, s2, v41, s6
	v_sub_co_ci_u32_e32 v42, vcc_lo, v47, v42, vcc_lo
	v_subrev_co_ci_u32_e64 v45, s2, 0, v45, s2
	v_cmp_le_u32_e32 vcc_lo, s6, v50
	s_delay_alu instid0(VALU_DEP_3) | instskip(SKIP_1) | instid1(VALU_DEP_4)
	v_cmp_eq_u32_e64 s2, s7, v42
	v_cndmask_b32_e64 v47, 0, -1, vcc_lo
	v_cmp_le_u32_e32 vcc_lo, s7, v45
	v_cndmask_b32_e64 v50, 0, -1, vcc_lo
	v_cmp_le_u32_e32 vcc_lo, s6, v41
	;; [unrolled: 2-line block ×3, first 2 shown]
	v_cndmask_b32_e64 v51, 0, -1, vcc_lo
	v_cmp_eq_u32_e32 vcc_lo, s7, v45
	s_delay_alu instid0(VALU_DEP_2) | instskip(SKIP_3) | instid1(VALU_DEP_3)
	v_cndmask_b32_e64 v41, v51, v41, s2
	v_cndmask_b32_e32 v45, v50, v47, vcc_lo
	v_add_co_u32 v47, vcc_lo, v43, 1
	v_add_co_ci_u32_e32 v50, vcc_lo, 0, v44, vcc_lo
	v_cmp_ne_u32_e32 vcc_lo, 0, v45
	s_delay_alu instid0(VALU_DEP_2) | instskip(SKIP_2) | instid1(VALU_DEP_3)
	v_dual_cndmask_b32 v42, v50, v49 :: v_dual_cndmask_b32 v45, v47, v46
	v_cmp_ne_u32_e32 vcc_lo, 0, v41
	v_xor_b32_e32 v46, s4, v48
	v_dual_cndmask_b32 v41, v44, v42 :: v_dual_cndmask_b32 v42, v43, v45
	s_delay_alu instid0(VALU_DEP_1) | instskip(NEXT) | instid1(VALU_DEP_2)
	v_xor_b32_e32 v43, v41, v46
	v_xor_b32_e32 v42, v42, v46
	s_delay_alu instid0(VALU_DEP_1) | instskip(NEXT) | instid1(VALU_DEP_3)
	v_sub_co_u32 v41, vcc_lo, v42, v46
	v_sub_co_ci_u32_e32 v42, vcc_lo, v43, v46, vcc_lo
.LBB1139_87:
	s_and_not1_saveexec_b32 s2, s3
	s_cbranch_execz .LBB1139_89
; %bb.88:
	v_rcp_iflag_f32_e32 v41, v69
	s_sub_i32 s3, 0, s44
	s_waitcnt_depctr 0xfff
	v_mul_f32_e32 v41, 0x4f7ffffe, v41
	s_delay_alu instid0(VALU_DEP_1) | instskip(NEXT) | instid1(VALU_DEP_1)
	v_cvt_u32_f32_e32 v41, v41
	v_mul_lo_u32 v42, s3, v41
	s_delay_alu instid0(VALU_DEP_1) | instskip(NEXT) | instid1(VALU_DEP_1)
	v_mul_hi_u32 v42, v41, v42
	v_add_nc_u32_e32 v41, v41, v42
	s_delay_alu instid0(VALU_DEP_1) | instskip(NEXT) | instid1(VALU_DEP_1)
	v_mul_hi_u32 v41, v76, v41
	v_mul_lo_u32 v42, v41, s44
	v_add_nc_u32_e32 v43, 1, v41
	s_delay_alu instid0(VALU_DEP_2) | instskip(NEXT) | instid1(VALU_DEP_1)
	v_sub_nc_u32_e32 v42, v76, v42
	v_subrev_nc_u32_e32 v44, s44, v42
	v_cmp_le_u32_e32 vcc_lo, s44, v42
	s_delay_alu instid0(VALU_DEP_2) | instskip(NEXT) | instid1(VALU_DEP_1)
	v_dual_cndmask_b32 v42, v42, v44 :: v_dual_cndmask_b32 v41, v41, v43
	v_cmp_le_u32_e32 vcc_lo, s44, v42
	s_delay_alu instid0(VALU_DEP_2) | instskip(NEXT) | instid1(VALU_DEP_1)
	v_dual_mov_b32 v42, 0 :: v_dual_add_nc_u32 v43, 1, v41
	v_cndmask_b32_e32 v41, v41, v43, vcc_lo
.LBB1139_89:
	s_or_b32 exec_lo, exec_lo, s2
	v_add_co_u32 v78, vcc_lo, 0x700, v63
	v_add_co_ci_u32_e32 v79, vcc_lo, 0, v64, vcc_lo
	v_mov_b32_e32 v43, 0
	s_delay_alu instid0(VALU_DEP_2) | instskip(NEXT) | instid1(VALU_DEP_1)
	v_or_b32_e32 v44, s45, v79
	v_cmp_ne_u64_e32 vcc_lo, 0, v[43:44]
                                        ; implicit-def: $vgpr43_vgpr44
	s_and_saveexec_b32 s2, vcc_lo
	s_delay_alu instid0(SALU_CYCLE_1)
	s_xor_b32 s3, exec_lo, s2
	s_cbranch_execz .LBB1139_91
; %bb.90:
	s_ashr_i32 s4, s45, 31
	s_delay_alu instid0(SALU_CYCLE_1) | instskip(SKIP_2) | instid1(SALU_CYCLE_1)
	s_add_u32 s6, s44, s4
	s_mov_b32 s5, s4
	s_addc_u32 s7, s45, s4
	s_xor_b64 s[6:7], s[6:7], s[4:5]
	s_delay_alu instid0(SALU_CYCLE_1) | instskip(SKIP_3) | instid1(VALU_DEP_1)
	v_cvt_f32_u32_e32 v43, s6
	v_cvt_f32_u32_e32 v44, s7
	s_sub_u32 s2, 0, s6
	s_subb_u32 s5, 0, s7
	v_fmamk_f32 v43, v44, 0x4f800000, v43
	s_delay_alu instid0(VALU_DEP_1) | instskip(SKIP_2) | instid1(VALU_DEP_1)
	v_rcp_f32_e32 v43, v43
	s_waitcnt_depctr 0xfff
	v_mul_f32_e32 v43, 0x5f7ffffc, v43
	v_mul_f32_e32 v44, 0x2f800000, v43
	s_delay_alu instid0(VALU_DEP_1) | instskip(NEXT) | instid1(VALU_DEP_1)
	v_trunc_f32_e32 v44, v44
	v_fmamk_f32 v43, v44, 0xcf800000, v43
	v_cvt_u32_f32_e32 v44, v44
	s_delay_alu instid0(VALU_DEP_2) | instskip(NEXT) | instid1(VALU_DEP_2)
	v_cvt_u32_f32_e32 v43, v43
	v_mul_lo_u32 v45, s2, v44
	s_delay_alu instid0(VALU_DEP_2) | instskip(SKIP_1) | instid1(VALU_DEP_2)
	v_mul_hi_u32 v46, s2, v43
	v_mul_lo_u32 v47, s5, v43
	v_add_nc_u32_e32 v45, v46, v45
	v_mul_lo_u32 v46, s2, v43
	s_delay_alu instid0(VALU_DEP_2) | instskip(NEXT) | instid1(VALU_DEP_2)
	v_add_nc_u32_e32 v45, v45, v47
	v_mul_hi_u32 v47, v43, v46
	s_delay_alu instid0(VALU_DEP_2)
	v_mul_lo_u32 v48, v43, v45
	v_mul_hi_u32 v49, v43, v45
	v_mul_hi_u32 v50, v44, v46
	v_mul_lo_u32 v46, v44, v46
	v_mul_hi_u32 v51, v44, v45
	v_mul_lo_u32 v45, v44, v45
	v_add_co_u32 v47, vcc_lo, v47, v48
	v_add_co_ci_u32_e32 v48, vcc_lo, 0, v49, vcc_lo
	s_delay_alu instid0(VALU_DEP_2) | instskip(NEXT) | instid1(VALU_DEP_2)
	v_add_co_u32 v46, vcc_lo, v47, v46
	v_add_co_ci_u32_e32 v46, vcc_lo, v48, v50, vcc_lo
	v_add_co_ci_u32_e32 v47, vcc_lo, 0, v51, vcc_lo
	v_ashrrev_i32_e32 v50, 31, v79
	s_delay_alu instid0(VALU_DEP_3) | instskip(NEXT) | instid1(VALU_DEP_3)
	v_add_co_u32 v45, vcc_lo, v46, v45
	v_add_co_ci_u32_e32 v46, vcc_lo, 0, v47, vcc_lo
	s_delay_alu instid0(VALU_DEP_2) | instskip(NEXT) | instid1(VALU_DEP_2)
	v_add_co_u32 v43, vcc_lo, v43, v45
	v_add_co_ci_u32_e32 v44, vcc_lo, v44, v46, vcc_lo
	s_delay_alu instid0(VALU_DEP_2) | instskip(SKIP_1) | instid1(VALU_DEP_3)
	v_mul_hi_u32 v45, s2, v43
	v_mul_lo_u32 v47, s5, v43
	v_mul_lo_u32 v46, s2, v44
	s_delay_alu instid0(VALU_DEP_1) | instskip(SKIP_1) | instid1(VALU_DEP_2)
	v_add_nc_u32_e32 v45, v45, v46
	v_mul_lo_u32 v46, s2, v43
	v_add_nc_u32_e32 v45, v45, v47
	s_delay_alu instid0(VALU_DEP_2) | instskip(NEXT) | instid1(VALU_DEP_2)
	v_mul_hi_u32 v47, v43, v46
	v_mul_lo_u32 v48, v43, v45
	v_mul_hi_u32 v49, v43, v45
	v_mul_hi_u32 v51, v44, v46
	v_mul_lo_u32 v46, v44, v46
	v_mul_hi_u32 v52, v44, v45
	v_mul_lo_u32 v45, v44, v45
	v_add_co_u32 v47, vcc_lo, v47, v48
	v_add_co_ci_u32_e32 v48, vcc_lo, 0, v49, vcc_lo
	s_delay_alu instid0(VALU_DEP_2) | instskip(NEXT) | instid1(VALU_DEP_2)
	v_add_co_u32 v46, vcc_lo, v47, v46
	v_add_co_ci_u32_e32 v46, vcc_lo, v48, v51, vcc_lo
	v_add_co_ci_u32_e32 v47, vcc_lo, 0, v52, vcc_lo
	v_add_co_u32 v48, vcc_lo, v78, v50
	v_add_co_ci_u32_e32 v49, vcc_lo, v79, v50, vcc_lo
	s_delay_alu instid0(VALU_DEP_4) | instskip(NEXT) | instid1(VALU_DEP_4)
	v_add_co_u32 v45, vcc_lo, v46, v45
	v_add_co_ci_u32_e32 v46, vcc_lo, 0, v47, vcc_lo
	s_delay_alu instid0(VALU_DEP_4) | instskip(NEXT) | instid1(VALU_DEP_3)
	v_xor_b32_e32 v51, v48, v50
	v_add_co_u32 v47, vcc_lo, v43, v45
	s_delay_alu instid0(VALU_DEP_3) | instskip(SKIP_1) | instid1(VALU_DEP_3)
	v_add_co_ci_u32_e32 v52, vcc_lo, v44, v46, vcc_lo
	v_xor_b32_e32 v49, v49, v50
	v_mul_hi_u32 v53, v51, v47
	s_delay_alu instid0(VALU_DEP_3) | instskip(NEXT) | instid1(VALU_DEP_3)
	v_mad_u64_u32 v[43:44], null, v51, v52, 0
	v_mad_u64_u32 v[45:46], null, v49, v47, 0
	;; [unrolled: 1-line block ×3, first 2 shown]
	s_delay_alu instid0(VALU_DEP_3) | instskip(NEXT) | instid1(VALU_DEP_4)
	v_add_co_u32 v43, vcc_lo, v53, v43
	v_add_co_ci_u32_e32 v44, vcc_lo, 0, v44, vcc_lo
	s_delay_alu instid0(VALU_DEP_2) | instskip(NEXT) | instid1(VALU_DEP_2)
	v_add_co_u32 v43, vcc_lo, v43, v45
	v_add_co_ci_u32_e32 v43, vcc_lo, v44, v46, vcc_lo
	v_add_co_ci_u32_e32 v44, vcc_lo, 0, v48, vcc_lo
	s_delay_alu instid0(VALU_DEP_2) | instskip(NEXT) | instid1(VALU_DEP_2)
	v_add_co_u32 v45, vcc_lo, v43, v47
	v_add_co_ci_u32_e32 v46, vcc_lo, 0, v44, vcc_lo
	s_delay_alu instid0(VALU_DEP_2) | instskip(SKIP_1) | instid1(VALU_DEP_3)
	v_mul_lo_u32 v47, s7, v45
	v_mad_u64_u32 v[43:44], null, s6, v45, 0
	v_mul_lo_u32 v48, s6, v46
	s_delay_alu instid0(VALU_DEP_2) | instskip(NEXT) | instid1(VALU_DEP_2)
	v_sub_co_u32 v43, vcc_lo, v51, v43
	v_add3_u32 v44, v44, v48, v47
	s_delay_alu instid0(VALU_DEP_1) | instskip(NEXT) | instid1(VALU_DEP_1)
	v_sub_nc_u32_e32 v47, v49, v44
	v_subrev_co_ci_u32_e64 v47, s2, s7, v47, vcc_lo
	v_add_co_u32 v48, s2, v45, 2
	s_delay_alu instid0(VALU_DEP_1) | instskip(SKIP_3) | instid1(VALU_DEP_3)
	v_add_co_ci_u32_e64 v51, s2, 0, v46, s2
	v_sub_co_u32 v52, s2, v43, s6
	v_sub_co_ci_u32_e32 v44, vcc_lo, v49, v44, vcc_lo
	v_subrev_co_ci_u32_e64 v47, s2, 0, v47, s2
	v_cmp_le_u32_e32 vcc_lo, s6, v52
	s_delay_alu instid0(VALU_DEP_3) | instskip(SKIP_1) | instid1(VALU_DEP_4)
	v_cmp_eq_u32_e64 s2, s7, v44
	v_cndmask_b32_e64 v49, 0, -1, vcc_lo
	v_cmp_le_u32_e32 vcc_lo, s7, v47
	v_cndmask_b32_e64 v52, 0, -1, vcc_lo
	v_cmp_le_u32_e32 vcc_lo, s6, v43
	;; [unrolled: 2-line block ×3, first 2 shown]
	v_cndmask_b32_e64 v53, 0, -1, vcc_lo
	v_cmp_eq_u32_e32 vcc_lo, s7, v47
	s_delay_alu instid0(VALU_DEP_2) | instskip(SKIP_3) | instid1(VALU_DEP_3)
	v_cndmask_b32_e64 v43, v53, v43, s2
	v_cndmask_b32_e32 v47, v52, v49, vcc_lo
	v_add_co_u32 v49, vcc_lo, v45, 1
	v_add_co_ci_u32_e32 v52, vcc_lo, 0, v46, vcc_lo
	v_cmp_ne_u32_e32 vcc_lo, 0, v47
	s_delay_alu instid0(VALU_DEP_2) | instskip(SKIP_2) | instid1(VALU_DEP_3)
	v_dual_cndmask_b32 v44, v52, v51 :: v_dual_cndmask_b32 v47, v49, v48
	v_cmp_ne_u32_e32 vcc_lo, 0, v43
	v_xor_b32_e32 v48, s4, v50
	v_dual_cndmask_b32 v43, v46, v44 :: v_dual_cndmask_b32 v44, v45, v47
	s_delay_alu instid0(VALU_DEP_1) | instskip(NEXT) | instid1(VALU_DEP_2)
	v_xor_b32_e32 v45, v43, v48
	v_xor_b32_e32 v44, v44, v48
	s_delay_alu instid0(VALU_DEP_1) | instskip(NEXT) | instid1(VALU_DEP_3)
	v_sub_co_u32 v43, vcc_lo, v44, v48
	v_sub_co_ci_u32_e32 v44, vcc_lo, v45, v48, vcc_lo
.LBB1139_91:
	s_and_not1_saveexec_b32 s2, s3
	s_cbranch_execz .LBB1139_93
; %bb.92:
	v_rcp_iflag_f32_e32 v43, v69
	s_sub_i32 s3, 0, s44
	s_waitcnt_depctr 0xfff
	v_mul_f32_e32 v43, 0x4f7ffffe, v43
	s_delay_alu instid0(VALU_DEP_1) | instskip(NEXT) | instid1(VALU_DEP_1)
	v_cvt_u32_f32_e32 v43, v43
	v_mul_lo_u32 v44, s3, v43
	s_delay_alu instid0(VALU_DEP_1) | instskip(NEXT) | instid1(VALU_DEP_1)
	v_mul_hi_u32 v44, v43, v44
	v_add_nc_u32_e32 v43, v43, v44
	s_delay_alu instid0(VALU_DEP_1) | instskip(NEXT) | instid1(VALU_DEP_1)
	v_mul_hi_u32 v43, v78, v43
	v_mul_lo_u32 v44, v43, s44
	v_add_nc_u32_e32 v45, 1, v43
	s_delay_alu instid0(VALU_DEP_2) | instskip(NEXT) | instid1(VALU_DEP_1)
	v_sub_nc_u32_e32 v44, v78, v44
	v_subrev_nc_u32_e32 v46, s44, v44
	v_cmp_le_u32_e32 vcc_lo, s44, v44
	s_delay_alu instid0(VALU_DEP_2) | instskip(NEXT) | instid1(VALU_DEP_1)
	v_dual_cndmask_b32 v44, v44, v46 :: v_dual_cndmask_b32 v43, v43, v45
	v_cmp_le_u32_e32 vcc_lo, s44, v44
	s_delay_alu instid0(VALU_DEP_2) | instskip(NEXT) | instid1(VALU_DEP_1)
	v_dual_mov_b32 v44, 0 :: v_dual_add_nc_u32 v45, 1, v43
	v_cndmask_b32_e32 v43, v43, v45, vcc_lo
.LBB1139_93:
	s_or_b32 exec_lo, exec_lo, s2
	v_add_co_u32 v80, vcc_lo, 0x800, v63
	v_add_co_ci_u32_e32 v81, vcc_lo, 0, v64, vcc_lo
	v_mov_b32_e32 v45, 0
	s_delay_alu instid0(VALU_DEP_2) | instskip(NEXT) | instid1(VALU_DEP_1)
	v_or_b32_e32 v46, s45, v81
	v_cmp_ne_u64_e32 vcc_lo, 0, v[45:46]
                                        ; implicit-def: $vgpr45_vgpr46
	s_and_saveexec_b32 s2, vcc_lo
	s_delay_alu instid0(SALU_CYCLE_1)
	s_xor_b32 s3, exec_lo, s2
	s_cbranch_execz .LBB1139_95
; %bb.94:
	s_ashr_i32 s4, s45, 31
	s_delay_alu instid0(SALU_CYCLE_1) | instskip(SKIP_2) | instid1(SALU_CYCLE_1)
	s_add_u32 s6, s44, s4
	s_mov_b32 s5, s4
	s_addc_u32 s7, s45, s4
	s_xor_b64 s[6:7], s[6:7], s[4:5]
	s_delay_alu instid0(SALU_CYCLE_1) | instskip(SKIP_3) | instid1(VALU_DEP_1)
	v_cvt_f32_u32_e32 v45, s6
	v_cvt_f32_u32_e32 v46, s7
	s_sub_u32 s2, 0, s6
	s_subb_u32 s5, 0, s7
	v_fmamk_f32 v45, v46, 0x4f800000, v45
	s_delay_alu instid0(VALU_DEP_1) | instskip(SKIP_2) | instid1(VALU_DEP_1)
	v_rcp_f32_e32 v45, v45
	s_waitcnt_depctr 0xfff
	v_mul_f32_e32 v45, 0x5f7ffffc, v45
	v_mul_f32_e32 v46, 0x2f800000, v45
	s_delay_alu instid0(VALU_DEP_1) | instskip(NEXT) | instid1(VALU_DEP_1)
	v_trunc_f32_e32 v46, v46
	v_fmamk_f32 v45, v46, 0xcf800000, v45
	v_cvt_u32_f32_e32 v46, v46
	s_delay_alu instid0(VALU_DEP_2) | instskip(NEXT) | instid1(VALU_DEP_2)
	v_cvt_u32_f32_e32 v45, v45
	v_mul_lo_u32 v47, s2, v46
	s_delay_alu instid0(VALU_DEP_2) | instskip(SKIP_1) | instid1(VALU_DEP_2)
	v_mul_hi_u32 v48, s2, v45
	v_mul_lo_u32 v49, s5, v45
	v_add_nc_u32_e32 v47, v48, v47
	v_mul_lo_u32 v48, s2, v45
	s_delay_alu instid0(VALU_DEP_2) | instskip(NEXT) | instid1(VALU_DEP_2)
	v_add_nc_u32_e32 v47, v47, v49
	v_mul_hi_u32 v49, v45, v48
	s_delay_alu instid0(VALU_DEP_2)
	v_mul_lo_u32 v50, v45, v47
	v_mul_hi_u32 v51, v45, v47
	v_mul_hi_u32 v52, v46, v48
	v_mul_lo_u32 v48, v46, v48
	v_mul_hi_u32 v53, v46, v47
	v_mul_lo_u32 v47, v46, v47
	v_add_co_u32 v49, vcc_lo, v49, v50
	v_add_co_ci_u32_e32 v50, vcc_lo, 0, v51, vcc_lo
	s_delay_alu instid0(VALU_DEP_2) | instskip(NEXT) | instid1(VALU_DEP_2)
	v_add_co_u32 v48, vcc_lo, v49, v48
	v_add_co_ci_u32_e32 v48, vcc_lo, v50, v52, vcc_lo
	v_add_co_ci_u32_e32 v49, vcc_lo, 0, v53, vcc_lo
	v_ashrrev_i32_e32 v52, 31, v81
	s_delay_alu instid0(VALU_DEP_3) | instskip(NEXT) | instid1(VALU_DEP_3)
	v_add_co_u32 v47, vcc_lo, v48, v47
	v_add_co_ci_u32_e32 v48, vcc_lo, 0, v49, vcc_lo
	s_delay_alu instid0(VALU_DEP_2) | instskip(NEXT) | instid1(VALU_DEP_2)
	v_add_co_u32 v45, vcc_lo, v45, v47
	v_add_co_ci_u32_e32 v46, vcc_lo, v46, v48, vcc_lo
	s_delay_alu instid0(VALU_DEP_2) | instskip(SKIP_1) | instid1(VALU_DEP_3)
	v_mul_hi_u32 v47, s2, v45
	v_mul_lo_u32 v49, s5, v45
	v_mul_lo_u32 v48, s2, v46
	s_delay_alu instid0(VALU_DEP_1) | instskip(SKIP_1) | instid1(VALU_DEP_2)
	v_add_nc_u32_e32 v47, v47, v48
	v_mul_lo_u32 v48, s2, v45
	v_add_nc_u32_e32 v47, v47, v49
	s_delay_alu instid0(VALU_DEP_2) | instskip(NEXT) | instid1(VALU_DEP_2)
	v_mul_hi_u32 v49, v45, v48
	v_mul_lo_u32 v50, v45, v47
	v_mul_hi_u32 v51, v45, v47
	v_mul_hi_u32 v53, v46, v48
	v_mul_lo_u32 v48, v46, v48
	v_mul_hi_u32 v54, v46, v47
	v_mul_lo_u32 v47, v46, v47
	v_add_co_u32 v49, vcc_lo, v49, v50
	v_add_co_ci_u32_e32 v50, vcc_lo, 0, v51, vcc_lo
	s_delay_alu instid0(VALU_DEP_2) | instskip(NEXT) | instid1(VALU_DEP_2)
	v_add_co_u32 v48, vcc_lo, v49, v48
	v_add_co_ci_u32_e32 v48, vcc_lo, v50, v53, vcc_lo
	v_add_co_ci_u32_e32 v49, vcc_lo, 0, v54, vcc_lo
	v_add_co_u32 v50, vcc_lo, v80, v52
	v_add_co_ci_u32_e32 v51, vcc_lo, v81, v52, vcc_lo
	s_delay_alu instid0(VALU_DEP_4) | instskip(NEXT) | instid1(VALU_DEP_4)
	v_add_co_u32 v47, vcc_lo, v48, v47
	v_add_co_ci_u32_e32 v48, vcc_lo, 0, v49, vcc_lo
	s_delay_alu instid0(VALU_DEP_4) | instskip(NEXT) | instid1(VALU_DEP_3)
	v_xor_b32_e32 v53, v50, v52
	v_add_co_u32 v49, vcc_lo, v45, v47
	s_delay_alu instid0(VALU_DEP_3) | instskip(SKIP_1) | instid1(VALU_DEP_3)
	v_add_co_ci_u32_e32 v54, vcc_lo, v46, v48, vcc_lo
	v_xor_b32_e32 v51, v51, v52
	v_mul_hi_u32 v55, v53, v49
	s_delay_alu instid0(VALU_DEP_3) | instskip(NEXT) | instid1(VALU_DEP_3)
	v_mad_u64_u32 v[45:46], null, v53, v54, 0
	v_mad_u64_u32 v[47:48], null, v51, v49, 0
	;; [unrolled: 1-line block ×3, first 2 shown]
	s_delay_alu instid0(VALU_DEP_3) | instskip(NEXT) | instid1(VALU_DEP_4)
	v_add_co_u32 v45, vcc_lo, v55, v45
	v_add_co_ci_u32_e32 v46, vcc_lo, 0, v46, vcc_lo
	s_delay_alu instid0(VALU_DEP_2) | instskip(NEXT) | instid1(VALU_DEP_2)
	v_add_co_u32 v45, vcc_lo, v45, v47
	v_add_co_ci_u32_e32 v45, vcc_lo, v46, v48, vcc_lo
	v_add_co_ci_u32_e32 v46, vcc_lo, 0, v50, vcc_lo
	s_delay_alu instid0(VALU_DEP_2) | instskip(NEXT) | instid1(VALU_DEP_2)
	v_add_co_u32 v47, vcc_lo, v45, v49
	v_add_co_ci_u32_e32 v48, vcc_lo, 0, v46, vcc_lo
	s_delay_alu instid0(VALU_DEP_2) | instskip(SKIP_1) | instid1(VALU_DEP_3)
	v_mul_lo_u32 v49, s7, v47
	v_mad_u64_u32 v[45:46], null, s6, v47, 0
	v_mul_lo_u32 v50, s6, v48
	s_delay_alu instid0(VALU_DEP_2) | instskip(NEXT) | instid1(VALU_DEP_2)
	v_sub_co_u32 v45, vcc_lo, v53, v45
	v_add3_u32 v46, v46, v50, v49
	s_delay_alu instid0(VALU_DEP_1) | instskip(NEXT) | instid1(VALU_DEP_1)
	v_sub_nc_u32_e32 v49, v51, v46
	v_subrev_co_ci_u32_e64 v49, s2, s7, v49, vcc_lo
	v_add_co_u32 v50, s2, v47, 2
	s_delay_alu instid0(VALU_DEP_1) | instskip(SKIP_3) | instid1(VALU_DEP_3)
	v_add_co_ci_u32_e64 v53, s2, 0, v48, s2
	v_sub_co_u32 v54, s2, v45, s6
	v_sub_co_ci_u32_e32 v46, vcc_lo, v51, v46, vcc_lo
	v_subrev_co_ci_u32_e64 v49, s2, 0, v49, s2
	v_cmp_le_u32_e32 vcc_lo, s6, v54
	s_delay_alu instid0(VALU_DEP_3) | instskip(SKIP_1) | instid1(VALU_DEP_4)
	v_cmp_eq_u32_e64 s2, s7, v46
	v_cndmask_b32_e64 v51, 0, -1, vcc_lo
	v_cmp_le_u32_e32 vcc_lo, s7, v49
	v_cndmask_b32_e64 v54, 0, -1, vcc_lo
	v_cmp_le_u32_e32 vcc_lo, s6, v45
	;; [unrolled: 2-line block ×3, first 2 shown]
	v_cndmask_b32_e64 v55, 0, -1, vcc_lo
	v_cmp_eq_u32_e32 vcc_lo, s7, v49
	s_delay_alu instid0(VALU_DEP_2) | instskip(SKIP_3) | instid1(VALU_DEP_3)
	v_cndmask_b32_e64 v45, v55, v45, s2
	v_cndmask_b32_e32 v49, v54, v51, vcc_lo
	v_add_co_u32 v51, vcc_lo, v47, 1
	v_add_co_ci_u32_e32 v54, vcc_lo, 0, v48, vcc_lo
	v_cmp_ne_u32_e32 vcc_lo, 0, v49
	s_delay_alu instid0(VALU_DEP_2) | instskip(SKIP_2) | instid1(VALU_DEP_3)
	v_dual_cndmask_b32 v46, v54, v53 :: v_dual_cndmask_b32 v49, v51, v50
	v_cmp_ne_u32_e32 vcc_lo, 0, v45
	v_xor_b32_e32 v50, s4, v52
	v_dual_cndmask_b32 v45, v48, v46 :: v_dual_cndmask_b32 v46, v47, v49
	s_delay_alu instid0(VALU_DEP_1) | instskip(NEXT) | instid1(VALU_DEP_2)
	v_xor_b32_e32 v47, v45, v50
	v_xor_b32_e32 v46, v46, v50
	s_delay_alu instid0(VALU_DEP_1) | instskip(NEXT) | instid1(VALU_DEP_3)
	v_sub_co_u32 v45, vcc_lo, v46, v50
	v_sub_co_ci_u32_e32 v46, vcc_lo, v47, v50, vcc_lo
.LBB1139_95:
	s_and_not1_saveexec_b32 s2, s3
	s_cbranch_execz .LBB1139_97
; %bb.96:
	v_rcp_iflag_f32_e32 v45, v69
	s_sub_i32 s3, 0, s44
	s_waitcnt_depctr 0xfff
	v_mul_f32_e32 v45, 0x4f7ffffe, v45
	s_delay_alu instid0(VALU_DEP_1) | instskip(NEXT) | instid1(VALU_DEP_1)
	v_cvt_u32_f32_e32 v45, v45
	v_mul_lo_u32 v46, s3, v45
	s_delay_alu instid0(VALU_DEP_1) | instskip(NEXT) | instid1(VALU_DEP_1)
	v_mul_hi_u32 v46, v45, v46
	v_add_nc_u32_e32 v45, v45, v46
	s_delay_alu instid0(VALU_DEP_1) | instskip(NEXT) | instid1(VALU_DEP_1)
	v_mul_hi_u32 v45, v80, v45
	v_mul_lo_u32 v46, v45, s44
	v_add_nc_u32_e32 v47, 1, v45
	s_delay_alu instid0(VALU_DEP_2) | instskip(NEXT) | instid1(VALU_DEP_1)
	v_sub_nc_u32_e32 v46, v80, v46
	v_subrev_nc_u32_e32 v48, s44, v46
	v_cmp_le_u32_e32 vcc_lo, s44, v46
	s_delay_alu instid0(VALU_DEP_2) | instskip(NEXT) | instid1(VALU_DEP_1)
	v_dual_cndmask_b32 v46, v46, v48 :: v_dual_cndmask_b32 v45, v45, v47
	v_cmp_le_u32_e32 vcc_lo, s44, v46
	s_delay_alu instid0(VALU_DEP_2) | instskip(NEXT) | instid1(VALU_DEP_1)
	v_dual_mov_b32 v46, 0 :: v_dual_add_nc_u32 v47, 1, v45
	v_cndmask_b32_e32 v45, v45, v47, vcc_lo
.LBB1139_97:
	s_or_b32 exec_lo, exec_lo, s2
	v_add_co_u32 v82, vcc_lo, 0x900, v63
	v_add_co_ci_u32_e32 v83, vcc_lo, 0, v64, vcc_lo
	v_mov_b32_e32 v47, 0
	s_delay_alu instid0(VALU_DEP_2) | instskip(NEXT) | instid1(VALU_DEP_1)
	v_or_b32_e32 v48, s45, v83
	v_cmp_ne_u64_e32 vcc_lo, 0, v[47:48]
                                        ; implicit-def: $vgpr47_vgpr48
	s_and_saveexec_b32 s2, vcc_lo
	s_delay_alu instid0(SALU_CYCLE_1)
	s_xor_b32 s3, exec_lo, s2
	s_cbranch_execz .LBB1139_99
; %bb.98:
	s_ashr_i32 s4, s45, 31
	s_delay_alu instid0(SALU_CYCLE_1) | instskip(SKIP_2) | instid1(SALU_CYCLE_1)
	s_add_u32 s6, s44, s4
	s_mov_b32 s5, s4
	s_addc_u32 s7, s45, s4
	s_xor_b64 s[6:7], s[6:7], s[4:5]
	s_delay_alu instid0(SALU_CYCLE_1) | instskip(SKIP_3) | instid1(VALU_DEP_1)
	v_cvt_f32_u32_e32 v47, s6
	v_cvt_f32_u32_e32 v48, s7
	s_sub_u32 s2, 0, s6
	s_subb_u32 s5, 0, s7
	v_fmamk_f32 v47, v48, 0x4f800000, v47
	s_delay_alu instid0(VALU_DEP_1) | instskip(SKIP_2) | instid1(VALU_DEP_1)
	v_rcp_f32_e32 v47, v47
	s_waitcnt_depctr 0xfff
	v_mul_f32_e32 v47, 0x5f7ffffc, v47
	v_mul_f32_e32 v48, 0x2f800000, v47
	s_delay_alu instid0(VALU_DEP_1) | instskip(NEXT) | instid1(VALU_DEP_1)
	v_trunc_f32_e32 v48, v48
	v_fmamk_f32 v47, v48, 0xcf800000, v47
	v_cvt_u32_f32_e32 v48, v48
	s_delay_alu instid0(VALU_DEP_2) | instskip(NEXT) | instid1(VALU_DEP_2)
	v_cvt_u32_f32_e32 v47, v47
	v_mul_lo_u32 v49, s2, v48
	s_delay_alu instid0(VALU_DEP_2) | instskip(SKIP_1) | instid1(VALU_DEP_2)
	v_mul_hi_u32 v50, s2, v47
	v_mul_lo_u32 v51, s5, v47
	v_add_nc_u32_e32 v49, v50, v49
	v_mul_lo_u32 v50, s2, v47
	s_delay_alu instid0(VALU_DEP_2) | instskip(NEXT) | instid1(VALU_DEP_2)
	v_add_nc_u32_e32 v49, v49, v51
	v_mul_hi_u32 v51, v47, v50
	s_delay_alu instid0(VALU_DEP_2)
	v_mul_lo_u32 v52, v47, v49
	v_mul_hi_u32 v53, v47, v49
	v_mul_hi_u32 v54, v48, v50
	v_mul_lo_u32 v50, v48, v50
	v_mul_hi_u32 v55, v48, v49
	v_mul_lo_u32 v49, v48, v49
	v_add_co_u32 v51, vcc_lo, v51, v52
	v_add_co_ci_u32_e32 v52, vcc_lo, 0, v53, vcc_lo
	s_delay_alu instid0(VALU_DEP_2) | instskip(NEXT) | instid1(VALU_DEP_2)
	v_add_co_u32 v50, vcc_lo, v51, v50
	v_add_co_ci_u32_e32 v50, vcc_lo, v52, v54, vcc_lo
	v_add_co_ci_u32_e32 v51, vcc_lo, 0, v55, vcc_lo
	v_ashrrev_i32_e32 v54, 31, v83
	s_delay_alu instid0(VALU_DEP_3) | instskip(NEXT) | instid1(VALU_DEP_3)
	v_add_co_u32 v49, vcc_lo, v50, v49
	v_add_co_ci_u32_e32 v50, vcc_lo, 0, v51, vcc_lo
	s_delay_alu instid0(VALU_DEP_2) | instskip(NEXT) | instid1(VALU_DEP_2)
	v_add_co_u32 v47, vcc_lo, v47, v49
	v_add_co_ci_u32_e32 v48, vcc_lo, v48, v50, vcc_lo
	s_delay_alu instid0(VALU_DEP_2) | instskip(SKIP_1) | instid1(VALU_DEP_3)
	v_mul_hi_u32 v49, s2, v47
	v_mul_lo_u32 v51, s5, v47
	v_mul_lo_u32 v50, s2, v48
	s_delay_alu instid0(VALU_DEP_1) | instskip(SKIP_1) | instid1(VALU_DEP_2)
	v_add_nc_u32_e32 v49, v49, v50
	v_mul_lo_u32 v50, s2, v47
	v_add_nc_u32_e32 v49, v49, v51
	s_delay_alu instid0(VALU_DEP_2) | instskip(NEXT) | instid1(VALU_DEP_2)
	v_mul_hi_u32 v51, v47, v50
	v_mul_lo_u32 v52, v47, v49
	v_mul_hi_u32 v53, v47, v49
	v_mul_hi_u32 v55, v48, v50
	v_mul_lo_u32 v50, v48, v50
	v_mul_hi_u32 v56, v48, v49
	v_mul_lo_u32 v49, v48, v49
	v_add_co_u32 v51, vcc_lo, v51, v52
	v_add_co_ci_u32_e32 v52, vcc_lo, 0, v53, vcc_lo
	s_delay_alu instid0(VALU_DEP_2) | instskip(NEXT) | instid1(VALU_DEP_2)
	v_add_co_u32 v50, vcc_lo, v51, v50
	v_add_co_ci_u32_e32 v50, vcc_lo, v52, v55, vcc_lo
	v_add_co_ci_u32_e32 v51, vcc_lo, 0, v56, vcc_lo
	v_add_co_u32 v52, vcc_lo, v82, v54
	v_add_co_ci_u32_e32 v53, vcc_lo, v83, v54, vcc_lo
	s_delay_alu instid0(VALU_DEP_4) | instskip(NEXT) | instid1(VALU_DEP_4)
	v_add_co_u32 v49, vcc_lo, v50, v49
	v_add_co_ci_u32_e32 v50, vcc_lo, 0, v51, vcc_lo
	s_delay_alu instid0(VALU_DEP_4) | instskip(NEXT) | instid1(VALU_DEP_3)
	v_xor_b32_e32 v55, v52, v54
	v_add_co_u32 v51, vcc_lo, v47, v49
	s_delay_alu instid0(VALU_DEP_3) | instskip(SKIP_1) | instid1(VALU_DEP_3)
	v_add_co_ci_u32_e32 v56, vcc_lo, v48, v50, vcc_lo
	v_xor_b32_e32 v53, v53, v54
	v_mul_hi_u32 v59, v55, v51
	s_delay_alu instid0(VALU_DEP_3) | instskip(NEXT) | instid1(VALU_DEP_3)
	v_mad_u64_u32 v[47:48], null, v55, v56, 0
	v_mad_u64_u32 v[49:50], null, v53, v51, 0
	;; [unrolled: 1-line block ×3, first 2 shown]
	s_delay_alu instid0(VALU_DEP_3) | instskip(NEXT) | instid1(VALU_DEP_4)
	v_add_co_u32 v47, vcc_lo, v59, v47
	v_add_co_ci_u32_e32 v48, vcc_lo, 0, v48, vcc_lo
	s_delay_alu instid0(VALU_DEP_2) | instskip(NEXT) | instid1(VALU_DEP_2)
	v_add_co_u32 v47, vcc_lo, v47, v49
	v_add_co_ci_u32_e32 v47, vcc_lo, v48, v50, vcc_lo
	v_add_co_ci_u32_e32 v48, vcc_lo, 0, v52, vcc_lo
	s_delay_alu instid0(VALU_DEP_2) | instskip(NEXT) | instid1(VALU_DEP_2)
	v_add_co_u32 v49, vcc_lo, v47, v51
	v_add_co_ci_u32_e32 v50, vcc_lo, 0, v48, vcc_lo
	s_delay_alu instid0(VALU_DEP_2) | instskip(SKIP_1) | instid1(VALU_DEP_3)
	v_mul_lo_u32 v51, s7, v49
	v_mad_u64_u32 v[47:48], null, s6, v49, 0
	v_mul_lo_u32 v52, s6, v50
	s_delay_alu instid0(VALU_DEP_2) | instskip(NEXT) | instid1(VALU_DEP_2)
	v_sub_co_u32 v47, vcc_lo, v55, v47
	v_add3_u32 v48, v48, v52, v51
	s_delay_alu instid0(VALU_DEP_1) | instskip(NEXT) | instid1(VALU_DEP_1)
	v_sub_nc_u32_e32 v51, v53, v48
	v_subrev_co_ci_u32_e64 v51, s2, s7, v51, vcc_lo
	v_add_co_u32 v52, s2, v49, 2
	s_delay_alu instid0(VALU_DEP_1) | instskip(SKIP_3) | instid1(VALU_DEP_3)
	v_add_co_ci_u32_e64 v55, s2, 0, v50, s2
	v_sub_co_u32 v56, s2, v47, s6
	v_sub_co_ci_u32_e32 v48, vcc_lo, v53, v48, vcc_lo
	v_subrev_co_ci_u32_e64 v51, s2, 0, v51, s2
	v_cmp_le_u32_e32 vcc_lo, s6, v56
	s_delay_alu instid0(VALU_DEP_3) | instskip(SKIP_1) | instid1(VALU_DEP_4)
	v_cmp_eq_u32_e64 s2, s7, v48
	v_cndmask_b32_e64 v53, 0, -1, vcc_lo
	v_cmp_le_u32_e32 vcc_lo, s7, v51
	v_cndmask_b32_e64 v56, 0, -1, vcc_lo
	v_cmp_le_u32_e32 vcc_lo, s6, v47
	;; [unrolled: 2-line block ×3, first 2 shown]
	v_cndmask_b32_e64 v59, 0, -1, vcc_lo
	v_cmp_eq_u32_e32 vcc_lo, s7, v51
	s_delay_alu instid0(VALU_DEP_2) | instskip(SKIP_3) | instid1(VALU_DEP_3)
	v_cndmask_b32_e64 v47, v59, v47, s2
	v_cndmask_b32_e32 v51, v56, v53, vcc_lo
	v_add_co_u32 v53, vcc_lo, v49, 1
	v_add_co_ci_u32_e32 v56, vcc_lo, 0, v50, vcc_lo
	v_cmp_ne_u32_e32 vcc_lo, 0, v51
	s_delay_alu instid0(VALU_DEP_2) | instskip(SKIP_2) | instid1(VALU_DEP_3)
	v_dual_cndmask_b32 v48, v56, v55 :: v_dual_cndmask_b32 v51, v53, v52
	v_cmp_ne_u32_e32 vcc_lo, 0, v47
	v_xor_b32_e32 v52, s4, v54
	v_dual_cndmask_b32 v47, v50, v48 :: v_dual_cndmask_b32 v48, v49, v51
	s_delay_alu instid0(VALU_DEP_1) | instskip(NEXT) | instid1(VALU_DEP_2)
	v_xor_b32_e32 v49, v47, v52
	v_xor_b32_e32 v48, v48, v52
	s_delay_alu instid0(VALU_DEP_1) | instskip(NEXT) | instid1(VALU_DEP_3)
	v_sub_co_u32 v47, vcc_lo, v48, v52
	v_sub_co_ci_u32_e32 v48, vcc_lo, v49, v52, vcc_lo
.LBB1139_99:
	s_and_not1_saveexec_b32 s2, s3
	s_cbranch_execz .LBB1139_101
; %bb.100:
	v_rcp_iflag_f32_e32 v47, v69
	s_sub_i32 s3, 0, s44
	s_waitcnt_depctr 0xfff
	v_mul_f32_e32 v47, 0x4f7ffffe, v47
	s_delay_alu instid0(VALU_DEP_1) | instskip(NEXT) | instid1(VALU_DEP_1)
	v_cvt_u32_f32_e32 v47, v47
	v_mul_lo_u32 v48, s3, v47
	s_delay_alu instid0(VALU_DEP_1) | instskip(NEXT) | instid1(VALU_DEP_1)
	v_mul_hi_u32 v48, v47, v48
	v_add_nc_u32_e32 v47, v47, v48
	s_delay_alu instid0(VALU_DEP_1) | instskip(NEXT) | instid1(VALU_DEP_1)
	v_mul_hi_u32 v47, v82, v47
	v_mul_lo_u32 v48, v47, s44
	v_add_nc_u32_e32 v49, 1, v47
	s_delay_alu instid0(VALU_DEP_2) | instskip(NEXT) | instid1(VALU_DEP_1)
	v_sub_nc_u32_e32 v48, v82, v48
	v_subrev_nc_u32_e32 v50, s44, v48
	v_cmp_le_u32_e32 vcc_lo, s44, v48
	s_delay_alu instid0(VALU_DEP_2) | instskip(NEXT) | instid1(VALU_DEP_1)
	v_dual_cndmask_b32 v48, v48, v50 :: v_dual_cndmask_b32 v47, v47, v49
	v_cmp_le_u32_e32 vcc_lo, s44, v48
	s_delay_alu instid0(VALU_DEP_2) | instskip(NEXT) | instid1(VALU_DEP_1)
	v_dual_mov_b32 v48, 0 :: v_dual_add_nc_u32 v49, 1, v47
	v_cndmask_b32_e32 v47, v47, v49, vcc_lo
.LBB1139_101:
	s_or_b32 exec_lo, exec_lo, s2
	v_add_co_u32 v84, vcc_lo, 0xa00, v63
	v_add_co_ci_u32_e32 v85, vcc_lo, 0, v64, vcc_lo
	v_mov_b32_e32 v49, 0
	s_delay_alu instid0(VALU_DEP_2) | instskip(NEXT) | instid1(VALU_DEP_1)
	v_or_b32_e32 v50, s45, v85
	v_cmp_ne_u64_e32 vcc_lo, 0, v[49:50]
                                        ; implicit-def: $vgpr49_vgpr50
	s_and_saveexec_b32 s2, vcc_lo
	s_delay_alu instid0(SALU_CYCLE_1)
	s_xor_b32 s3, exec_lo, s2
	s_cbranch_execz .LBB1139_103
; %bb.102:
	s_ashr_i32 s4, s45, 31
	s_delay_alu instid0(SALU_CYCLE_1) | instskip(SKIP_2) | instid1(SALU_CYCLE_1)
	s_add_u32 s6, s44, s4
	s_mov_b32 s5, s4
	s_addc_u32 s7, s45, s4
	s_xor_b64 s[6:7], s[6:7], s[4:5]
	s_delay_alu instid0(SALU_CYCLE_1) | instskip(SKIP_3) | instid1(VALU_DEP_1)
	v_cvt_f32_u32_e32 v49, s6
	v_cvt_f32_u32_e32 v50, s7
	s_sub_u32 s2, 0, s6
	s_subb_u32 s5, 0, s7
	v_fmamk_f32 v49, v50, 0x4f800000, v49
	s_delay_alu instid0(VALU_DEP_1) | instskip(SKIP_2) | instid1(VALU_DEP_1)
	v_rcp_f32_e32 v49, v49
	s_waitcnt_depctr 0xfff
	v_mul_f32_e32 v49, 0x5f7ffffc, v49
	v_mul_f32_e32 v50, 0x2f800000, v49
	s_delay_alu instid0(VALU_DEP_1) | instskip(NEXT) | instid1(VALU_DEP_1)
	v_trunc_f32_e32 v50, v50
	v_fmamk_f32 v49, v50, 0xcf800000, v49
	v_cvt_u32_f32_e32 v50, v50
	s_delay_alu instid0(VALU_DEP_2) | instskip(NEXT) | instid1(VALU_DEP_2)
	v_cvt_u32_f32_e32 v49, v49
	v_mul_lo_u32 v51, s2, v50
	s_delay_alu instid0(VALU_DEP_2) | instskip(SKIP_1) | instid1(VALU_DEP_2)
	v_mul_hi_u32 v52, s2, v49
	v_mul_lo_u32 v53, s5, v49
	v_add_nc_u32_e32 v51, v52, v51
	v_mul_lo_u32 v52, s2, v49
	s_delay_alu instid0(VALU_DEP_2) | instskip(NEXT) | instid1(VALU_DEP_2)
	v_add_nc_u32_e32 v51, v51, v53
	v_mul_hi_u32 v53, v49, v52
	s_delay_alu instid0(VALU_DEP_2)
	v_mul_lo_u32 v54, v49, v51
	v_mul_hi_u32 v55, v49, v51
	v_mul_hi_u32 v56, v50, v52
	v_mul_lo_u32 v52, v50, v52
	v_mul_hi_u32 v59, v50, v51
	v_mul_lo_u32 v51, v50, v51
	v_add_co_u32 v53, vcc_lo, v53, v54
	v_add_co_ci_u32_e32 v54, vcc_lo, 0, v55, vcc_lo
	s_delay_alu instid0(VALU_DEP_2) | instskip(NEXT) | instid1(VALU_DEP_2)
	v_add_co_u32 v52, vcc_lo, v53, v52
	v_add_co_ci_u32_e32 v52, vcc_lo, v54, v56, vcc_lo
	v_add_co_ci_u32_e32 v53, vcc_lo, 0, v59, vcc_lo
	v_ashrrev_i32_e32 v56, 31, v85
	s_delay_alu instid0(VALU_DEP_3) | instskip(NEXT) | instid1(VALU_DEP_3)
	v_add_co_u32 v51, vcc_lo, v52, v51
	v_add_co_ci_u32_e32 v52, vcc_lo, 0, v53, vcc_lo
	s_delay_alu instid0(VALU_DEP_2) | instskip(NEXT) | instid1(VALU_DEP_2)
	v_add_co_u32 v49, vcc_lo, v49, v51
	v_add_co_ci_u32_e32 v50, vcc_lo, v50, v52, vcc_lo
	s_delay_alu instid0(VALU_DEP_2) | instskip(SKIP_1) | instid1(VALU_DEP_3)
	v_mul_hi_u32 v51, s2, v49
	v_mul_lo_u32 v53, s5, v49
	v_mul_lo_u32 v52, s2, v50
	s_delay_alu instid0(VALU_DEP_1) | instskip(SKIP_1) | instid1(VALU_DEP_2)
	v_add_nc_u32_e32 v51, v51, v52
	v_mul_lo_u32 v52, s2, v49
	v_add_nc_u32_e32 v51, v51, v53
	s_delay_alu instid0(VALU_DEP_2) | instskip(NEXT) | instid1(VALU_DEP_2)
	v_mul_hi_u32 v53, v49, v52
	v_mul_lo_u32 v54, v49, v51
	v_mul_hi_u32 v55, v49, v51
	v_mul_hi_u32 v59, v50, v52
	v_mul_lo_u32 v52, v50, v52
	v_mul_hi_u32 v60, v50, v51
	v_mul_lo_u32 v51, v50, v51
	v_add_co_u32 v53, vcc_lo, v53, v54
	v_add_co_ci_u32_e32 v54, vcc_lo, 0, v55, vcc_lo
	s_delay_alu instid0(VALU_DEP_2) | instskip(NEXT) | instid1(VALU_DEP_2)
	v_add_co_u32 v52, vcc_lo, v53, v52
	v_add_co_ci_u32_e32 v52, vcc_lo, v54, v59, vcc_lo
	v_add_co_ci_u32_e32 v53, vcc_lo, 0, v60, vcc_lo
	v_add_co_u32 v54, vcc_lo, v84, v56
	v_add_co_ci_u32_e32 v55, vcc_lo, v85, v56, vcc_lo
	s_delay_alu instid0(VALU_DEP_4) | instskip(NEXT) | instid1(VALU_DEP_4)
	v_add_co_u32 v51, vcc_lo, v52, v51
	v_add_co_ci_u32_e32 v52, vcc_lo, 0, v53, vcc_lo
	s_delay_alu instid0(VALU_DEP_4) | instskip(NEXT) | instid1(VALU_DEP_3)
	v_xor_b32_e32 v59, v54, v56
	v_add_co_u32 v53, vcc_lo, v49, v51
	s_delay_alu instid0(VALU_DEP_3) | instskip(SKIP_1) | instid1(VALU_DEP_3)
	v_add_co_ci_u32_e32 v60, vcc_lo, v50, v52, vcc_lo
	v_xor_b32_e32 v55, v55, v56
	v_mul_hi_u32 v86, v59, v53
	s_delay_alu instid0(VALU_DEP_3) | instskip(NEXT) | instid1(VALU_DEP_3)
	v_mad_u64_u32 v[49:50], null, v59, v60, 0
	v_mad_u64_u32 v[51:52], null, v55, v53, 0
	;; [unrolled: 1-line block ×3, first 2 shown]
	s_delay_alu instid0(VALU_DEP_3) | instskip(NEXT) | instid1(VALU_DEP_4)
	v_add_co_u32 v49, vcc_lo, v86, v49
	v_add_co_ci_u32_e32 v50, vcc_lo, 0, v50, vcc_lo
	s_delay_alu instid0(VALU_DEP_2) | instskip(NEXT) | instid1(VALU_DEP_2)
	v_add_co_u32 v49, vcc_lo, v49, v51
	v_add_co_ci_u32_e32 v49, vcc_lo, v50, v52, vcc_lo
	v_add_co_ci_u32_e32 v50, vcc_lo, 0, v54, vcc_lo
	s_delay_alu instid0(VALU_DEP_2) | instskip(NEXT) | instid1(VALU_DEP_2)
	v_add_co_u32 v51, vcc_lo, v49, v53
	v_add_co_ci_u32_e32 v52, vcc_lo, 0, v50, vcc_lo
	s_delay_alu instid0(VALU_DEP_2) | instskip(SKIP_1) | instid1(VALU_DEP_3)
	v_mul_lo_u32 v53, s7, v51
	v_mad_u64_u32 v[49:50], null, s6, v51, 0
	v_mul_lo_u32 v54, s6, v52
	s_delay_alu instid0(VALU_DEP_2) | instskip(NEXT) | instid1(VALU_DEP_2)
	v_sub_co_u32 v49, vcc_lo, v59, v49
	v_add3_u32 v50, v50, v54, v53
	s_delay_alu instid0(VALU_DEP_1) | instskip(NEXT) | instid1(VALU_DEP_1)
	v_sub_nc_u32_e32 v53, v55, v50
	v_subrev_co_ci_u32_e64 v53, s2, s7, v53, vcc_lo
	v_add_co_u32 v54, s2, v51, 2
	s_delay_alu instid0(VALU_DEP_1) | instskip(SKIP_3) | instid1(VALU_DEP_3)
	v_add_co_ci_u32_e64 v59, s2, 0, v52, s2
	v_sub_co_u32 v60, s2, v49, s6
	v_sub_co_ci_u32_e32 v50, vcc_lo, v55, v50, vcc_lo
	v_subrev_co_ci_u32_e64 v53, s2, 0, v53, s2
	v_cmp_le_u32_e32 vcc_lo, s6, v60
	s_delay_alu instid0(VALU_DEP_3) | instskip(SKIP_1) | instid1(VALU_DEP_4)
	v_cmp_eq_u32_e64 s2, s7, v50
	v_cndmask_b32_e64 v55, 0, -1, vcc_lo
	v_cmp_le_u32_e32 vcc_lo, s7, v53
	v_cndmask_b32_e64 v60, 0, -1, vcc_lo
	v_cmp_le_u32_e32 vcc_lo, s6, v49
	;; [unrolled: 2-line block ×3, first 2 shown]
	v_cndmask_b32_e64 v86, 0, -1, vcc_lo
	v_cmp_eq_u32_e32 vcc_lo, s7, v53
	s_delay_alu instid0(VALU_DEP_2) | instskip(SKIP_3) | instid1(VALU_DEP_3)
	v_cndmask_b32_e64 v49, v86, v49, s2
	v_cndmask_b32_e32 v53, v60, v55, vcc_lo
	v_add_co_u32 v55, vcc_lo, v51, 1
	v_add_co_ci_u32_e32 v60, vcc_lo, 0, v52, vcc_lo
	v_cmp_ne_u32_e32 vcc_lo, 0, v53
	s_delay_alu instid0(VALU_DEP_2) | instskip(SKIP_2) | instid1(VALU_DEP_3)
	v_dual_cndmask_b32 v50, v60, v59 :: v_dual_cndmask_b32 v53, v55, v54
	v_cmp_ne_u32_e32 vcc_lo, 0, v49
	v_xor_b32_e32 v54, s4, v56
	v_dual_cndmask_b32 v49, v52, v50 :: v_dual_cndmask_b32 v50, v51, v53
	s_delay_alu instid0(VALU_DEP_1) | instskip(NEXT) | instid1(VALU_DEP_2)
	v_xor_b32_e32 v51, v49, v54
	v_xor_b32_e32 v50, v50, v54
	s_delay_alu instid0(VALU_DEP_1) | instskip(NEXT) | instid1(VALU_DEP_3)
	v_sub_co_u32 v49, vcc_lo, v50, v54
	v_sub_co_ci_u32_e32 v50, vcc_lo, v51, v54, vcc_lo
.LBB1139_103:
	s_and_not1_saveexec_b32 s2, s3
	s_cbranch_execz .LBB1139_105
; %bb.104:
	v_rcp_iflag_f32_e32 v49, v69
	s_sub_i32 s3, 0, s44
	s_waitcnt_depctr 0xfff
	v_mul_f32_e32 v49, 0x4f7ffffe, v49
	s_delay_alu instid0(VALU_DEP_1) | instskip(NEXT) | instid1(VALU_DEP_1)
	v_cvt_u32_f32_e32 v49, v49
	v_mul_lo_u32 v50, s3, v49
	s_delay_alu instid0(VALU_DEP_1) | instskip(NEXT) | instid1(VALU_DEP_1)
	v_mul_hi_u32 v50, v49, v50
	v_add_nc_u32_e32 v49, v49, v50
	s_delay_alu instid0(VALU_DEP_1) | instskip(NEXT) | instid1(VALU_DEP_1)
	v_mul_hi_u32 v49, v84, v49
	v_mul_lo_u32 v50, v49, s44
	v_add_nc_u32_e32 v51, 1, v49
	s_delay_alu instid0(VALU_DEP_2) | instskip(NEXT) | instid1(VALU_DEP_1)
	v_sub_nc_u32_e32 v50, v84, v50
	v_subrev_nc_u32_e32 v52, s44, v50
	v_cmp_le_u32_e32 vcc_lo, s44, v50
	s_delay_alu instid0(VALU_DEP_2) | instskip(NEXT) | instid1(VALU_DEP_1)
	v_dual_cndmask_b32 v50, v50, v52 :: v_dual_cndmask_b32 v49, v49, v51
	v_cmp_le_u32_e32 vcc_lo, s44, v50
	s_delay_alu instid0(VALU_DEP_2) | instskip(NEXT) | instid1(VALU_DEP_1)
	v_dual_mov_b32 v50, 0 :: v_dual_add_nc_u32 v51, 1, v49
	v_cndmask_b32_e32 v49, v49, v51, vcc_lo
.LBB1139_105:
	s_or_b32 exec_lo, exec_lo, s2
	v_add_co_u32 v86, vcc_lo, 0xb00, v63
	v_add_co_ci_u32_e32 v87, vcc_lo, 0, v64, vcc_lo
	v_mov_b32_e32 v51, 0
	s_delay_alu instid0(VALU_DEP_2) | instskip(NEXT) | instid1(VALU_DEP_1)
	v_or_b32_e32 v52, s45, v87
	v_cmp_ne_u64_e32 vcc_lo, 0, v[51:52]
                                        ; implicit-def: $vgpr51_vgpr52
	s_and_saveexec_b32 s2, vcc_lo
	s_delay_alu instid0(SALU_CYCLE_1)
	s_xor_b32 s3, exec_lo, s2
	s_cbranch_execz .LBB1139_107
; %bb.106:
	s_ashr_i32 s4, s45, 31
	s_delay_alu instid0(SALU_CYCLE_1) | instskip(SKIP_2) | instid1(SALU_CYCLE_1)
	s_add_u32 s6, s44, s4
	s_mov_b32 s5, s4
	s_addc_u32 s7, s45, s4
	s_xor_b64 s[6:7], s[6:7], s[4:5]
	s_delay_alu instid0(SALU_CYCLE_1) | instskip(SKIP_3) | instid1(VALU_DEP_1)
	v_cvt_f32_u32_e32 v51, s6
	v_cvt_f32_u32_e32 v52, s7
	s_sub_u32 s2, 0, s6
	s_subb_u32 s5, 0, s7
	v_fmamk_f32 v51, v52, 0x4f800000, v51
	s_delay_alu instid0(VALU_DEP_1) | instskip(SKIP_2) | instid1(VALU_DEP_1)
	v_rcp_f32_e32 v51, v51
	s_waitcnt_depctr 0xfff
	v_mul_f32_e32 v51, 0x5f7ffffc, v51
	v_mul_f32_e32 v52, 0x2f800000, v51
	s_delay_alu instid0(VALU_DEP_1) | instskip(NEXT) | instid1(VALU_DEP_1)
	v_trunc_f32_e32 v52, v52
	v_fmamk_f32 v51, v52, 0xcf800000, v51
	v_cvt_u32_f32_e32 v52, v52
	s_delay_alu instid0(VALU_DEP_2) | instskip(NEXT) | instid1(VALU_DEP_2)
	v_cvt_u32_f32_e32 v51, v51
	v_mul_lo_u32 v53, s2, v52
	s_delay_alu instid0(VALU_DEP_2) | instskip(SKIP_1) | instid1(VALU_DEP_2)
	v_mul_hi_u32 v54, s2, v51
	v_mul_lo_u32 v55, s5, v51
	v_add_nc_u32_e32 v53, v54, v53
	v_mul_lo_u32 v54, s2, v51
	s_delay_alu instid0(VALU_DEP_2) | instskip(NEXT) | instid1(VALU_DEP_2)
	v_add_nc_u32_e32 v53, v53, v55
	v_mul_hi_u32 v55, v51, v54
	s_delay_alu instid0(VALU_DEP_2)
	v_mul_lo_u32 v56, v51, v53
	v_mul_hi_u32 v59, v51, v53
	v_mul_hi_u32 v60, v52, v54
	v_mul_lo_u32 v54, v52, v54
	v_mul_hi_u32 v88, v52, v53
	v_mul_lo_u32 v53, v52, v53
	v_add_co_u32 v55, vcc_lo, v55, v56
	v_add_co_ci_u32_e32 v56, vcc_lo, 0, v59, vcc_lo
	s_delay_alu instid0(VALU_DEP_2) | instskip(NEXT) | instid1(VALU_DEP_2)
	v_add_co_u32 v54, vcc_lo, v55, v54
	v_add_co_ci_u32_e32 v54, vcc_lo, v56, v60, vcc_lo
	v_add_co_ci_u32_e32 v55, vcc_lo, 0, v88, vcc_lo
	v_ashrrev_i32_e32 v60, 31, v87
	s_delay_alu instid0(VALU_DEP_3) | instskip(NEXT) | instid1(VALU_DEP_3)
	v_add_co_u32 v53, vcc_lo, v54, v53
	v_add_co_ci_u32_e32 v54, vcc_lo, 0, v55, vcc_lo
	s_delay_alu instid0(VALU_DEP_2) | instskip(NEXT) | instid1(VALU_DEP_2)
	v_add_co_u32 v51, vcc_lo, v51, v53
	v_add_co_ci_u32_e32 v52, vcc_lo, v52, v54, vcc_lo
	s_delay_alu instid0(VALU_DEP_2) | instskip(SKIP_1) | instid1(VALU_DEP_3)
	v_mul_hi_u32 v53, s2, v51
	v_mul_lo_u32 v55, s5, v51
	v_mul_lo_u32 v54, s2, v52
	s_delay_alu instid0(VALU_DEP_1) | instskip(SKIP_1) | instid1(VALU_DEP_2)
	v_add_nc_u32_e32 v53, v53, v54
	v_mul_lo_u32 v54, s2, v51
	v_add_nc_u32_e32 v53, v53, v55
	s_delay_alu instid0(VALU_DEP_2) | instskip(NEXT) | instid1(VALU_DEP_2)
	v_mul_hi_u32 v55, v51, v54
	v_mul_lo_u32 v56, v51, v53
	v_mul_hi_u32 v59, v51, v53
	v_mul_hi_u32 v88, v52, v54
	v_mul_lo_u32 v54, v52, v54
	v_mul_hi_u32 v89, v52, v53
	v_mul_lo_u32 v53, v52, v53
	v_add_co_u32 v55, vcc_lo, v55, v56
	v_add_co_ci_u32_e32 v56, vcc_lo, 0, v59, vcc_lo
	s_delay_alu instid0(VALU_DEP_2) | instskip(NEXT) | instid1(VALU_DEP_2)
	v_add_co_u32 v54, vcc_lo, v55, v54
	v_add_co_ci_u32_e32 v54, vcc_lo, v56, v88, vcc_lo
	v_add_co_ci_u32_e32 v55, vcc_lo, 0, v89, vcc_lo
	v_add_co_u32 v56, vcc_lo, v86, v60
	v_add_co_ci_u32_e32 v59, vcc_lo, v87, v60, vcc_lo
	s_delay_alu instid0(VALU_DEP_4) | instskip(NEXT) | instid1(VALU_DEP_4)
	v_add_co_u32 v53, vcc_lo, v54, v53
	v_add_co_ci_u32_e32 v54, vcc_lo, 0, v55, vcc_lo
	s_delay_alu instid0(VALU_DEP_4) | instskip(NEXT) | instid1(VALU_DEP_3)
	v_xor_b32_e32 v88, v56, v60
	v_add_co_u32 v55, vcc_lo, v51, v53
	s_delay_alu instid0(VALU_DEP_3) | instskip(SKIP_1) | instid1(VALU_DEP_3)
	v_add_co_ci_u32_e32 v89, vcc_lo, v52, v54, vcc_lo
	v_xor_b32_e32 v59, v59, v60
	v_mul_hi_u32 v90, v88, v55
	s_delay_alu instid0(VALU_DEP_3) | instskip(NEXT) | instid1(VALU_DEP_3)
	v_mad_u64_u32 v[51:52], null, v88, v89, 0
	v_mad_u64_u32 v[53:54], null, v59, v55, 0
	;; [unrolled: 1-line block ×3, first 2 shown]
	s_delay_alu instid0(VALU_DEP_3) | instskip(NEXT) | instid1(VALU_DEP_4)
	v_add_co_u32 v51, vcc_lo, v90, v51
	v_add_co_ci_u32_e32 v52, vcc_lo, 0, v52, vcc_lo
	s_delay_alu instid0(VALU_DEP_2) | instskip(NEXT) | instid1(VALU_DEP_2)
	v_add_co_u32 v51, vcc_lo, v51, v53
	v_add_co_ci_u32_e32 v51, vcc_lo, v52, v54, vcc_lo
	v_add_co_ci_u32_e32 v52, vcc_lo, 0, v56, vcc_lo
	s_delay_alu instid0(VALU_DEP_2) | instskip(NEXT) | instid1(VALU_DEP_2)
	v_add_co_u32 v53, vcc_lo, v51, v55
	v_add_co_ci_u32_e32 v54, vcc_lo, 0, v52, vcc_lo
	s_delay_alu instid0(VALU_DEP_2) | instskip(SKIP_1) | instid1(VALU_DEP_3)
	v_mul_lo_u32 v55, s7, v53
	v_mad_u64_u32 v[51:52], null, s6, v53, 0
	v_mul_lo_u32 v56, s6, v54
	s_delay_alu instid0(VALU_DEP_2) | instskip(NEXT) | instid1(VALU_DEP_2)
	v_sub_co_u32 v51, vcc_lo, v88, v51
	v_add3_u32 v52, v52, v56, v55
	s_delay_alu instid0(VALU_DEP_1) | instskip(NEXT) | instid1(VALU_DEP_1)
	v_sub_nc_u32_e32 v55, v59, v52
	v_subrev_co_ci_u32_e64 v55, s2, s7, v55, vcc_lo
	v_add_co_u32 v56, s2, v53, 2
	s_delay_alu instid0(VALU_DEP_1) | instskip(SKIP_3) | instid1(VALU_DEP_3)
	v_add_co_ci_u32_e64 v88, s2, 0, v54, s2
	v_sub_co_u32 v89, s2, v51, s6
	v_sub_co_ci_u32_e32 v52, vcc_lo, v59, v52, vcc_lo
	v_subrev_co_ci_u32_e64 v55, s2, 0, v55, s2
	v_cmp_le_u32_e32 vcc_lo, s6, v89
	s_delay_alu instid0(VALU_DEP_3) | instskip(SKIP_1) | instid1(VALU_DEP_4)
	v_cmp_eq_u32_e64 s2, s7, v52
	v_cndmask_b32_e64 v59, 0, -1, vcc_lo
	v_cmp_le_u32_e32 vcc_lo, s7, v55
	v_cndmask_b32_e64 v89, 0, -1, vcc_lo
	v_cmp_le_u32_e32 vcc_lo, s6, v51
	;; [unrolled: 2-line block ×3, first 2 shown]
	v_cndmask_b32_e64 v90, 0, -1, vcc_lo
	v_cmp_eq_u32_e32 vcc_lo, s7, v55
	s_delay_alu instid0(VALU_DEP_2) | instskip(SKIP_3) | instid1(VALU_DEP_3)
	v_cndmask_b32_e64 v51, v90, v51, s2
	v_cndmask_b32_e32 v55, v89, v59, vcc_lo
	v_add_co_u32 v59, vcc_lo, v53, 1
	v_add_co_ci_u32_e32 v89, vcc_lo, 0, v54, vcc_lo
	v_cmp_ne_u32_e32 vcc_lo, 0, v55
	s_delay_alu instid0(VALU_DEP_2) | instskip(NEXT) | instid1(VALU_DEP_4)
	v_cndmask_b32_e32 v52, v89, v88, vcc_lo
	v_cndmask_b32_e32 v55, v59, v56, vcc_lo
	v_cmp_ne_u32_e32 vcc_lo, 0, v51
	v_xor_b32_e32 v56, s4, v60
	s_delay_alu instid0(VALU_DEP_3) | instskip(NEXT) | instid1(VALU_DEP_1)
	v_dual_cndmask_b32 v51, v54, v52 :: v_dual_cndmask_b32 v52, v53, v55
	v_xor_b32_e32 v53, v51, v56
	s_delay_alu instid0(VALU_DEP_2) | instskip(NEXT) | instid1(VALU_DEP_1)
	v_xor_b32_e32 v52, v52, v56
	v_sub_co_u32 v51, vcc_lo, v52, v56
	s_delay_alu instid0(VALU_DEP_3)
	v_sub_co_ci_u32_e32 v52, vcc_lo, v53, v56, vcc_lo
.LBB1139_107:
	s_and_not1_saveexec_b32 s2, s3
	s_cbranch_execz .LBB1139_109
; %bb.108:
	v_rcp_iflag_f32_e32 v51, v69
	s_sub_i32 s3, 0, s44
	s_waitcnt_depctr 0xfff
	v_mul_f32_e32 v51, 0x4f7ffffe, v51
	s_delay_alu instid0(VALU_DEP_1) | instskip(NEXT) | instid1(VALU_DEP_1)
	v_cvt_u32_f32_e32 v51, v51
	v_mul_lo_u32 v52, s3, v51
	s_delay_alu instid0(VALU_DEP_1) | instskip(NEXT) | instid1(VALU_DEP_1)
	v_mul_hi_u32 v52, v51, v52
	v_add_nc_u32_e32 v51, v51, v52
	s_delay_alu instid0(VALU_DEP_1) | instskip(NEXT) | instid1(VALU_DEP_1)
	v_mul_hi_u32 v51, v86, v51
	v_mul_lo_u32 v52, v51, s44
	v_add_nc_u32_e32 v53, 1, v51
	s_delay_alu instid0(VALU_DEP_2) | instskip(NEXT) | instid1(VALU_DEP_1)
	v_sub_nc_u32_e32 v52, v86, v52
	v_subrev_nc_u32_e32 v54, s44, v52
	v_cmp_le_u32_e32 vcc_lo, s44, v52
	s_delay_alu instid0(VALU_DEP_2) | instskip(NEXT) | instid1(VALU_DEP_1)
	v_dual_cndmask_b32 v52, v52, v54 :: v_dual_cndmask_b32 v51, v51, v53
	v_cmp_le_u32_e32 vcc_lo, s44, v52
	s_delay_alu instid0(VALU_DEP_2) | instskip(NEXT) | instid1(VALU_DEP_1)
	v_dual_mov_b32 v52, 0 :: v_dual_add_nc_u32 v53, 1, v51
	v_cndmask_b32_e32 v51, v51, v53, vcc_lo
.LBB1139_109:
	s_or_b32 exec_lo, exec_lo, s2
	v_add_co_u32 v88, vcc_lo, 0xc00, v63
	v_add_co_ci_u32_e32 v89, vcc_lo, 0, v64, vcc_lo
	v_mov_b32_e32 v53, 0
	s_delay_alu instid0(VALU_DEP_2) | instskip(NEXT) | instid1(VALU_DEP_1)
	v_or_b32_e32 v54, s45, v89
	v_cmp_ne_u64_e32 vcc_lo, 0, v[53:54]
                                        ; implicit-def: $vgpr53_vgpr54
	s_and_saveexec_b32 s2, vcc_lo
	s_delay_alu instid0(SALU_CYCLE_1)
	s_xor_b32 s3, exec_lo, s2
	s_cbranch_execz .LBB1139_111
; %bb.110:
	s_ashr_i32 s4, s45, 31
	s_delay_alu instid0(SALU_CYCLE_1) | instskip(SKIP_2) | instid1(SALU_CYCLE_1)
	s_add_u32 s6, s44, s4
	s_mov_b32 s5, s4
	s_addc_u32 s7, s45, s4
	s_xor_b64 s[6:7], s[6:7], s[4:5]
	s_delay_alu instid0(SALU_CYCLE_1) | instskip(SKIP_3) | instid1(VALU_DEP_1)
	v_cvt_f32_u32_e32 v53, s6
	v_cvt_f32_u32_e32 v54, s7
	s_sub_u32 s2, 0, s6
	s_subb_u32 s5, 0, s7
	v_fmamk_f32 v53, v54, 0x4f800000, v53
	s_delay_alu instid0(VALU_DEP_1) | instskip(SKIP_2) | instid1(VALU_DEP_1)
	v_rcp_f32_e32 v53, v53
	s_waitcnt_depctr 0xfff
	v_mul_f32_e32 v53, 0x5f7ffffc, v53
	v_mul_f32_e32 v54, 0x2f800000, v53
	s_delay_alu instid0(VALU_DEP_1) | instskip(NEXT) | instid1(VALU_DEP_1)
	v_trunc_f32_e32 v54, v54
	v_fmamk_f32 v53, v54, 0xcf800000, v53
	v_cvt_u32_f32_e32 v54, v54
	s_delay_alu instid0(VALU_DEP_2) | instskip(NEXT) | instid1(VALU_DEP_2)
	v_cvt_u32_f32_e32 v53, v53
	v_mul_lo_u32 v55, s2, v54
	s_delay_alu instid0(VALU_DEP_2) | instskip(SKIP_1) | instid1(VALU_DEP_2)
	v_mul_hi_u32 v56, s2, v53
	v_mul_lo_u32 v59, s5, v53
	v_add_nc_u32_e32 v55, v56, v55
	v_mul_lo_u32 v56, s2, v53
	s_delay_alu instid0(VALU_DEP_2) | instskip(NEXT) | instid1(VALU_DEP_2)
	v_add_nc_u32_e32 v55, v55, v59
	v_mul_hi_u32 v59, v53, v56
	s_delay_alu instid0(VALU_DEP_2)
	v_mul_lo_u32 v60, v53, v55
	v_mul_hi_u32 v90, v53, v55
	v_mul_hi_u32 v91, v54, v56
	v_mul_lo_u32 v56, v54, v56
	v_mul_hi_u32 v92, v54, v55
	v_mul_lo_u32 v55, v54, v55
	v_add_co_u32 v59, vcc_lo, v59, v60
	v_add_co_ci_u32_e32 v60, vcc_lo, 0, v90, vcc_lo
	s_delay_alu instid0(VALU_DEP_2) | instskip(NEXT) | instid1(VALU_DEP_2)
	v_add_co_u32 v56, vcc_lo, v59, v56
	v_add_co_ci_u32_e32 v56, vcc_lo, v60, v91, vcc_lo
	v_add_co_ci_u32_e32 v59, vcc_lo, 0, v92, vcc_lo
	v_ashrrev_i32_e32 v91, 31, v89
	s_delay_alu instid0(VALU_DEP_3) | instskip(NEXT) | instid1(VALU_DEP_3)
	v_add_co_u32 v55, vcc_lo, v56, v55
	v_add_co_ci_u32_e32 v56, vcc_lo, 0, v59, vcc_lo
	s_delay_alu instid0(VALU_DEP_2) | instskip(NEXT) | instid1(VALU_DEP_2)
	v_add_co_u32 v53, vcc_lo, v53, v55
	v_add_co_ci_u32_e32 v54, vcc_lo, v54, v56, vcc_lo
	s_delay_alu instid0(VALU_DEP_2) | instskip(SKIP_1) | instid1(VALU_DEP_3)
	v_mul_hi_u32 v55, s2, v53
	v_mul_lo_u32 v59, s5, v53
	v_mul_lo_u32 v56, s2, v54
	s_delay_alu instid0(VALU_DEP_1) | instskip(SKIP_1) | instid1(VALU_DEP_2)
	v_add_nc_u32_e32 v55, v55, v56
	v_mul_lo_u32 v56, s2, v53
	v_add_nc_u32_e32 v55, v55, v59
	s_delay_alu instid0(VALU_DEP_2) | instskip(NEXT) | instid1(VALU_DEP_2)
	v_mul_hi_u32 v59, v53, v56
	v_mul_lo_u32 v60, v53, v55
	v_mul_hi_u32 v90, v53, v55
	v_mul_hi_u32 v92, v54, v56
	v_mul_lo_u32 v56, v54, v56
	v_mul_hi_u32 v93, v54, v55
	v_mul_lo_u32 v55, v54, v55
	v_add_co_u32 v59, vcc_lo, v59, v60
	v_add_co_ci_u32_e32 v60, vcc_lo, 0, v90, vcc_lo
	s_delay_alu instid0(VALU_DEP_2) | instskip(NEXT) | instid1(VALU_DEP_2)
	v_add_co_u32 v56, vcc_lo, v59, v56
	v_add_co_ci_u32_e32 v56, vcc_lo, v60, v92, vcc_lo
	v_add_co_ci_u32_e32 v59, vcc_lo, 0, v93, vcc_lo
	v_add_co_u32 v60, vcc_lo, v88, v91
	v_add_co_ci_u32_e32 v90, vcc_lo, v89, v91, vcc_lo
	s_delay_alu instid0(VALU_DEP_4) | instskip(NEXT) | instid1(VALU_DEP_4)
	v_add_co_u32 v55, vcc_lo, v56, v55
	v_add_co_ci_u32_e32 v56, vcc_lo, 0, v59, vcc_lo
	s_delay_alu instid0(VALU_DEP_4) | instskip(NEXT) | instid1(VALU_DEP_3)
	v_xor_b32_e32 v92, v60, v91
	v_add_co_u32 v59, vcc_lo, v53, v55
	s_delay_alu instid0(VALU_DEP_3) | instskip(SKIP_1) | instid1(VALU_DEP_3)
	v_add_co_ci_u32_e32 v93, vcc_lo, v54, v56, vcc_lo
	v_xor_b32_e32 v90, v90, v91
	v_mul_hi_u32 v94, v92, v59
	s_delay_alu instid0(VALU_DEP_3) | instskip(NEXT) | instid1(VALU_DEP_3)
	v_mad_u64_u32 v[53:54], null, v92, v93, 0
	v_mad_u64_u32 v[55:56], null, v90, v59, 0
	;; [unrolled: 1-line block ×3, first 2 shown]
	s_delay_alu instid0(VALU_DEP_3) | instskip(NEXT) | instid1(VALU_DEP_4)
	v_add_co_u32 v53, vcc_lo, v94, v53
	v_add_co_ci_u32_e32 v54, vcc_lo, 0, v54, vcc_lo
	s_delay_alu instid0(VALU_DEP_2) | instskip(NEXT) | instid1(VALU_DEP_2)
	v_add_co_u32 v53, vcc_lo, v53, v55
	v_add_co_ci_u32_e32 v53, vcc_lo, v54, v56, vcc_lo
	v_add_co_ci_u32_e32 v54, vcc_lo, 0, v60, vcc_lo
	s_delay_alu instid0(VALU_DEP_2) | instskip(NEXT) | instid1(VALU_DEP_2)
	v_add_co_u32 v55, vcc_lo, v53, v59
	v_add_co_ci_u32_e32 v56, vcc_lo, 0, v54, vcc_lo
	s_delay_alu instid0(VALU_DEP_2) | instskip(SKIP_1) | instid1(VALU_DEP_3)
	v_mul_lo_u32 v59, s7, v55
	v_mad_u64_u32 v[53:54], null, s6, v55, 0
	v_mul_lo_u32 v60, s6, v56
	s_delay_alu instid0(VALU_DEP_2) | instskip(NEXT) | instid1(VALU_DEP_2)
	v_sub_co_u32 v53, vcc_lo, v92, v53
	v_add3_u32 v54, v54, v60, v59
	s_delay_alu instid0(VALU_DEP_1) | instskip(NEXT) | instid1(VALU_DEP_1)
	v_sub_nc_u32_e32 v59, v90, v54
	v_subrev_co_ci_u32_e64 v59, s2, s7, v59, vcc_lo
	v_add_co_u32 v60, s2, v55, 2
	s_delay_alu instid0(VALU_DEP_1) | instskip(SKIP_3) | instid1(VALU_DEP_3)
	v_add_co_ci_u32_e64 v92, s2, 0, v56, s2
	v_sub_co_u32 v93, s2, v53, s6
	v_sub_co_ci_u32_e32 v54, vcc_lo, v90, v54, vcc_lo
	v_subrev_co_ci_u32_e64 v59, s2, 0, v59, s2
	v_cmp_le_u32_e32 vcc_lo, s6, v93
	s_delay_alu instid0(VALU_DEP_3) | instskip(SKIP_1) | instid1(VALU_DEP_4)
	v_cmp_eq_u32_e64 s2, s7, v54
	v_cndmask_b32_e64 v90, 0, -1, vcc_lo
	v_cmp_le_u32_e32 vcc_lo, s7, v59
	v_cndmask_b32_e64 v93, 0, -1, vcc_lo
	v_cmp_le_u32_e32 vcc_lo, s6, v53
	;; [unrolled: 2-line block ×3, first 2 shown]
	v_cndmask_b32_e64 v94, 0, -1, vcc_lo
	v_cmp_eq_u32_e32 vcc_lo, s7, v59
	s_delay_alu instid0(VALU_DEP_2) | instskip(SKIP_3) | instid1(VALU_DEP_3)
	v_cndmask_b32_e64 v53, v94, v53, s2
	v_cndmask_b32_e32 v59, v93, v90, vcc_lo
	v_add_co_u32 v90, vcc_lo, v55, 1
	v_add_co_ci_u32_e32 v93, vcc_lo, 0, v56, vcc_lo
	v_cmp_ne_u32_e32 vcc_lo, 0, v59
	s_delay_alu instid0(VALU_DEP_2) | instskip(NEXT) | instid1(VALU_DEP_4)
	v_cndmask_b32_e32 v54, v93, v92, vcc_lo
	v_cndmask_b32_e32 v59, v90, v60, vcc_lo
	v_cmp_ne_u32_e32 vcc_lo, 0, v53
	v_xor_b32_e32 v60, s4, v91
	s_delay_alu instid0(VALU_DEP_3) | instskip(NEXT) | instid1(VALU_DEP_1)
	v_dual_cndmask_b32 v53, v56, v54 :: v_dual_cndmask_b32 v54, v55, v59
	v_xor_b32_e32 v55, v53, v60
	s_delay_alu instid0(VALU_DEP_2) | instskip(NEXT) | instid1(VALU_DEP_1)
	v_xor_b32_e32 v54, v54, v60
	v_sub_co_u32 v53, vcc_lo, v54, v60
	s_delay_alu instid0(VALU_DEP_3)
	v_sub_co_ci_u32_e32 v54, vcc_lo, v55, v60, vcc_lo
.LBB1139_111:
	s_and_not1_saveexec_b32 s2, s3
	s_cbranch_execz .LBB1139_113
; %bb.112:
	v_rcp_iflag_f32_e32 v53, v69
	s_sub_i32 s3, 0, s44
	s_waitcnt_depctr 0xfff
	v_mul_f32_e32 v53, 0x4f7ffffe, v53
	s_delay_alu instid0(VALU_DEP_1) | instskip(NEXT) | instid1(VALU_DEP_1)
	v_cvt_u32_f32_e32 v53, v53
	v_mul_lo_u32 v54, s3, v53
	s_delay_alu instid0(VALU_DEP_1) | instskip(NEXT) | instid1(VALU_DEP_1)
	v_mul_hi_u32 v54, v53, v54
	v_add_nc_u32_e32 v53, v53, v54
	s_delay_alu instid0(VALU_DEP_1) | instskip(NEXT) | instid1(VALU_DEP_1)
	v_mul_hi_u32 v53, v88, v53
	v_mul_lo_u32 v54, v53, s44
	v_add_nc_u32_e32 v55, 1, v53
	s_delay_alu instid0(VALU_DEP_2) | instskip(NEXT) | instid1(VALU_DEP_1)
	v_sub_nc_u32_e32 v54, v88, v54
	v_subrev_nc_u32_e32 v56, s44, v54
	v_cmp_le_u32_e32 vcc_lo, s44, v54
	s_delay_alu instid0(VALU_DEP_2) | instskip(NEXT) | instid1(VALU_DEP_1)
	v_dual_cndmask_b32 v54, v54, v56 :: v_dual_cndmask_b32 v53, v53, v55
	v_cmp_le_u32_e32 vcc_lo, s44, v54
	s_delay_alu instid0(VALU_DEP_2) | instskip(NEXT) | instid1(VALU_DEP_1)
	v_dual_mov_b32 v54, 0 :: v_dual_add_nc_u32 v55, 1, v53
	v_cndmask_b32_e32 v53, v53, v55, vcc_lo
.LBB1139_113:
	s_or_b32 exec_lo, exec_lo, s2
	v_add_co_u32 v92, vcc_lo, 0xd00, v63
	v_add_co_ci_u32_e32 v93, vcc_lo, 0, v64, vcc_lo
	v_mov_b32_e32 v55, 0
                                        ; implicit-def: $vgpr59_vgpr60
	s_mov_b32 s2, exec_lo
	s_delay_alu instid0(VALU_DEP_2) | instskip(NEXT) | instid1(VALU_DEP_1)
	v_or_b32_e32 v56, s45, v93
	v_cmpx_ne_u64_e32 0, v[55:56]
	s_xor_b32 s3, exec_lo, s2
	s_cbranch_execz .LBB1139_115
; %bb.114:
	s_ashr_i32 s4, s45, 31
	s_delay_alu instid0(SALU_CYCLE_1) | instskip(SKIP_2) | instid1(SALU_CYCLE_1)
	s_add_u32 s6, s44, s4
	s_mov_b32 s5, s4
	s_addc_u32 s7, s45, s4
	s_xor_b64 s[6:7], s[6:7], s[4:5]
	s_delay_alu instid0(SALU_CYCLE_1) | instskip(SKIP_3) | instid1(VALU_DEP_1)
	v_cvt_f32_u32_e32 v55, s6
	v_cvt_f32_u32_e32 v56, s7
	s_sub_u32 s2, 0, s6
	s_subb_u32 s5, 0, s7
	v_fmamk_f32 v55, v56, 0x4f800000, v55
	s_delay_alu instid0(VALU_DEP_1) | instskip(SKIP_2) | instid1(VALU_DEP_1)
	v_rcp_f32_e32 v55, v55
	s_waitcnt_depctr 0xfff
	v_mul_f32_e32 v55, 0x5f7ffffc, v55
	v_mul_f32_e32 v56, 0x2f800000, v55
	s_delay_alu instid0(VALU_DEP_1) | instskip(NEXT) | instid1(VALU_DEP_1)
	v_trunc_f32_e32 v56, v56
	v_fmamk_f32 v55, v56, 0xcf800000, v55
	v_cvt_u32_f32_e32 v56, v56
	s_delay_alu instid0(VALU_DEP_2) | instskip(NEXT) | instid1(VALU_DEP_2)
	v_cvt_u32_f32_e32 v55, v55
	v_mul_lo_u32 v59, s2, v56
	s_delay_alu instid0(VALU_DEP_2) | instskip(SKIP_1) | instid1(VALU_DEP_2)
	v_mul_hi_u32 v60, s2, v55
	v_mul_lo_u32 v90, s5, v55
	v_add_nc_u32_e32 v59, v60, v59
	v_mul_lo_u32 v60, s2, v55
	s_delay_alu instid0(VALU_DEP_2) | instskip(NEXT) | instid1(VALU_DEP_2)
	v_add_nc_u32_e32 v59, v59, v90
	v_mul_hi_u32 v90, v55, v60
	s_delay_alu instid0(VALU_DEP_2)
	v_mul_lo_u32 v91, v55, v59
	v_mul_hi_u32 v94, v55, v59
	v_mul_hi_u32 v95, v56, v60
	v_mul_lo_u32 v60, v56, v60
	v_mul_hi_u32 v96, v56, v59
	v_mul_lo_u32 v59, v56, v59
	v_add_co_u32 v90, vcc_lo, v90, v91
	v_add_co_ci_u32_e32 v91, vcc_lo, 0, v94, vcc_lo
	s_delay_alu instid0(VALU_DEP_2) | instskip(NEXT) | instid1(VALU_DEP_2)
	v_add_co_u32 v60, vcc_lo, v90, v60
	v_add_co_ci_u32_e32 v60, vcc_lo, v91, v95, vcc_lo
	v_add_co_ci_u32_e32 v90, vcc_lo, 0, v96, vcc_lo
	v_ashrrev_i32_e32 v95, 31, v93
	s_delay_alu instid0(VALU_DEP_3) | instskip(NEXT) | instid1(VALU_DEP_3)
	v_add_co_u32 v59, vcc_lo, v60, v59
	v_add_co_ci_u32_e32 v60, vcc_lo, 0, v90, vcc_lo
	s_delay_alu instid0(VALU_DEP_2) | instskip(NEXT) | instid1(VALU_DEP_2)
	v_add_co_u32 v55, vcc_lo, v55, v59
	v_add_co_ci_u32_e32 v56, vcc_lo, v56, v60, vcc_lo
	s_delay_alu instid0(VALU_DEP_2) | instskip(SKIP_1) | instid1(VALU_DEP_3)
	v_mul_hi_u32 v59, s2, v55
	v_mul_lo_u32 v90, s5, v55
	v_mul_lo_u32 v60, s2, v56
	s_delay_alu instid0(VALU_DEP_1) | instskip(SKIP_1) | instid1(VALU_DEP_2)
	v_add_nc_u32_e32 v59, v59, v60
	v_mul_lo_u32 v60, s2, v55
	v_add_nc_u32_e32 v59, v59, v90
	s_delay_alu instid0(VALU_DEP_2) | instskip(NEXT) | instid1(VALU_DEP_2)
	v_mul_hi_u32 v90, v55, v60
	v_mul_lo_u32 v91, v55, v59
	v_mul_hi_u32 v94, v55, v59
	v_mul_hi_u32 v96, v56, v60
	v_mul_lo_u32 v60, v56, v60
	v_mul_hi_u32 v97, v56, v59
	v_mul_lo_u32 v59, v56, v59
	v_add_co_u32 v90, vcc_lo, v90, v91
	v_add_co_ci_u32_e32 v91, vcc_lo, 0, v94, vcc_lo
	s_delay_alu instid0(VALU_DEP_2) | instskip(NEXT) | instid1(VALU_DEP_2)
	v_add_co_u32 v60, vcc_lo, v90, v60
	v_add_co_ci_u32_e32 v60, vcc_lo, v91, v96, vcc_lo
	v_add_co_ci_u32_e32 v90, vcc_lo, 0, v97, vcc_lo
	v_add_co_u32 v91, vcc_lo, v92, v95
	v_add_co_ci_u32_e32 v94, vcc_lo, v93, v95, vcc_lo
	s_delay_alu instid0(VALU_DEP_4) | instskip(NEXT) | instid1(VALU_DEP_4)
	v_add_co_u32 v59, vcc_lo, v60, v59
	v_add_co_ci_u32_e32 v60, vcc_lo, 0, v90, vcc_lo
	s_delay_alu instid0(VALU_DEP_4) | instskip(NEXT) | instid1(VALU_DEP_3)
	v_xor_b32_e32 v96, v91, v95
	v_add_co_u32 v90, vcc_lo, v55, v59
	s_delay_alu instid0(VALU_DEP_3) | instskip(SKIP_1) | instid1(VALU_DEP_3)
	v_add_co_ci_u32_e32 v97, vcc_lo, v56, v60, vcc_lo
	v_xor_b32_e32 v94, v94, v95
	v_mul_hi_u32 v98, v96, v90
	s_delay_alu instid0(VALU_DEP_3) | instskip(NEXT) | instid1(VALU_DEP_3)
	v_mad_u64_u32 v[55:56], null, v96, v97, 0
	v_mad_u64_u32 v[59:60], null, v94, v90, 0
	;; [unrolled: 1-line block ×3, first 2 shown]
	s_delay_alu instid0(VALU_DEP_3) | instskip(NEXT) | instid1(VALU_DEP_4)
	v_add_co_u32 v55, vcc_lo, v98, v55
	v_add_co_ci_u32_e32 v56, vcc_lo, 0, v56, vcc_lo
	s_delay_alu instid0(VALU_DEP_2) | instskip(NEXT) | instid1(VALU_DEP_2)
	v_add_co_u32 v55, vcc_lo, v55, v59
	v_add_co_ci_u32_e32 v55, vcc_lo, v56, v60, vcc_lo
	v_add_co_ci_u32_e32 v56, vcc_lo, 0, v91, vcc_lo
	s_delay_alu instid0(VALU_DEP_2) | instskip(NEXT) | instid1(VALU_DEP_2)
	v_add_co_u32 v59, vcc_lo, v55, v90
	v_add_co_ci_u32_e32 v60, vcc_lo, 0, v56, vcc_lo
	s_delay_alu instid0(VALU_DEP_2) | instskip(SKIP_1) | instid1(VALU_DEP_3)
	v_mul_lo_u32 v90, s7, v59
	v_mad_u64_u32 v[55:56], null, s6, v59, 0
	v_mul_lo_u32 v91, s6, v60
	s_delay_alu instid0(VALU_DEP_2) | instskip(NEXT) | instid1(VALU_DEP_2)
	v_sub_co_u32 v55, vcc_lo, v96, v55
	v_add3_u32 v56, v56, v91, v90
	s_delay_alu instid0(VALU_DEP_1) | instskip(NEXT) | instid1(VALU_DEP_1)
	v_sub_nc_u32_e32 v90, v94, v56
	v_subrev_co_ci_u32_e64 v90, s2, s7, v90, vcc_lo
	v_add_co_u32 v91, s2, v59, 2
	s_delay_alu instid0(VALU_DEP_1) | instskip(SKIP_3) | instid1(VALU_DEP_3)
	v_add_co_ci_u32_e64 v96, s2, 0, v60, s2
	v_sub_co_u32 v97, s2, v55, s6
	v_sub_co_ci_u32_e32 v56, vcc_lo, v94, v56, vcc_lo
	v_subrev_co_ci_u32_e64 v90, s2, 0, v90, s2
	v_cmp_le_u32_e32 vcc_lo, s6, v97
	s_delay_alu instid0(VALU_DEP_3) | instskip(SKIP_1) | instid1(VALU_DEP_4)
	v_cmp_eq_u32_e64 s2, s7, v56
	v_cndmask_b32_e64 v94, 0, -1, vcc_lo
	v_cmp_le_u32_e32 vcc_lo, s7, v90
	v_cndmask_b32_e64 v97, 0, -1, vcc_lo
	v_cmp_le_u32_e32 vcc_lo, s6, v55
	v_cndmask_b32_e64 v55, 0, -1, vcc_lo
	v_cmp_le_u32_e32 vcc_lo, s7, v56
	v_cndmask_b32_e64 v98, 0, -1, vcc_lo
	v_cmp_eq_u32_e32 vcc_lo, s7, v90
	s_delay_alu instid0(VALU_DEP_2) | instskip(SKIP_3) | instid1(VALU_DEP_3)
	v_cndmask_b32_e64 v55, v98, v55, s2
	v_cndmask_b32_e32 v90, v97, v94, vcc_lo
	v_add_co_u32 v94, vcc_lo, v59, 1
	v_add_co_ci_u32_e32 v97, vcc_lo, 0, v60, vcc_lo
	v_cmp_ne_u32_e32 vcc_lo, 0, v90
	s_delay_alu instid0(VALU_DEP_2) | instskip(NEXT) | instid1(VALU_DEP_4)
	v_cndmask_b32_e32 v56, v97, v96, vcc_lo
	v_cndmask_b32_e32 v90, v94, v91, vcc_lo
	v_cmp_ne_u32_e32 vcc_lo, 0, v55
	v_xor_b32_e32 v55, s4, v95
	s_delay_alu instid0(VALU_DEP_3) | instskip(NEXT) | instid1(VALU_DEP_1)
	v_dual_cndmask_b32 v56, v60, v56 :: v_dual_cndmask_b32 v59, v59, v90
	v_xor_b32_e32 v56, v56, v55
	s_delay_alu instid0(VALU_DEP_2) | instskip(NEXT) | instid1(VALU_DEP_1)
	v_xor_b32_e32 v59, v59, v55
	v_sub_co_u32 v59, vcc_lo, v59, v55
	s_delay_alu instid0(VALU_DEP_3)
	v_sub_co_ci_u32_e32 v60, vcc_lo, v56, v55, vcc_lo
.LBB1139_115:
	s_and_not1_saveexec_b32 s2, s3
	s_cbranch_execz .LBB1139_117
; %bb.116:
	v_rcp_iflag_f32_e32 v55, v69
	s_sub_i32 s3, 0, s44
	s_waitcnt_depctr 0xfff
	v_mul_f32_e32 v55, 0x4f7ffffe, v55
	s_delay_alu instid0(VALU_DEP_1) | instskip(NEXT) | instid1(VALU_DEP_1)
	v_cvt_u32_f32_e32 v55, v55
	v_mul_lo_u32 v56, s3, v55
	s_delay_alu instid0(VALU_DEP_1) | instskip(NEXT) | instid1(VALU_DEP_1)
	v_mul_hi_u32 v56, v55, v56
	v_add_nc_u32_e32 v55, v55, v56
	s_delay_alu instid0(VALU_DEP_1) | instskip(NEXT) | instid1(VALU_DEP_1)
	v_mul_hi_u32 v55, v92, v55
	v_mul_lo_u32 v56, v55, s44
	v_add_nc_u32_e32 v59, 1, v55
	s_delay_alu instid0(VALU_DEP_2) | instskip(NEXT) | instid1(VALU_DEP_1)
	v_sub_nc_u32_e32 v56, v92, v56
	v_subrev_nc_u32_e32 v60, s44, v56
	v_cmp_le_u32_e32 vcc_lo, s44, v56
	s_delay_alu instid0(VALU_DEP_2) | instskip(SKIP_1) | instid1(VALU_DEP_2)
	v_cndmask_b32_e32 v56, v56, v60, vcc_lo
	v_dual_mov_b32 v60, 0 :: v_dual_cndmask_b32 v55, v55, v59
	v_cmp_le_u32_e32 vcc_lo, s44, v56
	s_delay_alu instid0(VALU_DEP_2) | instskip(NEXT) | instid1(VALU_DEP_1)
	v_add_nc_u32_e32 v59, 1, v55
	v_cndmask_b32_e32 v59, v55, v59, vcc_lo
.LBB1139_117:
	s_or_b32 exec_lo, exec_lo, s2
	v_add_co_u32 v90, vcc_lo, 0xe00, v63
	v_add_co_ci_u32_e32 v91, vcc_lo, 0, v64, vcc_lo
	v_mov_b32_e32 v55, 0
	s_delay_alu instid0(VALU_DEP_2) | instskip(NEXT) | instid1(VALU_DEP_1)
	v_or_b32_e32 v56, s45, v91
	v_cmp_ne_u64_e32 vcc_lo, 0, v[55:56]
                                        ; implicit-def: $vgpr55_vgpr56
	s_and_saveexec_b32 s2, vcc_lo
	s_delay_alu instid0(SALU_CYCLE_1)
	s_xor_b32 s3, exec_lo, s2
	s_cbranch_execz .LBB1139_119
; %bb.118:
	s_ashr_i32 s4, s45, 31
	s_delay_alu instid0(SALU_CYCLE_1) | instskip(SKIP_2) | instid1(SALU_CYCLE_1)
	s_add_u32 s6, s44, s4
	s_mov_b32 s5, s4
	s_addc_u32 s7, s45, s4
	s_xor_b64 s[6:7], s[6:7], s[4:5]
	s_delay_alu instid0(SALU_CYCLE_1) | instskip(SKIP_3) | instid1(VALU_DEP_1)
	v_cvt_f32_u32_e32 v55, s6
	v_cvt_f32_u32_e32 v56, s7
	s_sub_u32 s2, 0, s6
	s_subb_u32 s5, 0, s7
	v_fmamk_f32 v55, v56, 0x4f800000, v55
	s_delay_alu instid0(VALU_DEP_1) | instskip(SKIP_2) | instid1(VALU_DEP_1)
	v_rcp_f32_e32 v55, v55
	s_waitcnt_depctr 0xfff
	v_mul_f32_e32 v55, 0x5f7ffffc, v55
	v_mul_f32_e32 v56, 0x2f800000, v55
	s_delay_alu instid0(VALU_DEP_1) | instskip(NEXT) | instid1(VALU_DEP_1)
	v_trunc_f32_e32 v56, v56
	v_fmamk_f32 v55, v56, 0xcf800000, v55
	v_cvt_u32_f32_e32 v56, v56
	s_delay_alu instid0(VALU_DEP_2) | instskip(NEXT) | instid1(VALU_DEP_2)
	v_cvt_u32_f32_e32 v55, v55
	v_mul_lo_u32 v69, s2, v56
	s_delay_alu instid0(VALU_DEP_2) | instskip(SKIP_1) | instid1(VALU_DEP_2)
	v_mul_hi_u32 v94, s2, v55
	v_mul_lo_u32 v95, s5, v55
	v_add_nc_u32_e32 v69, v94, v69
	v_mul_lo_u32 v94, s2, v55
	s_delay_alu instid0(VALU_DEP_2) | instskip(NEXT) | instid1(VALU_DEP_2)
	v_add_nc_u32_e32 v69, v69, v95
	v_mul_hi_u32 v95, v55, v94
	s_delay_alu instid0(VALU_DEP_2)
	v_mul_lo_u32 v96, v55, v69
	v_mul_hi_u32 v97, v55, v69
	v_mul_hi_u32 v98, v56, v94
	v_mul_lo_u32 v94, v56, v94
	v_mul_hi_u32 v99, v56, v69
	v_mul_lo_u32 v69, v56, v69
	v_add_co_u32 v95, vcc_lo, v95, v96
	v_add_co_ci_u32_e32 v96, vcc_lo, 0, v97, vcc_lo
	s_delay_alu instid0(VALU_DEP_2) | instskip(NEXT) | instid1(VALU_DEP_2)
	v_add_co_u32 v94, vcc_lo, v95, v94
	v_add_co_ci_u32_e32 v94, vcc_lo, v96, v98, vcc_lo
	v_add_co_ci_u32_e32 v95, vcc_lo, 0, v99, vcc_lo
	v_ashrrev_i32_e32 v98, 31, v91
	s_delay_alu instid0(VALU_DEP_3) | instskip(NEXT) | instid1(VALU_DEP_3)
	v_add_co_u32 v69, vcc_lo, v94, v69
	v_add_co_ci_u32_e32 v94, vcc_lo, 0, v95, vcc_lo
	s_delay_alu instid0(VALU_DEP_2) | instskip(NEXT) | instid1(VALU_DEP_2)
	v_add_co_u32 v55, vcc_lo, v55, v69
	v_add_co_ci_u32_e32 v56, vcc_lo, v56, v94, vcc_lo
	s_delay_alu instid0(VALU_DEP_2) | instskip(SKIP_1) | instid1(VALU_DEP_3)
	v_mul_hi_u32 v69, s2, v55
	v_mul_lo_u32 v95, s5, v55
	v_mul_lo_u32 v94, s2, v56
	s_delay_alu instid0(VALU_DEP_1) | instskip(SKIP_1) | instid1(VALU_DEP_2)
	v_add_nc_u32_e32 v69, v69, v94
	v_mul_lo_u32 v94, s2, v55
	v_add_nc_u32_e32 v69, v69, v95
	s_delay_alu instid0(VALU_DEP_2) | instskip(NEXT) | instid1(VALU_DEP_2)
	v_mul_hi_u32 v95, v55, v94
	v_mul_lo_u32 v96, v55, v69
	v_mul_hi_u32 v97, v55, v69
	v_mul_hi_u32 v99, v56, v94
	v_mul_lo_u32 v94, v56, v94
	v_mul_hi_u32 v100, v56, v69
	v_mul_lo_u32 v69, v56, v69
	v_add_co_u32 v95, vcc_lo, v95, v96
	v_add_co_ci_u32_e32 v96, vcc_lo, 0, v97, vcc_lo
	s_delay_alu instid0(VALU_DEP_2) | instskip(NEXT) | instid1(VALU_DEP_2)
	v_add_co_u32 v94, vcc_lo, v95, v94
	v_add_co_ci_u32_e32 v94, vcc_lo, v96, v99, vcc_lo
	v_add_co_ci_u32_e32 v95, vcc_lo, 0, v100, vcc_lo
	v_add_co_u32 v96, vcc_lo, v90, v98
	v_add_co_ci_u32_e32 v97, vcc_lo, v91, v98, vcc_lo
	s_delay_alu instid0(VALU_DEP_4) | instskip(NEXT) | instid1(VALU_DEP_4)
	v_add_co_u32 v69, vcc_lo, v94, v69
	v_add_co_ci_u32_e32 v94, vcc_lo, 0, v95, vcc_lo
	s_delay_alu instid0(VALU_DEP_4) | instskip(NEXT) | instid1(VALU_DEP_3)
	v_xor_b32_e32 v99, v96, v98
	v_add_co_u32 v69, vcc_lo, v55, v69
	s_delay_alu instid0(VALU_DEP_3) | instskip(SKIP_1) | instid1(VALU_DEP_3)
	v_add_co_ci_u32_e32 v100, vcc_lo, v56, v94, vcc_lo
	v_xor_b32_e32 v101, v97, v98
	v_mul_hi_u32 v102, v99, v69
	s_delay_alu instid0(VALU_DEP_3) | instskip(NEXT) | instid1(VALU_DEP_3)
	v_mad_u64_u32 v[55:56], null, v99, v100, 0
	v_mad_u64_u32 v[94:95], null, v101, v69, 0
	;; [unrolled: 1-line block ×3, first 2 shown]
	s_delay_alu instid0(VALU_DEP_3) | instskip(NEXT) | instid1(VALU_DEP_4)
	v_add_co_u32 v55, vcc_lo, v102, v55
	v_add_co_ci_u32_e32 v56, vcc_lo, 0, v56, vcc_lo
	s_delay_alu instid0(VALU_DEP_2) | instskip(NEXT) | instid1(VALU_DEP_2)
	v_add_co_u32 v55, vcc_lo, v55, v94
	v_add_co_ci_u32_e32 v55, vcc_lo, v56, v95, vcc_lo
	v_add_co_ci_u32_e32 v56, vcc_lo, 0, v97, vcc_lo
	s_delay_alu instid0(VALU_DEP_2) | instskip(NEXT) | instid1(VALU_DEP_2)
	v_add_co_u32 v69, vcc_lo, v55, v96
	v_add_co_ci_u32_e32 v94, vcc_lo, 0, v56, vcc_lo
	s_delay_alu instid0(VALU_DEP_2) | instskip(SKIP_1) | instid1(VALU_DEP_3)
	v_mul_lo_u32 v95, s7, v69
	v_mad_u64_u32 v[55:56], null, s6, v69, 0
	v_mul_lo_u32 v96, s6, v94
	s_delay_alu instid0(VALU_DEP_2) | instskip(NEXT) | instid1(VALU_DEP_2)
	v_sub_co_u32 v55, vcc_lo, v99, v55
	v_add3_u32 v56, v56, v96, v95
	s_delay_alu instid0(VALU_DEP_1) | instskip(NEXT) | instid1(VALU_DEP_1)
	v_sub_nc_u32_e32 v95, v101, v56
	v_subrev_co_ci_u32_e64 v95, s2, s7, v95, vcc_lo
	v_add_co_u32 v96, s2, v69, 2
	s_delay_alu instid0(VALU_DEP_1) | instskip(SKIP_3) | instid1(VALU_DEP_3)
	v_add_co_ci_u32_e64 v97, s2, 0, v94, s2
	v_sub_co_u32 v99, s2, v55, s6
	v_sub_co_ci_u32_e32 v56, vcc_lo, v101, v56, vcc_lo
	v_subrev_co_ci_u32_e64 v95, s2, 0, v95, s2
	v_cmp_le_u32_e32 vcc_lo, s6, v99
	s_delay_alu instid0(VALU_DEP_3) | instskip(SKIP_1) | instid1(VALU_DEP_4)
	v_cmp_eq_u32_e64 s2, s7, v56
	v_cndmask_b32_e64 v99, 0, -1, vcc_lo
	v_cmp_le_u32_e32 vcc_lo, s7, v95
	v_cndmask_b32_e64 v100, 0, -1, vcc_lo
	v_cmp_le_u32_e32 vcc_lo, s6, v55
	;; [unrolled: 2-line block ×3, first 2 shown]
	v_cndmask_b32_e64 v101, 0, -1, vcc_lo
	v_cmp_eq_u32_e32 vcc_lo, s7, v95
	s_delay_alu instid0(VALU_DEP_2) | instskip(SKIP_3) | instid1(VALU_DEP_3)
	v_cndmask_b32_e64 v55, v101, v55, s2
	v_cndmask_b32_e32 v95, v100, v99, vcc_lo
	v_add_co_u32 v99, vcc_lo, v69, 1
	v_add_co_ci_u32_e32 v100, vcc_lo, 0, v94, vcc_lo
	v_cmp_ne_u32_e32 vcc_lo, 0, v95
	s_delay_alu instid0(VALU_DEP_2) | instskip(SKIP_2) | instid1(VALU_DEP_3)
	v_dual_cndmask_b32 v56, v100, v97 :: v_dual_cndmask_b32 v95, v99, v96
	v_cmp_ne_u32_e32 vcc_lo, 0, v55
	v_xor_b32_e32 v96, s4, v98
	v_dual_cndmask_b32 v55, v94, v56 :: v_dual_cndmask_b32 v56, v69, v95
	s_delay_alu instid0(VALU_DEP_1) | instskip(NEXT) | instid1(VALU_DEP_2)
	v_xor_b32_e32 v69, v55, v96
	v_xor_b32_e32 v56, v56, v96
	s_delay_alu instid0(VALU_DEP_1) | instskip(NEXT) | instid1(VALU_DEP_3)
	v_sub_co_u32 v55, vcc_lo, v56, v96
	v_sub_co_ci_u32_e32 v56, vcc_lo, v69, v96, vcc_lo
                                        ; implicit-def: $vgpr69
.LBB1139_119:
	s_and_not1_saveexec_b32 s2, s3
	s_cbranch_execz .LBB1139_121
; %bb.120:
	v_rcp_iflag_f32_e32 v55, v69
	s_sub_i32 s3, 0, s44
	s_waitcnt_depctr 0xfff
	v_mul_f32_e32 v55, 0x4f7ffffe, v55
	s_delay_alu instid0(VALU_DEP_1) | instskip(NEXT) | instid1(VALU_DEP_1)
	v_cvt_u32_f32_e32 v55, v55
	v_mul_lo_u32 v56, s3, v55
	s_delay_alu instid0(VALU_DEP_1) | instskip(NEXT) | instid1(VALU_DEP_1)
	v_mul_hi_u32 v56, v55, v56
	v_add_nc_u32_e32 v55, v55, v56
	s_delay_alu instid0(VALU_DEP_1) | instskip(NEXT) | instid1(VALU_DEP_1)
	v_mul_hi_u32 v55, v90, v55
	v_mul_lo_u32 v56, v55, s44
	v_add_nc_u32_e32 v69, 1, v55
	s_delay_alu instid0(VALU_DEP_2) | instskip(NEXT) | instid1(VALU_DEP_1)
	v_sub_nc_u32_e32 v56, v90, v56
	v_subrev_nc_u32_e32 v94, s44, v56
	v_cmp_le_u32_e32 vcc_lo, s44, v56
	s_delay_alu instid0(VALU_DEP_2) | instskip(NEXT) | instid1(VALU_DEP_1)
	v_dual_cndmask_b32 v56, v56, v94 :: v_dual_cndmask_b32 v55, v55, v69
	v_cmp_le_u32_e32 vcc_lo, s44, v56
	s_delay_alu instid0(VALU_DEP_2) | instskip(NEXT) | instid1(VALU_DEP_1)
	v_dual_mov_b32 v56, 0 :: v_dual_add_nc_u32 v69, 1, v55
	v_cndmask_b32_e32 v55, v55, v69, vcc_lo
.LBB1139_121:
	s_or_b32 exec_lo, exec_lo, s2
	v_mul_lo_u32 v69, v60, s44
	v_mul_lo_u32 v98, v59, s45
	v_mad_u64_u32 v[94:95], null, v59, s44, 0
	v_mul_lo_u32 v100, v54, s44
	v_mul_lo_u32 v101, v53, s45
	v_mad_u64_u32 v[96:97], null, v53, s44, 0
	v_mul_lo_u32 v102, v51, s45
	v_add3_u32 v69, v95, v98, v69
	v_sub_co_u32 v92, vcc_lo, v92, v94
	v_mul_lo_u32 v95, v52, s44
	v_mad_u64_u32 v[98:99], null, v51, s44, 0
	s_delay_alu instid0(VALU_DEP_4) | instskip(NEXT) | instid1(VALU_DEP_4)
	v_sub_co_ci_u32_e32 v69, vcc_lo, v93, v69, vcc_lo
	v_add_co_u32 v59, vcc_lo, v59, v92
	s_delay_alu instid0(VALU_DEP_2) | instskip(SKIP_4) | instid1(VALU_DEP_4)
	v_add_co_ci_u32_e32 v60, vcc_lo, v60, v69, vcc_lo
	v_add3_u32 v69, v97, v101, v100
	v_add3_u32 v92, v99, v102, v95
	v_sub_co_u32 v93, vcc_lo, v88, v96
	v_mul_lo_u32 v95, v50, s44
	v_sub_co_ci_u32_e32 v69, vcc_lo, v89, v69, vcc_lo
	v_sub_co_u32 v94, vcc_lo, v86, v98
	v_sub_co_ci_u32_e32 v92, vcc_lo, v87, v92, vcc_lo
	v_mul_lo_u32 v96, v49, s45
	v_mad_u64_u32 v[86:87], null, v49, s44, 0
	v_mul_lo_u32 v97, v48, s44
	v_mul_lo_u32 v98, v47, s45
	v_mad_u64_u32 v[88:89], null, v47, s44, 0
	v_add_co_u32 v53, vcc_lo, v53, v93
	v_add_co_ci_u32_e32 v54, vcc_lo, v54, v69, vcc_lo
	v_add_co_u32 v51, vcc_lo, v51, v94
	v_add3_u32 v69, v87, v96, v95
	v_add_co_ci_u32_e32 v52, vcc_lo, v52, v92, vcc_lo
	v_add3_u32 v87, v89, v98, v97
	v_sub_co_u32 v86, vcc_lo, v84, v86
	s_delay_alu instid0(VALU_DEP_4) | instskip(SKIP_1) | instid1(VALU_DEP_4)
	v_sub_co_ci_u32_e32 v69, vcc_lo, v85, v69, vcc_lo
	v_sub_co_u32 v88, vcc_lo, v82, v88
	v_sub_co_ci_u32_e32 v87, vcc_lo, v83, v87, vcc_lo
	v_mul_lo_u32 v89, v46, s44
	v_mul_lo_u32 v92, v45, s45
	v_mad_u64_u32 v[82:83], null, v45, s44, 0
	v_mul_lo_u32 v93, v44, s44
	v_mul_lo_u32 v94, v43, s45
	v_mad_u64_u32 v[84:85], null, v43, s44, 0
	v_add_co_u32 v49, vcc_lo, v49, v86
	v_add_co_ci_u32_e32 v50, vcc_lo, v50, v69, vcc_lo
	v_add_co_u32 v47, vcc_lo, v47, v88
	v_add3_u32 v69, v83, v92, v89
	v_add_co_ci_u32_e32 v48, vcc_lo, v48, v87, vcc_lo
	v_add3_u32 v83, v85, v94, v93
	v_sub_co_u32 v82, vcc_lo, v80, v82
	s_delay_alu instid0(VALU_DEP_4) | instskip(SKIP_1) | instid1(VALU_DEP_4)
	v_sub_co_ci_u32_e32 v69, vcc_lo, v81, v69, vcc_lo
	v_sub_co_u32 v84, vcc_lo, v78, v84
	v_sub_co_ci_u32_e32 v83, vcc_lo, v79, v83, vcc_lo
	v_mul_lo_u32 v85, v42, s44
	;; [unrolled: 17-line block ×3, first 2 shown]
	v_mul_lo_u32 v82, v37, s45
	v_mad_u64_u32 v[74:75], null, v37, s44, 0
	v_mul_lo_u32 v83, v36, s44
	v_mul_lo_u32 v84, v35, s45
	v_mad_u64_u32 v[76:77], null, v35, s44, 0
	v_add_co_u32 v41, vcc_lo, v41, v78
	v_add_co_ci_u32_e32 v42, vcc_lo, v42, v69, vcc_lo
	v_add_co_u32 v39, vcc_lo, v39, v80
	v_add3_u32 v69, v75, v82, v81
	v_add_co_ci_u32_e32 v40, vcc_lo, v40, v79, vcc_lo
	v_sub_co_u32 v74, vcc_lo, v72, v74
	v_add3_u32 v75, v77, v84, v83
	s_delay_alu instid0(VALU_DEP_4)
	v_sub_co_ci_u32_e32 v73, vcc_lo, v73, v69, vcc_lo
	v_sub_co_u32 v76, vcc_lo, v70, v76
	v_mul_lo_u32 v77, v34, s44
	v_mul_lo_u32 v78, v33, s45
	v_mad_u64_u32 v[69:70], null, v33, s44, 0
	v_sub_co_ci_u32_e32 v75, vcc_lo, v71, v75, vcc_lo
	v_mul_lo_u32 v79, v32, s44
	v_mul_lo_u32 v80, v31, s45
	v_mad_u64_u32 v[71:72], null, v31, s44, 0
	v_add_co_u32 v37, vcc_lo, v37, v74
	v_add_co_ci_u32_e32 v38, vcc_lo, v38, v73, vcc_lo
	v_add_co_u32 v35, vcc_lo, v35, v76
	v_add3_u32 v70, v70, v78, v77
	v_add_co_ci_u32_e32 v36, vcc_lo, v36, v75, vcc_lo
	v_add3_u32 v72, v72, v80, v79
	v_sub_co_u32 v69, vcc_lo, v67, v69
	s_delay_alu instid0(VALU_DEP_4) | instskip(SKIP_1) | instid1(VALU_DEP_4)
	v_sub_co_ci_u32_e32 v70, vcc_lo, v68, v70, vcc_lo
	v_sub_co_u32 v71, vcc_lo, v65, v71
	v_sub_co_ci_u32_e32 v72, vcc_lo, v66, v72, vcc_lo
	v_mul_lo_u32 v73, v30, s44
	v_mul_lo_u32 v74, v29, s45
	v_mad_u64_u32 v[65:66], null, v29, s44, 0
	v_mul_lo_u32 v75, v56, s44
	v_mul_lo_u32 v76, v55, s45
	v_mad_u64_u32 v[67:68], null, v55, s44, 0
	v_add_co_u32 v33, vcc_lo, v33, v69
	v_add_co_ci_u32_e32 v34, vcc_lo, v34, v70, vcc_lo
	v_add_co_u32 v31, vcc_lo, v31, v71
	v_add3_u32 v66, v66, v74, v73
	v_add_co_ci_u32_e32 v32, vcc_lo, v32, v72, vcc_lo
	v_add3_u32 v68, v68, v76, v75
	v_sub_co_u32 v63, vcc_lo, v63, v65
	s_delay_alu instid0(VALU_DEP_4) | instskip(SKIP_1) | instid1(VALU_DEP_4)
	v_sub_co_ci_u32_e32 v64, vcc_lo, v64, v66, vcc_lo
	v_sub_co_u32 v65, vcc_lo, v90, v67
	v_sub_co_ci_u32_e32 v66, vcc_lo, v91, v68, vcc_lo
	s_delay_alu instid0(VALU_DEP_4) | instskip(NEXT) | instid1(VALU_DEP_4)
	v_add_co_u32 v29, vcc_lo, v29, v63
	v_add_co_ci_u32_e32 v30, vcc_lo, v30, v64, vcc_lo
	s_delay_alu instid0(VALU_DEP_4) | instskip(NEXT) | instid1(VALU_DEP_4)
	v_add_co_u32 v55, vcc_lo, v55, v65
	v_add_co_ci_u32_e32 v56, vcc_lo, v56, v66, vcc_lo
	ds_store_2addr_stride64_b64 v62, v[29:30], v[31:32] offset1:4
	ds_store_2addr_stride64_b64 v62, v[33:34], v[35:36] offset0:8 offset1:12
	ds_store_2addr_stride64_b64 v62, v[37:38], v[39:40] offset0:16 offset1:20
	;; [unrolled: 1-line block ×6, first 2 shown]
	ds_store_b64 v62, v[55:56] offset:28672
	s_waitcnt lgkmcnt(0)
	s_barrier
	s_load_b64 s[28:29], s[0:1], 0x88
	s_add_i32 s33, s33, s64
	s_branch .LBB1139_304
.LBB1139_122:
                                        ; implicit-def: $vgpr61
                                        ; implicit-def: $vgpr25_vgpr26
                                        ; implicit-def: $vgpr21_vgpr22
                                        ; implicit-def: $vgpr17_vgpr18
                                        ; implicit-def: $vgpr13_vgpr14
                                        ; implicit-def: $vgpr9_vgpr10
                                        ; implicit-def: $vgpr5_vgpr6
                                        ; implicit-def: $vgpr1_vgpr2
                                        ; implicit-def: $vgpr57_vgpr58
	s_load_b64 s[28:29], s[0:1], 0x88
	s_add_i32 s33, s33, s64
	s_cbranch_execz .LBB1139_304
; %bb.123:
	v_cmp_gt_u32_e64 s14, s33, v0
                                        ; implicit-def: $vgpr1_vgpr2
	s_delay_alu instid0(VALU_DEP_1)
	s_and_saveexec_b32 s1, s14
	s_cbranch_execz .LBB1139_129
; %bb.124:
	v_add_co_u32 v3, s0, s24, v0
	s_delay_alu instid0(VALU_DEP_1) | instskip(SKIP_1) | instid1(VALU_DEP_2)
	v_add_co_ci_u32_e64 v4, null, s25, 0, s0
	v_mov_b32_e32 v1, 0
	v_or_b32_e32 v2, s39, v4
	s_delay_alu instid0(VALU_DEP_1) | instskip(SKIP_1) | instid1(SALU_CYCLE_1)
	v_cmp_ne_u64_e32 vcc_lo, 0, v[1:2]
                                        ; implicit-def: $vgpr1_vgpr2
	s_and_saveexec_b32 s0, vcc_lo
	s_xor_b32 s6, exec_lo, s0
	s_cbranch_execz .LBB1139_126
; %bb.125:
	s_ashr_i32 s2, s39, 31
	s_delay_alu instid0(SALU_CYCLE_1) | instskip(SKIP_2) | instid1(SALU_CYCLE_1)
	s_add_u32 s4, s38, s2
	s_mov_b32 s3, s2
	s_addc_u32 s5, s39, s2
	s_xor_b64 s[4:5], s[4:5], s[2:3]
	s_delay_alu instid0(SALU_CYCLE_1) | instskip(SKIP_3) | instid1(VALU_DEP_1)
	v_cvt_f32_u32_e32 v1, s4
	v_cvt_f32_u32_e32 v2, s5
	s_sub_u32 s0, 0, s4
	s_subb_u32 s3, 0, s5
	v_fmamk_f32 v1, v2, 0x4f800000, v1
	s_delay_alu instid0(VALU_DEP_1) | instskip(SKIP_2) | instid1(VALU_DEP_1)
	v_rcp_f32_e32 v1, v1
	s_waitcnt_depctr 0xfff
	v_mul_f32_e32 v1, 0x5f7ffffc, v1
	v_mul_f32_e32 v2, 0x2f800000, v1
	s_delay_alu instid0(VALU_DEP_1) | instskip(NEXT) | instid1(VALU_DEP_1)
	v_trunc_f32_e32 v2, v2
	v_fmamk_f32 v1, v2, 0xcf800000, v1
	v_cvt_u32_f32_e32 v2, v2
	s_delay_alu instid0(VALU_DEP_2) | instskip(NEXT) | instid1(VALU_DEP_2)
	v_cvt_u32_f32_e32 v1, v1
	v_mul_lo_u32 v5, s0, v2
	s_delay_alu instid0(VALU_DEP_2) | instskip(SKIP_1) | instid1(VALU_DEP_2)
	v_mul_hi_u32 v6, s0, v1
	v_mul_lo_u32 v7, s3, v1
	v_add_nc_u32_e32 v5, v6, v5
	v_mul_lo_u32 v6, s0, v1
	s_delay_alu instid0(VALU_DEP_2) | instskip(NEXT) | instid1(VALU_DEP_2)
	v_add_nc_u32_e32 v5, v5, v7
	v_mul_hi_u32 v7, v1, v6
	s_delay_alu instid0(VALU_DEP_2)
	v_mul_lo_u32 v8, v1, v5
	v_mul_hi_u32 v9, v1, v5
	v_mul_hi_u32 v10, v2, v6
	v_mul_lo_u32 v6, v2, v6
	v_mul_hi_u32 v11, v2, v5
	v_mul_lo_u32 v5, v2, v5
	v_add_co_u32 v7, vcc_lo, v7, v8
	v_add_co_ci_u32_e32 v8, vcc_lo, 0, v9, vcc_lo
	s_delay_alu instid0(VALU_DEP_2) | instskip(NEXT) | instid1(VALU_DEP_2)
	v_add_co_u32 v6, vcc_lo, v7, v6
	v_add_co_ci_u32_e32 v6, vcc_lo, v8, v10, vcc_lo
	v_add_co_ci_u32_e32 v7, vcc_lo, 0, v11, vcc_lo
	v_ashrrev_i32_e32 v10, 31, v4
	s_delay_alu instid0(VALU_DEP_3) | instskip(NEXT) | instid1(VALU_DEP_3)
	v_add_co_u32 v5, vcc_lo, v6, v5
	v_add_co_ci_u32_e32 v6, vcc_lo, 0, v7, vcc_lo
	s_delay_alu instid0(VALU_DEP_2) | instskip(NEXT) | instid1(VALU_DEP_2)
	v_add_co_u32 v1, vcc_lo, v1, v5
	v_add_co_ci_u32_e32 v2, vcc_lo, v2, v6, vcc_lo
	s_delay_alu instid0(VALU_DEP_2) | instskip(SKIP_1) | instid1(VALU_DEP_3)
	v_mul_hi_u32 v5, s0, v1
	v_mul_lo_u32 v7, s3, v1
	v_mul_lo_u32 v6, s0, v2
	s_delay_alu instid0(VALU_DEP_1) | instskip(SKIP_1) | instid1(VALU_DEP_2)
	v_add_nc_u32_e32 v5, v5, v6
	v_mul_lo_u32 v6, s0, v1
	v_add_nc_u32_e32 v5, v5, v7
	s_delay_alu instid0(VALU_DEP_2) | instskip(NEXT) | instid1(VALU_DEP_2)
	v_mul_hi_u32 v7, v1, v6
	v_mul_lo_u32 v8, v1, v5
	v_mul_hi_u32 v9, v1, v5
	v_mul_hi_u32 v11, v2, v6
	v_mul_lo_u32 v6, v2, v6
	v_mul_hi_u32 v12, v2, v5
	v_mul_lo_u32 v5, v2, v5
	v_add_co_u32 v7, vcc_lo, v7, v8
	v_add_co_ci_u32_e32 v8, vcc_lo, 0, v9, vcc_lo
	s_delay_alu instid0(VALU_DEP_2) | instskip(NEXT) | instid1(VALU_DEP_2)
	v_add_co_u32 v6, vcc_lo, v7, v6
	v_add_co_ci_u32_e32 v6, vcc_lo, v8, v11, vcc_lo
	v_add_co_ci_u32_e32 v7, vcc_lo, 0, v12, vcc_lo
	v_add_co_u32 v3, vcc_lo, v3, v10
	v_add_co_ci_u32_e32 v4, vcc_lo, v4, v10, vcc_lo
	s_delay_alu instid0(VALU_DEP_4) | instskip(NEXT) | instid1(VALU_DEP_4)
	v_add_co_u32 v5, vcc_lo, v6, v5
	v_add_co_ci_u32_e32 v6, vcc_lo, 0, v7, vcc_lo
	s_delay_alu instid0(VALU_DEP_4) | instskip(NEXT) | instid1(VALU_DEP_3)
	v_xor_b32_e32 v7, v3, v10
	v_add_co_u32 v5, vcc_lo, v1, v5
	s_delay_alu instid0(VALU_DEP_3) | instskip(SKIP_1) | instid1(VALU_DEP_3)
	v_add_co_ci_u32_e32 v8, vcc_lo, v2, v6, vcc_lo
	v_xor_b32_e32 v9, v4, v10
	v_mul_hi_u32 v11, v7, v5
	s_delay_alu instid0(VALU_DEP_3) | instskip(NEXT) | instid1(VALU_DEP_3)
	v_mad_u64_u32 v[1:2], null, v7, v8, 0
	v_mad_u64_u32 v[3:4], null, v9, v5, 0
	;; [unrolled: 1-line block ×3, first 2 shown]
	s_delay_alu instid0(VALU_DEP_3) | instskip(NEXT) | instid1(VALU_DEP_4)
	v_add_co_u32 v1, vcc_lo, v11, v1
	v_add_co_ci_u32_e32 v2, vcc_lo, 0, v2, vcc_lo
	s_delay_alu instid0(VALU_DEP_2) | instskip(NEXT) | instid1(VALU_DEP_2)
	v_add_co_u32 v1, vcc_lo, v1, v3
	v_add_co_ci_u32_e32 v1, vcc_lo, v2, v4, vcc_lo
	v_add_co_ci_u32_e32 v2, vcc_lo, 0, v6, vcc_lo
	s_delay_alu instid0(VALU_DEP_2) | instskip(NEXT) | instid1(VALU_DEP_2)
	v_add_co_u32 v3, vcc_lo, v1, v5
	v_add_co_ci_u32_e32 v4, vcc_lo, 0, v2, vcc_lo
	s_delay_alu instid0(VALU_DEP_2) | instskip(SKIP_1) | instid1(VALU_DEP_3)
	v_mul_lo_u32 v5, s5, v3
	v_mad_u64_u32 v[1:2], null, s4, v3, 0
	v_mul_lo_u32 v6, s4, v4
	s_delay_alu instid0(VALU_DEP_2) | instskip(NEXT) | instid1(VALU_DEP_2)
	v_sub_co_u32 v1, vcc_lo, v7, v1
	v_add3_u32 v2, v2, v6, v5
	s_delay_alu instid0(VALU_DEP_1) | instskip(NEXT) | instid1(VALU_DEP_1)
	v_sub_nc_u32_e32 v5, v9, v2
	v_subrev_co_ci_u32_e64 v5, s0, s5, v5, vcc_lo
	v_add_co_u32 v6, s0, v3, 2
	s_delay_alu instid0(VALU_DEP_1) | instskip(SKIP_3) | instid1(VALU_DEP_3)
	v_add_co_ci_u32_e64 v7, s0, 0, v4, s0
	v_sub_co_u32 v8, s0, v1, s4
	v_sub_co_ci_u32_e32 v2, vcc_lo, v9, v2, vcc_lo
	v_subrev_co_ci_u32_e64 v5, s0, 0, v5, s0
	v_cmp_le_u32_e32 vcc_lo, s4, v8
	s_delay_alu instid0(VALU_DEP_3) | instskip(SKIP_1) | instid1(VALU_DEP_4)
	v_cmp_eq_u32_e64 s0, s5, v2
	v_cndmask_b32_e64 v8, 0, -1, vcc_lo
	v_cmp_le_u32_e32 vcc_lo, s5, v5
	v_cndmask_b32_e64 v9, 0, -1, vcc_lo
	v_cmp_le_u32_e32 vcc_lo, s4, v1
	;; [unrolled: 2-line block ×3, first 2 shown]
	v_cndmask_b32_e64 v11, 0, -1, vcc_lo
	v_cmp_eq_u32_e32 vcc_lo, s5, v5
	s_delay_alu instid0(VALU_DEP_2) | instskip(SKIP_3) | instid1(VALU_DEP_3)
	v_cndmask_b32_e64 v1, v11, v1, s0
	v_cndmask_b32_e32 v5, v9, v8, vcc_lo
	v_add_co_u32 v8, vcc_lo, v3, 1
	v_add_co_ci_u32_e32 v9, vcc_lo, 0, v4, vcc_lo
	v_cmp_ne_u32_e32 vcc_lo, 0, v5
	s_delay_alu instid0(VALU_DEP_2) | instskip(SKIP_2) | instid1(VALU_DEP_3)
	v_dual_cndmask_b32 v2, v9, v7 :: v_dual_cndmask_b32 v5, v8, v6
	v_cmp_ne_u32_e32 vcc_lo, 0, v1
	v_xor_b32_e32 v6, s2, v10
	v_dual_cndmask_b32 v1, v4, v2 :: v_dual_cndmask_b32 v2, v3, v5
	s_delay_alu instid0(VALU_DEP_1) | instskip(NEXT) | instid1(VALU_DEP_2)
	v_xor_b32_e32 v3, v1, v6
	v_xor_b32_e32 v2, v2, v6
	s_delay_alu instid0(VALU_DEP_1) | instskip(NEXT) | instid1(VALU_DEP_3)
	v_sub_co_u32 v1, vcc_lo, v2, v6
	v_sub_co_ci_u32_e32 v2, vcc_lo, v3, v6, vcc_lo
                                        ; implicit-def: $vgpr3
.LBB1139_126:
	s_and_not1_saveexec_b32 s0, s6
	s_cbranch_execz .LBB1139_128
; %bb.127:
	v_cvt_f32_u32_e32 v1, s38
	s_sub_i32 s2, 0, s38
	s_delay_alu instid0(VALU_DEP_1) | instskip(SKIP_2) | instid1(VALU_DEP_1)
	v_rcp_iflag_f32_e32 v1, v1
	s_waitcnt_depctr 0xfff
	v_mul_f32_e32 v1, 0x4f7ffffe, v1
	v_cvt_u32_f32_e32 v1, v1
	s_delay_alu instid0(VALU_DEP_1) | instskip(NEXT) | instid1(VALU_DEP_1)
	v_mul_lo_u32 v2, s2, v1
	v_mul_hi_u32 v2, v1, v2
	s_delay_alu instid0(VALU_DEP_1) | instskip(NEXT) | instid1(VALU_DEP_1)
	v_add_nc_u32_e32 v1, v1, v2
	v_mul_hi_u32 v1, v3, v1
	s_delay_alu instid0(VALU_DEP_1) | instskip(NEXT) | instid1(VALU_DEP_1)
	v_mul_lo_u32 v2, v1, s38
	v_sub_nc_u32_e32 v2, v3, v2
	v_add_nc_u32_e32 v3, 1, v1
	s_delay_alu instid0(VALU_DEP_2) | instskip(SKIP_1) | instid1(VALU_DEP_2)
	v_subrev_nc_u32_e32 v4, s38, v2
	v_cmp_le_u32_e32 vcc_lo, s38, v2
	v_dual_cndmask_b32 v2, v2, v4 :: v_dual_cndmask_b32 v1, v1, v3
	s_delay_alu instid0(VALU_DEP_1) | instskip(NEXT) | instid1(VALU_DEP_2)
	v_cmp_le_u32_e32 vcc_lo, s38, v2
	v_dual_mov_b32 v2, 0 :: v_dual_add_nc_u32 v3, 1, v1
	s_delay_alu instid0(VALU_DEP_1)
	v_cndmask_b32_e32 v1, v1, v3, vcc_lo
.LBB1139_128:
	s_or_b32 exec_lo, exec_lo, s0
.LBB1139_129:
	s_delay_alu instid0(SALU_CYCLE_1) | instskip(SKIP_1) | instid1(VALU_DEP_1)
	s_or_b32 exec_lo, exec_lo, s1
	v_or_b32_e32 v33, 0x100, v0
                                        ; implicit-def: $vgpr3_vgpr4
	v_cmp_gt_u32_e64 s13, s33, v33
	s_delay_alu instid0(VALU_DEP_1)
	s_and_saveexec_b32 s1, s13
	s_cbranch_execz .LBB1139_135
; %bb.130:
	v_add_co_u32 v5, s0, s24, v33
	s_delay_alu instid0(VALU_DEP_1) | instskip(SKIP_1) | instid1(VALU_DEP_2)
	v_add_co_ci_u32_e64 v6, null, s25, 0, s0
	v_mov_b32_e32 v3, 0
	v_or_b32_e32 v4, s39, v6
	s_delay_alu instid0(VALU_DEP_1) | instskip(SKIP_1) | instid1(SALU_CYCLE_1)
	v_cmp_ne_u64_e32 vcc_lo, 0, v[3:4]
                                        ; implicit-def: $vgpr3_vgpr4
	s_and_saveexec_b32 s0, vcc_lo
	s_xor_b32 s6, exec_lo, s0
	s_cbranch_execz .LBB1139_132
; %bb.131:
	s_ashr_i32 s2, s39, 31
	s_delay_alu instid0(SALU_CYCLE_1) | instskip(SKIP_2) | instid1(SALU_CYCLE_1)
	s_add_u32 s4, s38, s2
	s_mov_b32 s3, s2
	s_addc_u32 s5, s39, s2
	s_xor_b64 s[4:5], s[4:5], s[2:3]
	s_delay_alu instid0(SALU_CYCLE_1) | instskip(SKIP_3) | instid1(VALU_DEP_1)
	v_cvt_f32_u32_e32 v3, s4
	v_cvt_f32_u32_e32 v4, s5
	s_sub_u32 s0, 0, s4
	s_subb_u32 s3, 0, s5
	v_fmamk_f32 v3, v4, 0x4f800000, v3
	s_delay_alu instid0(VALU_DEP_1) | instskip(SKIP_2) | instid1(VALU_DEP_1)
	v_rcp_f32_e32 v3, v3
	s_waitcnt_depctr 0xfff
	v_mul_f32_e32 v3, 0x5f7ffffc, v3
	v_mul_f32_e32 v4, 0x2f800000, v3
	s_delay_alu instid0(VALU_DEP_1) | instskip(NEXT) | instid1(VALU_DEP_1)
	v_trunc_f32_e32 v4, v4
	v_fmamk_f32 v3, v4, 0xcf800000, v3
	v_cvt_u32_f32_e32 v4, v4
	s_delay_alu instid0(VALU_DEP_2) | instskip(NEXT) | instid1(VALU_DEP_2)
	v_cvt_u32_f32_e32 v3, v3
	v_mul_lo_u32 v7, s0, v4
	s_delay_alu instid0(VALU_DEP_2) | instskip(SKIP_1) | instid1(VALU_DEP_2)
	v_mul_hi_u32 v8, s0, v3
	v_mul_lo_u32 v9, s3, v3
	v_add_nc_u32_e32 v7, v8, v7
	v_mul_lo_u32 v8, s0, v3
	s_delay_alu instid0(VALU_DEP_2) | instskip(NEXT) | instid1(VALU_DEP_2)
	v_add_nc_u32_e32 v7, v7, v9
	v_mul_hi_u32 v9, v3, v8
	s_delay_alu instid0(VALU_DEP_2)
	v_mul_lo_u32 v10, v3, v7
	v_mul_hi_u32 v11, v3, v7
	v_mul_hi_u32 v12, v4, v8
	v_mul_lo_u32 v8, v4, v8
	v_mul_hi_u32 v13, v4, v7
	v_mul_lo_u32 v7, v4, v7
	v_add_co_u32 v9, vcc_lo, v9, v10
	v_add_co_ci_u32_e32 v10, vcc_lo, 0, v11, vcc_lo
	s_delay_alu instid0(VALU_DEP_2) | instskip(NEXT) | instid1(VALU_DEP_2)
	v_add_co_u32 v8, vcc_lo, v9, v8
	v_add_co_ci_u32_e32 v8, vcc_lo, v10, v12, vcc_lo
	v_add_co_ci_u32_e32 v9, vcc_lo, 0, v13, vcc_lo
	v_ashrrev_i32_e32 v12, 31, v6
	s_delay_alu instid0(VALU_DEP_3) | instskip(NEXT) | instid1(VALU_DEP_3)
	v_add_co_u32 v7, vcc_lo, v8, v7
	v_add_co_ci_u32_e32 v8, vcc_lo, 0, v9, vcc_lo
	s_delay_alu instid0(VALU_DEP_2) | instskip(NEXT) | instid1(VALU_DEP_2)
	v_add_co_u32 v3, vcc_lo, v3, v7
	v_add_co_ci_u32_e32 v4, vcc_lo, v4, v8, vcc_lo
	s_delay_alu instid0(VALU_DEP_2) | instskip(SKIP_1) | instid1(VALU_DEP_3)
	v_mul_hi_u32 v7, s0, v3
	v_mul_lo_u32 v9, s3, v3
	v_mul_lo_u32 v8, s0, v4
	s_delay_alu instid0(VALU_DEP_1) | instskip(SKIP_1) | instid1(VALU_DEP_2)
	v_add_nc_u32_e32 v7, v7, v8
	v_mul_lo_u32 v8, s0, v3
	v_add_nc_u32_e32 v7, v7, v9
	s_delay_alu instid0(VALU_DEP_2) | instskip(NEXT) | instid1(VALU_DEP_2)
	v_mul_hi_u32 v9, v3, v8
	v_mul_lo_u32 v10, v3, v7
	v_mul_hi_u32 v11, v3, v7
	v_mul_hi_u32 v13, v4, v8
	v_mul_lo_u32 v8, v4, v8
	v_mul_hi_u32 v14, v4, v7
	v_mul_lo_u32 v7, v4, v7
	v_add_co_u32 v9, vcc_lo, v9, v10
	v_add_co_ci_u32_e32 v10, vcc_lo, 0, v11, vcc_lo
	s_delay_alu instid0(VALU_DEP_2) | instskip(NEXT) | instid1(VALU_DEP_2)
	v_add_co_u32 v8, vcc_lo, v9, v8
	v_add_co_ci_u32_e32 v8, vcc_lo, v10, v13, vcc_lo
	v_add_co_ci_u32_e32 v9, vcc_lo, 0, v14, vcc_lo
	v_add_co_u32 v5, vcc_lo, v5, v12
	v_add_co_ci_u32_e32 v6, vcc_lo, v6, v12, vcc_lo
	s_delay_alu instid0(VALU_DEP_4) | instskip(NEXT) | instid1(VALU_DEP_4)
	v_add_co_u32 v7, vcc_lo, v8, v7
	v_add_co_ci_u32_e32 v8, vcc_lo, 0, v9, vcc_lo
	s_delay_alu instid0(VALU_DEP_4) | instskip(NEXT) | instid1(VALU_DEP_3)
	v_xor_b32_e32 v9, v5, v12
	v_add_co_u32 v7, vcc_lo, v3, v7
	s_delay_alu instid0(VALU_DEP_3) | instskip(SKIP_1) | instid1(VALU_DEP_3)
	v_add_co_ci_u32_e32 v10, vcc_lo, v4, v8, vcc_lo
	v_xor_b32_e32 v11, v6, v12
	v_mul_hi_u32 v13, v9, v7
	s_delay_alu instid0(VALU_DEP_3) | instskip(NEXT) | instid1(VALU_DEP_3)
	v_mad_u64_u32 v[3:4], null, v9, v10, 0
	v_mad_u64_u32 v[5:6], null, v11, v7, 0
	;; [unrolled: 1-line block ×3, first 2 shown]
	s_delay_alu instid0(VALU_DEP_3) | instskip(NEXT) | instid1(VALU_DEP_4)
	v_add_co_u32 v3, vcc_lo, v13, v3
	v_add_co_ci_u32_e32 v4, vcc_lo, 0, v4, vcc_lo
	s_delay_alu instid0(VALU_DEP_2) | instskip(NEXT) | instid1(VALU_DEP_2)
	v_add_co_u32 v3, vcc_lo, v3, v5
	v_add_co_ci_u32_e32 v3, vcc_lo, v4, v6, vcc_lo
	v_add_co_ci_u32_e32 v4, vcc_lo, 0, v8, vcc_lo
	s_delay_alu instid0(VALU_DEP_2) | instskip(NEXT) | instid1(VALU_DEP_2)
	v_add_co_u32 v5, vcc_lo, v3, v7
	v_add_co_ci_u32_e32 v6, vcc_lo, 0, v4, vcc_lo
	s_delay_alu instid0(VALU_DEP_2) | instskip(SKIP_1) | instid1(VALU_DEP_3)
	v_mul_lo_u32 v7, s5, v5
	v_mad_u64_u32 v[3:4], null, s4, v5, 0
	v_mul_lo_u32 v8, s4, v6
	s_delay_alu instid0(VALU_DEP_2) | instskip(NEXT) | instid1(VALU_DEP_2)
	v_sub_co_u32 v3, vcc_lo, v9, v3
	v_add3_u32 v4, v4, v8, v7
	s_delay_alu instid0(VALU_DEP_1) | instskip(NEXT) | instid1(VALU_DEP_1)
	v_sub_nc_u32_e32 v7, v11, v4
	v_subrev_co_ci_u32_e64 v7, s0, s5, v7, vcc_lo
	v_add_co_u32 v8, s0, v5, 2
	s_delay_alu instid0(VALU_DEP_1) | instskip(SKIP_3) | instid1(VALU_DEP_3)
	v_add_co_ci_u32_e64 v9, s0, 0, v6, s0
	v_sub_co_u32 v10, s0, v3, s4
	v_sub_co_ci_u32_e32 v4, vcc_lo, v11, v4, vcc_lo
	v_subrev_co_ci_u32_e64 v7, s0, 0, v7, s0
	v_cmp_le_u32_e32 vcc_lo, s4, v10
	s_delay_alu instid0(VALU_DEP_3) | instskip(SKIP_1) | instid1(VALU_DEP_4)
	v_cmp_eq_u32_e64 s0, s5, v4
	v_cndmask_b32_e64 v10, 0, -1, vcc_lo
	v_cmp_le_u32_e32 vcc_lo, s5, v7
	v_cndmask_b32_e64 v11, 0, -1, vcc_lo
	v_cmp_le_u32_e32 vcc_lo, s4, v3
	;; [unrolled: 2-line block ×3, first 2 shown]
	v_cndmask_b32_e64 v13, 0, -1, vcc_lo
	v_cmp_eq_u32_e32 vcc_lo, s5, v7
	s_delay_alu instid0(VALU_DEP_2) | instskip(SKIP_3) | instid1(VALU_DEP_3)
	v_cndmask_b32_e64 v3, v13, v3, s0
	v_cndmask_b32_e32 v7, v11, v10, vcc_lo
	v_add_co_u32 v10, vcc_lo, v5, 1
	v_add_co_ci_u32_e32 v11, vcc_lo, 0, v6, vcc_lo
	v_cmp_ne_u32_e32 vcc_lo, 0, v7
	s_delay_alu instid0(VALU_DEP_2) | instskip(SKIP_2) | instid1(VALU_DEP_3)
	v_dual_cndmask_b32 v4, v11, v9 :: v_dual_cndmask_b32 v7, v10, v8
	v_cmp_ne_u32_e32 vcc_lo, 0, v3
	v_xor_b32_e32 v8, s2, v12
	v_dual_cndmask_b32 v3, v6, v4 :: v_dual_cndmask_b32 v4, v5, v7
	s_delay_alu instid0(VALU_DEP_1) | instskip(NEXT) | instid1(VALU_DEP_2)
	v_xor_b32_e32 v5, v3, v8
	v_xor_b32_e32 v4, v4, v8
	s_delay_alu instid0(VALU_DEP_1) | instskip(NEXT) | instid1(VALU_DEP_3)
	v_sub_co_u32 v3, vcc_lo, v4, v8
	v_sub_co_ci_u32_e32 v4, vcc_lo, v5, v8, vcc_lo
                                        ; implicit-def: $vgpr5
.LBB1139_132:
	s_and_not1_saveexec_b32 s0, s6
	s_cbranch_execz .LBB1139_134
; %bb.133:
	v_cvt_f32_u32_e32 v3, s38
	s_sub_i32 s2, 0, s38
	s_delay_alu instid0(VALU_DEP_1) | instskip(SKIP_2) | instid1(VALU_DEP_1)
	v_rcp_iflag_f32_e32 v3, v3
	s_waitcnt_depctr 0xfff
	v_mul_f32_e32 v3, 0x4f7ffffe, v3
	v_cvt_u32_f32_e32 v3, v3
	s_delay_alu instid0(VALU_DEP_1) | instskip(NEXT) | instid1(VALU_DEP_1)
	v_mul_lo_u32 v4, s2, v3
	v_mul_hi_u32 v4, v3, v4
	s_delay_alu instid0(VALU_DEP_1) | instskip(NEXT) | instid1(VALU_DEP_1)
	v_add_nc_u32_e32 v3, v3, v4
	v_mul_hi_u32 v3, v5, v3
	s_delay_alu instid0(VALU_DEP_1) | instskip(NEXT) | instid1(VALU_DEP_1)
	v_mul_lo_u32 v4, v3, s38
	v_sub_nc_u32_e32 v4, v5, v4
	v_add_nc_u32_e32 v5, 1, v3
	s_delay_alu instid0(VALU_DEP_2) | instskip(SKIP_1) | instid1(VALU_DEP_2)
	v_subrev_nc_u32_e32 v6, s38, v4
	v_cmp_le_u32_e32 vcc_lo, s38, v4
	v_dual_cndmask_b32 v4, v4, v6 :: v_dual_cndmask_b32 v3, v3, v5
	s_delay_alu instid0(VALU_DEP_1) | instskip(NEXT) | instid1(VALU_DEP_2)
	v_cmp_le_u32_e32 vcc_lo, s38, v4
	v_dual_mov_b32 v4, 0 :: v_dual_add_nc_u32 v5, 1, v3
	s_delay_alu instid0(VALU_DEP_1)
	v_cndmask_b32_e32 v3, v3, v5, vcc_lo
.LBB1139_134:
	s_or_b32 exec_lo, exec_lo, s0
.LBB1139_135:
	s_delay_alu instid0(SALU_CYCLE_1) | instskip(SKIP_1) | instid1(VALU_DEP_1)
	s_or_b32 exec_lo, exec_lo, s1
	v_or_b32_e32 v35, 0x200, v0
                                        ; implicit-def: $vgpr5_vgpr6
	v_cmp_gt_u32_e64 s12, s33, v35
	s_delay_alu instid0(VALU_DEP_1)
	s_and_saveexec_b32 s1, s12
	s_cbranch_execz .LBB1139_141
; %bb.136:
	v_add_co_u32 v7, s0, s24, v35
	s_delay_alu instid0(VALU_DEP_1) | instskip(SKIP_1) | instid1(VALU_DEP_2)
	v_add_co_ci_u32_e64 v8, null, s25, 0, s0
	v_mov_b32_e32 v5, 0
	v_or_b32_e32 v6, s39, v8
	s_delay_alu instid0(VALU_DEP_1) | instskip(SKIP_1) | instid1(SALU_CYCLE_1)
	v_cmp_ne_u64_e32 vcc_lo, 0, v[5:6]
                                        ; implicit-def: $vgpr5_vgpr6
	s_and_saveexec_b32 s0, vcc_lo
	s_xor_b32 s6, exec_lo, s0
	s_cbranch_execz .LBB1139_138
; %bb.137:
	s_ashr_i32 s2, s39, 31
	s_delay_alu instid0(SALU_CYCLE_1) | instskip(SKIP_2) | instid1(SALU_CYCLE_1)
	s_add_u32 s4, s38, s2
	s_mov_b32 s3, s2
	s_addc_u32 s5, s39, s2
	s_xor_b64 s[4:5], s[4:5], s[2:3]
	s_delay_alu instid0(SALU_CYCLE_1) | instskip(SKIP_3) | instid1(VALU_DEP_1)
	v_cvt_f32_u32_e32 v5, s4
	v_cvt_f32_u32_e32 v6, s5
	s_sub_u32 s0, 0, s4
	s_subb_u32 s3, 0, s5
	v_fmamk_f32 v5, v6, 0x4f800000, v5
	s_delay_alu instid0(VALU_DEP_1) | instskip(SKIP_2) | instid1(VALU_DEP_1)
	v_rcp_f32_e32 v5, v5
	s_waitcnt_depctr 0xfff
	v_mul_f32_e32 v5, 0x5f7ffffc, v5
	v_mul_f32_e32 v6, 0x2f800000, v5
	s_delay_alu instid0(VALU_DEP_1) | instskip(NEXT) | instid1(VALU_DEP_1)
	v_trunc_f32_e32 v6, v6
	v_fmamk_f32 v5, v6, 0xcf800000, v5
	v_cvt_u32_f32_e32 v6, v6
	s_delay_alu instid0(VALU_DEP_2) | instskip(NEXT) | instid1(VALU_DEP_2)
	v_cvt_u32_f32_e32 v5, v5
	v_mul_lo_u32 v9, s0, v6
	s_delay_alu instid0(VALU_DEP_2) | instskip(SKIP_1) | instid1(VALU_DEP_2)
	v_mul_hi_u32 v10, s0, v5
	v_mul_lo_u32 v11, s3, v5
	v_add_nc_u32_e32 v9, v10, v9
	v_mul_lo_u32 v10, s0, v5
	s_delay_alu instid0(VALU_DEP_2) | instskip(NEXT) | instid1(VALU_DEP_2)
	v_add_nc_u32_e32 v9, v9, v11
	v_mul_hi_u32 v11, v5, v10
	s_delay_alu instid0(VALU_DEP_2)
	v_mul_lo_u32 v12, v5, v9
	v_mul_hi_u32 v13, v5, v9
	v_mul_hi_u32 v14, v6, v10
	v_mul_lo_u32 v10, v6, v10
	v_mul_hi_u32 v15, v6, v9
	v_mul_lo_u32 v9, v6, v9
	v_add_co_u32 v11, vcc_lo, v11, v12
	v_add_co_ci_u32_e32 v12, vcc_lo, 0, v13, vcc_lo
	s_delay_alu instid0(VALU_DEP_2) | instskip(NEXT) | instid1(VALU_DEP_2)
	v_add_co_u32 v10, vcc_lo, v11, v10
	v_add_co_ci_u32_e32 v10, vcc_lo, v12, v14, vcc_lo
	v_add_co_ci_u32_e32 v11, vcc_lo, 0, v15, vcc_lo
	v_ashrrev_i32_e32 v14, 31, v8
	s_delay_alu instid0(VALU_DEP_3) | instskip(NEXT) | instid1(VALU_DEP_3)
	v_add_co_u32 v9, vcc_lo, v10, v9
	v_add_co_ci_u32_e32 v10, vcc_lo, 0, v11, vcc_lo
	s_delay_alu instid0(VALU_DEP_2) | instskip(NEXT) | instid1(VALU_DEP_2)
	v_add_co_u32 v5, vcc_lo, v5, v9
	v_add_co_ci_u32_e32 v6, vcc_lo, v6, v10, vcc_lo
	s_delay_alu instid0(VALU_DEP_2) | instskip(SKIP_1) | instid1(VALU_DEP_3)
	v_mul_hi_u32 v9, s0, v5
	v_mul_lo_u32 v11, s3, v5
	v_mul_lo_u32 v10, s0, v6
	s_delay_alu instid0(VALU_DEP_1) | instskip(SKIP_1) | instid1(VALU_DEP_2)
	v_add_nc_u32_e32 v9, v9, v10
	v_mul_lo_u32 v10, s0, v5
	v_add_nc_u32_e32 v9, v9, v11
	s_delay_alu instid0(VALU_DEP_2) | instskip(NEXT) | instid1(VALU_DEP_2)
	v_mul_hi_u32 v11, v5, v10
	v_mul_lo_u32 v12, v5, v9
	v_mul_hi_u32 v13, v5, v9
	v_mul_hi_u32 v15, v6, v10
	v_mul_lo_u32 v10, v6, v10
	v_mul_hi_u32 v16, v6, v9
	v_mul_lo_u32 v9, v6, v9
	v_add_co_u32 v11, vcc_lo, v11, v12
	v_add_co_ci_u32_e32 v12, vcc_lo, 0, v13, vcc_lo
	s_delay_alu instid0(VALU_DEP_2) | instskip(NEXT) | instid1(VALU_DEP_2)
	v_add_co_u32 v10, vcc_lo, v11, v10
	v_add_co_ci_u32_e32 v10, vcc_lo, v12, v15, vcc_lo
	v_add_co_ci_u32_e32 v11, vcc_lo, 0, v16, vcc_lo
	v_add_co_u32 v7, vcc_lo, v7, v14
	v_add_co_ci_u32_e32 v8, vcc_lo, v8, v14, vcc_lo
	s_delay_alu instid0(VALU_DEP_4) | instskip(NEXT) | instid1(VALU_DEP_4)
	v_add_co_u32 v9, vcc_lo, v10, v9
	v_add_co_ci_u32_e32 v10, vcc_lo, 0, v11, vcc_lo
	s_delay_alu instid0(VALU_DEP_4) | instskip(NEXT) | instid1(VALU_DEP_3)
	v_xor_b32_e32 v11, v7, v14
	v_add_co_u32 v9, vcc_lo, v5, v9
	s_delay_alu instid0(VALU_DEP_3) | instskip(SKIP_1) | instid1(VALU_DEP_3)
	v_add_co_ci_u32_e32 v12, vcc_lo, v6, v10, vcc_lo
	v_xor_b32_e32 v13, v8, v14
	v_mul_hi_u32 v15, v11, v9
	s_delay_alu instid0(VALU_DEP_3) | instskip(NEXT) | instid1(VALU_DEP_3)
	v_mad_u64_u32 v[5:6], null, v11, v12, 0
	v_mad_u64_u32 v[7:8], null, v13, v9, 0
	;; [unrolled: 1-line block ×3, first 2 shown]
	s_delay_alu instid0(VALU_DEP_3) | instskip(NEXT) | instid1(VALU_DEP_4)
	v_add_co_u32 v5, vcc_lo, v15, v5
	v_add_co_ci_u32_e32 v6, vcc_lo, 0, v6, vcc_lo
	s_delay_alu instid0(VALU_DEP_2) | instskip(NEXT) | instid1(VALU_DEP_2)
	v_add_co_u32 v5, vcc_lo, v5, v7
	v_add_co_ci_u32_e32 v5, vcc_lo, v6, v8, vcc_lo
	v_add_co_ci_u32_e32 v6, vcc_lo, 0, v10, vcc_lo
	s_delay_alu instid0(VALU_DEP_2) | instskip(NEXT) | instid1(VALU_DEP_2)
	v_add_co_u32 v7, vcc_lo, v5, v9
	v_add_co_ci_u32_e32 v8, vcc_lo, 0, v6, vcc_lo
	s_delay_alu instid0(VALU_DEP_2) | instskip(SKIP_1) | instid1(VALU_DEP_3)
	v_mul_lo_u32 v9, s5, v7
	v_mad_u64_u32 v[5:6], null, s4, v7, 0
	v_mul_lo_u32 v10, s4, v8
	s_delay_alu instid0(VALU_DEP_2) | instskip(NEXT) | instid1(VALU_DEP_2)
	v_sub_co_u32 v5, vcc_lo, v11, v5
	v_add3_u32 v6, v6, v10, v9
	s_delay_alu instid0(VALU_DEP_1) | instskip(NEXT) | instid1(VALU_DEP_1)
	v_sub_nc_u32_e32 v9, v13, v6
	v_subrev_co_ci_u32_e64 v9, s0, s5, v9, vcc_lo
	v_add_co_u32 v10, s0, v7, 2
	s_delay_alu instid0(VALU_DEP_1) | instskip(SKIP_3) | instid1(VALU_DEP_3)
	v_add_co_ci_u32_e64 v11, s0, 0, v8, s0
	v_sub_co_u32 v12, s0, v5, s4
	v_sub_co_ci_u32_e32 v6, vcc_lo, v13, v6, vcc_lo
	v_subrev_co_ci_u32_e64 v9, s0, 0, v9, s0
	v_cmp_le_u32_e32 vcc_lo, s4, v12
	s_delay_alu instid0(VALU_DEP_3) | instskip(SKIP_1) | instid1(VALU_DEP_4)
	v_cmp_eq_u32_e64 s0, s5, v6
	v_cndmask_b32_e64 v12, 0, -1, vcc_lo
	v_cmp_le_u32_e32 vcc_lo, s5, v9
	v_cndmask_b32_e64 v13, 0, -1, vcc_lo
	v_cmp_le_u32_e32 vcc_lo, s4, v5
	;; [unrolled: 2-line block ×3, first 2 shown]
	v_cndmask_b32_e64 v15, 0, -1, vcc_lo
	v_cmp_eq_u32_e32 vcc_lo, s5, v9
	s_delay_alu instid0(VALU_DEP_2) | instskip(SKIP_3) | instid1(VALU_DEP_3)
	v_cndmask_b32_e64 v5, v15, v5, s0
	v_cndmask_b32_e32 v9, v13, v12, vcc_lo
	v_add_co_u32 v12, vcc_lo, v7, 1
	v_add_co_ci_u32_e32 v13, vcc_lo, 0, v8, vcc_lo
	v_cmp_ne_u32_e32 vcc_lo, 0, v9
	s_delay_alu instid0(VALU_DEP_2) | instskip(SKIP_2) | instid1(VALU_DEP_3)
	v_dual_cndmask_b32 v6, v13, v11 :: v_dual_cndmask_b32 v9, v12, v10
	v_cmp_ne_u32_e32 vcc_lo, 0, v5
	v_xor_b32_e32 v10, s2, v14
	v_dual_cndmask_b32 v5, v8, v6 :: v_dual_cndmask_b32 v6, v7, v9
	s_delay_alu instid0(VALU_DEP_1) | instskip(NEXT) | instid1(VALU_DEP_2)
	v_xor_b32_e32 v7, v5, v10
	v_xor_b32_e32 v6, v6, v10
	s_delay_alu instid0(VALU_DEP_1) | instskip(NEXT) | instid1(VALU_DEP_3)
	v_sub_co_u32 v5, vcc_lo, v6, v10
	v_sub_co_ci_u32_e32 v6, vcc_lo, v7, v10, vcc_lo
                                        ; implicit-def: $vgpr7
.LBB1139_138:
	s_and_not1_saveexec_b32 s0, s6
	s_cbranch_execz .LBB1139_140
; %bb.139:
	v_cvt_f32_u32_e32 v5, s38
	s_sub_i32 s2, 0, s38
	s_delay_alu instid0(VALU_DEP_1) | instskip(SKIP_2) | instid1(VALU_DEP_1)
	v_rcp_iflag_f32_e32 v5, v5
	s_waitcnt_depctr 0xfff
	v_mul_f32_e32 v5, 0x4f7ffffe, v5
	v_cvt_u32_f32_e32 v5, v5
	s_delay_alu instid0(VALU_DEP_1) | instskip(NEXT) | instid1(VALU_DEP_1)
	v_mul_lo_u32 v6, s2, v5
	v_mul_hi_u32 v6, v5, v6
	s_delay_alu instid0(VALU_DEP_1) | instskip(NEXT) | instid1(VALU_DEP_1)
	v_add_nc_u32_e32 v5, v5, v6
	v_mul_hi_u32 v5, v7, v5
	s_delay_alu instid0(VALU_DEP_1) | instskip(NEXT) | instid1(VALU_DEP_1)
	v_mul_lo_u32 v6, v5, s38
	v_sub_nc_u32_e32 v6, v7, v6
	v_add_nc_u32_e32 v7, 1, v5
	s_delay_alu instid0(VALU_DEP_2) | instskip(SKIP_1) | instid1(VALU_DEP_2)
	v_subrev_nc_u32_e32 v8, s38, v6
	v_cmp_le_u32_e32 vcc_lo, s38, v6
	v_dual_cndmask_b32 v6, v6, v8 :: v_dual_cndmask_b32 v5, v5, v7
	s_delay_alu instid0(VALU_DEP_1) | instskip(NEXT) | instid1(VALU_DEP_2)
	v_cmp_le_u32_e32 vcc_lo, s38, v6
	v_dual_mov_b32 v6, 0 :: v_dual_add_nc_u32 v7, 1, v5
	s_delay_alu instid0(VALU_DEP_1)
	v_cndmask_b32_e32 v5, v5, v7, vcc_lo
.LBB1139_140:
	s_or_b32 exec_lo, exec_lo, s0
.LBB1139_141:
	s_delay_alu instid0(SALU_CYCLE_1) | instskip(SKIP_1) | instid1(VALU_DEP_1)
	s_or_b32 exec_lo, exec_lo, s1
	v_or_b32_e32 v37, 0x300, v0
                                        ; implicit-def: $vgpr7_vgpr8
	v_cmp_gt_u32_e64 s11, s33, v37
	s_delay_alu instid0(VALU_DEP_1)
	s_and_saveexec_b32 s1, s11
	s_cbranch_execz .LBB1139_147
; %bb.142:
	v_add_co_u32 v9, s0, s24, v37
	s_delay_alu instid0(VALU_DEP_1) | instskip(SKIP_1) | instid1(VALU_DEP_2)
	v_add_co_ci_u32_e64 v10, null, s25, 0, s0
	v_mov_b32_e32 v7, 0
	v_or_b32_e32 v8, s39, v10
	s_delay_alu instid0(VALU_DEP_1) | instskip(SKIP_1) | instid1(SALU_CYCLE_1)
	v_cmp_ne_u64_e32 vcc_lo, 0, v[7:8]
                                        ; implicit-def: $vgpr7_vgpr8
	s_and_saveexec_b32 s0, vcc_lo
	s_xor_b32 s6, exec_lo, s0
	s_cbranch_execz .LBB1139_144
; %bb.143:
	s_ashr_i32 s2, s39, 31
	s_delay_alu instid0(SALU_CYCLE_1) | instskip(SKIP_2) | instid1(SALU_CYCLE_1)
	s_add_u32 s4, s38, s2
	s_mov_b32 s3, s2
	s_addc_u32 s5, s39, s2
	s_xor_b64 s[4:5], s[4:5], s[2:3]
	s_delay_alu instid0(SALU_CYCLE_1) | instskip(SKIP_3) | instid1(VALU_DEP_1)
	v_cvt_f32_u32_e32 v7, s4
	v_cvt_f32_u32_e32 v8, s5
	s_sub_u32 s0, 0, s4
	s_subb_u32 s3, 0, s5
	v_fmamk_f32 v7, v8, 0x4f800000, v7
	s_delay_alu instid0(VALU_DEP_1) | instskip(SKIP_2) | instid1(VALU_DEP_1)
	v_rcp_f32_e32 v7, v7
	s_waitcnt_depctr 0xfff
	v_mul_f32_e32 v7, 0x5f7ffffc, v7
	v_mul_f32_e32 v8, 0x2f800000, v7
	s_delay_alu instid0(VALU_DEP_1) | instskip(NEXT) | instid1(VALU_DEP_1)
	v_trunc_f32_e32 v8, v8
	v_fmamk_f32 v7, v8, 0xcf800000, v7
	v_cvt_u32_f32_e32 v8, v8
	s_delay_alu instid0(VALU_DEP_2) | instskip(NEXT) | instid1(VALU_DEP_2)
	v_cvt_u32_f32_e32 v7, v7
	v_mul_lo_u32 v11, s0, v8
	s_delay_alu instid0(VALU_DEP_2) | instskip(SKIP_1) | instid1(VALU_DEP_2)
	v_mul_hi_u32 v12, s0, v7
	v_mul_lo_u32 v13, s3, v7
	v_add_nc_u32_e32 v11, v12, v11
	v_mul_lo_u32 v12, s0, v7
	s_delay_alu instid0(VALU_DEP_2) | instskip(NEXT) | instid1(VALU_DEP_2)
	v_add_nc_u32_e32 v11, v11, v13
	v_mul_hi_u32 v13, v7, v12
	s_delay_alu instid0(VALU_DEP_2)
	v_mul_lo_u32 v14, v7, v11
	v_mul_hi_u32 v15, v7, v11
	v_mul_hi_u32 v16, v8, v12
	v_mul_lo_u32 v12, v8, v12
	v_mul_hi_u32 v17, v8, v11
	v_mul_lo_u32 v11, v8, v11
	v_add_co_u32 v13, vcc_lo, v13, v14
	v_add_co_ci_u32_e32 v14, vcc_lo, 0, v15, vcc_lo
	s_delay_alu instid0(VALU_DEP_2) | instskip(NEXT) | instid1(VALU_DEP_2)
	v_add_co_u32 v12, vcc_lo, v13, v12
	v_add_co_ci_u32_e32 v12, vcc_lo, v14, v16, vcc_lo
	v_add_co_ci_u32_e32 v13, vcc_lo, 0, v17, vcc_lo
	v_ashrrev_i32_e32 v16, 31, v10
	s_delay_alu instid0(VALU_DEP_3) | instskip(NEXT) | instid1(VALU_DEP_3)
	v_add_co_u32 v11, vcc_lo, v12, v11
	v_add_co_ci_u32_e32 v12, vcc_lo, 0, v13, vcc_lo
	s_delay_alu instid0(VALU_DEP_2) | instskip(NEXT) | instid1(VALU_DEP_2)
	v_add_co_u32 v7, vcc_lo, v7, v11
	v_add_co_ci_u32_e32 v8, vcc_lo, v8, v12, vcc_lo
	s_delay_alu instid0(VALU_DEP_2) | instskip(SKIP_1) | instid1(VALU_DEP_3)
	v_mul_hi_u32 v11, s0, v7
	v_mul_lo_u32 v13, s3, v7
	v_mul_lo_u32 v12, s0, v8
	s_delay_alu instid0(VALU_DEP_1) | instskip(SKIP_1) | instid1(VALU_DEP_2)
	v_add_nc_u32_e32 v11, v11, v12
	v_mul_lo_u32 v12, s0, v7
	v_add_nc_u32_e32 v11, v11, v13
	s_delay_alu instid0(VALU_DEP_2) | instskip(NEXT) | instid1(VALU_DEP_2)
	v_mul_hi_u32 v13, v7, v12
	v_mul_lo_u32 v14, v7, v11
	v_mul_hi_u32 v15, v7, v11
	v_mul_hi_u32 v17, v8, v12
	v_mul_lo_u32 v12, v8, v12
	v_mul_hi_u32 v18, v8, v11
	v_mul_lo_u32 v11, v8, v11
	v_add_co_u32 v13, vcc_lo, v13, v14
	v_add_co_ci_u32_e32 v14, vcc_lo, 0, v15, vcc_lo
	s_delay_alu instid0(VALU_DEP_2) | instskip(NEXT) | instid1(VALU_DEP_2)
	v_add_co_u32 v12, vcc_lo, v13, v12
	v_add_co_ci_u32_e32 v12, vcc_lo, v14, v17, vcc_lo
	v_add_co_ci_u32_e32 v13, vcc_lo, 0, v18, vcc_lo
	v_add_co_u32 v9, vcc_lo, v9, v16
	v_add_co_ci_u32_e32 v10, vcc_lo, v10, v16, vcc_lo
	s_delay_alu instid0(VALU_DEP_4) | instskip(NEXT) | instid1(VALU_DEP_4)
	v_add_co_u32 v11, vcc_lo, v12, v11
	v_add_co_ci_u32_e32 v12, vcc_lo, 0, v13, vcc_lo
	s_delay_alu instid0(VALU_DEP_4) | instskip(NEXT) | instid1(VALU_DEP_3)
	v_xor_b32_e32 v13, v9, v16
	v_add_co_u32 v11, vcc_lo, v7, v11
	s_delay_alu instid0(VALU_DEP_3) | instskip(SKIP_1) | instid1(VALU_DEP_3)
	v_add_co_ci_u32_e32 v14, vcc_lo, v8, v12, vcc_lo
	v_xor_b32_e32 v15, v10, v16
	v_mul_hi_u32 v17, v13, v11
	s_delay_alu instid0(VALU_DEP_3) | instskip(NEXT) | instid1(VALU_DEP_3)
	v_mad_u64_u32 v[7:8], null, v13, v14, 0
	v_mad_u64_u32 v[9:10], null, v15, v11, 0
	;; [unrolled: 1-line block ×3, first 2 shown]
	s_delay_alu instid0(VALU_DEP_3) | instskip(NEXT) | instid1(VALU_DEP_4)
	v_add_co_u32 v7, vcc_lo, v17, v7
	v_add_co_ci_u32_e32 v8, vcc_lo, 0, v8, vcc_lo
	s_delay_alu instid0(VALU_DEP_2) | instskip(NEXT) | instid1(VALU_DEP_2)
	v_add_co_u32 v7, vcc_lo, v7, v9
	v_add_co_ci_u32_e32 v7, vcc_lo, v8, v10, vcc_lo
	v_add_co_ci_u32_e32 v8, vcc_lo, 0, v12, vcc_lo
	s_delay_alu instid0(VALU_DEP_2) | instskip(NEXT) | instid1(VALU_DEP_2)
	v_add_co_u32 v9, vcc_lo, v7, v11
	v_add_co_ci_u32_e32 v10, vcc_lo, 0, v8, vcc_lo
	s_delay_alu instid0(VALU_DEP_2) | instskip(SKIP_1) | instid1(VALU_DEP_3)
	v_mul_lo_u32 v11, s5, v9
	v_mad_u64_u32 v[7:8], null, s4, v9, 0
	v_mul_lo_u32 v12, s4, v10
	s_delay_alu instid0(VALU_DEP_2) | instskip(NEXT) | instid1(VALU_DEP_2)
	v_sub_co_u32 v7, vcc_lo, v13, v7
	v_add3_u32 v8, v8, v12, v11
	s_delay_alu instid0(VALU_DEP_1) | instskip(NEXT) | instid1(VALU_DEP_1)
	v_sub_nc_u32_e32 v11, v15, v8
	v_subrev_co_ci_u32_e64 v11, s0, s5, v11, vcc_lo
	v_add_co_u32 v12, s0, v9, 2
	s_delay_alu instid0(VALU_DEP_1) | instskip(SKIP_3) | instid1(VALU_DEP_3)
	v_add_co_ci_u32_e64 v13, s0, 0, v10, s0
	v_sub_co_u32 v14, s0, v7, s4
	v_sub_co_ci_u32_e32 v8, vcc_lo, v15, v8, vcc_lo
	v_subrev_co_ci_u32_e64 v11, s0, 0, v11, s0
	v_cmp_le_u32_e32 vcc_lo, s4, v14
	s_delay_alu instid0(VALU_DEP_3) | instskip(SKIP_1) | instid1(VALU_DEP_4)
	v_cmp_eq_u32_e64 s0, s5, v8
	v_cndmask_b32_e64 v14, 0, -1, vcc_lo
	v_cmp_le_u32_e32 vcc_lo, s5, v11
	v_cndmask_b32_e64 v15, 0, -1, vcc_lo
	v_cmp_le_u32_e32 vcc_lo, s4, v7
	;; [unrolled: 2-line block ×3, first 2 shown]
	v_cndmask_b32_e64 v17, 0, -1, vcc_lo
	v_cmp_eq_u32_e32 vcc_lo, s5, v11
	s_delay_alu instid0(VALU_DEP_2) | instskip(SKIP_3) | instid1(VALU_DEP_3)
	v_cndmask_b32_e64 v7, v17, v7, s0
	v_cndmask_b32_e32 v11, v15, v14, vcc_lo
	v_add_co_u32 v14, vcc_lo, v9, 1
	v_add_co_ci_u32_e32 v15, vcc_lo, 0, v10, vcc_lo
	v_cmp_ne_u32_e32 vcc_lo, 0, v11
	s_delay_alu instid0(VALU_DEP_2) | instskip(SKIP_2) | instid1(VALU_DEP_3)
	v_dual_cndmask_b32 v8, v15, v13 :: v_dual_cndmask_b32 v11, v14, v12
	v_cmp_ne_u32_e32 vcc_lo, 0, v7
	v_xor_b32_e32 v12, s2, v16
	v_dual_cndmask_b32 v7, v10, v8 :: v_dual_cndmask_b32 v8, v9, v11
	s_delay_alu instid0(VALU_DEP_1) | instskip(NEXT) | instid1(VALU_DEP_2)
	v_xor_b32_e32 v9, v7, v12
	v_xor_b32_e32 v8, v8, v12
	s_delay_alu instid0(VALU_DEP_1) | instskip(NEXT) | instid1(VALU_DEP_3)
	v_sub_co_u32 v7, vcc_lo, v8, v12
	v_sub_co_ci_u32_e32 v8, vcc_lo, v9, v12, vcc_lo
                                        ; implicit-def: $vgpr9
.LBB1139_144:
	s_and_not1_saveexec_b32 s0, s6
	s_cbranch_execz .LBB1139_146
; %bb.145:
	v_cvt_f32_u32_e32 v7, s38
	s_sub_i32 s2, 0, s38
	s_delay_alu instid0(VALU_DEP_1) | instskip(SKIP_2) | instid1(VALU_DEP_1)
	v_rcp_iflag_f32_e32 v7, v7
	s_waitcnt_depctr 0xfff
	v_mul_f32_e32 v7, 0x4f7ffffe, v7
	v_cvt_u32_f32_e32 v7, v7
	s_delay_alu instid0(VALU_DEP_1) | instskip(NEXT) | instid1(VALU_DEP_1)
	v_mul_lo_u32 v8, s2, v7
	v_mul_hi_u32 v8, v7, v8
	s_delay_alu instid0(VALU_DEP_1) | instskip(NEXT) | instid1(VALU_DEP_1)
	v_add_nc_u32_e32 v7, v7, v8
	v_mul_hi_u32 v7, v9, v7
	s_delay_alu instid0(VALU_DEP_1) | instskip(NEXT) | instid1(VALU_DEP_1)
	v_mul_lo_u32 v8, v7, s38
	v_sub_nc_u32_e32 v8, v9, v8
	v_add_nc_u32_e32 v9, 1, v7
	s_delay_alu instid0(VALU_DEP_2) | instskip(SKIP_1) | instid1(VALU_DEP_2)
	v_subrev_nc_u32_e32 v10, s38, v8
	v_cmp_le_u32_e32 vcc_lo, s38, v8
	v_dual_cndmask_b32 v8, v8, v10 :: v_dual_cndmask_b32 v7, v7, v9
	s_delay_alu instid0(VALU_DEP_1) | instskip(NEXT) | instid1(VALU_DEP_2)
	v_cmp_le_u32_e32 vcc_lo, s38, v8
	v_dual_mov_b32 v8, 0 :: v_dual_add_nc_u32 v9, 1, v7
	s_delay_alu instid0(VALU_DEP_1)
	v_cndmask_b32_e32 v7, v7, v9, vcc_lo
.LBB1139_146:
	s_or_b32 exec_lo, exec_lo, s0
.LBB1139_147:
	s_delay_alu instid0(SALU_CYCLE_1) | instskip(SKIP_1) | instid1(VALU_DEP_1)
	s_or_b32 exec_lo, exec_lo, s1
	v_or_b32_e32 v39, 0x400, v0
                                        ; implicit-def: $vgpr9_vgpr10
	v_cmp_gt_u32_e64 s10, s33, v39
	s_delay_alu instid0(VALU_DEP_1)
	s_and_saveexec_b32 s1, s10
	s_cbranch_execz .LBB1139_153
; %bb.148:
	v_add_co_u32 v11, s0, s24, v39
	s_delay_alu instid0(VALU_DEP_1) | instskip(SKIP_1) | instid1(VALU_DEP_2)
	v_add_co_ci_u32_e64 v12, null, s25, 0, s0
	v_mov_b32_e32 v9, 0
	v_or_b32_e32 v10, s39, v12
	s_delay_alu instid0(VALU_DEP_1) | instskip(SKIP_1) | instid1(SALU_CYCLE_1)
	v_cmp_ne_u64_e32 vcc_lo, 0, v[9:10]
                                        ; implicit-def: $vgpr9_vgpr10
	s_and_saveexec_b32 s0, vcc_lo
	s_xor_b32 s6, exec_lo, s0
	s_cbranch_execz .LBB1139_150
; %bb.149:
	s_ashr_i32 s2, s39, 31
	s_delay_alu instid0(SALU_CYCLE_1) | instskip(SKIP_2) | instid1(SALU_CYCLE_1)
	s_add_u32 s4, s38, s2
	s_mov_b32 s3, s2
	s_addc_u32 s5, s39, s2
	s_xor_b64 s[4:5], s[4:5], s[2:3]
	s_delay_alu instid0(SALU_CYCLE_1) | instskip(SKIP_3) | instid1(VALU_DEP_1)
	v_cvt_f32_u32_e32 v9, s4
	v_cvt_f32_u32_e32 v10, s5
	s_sub_u32 s0, 0, s4
	s_subb_u32 s3, 0, s5
	v_fmamk_f32 v9, v10, 0x4f800000, v9
	s_delay_alu instid0(VALU_DEP_1) | instskip(SKIP_2) | instid1(VALU_DEP_1)
	v_rcp_f32_e32 v9, v9
	s_waitcnt_depctr 0xfff
	v_mul_f32_e32 v9, 0x5f7ffffc, v9
	v_mul_f32_e32 v10, 0x2f800000, v9
	s_delay_alu instid0(VALU_DEP_1) | instskip(NEXT) | instid1(VALU_DEP_1)
	v_trunc_f32_e32 v10, v10
	v_fmamk_f32 v9, v10, 0xcf800000, v9
	v_cvt_u32_f32_e32 v10, v10
	s_delay_alu instid0(VALU_DEP_2) | instskip(NEXT) | instid1(VALU_DEP_2)
	v_cvt_u32_f32_e32 v9, v9
	v_mul_lo_u32 v13, s0, v10
	s_delay_alu instid0(VALU_DEP_2) | instskip(SKIP_1) | instid1(VALU_DEP_2)
	v_mul_hi_u32 v14, s0, v9
	v_mul_lo_u32 v15, s3, v9
	v_add_nc_u32_e32 v13, v14, v13
	v_mul_lo_u32 v14, s0, v9
	s_delay_alu instid0(VALU_DEP_2) | instskip(NEXT) | instid1(VALU_DEP_2)
	v_add_nc_u32_e32 v13, v13, v15
	v_mul_hi_u32 v15, v9, v14
	s_delay_alu instid0(VALU_DEP_2)
	v_mul_lo_u32 v16, v9, v13
	v_mul_hi_u32 v17, v9, v13
	v_mul_hi_u32 v18, v10, v14
	v_mul_lo_u32 v14, v10, v14
	v_mul_hi_u32 v19, v10, v13
	v_mul_lo_u32 v13, v10, v13
	v_add_co_u32 v15, vcc_lo, v15, v16
	v_add_co_ci_u32_e32 v16, vcc_lo, 0, v17, vcc_lo
	s_delay_alu instid0(VALU_DEP_2) | instskip(NEXT) | instid1(VALU_DEP_2)
	v_add_co_u32 v14, vcc_lo, v15, v14
	v_add_co_ci_u32_e32 v14, vcc_lo, v16, v18, vcc_lo
	v_add_co_ci_u32_e32 v15, vcc_lo, 0, v19, vcc_lo
	v_ashrrev_i32_e32 v18, 31, v12
	s_delay_alu instid0(VALU_DEP_3) | instskip(NEXT) | instid1(VALU_DEP_3)
	v_add_co_u32 v13, vcc_lo, v14, v13
	v_add_co_ci_u32_e32 v14, vcc_lo, 0, v15, vcc_lo
	s_delay_alu instid0(VALU_DEP_2) | instskip(NEXT) | instid1(VALU_DEP_2)
	v_add_co_u32 v9, vcc_lo, v9, v13
	v_add_co_ci_u32_e32 v10, vcc_lo, v10, v14, vcc_lo
	s_delay_alu instid0(VALU_DEP_2) | instskip(SKIP_1) | instid1(VALU_DEP_3)
	v_mul_hi_u32 v13, s0, v9
	v_mul_lo_u32 v15, s3, v9
	v_mul_lo_u32 v14, s0, v10
	s_delay_alu instid0(VALU_DEP_1) | instskip(SKIP_1) | instid1(VALU_DEP_2)
	v_add_nc_u32_e32 v13, v13, v14
	v_mul_lo_u32 v14, s0, v9
	v_add_nc_u32_e32 v13, v13, v15
	s_delay_alu instid0(VALU_DEP_2) | instskip(NEXT) | instid1(VALU_DEP_2)
	v_mul_hi_u32 v15, v9, v14
	v_mul_lo_u32 v16, v9, v13
	v_mul_hi_u32 v17, v9, v13
	v_mul_hi_u32 v19, v10, v14
	v_mul_lo_u32 v14, v10, v14
	v_mul_hi_u32 v20, v10, v13
	v_mul_lo_u32 v13, v10, v13
	v_add_co_u32 v15, vcc_lo, v15, v16
	v_add_co_ci_u32_e32 v16, vcc_lo, 0, v17, vcc_lo
	s_delay_alu instid0(VALU_DEP_2) | instskip(NEXT) | instid1(VALU_DEP_2)
	v_add_co_u32 v14, vcc_lo, v15, v14
	v_add_co_ci_u32_e32 v14, vcc_lo, v16, v19, vcc_lo
	v_add_co_ci_u32_e32 v15, vcc_lo, 0, v20, vcc_lo
	v_add_co_u32 v11, vcc_lo, v11, v18
	v_add_co_ci_u32_e32 v12, vcc_lo, v12, v18, vcc_lo
	s_delay_alu instid0(VALU_DEP_4) | instskip(NEXT) | instid1(VALU_DEP_4)
	v_add_co_u32 v13, vcc_lo, v14, v13
	v_add_co_ci_u32_e32 v14, vcc_lo, 0, v15, vcc_lo
	s_delay_alu instid0(VALU_DEP_4) | instskip(NEXT) | instid1(VALU_DEP_3)
	v_xor_b32_e32 v15, v11, v18
	v_add_co_u32 v13, vcc_lo, v9, v13
	s_delay_alu instid0(VALU_DEP_3) | instskip(SKIP_1) | instid1(VALU_DEP_3)
	v_add_co_ci_u32_e32 v16, vcc_lo, v10, v14, vcc_lo
	v_xor_b32_e32 v17, v12, v18
	v_mul_hi_u32 v19, v15, v13
	s_delay_alu instid0(VALU_DEP_3) | instskip(NEXT) | instid1(VALU_DEP_3)
	v_mad_u64_u32 v[9:10], null, v15, v16, 0
	v_mad_u64_u32 v[11:12], null, v17, v13, 0
	v_mad_u64_u32 v[13:14], null, v17, v16, 0
	s_delay_alu instid0(VALU_DEP_3) | instskip(NEXT) | instid1(VALU_DEP_4)
	v_add_co_u32 v9, vcc_lo, v19, v9
	v_add_co_ci_u32_e32 v10, vcc_lo, 0, v10, vcc_lo
	s_delay_alu instid0(VALU_DEP_2) | instskip(NEXT) | instid1(VALU_DEP_2)
	v_add_co_u32 v9, vcc_lo, v9, v11
	v_add_co_ci_u32_e32 v9, vcc_lo, v10, v12, vcc_lo
	v_add_co_ci_u32_e32 v10, vcc_lo, 0, v14, vcc_lo
	s_delay_alu instid0(VALU_DEP_2) | instskip(NEXT) | instid1(VALU_DEP_2)
	v_add_co_u32 v11, vcc_lo, v9, v13
	v_add_co_ci_u32_e32 v12, vcc_lo, 0, v10, vcc_lo
	s_delay_alu instid0(VALU_DEP_2) | instskip(SKIP_1) | instid1(VALU_DEP_3)
	v_mul_lo_u32 v13, s5, v11
	v_mad_u64_u32 v[9:10], null, s4, v11, 0
	v_mul_lo_u32 v14, s4, v12
	s_delay_alu instid0(VALU_DEP_2) | instskip(NEXT) | instid1(VALU_DEP_2)
	v_sub_co_u32 v9, vcc_lo, v15, v9
	v_add3_u32 v10, v10, v14, v13
	s_delay_alu instid0(VALU_DEP_1) | instskip(NEXT) | instid1(VALU_DEP_1)
	v_sub_nc_u32_e32 v13, v17, v10
	v_subrev_co_ci_u32_e64 v13, s0, s5, v13, vcc_lo
	v_add_co_u32 v14, s0, v11, 2
	s_delay_alu instid0(VALU_DEP_1) | instskip(SKIP_3) | instid1(VALU_DEP_3)
	v_add_co_ci_u32_e64 v15, s0, 0, v12, s0
	v_sub_co_u32 v16, s0, v9, s4
	v_sub_co_ci_u32_e32 v10, vcc_lo, v17, v10, vcc_lo
	v_subrev_co_ci_u32_e64 v13, s0, 0, v13, s0
	v_cmp_le_u32_e32 vcc_lo, s4, v16
	s_delay_alu instid0(VALU_DEP_3) | instskip(SKIP_1) | instid1(VALU_DEP_4)
	v_cmp_eq_u32_e64 s0, s5, v10
	v_cndmask_b32_e64 v16, 0, -1, vcc_lo
	v_cmp_le_u32_e32 vcc_lo, s5, v13
	v_cndmask_b32_e64 v17, 0, -1, vcc_lo
	v_cmp_le_u32_e32 vcc_lo, s4, v9
	;; [unrolled: 2-line block ×3, first 2 shown]
	v_cndmask_b32_e64 v19, 0, -1, vcc_lo
	v_cmp_eq_u32_e32 vcc_lo, s5, v13
	s_delay_alu instid0(VALU_DEP_2) | instskip(SKIP_3) | instid1(VALU_DEP_3)
	v_cndmask_b32_e64 v9, v19, v9, s0
	v_cndmask_b32_e32 v13, v17, v16, vcc_lo
	v_add_co_u32 v16, vcc_lo, v11, 1
	v_add_co_ci_u32_e32 v17, vcc_lo, 0, v12, vcc_lo
	v_cmp_ne_u32_e32 vcc_lo, 0, v13
	s_delay_alu instid0(VALU_DEP_2) | instskip(SKIP_2) | instid1(VALU_DEP_3)
	v_dual_cndmask_b32 v10, v17, v15 :: v_dual_cndmask_b32 v13, v16, v14
	v_cmp_ne_u32_e32 vcc_lo, 0, v9
	v_xor_b32_e32 v14, s2, v18
	v_dual_cndmask_b32 v9, v12, v10 :: v_dual_cndmask_b32 v10, v11, v13
	s_delay_alu instid0(VALU_DEP_1) | instskip(NEXT) | instid1(VALU_DEP_2)
	v_xor_b32_e32 v11, v9, v14
	v_xor_b32_e32 v10, v10, v14
	s_delay_alu instid0(VALU_DEP_1) | instskip(NEXT) | instid1(VALU_DEP_3)
	v_sub_co_u32 v9, vcc_lo, v10, v14
	v_sub_co_ci_u32_e32 v10, vcc_lo, v11, v14, vcc_lo
                                        ; implicit-def: $vgpr11
.LBB1139_150:
	s_and_not1_saveexec_b32 s0, s6
	s_cbranch_execz .LBB1139_152
; %bb.151:
	v_cvt_f32_u32_e32 v9, s38
	s_sub_i32 s2, 0, s38
	s_delay_alu instid0(VALU_DEP_1) | instskip(SKIP_2) | instid1(VALU_DEP_1)
	v_rcp_iflag_f32_e32 v9, v9
	s_waitcnt_depctr 0xfff
	v_mul_f32_e32 v9, 0x4f7ffffe, v9
	v_cvt_u32_f32_e32 v9, v9
	s_delay_alu instid0(VALU_DEP_1) | instskip(NEXT) | instid1(VALU_DEP_1)
	v_mul_lo_u32 v10, s2, v9
	v_mul_hi_u32 v10, v9, v10
	s_delay_alu instid0(VALU_DEP_1) | instskip(NEXT) | instid1(VALU_DEP_1)
	v_add_nc_u32_e32 v9, v9, v10
	v_mul_hi_u32 v9, v11, v9
	s_delay_alu instid0(VALU_DEP_1) | instskip(NEXT) | instid1(VALU_DEP_1)
	v_mul_lo_u32 v10, v9, s38
	v_sub_nc_u32_e32 v10, v11, v10
	v_add_nc_u32_e32 v11, 1, v9
	s_delay_alu instid0(VALU_DEP_2) | instskip(SKIP_1) | instid1(VALU_DEP_2)
	v_subrev_nc_u32_e32 v12, s38, v10
	v_cmp_le_u32_e32 vcc_lo, s38, v10
	v_dual_cndmask_b32 v10, v10, v12 :: v_dual_cndmask_b32 v9, v9, v11
	s_delay_alu instid0(VALU_DEP_1) | instskip(NEXT) | instid1(VALU_DEP_2)
	v_cmp_le_u32_e32 vcc_lo, s38, v10
	v_dual_mov_b32 v10, 0 :: v_dual_add_nc_u32 v11, 1, v9
	s_delay_alu instid0(VALU_DEP_1)
	v_cndmask_b32_e32 v9, v9, v11, vcc_lo
.LBB1139_152:
	s_or_b32 exec_lo, exec_lo, s0
.LBB1139_153:
	s_delay_alu instid0(SALU_CYCLE_1) | instskip(SKIP_1) | instid1(VALU_DEP_1)
	s_or_b32 exec_lo, exec_lo, s1
	v_or_b32_e32 v41, 0x500, v0
                                        ; implicit-def: $vgpr11_vgpr12
	v_cmp_gt_u32_e64 s9, s33, v41
	s_delay_alu instid0(VALU_DEP_1)
	s_and_saveexec_b32 s1, s9
	s_cbranch_execz .LBB1139_159
; %bb.154:
	v_add_co_u32 v13, s0, s24, v41
	s_delay_alu instid0(VALU_DEP_1) | instskip(SKIP_1) | instid1(VALU_DEP_2)
	v_add_co_ci_u32_e64 v14, null, s25, 0, s0
	v_mov_b32_e32 v11, 0
	v_or_b32_e32 v12, s39, v14
	s_delay_alu instid0(VALU_DEP_1) | instskip(SKIP_1) | instid1(SALU_CYCLE_1)
	v_cmp_ne_u64_e32 vcc_lo, 0, v[11:12]
                                        ; implicit-def: $vgpr11_vgpr12
	s_and_saveexec_b32 s0, vcc_lo
	s_xor_b32 s6, exec_lo, s0
	s_cbranch_execz .LBB1139_156
; %bb.155:
	s_ashr_i32 s2, s39, 31
	s_delay_alu instid0(SALU_CYCLE_1) | instskip(SKIP_2) | instid1(SALU_CYCLE_1)
	s_add_u32 s4, s38, s2
	s_mov_b32 s3, s2
	s_addc_u32 s5, s39, s2
	s_xor_b64 s[4:5], s[4:5], s[2:3]
	s_delay_alu instid0(SALU_CYCLE_1) | instskip(SKIP_3) | instid1(VALU_DEP_1)
	v_cvt_f32_u32_e32 v11, s4
	v_cvt_f32_u32_e32 v12, s5
	s_sub_u32 s0, 0, s4
	s_subb_u32 s3, 0, s5
	v_fmamk_f32 v11, v12, 0x4f800000, v11
	s_delay_alu instid0(VALU_DEP_1) | instskip(SKIP_2) | instid1(VALU_DEP_1)
	v_rcp_f32_e32 v11, v11
	s_waitcnt_depctr 0xfff
	v_mul_f32_e32 v11, 0x5f7ffffc, v11
	v_mul_f32_e32 v12, 0x2f800000, v11
	s_delay_alu instid0(VALU_DEP_1) | instskip(NEXT) | instid1(VALU_DEP_1)
	v_trunc_f32_e32 v12, v12
	v_fmamk_f32 v11, v12, 0xcf800000, v11
	v_cvt_u32_f32_e32 v12, v12
	s_delay_alu instid0(VALU_DEP_2) | instskip(NEXT) | instid1(VALU_DEP_2)
	v_cvt_u32_f32_e32 v11, v11
	v_mul_lo_u32 v15, s0, v12
	s_delay_alu instid0(VALU_DEP_2) | instskip(SKIP_1) | instid1(VALU_DEP_2)
	v_mul_hi_u32 v16, s0, v11
	v_mul_lo_u32 v17, s3, v11
	v_add_nc_u32_e32 v15, v16, v15
	v_mul_lo_u32 v16, s0, v11
	s_delay_alu instid0(VALU_DEP_2) | instskip(NEXT) | instid1(VALU_DEP_2)
	v_add_nc_u32_e32 v15, v15, v17
	v_mul_hi_u32 v17, v11, v16
	s_delay_alu instid0(VALU_DEP_2)
	v_mul_lo_u32 v18, v11, v15
	v_mul_hi_u32 v19, v11, v15
	v_mul_hi_u32 v20, v12, v16
	v_mul_lo_u32 v16, v12, v16
	v_mul_hi_u32 v21, v12, v15
	v_mul_lo_u32 v15, v12, v15
	v_add_co_u32 v17, vcc_lo, v17, v18
	v_add_co_ci_u32_e32 v18, vcc_lo, 0, v19, vcc_lo
	s_delay_alu instid0(VALU_DEP_2) | instskip(NEXT) | instid1(VALU_DEP_2)
	v_add_co_u32 v16, vcc_lo, v17, v16
	v_add_co_ci_u32_e32 v16, vcc_lo, v18, v20, vcc_lo
	v_add_co_ci_u32_e32 v17, vcc_lo, 0, v21, vcc_lo
	v_ashrrev_i32_e32 v20, 31, v14
	s_delay_alu instid0(VALU_DEP_3) | instskip(NEXT) | instid1(VALU_DEP_3)
	v_add_co_u32 v15, vcc_lo, v16, v15
	v_add_co_ci_u32_e32 v16, vcc_lo, 0, v17, vcc_lo
	s_delay_alu instid0(VALU_DEP_2) | instskip(NEXT) | instid1(VALU_DEP_2)
	v_add_co_u32 v11, vcc_lo, v11, v15
	v_add_co_ci_u32_e32 v12, vcc_lo, v12, v16, vcc_lo
	s_delay_alu instid0(VALU_DEP_2) | instskip(SKIP_1) | instid1(VALU_DEP_3)
	v_mul_hi_u32 v15, s0, v11
	v_mul_lo_u32 v17, s3, v11
	v_mul_lo_u32 v16, s0, v12
	s_delay_alu instid0(VALU_DEP_1) | instskip(SKIP_1) | instid1(VALU_DEP_2)
	v_add_nc_u32_e32 v15, v15, v16
	v_mul_lo_u32 v16, s0, v11
	v_add_nc_u32_e32 v15, v15, v17
	s_delay_alu instid0(VALU_DEP_2) | instskip(NEXT) | instid1(VALU_DEP_2)
	v_mul_hi_u32 v17, v11, v16
	v_mul_lo_u32 v18, v11, v15
	v_mul_hi_u32 v19, v11, v15
	v_mul_hi_u32 v21, v12, v16
	v_mul_lo_u32 v16, v12, v16
	v_mul_hi_u32 v22, v12, v15
	v_mul_lo_u32 v15, v12, v15
	v_add_co_u32 v17, vcc_lo, v17, v18
	v_add_co_ci_u32_e32 v18, vcc_lo, 0, v19, vcc_lo
	s_delay_alu instid0(VALU_DEP_2) | instskip(NEXT) | instid1(VALU_DEP_2)
	v_add_co_u32 v16, vcc_lo, v17, v16
	v_add_co_ci_u32_e32 v16, vcc_lo, v18, v21, vcc_lo
	v_add_co_ci_u32_e32 v17, vcc_lo, 0, v22, vcc_lo
	v_add_co_u32 v13, vcc_lo, v13, v20
	v_add_co_ci_u32_e32 v14, vcc_lo, v14, v20, vcc_lo
	s_delay_alu instid0(VALU_DEP_4) | instskip(NEXT) | instid1(VALU_DEP_4)
	v_add_co_u32 v15, vcc_lo, v16, v15
	v_add_co_ci_u32_e32 v16, vcc_lo, 0, v17, vcc_lo
	s_delay_alu instid0(VALU_DEP_4) | instskip(NEXT) | instid1(VALU_DEP_3)
	v_xor_b32_e32 v17, v13, v20
	v_add_co_u32 v15, vcc_lo, v11, v15
	s_delay_alu instid0(VALU_DEP_3) | instskip(SKIP_1) | instid1(VALU_DEP_3)
	v_add_co_ci_u32_e32 v18, vcc_lo, v12, v16, vcc_lo
	v_xor_b32_e32 v19, v14, v20
	v_mul_hi_u32 v21, v17, v15
	s_delay_alu instid0(VALU_DEP_3) | instskip(NEXT) | instid1(VALU_DEP_3)
	v_mad_u64_u32 v[11:12], null, v17, v18, 0
	v_mad_u64_u32 v[13:14], null, v19, v15, 0
	;; [unrolled: 1-line block ×3, first 2 shown]
	s_delay_alu instid0(VALU_DEP_3) | instskip(NEXT) | instid1(VALU_DEP_4)
	v_add_co_u32 v11, vcc_lo, v21, v11
	v_add_co_ci_u32_e32 v12, vcc_lo, 0, v12, vcc_lo
	s_delay_alu instid0(VALU_DEP_2) | instskip(NEXT) | instid1(VALU_DEP_2)
	v_add_co_u32 v11, vcc_lo, v11, v13
	v_add_co_ci_u32_e32 v11, vcc_lo, v12, v14, vcc_lo
	v_add_co_ci_u32_e32 v12, vcc_lo, 0, v16, vcc_lo
	s_delay_alu instid0(VALU_DEP_2) | instskip(NEXT) | instid1(VALU_DEP_2)
	v_add_co_u32 v13, vcc_lo, v11, v15
	v_add_co_ci_u32_e32 v14, vcc_lo, 0, v12, vcc_lo
	s_delay_alu instid0(VALU_DEP_2) | instskip(SKIP_1) | instid1(VALU_DEP_3)
	v_mul_lo_u32 v15, s5, v13
	v_mad_u64_u32 v[11:12], null, s4, v13, 0
	v_mul_lo_u32 v16, s4, v14
	s_delay_alu instid0(VALU_DEP_2) | instskip(NEXT) | instid1(VALU_DEP_2)
	v_sub_co_u32 v11, vcc_lo, v17, v11
	v_add3_u32 v12, v12, v16, v15
	s_delay_alu instid0(VALU_DEP_1) | instskip(NEXT) | instid1(VALU_DEP_1)
	v_sub_nc_u32_e32 v15, v19, v12
	v_subrev_co_ci_u32_e64 v15, s0, s5, v15, vcc_lo
	v_add_co_u32 v16, s0, v13, 2
	s_delay_alu instid0(VALU_DEP_1) | instskip(SKIP_3) | instid1(VALU_DEP_3)
	v_add_co_ci_u32_e64 v17, s0, 0, v14, s0
	v_sub_co_u32 v18, s0, v11, s4
	v_sub_co_ci_u32_e32 v12, vcc_lo, v19, v12, vcc_lo
	v_subrev_co_ci_u32_e64 v15, s0, 0, v15, s0
	v_cmp_le_u32_e32 vcc_lo, s4, v18
	s_delay_alu instid0(VALU_DEP_3) | instskip(SKIP_1) | instid1(VALU_DEP_4)
	v_cmp_eq_u32_e64 s0, s5, v12
	v_cndmask_b32_e64 v18, 0, -1, vcc_lo
	v_cmp_le_u32_e32 vcc_lo, s5, v15
	v_cndmask_b32_e64 v19, 0, -1, vcc_lo
	v_cmp_le_u32_e32 vcc_lo, s4, v11
	;; [unrolled: 2-line block ×3, first 2 shown]
	v_cndmask_b32_e64 v21, 0, -1, vcc_lo
	v_cmp_eq_u32_e32 vcc_lo, s5, v15
	s_delay_alu instid0(VALU_DEP_2) | instskip(SKIP_3) | instid1(VALU_DEP_3)
	v_cndmask_b32_e64 v11, v21, v11, s0
	v_cndmask_b32_e32 v15, v19, v18, vcc_lo
	v_add_co_u32 v18, vcc_lo, v13, 1
	v_add_co_ci_u32_e32 v19, vcc_lo, 0, v14, vcc_lo
	v_cmp_ne_u32_e32 vcc_lo, 0, v15
	s_delay_alu instid0(VALU_DEP_2) | instskip(SKIP_2) | instid1(VALU_DEP_3)
	v_dual_cndmask_b32 v12, v19, v17 :: v_dual_cndmask_b32 v15, v18, v16
	v_cmp_ne_u32_e32 vcc_lo, 0, v11
	v_xor_b32_e32 v16, s2, v20
	v_dual_cndmask_b32 v11, v14, v12 :: v_dual_cndmask_b32 v12, v13, v15
	s_delay_alu instid0(VALU_DEP_1) | instskip(NEXT) | instid1(VALU_DEP_2)
	v_xor_b32_e32 v13, v11, v16
	v_xor_b32_e32 v12, v12, v16
	s_delay_alu instid0(VALU_DEP_1) | instskip(NEXT) | instid1(VALU_DEP_3)
	v_sub_co_u32 v11, vcc_lo, v12, v16
	v_sub_co_ci_u32_e32 v12, vcc_lo, v13, v16, vcc_lo
                                        ; implicit-def: $vgpr13
.LBB1139_156:
	s_and_not1_saveexec_b32 s0, s6
	s_cbranch_execz .LBB1139_158
; %bb.157:
	v_cvt_f32_u32_e32 v11, s38
	s_sub_i32 s2, 0, s38
	s_delay_alu instid0(VALU_DEP_1) | instskip(SKIP_2) | instid1(VALU_DEP_1)
	v_rcp_iflag_f32_e32 v11, v11
	s_waitcnt_depctr 0xfff
	v_mul_f32_e32 v11, 0x4f7ffffe, v11
	v_cvt_u32_f32_e32 v11, v11
	s_delay_alu instid0(VALU_DEP_1) | instskip(NEXT) | instid1(VALU_DEP_1)
	v_mul_lo_u32 v12, s2, v11
	v_mul_hi_u32 v12, v11, v12
	s_delay_alu instid0(VALU_DEP_1) | instskip(NEXT) | instid1(VALU_DEP_1)
	v_add_nc_u32_e32 v11, v11, v12
	v_mul_hi_u32 v11, v13, v11
	s_delay_alu instid0(VALU_DEP_1) | instskip(NEXT) | instid1(VALU_DEP_1)
	v_mul_lo_u32 v12, v11, s38
	v_sub_nc_u32_e32 v12, v13, v12
	v_add_nc_u32_e32 v13, 1, v11
	s_delay_alu instid0(VALU_DEP_2) | instskip(SKIP_1) | instid1(VALU_DEP_2)
	v_subrev_nc_u32_e32 v14, s38, v12
	v_cmp_le_u32_e32 vcc_lo, s38, v12
	v_dual_cndmask_b32 v12, v12, v14 :: v_dual_cndmask_b32 v11, v11, v13
	s_delay_alu instid0(VALU_DEP_1) | instskip(NEXT) | instid1(VALU_DEP_2)
	v_cmp_le_u32_e32 vcc_lo, s38, v12
	v_dual_mov_b32 v12, 0 :: v_dual_add_nc_u32 v13, 1, v11
	s_delay_alu instid0(VALU_DEP_1)
	v_cndmask_b32_e32 v11, v11, v13, vcc_lo
.LBB1139_158:
	s_or_b32 exec_lo, exec_lo, s0
.LBB1139_159:
	s_delay_alu instid0(SALU_CYCLE_1) | instskip(SKIP_1) | instid1(VALU_DEP_1)
	s_or_b32 exec_lo, exec_lo, s1
	v_or_b32_e32 v43, 0x600, v0
                                        ; implicit-def: $vgpr13_vgpr14
	v_cmp_gt_u32_e64 s8, s33, v43
	s_delay_alu instid0(VALU_DEP_1)
	s_and_saveexec_b32 s1, s8
	s_cbranch_execz .LBB1139_165
; %bb.160:
	v_add_co_u32 v15, s0, s24, v43
	s_delay_alu instid0(VALU_DEP_1) | instskip(SKIP_1) | instid1(VALU_DEP_2)
	v_add_co_ci_u32_e64 v16, null, s25, 0, s0
	v_mov_b32_e32 v13, 0
	v_or_b32_e32 v14, s39, v16
	s_delay_alu instid0(VALU_DEP_1) | instskip(SKIP_1) | instid1(SALU_CYCLE_1)
	v_cmp_ne_u64_e32 vcc_lo, 0, v[13:14]
                                        ; implicit-def: $vgpr13_vgpr14
	s_and_saveexec_b32 s0, vcc_lo
	s_xor_b32 s6, exec_lo, s0
	s_cbranch_execz .LBB1139_162
; %bb.161:
	s_ashr_i32 s2, s39, 31
	s_delay_alu instid0(SALU_CYCLE_1) | instskip(SKIP_2) | instid1(SALU_CYCLE_1)
	s_add_u32 s4, s38, s2
	s_mov_b32 s3, s2
	s_addc_u32 s5, s39, s2
	s_xor_b64 s[4:5], s[4:5], s[2:3]
	s_delay_alu instid0(SALU_CYCLE_1) | instskip(SKIP_3) | instid1(VALU_DEP_1)
	v_cvt_f32_u32_e32 v13, s4
	v_cvt_f32_u32_e32 v14, s5
	s_sub_u32 s0, 0, s4
	s_subb_u32 s3, 0, s5
	v_fmamk_f32 v13, v14, 0x4f800000, v13
	s_delay_alu instid0(VALU_DEP_1) | instskip(SKIP_2) | instid1(VALU_DEP_1)
	v_rcp_f32_e32 v13, v13
	s_waitcnt_depctr 0xfff
	v_mul_f32_e32 v13, 0x5f7ffffc, v13
	v_mul_f32_e32 v14, 0x2f800000, v13
	s_delay_alu instid0(VALU_DEP_1) | instskip(NEXT) | instid1(VALU_DEP_1)
	v_trunc_f32_e32 v14, v14
	v_fmamk_f32 v13, v14, 0xcf800000, v13
	v_cvt_u32_f32_e32 v14, v14
	s_delay_alu instid0(VALU_DEP_2) | instskip(NEXT) | instid1(VALU_DEP_2)
	v_cvt_u32_f32_e32 v13, v13
	v_mul_lo_u32 v17, s0, v14
	s_delay_alu instid0(VALU_DEP_2) | instskip(SKIP_1) | instid1(VALU_DEP_2)
	v_mul_hi_u32 v18, s0, v13
	v_mul_lo_u32 v19, s3, v13
	v_add_nc_u32_e32 v17, v18, v17
	v_mul_lo_u32 v18, s0, v13
	s_delay_alu instid0(VALU_DEP_2) | instskip(NEXT) | instid1(VALU_DEP_2)
	v_add_nc_u32_e32 v17, v17, v19
	v_mul_hi_u32 v19, v13, v18
	s_delay_alu instid0(VALU_DEP_2)
	v_mul_lo_u32 v20, v13, v17
	v_mul_hi_u32 v21, v13, v17
	v_mul_hi_u32 v22, v14, v18
	v_mul_lo_u32 v18, v14, v18
	v_mul_hi_u32 v23, v14, v17
	v_mul_lo_u32 v17, v14, v17
	v_add_co_u32 v19, vcc_lo, v19, v20
	v_add_co_ci_u32_e32 v20, vcc_lo, 0, v21, vcc_lo
	s_delay_alu instid0(VALU_DEP_2) | instskip(NEXT) | instid1(VALU_DEP_2)
	v_add_co_u32 v18, vcc_lo, v19, v18
	v_add_co_ci_u32_e32 v18, vcc_lo, v20, v22, vcc_lo
	v_add_co_ci_u32_e32 v19, vcc_lo, 0, v23, vcc_lo
	v_ashrrev_i32_e32 v22, 31, v16
	s_delay_alu instid0(VALU_DEP_3) | instskip(NEXT) | instid1(VALU_DEP_3)
	v_add_co_u32 v17, vcc_lo, v18, v17
	v_add_co_ci_u32_e32 v18, vcc_lo, 0, v19, vcc_lo
	s_delay_alu instid0(VALU_DEP_2) | instskip(NEXT) | instid1(VALU_DEP_2)
	v_add_co_u32 v13, vcc_lo, v13, v17
	v_add_co_ci_u32_e32 v14, vcc_lo, v14, v18, vcc_lo
	s_delay_alu instid0(VALU_DEP_2) | instskip(SKIP_1) | instid1(VALU_DEP_3)
	v_mul_hi_u32 v17, s0, v13
	v_mul_lo_u32 v19, s3, v13
	v_mul_lo_u32 v18, s0, v14
	s_delay_alu instid0(VALU_DEP_1) | instskip(SKIP_1) | instid1(VALU_DEP_2)
	v_add_nc_u32_e32 v17, v17, v18
	v_mul_lo_u32 v18, s0, v13
	v_add_nc_u32_e32 v17, v17, v19
	s_delay_alu instid0(VALU_DEP_2) | instskip(NEXT) | instid1(VALU_DEP_2)
	v_mul_hi_u32 v19, v13, v18
	v_mul_lo_u32 v20, v13, v17
	v_mul_hi_u32 v21, v13, v17
	v_mul_hi_u32 v23, v14, v18
	v_mul_lo_u32 v18, v14, v18
	v_mul_hi_u32 v24, v14, v17
	v_mul_lo_u32 v17, v14, v17
	v_add_co_u32 v19, vcc_lo, v19, v20
	v_add_co_ci_u32_e32 v20, vcc_lo, 0, v21, vcc_lo
	s_delay_alu instid0(VALU_DEP_2) | instskip(NEXT) | instid1(VALU_DEP_2)
	v_add_co_u32 v18, vcc_lo, v19, v18
	v_add_co_ci_u32_e32 v18, vcc_lo, v20, v23, vcc_lo
	v_add_co_ci_u32_e32 v19, vcc_lo, 0, v24, vcc_lo
	v_add_co_u32 v15, vcc_lo, v15, v22
	v_add_co_ci_u32_e32 v16, vcc_lo, v16, v22, vcc_lo
	s_delay_alu instid0(VALU_DEP_4) | instskip(NEXT) | instid1(VALU_DEP_4)
	v_add_co_u32 v17, vcc_lo, v18, v17
	v_add_co_ci_u32_e32 v18, vcc_lo, 0, v19, vcc_lo
	s_delay_alu instid0(VALU_DEP_4) | instskip(NEXT) | instid1(VALU_DEP_3)
	v_xor_b32_e32 v19, v15, v22
	v_add_co_u32 v17, vcc_lo, v13, v17
	s_delay_alu instid0(VALU_DEP_3) | instskip(SKIP_1) | instid1(VALU_DEP_3)
	v_add_co_ci_u32_e32 v20, vcc_lo, v14, v18, vcc_lo
	v_xor_b32_e32 v21, v16, v22
	v_mul_hi_u32 v23, v19, v17
	s_delay_alu instid0(VALU_DEP_3) | instskip(NEXT) | instid1(VALU_DEP_3)
	v_mad_u64_u32 v[13:14], null, v19, v20, 0
	v_mad_u64_u32 v[15:16], null, v21, v17, 0
	;; [unrolled: 1-line block ×3, first 2 shown]
	s_delay_alu instid0(VALU_DEP_3) | instskip(NEXT) | instid1(VALU_DEP_4)
	v_add_co_u32 v13, vcc_lo, v23, v13
	v_add_co_ci_u32_e32 v14, vcc_lo, 0, v14, vcc_lo
	s_delay_alu instid0(VALU_DEP_2) | instskip(NEXT) | instid1(VALU_DEP_2)
	v_add_co_u32 v13, vcc_lo, v13, v15
	v_add_co_ci_u32_e32 v13, vcc_lo, v14, v16, vcc_lo
	v_add_co_ci_u32_e32 v14, vcc_lo, 0, v18, vcc_lo
	s_delay_alu instid0(VALU_DEP_2) | instskip(NEXT) | instid1(VALU_DEP_2)
	v_add_co_u32 v15, vcc_lo, v13, v17
	v_add_co_ci_u32_e32 v16, vcc_lo, 0, v14, vcc_lo
	s_delay_alu instid0(VALU_DEP_2) | instskip(SKIP_1) | instid1(VALU_DEP_3)
	v_mul_lo_u32 v17, s5, v15
	v_mad_u64_u32 v[13:14], null, s4, v15, 0
	v_mul_lo_u32 v18, s4, v16
	s_delay_alu instid0(VALU_DEP_2) | instskip(NEXT) | instid1(VALU_DEP_2)
	v_sub_co_u32 v13, vcc_lo, v19, v13
	v_add3_u32 v14, v14, v18, v17
	s_delay_alu instid0(VALU_DEP_1) | instskip(NEXT) | instid1(VALU_DEP_1)
	v_sub_nc_u32_e32 v17, v21, v14
	v_subrev_co_ci_u32_e64 v17, s0, s5, v17, vcc_lo
	v_add_co_u32 v18, s0, v15, 2
	s_delay_alu instid0(VALU_DEP_1) | instskip(SKIP_3) | instid1(VALU_DEP_3)
	v_add_co_ci_u32_e64 v19, s0, 0, v16, s0
	v_sub_co_u32 v20, s0, v13, s4
	v_sub_co_ci_u32_e32 v14, vcc_lo, v21, v14, vcc_lo
	v_subrev_co_ci_u32_e64 v17, s0, 0, v17, s0
	v_cmp_le_u32_e32 vcc_lo, s4, v20
	s_delay_alu instid0(VALU_DEP_3) | instskip(SKIP_1) | instid1(VALU_DEP_4)
	v_cmp_eq_u32_e64 s0, s5, v14
	v_cndmask_b32_e64 v20, 0, -1, vcc_lo
	v_cmp_le_u32_e32 vcc_lo, s5, v17
	v_cndmask_b32_e64 v21, 0, -1, vcc_lo
	v_cmp_le_u32_e32 vcc_lo, s4, v13
	;; [unrolled: 2-line block ×3, first 2 shown]
	v_cndmask_b32_e64 v23, 0, -1, vcc_lo
	v_cmp_eq_u32_e32 vcc_lo, s5, v17
	s_delay_alu instid0(VALU_DEP_2) | instskip(SKIP_3) | instid1(VALU_DEP_3)
	v_cndmask_b32_e64 v13, v23, v13, s0
	v_cndmask_b32_e32 v17, v21, v20, vcc_lo
	v_add_co_u32 v20, vcc_lo, v15, 1
	v_add_co_ci_u32_e32 v21, vcc_lo, 0, v16, vcc_lo
	v_cmp_ne_u32_e32 vcc_lo, 0, v17
	s_delay_alu instid0(VALU_DEP_2) | instskip(SKIP_2) | instid1(VALU_DEP_3)
	v_dual_cndmask_b32 v14, v21, v19 :: v_dual_cndmask_b32 v17, v20, v18
	v_cmp_ne_u32_e32 vcc_lo, 0, v13
	v_xor_b32_e32 v18, s2, v22
	v_dual_cndmask_b32 v13, v16, v14 :: v_dual_cndmask_b32 v14, v15, v17
	s_delay_alu instid0(VALU_DEP_1) | instskip(NEXT) | instid1(VALU_DEP_2)
	v_xor_b32_e32 v15, v13, v18
	v_xor_b32_e32 v14, v14, v18
	s_delay_alu instid0(VALU_DEP_1) | instskip(NEXT) | instid1(VALU_DEP_3)
	v_sub_co_u32 v13, vcc_lo, v14, v18
	v_sub_co_ci_u32_e32 v14, vcc_lo, v15, v18, vcc_lo
                                        ; implicit-def: $vgpr15
.LBB1139_162:
	s_and_not1_saveexec_b32 s0, s6
	s_cbranch_execz .LBB1139_164
; %bb.163:
	v_cvt_f32_u32_e32 v13, s38
	s_sub_i32 s2, 0, s38
	s_delay_alu instid0(VALU_DEP_1) | instskip(SKIP_2) | instid1(VALU_DEP_1)
	v_rcp_iflag_f32_e32 v13, v13
	s_waitcnt_depctr 0xfff
	v_mul_f32_e32 v13, 0x4f7ffffe, v13
	v_cvt_u32_f32_e32 v13, v13
	s_delay_alu instid0(VALU_DEP_1) | instskip(NEXT) | instid1(VALU_DEP_1)
	v_mul_lo_u32 v14, s2, v13
	v_mul_hi_u32 v14, v13, v14
	s_delay_alu instid0(VALU_DEP_1) | instskip(NEXT) | instid1(VALU_DEP_1)
	v_add_nc_u32_e32 v13, v13, v14
	v_mul_hi_u32 v13, v15, v13
	s_delay_alu instid0(VALU_DEP_1) | instskip(NEXT) | instid1(VALU_DEP_1)
	v_mul_lo_u32 v14, v13, s38
	v_sub_nc_u32_e32 v14, v15, v14
	v_add_nc_u32_e32 v15, 1, v13
	s_delay_alu instid0(VALU_DEP_2) | instskip(SKIP_1) | instid1(VALU_DEP_2)
	v_subrev_nc_u32_e32 v16, s38, v14
	v_cmp_le_u32_e32 vcc_lo, s38, v14
	v_dual_cndmask_b32 v14, v14, v16 :: v_dual_cndmask_b32 v13, v13, v15
	s_delay_alu instid0(VALU_DEP_1) | instskip(NEXT) | instid1(VALU_DEP_2)
	v_cmp_le_u32_e32 vcc_lo, s38, v14
	v_dual_mov_b32 v14, 0 :: v_dual_add_nc_u32 v15, 1, v13
	s_delay_alu instid0(VALU_DEP_1)
	v_cndmask_b32_e32 v13, v13, v15, vcc_lo
.LBB1139_164:
	s_or_b32 exec_lo, exec_lo, s0
.LBB1139_165:
	s_delay_alu instid0(SALU_CYCLE_1) | instskip(SKIP_1) | instid1(VALU_DEP_1)
	s_or_b32 exec_lo, exec_lo, s1
	v_or_b32_e32 v45, 0x700, v0
                                        ; implicit-def: $vgpr15_vgpr16
	v_cmp_gt_u32_e64 s7, s33, v45
	s_delay_alu instid0(VALU_DEP_1)
	s_and_saveexec_b32 s1, s7
	s_cbranch_execz .LBB1139_171
; %bb.166:
	v_add_co_u32 v17, s0, s24, v45
	s_delay_alu instid0(VALU_DEP_1) | instskip(SKIP_1) | instid1(VALU_DEP_2)
	v_add_co_ci_u32_e64 v18, null, s25, 0, s0
	v_mov_b32_e32 v15, 0
	v_or_b32_e32 v16, s39, v18
	s_delay_alu instid0(VALU_DEP_1) | instskip(SKIP_1) | instid1(SALU_CYCLE_1)
	v_cmp_ne_u64_e32 vcc_lo, 0, v[15:16]
                                        ; implicit-def: $vgpr15_vgpr16
	s_and_saveexec_b32 s0, vcc_lo
	s_xor_b32 s6, exec_lo, s0
	s_cbranch_execz .LBB1139_168
; %bb.167:
	s_ashr_i32 s2, s39, 31
	s_delay_alu instid0(SALU_CYCLE_1) | instskip(SKIP_2) | instid1(SALU_CYCLE_1)
	s_add_u32 s4, s38, s2
	s_mov_b32 s3, s2
	s_addc_u32 s5, s39, s2
	s_xor_b64 s[4:5], s[4:5], s[2:3]
	s_delay_alu instid0(SALU_CYCLE_1) | instskip(SKIP_3) | instid1(VALU_DEP_1)
	v_cvt_f32_u32_e32 v15, s4
	v_cvt_f32_u32_e32 v16, s5
	s_sub_u32 s0, 0, s4
	s_subb_u32 s3, 0, s5
	v_fmamk_f32 v15, v16, 0x4f800000, v15
	s_delay_alu instid0(VALU_DEP_1) | instskip(SKIP_2) | instid1(VALU_DEP_1)
	v_rcp_f32_e32 v15, v15
	s_waitcnt_depctr 0xfff
	v_mul_f32_e32 v15, 0x5f7ffffc, v15
	v_mul_f32_e32 v16, 0x2f800000, v15
	s_delay_alu instid0(VALU_DEP_1) | instskip(NEXT) | instid1(VALU_DEP_1)
	v_trunc_f32_e32 v16, v16
	v_fmamk_f32 v15, v16, 0xcf800000, v15
	v_cvt_u32_f32_e32 v16, v16
	s_delay_alu instid0(VALU_DEP_2) | instskip(NEXT) | instid1(VALU_DEP_2)
	v_cvt_u32_f32_e32 v15, v15
	v_mul_lo_u32 v19, s0, v16
	s_delay_alu instid0(VALU_DEP_2) | instskip(SKIP_1) | instid1(VALU_DEP_2)
	v_mul_hi_u32 v20, s0, v15
	v_mul_lo_u32 v21, s3, v15
	v_add_nc_u32_e32 v19, v20, v19
	v_mul_lo_u32 v20, s0, v15
	s_delay_alu instid0(VALU_DEP_2) | instskip(NEXT) | instid1(VALU_DEP_2)
	v_add_nc_u32_e32 v19, v19, v21
	v_mul_hi_u32 v21, v15, v20
	s_delay_alu instid0(VALU_DEP_2)
	v_mul_lo_u32 v22, v15, v19
	v_mul_hi_u32 v23, v15, v19
	v_mul_hi_u32 v24, v16, v20
	v_mul_lo_u32 v20, v16, v20
	v_mul_hi_u32 v25, v16, v19
	v_mul_lo_u32 v19, v16, v19
	v_add_co_u32 v21, vcc_lo, v21, v22
	v_add_co_ci_u32_e32 v22, vcc_lo, 0, v23, vcc_lo
	s_delay_alu instid0(VALU_DEP_2) | instskip(NEXT) | instid1(VALU_DEP_2)
	v_add_co_u32 v20, vcc_lo, v21, v20
	v_add_co_ci_u32_e32 v20, vcc_lo, v22, v24, vcc_lo
	v_add_co_ci_u32_e32 v21, vcc_lo, 0, v25, vcc_lo
	v_ashrrev_i32_e32 v24, 31, v18
	s_delay_alu instid0(VALU_DEP_3) | instskip(NEXT) | instid1(VALU_DEP_3)
	v_add_co_u32 v19, vcc_lo, v20, v19
	v_add_co_ci_u32_e32 v20, vcc_lo, 0, v21, vcc_lo
	s_delay_alu instid0(VALU_DEP_2) | instskip(NEXT) | instid1(VALU_DEP_2)
	v_add_co_u32 v15, vcc_lo, v15, v19
	v_add_co_ci_u32_e32 v16, vcc_lo, v16, v20, vcc_lo
	s_delay_alu instid0(VALU_DEP_2) | instskip(SKIP_1) | instid1(VALU_DEP_3)
	v_mul_hi_u32 v19, s0, v15
	v_mul_lo_u32 v21, s3, v15
	v_mul_lo_u32 v20, s0, v16
	s_delay_alu instid0(VALU_DEP_1) | instskip(SKIP_1) | instid1(VALU_DEP_2)
	v_add_nc_u32_e32 v19, v19, v20
	v_mul_lo_u32 v20, s0, v15
	v_add_nc_u32_e32 v19, v19, v21
	s_delay_alu instid0(VALU_DEP_2) | instskip(NEXT) | instid1(VALU_DEP_2)
	v_mul_hi_u32 v21, v15, v20
	v_mul_lo_u32 v22, v15, v19
	v_mul_hi_u32 v23, v15, v19
	v_mul_hi_u32 v25, v16, v20
	v_mul_lo_u32 v20, v16, v20
	v_mul_hi_u32 v26, v16, v19
	v_mul_lo_u32 v19, v16, v19
	v_add_co_u32 v21, vcc_lo, v21, v22
	v_add_co_ci_u32_e32 v22, vcc_lo, 0, v23, vcc_lo
	s_delay_alu instid0(VALU_DEP_2) | instskip(NEXT) | instid1(VALU_DEP_2)
	v_add_co_u32 v20, vcc_lo, v21, v20
	v_add_co_ci_u32_e32 v20, vcc_lo, v22, v25, vcc_lo
	v_add_co_ci_u32_e32 v21, vcc_lo, 0, v26, vcc_lo
	v_add_co_u32 v17, vcc_lo, v17, v24
	v_add_co_ci_u32_e32 v18, vcc_lo, v18, v24, vcc_lo
	s_delay_alu instid0(VALU_DEP_4) | instskip(NEXT) | instid1(VALU_DEP_4)
	v_add_co_u32 v19, vcc_lo, v20, v19
	v_add_co_ci_u32_e32 v20, vcc_lo, 0, v21, vcc_lo
	s_delay_alu instid0(VALU_DEP_4) | instskip(NEXT) | instid1(VALU_DEP_3)
	v_xor_b32_e32 v21, v17, v24
	v_add_co_u32 v19, vcc_lo, v15, v19
	s_delay_alu instid0(VALU_DEP_3) | instskip(SKIP_1) | instid1(VALU_DEP_3)
	v_add_co_ci_u32_e32 v22, vcc_lo, v16, v20, vcc_lo
	v_xor_b32_e32 v23, v18, v24
	v_mul_hi_u32 v25, v21, v19
	s_delay_alu instid0(VALU_DEP_3) | instskip(NEXT) | instid1(VALU_DEP_3)
	v_mad_u64_u32 v[15:16], null, v21, v22, 0
	v_mad_u64_u32 v[17:18], null, v23, v19, 0
	;; [unrolled: 1-line block ×3, first 2 shown]
	s_delay_alu instid0(VALU_DEP_3) | instskip(NEXT) | instid1(VALU_DEP_4)
	v_add_co_u32 v15, vcc_lo, v25, v15
	v_add_co_ci_u32_e32 v16, vcc_lo, 0, v16, vcc_lo
	s_delay_alu instid0(VALU_DEP_2) | instskip(NEXT) | instid1(VALU_DEP_2)
	v_add_co_u32 v15, vcc_lo, v15, v17
	v_add_co_ci_u32_e32 v15, vcc_lo, v16, v18, vcc_lo
	v_add_co_ci_u32_e32 v16, vcc_lo, 0, v20, vcc_lo
	s_delay_alu instid0(VALU_DEP_2) | instskip(NEXT) | instid1(VALU_DEP_2)
	v_add_co_u32 v17, vcc_lo, v15, v19
	v_add_co_ci_u32_e32 v18, vcc_lo, 0, v16, vcc_lo
	s_delay_alu instid0(VALU_DEP_2) | instskip(SKIP_1) | instid1(VALU_DEP_3)
	v_mul_lo_u32 v19, s5, v17
	v_mad_u64_u32 v[15:16], null, s4, v17, 0
	v_mul_lo_u32 v20, s4, v18
	s_delay_alu instid0(VALU_DEP_2) | instskip(NEXT) | instid1(VALU_DEP_2)
	v_sub_co_u32 v15, vcc_lo, v21, v15
	v_add3_u32 v16, v16, v20, v19
	s_delay_alu instid0(VALU_DEP_1) | instskip(NEXT) | instid1(VALU_DEP_1)
	v_sub_nc_u32_e32 v19, v23, v16
	v_subrev_co_ci_u32_e64 v19, s0, s5, v19, vcc_lo
	v_add_co_u32 v20, s0, v17, 2
	s_delay_alu instid0(VALU_DEP_1) | instskip(SKIP_3) | instid1(VALU_DEP_3)
	v_add_co_ci_u32_e64 v21, s0, 0, v18, s0
	v_sub_co_u32 v22, s0, v15, s4
	v_sub_co_ci_u32_e32 v16, vcc_lo, v23, v16, vcc_lo
	v_subrev_co_ci_u32_e64 v19, s0, 0, v19, s0
	v_cmp_le_u32_e32 vcc_lo, s4, v22
	s_delay_alu instid0(VALU_DEP_3) | instskip(SKIP_1) | instid1(VALU_DEP_4)
	v_cmp_eq_u32_e64 s0, s5, v16
	v_cndmask_b32_e64 v22, 0, -1, vcc_lo
	v_cmp_le_u32_e32 vcc_lo, s5, v19
	v_cndmask_b32_e64 v23, 0, -1, vcc_lo
	v_cmp_le_u32_e32 vcc_lo, s4, v15
	;; [unrolled: 2-line block ×3, first 2 shown]
	v_cndmask_b32_e64 v25, 0, -1, vcc_lo
	v_cmp_eq_u32_e32 vcc_lo, s5, v19
	s_delay_alu instid0(VALU_DEP_2) | instskip(SKIP_3) | instid1(VALU_DEP_3)
	v_cndmask_b32_e64 v15, v25, v15, s0
	v_cndmask_b32_e32 v19, v23, v22, vcc_lo
	v_add_co_u32 v22, vcc_lo, v17, 1
	v_add_co_ci_u32_e32 v23, vcc_lo, 0, v18, vcc_lo
	v_cmp_ne_u32_e32 vcc_lo, 0, v19
	s_delay_alu instid0(VALU_DEP_2) | instskip(SKIP_2) | instid1(VALU_DEP_3)
	v_dual_cndmask_b32 v16, v23, v21 :: v_dual_cndmask_b32 v19, v22, v20
	v_cmp_ne_u32_e32 vcc_lo, 0, v15
	v_xor_b32_e32 v20, s2, v24
	v_dual_cndmask_b32 v15, v18, v16 :: v_dual_cndmask_b32 v16, v17, v19
	s_delay_alu instid0(VALU_DEP_1) | instskip(NEXT) | instid1(VALU_DEP_2)
	v_xor_b32_e32 v17, v15, v20
	v_xor_b32_e32 v16, v16, v20
	s_delay_alu instid0(VALU_DEP_1) | instskip(NEXT) | instid1(VALU_DEP_3)
	v_sub_co_u32 v15, vcc_lo, v16, v20
	v_sub_co_ci_u32_e32 v16, vcc_lo, v17, v20, vcc_lo
                                        ; implicit-def: $vgpr17
.LBB1139_168:
	s_and_not1_saveexec_b32 s0, s6
	s_cbranch_execz .LBB1139_170
; %bb.169:
	v_cvt_f32_u32_e32 v15, s38
	s_sub_i32 s2, 0, s38
	s_delay_alu instid0(VALU_DEP_1) | instskip(SKIP_2) | instid1(VALU_DEP_1)
	v_rcp_iflag_f32_e32 v15, v15
	s_waitcnt_depctr 0xfff
	v_mul_f32_e32 v15, 0x4f7ffffe, v15
	v_cvt_u32_f32_e32 v15, v15
	s_delay_alu instid0(VALU_DEP_1) | instskip(NEXT) | instid1(VALU_DEP_1)
	v_mul_lo_u32 v16, s2, v15
	v_mul_hi_u32 v16, v15, v16
	s_delay_alu instid0(VALU_DEP_1) | instskip(NEXT) | instid1(VALU_DEP_1)
	v_add_nc_u32_e32 v15, v15, v16
	v_mul_hi_u32 v15, v17, v15
	s_delay_alu instid0(VALU_DEP_1) | instskip(NEXT) | instid1(VALU_DEP_1)
	v_mul_lo_u32 v16, v15, s38
	v_sub_nc_u32_e32 v16, v17, v16
	v_add_nc_u32_e32 v17, 1, v15
	s_delay_alu instid0(VALU_DEP_2) | instskip(SKIP_1) | instid1(VALU_DEP_2)
	v_subrev_nc_u32_e32 v18, s38, v16
	v_cmp_le_u32_e32 vcc_lo, s38, v16
	v_dual_cndmask_b32 v16, v16, v18 :: v_dual_cndmask_b32 v15, v15, v17
	s_delay_alu instid0(VALU_DEP_1) | instskip(NEXT) | instid1(VALU_DEP_2)
	v_cmp_le_u32_e32 vcc_lo, s38, v16
	v_dual_mov_b32 v16, 0 :: v_dual_add_nc_u32 v17, 1, v15
	s_delay_alu instid0(VALU_DEP_1)
	v_cndmask_b32_e32 v15, v15, v17, vcc_lo
.LBB1139_170:
	s_or_b32 exec_lo, exec_lo, s0
.LBB1139_171:
	s_delay_alu instid0(SALU_CYCLE_1) | instskip(SKIP_1) | instid1(VALU_DEP_1)
	s_or_b32 exec_lo, exec_lo, s1
	v_or_b32_e32 v47, 0x800, v0
                                        ; implicit-def: $vgpr17_vgpr18
	v_cmp_gt_u32_e64 s6, s33, v47
	s_delay_alu instid0(VALU_DEP_1)
	s_and_saveexec_b32 s1, s6
	s_cbranch_execz .LBB1139_177
; %bb.172:
	v_add_co_u32 v19, s0, s24, v47
	s_delay_alu instid0(VALU_DEP_1) | instskip(SKIP_1) | instid1(VALU_DEP_2)
	v_add_co_ci_u32_e64 v20, null, s25, 0, s0
	v_mov_b32_e32 v17, 0
	v_or_b32_e32 v18, s39, v20
	s_delay_alu instid0(VALU_DEP_1) | instskip(SKIP_1) | instid1(SALU_CYCLE_1)
	v_cmp_ne_u64_e32 vcc_lo, 0, v[17:18]
                                        ; implicit-def: $vgpr17_vgpr18
	s_and_saveexec_b32 s0, vcc_lo
	s_xor_b32 s16, exec_lo, s0
	s_cbranch_execz .LBB1139_174
; %bb.173:
	s_ashr_i32 s2, s39, 31
	s_delay_alu instid0(SALU_CYCLE_1) | instskip(SKIP_2) | instid1(SALU_CYCLE_1)
	s_add_u32 s4, s38, s2
	s_mov_b32 s3, s2
	s_addc_u32 s5, s39, s2
	s_xor_b64 s[4:5], s[4:5], s[2:3]
	s_delay_alu instid0(SALU_CYCLE_1) | instskip(SKIP_3) | instid1(VALU_DEP_1)
	v_cvt_f32_u32_e32 v17, s4
	v_cvt_f32_u32_e32 v18, s5
	s_sub_u32 s0, 0, s4
	s_subb_u32 s3, 0, s5
	v_fmamk_f32 v17, v18, 0x4f800000, v17
	s_delay_alu instid0(VALU_DEP_1) | instskip(SKIP_2) | instid1(VALU_DEP_1)
	v_rcp_f32_e32 v17, v17
	s_waitcnt_depctr 0xfff
	v_mul_f32_e32 v17, 0x5f7ffffc, v17
	v_mul_f32_e32 v18, 0x2f800000, v17
	s_delay_alu instid0(VALU_DEP_1) | instskip(NEXT) | instid1(VALU_DEP_1)
	v_trunc_f32_e32 v18, v18
	v_fmamk_f32 v17, v18, 0xcf800000, v17
	v_cvt_u32_f32_e32 v18, v18
	s_delay_alu instid0(VALU_DEP_2) | instskip(NEXT) | instid1(VALU_DEP_2)
	v_cvt_u32_f32_e32 v17, v17
	v_mul_lo_u32 v21, s0, v18
	s_delay_alu instid0(VALU_DEP_2) | instskip(SKIP_1) | instid1(VALU_DEP_2)
	v_mul_hi_u32 v22, s0, v17
	v_mul_lo_u32 v23, s3, v17
	v_add_nc_u32_e32 v21, v22, v21
	v_mul_lo_u32 v22, s0, v17
	s_delay_alu instid0(VALU_DEP_2) | instskip(NEXT) | instid1(VALU_DEP_2)
	v_add_nc_u32_e32 v21, v21, v23
	v_mul_hi_u32 v23, v17, v22
	s_delay_alu instid0(VALU_DEP_2)
	v_mul_lo_u32 v24, v17, v21
	v_mul_hi_u32 v25, v17, v21
	v_mul_hi_u32 v26, v18, v22
	v_mul_lo_u32 v22, v18, v22
	v_mul_hi_u32 v27, v18, v21
	v_mul_lo_u32 v21, v18, v21
	v_add_co_u32 v23, vcc_lo, v23, v24
	v_add_co_ci_u32_e32 v24, vcc_lo, 0, v25, vcc_lo
	s_delay_alu instid0(VALU_DEP_2) | instskip(NEXT) | instid1(VALU_DEP_2)
	v_add_co_u32 v22, vcc_lo, v23, v22
	v_add_co_ci_u32_e32 v22, vcc_lo, v24, v26, vcc_lo
	v_add_co_ci_u32_e32 v23, vcc_lo, 0, v27, vcc_lo
	v_ashrrev_i32_e32 v26, 31, v20
	s_delay_alu instid0(VALU_DEP_3) | instskip(NEXT) | instid1(VALU_DEP_3)
	v_add_co_u32 v21, vcc_lo, v22, v21
	v_add_co_ci_u32_e32 v22, vcc_lo, 0, v23, vcc_lo
	s_delay_alu instid0(VALU_DEP_2) | instskip(NEXT) | instid1(VALU_DEP_2)
	v_add_co_u32 v17, vcc_lo, v17, v21
	v_add_co_ci_u32_e32 v18, vcc_lo, v18, v22, vcc_lo
	s_delay_alu instid0(VALU_DEP_2) | instskip(SKIP_1) | instid1(VALU_DEP_3)
	v_mul_hi_u32 v21, s0, v17
	v_mul_lo_u32 v23, s3, v17
	v_mul_lo_u32 v22, s0, v18
	s_delay_alu instid0(VALU_DEP_1) | instskip(SKIP_1) | instid1(VALU_DEP_2)
	v_add_nc_u32_e32 v21, v21, v22
	v_mul_lo_u32 v22, s0, v17
	v_add_nc_u32_e32 v21, v21, v23
	s_delay_alu instid0(VALU_DEP_2) | instskip(NEXT) | instid1(VALU_DEP_2)
	v_mul_hi_u32 v23, v17, v22
	v_mul_lo_u32 v24, v17, v21
	v_mul_hi_u32 v25, v17, v21
	v_mul_hi_u32 v27, v18, v22
	v_mul_lo_u32 v22, v18, v22
	v_mul_hi_u32 v28, v18, v21
	v_mul_lo_u32 v21, v18, v21
	v_add_co_u32 v23, vcc_lo, v23, v24
	v_add_co_ci_u32_e32 v24, vcc_lo, 0, v25, vcc_lo
	s_delay_alu instid0(VALU_DEP_2) | instskip(NEXT) | instid1(VALU_DEP_2)
	v_add_co_u32 v22, vcc_lo, v23, v22
	v_add_co_ci_u32_e32 v22, vcc_lo, v24, v27, vcc_lo
	v_add_co_ci_u32_e32 v23, vcc_lo, 0, v28, vcc_lo
	v_add_co_u32 v19, vcc_lo, v19, v26
	v_add_co_ci_u32_e32 v20, vcc_lo, v20, v26, vcc_lo
	s_delay_alu instid0(VALU_DEP_4) | instskip(NEXT) | instid1(VALU_DEP_4)
	v_add_co_u32 v21, vcc_lo, v22, v21
	v_add_co_ci_u32_e32 v22, vcc_lo, 0, v23, vcc_lo
	s_delay_alu instid0(VALU_DEP_4) | instskip(NEXT) | instid1(VALU_DEP_3)
	v_xor_b32_e32 v23, v19, v26
	v_add_co_u32 v21, vcc_lo, v17, v21
	s_delay_alu instid0(VALU_DEP_3) | instskip(SKIP_1) | instid1(VALU_DEP_3)
	v_add_co_ci_u32_e32 v24, vcc_lo, v18, v22, vcc_lo
	v_xor_b32_e32 v25, v20, v26
	v_mul_hi_u32 v27, v23, v21
	s_delay_alu instid0(VALU_DEP_3) | instskip(NEXT) | instid1(VALU_DEP_3)
	v_mad_u64_u32 v[17:18], null, v23, v24, 0
	v_mad_u64_u32 v[19:20], null, v25, v21, 0
	;; [unrolled: 1-line block ×3, first 2 shown]
	s_delay_alu instid0(VALU_DEP_3) | instskip(NEXT) | instid1(VALU_DEP_4)
	v_add_co_u32 v17, vcc_lo, v27, v17
	v_add_co_ci_u32_e32 v18, vcc_lo, 0, v18, vcc_lo
	s_delay_alu instid0(VALU_DEP_2) | instskip(NEXT) | instid1(VALU_DEP_2)
	v_add_co_u32 v17, vcc_lo, v17, v19
	v_add_co_ci_u32_e32 v17, vcc_lo, v18, v20, vcc_lo
	v_add_co_ci_u32_e32 v18, vcc_lo, 0, v22, vcc_lo
	s_delay_alu instid0(VALU_DEP_2) | instskip(NEXT) | instid1(VALU_DEP_2)
	v_add_co_u32 v19, vcc_lo, v17, v21
	v_add_co_ci_u32_e32 v20, vcc_lo, 0, v18, vcc_lo
	s_delay_alu instid0(VALU_DEP_2) | instskip(SKIP_1) | instid1(VALU_DEP_3)
	v_mul_lo_u32 v21, s5, v19
	v_mad_u64_u32 v[17:18], null, s4, v19, 0
	v_mul_lo_u32 v22, s4, v20
	s_delay_alu instid0(VALU_DEP_2) | instskip(NEXT) | instid1(VALU_DEP_2)
	v_sub_co_u32 v17, vcc_lo, v23, v17
	v_add3_u32 v18, v18, v22, v21
	s_delay_alu instid0(VALU_DEP_1) | instskip(NEXT) | instid1(VALU_DEP_1)
	v_sub_nc_u32_e32 v21, v25, v18
	v_subrev_co_ci_u32_e64 v21, s0, s5, v21, vcc_lo
	v_add_co_u32 v22, s0, v19, 2
	s_delay_alu instid0(VALU_DEP_1) | instskip(SKIP_3) | instid1(VALU_DEP_3)
	v_add_co_ci_u32_e64 v23, s0, 0, v20, s0
	v_sub_co_u32 v24, s0, v17, s4
	v_sub_co_ci_u32_e32 v18, vcc_lo, v25, v18, vcc_lo
	v_subrev_co_ci_u32_e64 v21, s0, 0, v21, s0
	v_cmp_le_u32_e32 vcc_lo, s4, v24
	s_delay_alu instid0(VALU_DEP_3) | instskip(SKIP_1) | instid1(VALU_DEP_4)
	v_cmp_eq_u32_e64 s0, s5, v18
	v_cndmask_b32_e64 v24, 0, -1, vcc_lo
	v_cmp_le_u32_e32 vcc_lo, s5, v21
	v_cndmask_b32_e64 v25, 0, -1, vcc_lo
	v_cmp_le_u32_e32 vcc_lo, s4, v17
	;; [unrolled: 2-line block ×3, first 2 shown]
	v_cndmask_b32_e64 v27, 0, -1, vcc_lo
	v_cmp_eq_u32_e32 vcc_lo, s5, v21
	s_delay_alu instid0(VALU_DEP_2) | instskip(SKIP_3) | instid1(VALU_DEP_3)
	v_cndmask_b32_e64 v17, v27, v17, s0
	v_cndmask_b32_e32 v21, v25, v24, vcc_lo
	v_add_co_u32 v24, vcc_lo, v19, 1
	v_add_co_ci_u32_e32 v25, vcc_lo, 0, v20, vcc_lo
	v_cmp_ne_u32_e32 vcc_lo, 0, v21
	s_delay_alu instid0(VALU_DEP_2) | instskip(SKIP_2) | instid1(VALU_DEP_3)
	v_dual_cndmask_b32 v18, v25, v23 :: v_dual_cndmask_b32 v21, v24, v22
	v_cmp_ne_u32_e32 vcc_lo, 0, v17
	v_xor_b32_e32 v22, s2, v26
	v_dual_cndmask_b32 v17, v20, v18 :: v_dual_cndmask_b32 v18, v19, v21
	s_delay_alu instid0(VALU_DEP_1) | instskip(NEXT) | instid1(VALU_DEP_2)
	v_xor_b32_e32 v19, v17, v22
	v_xor_b32_e32 v18, v18, v22
	s_delay_alu instid0(VALU_DEP_1) | instskip(NEXT) | instid1(VALU_DEP_3)
	v_sub_co_u32 v17, vcc_lo, v18, v22
	v_sub_co_ci_u32_e32 v18, vcc_lo, v19, v22, vcc_lo
                                        ; implicit-def: $vgpr19
.LBB1139_174:
	s_and_not1_saveexec_b32 s0, s16
	s_cbranch_execz .LBB1139_176
; %bb.175:
	v_cvt_f32_u32_e32 v17, s38
	s_sub_i32 s2, 0, s38
	s_delay_alu instid0(VALU_DEP_1) | instskip(SKIP_2) | instid1(VALU_DEP_1)
	v_rcp_iflag_f32_e32 v17, v17
	s_waitcnt_depctr 0xfff
	v_mul_f32_e32 v17, 0x4f7ffffe, v17
	v_cvt_u32_f32_e32 v17, v17
	s_delay_alu instid0(VALU_DEP_1) | instskip(NEXT) | instid1(VALU_DEP_1)
	v_mul_lo_u32 v18, s2, v17
	v_mul_hi_u32 v18, v17, v18
	s_delay_alu instid0(VALU_DEP_1) | instskip(NEXT) | instid1(VALU_DEP_1)
	v_add_nc_u32_e32 v17, v17, v18
	v_mul_hi_u32 v17, v19, v17
	s_delay_alu instid0(VALU_DEP_1) | instskip(NEXT) | instid1(VALU_DEP_1)
	v_mul_lo_u32 v18, v17, s38
	v_sub_nc_u32_e32 v18, v19, v18
	v_add_nc_u32_e32 v19, 1, v17
	s_delay_alu instid0(VALU_DEP_2) | instskip(SKIP_1) | instid1(VALU_DEP_2)
	v_subrev_nc_u32_e32 v20, s38, v18
	v_cmp_le_u32_e32 vcc_lo, s38, v18
	v_dual_cndmask_b32 v18, v18, v20 :: v_dual_cndmask_b32 v17, v17, v19
	s_delay_alu instid0(VALU_DEP_1) | instskip(NEXT) | instid1(VALU_DEP_2)
	v_cmp_le_u32_e32 vcc_lo, s38, v18
	v_dual_mov_b32 v18, 0 :: v_dual_add_nc_u32 v19, 1, v17
	s_delay_alu instid0(VALU_DEP_1)
	v_cndmask_b32_e32 v17, v17, v19, vcc_lo
.LBB1139_176:
	s_or_b32 exec_lo, exec_lo, s0
.LBB1139_177:
	s_delay_alu instid0(SALU_CYCLE_1) | instskip(SKIP_1) | instid1(VALU_DEP_1)
	s_or_b32 exec_lo, exec_lo, s1
	v_or_b32_e32 v49, 0x900, v0
                                        ; implicit-def: $vgpr19_vgpr20
	v_cmp_gt_u32_e64 s5, s33, v49
	s_delay_alu instid0(VALU_DEP_1)
	s_and_saveexec_b32 s1, s5
	s_cbranch_execz .LBB1139_183
; %bb.178:
	v_add_co_u32 v21, s0, s24, v49
	s_delay_alu instid0(VALU_DEP_1) | instskip(SKIP_1) | instid1(VALU_DEP_2)
	v_add_co_ci_u32_e64 v22, null, s25, 0, s0
	v_mov_b32_e32 v19, 0
	v_or_b32_e32 v20, s39, v22
	s_delay_alu instid0(VALU_DEP_1) | instskip(SKIP_1) | instid1(SALU_CYCLE_1)
	v_cmp_ne_u64_e32 vcc_lo, 0, v[19:20]
                                        ; implicit-def: $vgpr19_vgpr20
	s_and_saveexec_b32 s0, vcc_lo
	s_xor_b32 s4, exec_lo, s0
	s_cbranch_execz .LBB1139_180
; %bb.179:
	s_ashr_i32 s2, s39, 31
	s_delay_alu instid0(SALU_CYCLE_1) | instskip(SKIP_2) | instid1(SALU_CYCLE_1)
	s_add_u32 s16, s38, s2
	s_mov_b32 s3, s2
	s_addc_u32 s17, s39, s2
	s_xor_b64 s[16:17], s[16:17], s[2:3]
	s_delay_alu instid0(SALU_CYCLE_1) | instskip(SKIP_3) | instid1(VALU_DEP_1)
	v_cvt_f32_u32_e32 v19, s16
	v_cvt_f32_u32_e32 v20, s17
	s_sub_u32 s0, 0, s16
	s_subb_u32 s3, 0, s17
	v_fmamk_f32 v19, v20, 0x4f800000, v19
	s_delay_alu instid0(VALU_DEP_1) | instskip(SKIP_2) | instid1(VALU_DEP_1)
	v_rcp_f32_e32 v19, v19
	s_waitcnt_depctr 0xfff
	v_mul_f32_e32 v19, 0x5f7ffffc, v19
	v_mul_f32_e32 v20, 0x2f800000, v19
	s_delay_alu instid0(VALU_DEP_1) | instskip(NEXT) | instid1(VALU_DEP_1)
	v_trunc_f32_e32 v20, v20
	v_fmamk_f32 v19, v20, 0xcf800000, v19
	v_cvt_u32_f32_e32 v20, v20
	s_delay_alu instid0(VALU_DEP_2) | instskip(NEXT) | instid1(VALU_DEP_2)
	v_cvt_u32_f32_e32 v19, v19
	v_mul_lo_u32 v23, s0, v20
	s_delay_alu instid0(VALU_DEP_2) | instskip(SKIP_1) | instid1(VALU_DEP_2)
	v_mul_hi_u32 v24, s0, v19
	v_mul_lo_u32 v25, s3, v19
	v_add_nc_u32_e32 v23, v24, v23
	v_mul_lo_u32 v24, s0, v19
	s_delay_alu instid0(VALU_DEP_2) | instskip(NEXT) | instid1(VALU_DEP_2)
	v_add_nc_u32_e32 v23, v23, v25
	v_mul_hi_u32 v25, v19, v24
	s_delay_alu instid0(VALU_DEP_2)
	v_mul_lo_u32 v26, v19, v23
	v_mul_hi_u32 v27, v19, v23
	v_mul_hi_u32 v28, v20, v24
	v_mul_lo_u32 v24, v20, v24
	v_mul_hi_u32 v29, v20, v23
	v_mul_lo_u32 v23, v20, v23
	v_add_co_u32 v25, vcc_lo, v25, v26
	v_add_co_ci_u32_e32 v26, vcc_lo, 0, v27, vcc_lo
	s_delay_alu instid0(VALU_DEP_2) | instskip(NEXT) | instid1(VALU_DEP_2)
	v_add_co_u32 v24, vcc_lo, v25, v24
	v_add_co_ci_u32_e32 v24, vcc_lo, v26, v28, vcc_lo
	v_add_co_ci_u32_e32 v25, vcc_lo, 0, v29, vcc_lo
	v_ashrrev_i32_e32 v28, 31, v22
	s_delay_alu instid0(VALU_DEP_3) | instskip(NEXT) | instid1(VALU_DEP_3)
	v_add_co_u32 v23, vcc_lo, v24, v23
	v_add_co_ci_u32_e32 v24, vcc_lo, 0, v25, vcc_lo
	s_delay_alu instid0(VALU_DEP_2) | instskip(NEXT) | instid1(VALU_DEP_2)
	v_add_co_u32 v19, vcc_lo, v19, v23
	v_add_co_ci_u32_e32 v20, vcc_lo, v20, v24, vcc_lo
	s_delay_alu instid0(VALU_DEP_2) | instskip(SKIP_1) | instid1(VALU_DEP_3)
	v_mul_hi_u32 v23, s0, v19
	v_mul_lo_u32 v25, s3, v19
	v_mul_lo_u32 v24, s0, v20
	s_delay_alu instid0(VALU_DEP_1) | instskip(SKIP_1) | instid1(VALU_DEP_2)
	v_add_nc_u32_e32 v23, v23, v24
	v_mul_lo_u32 v24, s0, v19
	v_add_nc_u32_e32 v23, v23, v25
	s_delay_alu instid0(VALU_DEP_2) | instskip(NEXT) | instid1(VALU_DEP_2)
	v_mul_hi_u32 v25, v19, v24
	v_mul_lo_u32 v26, v19, v23
	v_mul_hi_u32 v27, v19, v23
	v_mul_hi_u32 v29, v20, v24
	v_mul_lo_u32 v24, v20, v24
	v_mul_hi_u32 v30, v20, v23
	v_mul_lo_u32 v23, v20, v23
	v_add_co_u32 v25, vcc_lo, v25, v26
	v_add_co_ci_u32_e32 v26, vcc_lo, 0, v27, vcc_lo
	s_delay_alu instid0(VALU_DEP_2) | instskip(NEXT) | instid1(VALU_DEP_2)
	v_add_co_u32 v24, vcc_lo, v25, v24
	v_add_co_ci_u32_e32 v24, vcc_lo, v26, v29, vcc_lo
	v_add_co_ci_u32_e32 v25, vcc_lo, 0, v30, vcc_lo
	v_add_co_u32 v21, vcc_lo, v21, v28
	v_add_co_ci_u32_e32 v22, vcc_lo, v22, v28, vcc_lo
	s_delay_alu instid0(VALU_DEP_4) | instskip(NEXT) | instid1(VALU_DEP_4)
	v_add_co_u32 v23, vcc_lo, v24, v23
	v_add_co_ci_u32_e32 v24, vcc_lo, 0, v25, vcc_lo
	s_delay_alu instid0(VALU_DEP_4) | instskip(NEXT) | instid1(VALU_DEP_3)
	v_xor_b32_e32 v25, v21, v28
	v_add_co_u32 v23, vcc_lo, v19, v23
	s_delay_alu instid0(VALU_DEP_3) | instskip(SKIP_1) | instid1(VALU_DEP_3)
	v_add_co_ci_u32_e32 v26, vcc_lo, v20, v24, vcc_lo
	v_xor_b32_e32 v27, v22, v28
	v_mul_hi_u32 v29, v25, v23
	s_delay_alu instid0(VALU_DEP_3) | instskip(NEXT) | instid1(VALU_DEP_3)
	v_mad_u64_u32 v[19:20], null, v25, v26, 0
	v_mad_u64_u32 v[21:22], null, v27, v23, 0
	;; [unrolled: 1-line block ×3, first 2 shown]
	s_delay_alu instid0(VALU_DEP_3) | instskip(NEXT) | instid1(VALU_DEP_4)
	v_add_co_u32 v19, vcc_lo, v29, v19
	v_add_co_ci_u32_e32 v20, vcc_lo, 0, v20, vcc_lo
	s_delay_alu instid0(VALU_DEP_2) | instskip(NEXT) | instid1(VALU_DEP_2)
	v_add_co_u32 v19, vcc_lo, v19, v21
	v_add_co_ci_u32_e32 v19, vcc_lo, v20, v22, vcc_lo
	v_add_co_ci_u32_e32 v20, vcc_lo, 0, v24, vcc_lo
	s_delay_alu instid0(VALU_DEP_2) | instskip(NEXT) | instid1(VALU_DEP_2)
	v_add_co_u32 v21, vcc_lo, v19, v23
	v_add_co_ci_u32_e32 v22, vcc_lo, 0, v20, vcc_lo
	s_delay_alu instid0(VALU_DEP_2) | instskip(SKIP_1) | instid1(VALU_DEP_3)
	v_mul_lo_u32 v23, s17, v21
	v_mad_u64_u32 v[19:20], null, s16, v21, 0
	v_mul_lo_u32 v24, s16, v22
	s_delay_alu instid0(VALU_DEP_2) | instskip(NEXT) | instid1(VALU_DEP_2)
	v_sub_co_u32 v19, vcc_lo, v25, v19
	v_add3_u32 v20, v20, v24, v23
	s_delay_alu instid0(VALU_DEP_1) | instskip(NEXT) | instid1(VALU_DEP_1)
	v_sub_nc_u32_e32 v23, v27, v20
	v_subrev_co_ci_u32_e64 v23, s0, s17, v23, vcc_lo
	v_add_co_u32 v24, s0, v21, 2
	s_delay_alu instid0(VALU_DEP_1) | instskip(SKIP_3) | instid1(VALU_DEP_3)
	v_add_co_ci_u32_e64 v25, s0, 0, v22, s0
	v_sub_co_u32 v26, s0, v19, s16
	v_sub_co_ci_u32_e32 v20, vcc_lo, v27, v20, vcc_lo
	v_subrev_co_ci_u32_e64 v23, s0, 0, v23, s0
	v_cmp_le_u32_e32 vcc_lo, s16, v26
	s_delay_alu instid0(VALU_DEP_3) | instskip(SKIP_1) | instid1(VALU_DEP_4)
	v_cmp_eq_u32_e64 s0, s17, v20
	v_cndmask_b32_e64 v26, 0, -1, vcc_lo
	v_cmp_le_u32_e32 vcc_lo, s17, v23
	v_cndmask_b32_e64 v27, 0, -1, vcc_lo
	v_cmp_le_u32_e32 vcc_lo, s16, v19
	;; [unrolled: 2-line block ×3, first 2 shown]
	v_cndmask_b32_e64 v29, 0, -1, vcc_lo
	v_cmp_eq_u32_e32 vcc_lo, s17, v23
	s_delay_alu instid0(VALU_DEP_2) | instskip(SKIP_3) | instid1(VALU_DEP_3)
	v_cndmask_b32_e64 v19, v29, v19, s0
	v_cndmask_b32_e32 v23, v27, v26, vcc_lo
	v_add_co_u32 v26, vcc_lo, v21, 1
	v_add_co_ci_u32_e32 v27, vcc_lo, 0, v22, vcc_lo
	v_cmp_ne_u32_e32 vcc_lo, 0, v23
	s_delay_alu instid0(VALU_DEP_2) | instskip(SKIP_2) | instid1(VALU_DEP_3)
	v_dual_cndmask_b32 v20, v27, v25 :: v_dual_cndmask_b32 v23, v26, v24
	v_cmp_ne_u32_e32 vcc_lo, 0, v19
	v_xor_b32_e32 v24, s2, v28
	v_dual_cndmask_b32 v19, v22, v20 :: v_dual_cndmask_b32 v20, v21, v23
	s_delay_alu instid0(VALU_DEP_1) | instskip(NEXT) | instid1(VALU_DEP_2)
	v_xor_b32_e32 v21, v19, v24
	v_xor_b32_e32 v20, v20, v24
	s_delay_alu instid0(VALU_DEP_1) | instskip(NEXT) | instid1(VALU_DEP_3)
	v_sub_co_u32 v19, vcc_lo, v20, v24
	v_sub_co_ci_u32_e32 v20, vcc_lo, v21, v24, vcc_lo
                                        ; implicit-def: $vgpr21
.LBB1139_180:
	s_and_not1_saveexec_b32 s0, s4
	s_cbranch_execz .LBB1139_182
; %bb.181:
	v_cvt_f32_u32_e32 v19, s38
	s_sub_i32 s2, 0, s38
	s_delay_alu instid0(VALU_DEP_1) | instskip(SKIP_2) | instid1(VALU_DEP_1)
	v_rcp_iflag_f32_e32 v19, v19
	s_waitcnt_depctr 0xfff
	v_mul_f32_e32 v19, 0x4f7ffffe, v19
	v_cvt_u32_f32_e32 v19, v19
	s_delay_alu instid0(VALU_DEP_1) | instskip(NEXT) | instid1(VALU_DEP_1)
	v_mul_lo_u32 v20, s2, v19
	v_mul_hi_u32 v20, v19, v20
	s_delay_alu instid0(VALU_DEP_1) | instskip(NEXT) | instid1(VALU_DEP_1)
	v_add_nc_u32_e32 v19, v19, v20
	v_mul_hi_u32 v19, v21, v19
	s_delay_alu instid0(VALU_DEP_1) | instskip(NEXT) | instid1(VALU_DEP_1)
	v_mul_lo_u32 v20, v19, s38
	v_sub_nc_u32_e32 v20, v21, v20
	v_add_nc_u32_e32 v21, 1, v19
	s_delay_alu instid0(VALU_DEP_2) | instskip(SKIP_1) | instid1(VALU_DEP_2)
	v_subrev_nc_u32_e32 v22, s38, v20
	v_cmp_le_u32_e32 vcc_lo, s38, v20
	v_dual_cndmask_b32 v20, v20, v22 :: v_dual_cndmask_b32 v19, v19, v21
	s_delay_alu instid0(VALU_DEP_1) | instskip(NEXT) | instid1(VALU_DEP_2)
	v_cmp_le_u32_e32 vcc_lo, s38, v20
	v_dual_mov_b32 v20, 0 :: v_dual_add_nc_u32 v21, 1, v19
	s_delay_alu instid0(VALU_DEP_1)
	v_cndmask_b32_e32 v19, v19, v21, vcc_lo
.LBB1139_182:
	s_or_b32 exec_lo, exec_lo, s0
.LBB1139_183:
	s_delay_alu instid0(SALU_CYCLE_1) | instskip(SKIP_1) | instid1(VALU_DEP_1)
	s_or_b32 exec_lo, exec_lo, s1
	v_or_b32_e32 v51, 0xa00, v0
                                        ; implicit-def: $vgpr21_vgpr22
	v_cmp_gt_u32_e64 s4, s33, v51
	s_delay_alu instid0(VALU_DEP_1)
	s_and_saveexec_b32 s1, s4
	s_cbranch_execz .LBB1139_189
; %bb.184:
	v_add_co_u32 v23, s0, s24, v51
	s_delay_alu instid0(VALU_DEP_1) | instskip(SKIP_1) | instid1(VALU_DEP_2)
	v_add_co_ci_u32_e64 v24, null, s25, 0, s0
	v_mov_b32_e32 v21, 0
	v_or_b32_e32 v22, s39, v24
	s_delay_alu instid0(VALU_DEP_1) | instskip(SKIP_1) | instid1(SALU_CYCLE_1)
	v_cmp_ne_u64_e32 vcc_lo, 0, v[21:22]
                                        ; implicit-def: $vgpr21_vgpr22
	s_and_saveexec_b32 s0, vcc_lo
	s_xor_b32 s20, exec_lo, s0
	s_cbranch_execz .LBB1139_186
; %bb.185:
	s_ashr_i32 s2, s39, 31
	s_delay_alu instid0(SALU_CYCLE_1) | instskip(SKIP_2) | instid1(SALU_CYCLE_1)
	s_add_u32 s16, s38, s2
	s_mov_b32 s3, s2
	s_addc_u32 s17, s39, s2
	s_xor_b64 s[16:17], s[16:17], s[2:3]
	s_delay_alu instid0(SALU_CYCLE_1) | instskip(SKIP_3) | instid1(VALU_DEP_1)
	v_cvt_f32_u32_e32 v21, s16
	v_cvt_f32_u32_e32 v22, s17
	s_sub_u32 s0, 0, s16
	s_subb_u32 s3, 0, s17
	v_fmamk_f32 v21, v22, 0x4f800000, v21
	s_delay_alu instid0(VALU_DEP_1) | instskip(SKIP_2) | instid1(VALU_DEP_1)
	v_rcp_f32_e32 v21, v21
	s_waitcnt_depctr 0xfff
	v_mul_f32_e32 v21, 0x5f7ffffc, v21
	v_mul_f32_e32 v22, 0x2f800000, v21
	s_delay_alu instid0(VALU_DEP_1) | instskip(NEXT) | instid1(VALU_DEP_1)
	v_trunc_f32_e32 v22, v22
	v_fmamk_f32 v21, v22, 0xcf800000, v21
	v_cvt_u32_f32_e32 v22, v22
	s_delay_alu instid0(VALU_DEP_2) | instskip(NEXT) | instid1(VALU_DEP_2)
	v_cvt_u32_f32_e32 v21, v21
	v_mul_lo_u32 v25, s0, v22
	s_delay_alu instid0(VALU_DEP_2) | instskip(SKIP_1) | instid1(VALU_DEP_2)
	v_mul_hi_u32 v26, s0, v21
	v_mul_lo_u32 v27, s3, v21
	v_add_nc_u32_e32 v25, v26, v25
	v_mul_lo_u32 v26, s0, v21
	s_delay_alu instid0(VALU_DEP_2) | instskip(NEXT) | instid1(VALU_DEP_2)
	v_add_nc_u32_e32 v25, v25, v27
	v_mul_hi_u32 v27, v21, v26
	s_delay_alu instid0(VALU_DEP_2)
	v_mul_lo_u32 v28, v21, v25
	v_mul_hi_u32 v29, v21, v25
	v_mul_hi_u32 v30, v22, v26
	v_mul_lo_u32 v26, v22, v26
	v_mul_hi_u32 v31, v22, v25
	v_mul_lo_u32 v25, v22, v25
	v_add_co_u32 v27, vcc_lo, v27, v28
	v_add_co_ci_u32_e32 v28, vcc_lo, 0, v29, vcc_lo
	s_delay_alu instid0(VALU_DEP_2) | instskip(NEXT) | instid1(VALU_DEP_2)
	v_add_co_u32 v26, vcc_lo, v27, v26
	v_add_co_ci_u32_e32 v26, vcc_lo, v28, v30, vcc_lo
	v_add_co_ci_u32_e32 v27, vcc_lo, 0, v31, vcc_lo
	v_ashrrev_i32_e32 v30, 31, v24
	s_delay_alu instid0(VALU_DEP_3) | instskip(NEXT) | instid1(VALU_DEP_3)
	v_add_co_u32 v25, vcc_lo, v26, v25
	v_add_co_ci_u32_e32 v26, vcc_lo, 0, v27, vcc_lo
	s_delay_alu instid0(VALU_DEP_2) | instskip(NEXT) | instid1(VALU_DEP_2)
	v_add_co_u32 v21, vcc_lo, v21, v25
	v_add_co_ci_u32_e32 v22, vcc_lo, v22, v26, vcc_lo
	s_delay_alu instid0(VALU_DEP_2) | instskip(SKIP_1) | instid1(VALU_DEP_3)
	v_mul_hi_u32 v25, s0, v21
	v_mul_lo_u32 v27, s3, v21
	v_mul_lo_u32 v26, s0, v22
	s_delay_alu instid0(VALU_DEP_1) | instskip(SKIP_1) | instid1(VALU_DEP_2)
	v_add_nc_u32_e32 v25, v25, v26
	v_mul_lo_u32 v26, s0, v21
	v_add_nc_u32_e32 v25, v25, v27
	s_delay_alu instid0(VALU_DEP_2) | instskip(NEXT) | instid1(VALU_DEP_2)
	v_mul_hi_u32 v27, v21, v26
	v_mul_lo_u32 v28, v21, v25
	v_mul_hi_u32 v29, v21, v25
	v_mul_hi_u32 v31, v22, v26
	v_mul_lo_u32 v26, v22, v26
	v_mul_hi_u32 v32, v22, v25
	v_mul_lo_u32 v25, v22, v25
	v_add_co_u32 v27, vcc_lo, v27, v28
	v_add_co_ci_u32_e32 v28, vcc_lo, 0, v29, vcc_lo
	s_delay_alu instid0(VALU_DEP_2) | instskip(NEXT) | instid1(VALU_DEP_2)
	v_add_co_u32 v26, vcc_lo, v27, v26
	v_add_co_ci_u32_e32 v26, vcc_lo, v28, v31, vcc_lo
	v_add_co_ci_u32_e32 v27, vcc_lo, 0, v32, vcc_lo
	v_add_co_u32 v23, vcc_lo, v23, v30
	v_add_co_ci_u32_e32 v24, vcc_lo, v24, v30, vcc_lo
	s_delay_alu instid0(VALU_DEP_4) | instskip(NEXT) | instid1(VALU_DEP_4)
	v_add_co_u32 v25, vcc_lo, v26, v25
	v_add_co_ci_u32_e32 v26, vcc_lo, 0, v27, vcc_lo
	s_delay_alu instid0(VALU_DEP_4) | instskip(NEXT) | instid1(VALU_DEP_3)
	v_xor_b32_e32 v27, v23, v30
	v_add_co_u32 v25, vcc_lo, v21, v25
	s_delay_alu instid0(VALU_DEP_3) | instskip(SKIP_1) | instid1(VALU_DEP_3)
	v_add_co_ci_u32_e32 v28, vcc_lo, v22, v26, vcc_lo
	v_xor_b32_e32 v29, v24, v30
	v_mul_hi_u32 v31, v27, v25
	s_delay_alu instid0(VALU_DEP_3) | instskip(NEXT) | instid1(VALU_DEP_3)
	v_mad_u64_u32 v[21:22], null, v27, v28, 0
	v_mad_u64_u32 v[23:24], null, v29, v25, 0
	;; [unrolled: 1-line block ×3, first 2 shown]
	s_delay_alu instid0(VALU_DEP_3) | instskip(NEXT) | instid1(VALU_DEP_4)
	v_add_co_u32 v21, vcc_lo, v31, v21
	v_add_co_ci_u32_e32 v22, vcc_lo, 0, v22, vcc_lo
	s_delay_alu instid0(VALU_DEP_2) | instskip(NEXT) | instid1(VALU_DEP_2)
	v_add_co_u32 v21, vcc_lo, v21, v23
	v_add_co_ci_u32_e32 v21, vcc_lo, v22, v24, vcc_lo
	v_add_co_ci_u32_e32 v22, vcc_lo, 0, v26, vcc_lo
	s_delay_alu instid0(VALU_DEP_2) | instskip(NEXT) | instid1(VALU_DEP_2)
	v_add_co_u32 v23, vcc_lo, v21, v25
	v_add_co_ci_u32_e32 v24, vcc_lo, 0, v22, vcc_lo
	s_delay_alu instid0(VALU_DEP_2) | instskip(SKIP_1) | instid1(VALU_DEP_3)
	v_mul_lo_u32 v25, s17, v23
	v_mad_u64_u32 v[21:22], null, s16, v23, 0
	v_mul_lo_u32 v26, s16, v24
	s_delay_alu instid0(VALU_DEP_2) | instskip(NEXT) | instid1(VALU_DEP_2)
	v_sub_co_u32 v21, vcc_lo, v27, v21
	v_add3_u32 v22, v22, v26, v25
	s_delay_alu instid0(VALU_DEP_1) | instskip(NEXT) | instid1(VALU_DEP_1)
	v_sub_nc_u32_e32 v25, v29, v22
	v_subrev_co_ci_u32_e64 v25, s0, s17, v25, vcc_lo
	v_add_co_u32 v26, s0, v23, 2
	s_delay_alu instid0(VALU_DEP_1) | instskip(SKIP_3) | instid1(VALU_DEP_3)
	v_add_co_ci_u32_e64 v27, s0, 0, v24, s0
	v_sub_co_u32 v28, s0, v21, s16
	v_sub_co_ci_u32_e32 v22, vcc_lo, v29, v22, vcc_lo
	v_subrev_co_ci_u32_e64 v25, s0, 0, v25, s0
	v_cmp_le_u32_e32 vcc_lo, s16, v28
	s_delay_alu instid0(VALU_DEP_3) | instskip(SKIP_1) | instid1(VALU_DEP_4)
	v_cmp_eq_u32_e64 s0, s17, v22
	v_cndmask_b32_e64 v28, 0, -1, vcc_lo
	v_cmp_le_u32_e32 vcc_lo, s17, v25
	v_cndmask_b32_e64 v29, 0, -1, vcc_lo
	v_cmp_le_u32_e32 vcc_lo, s16, v21
	;; [unrolled: 2-line block ×3, first 2 shown]
	v_cndmask_b32_e64 v31, 0, -1, vcc_lo
	v_cmp_eq_u32_e32 vcc_lo, s17, v25
	s_delay_alu instid0(VALU_DEP_2) | instskip(SKIP_3) | instid1(VALU_DEP_3)
	v_cndmask_b32_e64 v21, v31, v21, s0
	v_cndmask_b32_e32 v25, v29, v28, vcc_lo
	v_add_co_u32 v28, vcc_lo, v23, 1
	v_add_co_ci_u32_e32 v29, vcc_lo, 0, v24, vcc_lo
	v_cmp_ne_u32_e32 vcc_lo, 0, v25
	s_delay_alu instid0(VALU_DEP_2) | instskip(SKIP_2) | instid1(VALU_DEP_3)
	v_dual_cndmask_b32 v22, v29, v27 :: v_dual_cndmask_b32 v25, v28, v26
	v_cmp_ne_u32_e32 vcc_lo, 0, v21
	v_xor_b32_e32 v26, s2, v30
	v_dual_cndmask_b32 v21, v24, v22 :: v_dual_cndmask_b32 v22, v23, v25
	s_delay_alu instid0(VALU_DEP_1) | instskip(NEXT) | instid1(VALU_DEP_2)
	v_xor_b32_e32 v23, v21, v26
	v_xor_b32_e32 v22, v22, v26
	s_delay_alu instid0(VALU_DEP_1) | instskip(NEXT) | instid1(VALU_DEP_3)
	v_sub_co_u32 v21, vcc_lo, v22, v26
	v_sub_co_ci_u32_e32 v22, vcc_lo, v23, v26, vcc_lo
                                        ; implicit-def: $vgpr23
.LBB1139_186:
	s_and_not1_saveexec_b32 s0, s20
	s_cbranch_execz .LBB1139_188
; %bb.187:
	v_cvt_f32_u32_e32 v21, s38
	s_sub_i32 s2, 0, s38
	s_delay_alu instid0(VALU_DEP_1) | instskip(SKIP_2) | instid1(VALU_DEP_1)
	v_rcp_iflag_f32_e32 v21, v21
	s_waitcnt_depctr 0xfff
	v_mul_f32_e32 v21, 0x4f7ffffe, v21
	v_cvt_u32_f32_e32 v21, v21
	s_delay_alu instid0(VALU_DEP_1) | instskip(NEXT) | instid1(VALU_DEP_1)
	v_mul_lo_u32 v22, s2, v21
	v_mul_hi_u32 v22, v21, v22
	s_delay_alu instid0(VALU_DEP_1) | instskip(NEXT) | instid1(VALU_DEP_1)
	v_add_nc_u32_e32 v21, v21, v22
	v_mul_hi_u32 v21, v23, v21
	s_delay_alu instid0(VALU_DEP_1) | instskip(NEXT) | instid1(VALU_DEP_1)
	v_mul_lo_u32 v22, v21, s38
	v_sub_nc_u32_e32 v22, v23, v22
	v_add_nc_u32_e32 v23, 1, v21
	s_delay_alu instid0(VALU_DEP_2) | instskip(SKIP_1) | instid1(VALU_DEP_2)
	v_subrev_nc_u32_e32 v24, s38, v22
	v_cmp_le_u32_e32 vcc_lo, s38, v22
	v_dual_cndmask_b32 v22, v22, v24 :: v_dual_cndmask_b32 v21, v21, v23
	s_delay_alu instid0(VALU_DEP_1) | instskip(NEXT) | instid1(VALU_DEP_2)
	v_cmp_le_u32_e32 vcc_lo, s38, v22
	v_dual_mov_b32 v22, 0 :: v_dual_add_nc_u32 v23, 1, v21
	s_delay_alu instid0(VALU_DEP_1)
	v_cndmask_b32_e32 v21, v21, v23, vcc_lo
.LBB1139_188:
	s_or_b32 exec_lo, exec_lo, s0
.LBB1139_189:
	s_delay_alu instid0(SALU_CYCLE_1) | instskip(SKIP_1) | instid1(VALU_DEP_1)
	s_or_b32 exec_lo, exec_lo, s1
	v_or_b32_e32 v53, 0xb00, v0
                                        ; implicit-def: $vgpr23_vgpr24
	v_cmp_gt_u32_e64 s3, s33, v53
	s_delay_alu instid0(VALU_DEP_1)
	s_and_saveexec_b32 s1, s3
	s_cbranch_execz .LBB1139_195
; %bb.190:
	v_add_co_u32 v25, s0, s24, v53
	s_delay_alu instid0(VALU_DEP_1) | instskip(SKIP_1) | instid1(VALU_DEP_2)
	v_add_co_ci_u32_e64 v26, null, s25, 0, s0
	v_mov_b32_e32 v23, 0
	v_or_b32_e32 v24, s39, v26
	s_delay_alu instid0(VALU_DEP_1) | instskip(SKIP_1) | instid1(SALU_CYCLE_1)
	v_cmp_ne_u64_e32 vcc_lo, 0, v[23:24]
                                        ; implicit-def: $vgpr23_vgpr24
	s_and_saveexec_b32 s0, vcc_lo
	s_xor_b32 s2, exec_lo, s0
	s_cbranch_execz .LBB1139_192
; %bb.191:
	s_ashr_i32 s16, s39, 31
	s_delay_alu instid0(SALU_CYCLE_1) | instskip(SKIP_2) | instid1(SALU_CYCLE_1)
	s_add_u32 s20, s38, s16
	s_mov_b32 s17, s16
	s_addc_u32 s21, s39, s16
	s_xor_b64 s[20:21], s[20:21], s[16:17]
	s_delay_alu instid0(SALU_CYCLE_1) | instskip(SKIP_3) | instid1(VALU_DEP_1)
	v_cvt_f32_u32_e32 v23, s20
	v_cvt_f32_u32_e32 v24, s21
	s_sub_u32 s0, 0, s20
	s_subb_u32 s17, 0, s21
	v_fmamk_f32 v23, v24, 0x4f800000, v23
	s_delay_alu instid0(VALU_DEP_1) | instskip(SKIP_2) | instid1(VALU_DEP_1)
	v_rcp_f32_e32 v23, v23
	s_waitcnt_depctr 0xfff
	v_mul_f32_e32 v23, 0x5f7ffffc, v23
	v_mul_f32_e32 v24, 0x2f800000, v23
	s_delay_alu instid0(VALU_DEP_1) | instskip(NEXT) | instid1(VALU_DEP_1)
	v_trunc_f32_e32 v24, v24
	v_fmamk_f32 v23, v24, 0xcf800000, v23
	v_cvt_u32_f32_e32 v24, v24
	s_delay_alu instid0(VALU_DEP_2) | instskip(NEXT) | instid1(VALU_DEP_2)
	v_cvt_u32_f32_e32 v23, v23
	v_mul_lo_u32 v27, s0, v24
	s_delay_alu instid0(VALU_DEP_2) | instskip(SKIP_1) | instid1(VALU_DEP_2)
	v_mul_hi_u32 v28, s0, v23
	v_mul_lo_u32 v29, s17, v23
	v_add_nc_u32_e32 v27, v28, v27
	v_mul_lo_u32 v28, s0, v23
	s_delay_alu instid0(VALU_DEP_2) | instskip(NEXT) | instid1(VALU_DEP_2)
	v_add_nc_u32_e32 v27, v27, v29
	v_mul_hi_u32 v29, v23, v28
	s_delay_alu instid0(VALU_DEP_2)
	v_mul_lo_u32 v30, v23, v27
	v_mul_hi_u32 v31, v23, v27
	v_mul_hi_u32 v32, v24, v28
	v_mul_lo_u32 v28, v24, v28
	v_mul_hi_u32 v34, v24, v27
	v_mul_lo_u32 v27, v24, v27
	v_add_co_u32 v29, vcc_lo, v29, v30
	v_add_co_ci_u32_e32 v30, vcc_lo, 0, v31, vcc_lo
	s_delay_alu instid0(VALU_DEP_2) | instskip(NEXT) | instid1(VALU_DEP_2)
	v_add_co_u32 v28, vcc_lo, v29, v28
	v_add_co_ci_u32_e32 v28, vcc_lo, v30, v32, vcc_lo
	v_add_co_ci_u32_e32 v29, vcc_lo, 0, v34, vcc_lo
	v_ashrrev_i32_e32 v32, 31, v26
	s_delay_alu instid0(VALU_DEP_3) | instskip(NEXT) | instid1(VALU_DEP_3)
	v_add_co_u32 v27, vcc_lo, v28, v27
	v_add_co_ci_u32_e32 v28, vcc_lo, 0, v29, vcc_lo
	s_delay_alu instid0(VALU_DEP_2) | instskip(NEXT) | instid1(VALU_DEP_2)
	v_add_co_u32 v23, vcc_lo, v23, v27
	v_add_co_ci_u32_e32 v24, vcc_lo, v24, v28, vcc_lo
	s_delay_alu instid0(VALU_DEP_2) | instskip(SKIP_1) | instid1(VALU_DEP_3)
	v_mul_hi_u32 v27, s0, v23
	v_mul_lo_u32 v29, s17, v23
	v_mul_lo_u32 v28, s0, v24
	s_delay_alu instid0(VALU_DEP_1) | instskip(SKIP_1) | instid1(VALU_DEP_2)
	v_add_nc_u32_e32 v27, v27, v28
	v_mul_lo_u32 v28, s0, v23
	v_add_nc_u32_e32 v27, v27, v29
	s_delay_alu instid0(VALU_DEP_2) | instskip(NEXT) | instid1(VALU_DEP_2)
	v_mul_hi_u32 v29, v23, v28
	v_mul_lo_u32 v30, v23, v27
	v_mul_hi_u32 v31, v23, v27
	v_mul_hi_u32 v34, v24, v28
	v_mul_lo_u32 v28, v24, v28
	v_mul_hi_u32 v36, v24, v27
	v_mul_lo_u32 v27, v24, v27
	v_add_co_u32 v29, vcc_lo, v29, v30
	v_add_co_ci_u32_e32 v30, vcc_lo, 0, v31, vcc_lo
	s_delay_alu instid0(VALU_DEP_2) | instskip(NEXT) | instid1(VALU_DEP_2)
	v_add_co_u32 v28, vcc_lo, v29, v28
	v_add_co_ci_u32_e32 v28, vcc_lo, v30, v34, vcc_lo
	v_add_co_ci_u32_e32 v29, vcc_lo, 0, v36, vcc_lo
	v_add_co_u32 v25, vcc_lo, v25, v32
	v_add_co_ci_u32_e32 v26, vcc_lo, v26, v32, vcc_lo
	s_delay_alu instid0(VALU_DEP_4) | instskip(NEXT) | instid1(VALU_DEP_4)
	v_add_co_u32 v27, vcc_lo, v28, v27
	v_add_co_ci_u32_e32 v28, vcc_lo, 0, v29, vcc_lo
	s_delay_alu instid0(VALU_DEP_4) | instskip(NEXT) | instid1(VALU_DEP_3)
	v_xor_b32_e32 v29, v25, v32
	v_add_co_u32 v27, vcc_lo, v23, v27
	s_delay_alu instid0(VALU_DEP_3) | instskip(SKIP_1) | instid1(VALU_DEP_3)
	v_add_co_ci_u32_e32 v30, vcc_lo, v24, v28, vcc_lo
	v_xor_b32_e32 v31, v26, v32
	v_mul_hi_u32 v34, v29, v27
	s_delay_alu instid0(VALU_DEP_3) | instskip(NEXT) | instid1(VALU_DEP_3)
	v_mad_u64_u32 v[23:24], null, v29, v30, 0
	v_mad_u64_u32 v[25:26], null, v31, v27, 0
	;; [unrolled: 1-line block ×3, first 2 shown]
	s_delay_alu instid0(VALU_DEP_3) | instskip(NEXT) | instid1(VALU_DEP_4)
	v_add_co_u32 v23, vcc_lo, v34, v23
	v_add_co_ci_u32_e32 v24, vcc_lo, 0, v24, vcc_lo
	s_delay_alu instid0(VALU_DEP_2) | instskip(NEXT) | instid1(VALU_DEP_2)
	v_add_co_u32 v23, vcc_lo, v23, v25
	v_add_co_ci_u32_e32 v23, vcc_lo, v24, v26, vcc_lo
	v_add_co_ci_u32_e32 v24, vcc_lo, 0, v28, vcc_lo
	s_delay_alu instid0(VALU_DEP_2) | instskip(NEXT) | instid1(VALU_DEP_2)
	v_add_co_u32 v25, vcc_lo, v23, v27
	v_add_co_ci_u32_e32 v26, vcc_lo, 0, v24, vcc_lo
	s_delay_alu instid0(VALU_DEP_2) | instskip(SKIP_1) | instid1(VALU_DEP_3)
	v_mul_lo_u32 v27, s21, v25
	v_mad_u64_u32 v[23:24], null, s20, v25, 0
	v_mul_lo_u32 v28, s20, v26
	s_delay_alu instid0(VALU_DEP_2) | instskip(NEXT) | instid1(VALU_DEP_2)
	v_sub_co_u32 v23, vcc_lo, v29, v23
	v_add3_u32 v24, v24, v28, v27
	s_delay_alu instid0(VALU_DEP_1) | instskip(NEXT) | instid1(VALU_DEP_1)
	v_sub_nc_u32_e32 v27, v31, v24
	v_subrev_co_ci_u32_e64 v27, s0, s21, v27, vcc_lo
	v_add_co_u32 v28, s0, v25, 2
	s_delay_alu instid0(VALU_DEP_1) | instskip(SKIP_3) | instid1(VALU_DEP_3)
	v_add_co_ci_u32_e64 v29, s0, 0, v26, s0
	v_sub_co_u32 v30, s0, v23, s20
	v_sub_co_ci_u32_e32 v24, vcc_lo, v31, v24, vcc_lo
	v_subrev_co_ci_u32_e64 v27, s0, 0, v27, s0
	v_cmp_le_u32_e32 vcc_lo, s20, v30
	s_delay_alu instid0(VALU_DEP_3) | instskip(SKIP_1) | instid1(VALU_DEP_4)
	v_cmp_eq_u32_e64 s0, s21, v24
	v_cndmask_b32_e64 v30, 0, -1, vcc_lo
	v_cmp_le_u32_e32 vcc_lo, s21, v27
	v_cndmask_b32_e64 v31, 0, -1, vcc_lo
	v_cmp_le_u32_e32 vcc_lo, s20, v23
	;; [unrolled: 2-line block ×3, first 2 shown]
	v_cndmask_b32_e64 v34, 0, -1, vcc_lo
	v_cmp_eq_u32_e32 vcc_lo, s21, v27
	s_delay_alu instid0(VALU_DEP_2) | instskip(SKIP_3) | instid1(VALU_DEP_3)
	v_cndmask_b32_e64 v23, v34, v23, s0
	v_cndmask_b32_e32 v27, v31, v30, vcc_lo
	v_add_co_u32 v30, vcc_lo, v25, 1
	v_add_co_ci_u32_e32 v31, vcc_lo, 0, v26, vcc_lo
	v_cmp_ne_u32_e32 vcc_lo, 0, v27
	s_delay_alu instid0(VALU_DEP_2) | instskip(SKIP_2) | instid1(VALU_DEP_3)
	v_dual_cndmask_b32 v24, v31, v29 :: v_dual_cndmask_b32 v27, v30, v28
	v_cmp_ne_u32_e32 vcc_lo, 0, v23
	v_xor_b32_e32 v28, s16, v32
	v_dual_cndmask_b32 v23, v26, v24 :: v_dual_cndmask_b32 v24, v25, v27
	s_delay_alu instid0(VALU_DEP_1) | instskip(NEXT) | instid1(VALU_DEP_2)
	v_xor_b32_e32 v25, v23, v28
	v_xor_b32_e32 v24, v24, v28
	s_delay_alu instid0(VALU_DEP_1) | instskip(NEXT) | instid1(VALU_DEP_3)
	v_sub_co_u32 v23, vcc_lo, v24, v28
	v_sub_co_ci_u32_e32 v24, vcc_lo, v25, v28, vcc_lo
                                        ; implicit-def: $vgpr25
.LBB1139_192:
	s_and_not1_saveexec_b32 s0, s2
	s_cbranch_execz .LBB1139_194
; %bb.193:
	v_cvt_f32_u32_e32 v23, s38
	s_sub_i32 s2, 0, s38
	s_delay_alu instid0(VALU_DEP_1) | instskip(SKIP_2) | instid1(VALU_DEP_1)
	v_rcp_iflag_f32_e32 v23, v23
	s_waitcnt_depctr 0xfff
	v_mul_f32_e32 v23, 0x4f7ffffe, v23
	v_cvt_u32_f32_e32 v23, v23
	s_delay_alu instid0(VALU_DEP_1) | instskip(NEXT) | instid1(VALU_DEP_1)
	v_mul_lo_u32 v24, s2, v23
	v_mul_hi_u32 v24, v23, v24
	s_delay_alu instid0(VALU_DEP_1) | instskip(NEXT) | instid1(VALU_DEP_1)
	v_add_nc_u32_e32 v23, v23, v24
	v_mul_hi_u32 v23, v25, v23
	s_delay_alu instid0(VALU_DEP_1) | instskip(NEXT) | instid1(VALU_DEP_1)
	v_mul_lo_u32 v24, v23, s38
	v_sub_nc_u32_e32 v24, v25, v24
	v_add_nc_u32_e32 v25, 1, v23
	s_delay_alu instid0(VALU_DEP_2) | instskip(SKIP_1) | instid1(VALU_DEP_2)
	v_subrev_nc_u32_e32 v26, s38, v24
	v_cmp_le_u32_e32 vcc_lo, s38, v24
	v_dual_cndmask_b32 v24, v24, v26 :: v_dual_cndmask_b32 v23, v23, v25
	s_delay_alu instid0(VALU_DEP_1) | instskip(NEXT) | instid1(VALU_DEP_2)
	v_cmp_le_u32_e32 vcc_lo, s38, v24
	v_dual_mov_b32 v24, 0 :: v_dual_add_nc_u32 v25, 1, v23
	s_delay_alu instid0(VALU_DEP_1)
	v_cndmask_b32_e32 v23, v23, v25, vcc_lo
.LBB1139_194:
	s_or_b32 exec_lo, exec_lo, s0
.LBB1139_195:
	s_delay_alu instid0(SALU_CYCLE_1) | instskip(SKIP_1) | instid1(VALU_DEP_1)
	s_or_b32 exec_lo, exec_lo, s1
	v_or_b32_e32 v55, 0xc00, v0
                                        ; implicit-def: $vgpr25_vgpr26
	v_cmp_gt_u32_e64 s2, s33, v55
	s_delay_alu instid0(VALU_DEP_1)
	s_and_saveexec_b32 s1, s2
	s_cbranch_execz .LBB1139_201
; %bb.196:
	v_add_co_u32 v27, s0, s24, v55
	s_delay_alu instid0(VALU_DEP_1) | instskip(SKIP_1) | instid1(VALU_DEP_2)
	v_add_co_ci_u32_e64 v28, null, s25, 0, s0
	v_mov_b32_e32 v25, 0
	v_or_b32_e32 v26, s39, v28
	s_delay_alu instid0(VALU_DEP_1) | instskip(SKIP_1) | instid1(SALU_CYCLE_1)
	v_cmp_ne_u64_e32 vcc_lo, 0, v[25:26]
                                        ; implicit-def: $vgpr25_vgpr26
	s_and_saveexec_b32 s0, vcc_lo
	s_xor_b32 s22, exec_lo, s0
	s_cbranch_execz .LBB1139_198
; %bb.197:
	s_ashr_i32 s16, s39, 31
	s_delay_alu instid0(SALU_CYCLE_1) | instskip(SKIP_2) | instid1(SALU_CYCLE_1)
	s_add_u32 s20, s38, s16
	s_mov_b32 s17, s16
	s_addc_u32 s21, s39, s16
	s_xor_b64 s[20:21], s[20:21], s[16:17]
	s_delay_alu instid0(SALU_CYCLE_1) | instskip(SKIP_3) | instid1(VALU_DEP_1)
	v_cvt_f32_u32_e32 v25, s20
	v_cvt_f32_u32_e32 v26, s21
	s_sub_u32 s0, 0, s20
	s_subb_u32 s17, 0, s21
	v_fmamk_f32 v25, v26, 0x4f800000, v25
	s_delay_alu instid0(VALU_DEP_1) | instskip(SKIP_2) | instid1(VALU_DEP_1)
	v_rcp_f32_e32 v25, v25
	s_waitcnt_depctr 0xfff
	v_mul_f32_e32 v25, 0x5f7ffffc, v25
	v_mul_f32_e32 v26, 0x2f800000, v25
	s_delay_alu instid0(VALU_DEP_1) | instskip(NEXT) | instid1(VALU_DEP_1)
	v_trunc_f32_e32 v26, v26
	v_fmamk_f32 v25, v26, 0xcf800000, v25
	v_cvt_u32_f32_e32 v26, v26
	s_delay_alu instid0(VALU_DEP_2) | instskip(NEXT) | instid1(VALU_DEP_2)
	v_cvt_u32_f32_e32 v25, v25
	v_mul_lo_u32 v29, s0, v26
	s_delay_alu instid0(VALU_DEP_2) | instskip(SKIP_1) | instid1(VALU_DEP_2)
	v_mul_hi_u32 v30, s0, v25
	v_mul_lo_u32 v31, s17, v25
	v_add_nc_u32_e32 v29, v30, v29
	v_mul_lo_u32 v30, s0, v25
	s_delay_alu instid0(VALU_DEP_2) | instskip(NEXT) | instid1(VALU_DEP_2)
	v_add_nc_u32_e32 v29, v29, v31
	v_mul_hi_u32 v31, v25, v30
	s_delay_alu instid0(VALU_DEP_2)
	v_mul_lo_u32 v32, v25, v29
	v_mul_hi_u32 v34, v25, v29
	v_mul_hi_u32 v36, v26, v30
	v_mul_lo_u32 v30, v26, v30
	v_mul_hi_u32 v38, v26, v29
	v_mul_lo_u32 v29, v26, v29
	v_add_co_u32 v31, vcc_lo, v31, v32
	v_add_co_ci_u32_e32 v32, vcc_lo, 0, v34, vcc_lo
	s_delay_alu instid0(VALU_DEP_2) | instskip(NEXT) | instid1(VALU_DEP_2)
	v_add_co_u32 v30, vcc_lo, v31, v30
	v_add_co_ci_u32_e32 v30, vcc_lo, v32, v36, vcc_lo
	v_add_co_ci_u32_e32 v31, vcc_lo, 0, v38, vcc_lo
	v_ashrrev_i32_e32 v36, 31, v28
	s_delay_alu instid0(VALU_DEP_3) | instskip(NEXT) | instid1(VALU_DEP_3)
	v_add_co_u32 v29, vcc_lo, v30, v29
	v_add_co_ci_u32_e32 v30, vcc_lo, 0, v31, vcc_lo
	s_delay_alu instid0(VALU_DEP_2) | instskip(NEXT) | instid1(VALU_DEP_2)
	v_add_co_u32 v25, vcc_lo, v25, v29
	v_add_co_ci_u32_e32 v26, vcc_lo, v26, v30, vcc_lo
	s_delay_alu instid0(VALU_DEP_2) | instskip(SKIP_1) | instid1(VALU_DEP_3)
	v_mul_hi_u32 v29, s0, v25
	v_mul_lo_u32 v31, s17, v25
	v_mul_lo_u32 v30, s0, v26
	s_delay_alu instid0(VALU_DEP_1) | instskip(SKIP_1) | instid1(VALU_DEP_2)
	v_add_nc_u32_e32 v29, v29, v30
	v_mul_lo_u32 v30, s0, v25
	v_add_nc_u32_e32 v29, v29, v31
	s_delay_alu instid0(VALU_DEP_2) | instskip(NEXT) | instid1(VALU_DEP_2)
	v_mul_hi_u32 v31, v25, v30
	v_mul_lo_u32 v32, v25, v29
	v_mul_hi_u32 v34, v25, v29
	v_mul_hi_u32 v38, v26, v30
	v_mul_lo_u32 v30, v26, v30
	v_mul_hi_u32 v40, v26, v29
	v_mul_lo_u32 v29, v26, v29
	v_add_co_u32 v31, vcc_lo, v31, v32
	v_add_co_ci_u32_e32 v32, vcc_lo, 0, v34, vcc_lo
	s_delay_alu instid0(VALU_DEP_2) | instskip(NEXT) | instid1(VALU_DEP_2)
	v_add_co_u32 v30, vcc_lo, v31, v30
	v_add_co_ci_u32_e32 v30, vcc_lo, v32, v38, vcc_lo
	v_add_co_ci_u32_e32 v31, vcc_lo, 0, v40, vcc_lo
	v_add_co_u32 v27, vcc_lo, v27, v36
	v_add_co_ci_u32_e32 v28, vcc_lo, v28, v36, vcc_lo
	s_delay_alu instid0(VALU_DEP_4) | instskip(NEXT) | instid1(VALU_DEP_4)
	v_add_co_u32 v29, vcc_lo, v30, v29
	v_add_co_ci_u32_e32 v30, vcc_lo, 0, v31, vcc_lo
	s_delay_alu instid0(VALU_DEP_4) | instskip(NEXT) | instid1(VALU_DEP_3)
	v_xor_b32_e32 v31, v27, v36
	v_add_co_u32 v29, vcc_lo, v25, v29
	s_delay_alu instid0(VALU_DEP_3) | instskip(SKIP_1) | instid1(VALU_DEP_3)
	v_add_co_ci_u32_e32 v32, vcc_lo, v26, v30, vcc_lo
	v_xor_b32_e32 v34, v28, v36
	v_mul_hi_u32 v38, v31, v29
	s_delay_alu instid0(VALU_DEP_3) | instskip(NEXT) | instid1(VALU_DEP_3)
	v_mad_u64_u32 v[25:26], null, v31, v32, 0
	v_mad_u64_u32 v[27:28], null, v34, v29, 0
	;; [unrolled: 1-line block ×3, first 2 shown]
	s_delay_alu instid0(VALU_DEP_3) | instskip(NEXT) | instid1(VALU_DEP_4)
	v_add_co_u32 v25, vcc_lo, v38, v25
	v_add_co_ci_u32_e32 v26, vcc_lo, 0, v26, vcc_lo
	s_delay_alu instid0(VALU_DEP_2) | instskip(NEXT) | instid1(VALU_DEP_2)
	v_add_co_u32 v25, vcc_lo, v25, v27
	v_add_co_ci_u32_e32 v25, vcc_lo, v26, v28, vcc_lo
	v_add_co_ci_u32_e32 v26, vcc_lo, 0, v30, vcc_lo
	s_delay_alu instid0(VALU_DEP_2) | instskip(NEXT) | instid1(VALU_DEP_2)
	v_add_co_u32 v27, vcc_lo, v25, v29
	v_add_co_ci_u32_e32 v28, vcc_lo, 0, v26, vcc_lo
	s_delay_alu instid0(VALU_DEP_2) | instskip(SKIP_1) | instid1(VALU_DEP_3)
	v_mul_lo_u32 v29, s21, v27
	v_mad_u64_u32 v[25:26], null, s20, v27, 0
	v_mul_lo_u32 v30, s20, v28
	s_delay_alu instid0(VALU_DEP_2) | instskip(NEXT) | instid1(VALU_DEP_2)
	v_sub_co_u32 v25, vcc_lo, v31, v25
	v_add3_u32 v26, v26, v30, v29
	s_delay_alu instid0(VALU_DEP_1) | instskip(NEXT) | instid1(VALU_DEP_1)
	v_sub_nc_u32_e32 v29, v34, v26
	v_subrev_co_ci_u32_e64 v29, s0, s21, v29, vcc_lo
	v_add_co_u32 v30, s0, v27, 2
	s_delay_alu instid0(VALU_DEP_1) | instskip(SKIP_3) | instid1(VALU_DEP_3)
	v_add_co_ci_u32_e64 v31, s0, 0, v28, s0
	v_sub_co_u32 v32, s0, v25, s20
	v_sub_co_ci_u32_e32 v26, vcc_lo, v34, v26, vcc_lo
	v_subrev_co_ci_u32_e64 v29, s0, 0, v29, s0
	v_cmp_le_u32_e32 vcc_lo, s20, v32
	s_delay_alu instid0(VALU_DEP_3) | instskip(SKIP_1) | instid1(VALU_DEP_4)
	v_cmp_eq_u32_e64 s0, s21, v26
	v_cndmask_b32_e64 v32, 0, -1, vcc_lo
	v_cmp_le_u32_e32 vcc_lo, s21, v29
	v_cndmask_b32_e64 v34, 0, -1, vcc_lo
	v_cmp_le_u32_e32 vcc_lo, s20, v25
	;; [unrolled: 2-line block ×3, first 2 shown]
	v_cndmask_b32_e64 v38, 0, -1, vcc_lo
	v_cmp_eq_u32_e32 vcc_lo, s21, v29
	s_delay_alu instid0(VALU_DEP_2) | instskip(SKIP_3) | instid1(VALU_DEP_3)
	v_cndmask_b32_e64 v25, v38, v25, s0
	v_cndmask_b32_e32 v29, v34, v32, vcc_lo
	v_add_co_u32 v32, vcc_lo, v27, 1
	v_add_co_ci_u32_e32 v34, vcc_lo, 0, v28, vcc_lo
	v_cmp_ne_u32_e32 vcc_lo, 0, v29
	s_delay_alu instid0(VALU_DEP_2) | instskip(SKIP_2) | instid1(VALU_DEP_3)
	v_dual_cndmask_b32 v26, v34, v31 :: v_dual_cndmask_b32 v29, v32, v30
	v_cmp_ne_u32_e32 vcc_lo, 0, v25
	v_xor_b32_e32 v30, s16, v36
	v_dual_cndmask_b32 v25, v28, v26 :: v_dual_cndmask_b32 v26, v27, v29
	s_delay_alu instid0(VALU_DEP_1) | instskip(NEXT) | instid1(VALU_DEP_2)
	v_xor_b32_e32 v27, v25, v30
	v_xor_b32_e32 v26, v26, v30
	s_delay_alu instid0(VALU_DEP_1) | instskip(NEXT) | instid1(VALU_DEP_3)
	v_sub_co_u32 v25, vcc_lo, v26, v30
	v_sub_co_ci_u32_e32 v26, vcc_lo, v27, v30, vcc_lo
                                        ; implicit-def: $vgpr27
.LBB1139_198:
	s_and_not1_saveexec_b32 s0, s22
	s_cbranch_execz .LBB1139_200
; %bb.199:
	v_cvt_f32_u32_e32 v25, s38
	s_sub_i32 s16, 0, s38
	s_delay_alu instid0(VALU_DEP_1) | instskip(SKIP_2) | instid1(VALU_DEP_1)
	v_rcp_iflag_f32_e32 v25, v25
	s_waitcnt_depctr 0xfff
	v_mul_f32_e32 v25, 0x4f7ffffe, v25
	v_cvt_u32_f32_e32 v25, v25
	s_delay_alu instid0(VALU_DEP_1) | instskip(NEXT) | instid1(VALU_DEP_1)
	v_mul_lo_u32 v26, s16, v25
	v_mul_hi_u32 v26, v25, v26
	s_delay_alu instid0(VALU_DEP_1) | instskip(NEXT) | instid1(VALU_DEP_1)
	v_add_nc_u32_e32 v25, v25, v26
	v_mul_hi_u32 v25, v27, v25
	s_delay_alu instid0(VALU_DEP_1) | instskip(NEXT) | instid1(VALU_DEP_1)
	v_mul_lo_u32 v26, v25, s38
	v_sub_nc_u32_e32 v26, v27, v26
	v_add_nc_u32_e32 v27, 1, v25
	s_delay_alu instid0(VALU_DEP_2) | instskip(SKIP_1) | instid1(VALU_DEP_2)
	v_subrev_nc_u32_e32 v28, s38, v26
	v_cmp_le_u32_e32 vcc_lo, s38, v26
	v_dual_cndmask_b32 v26, v26, v28 :: v_dual_cndmask_b32 v25, v25, v27
	s_delay_alu instid0(VALU_DEP_1) | instskip(NEXT) | instid1(VALU_DEP_2)
	v_cmp_le_u32_e32 vcc_lo, s38, v26
	v_dual_mov_b32 v26, 0 :: v_dual_add_nc_u32 v27, 1, v25
	s_delay_alu instid0(VALU_DEP_1)
	v_cndmask_b32_e32 v25, v25, v27, vcc_lo
.LBB1139_200:
	s_or_b32 exec_lo, exec_lo, s0
.LBB1139_201:
	s_delay_alu instid0(SALU_CYCLE_1) | instskip(SKIP_1) | instid1(VALU_DEP_1)
	s_or_b32 exec_lo, exec_lo, s1
	v_or_b32_e32 v59, 0xd00, v0
                                        ; implicit-def: $vgpr27_vgpr28
	v_cmp_gt_u32_e64 s1, s33, v59
	s_delay_alu instid0(VALU_DEP_1)
	s_and_saveexec_b32 s22, s1
	s_cbranch_execz .LBB1139_207
; %bb.202:
	v_add_co_u32 v29, s0, s24, v59
	s_delay_alu instid0(VALU_DEP_1) | instskip(SKIP_1) | instid1(VALU_DEP_2)
	v_add_co_ci_u32_e64 v30, null, s25, 0, s0
	v_mov_b32_e32 v27, 0
	v_or_b32_e32 v28, s39, v30
	s_delay_alu instid0(VALU_DEP_1) | instskip(SKIP_1) | instid1(SALU_CYCLE_1)
	v_cmp_ne_u64_e32 vcc_lo, 0, v[27:28]
                                        ; implicit-def: $vgpr27_vgpr28
	s_and_saveexec_b32 s0, vcc_lo
	s_xor_b32 s23, exec_lo, s0
	s_cbranch_execz .LBB1139_204
; %bb.203:
	s_ashr_i32 s16, s39, 31
	s_delay_alu instid0(SALU_CYCLE_1) | instskip(SKIP_2) | instid1(SALU_CYCLE_1)
	s_add_u32 s20, s38, s16
	s_mov_b32 s17, s16
	s_addc_u32 s21, s39, s16
	s_xor_b64 s[20:21], s[20:21], s[16:17]
	s_delay_alu instid0(SALU_CYCLE_1) | instskip(SKIP_3) | instid1(VALU_DEP_1)
	v_cvt_f32_u32_e32 v27, s20
	v_cvt_f32_u32_e32 v28, s21
	s_sub_u32 s0, 0, s20
	s_subb_u32 s17, 0, s21
	v_fmamk_f32 v27, v28, 0x4f800000, v27
	s_delay_alu instid0(VALU_DEP_1) | instskip(SKIP_2) | instid1(VALU_DEP_1)
	v_rcp_f32_e32 v27, v27
	s_waitcnt_depctr 0xfff
	v_mul_f32_e32 v27, 0x5f7ffffc, v27
	v_mul_f32_e32 v28, 0x2f800000, v27
	s_delay_alu instid0(VALU_DEP_1) | instskip(NEXT) | instid1(VALU_DEP_1)
	v_trunc_f32_e32 v28, v28
	v_fmamk_f32 v27, v28, 0xcf800000, v27
	v_cvt_u32_f32_e32 v28, v28
	s_delay_alu instid0(VALU_DEP_2) | instskip(NEXT) | instid1(VALU_DEP_2)
	v_cvt_u32_f32_e32 v27, v27
	v_mul_lo_u32 v31, s0, v28
	s_delay_alu instid0(VALU_DEP_2) | instskip(SKIP_1) | instid1(VALU_DEP_2)
	v_mul_hi_u32 v32, s0, v27
	v_mul_lo_u32 v34, s17, v27
	v_add_nc_u32_e32 v31, v32, v31
	v_mul_lo_u32 v32, s0, v27
	s_delay_alu instid0(VALU_DEP_2) | instskip(NEXT) | instid1(VALU_DEP_2)
	v_add_nc_u32_e32 v31, v31, v34
	v_mul_hi_u32 v34, v27, v32
	s_delay_alu instid0(VALU_DEP_2)
	v_mul_lo_u32 v36, v27, v31
	v_mul_hi_u32 v38, v27, v31
	v_mul_hi_u32 v40, v28, v32
	v_mul_lo_u32 v32, v28, v32
	v_mul_hi_u32 v42, v28, v31
	v_mul_lo_u32 v31, v28, v31
	v_add_co_u32 v34, vcc_lo, v34, v36
	v_add_co_ci_u32_e32 v36, vcc_lo, 0, v38, vcc_lo
	s_delay_alu instid0(VALU_DEP_2) | instskip(NEXT) | instid1(VALU_DEP_2)
	v_add_co_u32 v32, vcc_lo, v34, v32
	v_add_co_ci_u32_e32 v32, vcc_lo, v36, v40, vcc_lo
	v_add_co_ci_u32_e32 v34, vcc_lo, 0, v42, vcc_lo
	v_ashrrev_i32_e32 v40, 31, v30
	s_delay_alu instid0(VALU_DEP_3) | instskip(NEXT) | instid1(VALU_DEP_3)
	v_add_co_u32 v31, vcc_lo, v32, v31
	v_add_co_ci_u32_e32 v32, vcc_lo, 0, v34, vcc_lo
	s_delay_alu instid0(VALU_DEP_2) | instskip(NEXT) | instid1(VALU_DEP_2)
	v_add_co_u32 v27, vcc_lo, v27, v31
	v_add_co_ci_u32_e32 v28, vcc_lo, v28, v32, vcc_lo
	s_delay_alu instid0(VALU_DEP_2) | instskip(SKIP_1) | instid1(VALU_DEP_3)
	v_mul_hi_u32 v31, s0, v27
	v_mul_lo_u32 v34, s17, v27
	v_mul_lo_u32 v32, s0, v28
	s_delay_alu instid0(VALU_DEP_1) | instskip(SKIP_1) | instid1(VALU_DEP_2)
	v_add_nc_u32_e32 v31, v31, v32
	v_mul_lo_u32 v32, s0, v27
	v_add_nc_u32_e32 v31, v31, v34
	s_delay_alu instid0(VALU_DEP_2) | instskip(NEXT) | instid1(VALU_DEP_2)
	v_mul_hi_u32 v34, v27, v32
	v_mul_lo_u32 v36, v27, v31
	v_mul_hi_u32 v38, v27, v31
	v_mul_hi_u32 v42, v28, v32
	v_mul_lo_u32 v32, v28, v32
	v_mul_hi_u32 v44, v28, v31
	v_mul_lo_u32 v31, v28, v31
	v_add_co_u32 v34, vcc_lo, v34, v36
	v_add_co_ci_u32_e32 v36, vcc_lo, 0, v38, vcc_lo
	s_delay_alu instid0(VALU_DEP_2) | instskip(NEXT) | instid1(VALU_DEP_2)
	v_add_co_u32 v32, vcc_lo, v34, v32
	v_add_co_ci_u32_e32 v32, vcc_lo, v36, v42, vcc_lo
	v_add_co_ci_u32_e32 v34, vcc_lo, 0, v44, vcc_lo
	v_add_co_u32 v29, vcc_lo, v29, v40
	v_add_co_ci_u32_e32 v30, vcc_lo, v30, v40, vcc_lo
	s_delay_alu instid0(VALU_DEP_4) | instskip(NEXT) | instid1(VALU_DEP_4)
	v_add_co_u32 v31, vcc_lo, v32, v31
	v_add_co_ci_u32_e32 v32, vcc_lo, 0, v34, vcc_lo
	s_delay_alu instid0(VALU_DEP_4) | instskip(NEXT) | instid1(VALU_DEP_3)
	v_xor_b32_e32 v34, v29, v40
	v_add_co_u32 v31, vcc_lo, v27, v31
	s_delay_alu instid0(VALU_DEP_3) | instskip(SKIP_1) | instid1(VALU_DEP_3)
	v_add_co_ci_u32_e32 v36, vcc_lo, v28, v32, vcc_lo
	v_xor_b32_e32 v38, v30, v40
	v_mul_hi_u32 v42, v34, v31
	s_delay_alu instid0(VALU_DEP_3) | instskip(NEXT) | instid1(VALU_DEP_3)
	v_mad_u64_u32 v[27:28], null, v34, v36, 0
	v_mad_u64_u32 v[29:30], null, v38, v31, 0
	;; [unrolled: 1-line block ×3, first 2 shown]
	s_delay_alu instid0(VALU_DEP_3) | instskip(NEXT) | instid1(VALU_DEP_4)
	v_add_co_u32 v27, vcc_lo, v42, v27
	v_add_co_ci_u32_e32 v28, vcc_lo, 0, v28, vcc_lo
	s_delay_alu instid0(VALU_DEP_2) | instskip(NEXT) | instid1(VALU_DEP_2)
	v_add_co_u32 v27, vcc_lo, v27, v29
	v_add_co_ci_u32_e32 v27, vcc_lo, v28, v30, vcc_lo
	v_add_co_ci_u32_e32 v28, vcc_lo, 0, v32, vcc_lo
	s_delay_alu instid0(VALU_DEP_2) | instskip(NEXT) | instid1(VALU_DEP_2)
	v_add_co_u32 v29, vcc_lo, v27, v31
	v_add_co_ci_u32_e32 v30, vcc_lo, 0, v28, vcc_lo
	s_delay_alu instid0(VALU_DEP_2) | instskip(SKIP_1) | instid1(VALU_DEP_3)
	v_mul_lo_u32 v31, s21, v29
	v_mad_u64_u32 v[27:28], null, s20, v29, 0
	v_mul_lo_u32 v32, s20, v30
	s_delay_alu instid0(VALU_DEP_2) | instskip(NEXT) | instid1(VALU_DEP_2)
	v_sub_co_u32 v27, vcc_lo, v34, v27
	v_add3_u32 v28, v28, v32, v31
	s_delay_alu instid0(VALU_DEP_1) | instskip(NEXT) | instid1(VALU_DEP_1)
	v_sub_nc_u32_e32 v31, v38, v28
	v_subrev_co_ci_u32_e64 v31, s0, s21, v31, vcc_lo
	v_add_co_u32 v32, s0, v29, 2
	s_delay_alu instid0(VALU_DEP_1) | instskip(SKIP_3) | instid1(VALU_DEP_3)
	v_add_co_ci_u32_e64 v34, s0, 0, v30, s0
	v_sub_co_u32 v36, s0, v27, s20
	v_sub_co_ci_u32_e32 v28, vcc_lo, v38, v28, vcc_lo
	v_subrev_co_ci_u32_e64 v31, s0, 0, v31, s0
	v_cmp_le_u32_e32 vcc_lo, s20, v36
	s_delay_alu instid0(VALU_DEP_3) | instskip(SKIP_1) | instid1(VALU_DEP_4)
	v_cmp_eq_u32_e64 s0, s21, v28
	v_cndmask_b32_e64 v36, 0, -1, vcc_lo
	v_cmp_le_u32_e32 vcc_lo, s21, v31
	v_cndmask_b32_e64 v38, 0, -1, vcc_lo
	v_cmp_le_u32_e32 vcc_lo, s20, v27
	;; [unrolled: 2-line block ×3, first 2 shown]
	v_cndmask_b32_e64 v42, 0, -1, vcc_lo
	v_cmp_eq_u32_e32 vcc_lo, s21, v31
	s_delay_alu instid0(VALU_DEP_2) | instskip(SKIP_3) | instid1(VALU_DEP_3)
	v_cndmask_b32_e64 v27, v42, v27, s0
	v_cndmask_b32_e32 v31, v38, v36, vcc_lo
	v_add_co_u32 v36, vcc_lo, v29, 1
	v_add_co_ci_u32_e32 v38, vcc_lo, 0, v30, vcc_lo
	v_cmp_ne_u32_e32 vcc_lo, 0, v31
	s_delay_alu instid0(VALU_DEP_2) | instskip(SKIP_2) | instid1(VALU_DEP_3)
	v_dual_cndmask_b32 v28, v38, v34 :: v_dual_cndmask_b32 v31, v36, v32
	v_cmp_ne_u32_e32 vcc_lo, 0, v27
	v_xor_b32_e32 v32, s16, v40
	v_dual_cndmask_b32 v27, v30, v28 :: v_dual_cndmask_b32 v28, v29, v31
	s_delay_alu instid0(VALU_DEP_1) | instskip(NEXT) | instid1(VALU_DEP_2)
	v_xor_b32_e32 v29, v27, v32
	v_xor_b32_e32 v28, v28, v32
	s_delay_alu instid0(VALU_DEP_1) | instskip(NEXT) | instid1(VALU_DEP_3)
	v_sub_co_u32 v27, vcc_lo, v28, v32
	v_sub_co_ci_u32_e32 v28, vcc_lo, v29, v32, vcc_lo
                                        ; implicit-def: $vgpr29
.LBB1139_204:
	s_and_not1_saveexec_b32 s0, s23
	s_cbranch_execz .LBB1139_206
; %bb.205:
	v_cvt_f32_u32_e32 v27, s38
	s_sub_i32 s16, 0, s38
	s_delay_alu instid0(VALU_DEP_1) | instskip(SKIP_2) | instid1(VALU_DEP_1)
	v_rcp_iflag_f32_e32 v27, v27
	s_waitcnt_depctr 0xfff
	v_mul_f32_e32 v27, 0x4f7ffffe, v27
	v_cvt_u32_f32_e32 v27, v27
	s_delay_alu instid0(VALU_DEP_1) | instskip(NEXT) | instid1(VALU_DEP_1)
	v_mul_lo_u32 v28, s16, v27
	v_mul_hi_u32 v28, v27, v28
	s_delay_alu instid0(VALU_DEP_1) | instskip(NEXT) | instid1(VALU_DEP_1)
	v_add_nc_u32_e32 v27, v27, v28
	v_mul_hi_u32 v27, v29, v27
	s_delay_alu instid0(VALU_DEP_1) | instskip(NEXT) | instid1(VALU_DEP_1)
	v_mul_lo_u32 v28, v27, s38
	v_sub_nc_u32_e32 v28, v29, v28
	v_add_nc_u32_e32 v29, 1, v27
	s_delay_alu instid0(VALU_DEP_2) | instskip(SKIP_1) | instid1(VALU_DEP_2)
	v_subrev_nc_u32_e32 v30, s38, v28
	v_cmp_le_u32_e32 vcc_lo, s38, v28
	v_dual_cndmask_b32 v28, v28, v30 :: v_dual_cndmask_b32 v27, v27, v29
	s_delay_alu instid0(VALU_DEP_1) | instskip(NEXT) | instid1(VALU_DEP_2)
	v_cmp_le_u32_e32 vcc_lo, s38, v28
	v_dual_mov_b32 v28, 0 :: v_dual_add_nc_u32 v29, 1, v27
	s_delay_alu instid0(VALU_DEP_1)
	v_cndmask_b32_e32 v27, v27, v29, vcc_lo
.LBB1139_206:
	s_or_b32 exec_lo, exec_lo, s0
.LBB1139_207:
	s_delay_alu instid0(SALU_CYCLE_1) | instskip(SKIP_1) | instid1(VALU_DEP_1)
	s_or_b32 exec_lo, exec_lo, s22
	v_or_b32_e32 v63, 0xe00, v0
                                        ; implicit-def: $vgpr29_vgpr30
	v_cmp_gt_u32_e64 s0, s33, v63
	s_delay_alu instid0(VALU_DEP_1)
	s_and_saveexec_b32 s17, s0
	s_cbranch_execz .LBB1139_213
; %bb.208:
	v_add_co_u32 v31, s16, s24, v63
	s_delay_alu instid0(VALU_DEP_1) | instskip(SKIP_1) | instid1(VALU_DEP_2)
	v_add_co_ci_u32_e64 v32, null, s25, 0, s16
	v_mov_b32_e32 v29, 0
	v_or_b32_e32 v30, s39, v32
	s_delay_alu instid0(VALU_DEP_1) | instskip(SKIP_1) | instid1(SALU_CYCLE_1)
	v_cmp_ne_u64_e32 vcc_lo, 0, v[29:30]
                                        ; implicit-def: $vgpr29_vgpr30
	s_and_saveexec_b32 s16, vcc_lo
	s_xor_b32 s34, exec_lo, s16
	s_cbranch_execz .LBB1139_210
; %bb.209:
	s_ashr_i32 s20, s39, 31
	s_delay_alu instid0(SALU_CYCLE_1) | instskip(SKIP_2) | instid1(SALU_CYCLE_1)
	s_add_u32 s22, s38, s20
	s_mov_b32 s21, s20
	s_addc_u32 s23, s39, s20
	s_xor_b64 s[22:23], s[22:23], s[20:21]
	s_delay_alu instid0(SALU_CYCLE_1) | instskip(SKIP_3) | instid1(VALU_DEP_1)
	v_cvt_f32_u32_e32 v29, s22
	v_cvt_f32_u32_e32 v30, s23
	s_sub_u32 s16, 0, s22
	s_subb_u32 s21, 0, s23
	v_fmamk_f32 v29, v30, 0x4f800000, v29
	s_delay_alu instid0(VALU_DEP_1) | instskip(SKIP_2) | instid1(VALU_DEP_1)
	v_rcp_f32_e32 v29, v29
	s_waitcnt_depctr 0xfff
	v_mul_f32_e32 v29, 0x5f7ffffc, v29
	v_mul_f32_e32 v30, 0x2f800000, v29
	s_delay_alu instid0(VALU_DEP_1) | instskip(NEXT) | instid1(VALU_DEP_1)
	v_trunc_f32_e32 v30, v30
	v_fmamk_f32 v29, v30, 0xcf800000, v29
	v_cvt_u32_f32_e32 v30, v30
	s_delay_alu instid0(VALU_DEP_2) | instskip(NEXT) | instid1(VALU_DEP_2)
	v_cvt_u32_f32_e32 v29, v29
	v_mul_lo_u32 v34, s16, v30
	s_delay_alu instid0(VALU_DEP_2) | instskip(SKIP_1) | instid1(VALU_DEP_2)
	v_mul_hi_u32 v36, s16, v29
	v_mul_lo_u32 v38, s21, v29
	v_add_nc_u32_e32 v34, v36, v34
	v_mul_lo_u32 v36, s16, v29
	s_delay_alu instid0(VALU_DEP_2) | instskip(NEXT) | instid1(VALU_DEP_2)
	v_add_nc_u32_e32 v34, v34, v38
	v_mul_hi_u32 v38, v29, v36
	s_delay_alu instid0(VALU_DEP_2)
	v_mul_lo_u32 v40, v29, v34
	v_mul_hi_u32 v42, v29, v34
	v_mul_hi_u32 v44, v30, v36
	v_mul_lo_u32 v36, v30, v36
	v_mul_hi_u32 v46, v30, v34
	v_mul_lo_u32 v34, v30, v34
	v_add_co_u32 v38, vcc_lo, v38, v40
	v_add_co_ci_u32_e32 v40, vcc_lo, 0, v42, vcc_lo
	s_delay_alu instid0(VALU_DEP_2) | instskip(NEXT) | instid1(VALU_DEP_2)
	v_add_co_u32 v36, vcc_lo, v38, v36
	v_add_co_ci_u32_e32 v36, vcc_lo, v40, v44, vcc_lo
	v_add_co_ci_u32_e32 v38, vcc_lo, 0, v46, vcc_lo
	v_ashrrev_i32_e32 v44, 31, v32
	s_delay_alu instid0(VALU_DEP_3) | instskip(NEXT) | instid1(VALU_DEP_3)
	v_add_co_u32 v34, vcc_lo, v36, v34
	v_add_co_ci_u32_e32 v36, vcc_lo, 0, v38, vcc_lo
	s_delay_alu instid0(VALU_DEP_2) | instskip(NEXT) | instid1(VALU_DEP_2)
	v_add_co_u32 v29, vcc_lo, v29, v34
	v_add_co_ci_u32_e32 v30, vcc_lo, v30, v36, vcc_lo
	s_delay_alu instid0(VALU_DEP_2) | instskip(SKIP_1) | instid1(VALU_DEP_3)
	v_mul_hi_u32 v34, s16, v29
	v_mul_lo_u32 v38, s21, v29
	v_mul_lo_u32 v36, s16, v30
	s_delay_alu instid0(VALU_DEP_1) | instskip(SKIP_1) | instid1(VALU_DEP_2)
	v_add_nc_u32_e32 v34, v34, v36
	v_mul_lo_u32 v36, s16, v29
	v_add_nc_u32_e32 v34, v34, v38
	s_delay_alu instid0(VALU_DEP_2) | instskip(NEXT) | instid1(VALU_DEP_2)
	v_mul_hi_u32 v38, v29, v36
	v_mul_lo_u32 v40, v29, v34
	v_mul_hi_u32 v42, v29, v34
	v_mul_hi_u32 v46, v30, v36
	v_mul_lo_u32 v36, v30, v36
	v_mul_hi_u32 v48, v30, v34
	v_mul_lo_u32 v34, v30, v34
	v_add_co_u32 v38, vcc_lo, v38, v40
	v_add_co_ci_u32_e32 v40, vcc_lo, 0, v42, vcc_lo
	s_delay_alu instid0(VALU_DEP_2) | instskip(NEXT) | instid1(VALU_DEP_2)
	v_add_co_u32 v36, vcc_lo, v38, v36
	v_add_co_ci_u32_e32 v36, vcc_lo, v40, v46, vcc_lo
	v_add_co_ci_u32_e32 v38, vcc_lo, 0, v48, vcc_lo
	v_add_co_u32 v31, vcc_lo, v31, v44
	v_add_co_ci_u32_e32 v32, vcc_lo, v32, v44, vcc_lo
	s_delay_alu instid0(VALU_DEP_4) | instskip(NEXT) | instid1(VALU_DEP_4)
	v_add_co_u32 v34, vcc_lo, v36, v34
	v_add_co_ci_u32_e32 v36, vcc_lo, 0, v38, vcc_lo
	s_delay_alu instid0(VALU_DEP_4) | instskip(NEXT) | instid1(VALU_DEP_3)
	v_xor_b32_e32 v38, v31, v44
	v_add_co_u32 v34, vcc_lo, v29, v34
	s_delay_alu instid0(VALU_DEP_3) | instskip(SKIP_1) | instid1(VALU_DEP_3)
	v_add_co_ci_u32_e32 v36, vcc_lo, v30, v36, vcc_lo
	v_xor_b32_e32 v40, v32, v44
	v_mul_hi_u32 v42, v38, v34
	s_delay_alu instid0(VALU_DEP_3) | instskip(NEXT) | instid1(VALU_DEP_3)
	v_mad_u64_u32 v[29:30], null, v38, v36, 0
	v_mad_u64_u32 v[31:32], null, v40, v34, 0
	;; [unrolled: 1-line block ×3, first 2 shown]
	s_delay_alu instid0(VALU_DEP_3) | instskip(NEXT) | instid1(VALU_DEP_4)
	v_add_co_u32 v29, vcc_lo, v42, v29
	v_add_co_ci_u32_e32 v30, vcc_lo, 0, v30, vcc_lo
	s_delay_alu instid0(VALU_DEP_2) | instskip(NEXT) | instid1(VALU_DEP_2)
	v_add_co_u32 v29, vcc_lo, v29, v31
	v_add_co_ci_u32_e32 v29, vcc_lo, v30, v32, vcc_lo
	v_add_co_ci_u32_e32 v30, vcc_lo, 0, v57, vcc_lo
	s_delay_alu instid0(VALU_DEP_2) | instskip(NEXT) | instid1(VALU_DEP_2)
	v_add_co_u32 v31, vcc_lo, v29, v56
	v_add_co_ci_u32_e32 v32, vcc_lo, 0, v30, vcc_lo
	s_delay_alu instid0(VALU_DEP_2) | instskip(SKIP_1) | instid1(VALU_DEP_3)
	v_mul_lo_u32 v34, s23, v31
	v_mad_u64_u32 v[29:30], null, s22, v31, 0
	v_mul_lo_u32 v36, s22, v32
	s_delay_alu instid0(VALU_DEP_2) | instskip(NEXT) | instid1(VALU_DEP_2)
	v_sub_co_u32 v29, vcc_lo, v38, v29
	v_add3_u32 v30, v30, v36, v34
	s_delay_alu instid0(VALU_DEP_1) | instskip(NEXT) | instid1(VALU_DEP_1)
	v_sub_nc_u32_e32 v34, v40, v30
	v_subrev_co_ci_u32_e64 v34, s16, s23, v34, vcc_lo
	v_add_co_u32 v36, s16, v31, 2
	s_delay_alu instid0(VALU_DEP_1) | instskip(SKIP_3) | instid1(VALU_DEP_3)
	v_add_co_ci_u32_e64 v38, s16, 0, v32, s16
	v_sub_co_u32 v42, s16, v29, s22
	v_sub_co_ci_u32_e32 v30, vcc_lo, v40, v30, vcc_lo
	v_subrev_co_ci_u32_e64 v34, s16, 0, v34, s16
	v_cmp_le_u32_e32 vcc_lo, s22, v42
	s_delay_alu instid0(VALU_DEP_3) | instskip(SKIP_1) | instid1(VALU_DEP_4)
	v_cmp_eq_u32_e64 s16, s23, v30
	v_cndmask_b32_e64 v40, 0, -1, vcc_lo
	v_cmp_le_u32_e32 vcc_lo, s23, v34
	v_cndmask_b32_e64 v42, 0, -1, vcc_lo
	v_cmp_le_u32_e32 vcc_lo, s22, v29
	;; [unrolled: 2-line block ×3, first 2 shown]
	v_cndmask_b32_e64 v46, 0, -1, vcc_lo
	v_cmp_eq_u32_e32 vcc_lo, s23, v34
	s_delay_alu instid0(VALU_DEP_2) | instskip(SKIP_3) | instid1(VALU_DEP_3)
	v_cndmask_b32_e64 v29, v46, v29, s16
	v_cndmask_b32_e32 v34, v42, v40, vcc_lo
	v_add_co_u32 v40, vcc_lo, v31, 1
	v_add_co_ci_u32_e32 v42, vcc_lo, 0, v32, vcc_lo
	v_cmp_ne_u32_e32 vcc_lo, 0, v34
	s_delay_alu instid0(VALU_DEP_2) | instskip(NEXT) | instid1(VALU_DEP_4)
	v_cndmask_b32_e32 v30, v42, v38, vcc_lo
	v_cndmask_b32_e32 v34, v40, v36, vcc_lo
	v_cmp_ne_u32_e32 vcc_lo, 0, v29
	v_xor_b32_e32 v36, s20, v44
	s_delay_alu instid0(VALU_DEP_4) | instskip(NEXT) | instid1(VALU_DEP_4)
	v_cndmask_b32_e32 v29, v32, v30, vcc_lo
	v_cndmask_b32_e32 v30, v31, v34, vcc_lo
	s_delay_alu instid0(VALU_DEP_2) | instskip(NEXT) | instid1(VALU_DEP_2)
	v_xor_b32_e32 v31, v29, v36
	v_xor_b32_e32 v30, v30, v36
	s_delay_alu instid0(VALU_DEP_1) | instskip(NEXT) | instid1(VALU_DEP_3)
	v_sub_co_u32 v29, vcc_lo, v30, v36
	v_sub_co_ci_u32_e32 v30, vcc_lo, v31, v36, vcc_lo
                                        ; implicit-def: $vgpr31
.LBB1139_210:
	s_and_not1_saveexec_b32 s16, s34
	s_cbranch_execz .LBB1139_212
; %bb.211:
	v_cvt_f32_u32_e32 v29, s38
	s_sub_i32 s20, 0, s38
	s_delay_alu instid0(VALU_DEP_1) | instskip(SKIP_2) | instid1(VALU_DEP_1)
	v_rcp_iflag_f32_e32 v29, v29
	s_waitcnt_depctr 0xfff
	v_mul_f32_e32 v29, 0x4f7ffffe, v29
	v_cvt_u32_f32_e32 v29, v29
	s_delay_alu instid0(VALU_DEP_1) | instskip(NEXT) | instid1(VALU_DEP_1)
	v_mul_lo_u32 v30, s20, v29
	v_mul_hi_u32 v30, v29, v30
	s_delay_alu instid0(VALU_DEP_1) | instskip(NEXT) | instid1(VALU_DEP_1)
	v_add_nc_u32_e32 v29, v29, v30
	v_mul_hi_u32 v29, v31, v29
	s_delay_alu instid0(VALU_DEP_1) | instskip(NEXT) | instid1(VALU_DEP_1)
	v_mul_lo_u32 v30, v29, s38
	v_sub_nc_u32_e32 v30, v31, v30
	v_add_nc_u32_e32 v31, 1, v29
	s_delay_alu instid0(VALU_DEP_2) | instskip(SKIP_1) | instid1(VALU_DEP_2)
	v_subrev_nc_u32_e32 v32, s38, v30
	v_cmp_le_u32_e32 vcc_lo, s38, v30
	v_dual_cndmask_b32 v30, v30, v32 :: v_dual_cndmask_b32 v29, v29, v31
	s_delay_alu instid0(VALU_DEP_1) | instskip(NEXT) | instid1(VALU_DEP_2)
	v_cmp_le_u32_e32 vcc_lo, s38, v30
	v_dual_mov_b32 v30, 0 :: v_dual_add_nc_u32 v31, 1, v29
	s_delay_alu instid0(VALU_DEP_1)
	v_cndmask_b32_e32 v29, v29, v31, vcc_lo
.LBB1139_212:
	s_or_b32 exec_lo, exec_lo, s16
.LBB1139_213:
	s_delay_alu instid0(SALU_CYCLE_1)
	s_or_b32 exec_lo, exec_lo, s17
	v_lshlrev_b32_e32 v62, 3, v0
	ds_store_2addr_stride64_b64 v62, v[1:2], v[3:4] offset1:4
	ds_store_2addr_stride64_b64 v62, v[5:6], v[7:8] offset0:8 offset1:12
	ds_store_2addr_stride64_b64 v62, v[9:10], v[11:12] offset0:16 offset1:20
	;; [unrolled: 1-line block ×6, first 2 shown]
	v_mad_u32_u24 v61, 0x70, v0, v62
	ds_store_b64 v62, v[29:30] offset:28672
	s_waitcnt lgkmcnt(0)
	s_barrier
	buffer_gl0_inv
	ds_load_2addr_b64 v[25:28], v61 offset1:1
	ds_load_2addr_b64 v[21:24], v61 offset0:2 offset1:3
	ds_load_2addr_b64 v[17:20], v61 offset0:4 offset1:5
	;; [unrolled: 1-line block ×6, first 2 shown]
	ds_load_b64 v[57:58], v61 offset:112
	s_waitcnt lgkmcnt(0)
	s_barrier
	buffer_gl0_inv
                                        ; implicit-def: $vgpr29_vgpr30
	s_and_saveexec_b32 s22, s14
	s_cbranch_execnz .LBB1139_228
; %bb.214:
	s_or_b32 exec_lo, exec_lo, s22
                                        ; implicit-def: $vgpr31_vgpr32
	s_and_saveexec_b32 s14, s13
	s_cbranch_execnz .LBB1139_233
.LBB1139_215:
	s_or_b32 exec_lo, exec_lo, s14
                                        ; implicit-def: $vgpr33_vgpr34
	s_and_saveexec_b32 s13, s12
	s_cbranch_execnz .LBB1139_238
.LBB1139_216:
	s_or_b32 exec_lo, exec_lo, s13
                                        ; implicit-def: $vgpr35_vgpr36
	s_and_saveexec_b32 s14, s11
	s_cbranch_execnz .LBB1139_243
.LBB1139_217:
	s_or_b32 exec_lo, exec_lo, s14
                                        ; implicit-def: $vgpr37_vgpr38
	s_and_saveexec_b32 s11, s10
	s_cbranch_execnz .LBB1139_248
.LBB1139_218:
	s_or_b32 exec_lo, exec_lo, s11
                                        ; implicit-def: $vgpr39_vgpr40
	s_and_saveexec_b32 s14, s9
	s_cbranch_execnz .LBB1139_253
.LBB1139_219:
	s_or_b32 exec_lo, exec_lo, s14
                                        ; implicit-def: $vgpr41_vgpr42
	s_and_saveexec_b32 s9, s8
	s_cbranch_execnz .LBB1139_258
.LBB1139_220:
	s_or_b32 exec_lo, exec_lo, s9
                                        ; implicit-def: $vgpr43_vgpr44
	s_and_saveexec_b32 s12, s7
	s_cbranch_execnz .LBB1139_263
.LBB1139_221:
	s_or_b32 exec_lo, exec_lo, s12
                                        ; implicit-def: $vgpr45_vgpr46
	s_and_saveexec_b32 s7, s6
	s_cbranch_execnz .LBB1139_268
.LBB1139_222:
	s_or_b32 exec_lo, exec_lo, s7
                                        ; implicit-def: $vgpr47_vgpr48
	s_and_saveexec_b32 s10, s5
	s_cbranch_execnz .LBB1139_273
.LBB1139_223:
	s_or_b32 exec_lo, exec_lo, s10
                                        ; implicit-def: $vgpr49_vgpr50
	s_and_saveexec_b32 s5, s4
	s_cbranch_execnz .LBB1139_278
.LBB1139_224:
	s_or_b32 exec_lo, exec_lo, s5
                                        ; implicit-def: $vgpr51_vgpr52
	s_and_saveexec_b32 s8, s3
	s_cbranch_execnz .LBB1139_283
.LBB1139_225:
	s_or_b32 exec_lo, exec_lo, s8
                                        ; implicit-def: $vgpr53_vgpr54
	s_and_saveexec_b32 s3, s2
	s_cbranch_execnz .LBB1139_288
.LBB1139_226:
	s_or_b32 exec_lo, exec_lo, s3
                                        ; implicit-def: $vgpr55_vgpr56
	s_and_saveexec_b32 s6, s1
	s_cbranch_execnz .LBB1139_293
.LBB1139_227:
	s_or_b32 exec_lo, exec_lo, s6
                                        ; implicit-def: $vgpr59_vgpr60
	s_and_saveexec_b32 s1, s0
	s_cbranch_execnz .LBB1139_298
	s_branch .LBB1139_303
.LBB1139_228:
	v_add_co_u32 v31, s14, s30, v0
	s_delay_alu instid0(VALU_DEP_1) | instskip(SKIP_1) | instid1(VALU_DEP_2)
	v_add_co_ci_u32_e64 v32, null, s31, 0, s14
	v_mov_b32_e32 v29, 0
	v_or_b32_e32 v30, s45, v32
	s_delay_alu instid0(VALU_DEP_1) | instskip(SKIP_1) | instid1(SALU_CYCLE_1)
	v_cmp_ne_u64_e32 vcc_lo, 0, v[29:30]
                                        ; implicit-def: $vgpr29_vgpr30
	s_and_saveexec_b32 s14, vcc_lo
	s_xor_b32 s23, exec_lo, s14
	s_cbranch_execz .LBB1139_230
; %bb.229:
	s_ashr_i32 s16, s45, 31
	s_delay_alu instid0(SALU_CYCLE_1) | instskip(SKIP_2) | instid1(SALU_CYCLE_1)
	s_add_u32 s20, s44, s16
	s_mov_b32 s17, s16
	s_addc_u32 s21, s45, s16
	s_xor_b64 s[20:21], s[20:21], s[16:17]
	s_delay_alu instid0(SALU_CYCLE_1) | instskip(SKIP_3) | instid1(VALU_DEP_1)
	v_cvt_f32_u32_e32 v29, s20
	v_cvt_f32_u32_e32 v30, s21
	s_sub_u32 s14, 0, s20
	s_subb_u32 s17, 0, s21
	v_fmamk_f32 v29, v30, 0x4f800000, v29
	s_delay_alu instid0(VALU_DEP_1) | instskip(SKIP_2) | instid1(VALU_DEP_1)
	v_rcp_f32_e32 v29, v29
	s_waitcnt_depctr 0xfff
	v_mul_f32_e32 v29, 0x5f7ffffc, v29
	v_mul_f32_e32 v30, 0x2f800000, v29
	s_delay_alu instid0(VALU_DEP_1) | instskip(NEXT) | instid1(VALU_DEP_1)
	v_trunc_f32_e32 v30, v30
	v_fmamk_f32 v29, v30, 0xcf800000, v29
	v_cvt_u32_f32_e32 v30, v30
	s_delay_alu instid0(VALU_DEP_2) | instskip(NEXT) | instid1(VALU_DEP_2)
	v_cvt_u32_f32_e32 v29, v29
	v_mul_lo_u32 v34, s14, v30
	s_delay_alu instid0(VALU_DEP_2) | instskip(SKIP_1) | instid1(VALU_DEP_2)
	v_mul_hi_u32 v36, s14, v29
	v_mul_lo_u32 v38, s17, v29
	v_add_nc_u32_e32 v34, v36, v34
	v_mul_lo_u32 v36, s14, v29
	s_delay_alu instid0(VALU_DEP_2) | instskip(NEXT) | instid1(VALU_DEP_2)
	v_add_nc_u32_e32 v34, v34, v38
	v_mul_hi_u32 v38, v29, v36
	s_delay_alu instid0(VALU_DEP_2)
	v_mul_lo_u32 v40, v29, v34
	v_mul_hi_u32 v42, v29, v34
	v_mul_hi_u32 v44, v30, v36
	v_mul_lo_u32 v36, v30, v36
	v_mul_hi_u32 v46, v30, v34
	v_mul_lo_u32 v34, v30, v34
	v_add_co_u32 v38, vcc_lo, v38, v40
	v_add_co_ci_u32_e32 v40, vcc_lo, 0, v42, vcc_lo
	s_delay_alu instid0(VALU_DEP_2) | instskip(NEXT) | instid1(VALU_DEP_2)
	v_add_co_u32 v36, vcc_lo, v38, v36
	v_add_co_ci_u32_e32 v36, vcc_lo, v40, v44, vcc_lo
	v_add_co_ci_u32_e32 v38, vcc_lo, 0, v46, vcc_lo
	v_ashrrev_i32_e32 v44, 31, v32
	s_delay_alu instid0(VALU_DEP_3) | instskip(NEXT) | instid1(VALU_DEP_3)
	v_add_co_u32 v34, vcc_lo, v36, v34
	v_add_co_ci_u32_e32 v36, vcc_lo, 0, v38, vcc_lo
	s_delay_alu instid0(VALU_DEP_2) | instskip(NEXT) | instid1(VALU_DEP_2)
	v_add_co_u32 v29, vcc_lo, v29, v34
	v_add_co_ci_u32_e32 v30, vcc_lo, v30, v36, vcc_lo
	s_delay_alu instid0(VALU_DEP_2) | instskip(SKIP_1) | instid1(VALU_DEP_3)
	v_mul_hi_u32 v34, s14, v29
	v_mul_lo_u32 v38, s17, v29
	v_mul_lo_u32 v36, s14, v30
	s_delay_alu instid0(VALU_DEP_1) | instskip(SKIP_1) | instid1(VALU_DEP_2)
	v_add_nc_u32_e32 v34, v34, v36
	v_mul_lo_u32 v36, s14, v29
	v_add_nc_u32_e32 v34, v34, v38
	s_delay_alu instid0(VALU_DEP_2) | instskip(NEXT) | instid1(VALU_DEP_2)
	v_mul_hi_u32 v38, v29, v36
	v_mul_lo_u32 v40, v29, v34
	v_mul_hi_u32 v42, v29, v34
	v_mul_hi_u32 v46, v30, v36
	v_mul_lo_u32 v36, v30, v36
	v_mul_hi_u32 v48, v30, v34
	v_mul_lo_u32 v34, v30, v34
	v_add_co_u32 v38, vcc_lo, v38, v40
	v_add_co_ci_u32_e32 v40, vcc_lo, 0, v42, vcc_lo
	s_delay_alu instid0(VALU_DEP_2) | instskip(NEXT) | instid1(VALU_DEP_2)
	v_add_co_u32 v36, vcc_lo, v38, v36
	v_add_co_ci_u32_e32 v36, vcc_lo, v40, v46, vcc_lo
	v_add_co_ci_u32_e32 v38, vcc_lo, 0, v48, vcc_lo
	v_add_co_u32 v40, vcc_lo, v31, v44
	v_add_co_ci_u32_e32 v42, vcc_lo, v32, v44, vcc_lo
	s_delay_alu instid0(VALU_DEP_4) | instskip(NEXT) | instid1(VALU_DEP_4)
	v_add_co_u32 v34, vcc_lo, v36, v34
	v_add_co_ci_u32_e32 v36, vcc_lo, 0, v38, vcc_lo
	s_delay_alu instid0(VALU_DEP_4) | instskip(NEXT) | instid1(VALU_DEP_3)
	v_xor_b32_e32 v38, v40, v44
	v_add_co_u32 v34, vcc_lo, v29, v34
	s_delay_alu instid0(VALU_DEP_3) | instskip(SKIP_1) | instid1(VALU_DEP_3)
	v_add_co_ci_u32_e32 v36, vcc_lo, v30, v36, vcc_lo
	v_xor_b32_e32 v40, v42, v44
	v_mul_hi_u32 v42, v38, v34
	s_delay_alu instid0(VALU_DEP_3) | instskip(NEXT) | instid1(VALU_DEP_3)
	v_mad_u64_u32 v[29:30], null, v38, v36, 0
	v_mad_u64_u32 v[64:65], null, v40, v34, 0
	;; [unrolled: 1-line block ×3, first 2 shown]
	s_delay_alu instid0(VALU_DEP_3) | instskip(NEXT) | instid1(VALU_DEP_4)
	v_add_co_u32 v29, vcc_lo, v42, v29
	v_add_co_ci_u32_e32 v30, vcc_lo, 0, v30, vcc_lo
	s_delay_alu instid0(VALU_DEP_2) | instskip(NEXT) | instid1(VALU_DEP_2)
	v_add_co_u32 v29, vcc_lo, v29, v64
	v_add_co_ci_u32_e32 v29, vcc_lo, v30, v65, vcc_lo
	v_add_co_ci_u32_e32 v30, vcc_lo, 0, v67, vcc_lo
	s_delay_alu instid0(VALU_DEP_2) | instskip(NEXT) | instid1(VALU_DEP_2)
	v_add_co_u32 v34, vcc_lo, v29, v66
	v_add_co_ci_u32_e32 v36, vcc_lo, 0, v30, vcc_lo
	s_delay_alu instid0(VALU_DEP_2) | instskip(SKIP_1) | instid1(VALU_DEP_3)
	v_mul_lo_u32 v42, s21, v34
	v_mad_u64_u32 v[29:30], null, s20, v34, 0
	v_mul_lo_u32 v46, s20, v36
	s_delay_alu instid0(VALU_DEP_2) | instskip(NEXT) | instid1(VALU_DEP_2)
	v_sub_co_u32 v29, vcc_lo, v38, v29
	v_add3_u32 v30, v30, v46, v42
	s_delay_alu instid0(VALU_DEP_1) | instskip(NEXT) | instid1(VALU_DEP_1)
	v_sub_nc_u32_e32 v42, v40, v30
	v_subrev_co_ci_u32_e64 v38, s14, s21, v42, vcc_lo
	v_add_co_u32 v42, s14, v34, 2
	s_delay_alu instid0(VALU_DEP_1) | instskip(SKIP_3) | instid1(VALU_DEP_3)
	v_add_co_ci_u32_e64 v46, s14, 0, v36, s14
	v_sub_co_u32 v48, s14, v29, s20
	v_sub_co_ci_u32_e32 v30, vcc_lo, v40, v30, vcc_lo
	v_subrev_co_ci_u32_e64 v38, s14, 0, v38, s14
	v_cmp_le_u32_e32 vcc_lo, s20, v48
	s_delay_alu instid0(VALU_DEP_3) | instskip(SKIP_1) | instid1(VALU_DEP_4)
	v_cmp_eq_u32_e64 s14, s21, v30
	v_cndmask_b32_e64 v40, 0, -1, vcc_lo
	v_cmp_le_u32_e32 vcc_lo, s21, v38
	v_cndmask_b32_e64 v48, 0, -1, vcc_lo
	v_cmp_le_u32_e32 vcc_lo, s20, v29
	;; [unrolled: 2-line block ×3, first 2 shown]
	v_cndmask_b32_e64 v50, 0, -1, vcc_lo
	v_cmp_eq_u32_e32 vcc_lo, s21, v38
	s_delay_alu instid0(VALU_DEP_2) | instskip(SKIP_3) | instid1(VALU_DEP_3)
	v_cndmask_b32_e64 v29, v50, v29, s14
	v_cndmask_b32_e32 v38, v48, v40, vcc_lo
	v_add_co_u32 v40, vcc_lo, v34, 1
	v_add_co_ci_u32_e32 v48, vcc_lo, 0, v36, vcc_lo
	v_cmp_ne_u32_e32 vcc_lo, 0, v38
	s_delay_alu instid0(VALU_DEP_2) | instskip(NEXT) | instid1(VALU_DEP_4)
	v_cndmask_b32_e32 v30, v48, v46, vcc_lo
	v_cndmask_b32_e32 v38, v40, v42, vcc_lo
	v_cmp_ne_u32_e32 vcc_lo, 0, v29
	v_xor_b32_e32 v40, s16, v44
	s_delay_alu instid0(VALU_DEP_4) | instskip(NEXT) | instid1(VALU_DEP_4)
	v_cndmask_b32_e32 v29, v36, v30, vcc_lo
	v_cndmask_b32_e32 v30, v34, v38, vcc_lo
	s_delay_alu instid0(VALU_DEP_2) | instskip(NEXT) | instid1(VALU_DEP_2)
	v_xor_b32_e32 v34, v29, v40
	v_xor_b32_e32 v30, v30, v40
	s_delay_alu instid0(VALU_DEP_1) | instskip(NEXT) | instid1(VALU_DEP_3)
	v_sub_co_u32 v29, vcc_lo, v30, v40
	v_sub_co_ci_u32_e32 v30, vcc_lo, v34, v40, vcc_lo
.LBB1139_230:
	s_and_not1_saveexec_b32 s14, s23
	s_cbranch_execz .LBB1139_232
; %bb.231:
	v_cvt_f32_u32_e32 v29, s44
	s_sub_i32 s16, 0, s44
	s_delay_alu instid0(VALU_DEP_1) | instskip(SKIP_2) | instid1(VALU_DEP_1)
	v_rcp_iflag_f32_e32 v29, v29
	s_waitcnt_depctr 0xfff
	v_mul_f32_e32 v29, 0x4f7ffffe, v29
	v_cvt_u32_f32_e32 v29, v29
	s_delay_alu instid0(VALU_DEP_1) | instskip(NEXT) | instid1(VALU_DEP_1)
	v_mul_lo_u32 v30, s16, v29
	v_mul_hi_u32 v30, v29, v30
	s_delay_alu instid0(VALU_DEP_1) | instskip(NEXT) | instid1(VALU_DEP_1)
	v_add_nc_u32_e32 v29, v29, v30
	v_mul_hi_u32 v29, v31, v29
	s_delay_alu instid0(VALU_DEP_1) | instskip(SKIP_1) | instid1(VALU_DEP_2)
	v_mul_lo_u32 v30, v29, s44
	v_add_nc_u32_e32 v34, 1, v29
	v_sub_nc_u32_e32 v30, v31, v30
	s_delay_alu instid0(VALU_DEP_1) | instskip(SKIP_1) | instid1(VALU_DEP_2)
	v_subrev_nc_u32_e32 v36, s44, v30
	v_cmp_le_u32_e32 vcc_lo, s44, v30
	v_dual_cndmask_b32 v30, v30, v36 :: v_dual_cndmask_b32 v29, v29, v34
	s_delay_alu instid0(VALU_DEP_1) | instskip(SKIP_1) | instid1(VALU_DEP_3)
	v_cmp_le_u32_e32 vcc_lo, s44, v30
	v_mov_b32_e32 v30, 0
	v_add_nc_u32_e32 v34, 1, v29
	s_delay_alu instid0(VALU_DEP_1)
	v_cndmask_b32_e32 v29, v29, v34, vcc_lo
.LBB1139_232:
	s_or_b32 exec_lo, exec_lo, s14
	s_delay_alu instid0(VALU_DEP_1) | instskip(NEXT) | instid1(VALU_DEP_2)
	v_mul_lo_u32 v34, v30, s44
	v_mul_lo_u32 v36, v29, s45
	v_mad_u64_u32 v[64:65], null, v29, s44, 0
	s_delay_alu instid0(VALU_DEP_1) | instskip(NEXT) | instid1(VALU_DEP_2)
	v_add3_u32 v34, v65, v36, v34
	v_sub_co_u32 v31, vcc_lo, v31, v64
	s_delay_alu instid0(VALU_DEP_2) | instskip(NEXT) | instid1(VALU_DEP_2)
	v_sub_co_ci_u32_e32 v32, vcc_lo, v32, v34, vcc_lo
	v_add_co_u32 v29, vcc_lo, v29, v31
	s_delay_alu instid0(VALU_DEP_2)
	v_add_co_ci_u32_e32 v30, vcc_lo, v30, v32, vcc_lo
	s_or_b32 exec_lo, exec_lo, s22
                                        ; implicit-def: $vgpr31_vgpr32
	s_and_saveexec_b32 s14, s13
	s_cbranch_execz .LBB1139_215
.LBB1139_233:
	v_add_co_u32 v33, s13, s30, v33
	s_delay_alu instid0(VALU_DEP_1) | instskip(SKIP_1) | instid1(VALU_DEP_2)
	v_add_co_ci_u32_e64 v34, null, s31, 0, s13
	v_mov_b32_e32 v31, 0
	v_or_b32_e32 v32, s45, v34
	s_delay_alu instid0(VALU_DEP_1) | instskip(SKIP_1) | instid1(SALU_CYCLE_1)
	v_cmp_ne_u64_e32 vcc_lo, 0, v[31:32]
                                        ; implicit-def: $vgpr31_vgpr32
	s_and_saveexec_b32 s13, vcc_lo
	s_xor_b32 s22, exec_lo, s13
	s_cbranch_execz .LBB1139_235
; %bb.234:
	s_ashr_i32 s16, s45, 31
	s_delay_alu instid0(SALU_CYCLE_1) | instskip(SKIP_2) | instid1(SALU_CYCLE_1)
	s_add_u32 s20, s44, s16
	s_mov_b32 s17, s16
	s_addc_u32 s21, s45, s16
	s_xor_b64 s[20:21], s[20:21], s[16:17]
	s_delay_alu instid0(SALU_CYCLE_1) | instskip(SKIP_3) | instid1(VALU_DEP_1)
	v_cvt_f32_u32_e32 v31, s20
	v_cvt_f32_u32_e32 v32, s21
	s_sub_u32 s13, 0, s20
	s_subb_u32 s17, 0, s21
	v_fmamk_f32 v31, v32, 0x4f800000, v31
	s_delay_alu instid0(VALU_DEP_1) | instskip(SKIP_2) | instid1(VALU_DEP_1)
	v_rcp_f32_e32 v31, v31
	s_waitcnt_depctr 0xfff
	v_mul_f32_e32 v31, 0x5f7ffffc, v31
	v_mul_f32_e32 v32, 0x2f800000, v31
	s_delay_alu instid0(VALU_DEP_1) | instskip(NEXT) | instid1(VALU_DEP_1)
	v_trunc_f32_e32 v32, v32
	v_fmamk_f32 v31, v32, 0xcf800000, v31
	v_cvt_u32_f32_e32 v32, v32
	s_delay_alu instid0(VALU_DEP_2) | instskip(NEXT) | instid1(VALU_DEP_2)
	v_cvt_u32_f32_e32 v31, v31
	v_mul_lo_u32 v36, s13, v32
	s_delay_alu instid0(VALU_DEP_2) | instskip(SKIP_1) | instid1(VALU_DEP_2)
	v_mul_hi_u32 v38, s13, v31
	v_mul_lo_u32 v40, s17, v31
	v_add_nc_u32_e32 v36, v38, v36
	v_mul_lo_u32 v38, s13, v31
	s_delay_alu instid0(VALU_DEP_2) | instskip(NEXT) | instid1(VALU_DEP_2)
	v_add_nc_u32_e32 v36, v36, v40
	v_mul_hi_u32 v40, v31, v38
	s_delay_alu instid0(VALU_DEP_2)
	v_mul_lo_u32 v42, v31, v36
	v_mul_hi_u32 v44, v31, v36
	v_mul_hi_u32 v46, v32, v38
	v_mul_lo_u32 v38, v32, v38
	v_mul_hi_u32 v48, v32, v36
	v_mul_lo_u32 v36, v32, v36
	v_add_co_u32 v40, vcc_lo, v40, v42
	v_add_co_ci_u32_e32 v42, vcc_lo, 0, v44, vcc_lo
	s_delay_alu instid0(VALU_DEP_2) | instskip(NEXT) | instid1(VALU_DEP_2)
	v_add_co_u32 v38, vcc_lo, v40, v38
	v_add_co_ci_u32_e32 v38, vcc_lo, v42, v46, vcc_lo
	v_add_co_ci_u32_e32 v40, vcc_lo, 0, v48, vcc_lo
	v_ashrrev_i32_e32 v46, 31, v34
	s_delay_alu instid0(VALU_DEP_3) | instskip(NEXT) | instid1(VALU_DEP_3)
	v_add_co_u32 v36, vcc_lo, v38, v36
	v_add_co_ci_u32_e32 v38, vcc_lo, 0, v40, vcc_lo
	s_delay_alu instid0(VALU_DEP_2) | instskip(NEXT) | instid1(VALU_DEP_2)
	v_add_co_u32 v31, vcc_lo, v31, v36
	v_add_co_ci_u32_e32 v32, vcc_lo, v32, v38, vcc_lo
	s_delay_alu instid0(VALU_DEP_2) | instskip(SKIP_1) | instid1(VALU_DEP_3)
	v_mul_hi_u32 v36, s13, v31
	v_mul_lo_u32 v40, s17, v31
	v_mul_lo_u32 v38, s13, v32
	s_delay_alu instid0(VALU_DEP_1) | instskip(SKIP_1) | instid1(VALU_DEP_2)
	v_add_nc_u32_e32 v36, v36, v38
	v_mul_lo_u32 v38, s13, v31
	v_add_nc_u32_e32 v36, v36, v40
	s_delay_alu instid0(VALU_DEP_2) | instskip(NEXT) | instid1(VALU_DEP_2)
	v_mul_hi_u32 v40, v31, v38
	v_mul_lo_u32 v42, v31, v36
	v_mul_hi_u32 v44, v31, v36
	v_mul_hi_u32 v48, v32, v38
	v_mul_lo_u32 v38, v32, v38
	v_mul_hi_u32 v50, v32, v36
	v_mul_lo_u32 v36, v32, v36
	v_add_co_u32 v40, vcc_lo, v40, v42
	v_add_co_ci_u32_e32 v42, vcc_lo, 0, v44, vcc_lo
	s_delay_alu instid0(VALU_DEP_2) | instskip(NEXT) | instid1(VALU_DEP_2)
	v_add_co_u32 v38, vcc_lo, v40, v38
	v_add_co_ci_u32_e32 v38, vcc_lo, v42, v48, vcc_lo
	v_add_co_ci_u32_e32 v40, vcc_lo, 0, v50, vcc_lo
	v_add_co_u32 v42, vcc_lo, v33, v46
	v_add_co_ci_u32_e32 v44, vcc_lo, v34, v46, vcc_lo
	s_delay_alu instid0(VALU_DEP_4) | instskip(NEXT) | instid1(VALU_DEP_4)
	v_add_co_u32 v36, vcc_lo, v38, v36
	v_add_co_ci_u32_e32 v38, vcc_lo, 0, v40, vcc_lo
	s_delay_alu instid0(VALU_DEP_4) | instskip(NEXT) | instid1(VALU_DEP_3)
	v_xor_b32_e32 v40, v42, v46
	v_add_co_u32 v36, vcc_lo, v31, v36
	s_delay_alu instid0(VALU_DEP_3) | instskip(SKIP_1) | instid1(VALU_DEP_3)
	v_add_co_ci_u32_e32 v38, vcc_lo, v32, v38, vcc_lo
	v_xor_b32_e32 v42, v44, v46
	v_mul_hi_u32 v44, v40, v36
	s_delay_alu instid0(VALU_DEP_3) | instskip(NEXT) | instid1(VALU_DEP_3)
	v_mad_u64_u32 v[31:32], null, v40, v38, 0
	v_mad_u64_u32 v[64:65], null, v42, v36, 0
	;; [unrolled: 1-line block ×3, first 2 shown]
	s_delay_alu instid0(VALU_DEP_3) | instskip(NEXT) | instid1(VALU_DEP_4)
	v_add_co_u32 v31, vcc_lo, v44, v31
	v_add_co_ci_u32_e32 v32, vcc_lo, 0, v32, vcc_lo
	s_delay_alu instid0(VALU_DEP_2) | instskip(NEXT) | instid1(VALU_DEP_2)
	v_add_co_u32 v31, vcc_lo, v31, v64
	v_add_co_ci_u32_e32 v31, vcc_lo, v32, v65, vcc_lo
	v_add_co_ci_u32_e32 v32, vcc_lo, 0, v67, vcc_lo
	s_delay_alu instid0(VALU_DEP_2) | instskip(NEXT) | instid1(VALU_DEP_2)
	v_add_co_u32 v36, vcc_lo, v31, v66
	v_add_co_ci_u32_e32 v38, vcc_lo, 0, v32, vcc_lo
	s_delay_alu instid0(VALU_DEP_2) | instskip(SKIP_1) | instid1(VALU_DEP_3)
	v_mul_lo_u32 v44, s21, v36
	v_mad_u64_u32 v[31:32], null, s20, v36, 0
	v_mul_lo_u32 v48, s20, v38
	s_delay_alu instid0(VALU_DEP_2) | instskip(NEXT) | instid1(VALU_DEP_2)
	v_sub_co_u32 v31, vcc_lo, v40, v31
	v_add3_u32 v32, v32, v48, v44
	s_delay_alu instid0(VALU_DEP_1) | instskip(NEXT) | instid1(VALU_DEP_1)
	v_sub_nc_u32_e32 v44, v42, v32
	v_subrev_co_ci_u32_e64 v40, s13, s21, v44, vcc_lo
	v_add_co_u32 v44, s13, v36, 2
	s_delay_alu instid0(VALU_DEP_1) | instskip(SKIP_3) | instid1(VALU_DEP_3)
	v_add_co_ci_u32_e64 v48, s13, 0, v38, s13
	v_sub_co_u32 v50, s13, v31, s20
	v_sub_co_ci_u32_e32 v32, vcc_lo, v42, v32, vcc_lo
	v_subrev_co_ci_u32_e64 v40, s13, 0, v40, s13
	v_cmp_le_u32_e32 vcc_lo, s20, v50
	s_delay_alu instid0(VALU_DEP_3) | instskip(SKIP_1) | instid1(VALU_DEP_4)
	v_cmp_eq_u32_e64 s13, s21, v32
	v_cndmask_b32_e64 v42, 0, -1, vcc_lo
	v_cmp_le_u32_e32 vcc_lo, s21, v40
	v_cndmask_b32_e64 v50, 0, -1, vcc_lo
	v_cmp_le_u32_e32 vcc_lo, s20, v31
	;; [unrolled: 2-line block ×3, first 2 shown]
	v_cndmask_b32_e64 v52, 0, -1, vcc_lo
	v_cmp_eq_u32_e32 vcc_lo, s21, v40
	s_delay_alu instid0(VALU_DEP_2) | instskip(SKIP_3) | instid1(VALU_DEP_3)
	v_cndmask_b32_e64 v31, v52, v31, s13
	v_cndmask_b32_e32 v40, v50, v42, vcc_lo
	v_add_co_u32 v42, vcc_lo, v36, 1
	v_add_co_ci_u32_e32 v50, vcc_lo, 0, v38, vcc_lo
	v_cmp_ne_u32_e32 vcc_lo, 0, v40
	s_delay_alu instid0(VALU_DEP_2) | instskip(NEXT) | instid1(VALU_DEP_4)
	v_cndmask_b32_e32 v32, v50, v48, vcc_lo
	v_cndmask_b32_e32 v40, v42, v44, vcc_lo
	v_cmp_ne_u32_e32 vcc_lo, 0, v31
	v_xor_b32_e32 v42, s16, v46
	s_delay_alu instid0(VALU_DEP_4) | instskip(NEXT) | instid1(VALU_DEP_4)
	v_cndmask_b32_e32 v31, v38, v32, vcc_lo
	v_cndmask_b32_e32 v32, v36, v40, vcc_lo
	s_delay_alu instid0(VALU_DEP_2) | instskip(NEXT) | instid1(VALU_DEP_2)
	v_xor_b32_e32 v36, v31, v42
	v_xor_b32_e32 v32, v32, v42
	s_delay_alu instid0(VALU_DEP_1) | instskip(NEXT) | instid1(VALU_DEP_3)
	v_sub_co_u32 v31, vcc_lo, v32, v42
	v_sub_co_ci_u32_e32 v32, vcc_lo, v36, v42, vcc_lo
.LBB1139_235:
	s_and_not1_saveexec_b32 s13, s22
	s_cbranch_execz .LBB1139_237
; %bb.236:
	v_cvt_f32_u32_e32 v31, s44
	s_sub_i32 s16, 0, s44
	s_delay_alu instid0(VALU_DEP_1) | instskip(SKIP_2) | instid1(VALU_DEP_1)
	v_rcp_iflag_f32_e32 v31, v31
	s_waitcnt_depctr 0xfff
	v_mul_f32_e32 v31, 0x4f7ffffe, v31
	v_cvt_u32_f32_e32 v31, v31
	s_delay_alu instid0(VALU_DEP_1) | instskip(NEXT) | instid1(VALU_DEP_1)
	v_mul_lo_u32 v32, s16, v31
	v_mul_hi_u32 v32, v31, v32
	s_delay_alu instid0(VALU_DEP_1) | instskip(NEXT) | instid1(VALU_DEP_1)
	v_add_nc_u32_e32 v31, v31, v32
	v_mul_hi_u32 v31, v33, v31
	s_delay_alu instid0(VALU_DEP_1) | instskip(SKIP_1) | instid1(VALU_DEP_2)
	v_mul_lo_u32 v32, v31, s44
	v_add_nc_u32_e32 v36, 1, v31
	v_sub_nc_u32_e32 v32, v33, v32
	s_delay_alu instid0(VALU_DEP_1) | instskip(SKIP_1) | instid1(VALU_DEP_2)
	v_subrev_nc_u32_e32 v38, s44, v32
	v_cmp_le_u32_e32 vcc_lo, s44, v32
	v_dual_cndmask_b32 v32, v32, v38 :: v_dual_cndmask_b32 v31, v31, v36
	s_delay_alu instid0(VALU_DEP_1) | instskip(SKIP_1) | instid1(VALU_DEP_3)
	v_cmp_le_u32_e32 vcc_lo, s44, v32
	v_mov_b32_e32 v32, 0
	v_add_nc_u32_e32 v36, 1, v31
	s_delay_alu instid0(VALU_DEP_1)
	v_cndmask_b32_e32 v31, v31, v36, vcc_lo
.LBB1139_237:
	s_or_b32 exec_lo, exec_lo, s13
	s_delay_alu instid0(VALU_DEP_1) | instskip(NEXT) | instid1(VALU_DEP_2)
	v_mul_lo_u32 v36, v32, s44
	v_mul_lo_u32 v38, v31, s45
	v_mad_u64_u32 v[64:65], null, v31, s44, 0
	s_delay_alu instid0(VALU_DEP_1) | instskip(NEXT) | instid1(VALU_DEP_2)
	v_add3_u32 v36, v65, v38, v36
	v_sub_co_u32 v33, vcc_lo, v33, v64
	s_delay_alu instid0(VALU_DEP_2) | instskip(NEXT) | instid1(VALU_DEP_2)
	v_sub_co_ci_u32_e32 v34, vcc_lo, v34, v36, vcc_lo
	v_add_co_u32 v31, vcc_lo, v31, v33
	s_delay_alu instid0(VALU_DEP_2)
	v_add_co_ci_u32_e32 v32, vcc_lo, v32, v34, vcc_lo
	s_or_b32 exec_lo, exec_lo, s14
                                        ; implicit-def: $vgpr33_vgpr34
	s_and_saveexec_b32 s13, s12
	s_cbranch_execz .LBB1139_216
.LBB1139_238:
	v_add_co_u32 v35, s12, s30, v35
	s_delay_alu instid0(VALU_DEP_1) | instskip(SKIP_1) | instid1(VALU_DEP_2)
	v_add_co_ci_u32_e64 v36, null, s31, 0, s12
	v_mov_b32_e32 v33, 0
	v_or_b32_e32 v34, s45, v36
	s_delay_alu instid0(VALU_DEP_1) | instskip(SKIP_1) | instid1(SALU_CYCLE_1)
	v_cmp_ne_u64_e32 vcc_lo, 0, v[33:34]
                                        ; implicit-def: $vgpr33_vgpr34
	s_and_saveexec_b32 s12, vcc_lo
	s_xor_b32 s14, exec_lo, s12
	s_cbranch_execz .LBB1139_240
; %bb.239:
	s_ashr_i32 s16, s45, 31
	s_delay_alu instid0(SALU_CYCLE_1) | instskip(SKIP_2) | instid1(SALU_CYCLE_1)
	s_add_u32 s20, s44, s16
	s_mov_b32 s17, s16
	s_addc_u32 s21, s45, s16
	s_xor_b64 s[20:21], s[20:21], s[16:17]
	s_delay_alu instid0(SALU_CYCLE_1) | instskip(SKIP_3) | instid1(VALU_DEP_1)
	v_cvt_f32_u32_e32 v33, s20
	v_cvt_f32_u32_e32 v34, s21
	s_sub_u32 s12, 0, s20
	s_subb_u32 s17, 0, s21
	v_fmamk_f32 v33, v34, 0x4f800000, v33
	s_delay_alu instid0(VALU_DEP_1) | instskip(SKIP_2) | instid1(VALU_DEP_1)
	v_rcp_f32_e32 v33, v33
	s_waitcnt_depctr 0xfff
	v_mul_f32_e32 v33, 0x5f7ffffc, v33
	v_mul_f32_e32 v34, 0x2f800000, v33
	s_delay_alu instid0(VALU_DEP_1) | instskip(NEXT) | instid1(VALU_DEP_1)
	v_trunc_f32_e32 v34, v34
	v_fmamk_f32 v33, v34, 0xcf800000, v33
	v_cvt_u32_f32_e32 v34, v34
	s_delay_alu instid0(VALU_DEP_2) | instskip(NEXT) | instid1(VALU_DEP_2)
	v_cvt_u32_f32_e32 v33, v33
	v_mul_lo_u32 v38, s12, v34
	s_delay_alu instid0(VALU_DEP_2) | instskip(SKIP_1) | instid1(VALU_DEP_2)
	v_mul_hi_u32 v40, s12, v33
	v_mul_lo_u32 v42, s17, v33
	v_add_nc_u32_e32 v38, v40, v38
	v_mul_lo_u32 v40, s12, v33
	s_delay_alu instid0(VALU_DEP_2) | instskip(NEXT) | instid1(VALU_DEP_2)
	v_add_nc_u32_e32 v38, v38, v42
	v_mul_hi_u32 v42, v33, v40
	s_delay_alu instid0(VALU_DEP_2)
	v_mul_lo_u32 v44, v33, v38
	v_mul_hi_u32 v46, v33, v38
	v_mul_hi_u32 v48, v34, v40
	v_mul_lo_u32 v40, v34, v40
	v_mul_hi_u32 v50, v34, v38
	v_mul_lo_u32 v38, v34, v38
	v_add_co_u32 v42, vcc_lo, v42, v44
	v_add_co_ci_u32_e32 v44, vcc_lo, 0, v46, vcc_lo
	s_delay_alu instid0(VALU_DEP_2) | instskip(NEXT) | instid1(VALU_DEP_2)
	v_add_co_u32 v40, vcc_lo, v42, v40
	v_add_co_ci_u32_e32 v40, vcc_lo, v44, v48, vcc_lo
	v_add_co_ci_u32_e32 v42, vcc_lo, 0, v50, vcc_lo
	v_ashrrev_i32_e32 v48, 31, v36
	s_delay_alu instid0(VALU_DEP_3) | instskip(NEXT) | instid1(VALU_DEP_3)
	v_add_co_u32 v38, vcc_lo, v40, v38
	v_add_co_ci_u32_e32 v40, vcc_lo, 0, v42, vcc_lo
	s_delay_alu instid0(VALU_DEP_2) | instskip(NEXT) | instid1(VALU_DEP_2)
	v_add_co_u32 v33, vcc_lo, v33, v38
	v_add_co_ci_u32_e32 v34, vcc_lo, v34, v40, vcc_lo
	s_delay_alu instid0(VALU_DEP_2) | instskip(SKIP_1) | instid1(VALU_DEP_3)
	v_mul_hi_u32 v38, s12, v33
	v_mul_lo_u32 v42, s17, v33
	v_mul_lo_u32 v40, s12, v34
	s_delay_alu instid0(VALU_DEP_1) | instskip(SKIP_1) | instid1(VALU_DEP_2)
	v_add_nc_u32_e32 v38, v38, v40
	v_mul_lo_u32 v40, s12, v33
	v_add_nc_u32_e32 v38, v38, v42
	s_delay_alu instid0(VALU_DEP_2) | instskip(NEXT) | instid1(VALU_DEP_2)
	v_mul_hi_u32 v42, v33, v40
	v_mul_lo_u32 v44, v33, v38
	v_mul_hi_u32 v46, v33, v38
	v_mul_hi_u32 v50, v34, v40
	v_mul_lo_u32 v40, v34, v40
	v_mul_hi_u32 v52, v34, v38
	v_mul_lo_u32 v38, v34, v38
	v_add_co_u32 v42, vcc_lo, v42, v44
	v_add_co_ci_u32_e32 v44, vcc_lo, 0, v46, vcc_lo
	s_delay_alu instid0(VALU_DEP_2) | instskip(NEXT) | instid1(VALU_DEP_2)
	v_add_co_u32 v40, vcc_lo, v42, v40
	v_add_co_ci_u32_e32 v40, vcc_lo, v44, v50, vcc_lo
	v_add_co_ci_u32_e32 v42, vcc_lo, 0, v52, vcc_lo
	v_add_co_u32 v44, vcc_lo, v35, v48
	v_add_co_ci_u32_e32 v46, vcc_lo, v36, v48, vcc_lo
	s_delay_alu instid0(VALU_DEP_4) | instskip(NEXT) | instid1(VALU_DEP_4)
	v_add_co_u32 v38, vcc_lo, v40, v38
	v_add_co_ci_u32_e32 v40, vcc_lo, 0, v42, vcc_lo
	s_delay_alu instid0(VALU_DEP_4) | instskip(NEXT) | instid1(VALU_DEP_3)
	v_xor_b32_e32 v42, v44, v48
	v_add_co_u32 v38, vcc_lo, v33, v38
	s_delay_alu instid0(VALU_DEP_3) | instskip(SKIP_1) | instid1(VALU_DEP_3)
	v_add_co_ci_u32_e32 v40, vcc_lo, v34, v40, vcc_lo
	v_xor_b32_e32 v44, v46, v48
	v_mul_hi_u32 v46, v42, v38
	s_delay_alu instid0(VALU_DEP_3) | instskip(NEXT) | instid1(VALU_DEP_3)
	v_mad_u64_u32 v[33:34], null, v42, v40, 0
	v_mad_u64_u32 v[64:65], null, v44, v38, 0
	;; [unrolled: 1-line block ×3, first 2 shown]
	s_delay_alu instid0(VALU_DEP_3) | instskip(NEXT) | instid1(VALU_DEP_4)
	v_add_co_u32 v33, vcc_lo, v46, v33
	v_add_co_ci_u32_e32 v34, vcc_lo, 0, v34, vcc_lo
	s_delay_alu instid0(VALU_DEP_2) | instskip(NEXT) | instid1(VALU_DEP_2)
	v_add_co_u32 v33, vcc_lo, v33, v64
	v_add_co_ci_u32_e32 v33, vcc_lo, v34, v65, vcc_lo
	v_add_co_ci_u32_e32 v34, vcc_lo, 0, v67, vcc_lo
	s_delay_alu instid0(VALU_DEP_2) | instskip(NEXT) | instid1(VALU_DEP_2)
	v_add_co_u32 v38, vcc_lo, v33, v66
	v_add_co_ci_u32_e32 v40, vcc_lo, 0, v34, vcc_lo
	s_delay_alu instid0(VALU_DEP_2) | instskip(SKIP_1) | instid1(VALU_DEP_3)
	v_mul_lo_u32 v46, s21, v38
	v_mad_u64_u32 v[33:34], null, s20, v38, 0
	v_mul_lo_u32 v50, s20, v40
	s_delay_alu instid0(VALU_DEP_2) | instskip(NEXT) | instid1(VALU_DEP_2)
	v_sub_co_u32 v33, vcc_lo, v42, v33
	v_add3_u32 v34, v34, v50, v46
	s_delay_alu instid0(VALU_DEP_1) | instskip(NEXT) | instid1(VALU_DEP_1)
	v_sub_nc_u32_e32 v46, v44, v34
	v_subrev_co_ci_u32_e64 v42, s12, s21, v46, vcc_lo
	v_add_co_u32 v46, s12, v38, 2
	s_delay_alu instid0(VALU_DEP_1) | instskip(SKIP_3) | instid1(VALU_DEP_3)
	v_add_co_ci_u32_e64 v50, s12, 0, v40, s12
	v_sub_co_u32 v52, s12, v33, s20
	v_sub_co_ci_u32_e32 v34, vcc_lo, v44, v34, vcc_lo
	v_subrev_co_ci_u32_e64 v42, s12, 0, v42, s12
	v_cmp_le_u32_e32 vcc_lo, s20, v52
	s_delay_alu instid0(VALU_DEP_3) | instskip(SKIP_1) | instid1(VALU_DEP_4)
	v_cmp_eq_u32_e64 s12, s21, v34
	v_cndmask_b32_e64 v44, 0, -1, vcc_lo
	v_cmp_le_u32_e32 vcc_lo, s21, v42
	v_cndmask_b32_e64 v52, 0, -1, vcc_lo
	v_cmp_le_u32_e32 vcc_lo, s20, v33
	;; [unrolled: 2-line block ×3, first 2 shown]
	v_cndmask_b32_e64 v54, 0, -1, vcc_lo
	v_cmp_eq_u32_e32 vcc_lo, s21, v42
	s_delay_alu instid0(VALU_DEP_2) | instskip(SKIP_3) | instid1(VALU_DEP_3)
	v_cndmask_b32_e64 v33, v54, v33, s12
	v_cndmask_b32_e32 v42, v52, v44, vcc_lo
	v_add_co_u32 v44, vcc_lo, v38, 1
	v_add_co_ci_u32_e32 v52, vcc_lo, 0, v40, vcc_lo
	v_cmp_ne_u32_e32 vcc_lo, 0, v42
	s_delay_alu instid0(VALU_DEP_2) | instskip(NEXT) | instid1(VALU_DEP_4)
	v_cndmask_b32_e32 v34, v52, v50, vcc_lo
	v_cndmask_b32_e32 v42, v44, v46, vcc_lo
	v_cmp_ne_u32_e32 vcc_lo, 0, v33
	v_xor_b32_e32 v44, s16, v48
	s_delay_alu instid0(VALU_DEP_4) | instskip(NEXT) | instid1(VALU_DEP_4)
	v_cndmask_b32_e32 v33, v40, v34, vcc_lo
	v_cndmask_b32_e32 v34, v38, v42, vcc_lo
	s_delay_alu instid0(VALU_DEP_2) | instskip(NEXT) | instid1(VALU_DEP_2)
	v_xor_b32_e32 v38, v33, v44
	v_xor_b32_e32 v34, v34, v44
	s_delay_alu instid0(VALU_DEP_1) | instskip(NEXT) | instid1(VALU_DEP_3)
	v_sub_co_u32 v33, vcc_lo, v34, v44
	v_sub_co_ci_u32_e32 v34, vcc_lo, v38, v44, vcc_lo
.LBB1139_240:
	s_and_not1_saveexec_b32 s12, s14
	s_cbranch_execz .LBB1139_242
; %bb.241:
	v_cvt_f32_u32_e32 v33, s44
	s_sub_i32 s14, 0, s44
	s_delay_alu instid0(VALU_DEP_1) | instskip(SKIP_2) | instid1(VALU_DEP_1)
	v_rcp_iflag_f32_e32 v33, v33
	s_waitcnt_depctr 0xfff
	v_mul_f32_e32 v33, 0x4f7ffffe, v33
	v_cvt_u32_f32_e32 v33, v33
	s_delay_alu instid0(VALU_DEP_1) | instskip(NEXT) | instid1(VALU_DEP_1)
	v_mul_lo_u32 v34, s14, v33
	v_mul_hi_u32 v34, v33, v34
	s_delay_alu instid0(VALU_DEP_1) | instskip(NEXT) | instid1(VALU_DEP_1)
	v_add_nc_u32_e32 v33, v33, v34
	v_mul_hi_u32 v33, v35, v33
	s_delay_alu instid0(VALU_DEP_1) | instskip(SKIP_1) | instid1(VALU_DEP_2)
	v_mul_lo_u32 v34, v33, s44
	v_add_nc_u32_e32 v38, 1, v33
	v_sub_nc_u32_e32 v34, v35, v34
	s_delay_alu instid0(VALU_DEP_1) | instskip(SKIP_1) | instid1(VALU_DEP_2)
	v_subrev_nc_u32_e32 v40, s44, v34
	v_cmp_le_u32_e32 vcc_lo, s44, v34
	v_dual_cndmask_b32 v34, v34, v40 :: v_dual_cndmask_b32 v33, v33, v38
	s_delay_alu instid0(VALU_DEP_1) | instskip(SKIP_1) | instid1(VALU_DEP_3)
	v_cmp_le_u32_e32 vcc_lo, s44, v34
	v_mov_b32_e32 v34, 0
	v_add_nc_u32_e32 v38, 1, v33
	s_delay_alu instid0(VALU_DEP_1)
	v_cndmask_b32_e32 v33, v33, v38, vcc_lo
.LBB1139_242:
	s_or_b32 exec_lo, exec_lo, s12
	s_delay_alu instid0(VALU_DEP_1) | instskip(NEXT) | instid1(VALU_DEP_2)
	v_mul_lo_u32 v38, v34, s44
	v_mul_lo_u32 v40, v33, s45
	v_mad_u64_u32 v[64:65], null, v33, s44, 0
	s_delay_alu instid0(VALU_DEP_1) | instskip(NEXT) | instid1(VALU_DEP_2)
	v_add3_u32 v38, v65, v40, v38
	v_sub_co_u32 v35, vcc_lo, v35, v64
	s_delay_alu instid0(VALU_DEP_2) | instskip(NEXT) | instid1(VALU_DEP_2)
	v_sub_co_ci_u32_e32 v36, vcc_lo, v36, v38, vcc_lo
	v_add_co_u32 v33, vcc_lo, v33, v35
	s_delay_alu instid0(VALU_DEP_2)
	v_add_co_ci_u32_e32 v34, vcc_lo, v34, v36, vcc_lo
	s_or_b32 exec_lo, exec_lo, s13
                                        ; implicit-def: $vgpr35_vgpr36
	s_and_saveexec_b32 s14, s11
	s_cbranch_execz .LBB1139_217
.LBB1139_243:
	v_add_co_u32 v37, s11, s30, v37
	s_delay_alu instid0(VALU_DEP_1) | instskip(SKIP_1) | instid1(VALU_DEP_2)
	v_add_co_ci_u32_e64 v38, null, s31, 0, s11
	v_mov_b32_e32 v35, 0
	v_or_b32_e32 v36, s45, v38
	s_delay_alu instid0(VALU_DEP_1) | instskip(SKIP_1) | instid1(SALU_CYCLE_1)
	v_cmp_ne_u64_e32 vcc_lo, 0, v[35:36]
                                        ; implicit-def: $vgpr35_vgpr36
	s_and_saveexec_b32 s11, vcc_lo
	s_xor_b32 s20, exec_lo, s11
	s_cbranch_execz .LBB1139_245
; %bb.244:
	s_ashr_i32 s12, s45, 31
	s_delay_alu instid0(SALU_CYCLE_1) | instskip(SKIP_2) | instid1(SALU_CYCLE_1)
	s_add_u32 s16, s44, s12
	s_mov_b32 s13, s12
	s_addc_u32 s17, s45, s12
	s_xor_b64 s[16:17], s[16:17], s[12:13]
	s_delay_alu instid0(SALU_CYCLE_1) | instskip(SKIP_3) | instid1(VALU_DEP_1)
	v_cvt_f32_u32_e32 v35, s16
	v_cvt_f32_u32_e32 v36, s17
	s_sub_u32 s11, 0, s16
	s_subb_u32 s13, 0, s17
	v_fmamk_f32 v35, v36, 0x4f800000, v35
	s_delay_alu instid0(VALU_DEP_1) | instskip(SKIP_2) | instid1(VALU_DEP_1)
	v_rcp_f32_e32 v35, v35
	s_waitcnt_depctr 0xfff
	v_mul_f32_e32 v35, 0x5f7ffffc, v35
	v_mul_f32_e32 v36, 0x2f800000, v35
	s_delay_alu instid0(VALU_DEP_1) | instskip(NEXT) | instid1(VALU_DEP_1)
	v_trunc_f32_e32 v36, v36
	v_fmamk_f32 v35, v36, 0xcf800000, v35
	v_cvt_u32_f32_e32 v36, v36
	s_delay_alu instid0(VALU_DEP_2) | instskip(NEXT) | instid1(VALU_DEP_2)
	v_cvt_u32_f32_e32 v35, v35
	v_mul_lo_u32 v40, s11, v36
	s_delay_alu instid0(VALU_DEP_2) | instskip(SKIP_1) | instid1(VALU_DEP_2)
	v_mul_hi_u32 v42, s11, v35
	v_mul_lo_u32 v44, s13, v35
	v_add_nc_u32_e32 v40, v42, v40
	v_mul_lo_u32 v42, s11, v35
	s_delay_alu instid0(VALU_DEP_2) | instskip(NEXT) | instid1(VALU_DEP_2)
	v_add_nc_u32_e32 v40, v40, v44
	v_mul_hi_u32 v44, v35, v42
	s_delay_alu instid0(VALU_DEP_2)
	v_mul_lo_u32 v46, v35, v40
	v_mul_hi_u32 v48, v35, v40
	v_mul_hi_u32 v50, v36, v42
	v_mul_lo_u32 v42, v36, v42
	v_mul_hi_u32 v52, v36, v40
	v_mul_lo_u32 v40, v36, v40
	v_add_co_u32 v44, vcc_lo, v44, v46
	v_add_co_ci_u32_e32 v46, vcc_lo, 0, v48, vcc_lo
	s_delay_alu instid0(VALU_DEP_2) | instskip(NEXT) | instid1(VALU_DEP_2)
	v_add_co_u32 v42, vcc_lo, v44, v42
	v_add_co_ci_u32_e32 v42, vcc_lo, v46, v50, vcc_lo
	v_add_co_ci_u32_e32 v44, vcc_lo, 0, v52, vcc_lo
	v_ashrrev_i32_e32 v50, 31, v38
	s_delay_alu instid0(VALU_DEP_3) | instskip(NEXT) | instid1(VALU_DEP_3)
	v_add_co_u32 v40, vcc_lo, v42, v40
	v_add_co_ci_u32_e32 v42, vcc_lo, 0, v44, vcc_lo
	s_delay_alu instid0(VALU_DEP_2) | instskip(NEXT) | instid1(VALU_DEP_2)
	v_add_co_u32 v35, vcc_lo, v35, v40
	v_add_co_ci_u32_e32 v36, vcc_lo, v36, v42, vcc_lo
	s_delay_alu instid0(VALU_DEP_2) | instskip(SKIP_1) | instid1(VALU_DEP_3)
	v_mul_hi_u32 v40, s11, v35
	v_mul_lo_u32 v44, s13, v35
	v_mul_lo_u32 v42, s11, v36
	s_delay_alu instid0(VALU_DEP_1) | instskip(SKIP_1) | instid1(VALU_DEP_2)
	v_add_nc_u32_e32 v40, v40, v42
	v_mul_lo_u32 v42, s11, v35
	v_add_nc_u32_e32 v40, v40, v44
	s_delay_alu instid0(VALU_DEP_2) | instskip(NEXT) | instid1(VALU_DEP_2)
	v_mul_hi_u32 v44, v35, v42
	v_mul_lo_u32 v46, v35, v40
	v_mul_hi_u32 v48, v35, v40
	v_mul_hi_u32 v52, v36, v42
	v_mul_lo_u32 v42, v36, v42
	v_mul_hi_u32 v54, v36, v40
	v_mul_lo_u32 v40, v36, v40
	v_add_co_u32 v44, vcc_lo, v44, v46
	v_add_co_ci_u32_e32 v46, vcc_lo, 0, v48, vcc_lo
	s_delay_alu instid0(VALU_DEP_2) | instskip(NEXT) | instid1(VALU_DEP_2)
	v_add_co_u32 v42, vcc_lo, v44, v42
	v_add_co_ci_u32_e32 v42, vcc_lo, v46, v52, vcc_lo
	v_add_co_ci_u32_e32 v44, vcc_lo, 0, v54, vcc_lo
	v_add_co_u32 v46, vcc_lo, v37, v50
	v_add_co_ci_u32_e32 v48, vcc_lo, v38, v50, vcc_lo
	s_delay_alu instid0(VALU_DEP_4) | instskip(NEXT) | instid1(VALU_DEP_4)
	v_add_co_u32 v40, vcc_lo, v42, v40
	v_add_co_ci_u32_e32 v42, vcc_lo, 0, v44, vcc_lo
	s_delay_alu instid0(VALU_DEP_4) | instskip(NEXT) | instid1(VALU_DEP_3)
	v_xor_b32_e32 v44, v46, v50
	v_add_co_u32 v40, vcc_lo, v35, v40
	s_delay_alu instid0(VALU_DEP_3) | instskip(SKIP_1) | instid1(VALU_DEP_3)
	v_add_co_ci_u32_e32 v42, vcc_lo, v36, v42, vcc_lo
	v_xor_b32_e32 v46, v48, v50
	v_mul_hi_u32 v48, v44, v40
	s_delay_alu instid0(VALU_DEP_3) | instskip(NEXT) | instid1(VALU_DEP_3)
	v_mad_u64_u32 v[35:36], null, v44, v42, 0
	v_mad_u64_u32 v[64:65], null, v46, v40, 0
	;; [unrolled: 1-line block ×3, first 2 shown]
	s_delay_alu instid0(VALU_DEP_3) | instskip(NEXT) | instid1(VALU_DEP_4)
	v_add_co_u32 v35, vcc_lo, v48, v35
	v_add_co_ci_u32_e32 v36, vcc_lo, 0, v36, vcc_lo
	s_delay_alu instid0(VALU_DEP_2) | instskip(NEXT) | instid1(VALU_DEP_2)
	v_add_co_u32 v35, vcc_lo, v35, v64
	v_add_co_ci_u32_e32 v35, vcc_lo, v36, v65, vcc_lo
	v_add_co_ci_u32_e32 v36, vcc_lo, 0, v67, vcc_lo
	s_delay_alu instid0(VALU_DEP_2) | instskip(NEXT) | instid1(VALU_DEP_2)
	v_add_co_u32 v40, vcc_lo, v35, v66
	v_add_co_ci_u32_e32 v42, vcc_lo, 0, v36, vcc_lo
	s_delay_alu instid0(VALU_DEP_2) | instskip(SKIP_1) | instid1(VALU_DEP_3)
	v_mul_lo_u32 v48, s17, v40
	v_mad_u64_u32 v[35:36], null, s16, v40, 0
	v_mul_lo_u32 v52, s16, v42
	s_delay_alu instid0(VALU_DEP_2) | instskip(NEXT) | instid1(VALU_DEP_2)
	v_sub_co_u32 v35, vcc_lo, v44, v35
	v_add3_u32 v36, v36, v52, v48
	s_delay_alu instid0(VALU_DEP_1) | instskip(NEXT) | instid1(VALU_DEP_1)
	v_sub_nc_u32_e32 v48, v46, v36
	v_subrev_co_ci_u32_e64 v44, s11, s17, v48, vcc_lo
	v_add_co_u32 v48, s11, v40, 2
	s_delay_alu instid0(VALU_DEP_1) | instskip(SKIP_3) | instid1(VALU_DEP_3)
	v_add_co_ci_u32_e64 v52, s11, 0, v42, s11
	v_sub_co_u32 v54, s11, v35, s16
	v_sub_co_ci_u32_e32 v36, vcc_lo, v46, v36, vcc_lo
	v_subrev_co_ci_u32_e64 v44, s11, 0, v44, s11
	v_cmp_le_u32_e32 vcc_lo, s16, v54
	s_delay_alu instid0(VALU_DEP_3) | instskip(SKIP_1) | instid1(VALU_DEP_4)
	v_cmp_eq_u32_e64 s11, s17, v36
	v_cndmask_b32_e64 v46, 0, -1, vcc_lo
	v_cmp_le_u32_e32 vcc_lo, s17, v44
	v_cndmask_b32_e64 v54, 0, -1, vcc_lo
	v_cmp_le_u32_e32 vcc_lo, s16, v35
	;; [unrolled: 2-line block ×3, first 2 shown]
	v_cndmask_b32_e64 v56, 0, -1, vcc_lo
	v_cmp_eq_u32_e32 vcc_lo, s17, v44
	s_delay_alu instid0(VALU_DEP_2) | instskip(SKIP_3) | instid1(VALU_DEP_3)
	v_cndmask_b32_e64 v35, v56, v35, s11
	v_cndmask_b32_e32 v44, v54, v46, vcc_lo
	v_add_co_u32 v46, vcc_lo, v40, 1
	v_add_co_ci_u32_e32 v54, vcc_lo, 0, v42, vcc_lo
	v_cmp_ne_u32_e32 vcc_lo, 0, v44
	s_delay_alu instid0(VALU_DEP_2) | instskip(NEXT) | instid1(VALU_DEP_4)
	v_cndmask_b32_e32 v36, v54, v52, vcc_lo
	v_cndmask_b32_e32 v44, v46, v48, vcc_lo
	v_cmp_ne_u32_e32 vcc_lo, 0, v35
	v_xor_b32_e32 v46, s12, v50
	s_delay_alu instid0(VALU_DEP_4) | instskip(NEXT) | instid1(VALU_DEP_4)
	v_cndmask_b32_e32 v35, v42, v36, vcc_lo
	v_cndmask_b32_e32 v36, v40, v44, vcc_lo
	s_delay_alu instid0(VALU_DEP_2) | instskip(NEXT) | instid1(VALU_DEP_2)
	v_xor_b32_e32 v40, v35, v46
	v_xor_b32_e32 v36, v36, v46
	s_delay_alu instid0(VALU_DEP_1) | instskip(NEXT) | instid1(VALU_DEP_3)
	v_sub_co_u32 v35, vcc_lo, v36, v46
	v_sub_co_ci_u32_e32 v36, vcc_lo, v40, v46, vcc_lo
.LBB1139_245:
	s_and_not1_saveexec_b32 s11, s20
	s_cbranch_execz .LBB1139_247
; %bb.246:
	v_cvt_f32_u32_e32 v35, s44
	s_sub_i32 s12, 0, s44
	s_delay_alu instid0(VALU_DEP_1) | instskip(SKIP_2) | instid1(VALU_DEP_1)
	v_rcp_iflag_f32_e32 v35, v35
	s_waitcnt_depctr 0xfff
	v_mul_f32_e32 v35, 0x4f7ffffe, v35
	v_cvt_u32_f32_e32 v35, v35
	s_delay_alu instid0(VALU_DEP_1) | instskip(NEXT) | instid1(VALU_DEP_1)
	v_mul_lo_u32 v36, s12, v35
	v_mul_hi_u32 v36, v35, v36
	s_delay_alu instid0(VALU_DEP_1) | instskip(NEXT) | instid1(VALU_DEP_1)
	v_add_nc_u32_e32 v35, v35, v36
	v_mul_hi_u32 v35, v37, v35
	s_delay_alu instid0(VALU_DEP_1) | instskip(SKIP_1) | instid1(VALU_DEP_2)
	v_mul_lo_u32 v36, v35, s44
	v_add_nc_u32_e32 v40, 1, v35
	v_sub_nc_u32_e32 v36, v37, v36
	s_delay_alu instid0(VALU_DEP_1) | instskip(SKIP_1) | instid1(VALU_DEP_2)
	v_subrev_nc_u32_e32 v42, s44, v36
	v_cmp_le_u32_e32 vcc_lo, s44, v36
	v_dual_cndmask_b32 v36, v36, v42 :: v_dual_cndmask_b32 v35, v35, v40
	s_delay_alu instid0(VALU_DEP_1) | instskip(SKIP_1) | instid1(VALU_DEP_3)
	v_cmp_le_u32_e32 vcc_lo, s44, v36
	v_mov_b32_e32 v36, 0
	v_add_nc_u32_e32 v40, 1, v35
	s_delay_alu instid0(VALU_DEP_1)
	v_cndmask_b32_e32 v35, v35, v40, vcc_lo
.LBB1139_247:
	s_or_b32 exec_lo, exec_lo, s11
	s_delay_alu instid0(VALU_DEP_1) | instskip(NEXT) | instid1(VALU_DEP_2)
	v_mul_lo_u32 v40, v36, s44
	v_mul_lo_u32 v42, v35, s45
	v_mad_u64_u32 v[64:65], null, v35, s44, 0
	s_delay_alu instid0(VALU_DEP_1) | instskip(NEXT) | instid1(VALU_DEP_2)
	v_add3_u32 v40, v65, v42, v40
	v_sub_co_u32 v37, vcc_lo, v37, v64
	s_delay_alu instid0(VALU_DEP_2) | instskip(NEXT) | instid1(VALU_DEP_2)
	v_sub_co_ci_u32_e32 v38, vcc_lo, v38, v40, vcc_lo
	v_add_co_u32 v35, vcc_lo, v35, v37
	s_delay_alu instid0(VALU_DEP_2)
	v_add_co_ci_u32_e32 v36, vcc_lo, v36, v38, vcc_lo
	s_or_b32 exec_lo, exec_lo, s14
                                        ; implicit-def: $vgpr37_vgpr38
	s_and_saveexec_b32 s11, s10
	s_cbranch_execz .LBB1139_218
.LBB1139_248:
	v_add_co_u32 v39, s10, s30, v39
	s_delay_alu instid0(VALU_DEP_1) | instskip(SKIP_1) | instid1(VALU_DEP_2)
	v_add_co_ci_u32_e64 v40, null, s31, 0, s10
	v_mov_b32_e32 v37, 0
	v_or_b32_e32 v38, s45, v40
	s_delay_alu instid0(VALU_DEP_1) | instskip(SKIP_1) | instid1(SALU_CYCLE_1)
	v_cmp_ne_u64_e32 vcc_lo, 0, v[37:38]
                                        ; implicit-def: $vgpr37_vgpr38
	s_and_saveexec_b32 s10, vcc_lo
	s_xor_b32 s14, exec_lo, s10
	s_cbranch_execz .LBB1139_250
; %bb.249:
	s_ashr_i32 s12, s45, 31
	s_delay_alu instid0(SALU_CYCLE_1) | instskip(SKIP_2) | instid1(SALU_CYCLE_1)
	s_add_u32 s16, s44, s12
	s_mov_b32 s13, s12
	s_addc_u32 s17, s45, s12
	s_xor_b64 s[16:17], s[16:17], s[12:13]
	s_delay_alu instid0(SALU_CYCLE_1) | instskip(SKIP_3) | instid1(VALU_DEP_1)
	v_cvt_f32_u32_e32 v37, s16
	v_cvt_f32_u32_e32 v38, s17
	s_sub_u32 s10, 0, s16
	s_subb_u32 s13, 0, s17
	v_fmamk_f32 v37, v38, 0x4f800000, v37
	s_delay_alu instid0(VALU_DEP_1) | instskip(SKIP_2) | instid1(VALU_DEP_1)
	v_rcp_f32_e32 v37, v37
	s_waitcnt_depctr 0xfff
	v_mul_f32_e32 v37, 0x5f7ffffc, v37
	v_mul_f32_e32 v38, 0x2f800000, v37
	s_delay_alu instid0(VALU_DEP_1) | instskip(NEXT) | instid1(VALU_DEP_1)
	v_trunc_f32_e32 v38, v38
	v_fmamk_f32 v37, v38, 0xcf800000, v37
	v_cvt_u32_f32_e32 v38, v38
	s_delay_alu instid0(VALU_DEP_2) | instskip(NEXT) | instid1(VALU_DEP_2)
	v_cvt_u32_f32_e32 v37, v37
	v_mul_lo_u32 v42, s10, v38
	s_delay_alu instid0(VALU_DEP_2) | instskip(SKIP_1) | instid1(VALU_DEP_2)
	v_mul_hi_u32 v44, s10, v37
	v_mul_lo_u32 v46, s13, v37
	v_add_nc_u32_e32 v42, v44, v42
	v_mul_lo_u32 v44, s10, v37
	s_delay_alu instid0(VALU_DEP_2) | instskip(NEXT) | instid1(VALU_DEP_2)
	v_add_nc_u32_e32 v42, v42, v46
	v_mul_hi_u32 v46, v37, v44
	s_delay_alu instid0(VALU_DEP_2)
	v_mul_lo_u32 v48, v37, v42
	v_mul_hi_u32 v50, v37, v42
	v_mul_hi_u32 v52, v38, v44
	v_mul_lo_u32 v44, v38, v44
	v_mul_hi_u32 v54, v38, v42
	v_mul_lo_u32 v42, v38, v42
	v_add_co_u32 v46, vcc_lo, v46, v48
	v_add_co_ci_u32_e32 v48, vcc_lo, 0, v50, vcc_lo
	s_delay_alu instid0(VALU_DEP_2) | instskip(NEXT) | instid1(VALU_DEP_2)
	v_add_co_u32 v44, vcc_lo, v46, v44
	v_add_co_ci_u32_e32 v44, vcc_lo, v48, v52, vcc_lo
	v_add_co_ci_u32_e32 v46, vcc_lo, 0, v54, vcc_lo
	v_ashrrev_i32_e32 v52, 31, v40
	s_delay_alu instid0(VALU_DEP_3) | instskip(NEXT) | instid1(VALU_DEP_3)
	v_add_co_u32 v42, vcc_lo, v44, v42
	v_add_co_ci_u32_e32 v44, vcc_lo, 0, v46, vcc_lo
	s_delay_alu instid0(VALU_DEP_2) | instskip(NEXT) | instid1(VALU_DEP_2)
	v_add_co_u32 v37, vcc_lo, v37, v42
	v_add_co_ci_u32_e32 v38, vcc_lo, v38, v44, vcc_lo
	s_delay_alu instid0(VALU_DEP_2) | instskip(SKIP_1) | instid1(VALU_DEP_3)
	v_mul_hi_u32 v42, s10, v37
	v_mul_lo_u32 v46, s13, v37
	v_mul_lo_u32 v44, s10, v38
	s_delay_alu instid0(VALU_DEP_1) | instskip(SKIP_1) | instid1(VALU_DEP_2)
	v_add_nc_u32_e32 v42, v42, v44
	v_mul_lo_u32 v44, s10, v37
	v_add_nc_u32_e32 v42, v42, v46
	s_delay_alu instid0(VALU_DEP_2) | instskip(NEXT) | instid1(VALU_DEP_2)
	v_mul_hi_u32 v46, v37, v44
	v_mul_lo_u32 v48, v37, v42
	v_mul_hi_u32 v50, v37, v42
	v_mul_hi_u32 v54, v38, v44
	v_mul_lo_u32 v44, v38, v44
	v_mul_hi_u32 v56, v38, v42
	v_mul_lo_u32 v42, v38, v42
	v_add_co_u32 v46, vcc_lo, v46, v48
	v_add_co_ci_u32_e32 v48, vcc_lo, 0, v50, vcc_lo
	s_delay_alu instid0(VALU_DEP_2) | instskip(NEXT) | instid1(VALU_DEP_2)
	v_add_co_u32 v44, vcc_lo, v46, v44
	v_add_co_ci_u32_e32 v44, vcc_lo, v48, v54, vcc_lo
	v_add_co_ci_u32_e32 v46, vcc_lo, 0, v56, vcc_lo
	v_add_co_u32 v48, vcc_lo, v39, v52
	v_add_co_ci_u32_e32 v50, vcc_lo, v40, v52, vcc_lo
	s_delay_alu instid0(VALU_DEP_4) | instskip(NEXT) | instid1(VALU_DEP_4)
	v_add_co_u32 v42, vcc_lo, v44, v42
	v_add_co_ci_u32_e32 v44, vcc_lo, 0, v46, vcc_lo
	s_delay_alu instid0(VALU_DEP_4) | instskip(NEXT) | instid1(VALU_DEP_3)
	v_xor_b32_e32 v46, v48, v52
	v_add_co_u32 v42, vcc_lo, v37, v42
	s_delay_alu instid0(VALU_DEP_3) | instskip(SKIP_1) | instid1(VALU_DEP_3)
	v_add_co_ci_u32_e32 v44, vcc_lo, v38, v44, vcc_lo
	v_xor_b32_e32 v48, v50, v52
	v_mul_hi_u32 v50, v46, v42
	s_delay_alu instid0(VALU_DEP_3) | instskip(NEXT) | instid1(VALU_DEP_3)
	v_mad_u64_u32 v[37:38], null, v46, v44, 0
	v_mad_u64_u32 v[64:65], null, v48, v42, 0
	;; [unrolled: 1-line block ×3, first 2 shown]
	s_delay_alu instid0(VALU_DEP_3) | instskip(NEXT) | instid1(VALU_DEP_4)
	v_add_co_u32 v37, vcc_lo, v50, v37
	v_add_co_ci_u32_e32 v38, vcc_lo, 0, v38, vcc_lo
	s_delay_alu instid0(VALU_DEP_2) | instskip(NEXT) | instid1(VALU_DEP_2)
	v_add_co_u32 v37, vcc_lo, v37, v64
	v_add_co_ci_u32_e32 v37, vcc_lo, v38, v65, vcc_lo
	v_add_co_ci_u32_e32 v38, vcc_lo, 0, v67, vcc_lo
	s_delay_alu instid0(VALU_DEP_2) | instskip(NEXT) | instid1(VALU_DEP_2)
	v_add_co_u32 v42, vcc_lo, v37, v66
	v_add_co_ci_u32_e32 v44, vcc_lo, 0, v38, vcc_lo
	s_delay_alu instid0(VALU_DEP_2) | instskip(SKIP_1) | instid1(VALU_DEP_3)
	v_mul_lo_u32 v50, s17, v42
	v_mad_u64_u32 v[37:38], null, s16, v42, 0
	v_mul_lo_u32 v54, s16, v44
	s_delay_alu instid0(VALU_DEP_2) | instskip(NEXT) | instid1(VALU_DEP_2)
	v_sub_co_u32 v37, vcc_lo, v46, v37
	v_add3_u32 v38, v38, v54, v50
	s_delay_alu instid0(VALU_DEP_1) | instskip(NEXT) | instid1(VALU_DEP_1)
	v_sub_nc_u32_e32 v50, v48, v38
	v_subrev_co_ci_u32_e64 v46, s10, s17, v50, vcc_lo
	v_add_co_u32 v50, s10, v42, 2
	s_delay_alu instid0(VALU_DEP_1) | instskip(SKIP_3) | instid1(VALU_DEP_3)
	v_add_co_ci_u32_e64 v54, s10, 0, v44, s10
	v_sub_co_u32 v56, s10, v37, s16
	v_sub_co_ci_u32_e32 v38, vcc_lo, v48, v38, vcc_lo
	v_subrev_co_ci_u32_e64 v46, s10, 0, v46, s10
	v_cmp_le_u32_e32 vcc_lo, s16, v56
	s_delay_alu instid0(VALU_DEP_3) | instskip(SKIP_1) | instid1(VALU_DEP_4)
	v_cmp_eq_u32_e64 s10, s17, v38
	v_cndmask_b32_e64 v48, 0, -1, vcc_lo
	v_cmp_le_u32_e32 vcc_lo, s17, v46
	v_cndmask_b32_e64 v56, 0, -1, vcc_lo
	v_cmp_le_u32_e32 vcc_lo, s16, v37
	;; [unrolled: 2-line block ×3, first 2 shown]
	v_cndmask_b32_e64 v60, 0, -1, vcc_lo
	v_cmp_eq_u32_e32 vcc_lo, s17, v46
	s_delay_alu instid0(VALU_DEP_2) | instskip(SKIP_3) | instid1(VALU_DEP_3)
	v_cndmask_b32_e64 v37, v60, v37, s10
	v_cndmask_b32_e32 v46, v56, v48, vcc_lo
	v_add_co_u32 v48, vcc_lo, v42, 1
	v_add_co_ci_u32_e32 v56, vcc_lo, 0, v44, vcc_lo
	v_cmp_ne_u32_e32 vcc_lo, 0, v46
	s_delay_alu instid0(VALU_DEP_2) | instskip(NEXT) | instid1(VALU_DEP_4)
	v_cndmask_b32_e32 v38, v56, v54, vcc_lo
	v_cndmask_b32_e32 v46, v48, v50, vcc_lo
	v_cmp_ne_u32_e32 vcc_lo, 0, v37
	v_xor_b32_e32 v48, s12, v52
	s_delay_alu instid0(VALU_DEP_4) | instskip(NEXT) | instid1(VALU_DEP_4)
	v_cndmask_b32_e32 v37, v44, v38, vcc_lo
	v_cndmask_b32_e32 v38, v42, v46, vcc_lo
	s_delay_alu instid0(VALU_DEP_2) | instskip(NEXT) | instid1(VALU_DEP_2)
	v_xor_b32_e32 v42, v37, v48
	v_xor_b32_e32 v38, v38, v48
	s_delay_alu instid0(VALU_DEP_1) | instskip(NEXT) | instid1(VALU_DEP_3)
	v_sub_co_u32 v37, vcc_lo, v38, v48
	v_sub_co_ci_u32_e32 v38, vcc_lo, v42, v48, vcc_lo
.LBB1139_250:
	s_and_not1_saveexec_b32 s10, s14
	s_cbranch_execz .LBB1139_252
; %bb.251:
	v_cvt_f32_u32_e32 v37, s44
	s_sub_i32 s12, 0, s44
	s_delay_alu instid0(VALU_DEP_1) | instskip(SKIP_2) | instid1(VALU_DEP_1)
	v_rcp_iflag_f32_e32 v37, v37
	s_waitcnt_depctr 0xfff
	v_mul_f32_e32 v37, 0x4f7ffffe, v37
	v_cvt_u32_f32_e32 v37, v37
	s_delay_alu instid0(VALU_DEP_1) | instskip(NEXT) | instid1(VALU_DEP_1)
	v_mul_lo_u32 v38, s12, v37
	v_mul_hi_u32 v38, v37, v38
	s_delay_alu instid0(VALU_DEP_1) | instskip(NEXT) | instid1(VALU_DEP_1)
	v_add_nc_u32_e32 v37, v37, v38
	v_mul_hi_u32 v37, v39, v37
	s_delay_alu instid0(VALU_DEP_1) | instskip(SKIP_1) | instid1(VALU_DEP_2)
	v_mul_lo_u32 v38, v37, s44
	v_add_nc_u32_e32 v42, 1, v37
	v_sub_nc_u32_e32 v38, v39, v38
	s_delay_alu instid0(VALU_DEP_1) | instskip(SKIP_1) | instid1(VALU_DEP_2)
	v_subrev_nc_u32_e32 v44, s44, v38
	v_cmp_le_u32_e32 vcc_lo, s44, v38
	v_dual_cndmask_b32 v38, v38, v44 :: v_dual_cndmask_b32 v37, v37, v42
	s_delay_alu instid0(VALU_DEP_1) | instskip(SKIP_1) | instid1(VALU_DEP_3)
	v_cmp_le_u32_e32 vcc_lo, s44, v38
	v_mov_b32_e32 v38, 0
	v_add_nc_u32_e32 v42, 1, v37
	s_delay_alu instid0(VALU_DEP_1)
	v_cndmask_b32_e32 v37, v37, v42, vcc_lo
.LBB1139_252:
	s_or_b32 exec_lo, exec_lo, s10
	s_delay_alu instid0(VALU_DEP_1) | instskip(NEXT) | instid1(VALU_DEP_2)
	v_mul_lo_u32 v42, v38, s44
	v_mul_lo_u32 v44, v37, s45
	v_mad_u64_u32 v[64:65], null, v37, s44, 0
	s_delay_alu instid0(VALU_DEP_1) | instskip(NEXT) | instid1(VALU_DEP_2)
	v_add3_u32 v42, v65, v44, v42
	v_sub_co_u32 v39, vcc_lo, v39, v64
	s_delay_alu instid0(VALU_DEP_2) | instskip(NEXT) | instid1(VALU_DEP_2)
	v_sub_co_ci_u32_e32 v40, vcc_lo, v40, v42, vcc_lo
	v_add_co_u32 v37, vcc_lo, v37, v39
	s_delay_alu instid0(VALU_DEP_2)
	v_add_co_ci_u32_e32 v38, vcc_lo, v38, v40, vcc_lo
	s_or_b32 exec_lo, exec_lo, s11
                                        ; implicit-def: $vgpr39_vgpr40
	s_and_saveexec_b32 s14, s9
	s_cbranch_execz .LBB1139_219
.LBB1139_253:
	v_add_co_u32 v41, s9, s30, v41
	s_delay_alu instid0(VALU_DEP_1) | instskip(SKIP_1) | instid1(VALU_DEP_2)
	v_add_co_ci_u32_e64 v42, null, s31, 0, s9
	v_mov_b32_e32 v39, 0
	v_or_b32_e32 v40, s45, v42
	s_delay_alu instid0(VALU_DEP_1) | instskip(SKIP_1) | instid1(SALU_CYCLE_1)
	v_cmp_ne_u64_e32 vcc_lo, 0, v[39:40]
                                        ; implicit-def: $vgpr39_vgpr40
	s_and_saveexec_b32 s9, vcc_lo
	s_xor_b32 s16, exec_lo, s9
	s_cbranch_execz .LBB1139_255
; %bb.254:
	s_ashr_i32 s10, s45, 31
	s_delay_alu instid0(SALU_CYCLE_1) | instskip(SKIP_2) | instid1(SALU_CYCLE_1)
	s_add_u32 s12, s44, s10
	s_mov_b32 s11, s10
	s_addc_u32 s13, s45, s10
	s_xor_b64 s[12:13], s[12:13], s[10:11]
	s_delay_alu instid0(SALU_CYCLE_1) | instskip(SKIP_3) | instid1(VALU_DEP_1)
	v_cvt_f32_u32_e32 v39, s12
	v_cvt_f32_u32_e32 v40, s13
	s_sub_u32 s9, 0, s12
	s_subb_u32 s11, 0, s13
	v_fmamk_f32 v39, v40, 0x4f800000, v39
	s_delay_alu instid0(VALU_DEP_1) | instskip(SKIP_2) | instid1(VALU_DEP_1)
	v_rcp_f32_e32 v39, v39
	s_waitcnt_depctr 0xfff
	v_mul_f32_e32 v39, 0x5f7ffffc, v39
	v_mul_f32_e32 v40, 0x2f800000, v39
	s_delay_alu instid0(VALU_DEP_1) | instskip(NEXT) | instid1(VALU_DEP_1)
	v_trunc_f32_e32 v40, v40
	v_fmamk_f32 v39, v40, 0xcf800000, v39
	v_cvt_u32_f32_e32 v40, v40
	s_delay_alu instid0(VALU_DEP_2) | instskip(NEXT) | instid1(VALU_DEP_2)
	v_cvt_u32_f32_e32 v39, v39
	v_mul_lo_u32 v44, s9, v40
	s_delay_alu instid0(VALU_DEP_2) | instskip(SKIP_1) | instid1(VALU_DEP_2)
	v_mul_hi_u32 v46, s9, v39
	v_mul_lo_u32 v48, s11, v39
	v_add_nc_u32_e32 v44, v46, v44
	v_mul_lo_u32 v46, s9, v39
	s_delay_alu instid0(VALU_DEP_2) | instskip(NEXT) | instid1(VALU_DEP_2)
	v_add_nc_u32_e32 v44, v44, v48
	v_mul_hi_u32 v48, v39, v46
	s_delay_alu instid0(VALU_DEP_2)
	v_mul_lo_u32 v50, v39, v44
	v_mul_hi_u32 v52, v39, v44
	v_mul_hi_u32 v54, v40, v46
	v_mul_lo_u32 v46, v40, v46
	v_mul_hi_u32 v56, v40, v44
	v_mul_lo_u32 v44, v40, v44
	v_add_co_u32 v48, vcc_lo, v48, v50
	v_add_co_ci_u32_e32 v50, vcc_lo, 0, v52, vcc_lo
	s_delay_alu instid0(VALU_DEP_2) | instskip(NEXT) | instid1(VALU_DEP_2)
	v_add_co_u32 v46, vcc_lo, v48, v46
	v_add_co_ci_u32_e32 v46, vcc_lo, v50, v54, vcc_lo
	v_add_co_ci_u32_e32 v48, vcc_lo, 0, v56, vcc_lo
	v_ashrrev_i32_e32 v54, 31, v42
	s_delay_alu instid0(VALU_DEP_3) | instskip(NEXT) | instid1(VALU_DEP_3)
	v_add_co_u32 v44, vcc_lo, v46, v44
	v_add_co_ci_u32_e32 v46, vcc_lo, 0, v48, vcc_lo
	s_delay_alu instid0(VALU_DEP_2) | instskip(NEXT) | instid1(VALU_DEP_2)
	v_add_co_u32 v39, vcc_lo, v39, v44
	v_add_co_ci_u32_e32 v40, vcc_lo, v40, v46, vcc_lo
	s_delay_alu instid0(VALU_DEP_2) | instskip(SKIP_1) | instid1(VALU_DEP_3)
	v_mul_hi_u32 v44, s9, v39
	v_mul_lo_u32 v48, s11, v39
	v_mul_lo_u32 v46, s9, v40
	s_delay_alu instid0(VALU_DEP_1) | instskip(SKIP_1) | instid1(VALU_DEP_2)
	v_add_nc_u32_e32 v44, v44, v46
	v_mul_lo_u32 v46, s9, v39
	v_add_nc_u32_e32 v44, v44, v48
	s_delay_alu instid0(VALU_DEP_2) | instskip(NEXT) | instid1(VALU_DEP_2)
	v_mul_hi_u32 v48, v39, v46
	v_mul_lo_u32 v50, v39, v44
	v_mul_hi_u32 v52, v39, v44
	v_mul_hi_u32 v56, v40, v46
	v_mul_lo_u32 v46, v40, v46
	v_mul_hi_u32 v60, v40, v44
	v_mul_lo_u32 v44, v40, v44
	v_add_co_u32 v48, vcc_lo, v48, v50
	v_add_co_ci_u32_e32 v50, vcc_lo, 0, v52, vcc_lo
	s_delay_alu instid0(VALU_DEP_2) | instskip(NEXT) | instid1(VALU_DEP_2)
	v_add_co_u32 v46, vcc_lo, v48, v46
	v_add_co_ci_u32_e32 v46, vcc_lo, v50, v56, vcc_lo
	v_add_co_ci_u32_e32 v48, vcc_lo, 0, v60, vcc_lo
	v_add_co_u32 v50, vcc_lo, v41, v54
	v_add_co_ci_u32_e32 v52, vcc_lo, v42, v54, vcc_lo
	s_delay_alu instid0(VALU_DEP_4) | instskip(NEXT) | instid1(VALU_DEP_4)
	v_add_co_u32 v44, vcc_lo, v46, v44
	v_add_co_ci_u32_e32 v46, vcc_lo, 0, v48, vcc_lo
	s_delay_alu instid0(VALU_DEP_4) | instskip(NEXT) | instid1(VALU_DEP_3)
	v_xor_b32_e32 v48, v50, v54
	v_add_co_u32 v44, vcc_lo, v39, v44
	s_delay_alu instid0(VALU_DEP_3) | instskip(SKIP_1) | instid1(VALU_DEP_3)
	v_add_co_ci_u32_e32 v46, vcc_lo, v40, v46, vcc_lo
	v_xor_b32_e32 v50, v52, v54
	v_mul_hi_u32 v52, v48, v44
	s_delay_alu instid0(VALU_DEP_3) | instskip(NEXT) | instid1(VALU_DEP_3)
	v_mad_u64_u32 v[39:40], null, v48, v46, 0
	v_mad_u64_u32 v[64:65], null, v50, v44, 0
	;; [unrolled: 1-line block ×3, first 2 shown]
	s_delay_alu instid0(VALU_DEP_3) | instskip(NEXT) | instid1(VALU_DEP_4)
	v_add_co_u32 v39, vcc_lo, v52, v39
	v_add_co_ci_u32_e32 v40, vcc_lo, 0, v40, vcc_lo
	s_delay_alu instid0(VALU_DEP_2) | instskip(NEXT) | instid1(VALU_DEP_2)
	v_add_co_u32 v39, vcc_lo, v39, v64
	v_add_co_ci_u32_e32 v39, vcc_lo, v40, v65, vcc_lo
	v_add_co_ci_u32_e32 v40, vcc_lo, 0, v67, vcc_lo
	s_delay_alu instid0(VALU_DEP_2) | instskip(NEXT) | instid1(VALU_DEP_2)
	v_add_co_u32 v44, vcc_lo, v39, v66
	v_add_co_ci_u32_e32 v46, vcc_lo, 0, v40, vcc_lo
	s_delay_alu instid0(VALU_DEP_2) | instskip(SKIP_1) | instid1(VALU_DEP_3)
	v_mul_lo_u32 v52, s13, v44
	v_mad_u64_u32 v[39:40], null, s12, v44, 0
	v_mul_lo_u32 v56, s12, v46
	s_delay_alu instid0(VALU_DEP_2) | instskip(NEXT) | instid1(VALU_DEP_2)
	v_sub_co_u32 v39, vcc_lo, v48, v39
	v_add3_u32 v40, v40, v56, v52
	s_delay_alu instid0(VALU_DEP_1) | instskip(NEXT) | instid1(VALU_DEP_1)
	v_sub_nc_u32_e32 v52, v50, v40
	v_subrev_co_ci_u32_e64 v48, s9, s13, v52, vcc_lo
	v_add_co_u32 v52, s9, v44, 2
	s_delay_alu instid0(VALU_DEP_1) | instskip(SKIP_3) | instid1(VALU_DEP_3)
	v_add_co_ci_u32_e64 v56, s9, 0, v46, s9
	v_sub_co_u32 v60, s9, v39, s12
	v_sub_co_ci_u32_e32 v40, vcc_lo, v50, v40, vcc_lo
	v_subrev_co_ci_u32_e64 v48, s9, 0, v48, s9
	v_cmp_le_u32_e32 vcc_lo, s12, v60
	s_delay_alu instid0(VALU_DEP_3) | instskip(SKIP_1) | instid1(VALU_DEP_4)
	v_cmp_eq_u32_e64 s9, s13, v40
	v_cndmask_b32_e64 v50, 0, -1, vcc_lo
	v_cmp_le_u32_e32 vcc_lo, s13, v48
	v_cndmask_b32_e64 v60, 0, -1, vcc_lo
	v_cmp_le_u32_e32 vcc_lo, s12, v39
	;; [unrolled: 2-line block ×3, first 2 shown]
	v_cndmask_b32_e64 v64, 0, -1, vcc_lo
	v_cmp_eq_u32_e32 vcc_lo, s13, v48
	s_delay_alu instid0(VALU_DEP_2) | instskip(SKIP_3) | instid1(VALU_DEP_3)
	v_cndmask_b32_e64 v39, v64, v39, s9
	v_cndmask_b32_e32 v48, v60, v50, vcc_lo
	v_add_co_u32 v50, vcc_lo, v44, 1
	v_add_co_ci_u32_e32 v60, vcc_lo, 0, v46, vcc_lo
	v_cmp_ne_u32_e32 vcc_lo, 0, v48
	s_delay_alu instid0(VALU_DEP_2) | instskip(NEXT) | instid1(VALU_DEP_4)
	v_cndmask_b32_e32 v40, v60, v56, vcc_lo
	v_cndmask_b32_e32 v48, v50, v52, vcc_lo
	v_cmp_ne_u32_e32 vcc_lo, 0, v39
	v_xor_b32_e32 v50, s10, v54
	s_delay_alu instid0(VALU_DEP_4) | instskip(NEXT) | instid1(VALU_DEP_4)
	v_cndmask_b32_e32 v39, v46, v40, vcc_lo
	v_cndmask_b32_e32 v40, v44, v48, vcc_lo
	s_delay_alu instid0(VALU_DEP_2) | instskip(NEXT) | instid1(VALU_DEP_2)
	v_xor_b32_e32 v44, v39, v50
	v_xor_b32_e32 v40, v40, v50
	s_delay_alu instid0(VALU_DEP_1) | instskip(NEXT) | instid1(VALU_DEP_3)
	v_sub_co_u32 v39, vcc_lo, v40, v50
	v_sub_co_ci_u32_e32 v40, vcc_lo, v44, v50, vcc_lo
.LBB1139_255:
	s_and_not1_saveexec_b32 s9, s16
	s_cbranch_execz .LBB1139_257
; %bb.256:
	v_cvt_f32_u32_e32 v39, s44
	s_sub_i32 s10, 0, s44
	s_delay_alu instid0(VALU_DEP_1) | instskip(SKIP_2) | instid1(VALU_DEP_1)
	v_rcp_iflag_f32_e32 v39, v39
	s_waitcnt_depctr 0xfff
	v_mul_f32_e32 v39, 0x4f7ffffe, v39
	v_cvt_u32_f32_e32 v39, v39
	s_delay_alu instid0(VALU_DEP_1) | instskip(NEXT) | instid1(VALU_DEP_1)
	v_mul_lo_u32 v40, s10, v39
	v_mul_hi_u32 v40, v39, v40
	s_delay_alu instid0(VALU_DEP_1) | instskip(NEXT) | instid1(VALU_DEP_1)
	v_add_nc_u32_e32 v39, v39, v40
	v_mul_hi_u32 v39, v41, v39
	s_delay_alu instid0(VALU_DEP_1) | instskip(SKIP_1) | instid1(VALU_DEP_2)
	v_mul_lo_u32 v40, v39, s44
	v_add_nc_u32_e32 v44, 1, v39
	v_sub_nc_u32_e32 v40, v41, v40
	s_delay_alu instid0(VALU_DEP_1) | instskip(SKIP_1) | instid1(VALU_DEP_2)
	v_subrev_nc_u32_e32 v46, s44, v40
	v_cmp_le_u32_e32 vcc_lo, s44, v40
	v_dual_cndmask_b32 v40, v40, v46 :: v_dual_cndmask_b32 v39, v39, v44
	s_delay_alu instid0(VALU_DEP_1) | instskip(SKIP_1) | instid1(VALU_DEP_3)
	v_cmp_le_u32_e32 vcc_lo, s44, v40
	v_mov_b32_e32 v40, 0
	v_add_nc_u32_e32 v44, 1, v39
	s_delay_alu instid0(VALU_DEP_1)
	v_cndmask_b32_e32 v39, v39, v44, vcc_lo
.LBB1139_257:
	s_or_b32 exec_lo, exec_lo, s9
	s_delay_alu instid0(VALU_DEP_1) | instskip(NEXT) | instid1(VALU_DEP_2)
	v_mul_lo_u32 v44, v40, s44
	v_mul_lo_u32 v46, v39, s45
	v_mad_u64_u32 v[64:65], null, v39, s44, 0
	s_delay_alu instid0(VALU_DEP_1) | instskip(NEXT) | instid1(VALU_DEP_2)
	v_add3_u32 v44, v65, v46, v44
	v_sub_co_u32 v41, vcc_lo, v41, v64
	s_delay_alu instid0(VALU_DEP_2) | instskip(NEXT) | instid1(VALU_DEP_2)
	v_sub_co_ci_u32_e32 v42, vcc_lo, v42, v44, vcc_lo
	v_add_co_u32 v39, vcc_lo, v39, v41
	s_delay_alu instid0(VALU_DEP_2)
	v_add_co_ci_u32_e32 v40, vcc_lo, v40, v42, vcc_lo
	s_or_b32 exec_lo, exec_lo, s14
                                        ; implicit-def: $vgpr41_vgpr42
	s_and_saveexec_b32 s9, s8
	s_cbranch_execz .LBB1139_220
.LBB1139_258:
	v_add_co_u32 v43, s8, s30, v43
	s_delay_alu instid0(VALU_DEP_1) | instskip(SKIP_1) | instid1(VALU_DEP_2)
	v_add_co_ci_u32_e64 v44, null, s31, 0, s8
	v_mov_b32_e32 v41, 0
	v_or_b32_e32 v42, s45, v44
	s_delay_alu instid0(VALU_DEP_1) | instskip(SKIP_1) | instid1(SALU_CYCLE_1)
	v_cmp_ne_u64_e32 vcc_lo, 0, v[41:42]
                                        ; implicit-def: $vgpr41_vgpr42
	s_and_saveexec_b32 s8, vcc_lo
	s_xor_b32 s14, exec_lo, s8
	s_cbranch_execz .LBB1139_260
; %bb.259:
	s_ashr_i32 s10, s45, 31
	s_delay_alu instid0(SALU_CYCLE_1) | instskip(SKIP_2) | instid1(SALU_CYCLE_1)
	s_add_u32 s12, s44, s10
	s_mov_b32 s11, s10
	s_addc_u32 s13, s45, s10
	s_xor_b64 s[12:13], s[12:13], s[10:11]
	s_delay_alu instid0(SALU_CYCLE_1) | instskip(SKIP_3) | instid1(VALU_DEP_1)
	v_cvt_f32_u32_e32 v41, s12
	v_cvt_f32_u32_e32 v42, s13
	s_sub_u32 s8, 0, s12
	s_subb_u32 s11, 0, s13
	v_fmamk_f32 v41, v42, 0x4f800000, v41
	s_delay_alu instid0(VALU_DEP_1) | instskip(SKIP_2) | instid1(VALU_DEP_1)
	v_rcp_f32_e32 v41, v41
	s_waitcnt_depctr 0xfff
	v_mul_f32_e32 v41, 0x5f7ffffc, v41
	v_mul_f32_e32 v42, 0x2f800000, v41
	s_delay_alu instid0(VALU_DEP_1) | instskip(NEXT) | instid1(VALU_DEP_1)
	v_trunc_f32_e32 v42, v42
	v_fmamk_f32 v41, v42, 0xcf800000, v41
	v_cvt_u32_f32_e32 v42, v42
	s_delay_alu instid0(VALU_DEP_2) | instskip(NEXT) | instid1(VALU_DEP_2)
	v_cvt_u32_f32_e32 v41, v41
	v_mul_lo_u32 v46, s8, v42
	s_delay_alu instid0(VALU_DEP_2) | instskip(SKIP_1) | instid1(VALU_DEP_2)
	v_mul_hi_u32 v48, s8, v41
	v_mul_lo_u32 v50, s11, v41
	v_add_nc_u32_e32 v46, v48, v46
	v_mul_lo_u32 v48, s8, v41
	s_delay_alu instid0(VALU_DEP_2) | instskip(NEXT) | instid1(VALU_DEP_2)
	v_add_nc_u32_e32 v46, v46, v50
	v_mul_hi_u32 v50, v41, v48
	s_delay_alu instid0(VALU_DEP_2)
	v_mul_lo_u32 v52, v41, v46
	v_mul_hi_u32 v54, v41, v46
	v_mul_hi_u32 v56, v42, v48
	v_mul_lo_u32 v48, v42, v48
	v_mul_hi_u32 v60, v42, v46
	v_mul_lo_u32 v46, v42, v46
	v_add_co_u32 v50, vcc_lo, v50, v52
	v_add_co_ci_u32_e32 v52, vcc_lo, 0, v54, vcc_lo
	s_delay_alu instid0(VALU_DEP_2) | instskip(NEXT) | instid1(VALU_DEP_2)
	v_add_co_u32 v48, vcc_lo, v50, v48
	v_add_co_ci_u32_e32 v48, vcc_lo, v52, v56, vcc_lo
	v_add_co_ci_u32_e32 v50, vcc_lo, 0, v60, vcc_lo
	v_ashrrev_i32_e32 v56, 31, v44
	s_delay_alu instid0(VALU_DEP_3) | instskip(NEXT) | instid1(VALU_DEP_3)
	v_add_co_u32 v46, vcc_lo, v48, v46
	v_add_co_ci_u32_e32 v48, vcc_lo, 0, v50, vcc_lo
	s_delay_alu instid0(VALU_DEP_2) | instskip(NEXT) | instid1(VALU_DEP_2)
	v_add_co_u32 v41, vcc_lo, v41, v46
	v_add_co_ci_u32_e32 v42, vcc_lo, v42, v48, vcc_lo
	s_delay_alu instid0(VALU_DEP_2) | instskip(SKIP_1) | instid1(VALU_DEP_3)
	v_mul_hi_u32 v46, s8, v41
	v_mul_lo_u32 v50, s11, v41
	v_mul_lo_u32 v48, s8, v42
	s_delay_alu instid0(VALU_DEP_1) | instskip(SKIP_1) | instid1(VALU_DEP_2)
	v_add_nc_u32_e32 v46, v46, v48
	v_mul_lo_u32 v48, s8, v41
	v_add_nc_u32_e32 v46, v46, v50
	s_delay_alu instid0(VALU_DEP_2) | instskip(NEXT) | instid1(VALU_DEP_2)
	v_mul_hi_u32 v50, v41, v48
	v_mul_lo_u32 v52, v41, v46
	v_mul_hi_u32 v54, v41, v46
	v_mul_hi_u32 v60, v42, v48
	v_mul_lo_u32 v48, v42, v48
	v_mul_hi_u32 v64, v42, v46
	v_mul_lo_u32 v46, v42, v46
	v_add_co_u32 v50, vcc_lo, v50, v52
	v_add_co_ci_u32_e32 v52, vcc_lo, 0, v54, vcc_lo
	s_delay_alu instid0(VALU_DEP_2) | instskip(NEXT) | instid1(VALU_DEP_2)
	v_add_co_u32 v48, vcc_lo, v50, v48
	v_add_co_ci_u32_e32 v48, vcc_lo, v52, v60, vcc_lo
	v_add_co_ci_u32_e32 v50, vcc_lo, 0, v64, vcc_lo
	v_add_co_u32 v52, vcc_lo, v43, v56
	v_add_co_ci_u32_e32 v54, vcc_lo, v44, v56, vcc_lo
	s_delay_alu instid0(VALU_DEP_4) | instskip(NEXT) | instid1(VALU_DEP_4)
	v_add_co_u32 v46, vcc_lo, v48, v46
	v_add_co_ci_u32_e32 v48, vcc_lo, 0, v50, vcc_lo
	s_delay_alu instid0(VALU_DEP_4) | instskip(NEXT) | instid1(VALU_DEP_3)
	v_xor_b32_e32 v50, v52, v56
	v_add_co_u32 v46, vcc_lo, v41, v46
	s_delay_alu instid0(VALU_DEP_3) | instskip(SKIP_1) | instid1(VALU_DEP_3)
	v_add_co_ci_u32_e32 v48, vcc_lo, v42, v48, vcc_lo
	v_xor_b32_e32 v52, v54, v56
	v_mul_hi_u32 v54, v50, v46
	s_delay_alu instid0(VALU_DEP_3) | instskip(NEXT) | instid1(VALU_DEP_3)
	v_mad_u64_u32 v[41:42], null, v50, v48, 0
	v_mad_u64_u32 v[64:65], null, v52, v46, 0
	v_mad_u64_u32 v[66:67], null, v52, v48, 0
	s_delay_alu instid0(VALU_DEP_3) | instskip(NEXT) | instid1(VALU_DEP_4)
	v_add_co_u32 v41, vcc_lo, v54, v41
	v_add_co_ci_u32_e32 v42, vcc_lo, 0, v42, vcc_lo
	s_delay_alu instid0(VALU_DEP_2) | instskip(NEXT) | instid1(VALU_DEP_2)
	v_add_co_u32 v41, vcc_lo, v41, v64
	v_add_co_ci_u32_e32 v41, vcc_lo, v42, v65, vcc_lo
	v_add_co_ci_u32_e32 v42, vcc_lo, 0, v67, vcc_lo
	s_delay_alu instid0(VALU_DEP_2) | instskip(NEXT) | instid1(VALU_DEP_2)
	v_add_co_u32 v46, vcc_lo, v41, v66
	v_add_co_ci_u32_e32 v48, vcc_lo, 0, v42, vcc_lo
	s_delay_alu instid0(VALU_DEP_2) | instskip(SKIP_1) | instid1(VALU_DEP_3)
	v_mul_lo_u32 v54, s13, v46
	v_mad_u64_u32 v[41:42], null, s12, v46, 0
	v_mul_lo_u32 v60, s12, v48
	s_delay_alu instid0(VALU_DEP_2) | instskip(NEXT) | instid1(VALU_DEP_2)
	v_sub_co_u32 v41, vcc_lo, v50, v41
	v_add3_u32 v42, v42, v60, v54
	s_delay_alu instid0(VALU_DEP_1) | instskip(NEXT) | instid1(VALU_DEP_1)
	v_sub_nc_u32_e32 v54, v52, v42
	v_subrev_co_ci_u32_e64 v50, s8, s13, v54, vcc_lo
	v_add_co_u32 v54, s8, v46, 2
	s_delay_alu instid0(VALU_DEP_1) | instskip(SKIP_3) | instid1(VALU_DEP_3)
	v_add_co_ci_u32_e64 v60, s8, 0, v48, s8
	v_sub_co_u32 v64, s8, v41, s12
	v_sub_co_ci_u32_e32 v42, vcc_lo, v52, v42, vcc_lo
	v_subrev_co_ci_u32_e64 v50, s8, 0, v50, s8
	v_cmp_le_u32_e32 vcc_lo, s12, v64
	s_delay_alu instid0(VALU_DEP_3) | instskip(SKIP_1) | instid1(VALU_DEP_4)
	v_cmp_eq_u32_e64 s8, s13, v42
	v_cndmask_b32_e64 v52, 0, -1, vcc_lo
	v_cmp_le_u32_e32 vcc_lo, s13, v50
	v_cndmask_b32_e64 v64, 0, -1, vcc_lo
	v_cmp_le_u32_e32 vcc_lo, s12, v41
	v_cndmask_b32_e64 v41, 0, -1, vcc_lo
	v_cmp_le_u32_e32 vcc_lo, s13, v42
	v_cndmask_b32_e64 v65, 0, -1, vcc_lo
	v_cmp_eq_u32_e32 vcc_lo, s13, v50
	s_delay_alu instid0(VALU_DEP_2) | instskip(SKIP_3) | instid1(VALU_DEP_3)
	v_cndmask_b32_e64 v41, v65, v41, s8
	v_cndmask_b32_e32 v50, v64, v52, vcc_lo
	v_add_co_u32 v52, vcc_lo, v46, 1
	v_add_co_ci_u32_e32 v64, vcc_lo, 0, v48, vcc_lo
	v_cmp_ne_u32_e32 vcc_lo, 0, v50
	s_delay_alu instid0(VALU_DEP_2) | instskip(NEXT) | instid1(VALU_DEP_4)
	v_cndmask_b32_e32 v42, v64, v60, vcc_lo
	v_cndmask_b32_e32 v50, v52, v54, vcc_lo
	v_cmp_ne_u32_e32 vcc_lo, 0, v41
	v_xor_b32_e32 v52, s10, v56
	s_delay_alu instid0(VALU_DEP_4) | instskip(NEXT) | instid1(VALU_DEP_4)
	v_cndmask_b32_e32 v41, v48, v42, vcc_lo
	v_cndmask_b32_e32 v42, v46, v50, vcc_lo
	s_delay_alu instid0(VALU_DEP_2) | instskip(NEXT) | instid1(VALU_DEP_2)
	v_xor_b32_e32 v46, v41, v52
	v_xor_b32_e32 v42, v42, v52
	s_delay_alu instid0(VALU_DEP_1) | instskip(NEXT) | instid1(VALU_DEP_3)
	v_sub_co_u32 v41, vcc_lo, v42, v52
	v_sub_co_ci_u32_e32 v42, vcc_lo, v46, v52, vcc_lo
.LBB1139_260:
	s_and_not1_saveexec_b32 s8, s14
	s_cbranch_execz .LBB1139_262
; %bb.261:
	v_cvt_f32_u32_e32 v41, s44
	s_sub_i32 s10, 0, s44
	s_delay_alu instid0(VALU_DEP_1) | instskip(SKIP_2) | instid1(VALU_DEP_1)
	v_rcp_iflag_f32_e32 v41, v41
	s_waitcnt_depctr 0xfff
	v_mul_f32_e32 v41, 0x4f7ffffe, v41
	v_cvt_u32_f32_e32 v41, v41
	s_delay_alu instid0(VALU_DEP_1) | instskip(NEXT) | instid1(VALU_DEP_1)
	v_mul_lo_u32 v42, s10, v41
	v_mul_hi_u32 v42, v41, v42
	s_delay_alu instid0(VALU_DEP_1) | instskip(NEXT) | instid1(VALU_DEP_1)
	v_add_nc_u32_e32 v41, v41, v42
	v_mul_hi_u32 v41, v43, v41
	s_delay_alu instid0(VALU_DEP_1) | instskip(SKIP_1) | instid1(VALU_DEP_2)
	v_mul_lo_u32 v42, v41, s44
	v_add_nc_u32_e32 v46, 1, v41
	v_sub_nc_u32_e32 v42, v43, v42
	s_delay_alu instid0(VALU_DEP_1) | instskip(SKIP_1) | instid1(VALU_DEP_2)
	v_subrev_nc_u32_e32 v48, s44, v42
	v_cmp_le_u32_e32 vcc_lo, s44, v42
	v_dual_cndmask_b32 v42, v42, v48 :: v_dual_cndmask_b32 v41, v41, v46
	s_delay_alu instid0(VALU_DEP_1) | instskip(SKIP_1) | instid1(VALU_DEP_3)
	v_cmp_le_u32_e32 vcc_lo, s44, v42
	v_mov_b32_e32 v42, 0
	v_add_nc_u32_e32 v46, 1, v41
	s_delay_alu instid0(VALU_DEP_1)
	v_cndmask_b32_e32 v41, v41, v46, vcc_lo
.LBB1139_262:
	s_or_b32 exec_lo, exec_lo, s8
	s_delay_alu instid0(VALU_DEP_1) | instskip(NEXT) | instid1(VALU_DEP_2)
	v_mul_lo_u32 v46, v42, s44
	v_mul_lo_u32 v48, v41, s45
	v_mad_u64_u32 v[64:65], null, v41, s44, 0
	s_delay_alu instid0(VALU_DEP_1) | instskip(NEXT) | instid1(VALU_DEP_2)
	v_add3_u32 v46, v65, v48, v46
	v_sub_co_u32 v43, vcc_lo, v43, v64
	s_delay_alu instid0(VALU_DEP_2) | instskip(NEXT) | instid1(VALU_DEP_2)
	v_sub_co_ci_u32_e32 v44, vcc_lo, v44, v46, vcc_lo
	v_add_co_u32 v41, vcc_lo, v41, v43
	s_delay_alu instid0(VALU_DEP_2)
	v_add_co_ci_u32_e32 v42, vcc_lo, v42, v44, vcc_lo
	s_or_b32 exec_lo, exec_lo, s9
                                        ; implicit-def: $vgpr43_vgpr44
	s_and_saveexec_b32 s12, s7
	s_cbranch_execz .LBB1139_221
.LBB1139_263:
	v_add_co_u32 v45, s7, s30, v45
	s_delay_alu instid0(VALU_DEP_1) | instskip(SKIP_1) | instid1(VALU_DEP_2)
	v_add_co_ci_u32_e64 v46, null, s31, 0, s7
	v_mov_b32_e32 v43, 0
	v_or_b32_e32 v44, s45, v46
	s_delay_alu instid0(VALU_DEP_1) | instskip(SKIP_1) | instid1(SALU_CYCLE_1)
	v_cmp_ne_u64_e32 vcc_lo, 0, v[43:44]
                                        ; implicit-def: $vgpr43_vgpr44
	s_and_saveexec_b32 s7, vcc_lo
	s_xor_b32 s13, exec_lo, s7
	s_cbranch_execz .LBB1139_265
; %bb.264:
	s_ashr_i32 s8, s45, 31
	s_delay_alu instid0(SALU_CYCLE_1) | instskip(SKIP_2) | instid1(SALU_CYCLE_1)
	s_add_u32 s10, s44, s8
	s_mov_b32 s9, s8
	s_addc_u32 s11, s45, s8
	s_xor_b64 s[10:11], s[10:11], s[8:9]
	s_delay_alu instid0(SALU_CYCLE_1) | instskip(SKIP_3) | instid1(VALU_DEP_1)
	v_cvt_f32_u32_e32 v43, s10
	v_cvt_f32_u32_e32 v44, s11
	s_sub_u32 s7, 0, s10
	s_subb_u32 s9, 0, s11
	v_fmamk_f32 v43, v44, 0x4f800000, v43
	s_delay_alu instid0(VALU_DEP_1) | instskip(SKIP_2) | instid1(VALU_DEP_1)
	v_rcp_f32_e32 v43, v43
	s_waitcnt_depctr 0xfff
	v_mul_f32_e32 v43, 0x5f7ffffc, v43
	v_mul_f32_e32 v44, 0x2f800000, v43
	s_delay_alu instid0(VALU_DEP_1) | instskip(NEXT) | instid1(VALU_DEP_1)
	v_trunc_f32_e32 v44, v44
	v_fmamk_f32 v43, v44, 0xcf800000, v43
	v_cvt_u32_f32_e32 v44, v44
	s_delay_alu instid0(VALU_DEP_2) | instskip(NEXT) | instid1(VALU_DEP_2)
	v_cvt_u32_f32_e32 v43, v43
	v_mul_lo_u32 v48, s7, v44
	s_delay_alu instid0(VALU_DEP_2) | instskip(SKIP_1) | instid1(VALU_DEP_2)
	v_mul_hi_u32 v50, s7, v43
	v_mul_lo_u32 v52, s9, v43
	v_add_nc_u32_e32 v48, v50, v48
	v_mul_lo_u32 v50, s7, v43
	s_delay_alu instid0(VALU_DEP_2) | instskip(NEXT) | instid1(VALU_DEP_2)
	v_add_nc_u32_e32 v48, v48, v52
	v_mul_hi_u32 v52, v43, v50
	s_delay_alu instid0(VALU_DEP_2)
	v_mul_lo_u32 v54, v43, v48
	v_mul_hi_u32 v56, v43, v48
	v_mul_hi_u32 v60, v44, v50
	v_mul_lo_u32 v50, v44, v50
	v_mul_hi_u32 v64, v44, v48
	v_mul_lo_u32 v48, v44, v48
	v_add_co_u32 v52, vcc_lo, v52, v54
	v_add_co_ci_u32_e32 v54, vcc_lo, 0, v56, vcc_lo
	s_delay_alu instid0(VALU_DEP_2) | instskip(NEXT) | instid1(VALU_DEP_2)
	v_add_co_u32 v50, vcc_lo, v52, v50
	v_add_co_ci_u32_e32 v50, vcc_lo, v54, v60, vcc_lo
	v_add_co_ci_u32_e32 v52, vcc_lo, 0, v64, vcc_lo
	v_ashrrev_i32_e32 v60, 31, v46
	s_delay_alu instid0(VALU_DEP_3) | instskip(NEXT) | instid1(VALU_DEP_3)
	v_add_co_u32 v48, vcc_lo, v50, v48
	v_add_co_ci_u32_e32 v50, vcc_lo, 0, v52, vcc_lo
	s_delay_alu instid0(VALU_DEP_2) | instskip(NEXT) | instid1(VALU_DEP_2)
	v_add_co_u32 v43, vcc_lo, v43, v48
	v_add_co_ci_u32_e32 v44, vcc_lo, v44, v50, vcc_lo
	s_delay_alu instid0(VALU_DEP_2) | instskip(SKIP_1) | instid1(VALU_DEP_3)
	v_mul_hi_u32 v48, s7, v43
	v_mul_lo_u32 v52, s9, v43
	v_mul_lo_u32 v50, s7, v44
	s_delay_alu instid0(VALU_DEP_1) | instskip(SKIP_1) | instid1(VALU_DEP_2)
	v_add_nc_u32_e32 v48, v48, v50
	v_mul_lo_u32 v50, s7, v43
	v_add_nc_u32_e32 v48, v48, v52
	s_delay_alu instid0(VALU_DEP_2) | instskip(NEXT) | instid1(VALU_DEP_2)
	v_mul_hi_u32 v52, v43, v50
	v_mul_lo_u32 v54, v43, v48
	v_mul_hi_u32 v56, v43, v48
	v_mul_hi_u32 v64, v44, v50
	v_mul_lo_u32 v50, v44, v50
	v_mul_hi_u32 v65, v44, v48
	v_mul_lo_u32 v48, v44, v48
	v_add_co_u32 v52, vcc_lo, v52, v54
	v_add_co_ci_u32_e32 v54, vcc_lo, 0, v56, vcc_lo
	s_delay_alu instid0(VALU_DEP_2) | instskip(NEXT) | instid1(VALU_DEP_2)
	v_add_co_u32 v50, vcc_lo, v52, v50
	v_add_co_ci_u32_e32 v50, vcc_lo, v54, v64, vcc_lo
	v_add_co_ci_u32_e32 v52, vcc_lo, 0, v65, vcc_lo
	v_add_co_u32 v54, vcc_lo, v45, v60
	v_add_co_ci_u32_e32 v56, vcc_lo, v46, v60, vcc_lo
	s_delay_alu instid0(VALU_DEP_4) | instskip(NEXT) | instid1(VALU_DEP_4)
	v_add_co_u32 v48, vcc_lo, v50, v48
	v_add_co_ci_u32_e32 v50, vcc_lo, 0, v52, vcc_lo
	s_delay_alu instid0(VALU_DEP_4) | instskip(NEXT) | instid1(VALU_DEP_3)
	v_xor_b32_e32 v52, v54, v60
	v_add_co_u32 v48, vcc_lo, v43, v48
	s_delay_alu instid0(VALU_DEP_3) | instskip(SKIP_1) | instid1(VALU_DEP_3)
	v_add_co_ci_u32_e32 v50, vcc_lo, v44, v50, vcc_lo
	v_xor_b32_e32 v54, v56, v60
	v_mul_hi_u32 v56, v52, v48
	s_delay_alu instid0(VALU_DEP_3) | instskip(NEXT) | instid1(VALU_DEP_3)
	v_mad_u64_u32 v[43:44], null, v52, v50, 0
	v_mad_u64_u32 v[64:65], null, v54, v48, 0
	;; [unrolled: 1-line block ×3, first 2 shown]
	s_delay_alu instid0(VALU_DEP_3) | instskip(NEXT) | instid1(VALU_DEP_4)
	v_add_co_u32 v43, vcc_lo, v56, v43
	v_add_co_ci_u32_e32 v44, vcc_lo, 0, v44, vcc_lo
	s_delay_alu instid0(VALU_DEP_2) | instskip(NEXT) | instid1(VALU_DEP_2)
	v_add_co_u32 v43, vcc_lo, v43, v64
	v_add_co_ci_u32_e32 v43, vcc_lo, v44, v65, vcc_lo
	v_add_co_ci_u32_e32 v44, vcc_lo, 0, v67, vcc_lo
	s_delay_alu instid0(VALU_DEP_2) | instskip(NEXT) | instid1(VALU_DEP_2)
	v_add_co_u32 v48, vcc_lo, v43, v66
	v_add_co_ci_u32_e32 v50, vcc_lo, 0, v44, vcc_lo
	s_delay_alu instid0(VALU_DEP_2) | instskip(SKIP_1) | instid1(VALU_DEP_3)
	v_mul_lo_u32 v56, s11, v48
	v_mad_u64_u32 v[43:44], null, s10, v48, 0
	v_mul_lo_u32 v64, s10, v50
	s_delay_alu instid0(VALU_DEP_2) | instskip(NEXT) | instid1(VALU_DEP_2)
	v_sub_co_u32 v43, vcc_lo, v52, v43
	v_add3_u32 v44, v44, v64, v56
	s_delay_alu instid0(VALU_DEP_1) | instskip(NEXT) | instid1(VALU_DEP_1)
	v_sub_nc_u32_e32 v56, v54, v44
	v_subrev_co_ci_u32_e64 v52, s7, s11, v56, vcc_lo
	v_add_co_u32 v56, s7, v48, 2
	s_delay_alu instid0(VALU_DEP_1) | instskip(SKIP_3) | instid1(VALU_DEP_3)
	v_add_co_ci_u32_e64 v64, s7, 0, v50, s7
	v_sub_co_u32 v65, s7, v43, s10
	v_sub_co_ci_u32_e32 v44, vcc_lo, v54, v44, vcc_lo
	v_subrev_co_ci_u32_e64 v52, s7, 0, v52, s7
	v_cmp_le_u32_e32 vcc_lo, s10, v65
	s_delay_alu instid0(VALU_DEP_3) | instskip(SKIP_1) | instid1(VALU_DEP_4)
	v_cmp_eq_u32_e64 s7, s11, v44
	v_cndmask_b32_e64 v54, 0, -1, vcc_lo
	v_cmp_le_u32_e32 vcc_lo, s11, v52
	v_cndmask_b32_e64 v65, 0, -1, vcc_lo
	v_cmp_le_u32_e32 vcc_lo, s10, v43
	;; [unrolled: 2-line block ×3, first 2 shown]
	v_cndmask_b32_e64 v66, 0, -1, vcc_lo
	v_cmp_eq_u32_e32 vcc_lo, s11, v52
	s_delay_alu instid0(VALU_DEP_2) | instskip(SKIP_3) | instid1(VALU_DEP_3)
	v_cndmask_b32_e64 v43, v66, v43, s7
	v_cndmask_b32_e32 v52, v65, v54, vcc_lo
	v_add_co_u32 v54, vcc_lo, v48, 1
	v_add_co_ci_u32_e32 v65, vcc_lo, 0, v50, vcc_lo
	v_cmp_ne_u32_e32 vcc_lo, 0, v52
	s_delay_alu instid0(VALU_DEP_2) | instskip(NEXT) | instid1(VALU_DEP_4)
	v_cndmask_b32_e32 v44, v65, v64, vcc_lo
	v_cndmask_b32_e32 v52, v54, v56, vcc_lo
	v_cmp_ne_u32_e32 vcc_lo, 0, v43
	v_xor_b32_e32 v54, s8, v60
	s_delay_alu instid0(VALU_DEP_4) | instskip(NEXT) | instid1(VALU_DEP_4)
	v_cndmask_b32_e32 v43, v50, v44, vcc_lo
	v_cndmask_b32_e32 v44, v48, v52, vcc_lo
	s_delay_alu instid0(VALU_DEP_2) | instskip(NEXT) | instid1(VALU_DEP_2)
	v_xor_b32_e32 v48, v43, v54
	v_xor_b32_e32 v44, v44, v54
	s_delay_alu instid0(VALU_DEP_1) | instskip(NEXT) | instid1(VALU_DEP_3)
	v_sub_co_u32 v43, vcc_lo, v44, v54
	v_sub_co_ci_u32_e32 v44, vcc_lo, v48, v54, vcc_lo
.LBB1139_265:
	s_and_not1_saveexec_b32 s7, s13
	s_cbranch_execz .LBB1139_267
; %bb.266:
	v_cvt_f32_u32_e32 v43, s44
	s_sub_i32 s8, 0, s44
	s_delay_alu instid0(VALU_DEP_1) | instskip(SKIP_2) | instid1(VALU_DEP_1)
	v_rcp_iflag_f32_e32 v43, v43
	s_waitcnt_depctr 0xfff
	v_mul_f32_e32 v43, 0x4f7ffffe, v43
	v_cvt_u32_f32_e32 v43, v43
	s_delay_alu instid0(VALU_DEP_1) | instskip(NEXT) | instid1(VALU_DEP_1)
	v_mul_lo_u32 v44, s8, v43
	v_mul_hi_u32 v44, v43, v44
	s_delay_alu instid0(VALU_DEP_1) | instskip(NEXT) | instid1(VALU_DEP_1)
	v_add_nc_u32_e32 v43, v43, v44
	v_mul_hi_u32 v43, v45, v43
	s_delay_alu instid0(VALU_DEP_1) | instskip(SKIP_1) | instid1(VALU_DEP_2)
	v_mul_lo_u32 v44, v43, s44
	v_add_nc_u32_e32 v48, 1, v43
	v_sub_nc_u32_e32 v44, v45, v44
	s_delay_alu instid0(VALU_DEP_1) | instskip(SKIP_1) | instid1(VALU_DEP_2)
	v_subrev_nc_u32_e32 v50, s44, v44
	v_cmp_le_u32_e32 vcc_lo, s44, v44
	v_dual_cndmask_b32 v44, v44, v50 :: v_dual_cndmask_b32 v43, v43, v48
	s_delay_alu instid0(VALU_DEP_1) | instskip(SKIP_1) | instid1(VALU_DEP_3)
	v_cmp_le_u32_e32 vcc_lo, s44, v44
	v_mov_b32_e32 v44, 0
	v_add_nc_u32_e32 v48, 1, v43
	s_delay_alu instid0(VALU_DEP_1)
	v_cndmask_b32_e32 v43, v43, v48, vcc_lo
.LBB1139_267:
	s_or_b32 exec_lo, exec_lo, s7
	s_delay_alu instid0(VALU_DEP_1) | instskip(NEXT) | instid1(VALU_DEP_2)
	v_mul_lo_u32 v48, v44, s44
	v_mul_lo_u32 v50, v43, s45
	v_mad_u64_u32 v[64:65], null, v43, s44, 0
	s_delay_alu instid0(VALU_DEP_1) | instskip(NEXT) | instid1(VALU_DEP_2)
	v_add3_u32 v48, v65, v50, v48
	v_sub_co_u32 v45, vcc_lo, v45, v64
	s_delay_alu instid0(VALU_DEP_2) | instskip(NEXT) | instid1(VALU_DEP_2)
	v_sub_co_ci_u32_e32 v46, vcc_lo, v46, v48, vcc_lo
	v_add_co_u32 v43, vcc_lo, v43, v45
	s_delay_alu instid0(VALU_DEP_2)
	v_add_co_ci_u32_e32 v44, vcc_lo, v44, v46, vcc_lo
	s_or_b32 exec_lo, exec_lo, s12
                                        ; implicit-def: $vgpr45_vgpr46
	s_and_saveexec_b32 s7, s6
	s_cbranch_execz .LBB1139_222
.LBB1139_268:
	v_add_co_u32 v47, s6, s30, v47
	s_delay_alu instid0(VALU_DEP_1) | instskip(SKIP_1) | instid1(VALU_DEP_2)
	v_add_co_ci_u32_e64 v48, null, s31, 0, s6
	v_mov_b32_e32 v45, 0
	v_or_b32_e32 v46, s45, v48
	s_delay_alu instid0(VALU_DEP_1) | instskip(SKIP_1) | instid1(SALU_CYCLE_1)
	v_cmp_ne_u64_e32 vcc_lo, 0, v[45:46]
                                        ; implicit-def: $vgpr45_vgpr46
	s_and_saveexec_b32 s6, vcc_lo
	s_xor_b32 s12, exec_lo, s6
	s_cbranch_execz .LBB1139_270
; %bb.269:
	s_ashr_i32 s8, s45, 31
	v_ashrrev_i32_e32 v68, 31, v48
	s_add_u32 s10, s44, s8
	s_mov_b32 s9, s8
	s_addc_u32 s11, s45, s8
	s_delay_alu instid0(SALU_CYCLE_1) | instskip(NEXT) | instid1(SALU_CYCLE_1)
	s_xor_b64 s[10:11], s[10:11], s[8:9]
	v_cvt_f32_u32_e32 v45, s10
	v_cvt_f32_u32_e32 v46, s11
	s_sub_u32 s6, 0, s10
	s_subb_u32 s9, 0, s11
	s_delay_alu instid0(VALU_DEP_1) | instskip(NEXT) | instid1(VALU_DEP_1)
	v_fmamk_f32 v45, v46, 0x4f800000, v45
	v_rcp_f32_e32 v45, v45
	s_waitcnt_depctr 0xfff
	v_mul_f32_e32 v45, 0x5f7ffffc, v45
	s_delay_alu instid0(VALU_DEP_1) | instskip(NEXT) | instid1(VALU_DEP_1)
	v_mul_f32_e32 v46, 0x2f800000, v45
	v_trunc_f32_e32 v46, v46
	s_delay_alu instid0(VALU_DEP_1) | instskip(SKIP_1) | instid1(VALU_DEP_2)
	v_fmamk_f32 v45, v46, 0xcf800000, v45
	v_cvt_u32_f32_e32 v46, v46
	v_cvt_u32_f32_e32 v45, v45
	s_delay_alu instid0(VALU_DEP_2) | instskip(NEXT) | instid1(VALU_DEP_2)
	v_mul_lo_u32 v50, s6, v46
	v_mul_hi_u32 v52, s6, v45
	v_mul_lo_u32 v54, s9, v45
	s_delay_alu instid0(VALU_DEP_2) | instskip(SKIP_1) | instid1(VALU_DEP_2)
	v_add_nc_u32_e32 v50, v52, v50
	v_mul_lo_u32 v52, s6, v45
	v_add_nc_u32_e32 v50, v50, v54
	s_delay_alu instid0(VALU_DEP_2) | instskip(NEXT) | instid1(VALU_DEP_2)
	v_mul_hi_u32 v54, v45, v52
	v_mul_lo_u32 v56, v45, v50
	v_mul_hi_u32 v60, v45, v50
	v_mul_hi_u32 v64, v46, v52
	v_mul_lo_u32 v52, v46, v52
	v_mul_hi_u32 v65, v46, v50
	v_mul_lo_u32 v50, v46, v50
	v_add_co_u32 v54, vcc_lo, v54, v56
	v_add_co_ci_u32_e32 v56, vcc_lo, 0, v60, vcc_lo
	s_delay_alu instid0(VALU_DEP_2) | instskip(NEXT) | instid1(VALU_DEP_2)
	v_add_co_u32 v52, vcc_lo, v54, v52
	v_add_co_ci_u32_e32 v52, vcc_lo, v56, v64, vcc_lo
	v_add_co_ci_u32_e32 v54, vcc_lo, 0, v65, vcc_lo
	s_delay_alu instid0(VALU_DEP_2) | instskip(NEXT) | instid1(VALU_DEP_2)
	v_add_co_u32 v50, vcc_lo, v52, v50
	v_add_co_ci_u32_e32 v52, vcc_lo, 0, v54, vcc_lo
	s_delay_alu instid0(VALU_DEP_2) | instskip(NEXT) | instid1(VALU_DEP_2)
	v_add_co_u32 v45, vcc_lo, v45, v50
	v_add_co_ci_u32_e32 v46, vcc_lo, v46, v52, vcc_lo
	s_delay_alu instid0(VALU_DEP_2) | instskip(SKIP_1) | instid1(VALU_DEP_3)
	v_mul_hi_u32 v50, s6, v45
	v_mul_lo_u32 v54, s9, v45
	v_mul_lo_u32 v52, s6, v46
	s_delay_alu instid0(VALU_DEP_1) | instskip(SKIP_1) | instid1(VALU_DEP_2)
	v_add_nc_u32_e32 v50, v50, v52
	v_mul_lo_u32 v52, s6, v45
	v_add_nc_u32_e32 v50, v50, v54
	s_delay_alu instid0(VALU_DEP_2) | instskip(NEXT) | instid1(VALU_DEP_2)
	v_mul_hi_u32 v54, v45, v52
	v_mul_lo_u32 v56, v45, v50
	v_mul_hi_u32 v60, v45, v50
	v_mul_hi_u32 v64, v46, v52
	v_mul_lo_u32 v52, v46, v52
	v_mul_hi_u32 v65, v46, v50
	v_mul_lo_u32 v50, v46, v50
	v_add_co_u32 v54, vcc_lo, v54, v56
	v_add_co_ci_u32_e32 v56, vcc_lo, 0, v60, vcc_lo
	s_delay_alu instid0(VALU_DEP_2) | instskip(NEXT) | instid1(VALU_DEP_2)
	v_add_co_u32 v52, vcc_lo, v54, v52
	v_add_co_ci_u32_e32 v52, vcc_lo, v56, v64, vcc_lo
	v_add_co_ci_u32_e32 v54, vcc_lo, 0, v65, vcc_lo
	v_add_co_u32 v56, vcc_lo, v47, v68
	v_add_co_ci_u32_e32 v60, vcc_lo, v48, v68, vcc_lo
	s_delay_alu instid0(VALU_DEP_4) | instskip(NEXT) | instid1(VALU_DEP_4)
	v_add_co_u32 v50, vcc_lo, v52, v50
	v_add_co_ci_u32_e32 v52, vcc_lo, 0, v54, vcc_lo
	s_delay_alu instid0(VALU_DEP_4) | instskip(NEXT) | instid1(VALU_DEP_3)
	v_xor_b32_e32 v54, v56, v68
	v_add_co_u32 v50, vcc_lo, v45, v50
	s_delay_alu instid0(VALU_DEP_3) | instskip(SKIP_1) | instid1(VALU_DEP_3)
	v_add_co_ci_u32_e32 v52, vcc_lo, v46, v52, vcc_lo
	v_xor_b32_e32 v56, v60, v68
	v_mul_hi_u32 v60, v54, v50
	s_delay_alu instid0(VALU_DEP_3) | instskip(NEXT) | instid1(VALU_DEP_3)
	v_mad_u64_u32 v[45:46], null, v54, v52, 0
	v_mad_u64_u32 v[64:65], null, v56, v50, 0
	;; [unrolled: 1-line block ×3, first 2 shown]
	s_delay_alu instid0(VALU_DEP_3) | instskip(NEXT) | instid1(VALU_DEP_4)
	v_add_co_u32 v45, vcc_lo, v60, v45
	v_add_co_ci_u32_e32 v46, vcc_lo, 0, v46, vcc_lo
	s_delay_alu instid0(VALU_DEP_2) | instskip(NEXT) | instid1(VALU_DEP_2)
	v_add_co_u32 v45, vcc_lo, v45, v64
	v_add_co_ci_u32_e32 v45, vcc_lo, v46, v65, vcc_lo
	v_add_co_ci_u32_e32 v46, vcc_lo, 0, v67, vcc_lo
	s_delay_alu instid0(VALU_DEP_2) | instskip(NEXT) | instid1(VALU_DEP_2)
	v_add_co_u32 v50, vcc_lo, v45, v66
	v_add_co_ci_u32_e32 v52, vcc_lo, 0, v46, vcc_lo
	s_delay_alu instid0(VALU_DEP_2) | instskip(SKIP_1) | instid1(VALU_DEP_3)
	v_mul_lo_u32 v60, s11, v50
	v_mad_u64_u32 v[45:46], null, s10, v50, 0
	v_mul_lo_u32 v64, s10, v52
	s_delay_alu instid0(VALU_DEP_2) | instskip(NEXT) | instid1(VALU_DEP_2)
	v_sub_co_u32 v45, vcc_lo, v54, v45
	v_add3_u32 v46, v46, v64, v60
	s_delay_alu instid0(VALU_DEP_1) | instskip(NEXT) | instid1(VALU_DEP_1)
	v_sub_nc_u32_e32 v60, v56, v46
	v_subrev_co_ci_u32_e64 v54, s6, s11, v60, vcc_lo
	v_add_co_u32 v60, s6, v50, 2
	s_delay_alu instid0(VALU_DEP_1) | instskip(SKIP_3) | instid1(VALU_DEP_3)
	v_add_co_ci_u32_e64 v64, s6, 0, v52, s6
	v_sub_co_u32 v65, s6, v45, s10
	v_sub_co_ci_u32_e32 v46, vcc_lo, v56, v46, vcc_lo
	v_subrev_co_ci_u32_e64 v54, s6, 0, v54, s6
	v_cmp_le_u32_e32 vcc_lo, s10, v65
	s_delay_alu instid0(VALU_DEP_3) | instskip(SKIP_1) | instid1(VALU_DEP_4)
	v_cmp_eq_u32_e64 s6, s11, v46
	v_cndmask_b32_e64 v56, 0, -1, vcc_lo
	v_cmp_le_u32_e32 vcc_lo, s11, v54
	v_cndmask_b32_e64 v65, 0, -1, vcc_lo
	v_cmp_le_u32_e32 vcc_lo, s10, v45
	v_cndmask_b32_e64 v45, 0, -1, vcc_lo
	v_cmp_le_u32_e32 vcc_lo, s11, v46
	v_cndmask_b32_e64 v66, 0, -1, vcc_lo
	v_cmp_eq_u32_e32 vcc_lo, s11, v54
	s_delay_alu instid0(VALU_DEP_2) | instskip(SKIP_3) | instid1(VALU_DEP_3)
	v_cndmask_b32_e64 v45, v66, v45, s6
	v_cndmask_b32_e32 v54, v65, v56, vcc_lo
	v_add_co_u32 v56, vcc_lo, v50, 1
	v_add_co_ci_u32_e32 v65, vcc_lo, 0, v52, vcc_lo
	v_cmp_ne_u32_e32 vcc_lo, 0, v54
	s_delay_alu instid0(VALU_DEP_2) | instskip(NEXT) | instid1(VALU_DEP_4)
	v_cndmask_b32_e32 v46, v65, v64, vcc_lo
	v_cndmask_b32_e32 v54, v56, v60, vcc_lo
	v_cmp_ne_u32_e32 vcc_lo, 0, v45
	v_xor_b32_e32 v56, s8, v68
	s_delay_alu instid0(VALU_DEP_4) | instskip(NEXT) | instid1(VALU_DEP_4)
	v_cndmask_b32_e32 v45, v52, v46, vcc_lo
	v_cndmask_b32_e32 v46, v50, v54, vcc_lo
	s_delay_alu instid0(VALU_DEP_2) | instskip(NEXT) | instid1(VALU_DEP_2)
	v_xor_b32_e32 v50, v45, v56
	v_xor_b32_e32 v46, v46, v56
	s_delay_alu instid0(VALU_DEP_1) | instskip(NEXT) | instid1(VALU_DEP_3)
	v_sub_co_u32 v45, vcc_lo, v46, v56
	v_sub_co_ci_u32_e32 v46, vcc_lo, v50, v56, vcc_lo
.LBB1139_270:
	s_and_not1_saveexec_b32 s6, s12
	s_cbranch_execz .LBB1139_272
; %bb.271:
	v_cvt_f32_u32_e32 v45, s44
	s_sub_i32 s8, 0, s44
	s_delay_alu instid0(VALU_DEP_1) | instskip(SKIP_2) | instid1(VALU_DEP_1)
	v_rcp_iflag_f32_e32 v45, v45
	s_waitcnt_depctr 0xfff
	v_mul_f32_e32 v45, 0x4f7ffffe, v45
	v_cvt_u32_f32_e32 v45, v45
	s_delay_alu instid0(VALU_DEP_1) | instskip(NEXT) | instid1(VALU_DEP_1)
	v_mul_lo_u32 v46, s8, v45
	v_mul_hi_u32 v46, v45, v46
	s_delay_alu instid0(VALU_DEP_1) | instskip(NEXT) | instid1(VALU_DEP_1)
	v_add_nc_u32_e32 v45, v45, v46
	v_mul_hi_u32 v45, v47, v45
	s_delay_alu instid0(VALU_DEP_1) | instskip(SKIP_1) | instid1(VALU_DEP_2)
	v_mul_lo_u32 v46, v45, s44
	v_add_nc_u32_e32 v50, 1, v45
	v_sub_nc_u32_e32 v46, v47, v46
	s_delay_alu instid0(VALU_DEP_1) | instskip(SKIP_1) | instid1(VALU_DEP_2)
	v_subrev_nc_u32_e32 v52, s44, v46
	v_cmp_le_u32_e32 vcc_lo, s44, v46
	v_dual_cndmask_b32 v46, v46, v52 :: v_dual_cndmask_b32 v45, v45, v50
	s_delay_alu instid0(VALU_DEP_1) | instskip(SKIP_1) | instid1(VALU_DEP_3)
	v_cmp_le_u32_e32 vcc_lo, s44, v46
	v_mov_b32_e32 v46, 0
	v_add_nc_u32_e32 v50, 1, v45
	s_delay_alu instid0(VALU_DEP_1)
	v_cndmask_b32_e32 v45, v45, v50, vcc_lo
.LBB1139_272:
	s_or_b32 exec_lo, exec_lo, s6
	s_delay_alu instid0(VALU_DEP_1) | instskip(NEXT) | instid1(VALU_DEP_2)
	v_mul_lo_u32 v50, v46, s44
	v_mul_lo_u32 v52, v45, s45
	v_mad_u64_u32 v[64:65], null, v45, s44, 0
	s_delay_alu instid0(VALU_DEP_1) | instskip(NEXT) | instid1(VALU_DEP_2)
	v_add3_u32 v50, v65, v52, v50
	v_sub_co_u32 v47, vcc_lo, v47, v64
	s_delay_alu instid0(VALU_DEP_2) | instskip(NEXT) | instid1(VALU_DEP_2)
	v_sub_co_ci_u32_e32 v48, vcc_lo, v48, v50, vcc_lo
	v_add_co_u32 v45, vcc_lo, v45, v47
	s_delay_alu instid0(VALU_DEP_2)
	v_add_co_ci_u32_e32 v46, vcc_lo, v46, v48, vcc_lo
	s_or_b32 exec_lo, exec_lo, s7
                                        ; implicit-def: $vgpr47_vgpr48
	s_and_saveexec_b32 s10, s5
	s_cbranch_execz .LBB1139_223
.LBB1139_273:
	v_add_co_u32 v49, s5, s30, v49
	s_delay_alu instid0(VALU_DEP_1) | instskip(SKIP_1) | instid1(VALU_DEP_2)
	v_add_co_ci_u32_e64 v50, null, s31, 0, s5
	v_mov_b32_e32 v47, 0
	v_or_b32_e32 v48, s45, v50
	s_delay_alu instid0(VALU_DEP_1) | instskip(SKIP_1) | instid1(SALU_CYCLE_1)
	v_cmp_ne_u64_e32 vcc_lo, 0, v[47:48]
                                        ; implicit-def: $vgpr47_vgpr48
	s_and_saveexec_b32 s5, vcc_lo
	s_xor_b32 s11, exec_lo, s5
	s_cbranch_execz .LBB1139_275
; %bb.274:
	s_ashr_i32 s6, s45, 31
	v_ashrrev_i32_e32 v68, 31, v50
	s_add_u32 s8, s44, s6
	s_mov_b32 s7, s6
	s_addc_u32 s9, s45, s6
	s_delay_alu instid0(SALU_CYCLE_1) | instskip(NEXT) | instid1(SALU_CYCLE_1)
	s_xor_b64 s[8:9], s[8:9], s[6:7]
	v_cvt_f32_u32_e32 v47, s8
	v_cvt_f32_u32_e32 v48, s9
	s_sub_u32 s5, 0, s8
	s_subb_u32 s7, 0, s9
	s_delay_alu instid0(VALU_DEP_1) | instskip(NEXT) | instid1(VALU_DEP_1)
	v_fmamk_f32 v47, v48, 0x4f800000, v47
	v_rcp_f32_e32 v47, v47
	s_waitcnt_depctr 0xfff
	v_mul_f32_e32 v47, 0x5f7ffffc, v47
	s_delay_alu instid0(VALU_DEP_1) | instskip(NEXT) | instid1(VALU_DEP_1)
	v_mul_f32_e32 v48, 0x2f800000, v47
	v_trunc_f32_e32 v48, v48
	s_delay_alu instid0(VALU_DEP_1) | instskip(SKIP_1) | instid1(VALU_DEP_2)
	v_fmamk_f32 v47, v48, 0xcf800000, v47
	v_cvt_u32_f32_e32 v48, v48
	v_cvt_u32_f32_e32 v47, v47
	s_delay_alu instid0(VALU_DEP_2) | instskip(NEXT) | instid1(VALU_DEP_2)
	v_mul_lo_u32 v52, s5, v48
	v_mul_hi_u32 v54, s5, v47
	v_mul_lo_u32 v56, s7, v47
	s_delay_alu instid0(VALU_DEP_2) | instskip(SKIP_1) | instid1(VALU_DEP_2)
	v_add_nc_u32_e32 v52, v54, v52
	v_mul_lo_u32 v54, s5, v47
	v_add_nc_u32_e32 v52, v52, v56
	s_delay_alu instid0(VALU_DEP_2) | instskip(NEXT) | instid1(VALU_DEP_2)
	v_mul_hi_u32 v56, v47, v54
	v_mul_lo_u32 v60, v47, v52
	v_mul_hi_u32 v64, v47, v52
	v_mul_hi_u32 v65, v48, v54
	v_mul_lo_u32 v54, v48, v54
	v_mul_hi_u32 v66, v48, v52
	v_mul_lo_u32 v52, v48, v52
	v_add_co_u32 v56, vcc_lo, v56, v60
	v_add_co_ci_u32_e32 v60, vcc_lo, 0, v64, vcc_lo
	s_delay_alu instid0(VALU_DEP_2) | instskip(NEXT) | instid1(VALU_DEP_2)
	v_add_co_u32 v54, vcc_lo, v56, v54
	v_add_co_ci_u32_e32 v54, vcc_lo, v60, v65, vcc_lo
	v_add_co_ci_u32_e32 v56, vcc_lo, 0, v66, vcc_lo
	s_delay_alu instid0(VALU_DEP_2) | instskip(NEXT) | instid1(VALU_DEP_2)
	v_add_co_u32 v52, vcc_lo, v54, v52
	v_add_co_ci_u32_e32 v54, vcc_lo, 0, v56, vcc_lo
	s_delay_alu instid0(VALU_DEP_2) | instskip(NEXT) | instid1(VALU_DEP_2)
	v_add_co_u32 v47, vcc_lo, v47, v52
	v_add_co_ci_u32_e32 v48, vcc_lo, v48, v54, vcc_lo
	s_delay_alu instid0(VALU_DEP_2) | instskip(SKIP_1) | instid1(VALU_DEP_3)
	v_mul_hi_u32 v52, s5, v47
	v_mul_lo_u32 v56, s7, v47
	v_mul_lo_u32 v54, s5, v48
	s_delay_alu instid0(VALU_DEP_1) | instskip(SKIP_1) | instid1(VALU_DEP_2)
	v_add_nc_u32_e32 v52, v52, v54
	v_mul_lo_u32 v54, s5, v47
	v_add_nc_u32_e32 v52, v52, v56
	s_delay_alu instid0(VALU_DEP_2) | instskip(NEXT) | instid1(VALU_DEP_2)
	v_mul_hi_u32 v56, v47, v54
	v_mul_lo_u32 v60, v47, v52
	v_mul_hi_u32 v64, v47, v52
	v_mul_hi_u32 v65, v48, v54
	v_mul_lo_u32 v54, v48, v54
	v_mul_hi_u32 v66, v48, v52
	v_mul_lo_u32 v52, v48, v52
	v_add_co_u32 v56, vcc_lo, v56, v60
	v_add_co_ci_u32_e32 v60, vcc_lo, 0, v64, vcc_lo
	s_delay_alu instid0(VALU_DEP_2) | instskip(NEXT) | instid1(VALU_DEP_2)
	v_add_co_u32 v54, vcc_lo, v56, v54
	v_add_co_ci_u32_e32 v54, vcc_lo, v60, v65, vcc_lo
	v_add_co_ci_u32_e32 v56, vcc_lo, 0, v66, vcc_lo
	v_add_co_u32 v60, vcc_lo, v49, v68
	v_add_co_ci_u32_e32 v64, vcc_lo, v50, v68, vcc_lo
	s_delay_alu instid0(VALU_DEP_4) | instskip(NEXT) | instid1(VALU_DEP_4)
	v_add_co_u32 v52, vcc_lo, v54, v52
	v_add_co_ci_u32_e32 v54, vcc_lo, 0, v56, vcc_lo
	s_delay_alu instid0(VALU_DEP_4) | instskip(NEXT) | instid1(VALU_DEP_3)
	v_xor_b32_e32 v56, v60, v68
	v_add_co_u32 v52, vcc_lo, v47, v52
	s_delay_alu instid0(VALU_DEP_3) | instskip(SKIP_1) | instid1(VALU_DEP_3)
	v_add_co_ci_u32_e32 v54, vcc_lo, v48, v54, vcc_lo
	v_xor_b32_e32 v60, v64, v68
	v_mul_hi_u32 v69, v56, v52
	s_delay_alu instid0(VALU_DEP_3) | instskip(NEXT) | instid1(VALU_DEP_3)
	v_mad_u64_u32 v[47:48], null, v56, v54, 0
	v_mad_u64_u32 v[64:65], null, v60, v52, 0
	;; [unrolled: 1-line block ×3, first 2 shown]
	s_delay_alu instid0(VALU_DEP_3) | instskip(NEXT) | instid1(VALU_DEP_4)
	v_add_co_u32 v47, vcc_lo, v69, v47
	v_add_co_ci_u32_e32 v48, vcc_lo, 0, v48, vcc_lo
	s_delay_alu instid0(VALU_DEP_2) | instskip(NEXT) | instid1(VALU_DEP_2)
	v_add_co_u32 v47, vcc_lo, v47, v64
	v_add_co_ci_u32_e32 v47, vcc_lo, v48, v65, vcc_lo
	v_add_co_ci_u32_e32 v48, vcc_lo, 0, v67, vcc_lo
	s_delay_alu instid0(VALU_DEP_2) | instskip(NEXT) | instid1(VALU_DEP_2)
	v_add_co_u32 v52, vcc_lo, v47, v66
	v_add_co_ci_u32_e32 v54, vcc_lo, 0, v48, vcc_lo
	s_delay_alu instid0(VALU_DEP_2) | instskip(SKIP_1) | instid1(VALU_DEP_3)
	v_mul_lo_u32 v64, s9, v52
	v_mad_u64_u32 v[47:48], null, s8, v52, 0
	v_mul_lo_u32 v65, s8, v54
	s_delay_alu instid0(VALU_DEP_2) | instskip(NEXT) | instid1(VALU_DEP_2)
	v_sub_co_u32 v47, vcc_lo, v56, v47
	v_add3_u32 v48, v48, v65, v64
	s_delay_alu instid0(VALU_DEP_1) | instskip(NEXT) | instid1(VALU_DEP_1)
	v_sub_nc_u32_e32 v64, v60, v48
	v_subrev_co_ci_u32_e64 v56, s5, s9, v64, vcc_lo
	v_add_co_u32 v64, s5, v52, 2
	s_delay_alu instid0(VALU_DEP_1) | instskip(SKIP_3) | instid1(VALU_DEP_3)
	v_add_co_ci_u32_e64 v65, s5, 0, v54, s5
	v_sub_co_u32 v66, s5, v47, s8
	v_sub_co_ci_u32_e32 v48, vcc_lo, v60, v48, vcc_lo
	v_subrev_co_ci_u32_e64 v56, s5, 0, v56, s5
	v_cmp_le_u32_e32 vcc_lo, s8, v66
	s_delay_alu instid0(VALU_DEP_3) | instskip(SKIP_1) | instid1(VALU_DEP_4)
	v_cmp_eq_u32_e64 s5, s9, v48
	v_cndmask_b32_e64 v60, 0, -1, vcc_lo
	v_cmp_le_u32_e32 vcc_lo, s9, v56
	v_cndmask_b32_e64 v66, 0, -1, vcc_lo
	v_cmp_le_u32_e32 vcc_lo, s8, v47
	;; [unrolled: 2-line block ×3, first 2 shown]
	v_cndmask_b32_e64 v67, 0, -1, vcc_lo
	v_cmp_eq_u32_e32 vcc_lo, s9, v56
	s_delay_alu instid0(VALU_DEP_2) | instskip(SKIP_3) | instid1(VALU_DEP_3)
	v_cndmask_b32_e64 v47, v67, v47, s5
	v_cndmask_b32_e32 v56, v66, v60, vcc_lo
	v_add_co_u32 v60, vcc_lo, v52, 1
	v_add_co_ci_u32_e32 v66, vcc_lo, 0, v54, vcc_lo
	v_cmp_ne_u32_e32 vcc_lo, 0, v56
	s_delay_alu instid0(VALU_DEP_2) | instskip(NEXT) | instid1(VALU_DEP_4)
	v_cndmask_b32_e32 v48, v66, v65, vcc_lo
	v_cndmask_b32_e32 v56, v60, v64, vcc_lo
	v_cmp_ne_u32_e32 vcc_lo, 0, v47
	v_xor_b32_e32 v60, s6, v68
	s_delay_alu instid0(VALU_DEP_4) | instskip(NEXT) | instid1(VALU_DEP_4)
	v_cndmask_b32_e32 v47, v54, v48, vcc_lo
	v_cndmask_b32_e32 v48, v52, v56, vcc_lo
	s_delay_alu instid0(VALU_DEP_2) | instskip(NEXT) | instid1(VALU_DEP_2)
	v_xor_b32_e32 v52, v47, v60
	v_xor_b32_e32 v48, v48, v60
	s_delay_alu instid0(VALU_DEP_1) | instskip(NEXT) | instid1(VALU_DEP_3)
	v_sub_co_u32 v47, vcc_lo, v48, v60
	v_sub_co_ci_u32_e32 v48, vcc_lo, v52, v60, vcc_lo
.LBB1139_275:
	s_and_not1_saveexec_b32 s5, s11
	s_cbranch_execz .LBB1139_277
; %bb.276:
	v_cvt_f32_u32_e32 v47, s44
	s_sub_i32 s6, 0, s44
	s_delay_alu instid0(VALU_DEP_1) | instskip(SKIP_2) | instid1(VALU_DEP_1)
	v_rcp_iflag_f32_e32 v47, v47
	s_waitcnt_depctr 0xfff
	v_mul_f32_e32 v47, 0x4f7ffffe, v47
	v_cvt_u32_f32_e32 v47, v47
	s_delay_alu instid0(VALU_DEP_1) | instskip(NEXT) | instid1(VALU_DEP_1)
	v_mul_lo_u32 v48, s6, v47
	v_mul_hi_u32 v48, v47, v48
	s_delay_alu instid0(VALU_DEP_1) | instskip(NEXT) | instid1(VALU_DEP_1)
	v_add_nc_u32_e32 v47, v47, v48
	v_mul_hi_u32 v47, v49, v47
	s_delay_alu instid0(VALU_DEP_1) | instskip(SKIP_1) | instid1(VALU_DEP_2)
	v_mul_lo_u32 v48, v47, s44
	v_add_nc_u32_e32 v52, 1, v47
	v_sub_nc_u32_e32 v48, v49, v48
	s_delay_alu instid0(VALU_DEP_1) | instskip(SKIP_1) | instid1(VALU_DEP_2)
	v_subrev_nc_u32_e32 v54, s44, v48
	v_cmp_le_u32_e32 vcc_lo, s44, v48
	v_dual_cndmask_b32 v48, v48, v54 :: v_dual_cndmask_b32 v47, v47, v52
	s_delay_alu instid0(VALU_DEP_1) | instskip(SKIP_1) | instid1(VALU_DEP_3)
	v_cmp_le_u32_e32 vcc_lo, s44, v48
	v_mov_b32_e32 v48, 0
	v_add_nc_u32_e32 v52, 1, v47
	s_delay_alu instid0(VALU_DEP_1)
	v_cndmask_b32_e32 v47, v47, v52, vcc_lo
.LBB1139_277:
	s_or_b32 exec_lo, exec_lo, s5
	s_delay_alu instid0(VALU_DEP_1) | instskip(NEXT) | instid1(VALU_DEP_2)
	v_mul_lo_u32 v52, v48, s44
	v_mul_lo_u32 v54, v47, s45
	v_mad_u64_u32 v[64:65], null, v47, s44, 0
	s_delay_alu instid0(VALU_DEP_1) | instskip(NEXT) | instid1(VALU_DEP_2)
	v_add3_u32 v52, v65, v54, v52
	v_sub_co_u32 v49, vcc_lo, v49, v64
	s_delay_alu instid0(VALU_DEP_2) | instskip(NEXT) | instid1(VALU_DEP_2)
	v_sub_co_ci_u32_e32 v50, vcc_lo, v50, v52, vcc_lo
	v_add_co_u32 v47, vcc_lo, v47, v49
	s_delay_alu instid0(VALU_DEP_2)
	v_add_co_ci_u32_e32 v48, vcc_lo, v48, v50, vcc_lo
	s_or_b32 exec_lo, exec_lo, s10
                                        ; implicit-def: $vgpr49_vgpr50
	s_and_saveexec_b32 s5, s4
	s_cbranch_execz .LBB1139_224
.LBB1139_278:
	v_add_co_u32 v51, s4, s30, v51
	s_delay_alu instid0(VALU_DEP_1) | instskip(SKIP_1) | instid1(VALU_DEP_2)
	v_add_co_ci_u32_e64 v52, null, s31, 0, s4
	v_mov_b32_e32 v49, 0
	v_or_b32_e32 v50, s45, v52
	s_delay_alu instid0(VALU_DEP_1) | instskip(SKIP_1) | instid1(SALU_CYCLE_1)
	v_cmp_ne_u64_e32 vcc_lo, 0, v[49:50]
                                        ; implicit-def: $vgpr49_vgpr50
	s_and_saveexec_b32 s4, vcc_lo
	s_xor_b32 s10, exec_lo, s4
	s_cbranch_execz .LBB1139_280
; %bb.279:
	s_ashr_i32 s6, s45, 31
	v_ashrrev_i32_e32 v68, 31, v52
	s_add_u32 s8, s44, s6
	s_mov_b32 s7, s6
	s_addc_u32 s9, s45, s6
	s_delay_alu instid0(SALU_CYCLE_1) | instskip(NEXT) | instid1(SALU_CYCLE_1)
	s_xor_b64 s[8:9], s[8:9], s[6:7]
	v_cvt_f32_u32_e32 v49, s8
	v_cvt_f32_u32_e32 v50, s9
	s_sub_u32 s4, 0, s8
	s_subb_u32 s7, 0, s9
	s_delay_alu instid0(VALU_DEP_1) | instskip(NEXT) | instid1(VALU_DEP_1)
	v_fmamk_f32 v49, v50, 0x4f800000, v49
	v_rcp_f32_e32 v49, v49
	s_waitcnt_depctr 0xfff
	v_mul_f32_e32 v49, 0x5f7ffffc, v49
	s_delay_alu instid0(VALU_DEP_1) | instskip(NEXT) | instid1(VALU_DEP_1)
	v_mul_f32_e32 v50, 0x2f800000, v49
	v_trunc_f32_e32 v50, v50
	s_delay_alu instid0(VALU_DEP_1) | instskip(SKIP_1) | instid1(VALU_DEP_2)
	v_fmamk_f32 v49, v50, 0xcf800000, v49
	v_cvt_u32_f32_e32 v50, v50
	v_cvt_u32_f32_e32 v49, v49
	s_delay_alu instid0(VALU_DEP_2) | instskip(NEXT) | instid1(VALU_DEP_2)
	v_mul_lo_u32 v54, s4, v50
	v_mul_hi_u32 v56, s4, v49
	v_mul_lo_u32 v60, s7, v49
	s_delay_alu instid0(VALU_DEP_2) | instskip(SKIP_1) | instid1(VALU_DEP_2)
	v_add_nc_u32_e32 v54, v56, v54
	v_mul_lo_u32 v56, s4, v49
	v_add_nc_u32_e32 v54, v54, v60
	s_delay_alu instid0(VALU_DEP_2) | instskip(NEXT) | instid1(VALU_DEP_2)
	v_mul_hi_u32 v60, v49, v56
	v_mul_lo_u32 v64, v49, v54
	v_mul_hi_u32 v65, v49, v54
	v_mul_hi_u32 v66, v50, v56
	v_mul_lo_u32 v56, v50, v56
	v_mul_hi_u32 v67, v50, v54
	v_mul_lo_u32 v54, v50, v54
	v_add_co_u32 v60, vcc_lo, v60, v64
	v_add_co_ci_u32_e32 v64, vcc_lo, 0, v65, vcc_lo
	s_delay_alu instid0(VALU_DEP_2) | instskip(NEXT) | instid1(VALU_DEP_2)
	v_add_co_u32 v56, vcc_lo, v60, v56
	v_add_co_ci_u32_e32 v56, vcc_lo, v64, v66, vcc_lo
	v_add_co_ci_u32_e32 v60, vcc_lo, 0, v67, vcc_lo
	s_delay_alu instid0(VALU_DEP_2) | instskip(NEXT) | instid1(VALU_DEP_2)
	v_add_co_u32 v54, vcc_lo, v56, v54
	v_add_co_ci_u32_e32 v56, vcc_lo, 0, v60, vcc_lo
	s_delay_alu instid0(VALU_DEP_2) | instskip(NEXT) | instid1(VALU_DEP_2)
	v_add_co_u32 v49, vcc_lo, v49, v54
	v_add_co_ci_u32_e32 v50, vcc_lo, v50, v56, vcc_lo
	s_delay_alu instid0(VALU_DEP_2) | instskip(SKIP_1) | instid1(VALU_DEP_3)
	v_mul_hi_u32 v54, s4, v49
	v_mul_lo_u32 v60, s7, v49
	v_mul_lo_u32 v56, s4, v50
	s_delay_alu instid0(VALU_DEP_1) | instskip(SKIP_1) | instid1(VALU_DEP_2)
	v_add_nc_u32_e32 v54, v54, v56
	v_mul_lo_u32 v56, s4, v49
	v_add_nc_u32_e32 v54, v54, v60
	s_delay_alu instid0(VALU_DEP_2) | instskip(NEXT) | instid1(VALU_DEP_2)
	v_mul_hi_u32 v60, v49, v56
	v_mul_lo_u32 v64, v49, v54
	v_mul_hi_u32 v65, v49, v54
	v_mul_hi_u32 v66, v50, v56
	v_mul_lo_u32 v56, v50, v56
	v_mul_hi_u32 v67, v50, v54
	v_mul_lo_u32 v54, v50, v54
	v_add_co_u32 v60, vcc_lo, v60, v64
	v_add_co_ci_u32_e32 v64, vcc_lo, 0, v65, vcc_lo
	s_delay_alu instid0(VALU_DEP_2) | instskip(NEXT) | instid1(VALU_DEP_2)
	v_add_co_u32 v56, vcc_lo, v60, v56
	v_add_co_ci_u32_e32 v56, vcc_lo, v64, v66, vcc_lo
	v_add_co_ci_u32_e32 v60, vcc_lo, 0, v67, vcc_lo
	v_add_co_u32 v64, vcc_lo, v51, v68
	v_add_co_ci_u32_e32 v65, vcc_lo, v52, v68, vcc_lo
	s_delay_alu instid0(VALU_DEP_4) | instskip(NEXT) | instid1(VALU_DEP_4)
	v_add_co_u32 v54, vcc_lo, v56, v54
	v_add_co_ci_u32_e32 v56, vcc_lo, 0, v60, vcc_lo
	s_delay_alu instid0(VALU_DEP_4) | instskip(NEXT) | instid1(VALU_DEP_3)
	v_xor_b32_e32 v60, v64, v68
	v_add_co_u32 v54, vcc_lo, v49, v54
	s_delay_alu instid0(VALU_DEP_3) | instskip(SKIP_1) | instid1(VALU_DEP_3)
	v_add_co_ci_u32_e32 v56, vcc_lo, v50, v56, vcc_lo
	v_xor_b32_e32 v69, v65, v68
	v_mul_hi_u32 v70, v60, v54
	s_delay_alu instid0(VALU_DEP_3) | instskip(NEXT) | instid1(VALU_DEP_3)
	v_mad_u64_u32 v[49:50], null, v60, v56, 0
	v_mad_u64_u32 v[64:65], null, v69, v54, 0
	;; [unrolled: 1-line block ×3, first 2 shown]
	s_delay_alu instid0(VALU_DEP_3) | instskip(NEXT) | instid1(VALU_DEP_4)
	v_add_co_u32 v49, vcc_lo, v70, v49
	v_add_co_ci_u32_e32 v50, vcc_lo, 0, v50, vcc_lo
	s_delay_alu instid0(VALU_DEP_2) | instskip(NEXT) | instid1(VALU_DEP_2)
	v_add_co_u32 v49, vcc_lo, v49, v64
	v_add_co_ci_u32_e32 v49, vcc_lo, v50, v65, vcc_lo
	v_add_co_ci_u32_e32 v50, vcc_lo, 0, v67, vcc_lo
	s_delay_alu instid0(VALU_DEP_2) | instskip(NEXT) | instid1(VALU_DEP_2)
	v_add_co_u32 v54, vcc_lo, v49, v66
	v_add_co_ci_u32_e32 v56, vcc_lo, 0, v50, vcc_lo
	s_delay_alu instid0(VALU_DEP_2) | instskip(SKIP_1) | instid1(VALU_DEP_3)
	v_mul_lo_u32 v64, s9, v54
	v_mad_u64_u32 v[49:50], null, s8, v54, 0
	v_mul_lo_u32 v65, s8, v56
	s_delay_alu instid0(VALU_DEP_2) | instskip(NEXT) | instid1(VALU_DEP_2)
	v_sub_co_u32 v49, vcc_lo, v60, v49
	v_add3_u32 v50, v50, v65, v64
	s_delay_alu instid0(VALU_DEP_1) | instskip(NEXT) | instid1(VALU_DEP_1)
	v_sub_nc_u32_e32 v64, v69, v50
	v_subrev_co_ci_u32_e64 v60, s4, s9, v64, vcc_lo
	v_add_co_u32 v64, s4, v54, 2
	s_delay_alu instid0(VALU_DEP_1) | instskip(SKIP_3) | instid1(VALU_DEP_3)
	v_add_co_ci_u32_e64 v65, s4, 0, v56, s4
	v_sub_co_u32 v66, s4, v49, s8
	v_sub_co_ci_u32_e32 v50, vcc_lo, v69, v50, vcc_lo
	v_subrev_co_ci_u32_e64 v60, s4, 0, v60, s4
	v_cmp_le_u32_e32 vcc_lo, s8, v66
	s_delay_alu instid0(VALU_DEP_3) | instskip(SKIP_1) | instid1(VALU_DEP_4)
	v_cmp_eq_u32_e64 s4, s9, v50
	v_cndmask_b32_e64 v66, 0, -1, vcc_lo
	v_cmp_le_u32_e32 vcc_lo, s9, v60
	v_cndmask_b32_e64 v67, 0, -1, vcc_lo
	v_cmp_le_u32_e32 vcc_lo, s8, v49
	;; [unrolled: 2-line block ×3, first 2 shown]
	v_cndmask_b32_e64 v69, 0, -1, vcc_lo
	v_cmp_eq_u32_e32 vcc_lo, s9, v60
	s_delay_alu instid0(VALU_DEP_2) | instskip(SKIP_3) | instid1(VALU_DEP_3)
	v_cndmask_b32_e64 v49, v69, v49, s4
	v_cndmask_b32_e32 v60, v67, v66, vcc_lo
	v_add_co_u32 v66, vcc_lo, v54, 1
	v_add_co_ci_u32_e32 v67, vcc_lo, 0, v56, vcc_lo
	v_cmp_ne_u32_e32 vcc_lo, 0, v60
	s_delay_alu instid0(VALU_DEP_2) | instskip(NEXT) | instid1(VALU_DEP_4)
	v_cndmask_b32_e32 v50, v67, v65, vcc_lo
	v_cndmask_b32_e32 v60, v66, v64, vcc_lo
	v_cmp_ne_u32_e32 vcc_lo, 0, v49
	v_xor_b32_e32 v64, s6, v68
	s_delay_alu instid0(VALU_DEP_3) | instskip(NEXT) | instid1(VALU_DEP_1)
	v_dual_cndmask_b32 v49, v56, v50 :: v_dual_cndmask_b32 v50, v54, v60
	v_xor_b32_e32 v54, v49, v64
	s_delay_alu instid0(VALU_DEP_2) | instskip(NEXT) | instid1(VALU_DEP_1)
	v_xor_b32_e32 v50, v50, v64
	v_sub_co_u32 v49, vcc_lo, v50, v64
	s_delay_alu instid0(VALU_DEP_3)
	v_sub_co_ci_u32_e32 v50, vcc_lo, v54, v64, vcc_lo
.LBB1139_280:
	s_and_not1_saveexec_b32 s4, s10
	s_cbranch_execz .LBB1139_282
; %bb.281:
	v_cvt_f32_u32_e32 v49, s44
	s_sub_i32 s6, 0, s44
	s_delay_alu instid0(VALU_DEP_1) | instskip(SKIP_2) | instid1(VALU_DEP_1)
	v_rcp_iflag_f32_e32 v49, v49
	s_waitcnt_depctr 0xfff
	v_mul_f32_e32 v49, 0x4f7ffffe, v49
	v_cvt_u32_f32_e32 v49, v49
	s_delay_alu instid0(VALU_DEP_1) | instskip(NEXT) | instid1(VALU_DEP_1)
	v_mul_lo_u32 v50, s6, v49
	v_mul_hi_u32 v50, v49, v50
	s_delay_alu instid0(VALU_DEP_1) | instskip(NEXT) | instid1(VALU_DEP_1)
	v_add_nc_u32_e32 v49, v49, v50
	v_mul_hi_u32 v49, v51, v49
	s_delay_alu instid0(VALU_DEP_1) | instskip(SKIP_1) | instid1(VALU_DEP_2)
	v_mul_lo_u32 v50, v49, s44
	v_add_nc_u32_e32 v54, 1, v49
	v_sub_nc_u32_e32 v50, v51, v50
	s_delay_alu instid0(VALU_DEP_1) | instskip(SKIP_1) | instid1(VALU_DEP_2)
	v_subrev_nc_u32_e32 v56, s44, v50
	v_cmp_le_u32_e32 vcc_lo, s44, v50
	v_dual_cndmask_b32 v50, v50, v56 :: v_dual_cndmask_b32 v49, v49, v54
	s_delay_alu instid0(VALU_DEP_1) | instskip(SKIP_1) | instid1(VALU_DEP_3)
	v_cmp_le_u32_e32 vcc_lo, s44, v50
	v_mov_b32_e32 v50, 0
	v_add_nc_u32_e32 v54, 1, v49
	s_delay_alu instid0(VALU_DEP_1)
	v_cndmask_b32_e32 v49, v49, v54, vcc_lo
.LBB1139_282:
	s_or_b32 exec_lo, exec_lo, s4
	s_delay_alu instid0(VALU_DEP_1) | instskip(NEXT) | instid1(VALU_DEP_2)
	v_mul_lo_u32 v54, v50, s44
	v_mul_lo_u32 v56, v49, s45
	v_mad_u64_u32 v[64:65], null, v49, s44, 0
	s_delay_alu instid0(VALU_DEP_1) | instskip(NEXT) | instid1(VALU_DEP_2)
	v_add3_u32 v54, v65, v56, v54
	v_sub_co_u32 v51, vcc_lo, v51, v64
	s_delay_alu instid0(VALU_DEP_2) | instskip(NEXT) | instid1(VALU_DEP_2)
	v_sub_co_ci_u32_e32 v52, vcc_lo, v52, v54, vcc_lo
	v_add_co_u32 v49, vcc_lo, v49, v51
	s_delay_alu instid0(VALU_DEP_2)
	v_add_co_ci_u32_e32 v50, vcc_lo, v50, v52, vcc_lo
	s_or_b32 exec_lo, exec_lo, s5
                                        ; implicit-def: $vgpr51_vgpr52
	s_and_saveexec_b32 s8, s3
	s_cbranch_execz .LBB1139_225
.LBB1139_283:
	v_add_co_u32 v53, s3, s30, v53
	s_delay_alu instid0(VALU_DEP_1) | instskip(SKIP_1) | instid1(VALU_DEP_2)
	v_add_co_ci_u32_e64 v54, null, s31, 0, s3
	v_mov_b32_e32 v51, 0
	v_or_b32_e32 v52, s45, v54
	s_delay_alu instid0(VALU_DEP_1) | instskip(SKIP_1) | instid1(SALU_CYCLE_1)
	v_cmp_ne_u64_e32 vcc_lo, 0, v[51:52]
                                        ; implicit-def: $vgpr51_vgpr52
	s_and_saveexec_b32 s3, vcc_lo
	s_xor_b32 s9, exec_lo, s3
	s_cbranch_execz .LBB1139_285
; %bb.284:
	s_ashr_i32 s4, s45, 31
	s_delay_alu instid0(SALU_CYCLE_1) | instskip(SKIP_2) | instid1(SALU_CYCLE_1)
	s_add_u32 s6, s44, s4
	s_mov_b32 s5, s4
	s_addc_u32 s7, s45, s4
	s_xor_b64 s[6:7], s[6:7], s[4:5]
	s_delay_alu instid0(SALU_CYCLE_1) | instskip(SKIP_3) | instid1(VALU_DEP_1)
	v_cvt_f32_u32_e32 v51, s6
	v_cvt_f32_u32_e32 v52, s7
	s_sub_u32 s3, 0, s6
	s_subb_u32 s5, 0, s7
	v_fmamk_f32 v51, v52, 0x4f800000, v51
	s_delay_alu instid0(VALU_DEP_1) | instskip(SKIP_2) | instid1(VALU_DEP_1)
	v_rcp_f32_e32 v51, v51
	s_waitcnt_depctr 0xfff
	v_mul_f32_e32 v51, 0x5f7ffffc, v51
	v_mul_f32_e32 v52, 0x2f800000, v51
	s_delay_alu instid0(VALU_DEP_1) | instskip(NEXT) | instid1(VALU_DEP_1)
	v_trunc_f32_e32 v52, v52
	v_fmamk_f32 v51, v52, 0xcf800000, v51
	v_cvt_u32_f32_e32 v52, v52
	s_delay_alu instid0(VALU_DEP_2) | instskip(NEXT) | instid1(VALU_DEP_2)
	v_cvt_u32_f32_e32 v51, v51
	v_mul_lo_u32 v56, s3, v52
	s_delay_alu instid0(VALU_DEP_2) | instskip(SKIP_1) | instid1(VALU_DEP_2)
	v_mul_hi_u32 v60, s3, v51
	v_mul_lo_u32 v64, s5, v51
	v_add_nc_u32_e32 v56, v60, v56
	v_mul_lo_u32 v60, s3, v51
	s_delay_alu instid0(VALU_DEP_2) | instskip(NEXT) | instid1(VALU_DEP_2)
	v_add_nc_u32_e32 v56, v56, v64
	v_mul_hi_u32 v64, v51, v60
	s_delay_alu instid0(VALU_DEP_2)
	v_mul_lo_u32 v65, v51, v56
	v_mul_hi_u32 v66, v51, v56
	v_mul_hi_u32 v67, v52, v60
	v_mul_lo_u32 v60, v52, v60
	v_mul_hi_u32 v68, v52, v56
	v_mul_lo_u32 v56, v52, v56
	v_add_co_u32 v64, vcc_lo, v64, v65
	v_add_co_ci_u32_e32 v65, vcc_lo, 0, v66, vcc_lo
	s_delay_alu instid0(VALU_DEP_2) | instskip(NEXT) | instid1(VALU_DEP_2)
	v_add_co_u32 v60, vcc_lo, v64, v60
	v_add_co_ci_u32_e32 v60, vcc_lo, v65, v67, vcc_lo
	v_add_co_ci_u32_e32 v64, vcc_lo, 0, v68, vcc_lo
	v_ashrrev_i32_e32 v68, 31, v54
	s_delay_alu instid0(VALU_DEP_3) | instskip(NEXT) | instid1(VALU_DEP_3)
	v_add_co_u32 v56, vcc_lo, v60, v56
	v_add_co_ci_u32_e32 v60, vcc_lo, 0, v64, vcc_lo
	s_delay_alu instid0(VALU_DEP_2) | instskip(NEXT) | instid1(VALU_DEP_2)
	v_add_co_u32 v51, vcc_lo, v51, v56
	v_add_co_ci_u32_e32 v52, vcc_lo, v52, v60, vcc_lo
	s_delay_alu instid0(VALU_DEP_2) | instskip(SKIP_1) | instid1(VALU_DEP_3)
	v_mul_hi_u32 v56, s3, v51
	v_mul_lo_u32 v64, s5, v51
	v_mul_lo_u32 v60, s3, v52
	s_delay_alu instid0(VALU_DEP_1) | instskip(SKIP_1) | instid1(VALU_DEP_2)
	v_add_nc_u32_e32 v56, v56, v60
	v_mul_lo_u32 v60, s3, v51
	v_add_nc_u32_e32 v56, v56, v64
	s_delay_alu instid0(VALU_DEP_2) | instskip(NEXT) | instid1(VALU_DEP_2)
	v_mul_hi_u32 v64, v51, v60
	v_mul_lo_u32 v65, v51, v56
	v_mul_hi_u32 v66, v51, v56
	v_mul_hi_u32 v67, v52, v60
	v_mul_lo_u32 v60, v52, v60
	v_mul_hi_u32 v69, v52, v56
	v_mul_lo_u32 v56, v52, v56
	v_add_co_u32 v64, vcc_lo, v64, v65
	v_add_co_ci_u32_e32 v65, vcc_lo, 0, v66, vcc_lo
	s_delay_alu instid0(VALU_DEP_2) | instskip(NEXT) | instid1(VALU_DEP_2)
	v_add_co_u32 v60, vcc_lo, v64, v60
	v_add_co_ci_u32_e32 v60, vcc_lo, v65, v67, vcc_lo
	v_add_co_ci_u32_e32 v64, vcc_lo, 0, v69, vcc_lo
	v_add_co_u32 v65, vcc_lo, v53, v68
	v_add_co_ci_u32_e32 v66, vcc_lo, v54, v68, vcc_lo
	s_delay_alu instid0(VALU_DEP_4) | instskip(NEXT) | instid1(VALU_DEP_4)
	v_add_co_u32 v56, vcc_lo, v60, v56
	v_add_co_ci_u32_e32 v60, vcc_lo, 0, v64, vcc_lo
	s_delay_alu instid0(VALU_DEP_4) | instskip(NEXT) | instid1(VALU_DEP_3)
	v_xor_b32_e32 v69, v65, v68
	v_add_co_u32 v56, vcc_lo, v51, v56
	s_delay_alu instid0(VALU_DEP_3) | instskip(SKIP_1) | instid1(VALU_DEP_3)
	v_add_co_ci_u32_e32 v60, vcc_lo, v52, v60, vcc_lo
	v_xor_b32_e32 v70, v66, v68
	v_mul_hi_u32 v71, v69, v56
	s_delay_alu instid0(VALU_DEP_3) | instskip(NEXT) | instid1(VALU_DEP_3)
	v_mad_u64_u32 v[51:52], null, v69, v60, 0
	v_mad_u64_u32 v[64:65], null, v70, v56, 0
	;; [unrolled: 1-line block ×3, first 2 shown]
	s_delay_alu instid0(VALU_DEP_3) | instskip(NEXT) | instid1(VALU_DEP_4)
	v_add_co_u32 v51, vcc_lo, v71, v51
	v_add_co_ci_u32_e32 v52, vcc_lo, 0, v52, vcc_lo
	s_delay_alu instid0(VALU_DEP_2) | instskip(NEXT) | instid1(VALU_DEP_2)
	v_add_co_u32 v51, vcc_lo, v51, v64
	v_add_co_ci_u32_e32 v51, vcc_lo, v52, v65, vcc_lo
	v_add_co_ci_u32_e32 v52, vcc_lo, 0, v67, vcc_lo
	s_delay_alu instid0(VALU_DEP_2) | instskip(NEXT) | instid1(VALU_DEP_2)
	v_add_co_u32 v56, vcc_lo, v51, v66
	v_add_co_ci_u32_e32 v60, vcc_lo, 0, v52, vcc_lo
	s_delay_alu instid0(VALU_DEP_2) | instskip(SKIP_1) | instid1(VALU_DEP_3)
	v_mul_lo_u32 v64, s7, v56
	v_mad_u64_u32 v[51:52], null, s6, v56, 0
	v_mul_lo_u32 v65, s6, v60
	s_delay_alu instid0(VALU_DEP_2) | instskip(NEXT) | instid1(VALU_DEP_2)
	v_sub_co_u32 v51, vcc_lo, v69, v51
	v_add3_u32 v52, v52, v65, v64
	s_delay_alu instid0(VALU_DEP_1) | instskip(NEXT) | instid1(VALU_DEP_1)
	v_sub_nc_u32_e32 v64, v70, v52
	v_subrev_co_ci_u32_e64 v64, s3, s7, v64, vcc_lo
	v_add_co_u32 v65, s3, v56, 2
	s_delay_alu instid0(VALU_DEP_1) | instskip(SKIP_3) | instid1(VALU_DEP_3)
	v_add_co_ci_u32_e64 v66, s3, 0, v60, s3
	v_sub_co_u32 v67, s3, v51, s6
	v_sub_co_ci_u32_e32 v52, vcc_lo, v70, v52, vcc_lo
	v_subrev_co_ci_u32_e64 v64, s3, 0, v64, s3
	v_cmp_le_u32_e32 vcc_lo, s6, v67
	s_delay_alu instid0(VALU_DEP_3) | instskip(SKIP_1) | instid1(VALU_DEP_4)
	v_cmp_eq_u32_e64 s3, s7, v52
	v_cndmask_b32_e64 v67, 0, -1, vcc_lo
	v_cmp_le_u32_e32 vcc_lo, s7, v64
	v_cndmask_b32_e64 v69, 0, -1, vcc_lo
	v_cmp_le_u32_e32 vcc_lo, s6, v51
	;; [unrolled: 2-line block ×3, first 2 shown]
	v_cndmask_b32_e64 v70, 0, -1, vcc_lo
	v_cmp_eq_u32_e32 vcc_lo, s7, v64
	s_delay_alu instid0(VALU_DEP_2) | instskip(SKIP_3) | instid1(VALU_DEP_3)
	v_cndmask_b32_e64 v51, v70, v51, s3
	v_cndmask_b32_e32 v64, v69, v67, vcc_lo
	v_add_co_u32 v67, vcc_lo, v56, 1
	v_add_co_ci_u32_e32 v69, vcc_lo, 0, v60, vcc_lo
	v_cmp_ne_u32_e32 vcc_lo, 0, v64
	s_delay_alu instid0(VALU_DEP_2) | instskip(NEXT) | instid1(VALU_DEP_4)
	v_cndmask_b32_e32 v52, v69, v66, vcc_lo
	v_cndmask_b32_e32 v64, v67, v65, vcc_lo
	v_cmp_ne_u32_e32 vcc_lo, 0, v51
	v_xor_b32_e32 v65, s4, v68
	s_delay_alu instid0(VALU_DEP_4) | instskip(NEXT) | instid1(VALU_DEP_4)
	v_cndmask_b32_e32 v51, v60, v52, vcc_lo
	v_cndmask_b32_e32 v52, v56, v64, vcc_lo
	s_delay_alu instid0(VALU_DEP_2) | instskip(NEXT) | instid1(VALU_DEP_2)
	v_xor_b32_e32 v56, v51, v65
	v_xor_b32_e32 v52, v52, v65
	s_delay_alu instid0(VALU_DEP_1) | instskip(NEXT) | instid1(VALU_DEP_3)
	v_sub_co_u32 v51, vcc_lo, v52, v65
	v_sub_co_ci_u32_e32 v52, vcc_lo, v56, v65, vcc_lo
.LBB1139_285:
	s_and_not1_saveexec_b32 s3, s9
	s_cbranch_execz .LBB1139_287
; %bb.286:
	v_cvt_f32_u32_e32 v51, s44
	s_sub_i32 s4, 0, s44
	s_delay_alu instid0(VALU_DEP_1) | instskip(SKIP_2) | instid1(VALU_DEP_1)
	v_rcp_iflag_f32_e32 v51, v51
	s_waitcnt_depctr 0xfff
	v_mul_f32_e32 v51, 0x4f7ffffe, v51
	v_cvt_u32_f32_e32 v51, v51
	s_delay_alu instid0(VALU_DEP_1) | instskip(NEXT) | instid1(VALU_DEP_1)
	v_mul_lo_u32 v52, s4, v51
	v_mul_hi_u32 v52, v51, v52
	s_delay_alu instid0(VALU_DEP_1) | instskip(NEXT) | instid1(VALU_DEP_1)
	v_add_nc_u32_e32 v51, v51, v52
	v_mul_hi_u32 v51, v53, v51
	s_delay_alu instid0(VALU_DEP_1) | instskip(SKIP_1) | instid1(VALU_DEP_2)
	v_mul_lo_u32 v52, v51, s44
	v_add_nc_u32_e32 v56, 1, v51
	v_sub_nc_u32_e32 v52, v53, v52
	s_delay_alu instid0(VALU_DEP_1) | instskip(SKIP_1) | instid1(VALU_DEP_2)
	v_subrev_nc_u32_e32 v60, s44, v52
	v_cmp_le_u32_e32 vcc_lo, s44, v52
	v_cndmask_b32_e32 v52, v52, v60, vcc_lo
	v_cndmask_b32_e32 v51, v51, v56, vcc_lo
	s_delay_alu instid0(VALU_DEP_2) | instskip(SKIP_1) | instid1(VALU_DEP_3)
	v_cmp_le_u32_e32 vcc_lo, s44, v52
	v_mov_b32_e32 v52, 0
	v_add_nc_u32_e32 v56, 1, v51
	s_delay_alu instid0(VALU_DEP_1)
	v_cndmask_b32_e32 v51, v51, v56, vcc_lo
.LBB1139_287:
	s_or_b32 exec_lo, exec_lo, s3
	s_delay_alu instid0(VALU_DEP_1) | instskip(NEXT) | instid1(VALU_DEP_2)
	v_mul_lo_u32 v56, v52, s44
	v_mul_lo_u32 v60, v51, s45
	v_mad_u64_u32 v[64:65], null, v51, s44, 0
	s_delay_alu instid0(VALU_DEP_1) | instskip(NEXT) | instid1(VALU_DEP_2)
	v_add3_u32 v56, v65, v60, v56
	v_sub_co_u32 v53, vcc_lo, v53, v64
	s_delay_alu instid0(VALU_DEP_2) | instskip(NEXT) | instid1(VALU_DEP_2)
	v_sub_co_ci_u32_e32 v54, vcc_lo, v54, v56, vcc_lo
	v_add_co_u32 v51, vcc_lo, v51, v53
	s_delay_alu instid0(VALU_DEP_2)
	v_add_co_ci_u32_e32 v52, vcc_lo, v52, v54, vcc_lo
	s_or_b32 exec_lo, exec_lo, s8
                                        ; implicit-def: $vgpr53_vgpr54
	s_and_saveexec_b32 s3, s2
	s_cbranch_execz .LBB1139_226
.LBB1139_288:
	v_add_co_u32 v55, s2, s30, v55
	s_delay_alu instid0(VALU_DEP_1) | instskip(SKIP_1) | instid1(VALU_DEP_2)
	v_add_co_ci_u32_e64 v56, null, s31, 0, s2
	v_mov_b32_e32 v53, 0
	v_or_b32_e32 v54, s45, v56
	s_delay_alu instid0(VALU_DEP_1) | instskip(SKIP_1) | instid1(SALU_CYCLE_1)
	v_cmp_ne_u64_e32 vcc_lo, 0, v[53:54]
                                        ; implicit-def: $vgpr53_vgpr54
	s_and_saveexec_b32 s2, vcc_lo
	s_xor_b32 s8, exec_lo, s2
	s_cbranch_execz .LBB1139_290
; %bb.289:
	s_ashr_i32 s4, s45, 31
	s_delay_alu instid0(SALU_CYCLE_1) | instskip(SKIP_2) | instid1(SALU_CYCLE_1)
	s_add_u32 s6, s44, s4
	s_mov_b32 s5, s4
	s_addc_u32 s7, s45, s4
	s_xor_b64 s[6:7], s[6:7], s[4:5]
	s_delay_alu instid0(SALU_CYCLE_1) | instskip(SKIP_3) | instid1(VALU_DEP_1)
	v_cvt_f32_u32_e32 v53, s6
	v_cvt_f32_u32_e32 v54, s7
	s_sub_u32 s2, 0, s6
	s_subb_u32 s5, 0, s7
	v_fmamk_f32 v53, v54, 0x4f800000, v53
	s_delay_alu instid0(VALU_DEP_1) | instskip(SKIP_2) | instid1(VALU_DEP_1)
	v_rcp_f32_e32 v53, v53
	s_waitcnt_depctr 0xfff
	v_mul_f32_e32 v53, 0x5f7ffffc, v53
	v_mul_f32_e32 v54, 0x2f800000, v53
	s_delay_alu instid0(VALU_DEP_1) | instskip(NEXT) | instid1(VALU_DEP_1)
	v_trunc_f32_e32 v54, v54
	v_fmamk_f32 v53, v54, 0xcf800000, v53
	v_cvt_u32_f32_e32 v54, v54
	s_delay_alu instid0(VALU_DEP_2) | instskip(NEXT) | instid1(VALU_DEP_2)
	v_cvt_u32_f32_e32 v53, v53
	v_mul_lo_u32 v60, s2, v54
	s_delay_alu instid0(VALU_DEP_2) | instskip(SKIP_1) | instid1(VALU_DEP_2)
	v_mul_hi_u32 v64, s2, v53
	v_mul_lo_u32 v65, s5, v53
	v_add_nc_u32_e32 v60, v64, v60
	v_mul_lo_u32 v64, s2, v53
	s_delay_alu instid0(VALU_DEP_2) | instskip(NEXT) | instid1(VALU_DEP_2)
	v_add_nc_u32_e32 v60, v60, v65
	v_mul_hi_u32 v65, v53, v64
	s_delay_alu instid0(VALU_DEP_2)
	v_mul_lo_u32 v66, v53, v60
	v_mul_hi_u32 v67, v53, v60
	v_mul_hi_u32 v68, v54, v64
	v_mul_lo_u32 v64, v54, v64
	v_mul_hi_u32 v69, v54, v60
	v_mul_lo_u32 v60, v54, v60
	v_add_co_u32 v65, vcc_lo, v65, v66
	v_add_co_ci_u32_e32 v66, vcc_lo, 0, v67, vcc_lo
	s_delay_alu instid0(VALU_DEP_2) | instskip(NEXT) | instid1(VALU_DEP_2)
	v_add_co_u32 v64, vcc_lo, v65, v64
	v_add_co_ci_u32_e32 v64, vcc_lo, v66, v68, vcc_lo
	v_add_co_ci_u32_e32 v65, vcc_lo, 0, v69, vcc_lo
	v_ashrrev_i32_e32 v68, 31, v56
	s_delay_alu instid0(VALU_DEP_3) | instskip(NEXT) | instid1(VALU_DEP_3)
	v_add_co_u32 v60, vcc_lo, v64, v60
	v_add_co_ci_u32_e32 v64, vcc_lo, 0, v65, vcc_lo
	s_delay_alu instid0(VALU_DEP_2) | instskip(NEXT) | instid1(VALU_DEP_2)
	v_add_co_u32 v53, vcc_lo, v53, v60
	v_add_co_ci_u32_e32 v54, vcc_lo, v54, v64, vcc_lo
	s_delay_alu instid0(VALU_DEP_2) | instskip(SKIP_1) | instid1(VALU_DEP_3)
	v_mul_hi_u32 v60, s2, v53
	v_mul_lo_u32 v65, s5, v53
	v_mul_lo_u32 v64, s2, v54
	s_delay_alu instid0(VALU_DEP_1) | instskip(SKIP_1) | instid1(VALU_DEP_2)
	v_add_nc_u32_e32 v60, v60, v64
	v_mul_lo_u32 v64, s2, v53
	v_add_nc_u32_e32 v60, v60, v65
	s_delay_alu instid0(VALU_DEP_2) | instskip(NEXT) | instid1(VALU_DEP_2)
	v_mul_hi_u32 v65, v53, v64
	v_mul_lo_u32 v66, v53, v60
	v_mul_hi_u32 v67, v53, v60
	v_mul_hi_u32 v69, v54, v64
	v_mul_lo_u32 v64, v54, v64
	v_mul_hi_u32 v70, v54, v60
	v_mul_lo_u32 v60, v54, v60
	v_add_co_u32 v65, vcc_lo, v65, v66
	v_add_co_ci_u32_e32 v66, vcc_lo, 0, v67, vcc_lo
	s_delay_alu instid0(VALU_DEP_2) | instskip(NEXT) | instid1(VALU_DEP_2)
	v_add_co_u32 v64, vcc_lo, v65, v64
	v_add_co_ci_u32_e32 v64, vcc_lo, v66, v69, vcc_lo
	v_add_co_ci_u32_e32 v65, vcc_lo, 0, v70, vcc_lo
	v_add_co_u32 v66, vcc_lo, v55, v68
	v_add_co_ci_u32_e32 v67, vcc_lo, v56, v68, vcc_lo
	s_delay_alu instid0(VALU_DEP_4) | instskip(NEXT) | instid1(VALU_DEP_4)
	v_add_co_u32 v60, vcc_lo, v64, v60
	v_add_co_ci_u32_e32 v64, vcc_lo, 0, v65, vcc_lo
	s_delay_alu instid0(VALU_DEP_4) | instskip(NEXT) | instid1(VALU_DEP_3)
	v_xor_b32_e32 v69, v66, v68
	v_add_co_u32 v60, vcc_lo, v53, v60
	s_delay_alu instid0(VALU_DEP_3) | instskip(SKIP_1) | instid1(VALU_DEP_3)
	v_add_co_ci_u32_e32 v70, vcc_lo, v54, v64, vcc_lo
	v_xor_b32_e32 v71, v67, v68
	v_mul_hi_u32 v72, v69, v60
	s_delay_alu instid0(VALU_DEP_3) | instskip(NEXT) | instid1(VALU_DEP_3)
	v_mad_u64_u32 v[53:54], null, v69, v70, 0
	v_mad_u64_u32 v[64:65], null, v71, v60, 0
	;; [unrolled: 1-line block ×3, first 2 shown]
	s_delay_alu instid0(VALU_DEP_3) | instskip(NEXT) | instid1(VALU_DEP_4)
	v_add_co_u32 v53, vcc_lo, v72, v53
	v_add_co_ci_u32_e32 v54, vcc_lo, 0, v54, vcc_lo
	s_delay_alu instid0(VALU_DEP_2) | instskip(NEXT) | instid1(VALU_DEP_2)
	v_add_co_u32 v53, vcc_lo, v53, v64
	v_add_co_ci_u32_e32 v53, vcc_lo, v54, v65, vcc_lo
	v_add_co_ci_u32_e32 v54, vcc_lo, 0, v67, vcc_lo
	s_delay_alu instid0(VALU_DEP_2) | instskip(NEXT) | instid1(VALU_DEP_2)
	v_add_co_u32 v60, vcc_lo, v53, v66
	v_add_co_ci_u32_e32 v64, vcc_lo, 0, v54, vcc_lo
	s_delay_alu instid0(VALU_DEP_2) | instskip(SKIP_1) | instid1(VALU_DEP_3)
	v_mul_lo_u32 v65, s7, v60
	v_mad_u64_u32 v[53:54], null, s6, v60, 0
	v_mul_lo_u32 v66, s6, v64
	s_delay_alu instid0(VALU_DEP_2) | instskip(NEXT) | instid1(VALU_DEP_2)
	v_sub_co_u32 v53, vcc_lo, v69, v53
	v_add3_u32 v54, v54, v66, v65
	s_delay_alu instid0(VALU_DEP_1) | instskip(NEXT) | instid1(VALU_DEP_1)
	v_sub_nc_u32_e32 v65, v71, v54
	v_subrev_co_ci_u32_e64 v65, s2, s7, v65, vcc_lo
	v_add_co_u32 v66, s2, v60, 2
	s_delay_alu instid0(VALU_DEP_1) | instskip(SKIP_3) | instid1(VALU_DEP_3)
	v_add_co_ci_u32_e64 v67, s2, 0, v64, s2
	v_sub_co_u32 v69, s2, v53, s6
	v_sub_co_ci_u32_e32 v54, vcc_lo, v71, v54, vcc_lo
	v_subrev_co_ci_u32_e64 v65, s2, 0, v65, s2
	v_cmp_le_u32_e32 vcc_lo, s6, v69
	s_delay_alu instid0(VALU_DEP_3) | instskip(SKIP_1) | instid1(VALU_DEP_4)
	v_cmp_eq_u32_e64 s2, s7, v54
	v_cndmask_b32_e64 v69, 0, -1, vcc_lo
	v_cmp_le_u32_e32 vcc_lo, s7, v65
	v_cndmask_b32_e64 v70, 0, -1, vcc_lo
	v_cmp_le_u32_e32 vcc_lo, s6, v53
	;; [unrolled: 2-line block ×3, first 2 shown]
	v_cndmask_b32_e64 v71, 0, -1, vcc_lo
	v_cmp_eq_u32_e32 vcc_lo, s7, v65
	s_delay_alu instid0(VALU_DEP_2) | instskip(SKIP_3) | instid1(VALU_DEP_3)
	v_cndmask_b32_e64 v53, v71, v53, s2
	v_cndmask_b32_e32 v65, v70, v69, vcc_lo
	v_add_co_u32 v69, vcc_lo, v60, 1
	v_add_co_ci_u32_e32 v70, vcc_lo, 0, v64, vcc_lo
	v_cmp_ne_u32_e32 vcc_lo, 0, v65
	s_delay_alu instid0(VALU_DEP_2) | instskip(SKIP_2) | instid1(VALU_DEP_3)
	v_dual_cndmask_b32 v54, v70, v67 :: v_dual_cndmask_b32 v65, v69, v66
	v_cmp_ne_u32_e32 vcc_lo, 0, v53
	v_xor_b32_e32 v66, s4, v68
	v_cndmask_b32_e32 v53, v64, v54, vcc_lo
	s_delay_alu instid0(VALU_DEP_4) | instskip(NEXT) | instid1(VALU_DEP_2)
	v_cndmask_b32_e32 v54, v60, v65, vcc_lo
	v_xor_b32_e32 v60, v53, v66
	s_delay_alu instid0(VALU_DEP_2) | instskip(NEXT) | instid1(VALU_DEP_1)
	v_xor_b32_e32 v54, v54, v66
	v_sub_co_u32 v53, vcc_lo, v54, v66
	s_delay_alu instid0(VALU_DEP_3)
	v_sub_co_ci_u32_e32 v54, vcc_lo, v60, v66, vcc_lo
.LBB1139_290:
	s_and_not1_saveexec_b32 s2, s8
	s_cbranch_execz .LBB1139_292
; %bb.291:
	v_cvt_f32_u32_e32 v53, s44
	s_sub_i32 s4, 0, s44
	s_delay_alu instid0(VALU_DEP_1) | instskip(SKIP_2) | instid1(VALU_DEP_1)
	v_rcp_iflag_f32_e32 v53, v53
	s_waitcnt_depctr 0xfff
	v_mul_f32_e32 v53, 0x4f7ffffe, v53
	v_cvt_u32_f32_e32 v53, v53
	s_delay_alu instid0(VALU_DEP_1) | instskip(NEXT) | instid1(VALU_DEP_1)
	v_mul_lo_u32 v54, s4, v53
	v_mul_hi_u32 v54, v53, v54
	s_delay_alu instid0(VALU_DEP_1) | instskip(NEXT) | instid1(VALU_DEP_1)
	v_add_nc_u32_e32 v53, v53, v54
	v_mul_hi_u32 v53, v55, v53
	s_delay_alu instid0(VALU_DEP_1) | instskip(SKIP_1) | instid1(VALU_DEP_2)
	v_mul_lo_u32 v54, v53, s44
	v_add_nc_u32_e32 v60, 1, v53
	v_sub_nc_u32_e32 v54, v55, v54
	s_delay_alu instid0(VALU_DEP_1) | instskip(SKIP_1) | instid1(VALU_DEP_2)
	v_subrev_nc_u32_e32 v64, s44, v54
	v_cmp_le_u32_e32 vcc_lo, s44, v54
	v_cndmask_b32_e32 v54, v54, v64, vcc_lo
	v_cndmask_b32_e32 v53, v53, v60, vcc_lo
	s_delay_alu instid0(VALU_DEP_2) | instskip(SKIP_1) | instid1(VALU_DEP_3)
	v_cmp_le_u32_e32 vcc_lo, s44, v54
	v_mov_b32_e32 v54, 0
	v_add_nc_u32_e32 v60, 1, v53
	s_delay_alu instid0(VALU_DEP_1)
	v_cndmask_b32_e32 v53, v53, v60, vcc_lo
.LBB1139_292:
	s_or_b32 exec_lo, exec_lo, s2
	s_delay_alu instid0(VALU_DEP_1) | instskip(NEXT) | instid1(VALU_DEP_2)
	v_mul_lo_u32 v60, v54, s44
	v_mul_lo_u32 v66, v53, s45
	v_mad_u64_u32 v[64:65], null, v53, s44, 0
	s_delay_alu instid0(VALU_DEP_1) | instskip(NEXT) | instid1(VALU_DEP_2)
	v_add3_u32 v60, v65, v66, v60
	v_sub_co_u32 v55, vcc_lo, v55, v64
	s_delay_alu instid0(VALU_DEP_2) | instskip(NEXT) | instid1(VALU_DEP_2)
	v_sub_co_ci_u32_e32 v56, vcc_lo, v56, v60, vcc_lo
	v_add_co_u32 v53, vcc_lo, v53, v55
	s_delay_alu instid0(VALU_DEP_2)
	v_add_co_ci_u32_e32 v54, vcc_lo, v54, v56, vcc_lo
	s_or_b32 exec_lo, exec_lo, s3
                                        ; implicit-def: $vgpr55_vgpr56
	s_and_saveexec_b32 s6, s1
	s_cbranch_execz .LBB1139_227
.LBB1139_293:
	v_add_co_u32 v59, s1, s30, v59
	s_delay_alu instid0(VALU_DEP_1) | instskip(SKIP_1) | instid1(VALU_DEP_2)
	v_add_co_ci_u32_e64 v60, null, s31, 0, s1
	v_mov_b32_e32 v55, 0
	v_or_b32_e32 v56, s45, v60
	s_delay_alu instid0(VALU_DEP_1) | instskip(SKIP_1) | instid1(SALU_CYCLE_1)
	v_cmp_ne_u64_e32 vcc_lo, 0, v[55:56]
                                        ; implicit-def: $vgpr55_vgpr56
	s_and_saveexec_b32 s1, vcc_lo
	s_xor_b32 s7, exec_lo, s1
	s_cbranch_execz .LBB1139_295
; %bb.294:
	s_ashr_i32 s2, s45, 31
	s_delay_alu instid0(SALU_CYCLE_1) | instskip(SKIP_2) | instid1(SALU_CYCLE_1)
	s_add_u32 s4, s44, s2
	s_mov_b32 s3, s2
	s_addc_u32 s5, s45, s2
	s_xor_b64 s[4:5], s[4:5], s[2:3]
	s_delay_alu instid0(SALU_CYCLE_1) | instskip(SKIP_3) | instid1(VALU_DEP_1)
	v_cvt_f32_u32_e32 v55, s4
	v_cvt_f32_u32_e32 v56, s5
	s_sub_u32 s1, 0, s4
	s_subb_u32 s3, 0, s5
	v_fmamk_f32 v55, v56, 0x4f800000, v55
	s_delay_alu instid0(VALU_DEP_1) | instskip(SKIP_2) | instid1(VALU_DEP_1)
	v_rcp_f32_e32 v55, v55
	s_waitcnt_depctr 0xfff
	v_mul_f32_e32 v55, 0x5f7ffffc, v55
	v_mul_f32_e32 v56, 0x2f800000, v55
	s_delay_alu instid0(VALU_DEP_1) | instskip(NEXT) | instid1(VALU_DEP_1)
	v_trunc_f32_e32 v56, v56
	v_fmamk_f32 v55, v56, 0xcf800000, v55
	v_cvt_u32_f32_e32 v56, v56
	s_delay_alu instid0(VALU_DEP_2) | instskip(NEXT) | instid1(VALU_DEP_2)
	v_cvt_u32_f32_e32 v55, v55
	v_mul_lo_u32 v64, s1, v56
	s_delay_alu instid0(VALU_DEP_2) | instskip(SKIP_1) | instid1(VALU_DEP_2)
	v_mul_hi_u32 v65, s1, v55
	v_mul_lo_u32 v66, s3, v55
	v_add_nc_u32_e32 v64, v65, v64
	v_mul_lo_u32 v65, s1, v55
	s_delay_alu instid0(VALU_DEP_2) | instskip(NEXT) | instid1(VALU_DEP_2)
	v_add_nc_u32_e32 v64, v64, v66
	v_mul_hi_u32 v66, v55, v65
	s_delay_alu instid0(VALU_DEP_2)
	v_mul_lo_u32 v67, v55, v64
	v_mul_hi_u32 v68, v55, v64
	v_mul_hi_u32 v69, v56, v65
	v_mul_lo_u32 v65, v56, v65
	v_mul_hi_u32 v70, v56, v64
	v_mul_lo_u32 v64, v56, v64
	v_add_co_u32 v66, vcc_lo, v66, v67
	v_add_co_ci_u32_e32 v67, vcc_lo, 0, v68, vcc_lo
	s_delay_alu instid0(VALU_DEP_2) | instskip(NEXT) | instid1(VALU_DEP_2)
	v_add_co_u32 v65, vcc_lo, v66, v65
	v_add_co_ci_u32_e32 v65, vcc_lo, v67, v69, vcc_lo
	v_add_co_ci_u32_e32 v66, vcc_lo, 0, v70, vcc_lo
	v_ashrrev_i32_e32 v69, 31, v60
	s_delay_alu instid0(VALU_DEP_3) | instskip(NEXT) | instid1(VALU_DEP_3)
	v_add_co_u32 v64, vcc_lo, v65, v64
	v_add_co_ci_u32_e32 v65, vcc_lo, 0, v66, vcc_lo
	s_delay_alu instid0(VALU_DEP_2) | instskip(NEXT) | instid1(VALU_DEP_2)
	v_add_co_u32 v55, vcc_lo, v55, v64
	v_add_co_ci_u32_e32 v56, vcc_lo, v56, v65, vcc_lo
	s_delay_alu instid0(VALU_DEP_2) | instskip(SKIP_1) | instid1(VALU_DEP_3)
	v_mul_hi_u32 v64, s1, v55
	v_mul_lo_u32 v66, s3, v55
	v_mul_lo_u32 v65, s1, v56
	s_delay_alu instid0(VALU_DEP_1) | instskip(SKIP_1) | instid1(VALU_DEP_2)
	v_add_nc_u32_e32 v64, v64, v65
	v_mul_lo_u32 v65, s1, v55
	v_add_nc_u32_e32 v64, v64, v66
	s_delay_alu instid0(VALU_DEP_2) | instskip(NEXT) | instid1(VALU_DEP_2)
	v_mul_hi_u32 v66, v55, v65
	v_mul_lo_u32 v67, v55, v64
	v_mul_hi_u32 v68, v55, v64
	v_mul_hi_u32 v70, v56, v65
	v_mul_lo_u32 v65, v56, v65
	v_mul_hi_u32 v71, v56, v64
	v_mul_lo_u32 v64, v56, v64
	v_add_co_u32 v66, vcc_lo, v66, v67
	v_add_co_ci_u32_e32 v67, vcc_lo, 0, v68, vcc_lo
	s_delay_alu instid0(VALU_DEP_2) | instskip(NEXT) | instid1(VALU_DEP_2)
	v_add_co_u32 v65, vcc_lo, v66, v65
	v_add_co_ci_u32_e32 v65, vcc_lo, v67, v70, vcc_lo
	v_add_co_ci_u32_e32 v66, vcc_lo, 0, v71, vcc_lo
	v_add_co_u32 v67, vcc_lo, v59, v69
	v_add_co_ci_u32_e32 v68, vcc_lo, v60, v69, vcc_lo
	s_delay_alu instid0(VALU_DEP_4) | instskip(NEXT) | instid1(VALU_DEP_4)
	v_add_co_u32 v64, vcc_lo, v65, v64
	v_add_co_ci_u32_e32 v65, vcc_lo, 0, v66, vcc_lo
	s_delay_alu instid0(VALU_DEP_4) | instskip(NEXT) | instid1(VALU_DEP_3)
	v_xor_b32_e32 v70, v67, v69
	v_add_co_u32 v66, vcc_lo, v55, v64
	s_delay_alu instid0(VALU_DEP_3) | instskip(SKIP_1) | instid1(VALU_DEP_3)
	v_add_co_ci_u32_e32 v71, vcc_lo, v56, v65, vcc_lo
	v_xor_b32_e32 v68, v68, v69
	v_mul_hi_u32 v72, v70, v66
	s_delay_alu instid0(VALU_DEP_3) | instskip(NEXT) | instid1(VALU_DEP_3)
	v_mad_u64_u32 v[55:56], null, v70, v71, 0
	v_mad_u64_u32 v[64:65], null, v68, v66, 0
	;; [unrolled: 1-line block ×3, first 2 shown]
	s_delay_alu instid0(VALU_DEP_3) | instskip(NEXT) | instid1(VALU_DEP_4)
	v_add_co_u32 v55, vcc_lo, v72, v55
	v_add_co_ci_u32_e32 v56, vcc_lo, 0, v56, vcc_lo
	s_delay_alu instid0(VALU_DEP_2) | instskip(NEXT) | instid1(VALU_DEP_2)
	v_add_co_u32 v55, vcc_lo, v55, v64
	v_add_co_ci_u32_e32 v55, vcc_lo, v56, v65, vcc_lo
	v_add_co_ci_u32_e32 v56, vcc_lo, 0, v67, vcc_lo
	s_delay_alu instid0(VALU_DEP_2) | instskip(NEXT) | instid1(VALU_DEP_2)
	v_add_co_u32 v64, vcc_lo, v55, v66
	v_add_co_ci_u32_e32 v65, vcc_lo, 0, v56, vcc_lo
	s_delay_alu instid0(VALU_DEP_2) | instskip(SKIP_1) | instid1(VALU_DEP_3)
	v_mul_lo_u32 v66, s5, v64
	v_mad_u64_u32 v[55:56], null, s4, v64, 0
	v_mul_lo_u32 v67, s4, v65
	s_delay_alu instid0(VALU_DEP_2) | instskip(NEXT) | instid1(VALU_DEP_2)
	v_sub_co_u32 v55, vcc_lo, v70, v55
	v_add3_u32 v56, v56, v67, v66
	s_delay_alu instid0(VALU_DEP_1) | instskip(NEXT) | instid1(VALU_DEP_1)
	v_sub_nc_u32_e32 v66, v68, v56
	v_subrev_co_ci_u32_e64 v66, s1, s5, v66, vcc_lo
	v_add_co_u32 v67, s1, v64, 2
	s_delay_alu instid0(VALU_DEP_1) | instskip(SKIP_3) | instid1(VALU_DEP_3)
	v_add_co_ci_u32_e64 v70, s1, 0, v65, s1
	v_sub_co_u32 v71, s1, v55, s4
	v_sub_co_ci_u32_e32 v56, vcc_lo, v68, v56, vcc_lo
	v_subrev_co_ci_u32_e64 v66, s1, 0, v66, s1
	v_cmp_le_u32_e32 vcc_lo, s4, v71
	s_delay_alu instid0(VALU_DEP_3) | instskip(SKIP_1) | instid1(VALU_DEP_4)
	v_cmp_eq_u32_e64 s1, s5, v56
	v_cndmask_b32_e64 v68, 0, -1, vcc_lo
	v_cmp_le_u32_e32 vcc_lo, s5, v66
	v_cndmask_b32_e64 v71, 0, -1, vcc_lo
	v_cmp_le_u32_e32 vcc_lo, s4, v55
	;; [unrolled: 2-line block ×3, first 2 shown]
	v_cndmask_b32_e64 v72, 0, -1, vcc_lo
	v_cmp_eq_u32_e32 vcc_lo, s5, v66
	s_delay_alu instid0(VALU_DEP_2) | instskip(SKIP_3) | instid1(VALU_DEP_3)
	v_cndmask_b32_e64 v55, v72, v55, s1
	v_cndmask_b32_e32 v66, v71, v68, vcc_lo
	v_add_co_u32 v68, vcc_lo, v64, 1
	v_add_co_ci_u32_e32 v71, vcc_lo, 0, v65, vcc_lo
	v_cmp_ne_u32_e32 vcc_lo, 0, v66
	s_delay_alu instid0(VALU_DEP_2) | instskip(NEXT) | instid1(VALU_DEP_4)
	v_cndmask_b32_e32 v56, v71, v70, vcc_lo
	v_cndmask_b32_e32 v66, v68, v67, vcc_lo
	v_cmp_ne_u32_e32 vcc_lo, 0, v55
	v_xor_b32_e32 v67, s2, v69
	s_delay_alu instid0(VALU_DEP_3) | instskip(NEXT) | instid1(VALU_DEP_1)
	v_dual_cndmask_b32 v55, v65, v56 :: v_dual_cndmask_b32 v56, v64, v66
	v_xor_b32_e32 v64, v55, v67
	s_delay_alu instid0(VALU_DEP_2) | instskip(NEXT) | instid1(VALU_DEP_1)
	v_xor_b32_e32 v56, v56, v67
	v_sub_co_u32 v55, vcc_lo, v56, v67
	s_delay_alu instid0(VALU_DEP_3)
	v_sub_co_ci_u32_e32 v56, vcc_lo, v64, v67, vcc_lo
.LBB1139_295:
	s_and_not1_saveexec_b32 s1, s7
	s_cbranch_execz .LBB1139_297
; %bb.296:
	v_cvt_f32_u32_e32 v55, s44
	s_sub_i32 s2, 0, s44
	s_delay_alu instid0(VALU_DEP_1) | instskip(SKIP_2) | instid1(VALU_DEP_1)
	v_rcp_iflag_f32_e32 v55, v55
	s_waitcnt_depctr 0xfff
	v_mul_f32_e32 v55, 0x4f7ffffe, v55
	v_cvt_u32_f32_e32 v55, v55
	s_delay_alu instid0(VALU_DEP_1) | instskip(NEXT) | instid1(VALU_DEP_1)
	v_mul_lo_u32 v56, s2, v55
	v_mul_hi_u32 v56, v55, v56
	s_delay_alu instid0(VALU_DEP_1) | instskip(NEXT) | instid1(VALU_DEP_1)
	v_add_nc_u32_e32 v55, v55, v56
	v_mul_hi_u32 v55, v59, v55
	s_delay_alu instid0(VALU_DEP_1) | instskip(SKIP_1) | instid1(VALU_DEP_2)
	v_mul_lo_u32 v56, v55, s44
	v_add_nc_u32_e32 v64, 1, v55
	v_sub_nc_u32_e32 v56, v59, v56
	s_delay_alu instid0(VALU_DEP_1) | instskip(SKIP_1) | instid1(VALU_DEP_2)
	v_subrev_nc_u32_e32 v65, s44, v56
	v_cmp_le_u32_e32 vcc_lo, s44, v56
	v_dual_cndmask_b32 v56, v56, v65 :: v_dual_cndmask_b32 v55, v55, v64
	s_delay_alu instid0(VALU_DEP_1) | instskip(SKIP_1) | instid1(VALU_DEP_3)
	v_cmp_le_u32_e32 vcc_lo, s44, v56
	v_mov_b32_e32 v56, 0
	v_add_nc_u32_e32 v64, 1, v55
	s_delay_alu instid0(VALU_DEP_1)
	v_cndmask_b32_e32 v55, v55, v64, vcc_lo
.LBB1139_297:
	s_or_b32 exec_lo, exec_lo, s1
	s_delay_alu instid0(VALU_DEP_1) | instskip(NEXT) | instid1(VALU_DEP_2)
	v_mul_lo_u32 v66, v56, s44
	v_mul_lo_u32 v67, v55, s45
	v_mad_u64_u32 v[64:65], null, v55, s44, 0
	s_delay_alu instid0(VALU_DEP_1) | instskip(NEXT) | instid1(VALU_DEP_2)
	v_add3_u32 v65, v65, v67, v66
	v_sub_co_u32 v59, vcc_lo, v59, v64
	s_delay_alu instid0(VALU_DEP_2) | instskip(NEXT) | instid1(VALU_DEP_2)
	v_sub_co_ci_u32_e32 v60, vcc_lo, v60, v65, vcc_lo
	v_add_co_u32 v55, vcc_lo, v55, v59
	s_delay_alu instid0(VALU_DEP_2)
	v_add_co_ci_u32_e32 v56, vcc_lo, v56, v60, vcc_lo
	s_or_b32 exec_lo, exec_lo, s6
                                        ; implicit-def: $vgpr59_vgpr60
	s_and_saveexec_b32 s1, s0
	s_cbranch_execz .LBB1139_303
.LBB1139_298:
	v_add_co_u32 v63, s0, s30, v63
	s_delay_alu instid0(VALU_DEP_1) | instskip(SKIP_1) | instid1(VALU_DEP_2)
	v_add_co_ci_u32_e64 v64, null, s31, 0, s0
	v_mov_b32_e32 v59, 0
	v_or_b32_e32 v60, s45, v64
	s_delay_alu instid0(VALU_DEP_1) | instskip(SKIP_1) | instid1(SALU_CYCLE_1)
	v_cmp_ne_u64_e32 vcc_lo, 0, v[59:60]
                                        ; implicit-def: $vgpr59_vgpr60
	s_and_saveexec_b32 s0, vcc_lo
	s_xor_b32 s6, exec_lo, s0
	s_cbranch_execz .LBB1139_300
; %bb.299:
	s_ashr_i32 s2, s45, 31
	s_delay_alu instid0(SALU_CYCLE_1) | instskip(SKIP_2) | instid1(SALU_CYCLE_1)
	s_add_u32 s4, s44, s2
	s_mov_b32 s3, s2
	s_addc_u32 s5, s45, s2
	s_xor_b64 s[4:5], s[4:5], s[2:3]
	s_delay_alu instid0(SALU_CYCLE_1) | instskip(SKIP_3) | instid1(VALU_DEP_1)
	v_cvt_f32_u32_e32 v59, s4
	v_cvt_f32_u32_e32 v60, s5
	s_sub_u32 s0, 0, s4
	s_subb_u32 s3, 0, s5
	v_fmamk_f32 v59, v60, 0x4f800000, v59
	s_delay_alu instid0(VALU_DEP_1) | instskip(SKIP_2) | instid1(VALU_DEP_1)
	v_rcp_f32_e32 v59, v59
	s_waitcnt_depctr 0xfff
	v_mul_f32_e32 v59, 0x5f7ffffc, v59
	v_mul_f32_e32 v60, 0x2f800000, v59
	s_delay_alu instid0(VALU_DEP_1) | instskip(NEXT) | instid1(VALU_DEP_1)
	v_trunc_f32_e32 v60, v60
	v_fmamk_f32 v59, v60, 0xcf800000, v59
	v_cvt_u32_f32_e32 v60, v60
	s_delay_alu instid0(VALU_DEP_2) | instskip(NEXT) | instid1(VALU_DEP_2)
	v_cvt_u32_f32_e32 v59, v59
	v_mul_lo_u32 v65, s0, v60
	s_delay_alu instid0(VALU_DEP_2) | instskip(SKIP_1) | instid1(VALU_DEP_2)
	v_mul_hi_u32 v66, s0, v59
	v_mul_lo_u32 v67, s3, v59
	v_add_nc_u32_e32 v65, v66, v65
	v_mul_lo_u32 v66, s0, v59
	s_delay_alu instid0(VALU_DEP_2) | instskip(NEXT) | instid1(VALU_DEP_2)
	v_add_nc_u32_e32 v65, v65, v67
	v_mul_hi_u32 v67, v59, v66
	s_delay_alu instid0(VALU_DEP_2)
	v_mul_lo_u32 v68, v59, v65
	v_mul_hi_u32 v69, v59, v65
	v_mul_hi_u32 v70, v60, v66
	v_mul_lo_u32 v66, v60, v66
	v_mul_hi_u32 v71, v60, v65
	v_mul_lo_u32 v65, v60, v65
	v_add_co_u32 v67, vcc_lo, v67, v68
	v_add_co_ci_u32_e32 v68, vcc_lo, 0, v69, vcc_lo
	s_delay_alu instid0(VALU_DEP_2) | instskip(NEXT) | instid1(VALU_DEP_2)
	v_add_co_u32 v66, vcc_lo, v67, v66
	v_add_co_ci_u32_e32 v66, vcc_lo, v68, v70, vcc_lo
	v_add_co_ci_u32_e32 v67, vcc_lo, 0, v71, vcc_lo
	v_ashrrev_i32_e32 v70, 31, v64
	s_delay_alu instid0(VALU_DEP_3) | instskip(NEXT) | instid1(VALU_DEP_3)
	v_add_co_u32 v65, vcc_lo, v66, v65
	v_add_co_ci_u32_e32 v66, vcc_lo, 0, v67, vcc_lo
	s_delay_alu instid0(VALU_DEP_2) | instskip(NEXT) | instid1(VALU_DEP_2)
	v_add_co_u32 v59, vcc_lo, v59, v65
	v_add_co_ci_u32_e32 v60, vcc_lo, v60, v66, vcc_lo
	s_delay_alu instid0(VALU_DEP_2) | instskip(SKIP_1) | instid1(VALU_DEP_3)
	v_mul_hi_u32 v65, s0, v59
	v_mul_lo_u32 v67, s3, v59
	v_mul_lo_u32 v66, s0, v60
	s_delay_alu instid0(VALU_DEP_1) | instskip(SKIP_1) | instid1(VALU_DEP_2)
	v_add_nc_u32_e32 v65, v65, v66
	v_mul_lo_u32 v66, s0, v59
	v_add_nc_u32_e32 v65, v65, v67
	s_delay_alu instid0(VALU_DEP_2) | instskip(NEXT) | instid1(VALU_DEP_2)
	v_mul_hi_u32 v67, v59, v66
	v_mul_lo_u32 v68, v59, v65
	v_mul_hi_u32 v69, v59, v65
	v_mul_hi_u32 v71, v60, v66
	v_mul_lo_u32 v66, v60, v66
	v_mul_hi_u32 v72, v60, v65
	v_mul_lo_u32 v65, v60, v65
	v_add_co_u32 v67, vcc_lo, v67, v68
	v_add_co_ci_u32_e32 v68, vcc_lo, 0, v69, vcc_lo
	s_delay_alu instid0(VALU_DEP_2) | instskip(NEXT) | instid1(VALU_DEP_2)
	v_add_co_u32 v66, vcc_lo, v67, v66
	v_add_co_ci_u32_e32 v66, vcc_lo, v68, v71, vcc_lo
	v_add_co_ci_u32_e32 v67, vcc_lo, 0, v72, vcc_lo
	v_add_co_u32 v68, vcc_lo, v63, v70
	v_add_co_ci_u32_e32 v69, vcc_lo, v64, v70, vcc_lo
	s_delay_alu instid0(VALU_DEP_4) | instskip(NEXT) | instid1(VALU_DEP_4)
	v_add_co_u32 v65, vcc_lo, v66, v65
	v_add_co_ci_u32_e32 v66, vcc_lo, 0, v67, vcc_lo
	s_delay_alu instid0(VALU_DEP_4) | instskip(NEXT) | instid1(VALU_DEP_3)
	v_xor_b32_e32 v71, v68, v70
	v_add_co_u32 v67, vcc_lo, v59, v65
	s_delay_alu instid0(VALU_DEP_3) | instskip(SKIP_1) | instid1(VALU_DEP_3)
	v_add_co_ci_u32_e32 v72, vcc_lo, v60, v66, vcc_lo
	v_xor_b32_e32 v69, v69, v70
	v_mul_hi_u32 v73, v71, v67
	s_delay_alu instid0(VALU_DEP_3) | instskip(NEXT) | instid1(VALU_DEP_3)
	v_mad_u64_u32 v[59:60], null, v71, v72, 0
	v_mad_u64_u32 v[65:66], null, v69, v67, 0
	;; [unrolled: 1-line block ×3, first 2 shown]
	s_delay_alu instid0(VALU_DEP_3) | instskip(NEXT) | instid1(VALU_DEP_4)
	v_add_co_u32 v59, vcc_lo, v73, v59
	v_add_co_ci_u32_e32 v60, vcc_lo, 0, v60, vcc_lo
	s_delay_alu instid0(VALU_DEP_2) | instskip(NEXT) | instid1(VALU_DEP_2)
	v_add_co_u32 v59, vcc_lo, v59, v65
	v_add_co_ci_u32_e32 v59, vcc_lo, v60, v66, vcc_lo
	v_add_co_ci_u32_e32 v60, vcc_lo, 0, v68, vcc_lo
	s_delay_alu instid0(VALU_DEP_2) | instskip(NEXT) | instid1(VALU_DEP_2)
	v_add_co_u32 v65, vcc_lo, v59, v67
	v_add_co_ci_u32_e32 v66, vcc_lo, 0, v60, vcc_lo
	s_delay_alu instid0(VALU_DEP_2) | instskip(SKIP_1) | instid1(VALU_DEP_3)
	v_mul_lo_u32 v67, s5, v65
	v_mad_u64_u32 v[59:60], null, s4, v65, 0
	v_mul_lo_u32 v68, s4, v66
	s_delay_alu instid0(VALU_DEP_2) | instskip(NEXT) | instid1(VALU_DEP_2)
	v_sub_co_u32 v59, vcc_lo, v71, v59
	v_add3_u32 v60, v60, v68, v67
	s_delay_alu instid0(VALU_DEP_1) | instskip(NEXT) | instid1(VALU_DEP_1)
	v_sub_nc_u32_e32 v67, v69, v60
	v_subrev_co_ci_u32_e64 v67, s0, s5, v67, vcc_lo
	v_add_co_u32 v68, s0, v65, 2
	s_delay_alu instid0(VALU_DEP_1) | instskip(SKIP_3) | instid1(VALU_DEP_3)
	v_add_co_ci_u32_e64 v71, s0, 0, v66, s0
	v_sub_co_u32 v72, s0, v59, s4
	v_sub_co_ci_u32_e32 v60, vcc_lo, v69, v60, vcc_lo
	v_subrev_co_ci_u32_e64 v67, s0, 0, v67, s0
	v_cmp_le_u32_e32 vcc_lo, s4, v72
	s_delay_alu instid0(VALU_DEP_3) | instskip(SKIP_1) | instid1(VALU_DEP_4)
	v_cmp_eq_u32_e64 s0, s5, v60
	v_cndmask_b32_e64 v69, 0, -1, vcc_lo
	v_cmp_le_u32_e32 vcc_lo, s5, v67
	v_cndmask_b32_e64 v72, 0, -1, vcc_lo
	v_cmp_le_u32_e32 vcc_lo, s4, v59
	;; [unrolled: 2-line block ×3, first 2 shown]
	v_cndmask_b32_e64 v73, 0, -1, vcc_lo
	v_cmp_eq_u32_e32 vcc_lo, s5, v67
	s_delay_alu instid0(VALU_DEP_2) | instskip(SKIP_3) | instid1(VALU_DEP_3)
	v_cndmask_b32_e64 v59, v73, v59, s0
	v_cndmask_b32_e32 v67, v72, v69, vcc_lo
	v_add_co_u32 v69, vcc_lo, v65, 1
	v_add_co_ci_u32_e32 v72, vcc_lo, 0, v66, vcc_lo
	v_cmp_ne_u32_e32 vcc_lo, 0, v67
	s_delay_alu instid0(VALU_DEP_2) | instskip(SKIP_2) | instid1(VALU_DEP_3)
	v_dual_cndmask_b32 v60, v72, v71 :: v_dual_cndmask_b32 v67, v69, v68
	v_cmp_ne_u32_e32 vcc_lo, 0, v59
	v_xor_b32_e32 v68, s2, v70
	v_dual_cndmask_b32 v59, v66, v60 :: v_dual_cndmask_b32 v60, v65, v67
	s_delay_alu instid0(VALU_DEP_1) | instskip(NEXT) | instid1(VALU_DEP_2)
	v_xor_b32_e32 v65, v59, v68
	v_xor_b32_e32 v60, v60, v68
	s_delay_alu instid0(VALU_DEP_1) | instskip(NEXT) | instid1(VALU_DEP_3)
	v_sub_co_u32 v59, vcc_lo, v60, v68
	v_sub_co_ci_u32_e32 v60, vcc_lo, v65, v68, vcc_lo
.LBB1139_300:
	s_and_not1_saveexec_b32 s0, s6
	s_cbranch_execz .LBB1139_302
; %bb.301:
	v_cvt_f32_u32_e32 v59, s44
	s_sub_i32 s2, 0, s44
	s_delay_alu instid0(VALU_DEP_1) | instskip(SKIP_2) | instid1(VALU_DEP_1)
	v_rcp_iflag_f32_e32 v59, v59
	s_waitcnt_depctr 0xfff
	v_mul_f32_e32 v59, 0x4f7ffffe, v59
	v_cvt_u32_f32_e32 v59, v59
	s_delay_alu instid0(VALU_DEP_1) | instskip(NEXT) | instid1(VALU_DEP_1)
	v_mul_lo_u32 v60, s2, v59
	v_mul_hi_u32 v60, v59, v60
	s_delay_alu instid0(VALU_DEP_1) | instskip(NEXT) | instid1(VALU_DEP_1)
	v_add_nc_u32_e32 v59, v59, v60
	v_mul_hi_u32 v59, v63, v59
	s_delay_alu instid0(VALU_DEP_1) | instskip(SKIP_1) | instid1(VALU_DEP_2)
	v_mul_lo_u32 v60, v59, s44
	v_add_nc_u32_e32 v65, 1, v59
	v_sub_nc_u32_e32 v60, v63, v60
	s_delay_alu instid0(VALU_DEP_1) | instskip(SKIP_1) | instid1(VALU_DEP_2)
	v_subrev_nc_u32_e32 v66, s44, v60
	v_cmp_le_u32_e32 vcc_lo, s44, v60
	v_dual_cndmask_b32 v60, v60, v66 :: v_dual_cndmask_b32 v59, v59, v65
	s_delay_alu instid0(VALU_DEP_1) | instskip(NEXT) | instid1(VALU_DEP_2)
	v_cmp_le_u32_e32 vcc_lo, s44, v60
	v_dual_mov_b32 v60, 0 :: v_dual_add_nc_u32 v65, 1, v59
	s_delay_alu instid0(VALU_DEP_1)
	v_cndmask_b32_e32 v59, v59, v65, vcc_lo
.LBB1139_302:
	s_or_b32 exec_lo, exec_lo, s0
	s_delay_alu instid0(VALU_DEP_1) | instskip(NEXT) | instid1(VALU_DEP_2)
	v_mul_lo_u32 v67, v60, s44
	v_mul_lo_u32 v68, v59, s45
	v_mad_u64_u32 v[65:66], null, v59, s44, 0
	s_delay_alu instid0(VALU_DEP_1) | instskip(NEXT) | instid1(VALU_DEP_2)
	v_add3_u32 v66, v66, v68, v67
	v_sub_co_u32 v63, vcc_lo, v63, v65
	s_delay_alu instid0(VALU_DEP_2) | instskip(NEXT) | instid1(VALU_DEP_2)
	v_sub_co_ci_u32_e32 v64, vcc_lo, v64, v66, vcc_lo
	v_add_co_u32 v59, vcc_lo, v59, v63
	s_delay_alu instid0(VALU_DEP_2)
	v_add_co_ci_u32_e32 v60, vcc_lo, v60, v64, vcc_lo
.LBB1139_303:
	s_or_b32 exec_lo, exec_lo, s1
	ds_store_2addr_stride64_b64 v62, v[29:30], v[31:32] offset1:4
	ds_store_2addr_stride64_b64 v62, v[33:34], v[35:36] offset0:8 offset1:12
	ds_store_2addr_stride64_b64 v62, v[37:38], v[39:40] offset0:16 offset1:20
	;; [unrolled: 1-line block ×6, first 2 shown]
	ds_store_b64 v62, v[59:60] offset:28672
	s_waitcnt lgkmcnt(0)
	s_barrier
.LBB1139_304:
	s_waitcnt lgkmcnt(0)
	buffer_gl0_inv
	ds_load_2addr_b64 v[53:56], v61 offset1:1
	ds_load_2addr_b64 v[49:52], v61 offset0:2 offset1:3
	ds_load_2addr_b64 v[45:48], v61 offset0:4 offset1:5
	;; [unrolled: 1-line block ×6, first 2 shown]
	ds_load_b64 v[59:60], v61 offset:112
	s_cmp_eq_u64 s[18:19], 0
	s_waitcnt lgkmcnt(0)
	s_cselect_b32 s34, -1, 0
	s_cmp_lg_u64 s[18:19], 0
	s_barrier
	s_cselect_b32 s14, -1, 0
	s_and_b32 vcc_lo, exec_lo, s26
	buffer_gl0_inv
	s_cbranch_vccz .LBB1139_313
; %bb.305:
	s_and_b32 vcc_lo, exec_lo, s14
	s_cbranch_vccz .LBB1139_314
; %bb.306:
	s_add_u32 s2, s24, -1
	s_addc_u32 s3, s25, -1
	s_delay_alu instid0(SALU_CYCLE_1) | instskip(SKIP_1) | instid1(SALU_CYCLE_1)
	s_or_b64 s[4:5], s[2:3], s[38:39]
	s_mov_b32 s4, 0
	s_cmp_lg_u64 s[4:5], 0
	s_cbranch_scc0 .LBB1139_531
; %bb.307:
	s_ashr_i32 s6, s39, 31
	s_delay_alu instid0(SALU_CYCLE_1) | instskip(SKIP_2) | instid1(SALU_CYCLE_1)
	s_add_u32 s0, s38, s6
	s_mov_b32 s7, s6
	s_addc_u32 s1, s39, s6
	s_xor_b64 s[0:1], s[0:1], s[6:7]
	s_delay_alu instid0(SALU_CYCLE_1) | instskip(SKIP_3) | instid1(VALU_DEP_1)
	v_cvt_f32_u32_e32 v61, s0
	v_cvt_f32_u32_e32 v62, s1
	s_sub_u32 s9, 0, s0
	s_subb_u32 s10, 0, s1
	v_fmamk_f32 v61, v62, 0x4f800000, v61
	s_delay_alu instid0(VALU_DEP_1) | instskip(SKIP_2) | instid1(VALU_DEP_1)
	v_rcp_f32_e32 v61, v61
	s_waitcnt_depctr 0xfff
	v_mul_f32_e32 v61, 0x5f7ffffc, v61
	v_mul_f32_e32 v62, 0x2f800000, v61
	s_delay_alu instid0(VALU_DEP_1) | instskip(NEXT) | instid1(VALU_DEP_1)
	v_trunc_f32_e32 v62, v62
	v_fmamk_f32 v61, v62, 0xcf800000, v61
	v_cvt_u32_f32_e32 v62, v62
	s_delay_alu instid0(VALU_DEP_2) | instskip(NEXT) | instid1(VALU_DEP_2)
	v_cvt_u32_f32_e32 v61, v61
	v_readfirstlane_b32 s5, v62
	s_delay_alu instid0(VALU_DEP_2) | instskip(NEXT) | instid1(VALU_DEP_2)
	v_readfirstlane_b32 s8, v61
	s_mul_i32 s11, s9, s5
	s_delay_alu instid0(VALU_DEP_1)
	s_mul_hi_u32 s13, s9, s8
	s_mul_i32 s12, s10, s8
	s_add_i32 s11, s13, s11
	s_mul_i32 s16, s9, s8
	s_add_i32 s11, s11, s12
	s_mul_hi_u32 s13, s8, s16
	s_mul_hi_u32 s17, s5, s16
	s_mul_i32 s12, s5, s16
	s_mul_hi_u32 s16, s8, s11
	s_mul_i32 s8, s8, s11
	s_mul_hi_u32 s20, s5, s11
	s_add_u32 s8, s13, s8
	s_addc_u32 s13, 0, s16
	s_add_u32 s8, s8, s12
	s_mul_i32 s11, s5, s11
	s_addc_u32 s8, s13, s17
	s_addc_u32 s12, s20, 0
	s_add_u32 s8, s8, s11
	s_addc_u32 s11, 0, s12
	v_add_co_u32 v61, s8, v61, s8
	s_delay_alu instid0(VALU_DEP_1) | instskip(SKIP_1) | instid1(VALU_DEP_1)
	s_cmp_lg_u32 s8, 0
	s_addc_u32 s5, s5, s11
	v_readfirstlane_b32 s8, v61
	s_mul_i32 s11, s9, s5
	s_delay_alu instid0(VALU_DEP_1)
	s_mul_hi_u32 s12, s9, s8
	s_mul_i32 s10, s10, s8
	s_add_i32 s11, s12, s11
	s_mul_i32 s9, s9, s8
	s_add_i32 s11, s11, s10
	s_mul_hi_u32 s12, s5, s9
	s_mul_i32 s13, s5, s9
	s_mul_hi_u32 s9, s8, s9
	s_mul_hi_u32 s16, s8, s11
	s_mul_i32 s8, s8, s11
	s_mul_hi_u32 s10, s5, s11
	s_add_u32 s8, s9, s8
	s_addc_u32 s9, 0, s16
	s_add_u32 s8, s8, s13
	s_mul_i32 s11, s5, s11
	s_addc_u32 s8, s9, s12
	s_addc_u32 s9, s10, 0
	s_add_u32 s8, s8, s11
	s_addc_u32 s9, 0, s9
	v_add_co_u32 v61, s8, v61, s8
	s_delay_alu instid0(VALU_DEP_1) | instskip(SKIP_2) | instid1(SALU_CYCLE_1)
	s_cmp_lg_u32 s8, 0
	s_addc_u32 s5, s5, s9
	s_ashr_i32 s8, s3, 31
	s_add_u32 s10, s2, s8
	s_addc_u32 s11, s3, s8
	v_readfirstlane_b32 s3, v61
	s_mov_b32 s9, s8
	s_delay_alu instid0(SALU_CYCLE_1) | instskip(NEXT) | instid1(SALU_CYCLE_1)
	s_xor_b64 s[10:11], s[10:11], s[8:9]
	s_mul_i32 s13, s10, s5
	s_delay_alu instid0(VALU_DEP_1)
	s_mul_hi_u32 s16, s10, s3
	s_mul_hi_u32 s12, s10, s5
	;; [unrolled: 1-line block ×3, first 2 shown]
	s_mul_i32 s3, s11, s3
	s_add_u32 s13, s16, s13
	s_addc_u32 s12, 0, s12
	s_mul_hi_u32 s17, s11, s5
	s_add_u32 s3, s13, s3
	s_mul_i32 s5, s11, s5
	s_addc_u32 s3, s12, s20
	s_addc_u32 s12, s17, 0
	s_add_u32 s3, s3, s5
	s_addc_u32 s5, 0, s12
	s_mul_i32 s17, s0, s3
	s_mul_hi_u32 s12, s0, s3
	s_mul_i32 s16, s0, s5
	v_sub_co_u32 v61, s10, s10, s17
	s_mul_i32 s13, s1, s3
	s_add_i32 s12, s12, s16
	s_delay_alu instid0(SALU_CYCLE_1) | instskip(NEXT) | instid1(VALU_DEP_1)
	s_add_i32 s12, s12, s13
	v_sub_co_u32 v62, s16, v61, s0
	s_sub_i32 s13, s11, s12
	s_cmp_lg_u32 s10, 0
	s_subb_u32 s13, s13, s1
	s_cmp_lg_u32 s16, 0
	v_cmp_le_u32_e32 vcc_lo, s0, v62
	s_subb_u32 s13, s13, 0
	s_delay_alu instid0(SALU_CYCLE_1)
	s_cmp_ge_u32 s13, s1
	v_cndmask_b32_e64 v62, 0, -1, vcc_lo
	s_cselect_b32 s16, -1, 0
	s_cmp_eq_u32 s13, s1
	s_cselect_b32 vcc_lo, -1, 0
	s_add_u32 s13, s3, 1
	v_cndmask_b32_e32 v62, s16, v62, vcc_lo
	s_addc_u32 s16, s5, 0
	s_add_u32 s17, s3, 2
	s_addc_u32 s20, s5, 0
	v_mov_b32_e32 v63, s17
	s_cmp_lg_u32 s10, 0
	v_cmp_le_u32_e32 vcc_lo, s0, v61
	s_subb_u32 s0, s11, s12
	s_delay_alu instid0(SALU_CYCLE_1)
	s_cmp_ge_u32 s0, s1
	v_cndmask_b32_e64 v61, 0, -1, vcc_lo
	s_cselect_b32 s10, -1, 0
	s_cmp_eq_u32 s0, s1
	v_cmp_ne_u32_e32 vcc_lo, 0, v62
	s_cselect_b32 s0, -1, 0
	v_mov_b32_e32 v62, s20
	v_cndmask_b32_e64 v61, s10, v61, s0
	s_xor_b64 s[0:1], s[8:9], s[6:7]
	v_cndmask_b32_e32 v63, s13, v63, vcc_lo
	s_delay_alu instid0(VALU_DEP_3) | instskip(NEXT) | instid1(VALU_DEP_3)
	v_cndmask_b32_e32 v62, s16, v62, vcc_lo
	v_cmp_ne_u32_e32 vcc_lo, 0, v61
	s_delay_alu instid0(VALU_DEP_2) | instskip(NEXT) | instid1(VALU_DEP_4)
	v_cndmask_b32_e32 v61, s5, v62, vcc_lo
	v_cndmask_b32_e32 v62, s3, v63, vcc_lo
	s_delay_alu instid0(VALU_DEP_2) | instskip(NEXT) | instid1(VALU_DEP_2)
	v_xor_b32_e32 v63, s1, v61
	v_xor_b32_e32 v62, s0, v62
	s_delay_alu instid0(VALU_DEP_1) | instskip(NEXT) | instid1(VALU_DEP_3)
	v_sub_co_u32 v61, vcc_lo, v62, s0
	v_subrev_co_ci_u32_e32 v62, vcc_lo, s1, v63, vcc_lo
	s_and_not1_b32 vcc_lo, exec_lo, s4
	s_cbranch_vccnz .LBB1139_309
.LBB1139_308:
	v_cvt_f32_u32_e32 v61, s38
	s_sub_i32 s1, 0, s38
	s_delay_alu instid0(VALU_DEP_1) | instskip(SKIP_2) | instid1(VALU_DEP_1)
	v_rcp_iflag_f32_e32 v61, v61
	s_waitcnt_depctr 0xfff
	v_mul_f32_e32 v61, 0x4f7ffffe, v61
	v_cvt_u32_f32_e32 v61, v61
	s_delay_alu instid0(VALU_DEP_1) | instskip(NEXT) | instid1(VALU_DEP_1)
	v_readfirstlane_b32 s0, v61
	s_mul_i32 s1, s1, s0
	s_delay_alu instid0(SALU_CYCLE_1) | instskip(NEXT) | instid1(SALU_CYCLE_1)
	s_mul_hi_u32 s1, s0, s1
	s_add_i32 s0, s0, s1
	s_delay_alu instid0(SALU_CYCLE_1) | instskip(NEXT) | instid1(SALU_CYCLE_1)
	s_mul_hi_u32 s0, s2, s0
	s_mul_i32 s1, s0, s38
	s_delay_alu instid0(SALU_CYCLE_1)
	s_sub_i32 s1, s2, s1
	s_add_i32 s2, s0, 1
	s_sub_i32 s3, s1, s38
	s_cmp_ge_u32 s1, s38
	s_cselect_b32 s0, s2, s0
	s_cselect_b32 s1, s3, s1
	s_add_i32 s2, s0, 1
	s_cmp_ge_u32 s1, s38
	s_mov_b32 s1, 0
	s_cselect_b32 s0, s2, s0
	s_delay_alu instid0(SALU_CYCLE_1)
	v_dual_mov_b32 v62, s1 :: v_dual_mov_b32 v61, s0
.LBB1139_309:
	v_cmp_ne_u64_e64 s0, v[3:4], v[57:58]
	v_cmp_ne_u64_e64 s1, v[1:2], v[3:4]
	;; [unrolled: 1-line block ×13, first 2 shown]
	v_cmp_ne_u64_e32 vcc_lo, v[25:26], v[27:28]
	v_lshlrev_b32_e32 v63, 3, v0
	s_mov_b32 s16, 0
	s_mov_b32 s17, exec_lo
	ds_store_b64 v63, v[57:58]
	s_waitcnt lgkmcnt(0)
	s_barrier
	buffer_gl0_inv
	v_cmpx_ne_u32_e32 0, v0
	s_cbranch_execz .LBB1139_311
; %bb.310:
	v_add_nc_u32_e32 v61, -8, v63
	ds_load_b64 v[61:62], v61
.LBB1139_311:
	s_or_b32 exec_lo, exec_lo, s17
	v_cndmask_b32_e64 v105, 0, 1, s0
	v_cndmask_b32_e64 v99, 0, 1, s1
	;; [unrolled: 1-line block ×13, first 2 shown]
	s_waitcnt lgkmcnt(0)
	v_cmp_ne_u64_e64 s0, v[61:62], v[25:26]
	v_cndmask_b32_e64 v112, 0, 1, vcc_lo
	s_mov_b32 s23, -1
	s_and_b32 vcc_lo, exec_lo, s16
	s_cbranch_vccnz .LBB1139_315
.LBB1139_312:
                                        ; implicit-def: $sgpr1
	s_branch .LBB1139_329
.LBB1139_313:
	s_mov_b32 s23, 0
                                        ; implicit-def: $sgpr0
                                        ; implicit-def: $vgpr105
                                        ; implicit-def: $vgpr99
                                        ; implicit-def: $vgpr100
                                        ; implicit-def: $vgpr101
                                        ; implicit-def: $vgpr102
                                        ; implicit-def: $vgpr103
                                        ; implicit-def: $vgpr104
                                        ; implicit-def: $vgpr106
                                        ; implicit-def: $vgpr107
                                        ; implicit-def: $vgpr108
                                        ; implicit-def: $vgpr109
                                        ; implicit-def: $vgpr110
                                        ; implicit-def: $vgpr111
                                        ; implicit-def: $vgpr112
                                        ; implicit-def: $sgpr1
	s_cbranch_execnz .LBB1139_318
	s_branch .LBB1139_329
.LBB1139_314:
	s_mov_b32 s23, 0
                                        ; implicit-def: $sgpr0
                                        ; implicit-def: $vgpr105
                                        ; implicit-def: $vgpr99
                                        ; implicit-def: $vgpr100
                                        ; implicit-def: $vgpr101
                                        ; implicit-def: $vgpr102
                                        ; implicit-def: $vgpr103
                                        ; implicit-def: $vgpr104
                                        ; implicit-def: $vgpr106
                                        ; implicit-def: $vgpr107
                                        ; implicit-def: $vgpr108
                                        ; implicit-def: $vgpr109
                                        ; implicit-def: $vgpr110
                                        ; implicit-def: $vgpr111
                                        ; implicit-def: $vgpr112
	s_cbranch_execz .LBB1139_312
.LBB1139_315:
	v_cmp_ne_u64_e32 vcc_lo, v[3:4], v[57:58]
	v_lshlrev_b32_e32 v61, 3, v0
	s_mov_b32 s1, exec_lo
                                        ; implicit-def: $sgpr0
	ds_store_b64 v61, v[57:58]
	v_cndmask_b32_e64 v105, 0, 1, vcc_lo
	v_cmp_ne_u64_e32 vcc_lo, v[1:2], v[3:4]
	s_waitcnt lgkmcnt(0)
	s_barrier
	buffer_gl0_inv
	v_cndmask_b32_e64 v99, 0, 1, vcc_lo
	v_cmp_ne_u64_e32 vcc_lo, v[7:8], v[1:2]
	v_cndmask_b32_e64 v100, 0, 1, vcc_lo
	v_cmp_ne_u64_e32 vcc_lo, v[5:6], v[7:8]
	;; [unrolled: 2-line block ×12, first 2 shown]
	v_cndmask_b32_e64 v112, 0, 1, vcc_lo
	v_cmpx_ne_u32_e32 0, v0
	s_xor_b32 s1, exec_lo, s1
	s_cbranch_execz .LBB1139_317
; %bb.316:
	v_add_nc_u32_e32 v61, -8, v61
	s_or_b32 s23, s23, exec_lo
	ds_load_b64 v[61:62], v61
	s_waitcnt lgkmcnt(0)
	v_cmp_ne_u64_e32 vcc_lo, v[61:62], v[25:26]
	s_and_b32 s0, vcc_lo, exec_lo
.LBB1139_317:
	s_or_b32 exec_lo, exec_lo, s1
	s_mov_b32 s1, 1
	s_branch .LBB1139_329
.LBB1139_318:
	s_mul_hi_u32 s0, s18, 0xfffff100
	s_mul_i32 s1, s19, 0xfffff100
	s_sub_i32 s0, s0, s18
	s_mul_i32 s2, s18, 0xfffff100
	s_add_i32 s0, s0, s1
	s_add_u32 s30, s2, s64
	s_addc_u32 s31, s0, s65
	s_and_b32 vcc_lo, exec_lo, s14
	s_cbranch_vccz .LBB1139_326
; %bb.319:
	s_add_u32 s2, s24, -1
	s_addc_u32 s3, s25, -1
	s_delay_alu instid0(SALU_CYCLE_1) | instskip(SKIP_1) | instid1(SALU_CYCLE_1)
	s_or_b64 s[4:5], s[2:3], s[38:39]
	s_mov_b32 s4, 0
	s_cmp_lg_u64 s[4:5], 0
	s_cbranch_scc0 .LBB1139_532
; %bb.320:
	s_ashr_i32 s6, s39, 31
	s_delay_alu instid0(SALU_CYCLE_1) | instskip(SKIP_2) | instid1(SALU_CYCLE_1)
	s_add_u32 s0, s38, s6
	s_mov_b32 s7, s6
	s_addc_u32 s1, s39, s6
	s_xor_b64 s[0:1], s[0:1], s[6:7]
	s_delay_alu instid0(SALU_CYCLE_1) | instskip(SKIP_3) | instid1(VALU_DEP_1)
	v_cvt_f32_u32_e32 v61, s0
	v_cvt_f32_u32_e32 v62, s1
	s_sub_u32 s9, 0, s0
	s_subb_u32 s10, 0, s1
	v_fmamk_f32 v61, v62, 0x4f800000, v61
	s_delay_alu instid0(VALU_DEP_1) | instskip(SKIP_2) | instid1(VALU_DEP_1)
	v_rcp_f32_e32 v61, v61
	s_waitcnt_depctr 0xfff
	v_mul_f32_e32 v61, 0x5f7ffffc, v61
	v_mul_f32_e32 v62, 0x2f800000, v61
	s_delay_alu instid0(VALU_DEP_1) | instskip(NEXT) | instid1(VALU_DEP_1)
	v_trunc_f32_e32 v62, v62
	v_fmamk_f32 v61, v62, 0xcf800000, v61
	v_cvt_u32_f32_e32 v62, v62
	s_delay_alu instid0(VALU_DEP_2) | instskip(NEXT) | instid1(VALU_DEP_2)
	v_cvt_u32_f32_e32 v61, v61
	v_readfirstlane_b32 s5, v62
	s_delay_alu instid0(VALU_DEP_2) | instskip(NEXT) | instid1(VALU_DEP_2)
	v_readfirstlane_b32 s8, v61
	s_mul_i32 s11, s9, s5
	s_delay_alu instid0(VALU_DEP_1)
	s_mul_hi_u32 s13, s9, s8
	s_mul_i32 s12, s10, s8
	s_add_i32 s11, s13, s11
	s_mul_i32 s14, s9, s8
	s_add_i32 s11, s11, s12
	s_mul_hi_u32 s13, s8, s14
	s_mul_hi_u32 s16, s5, s14
	s_mul_i32 s12, s5, s14
	s_mul_hi_u32 s14, s8, s11
	s_mul_i32 s8, s8, s11
	s_mul_hi_u32 s17, s5, s11
	s_add_u32 s8, s13, s8
	s_addc_u32 s13, 0, s14
	s_add_u32 s8, s8, s12
	s_mul_i32 s11, s5, s11
	s_addc_u32 s8, s13, s16
	s_addc_u32 s12, s17, 0
	s_add_u32 s8, s8, s11
	s_addc_u32 s11, 0, s12
	v_add_co_u32 v61, s8, v61, s8
	s_delay_alu instid0(VALU_DEP_1) | instskip(SKIP_1) | instid1(VALU_DEP_1)
	s_cmp_lg_u32 s8, 0
	s_addc_u32 s5, s5, s11
	v_readfirstlane_b32 s8, v61
	s_mul_i32 s11, s9, s5
	s_delay_alu instid0(VALU_DEP_1)
	s_mul_hi_u32 s12, s9, s8
	s_mul_i32 s10, s10, s8
	s_add_i32 s11, s12, s11
	s_mul_i32 s9, s9, s8
	s_add_i32 s11, s11, s10
	s_mul_hi_u32 s12, s5, s9
	s_mul_i32 s13, s5, s9
	s_mul_hi_u32 s9, s8, s9
	s_mul_hi_u32 s14, s8, s11
	s_mul_i32 s8, s8, s11
	s_mul_hi_u32 s10, s5, s11
	s_add_u32 s8, s9, s8
	s_addc_u32 s9, 0, s14
	s_add_u32 s8, s8, s13
	s_mul_i32 s11, s5, s11
	s_addc_u32 s8, s9, s12
	s_addc_u32 s9, s10, 0
	s_add_u32 s8, s8, s11
	s_addc_u32 s9, 0, s9
	v_add_co_u32 v61, s8, v61, s8
	s_delay_alu instid0(VALU_DEP_1) | instskip(SKIP_2) | instid1(SALU_CYCLE_1)
	s_cmp_lg_u32 s8, 0
	s_addc_u32 s5, s5, s9
	s_ashr_i32 s8, s3, 31
	s_add_u32 s10, s2, s8
	s_addc_u32 s11, s3, s8
	v_readfirstlane_b32 s3, v61
	s_mov_b32 s9, s8
	s_delay_alu instid0(SALU_CYCLE_1) | instskip(NEXT) | instid1(SALU_CYCLE_1)
	s_xor_b64 s[10:11], s[10:11], s[8:9]
	s_mul_i32 s13, s10, s5
	s_delay_alu instid0(VALU_DEP_1)
	s_mul_hi_u32 s14, s10, s3
	s_mul_hi_u32 s12, s10, s5
	;; [unrolled: 1-line block ×3, first 2 shown]
	s_mul_i32 s3, s11, s3
	s_add_u32 s13, s14, s13
	s_addc_u32 s12, 0, s12
	s_mul_hi_u32 s16, s11, s5
	s_add_u32 s3, s13, s3
	s_mul_i32 s5, s11, s5
	s_addc_u32 s3, s12, s17
	s_addc_u32 s12, s16, 0
	s_add_u32 s3, s3, s5
	s_addc_u32 s5, 0, s12
	s_mul_i32 s16, s0, s3
	s_mul_hi_u32 s12, s0, s3
	s_mul_i32 s14, s0, s5
	v_sub_co_u32 v61, s10, s10, s16
	s_mul_i32 s13, s1, s3
	s_add_i32 s12, s12, s14
	s_delay_alu instid0(SALU_CYCLE_1) | instskip(NEXT) | instid1(VALU_DEP_1)
	s_add_i32 s12, s12, s13
	v_sub_co_u32 v62, s14, v61, s0
	s_sub_i32 s13, s11, s12
	s_cmp_lg_u32 s10, 0
	s_subb_u32 s13, s13, s1
	s_cmp_lg_u32 s14, 0
	v_cmp_le_u32_e32 vcc_lo, s0, v62
	s_subb_u32 s13, s13, 0
	s_delay_alu instid0(SALU_CYCLE_1)
	s_cmp_ge_u32 s13, s1
	v_cndmask_b32_e64 v62, 0, -1, vcc_lo
	s_cselect_b32 s14, -1, 0
	s_cmp_eq_u32 s13, s1
	s_cselect_b32 vcc_lo, -1, 0
	s_add_u32 s13, s3, 1
	v_cndmask_b32_e32 v62, s14, v62, vcc_lo
	s_addc_u32 s14, s5, 0
	s_add_u32 s16, s3, 2
	s_addc_u32 s17, s5, 0
	v_mov_b32_e32 v63, s16
	s_cmp_lg_u32 s10, 0
	v_cmp_le_u32_e32 vcc_lo, s0, v61
	s_subb_u32 s0, s11, s12
	s_delay_alu instid0(SALU_CYCLE_1)
	s_cmp_ge_u32 s0, s1
	v_cndmask_b32_e64 v61, 0, -1, vcc_lo
	s_cselect_b32 s10, -1, 0
	s_cmp_eq_u32 s0, s1
	v_cmp_ne_u32_e32 vcc_lo, 0, v62
	s_cselect_b32 s0, -1, 0
	v_mov_b32_e32 v62, s17
	v_cndmask_b32_e64 v61, s10, v61, s0
	s_xor_b64 s[0:1], s[8:9], s[6:7]
	v_cndmask_b32_e32 v63, s13, v63, vcc_lo
	s_delay_alu instid0(VALU_DEP_3) | instskip(NEXT) | instid1(VALU_DEP_3)
	v_cndmask_b32_e32 v62, s14, v62, vcc_lo
	v_cmp_ne_u32_e32 vcc_lo, 0, v61
	s_delay_alu instid0(VALU_DEP_2) | instskip(NEXT) | instid1(VALU_DEP_4)
	v_cndmask_b32_e32 v61, s5, v62, vcc_lo
	v_cndmask_b32_e32 v62, s3, v63, vcc_lo
	s_delay_alu instid0(VALU_DEP_2) | instskip(NEXT) | instid1(VALU_DEP_2)
	v_xor_b32_e32 v63, s1, v61
	v_xor_b32_e32 v62, s0, v62
	s_delay_alu instid0(VALU_DEP_1) | instskip(NEXT) | instid1(VALU_DEP_3)
	v_sub_co_u32 v61, vcc_lo, v62, s0
	v_subrev_co_ci_u32_e32 v62, vcc_lo, s1, v63, vcc_lo
	s_and_not1_b32 vcc_lo, exec_lo, s4
	s_cbranch_vccnz .LBB1139_322
.LBB1139_321:
	v_cvt_f32_u32_e32 v61, s38
	s_sub_i32 s1, 0, s38
	s_delay_alu instid0(VALU_DEP_1) | instskip(SKIP_2) | instid1(VALU_DEP_1)
	v_rcp_iflag_f32_e32 v61, v61
	s_waitcnt_depctr 0xfff
	v_mul_f32_e32 v61, 0x4f7ffffe, v61
	v_cvt_u32_f32_e32 v61, v61
	s_delay_alu instid0(VALU_DEP_1) | instskip(NEXT) | instid1(VALU_DEP_1)
	v_readfirstlane_b32 s0, v61
	s_mul_i32 s1, s1, s0
	s_delay_alu instid0(SALU_CYCLE_1) | instskip(NEXT) | instid1(SALU_CYCLE_1)
	s_mul_hi_u32 s1, s0, s1
	s_add_i32 s0, s0, s1
	s_delay_alu instid0(SALU_CYCLE_1) | instskip(NEXT) | instid1(SALU_CYCLE_1)
	s_mul_hi_u32 s0, s2, s0
	s_mul_i32 s1, s0, s38
	s_delay_alu instid0(SALU_CYCLE_1)
	s_sub_i32 s1, s2, s1
	s_add_i32 s2, s0, 1
	s_sub_i32 s3, s1, s38
	s_cmp_ge_u32 s1, s38
	s_cselect_b32 s0, s2, s0
	s_cselect_b32 s1, s3, s1
	s_add_i32 s2, s0, 1
	s_cmp_ge_u32 s1, s38
	s_mov_b32 s1, 0
	s_cselect_b32 s0, s2, s0
	s_delay_alu instid0(SALU_CYCLE_1)
	v_dual_mov_b32 v62, s1 :: v_dual_mov_b32 v61, s0
.LBB1139_322:
	v_mad_u32_u24 v63, v0, 15, 14
	v_mov_b32_e32 v64, 0
	v_cmp_ne_u64_e64 s6, v[3:4], v[57:58]
	v_cmp_ne_u64_e64 s8, v[1:2], v[3:4]
	;; [unrolled: 1-line block ×4, first 2 shown]
	v_cmp_gt_u64_e32 vcc_lo, s[30:31], v[63:64]
	v_mad_u32_u24 v63, v0, 15, 13
	v_cmp_ne_u64_e64 s11, v[11:12], v[5:6]
	v_cmp_ne_u64_e64 s13, v[9:10], v[11:12]
	;; [unrolled: 1-line block ×4, first 2 shown]
	v_cmp_gt_u64_e64 s0, s[30:31], v[63:64]
	v_mad_u32_u24 v63, v0, 15, 12
	s_and_b32 s36, vcc_lo, s6
	v_cmp_ne_u64_e64 s17, v[19:20], v[13:14]
	v_cmp_ne_u64_e64 s19, v[17:18], v[19:20]
	;; [unrolled: 1-line block ×3, first 2 shown]
	v_cmp_gt_u64_e64 s1, s[30:31], v[63:64]
	v_mad_u32_u24 v63, v0, 15, 11
	v_cmp_ne_u64_e64 s21, v[21:22], v[23:24]
	v_cmp_ne_u64_e64 s22, v[27:28], v[21:22]
	v_cmp_ne_u64_e64 s24, v[25:26], v[27:28]
	s_and_b32 s37, s0, s8
	v_cmp_gt_u64_e64 s2, s[30:31], v[63:64]
	v_mad_u32_u24 v63, v0, 15, 10
	v_lshlrev_b32_e32 v66, 3, v0
	v_mul_u32_u24_e32 v65, 15, v0
	v_cmp_ne_u32_e64 s25, 0, v0
	s_mov_b32 s35, 0
	v_cmp_gt_u64_e64 s3, s[30:31], v[63:64]
	v_mad_u32_u24 v63, v0, 15, 9
	s_and_b32 s9, s1, s9
	s_and_b32 s10, s2, s10
	ds_store_b64 v66, v[57:58]
	s_waitcnt lgkmcnt(0)
	v_cmp_gt_u64_e64 s4, s[30:31], v[63:64]
	v_mad_u32_u24 v63, v0, 15, 8
	s_and_b32 s11, s3, s11
	s_barrier
	buffer_gl0_inv
	v_cmp_gt_u64_e64 s5, s[30:31], v[63:64]
	v_mad_u32_u24 v63, v0, 15, 7
	s_and_b32 s13, s4, s13
	s_delay_alu instid0(VALU_DEP_1) | instskip(SKIP_1) | instid1(VALU_DEP_4)
	v_cmp_gt_u64_e64 s7, s[30:31], v[63:64]
	v_mad_u32_u24 v63, v0, 15, 6
	s_and_b32 s5, s5, s14
	s_delay_alu instid0(VALU_DEP_1) | instskip(SKIP_1) | instid1(VALU_DEP_4)
	;; [unrolled: 4-line block ×6, first 2 shown]
	v_cmp_gt_u64_e32 vcc_lo, s[30:31], v[63:64]
	v_mad_u32_u24 v63, v0, 15, 1
	s_and_b32 s2, s26, s21
	s_delay_alu instid0(VALU_DEP_1) | instskip(SKIP_1) | instid1(VALU_DEP_1)
	v_cmp_gt_u64_e64 s0, s[30:31], v[63:64]
	s_and_b32 s3, vcc_lo, s22
	s_and_b32 s4, s0, s24
	s_and_saveexec_b32 s0, s25
	s_cbranch_execz .LBB1139_324
; %bb.323:
	v_add_nc_u32_e32 v61, -8, v66
	ds_load_b64 v[61:62], v61
.LBB1139_324:
	s_or_b32 exec_lo, exec_lo, s0
	v_mov_b32_e32 v66, v64
	s_waitcnt lgkmcnt(0)
	v_cmp_ne_u64_e64 s0, v[61:62], v[25:26]
	v_cndmask_b32_e64 v105, 0, 1, s36
	v_cndmask_b32_e64 v99, 0, 1, s37
	;; [unrolled: 1-line block ×3, first 2 shown]
	v_cmp_gt_u64_e32 vcc_lo, s[30:31], v[65:66]
	v_cndmask_b32_e64 v101, 0, 1, s10
	v_cndmask_b32_e64 v102, 0, 1, s11
	;; [unrolled: 1-line block ×11, first 2 shown]
	s_and_b32 s0, vcc_lo, s0
	s_mov_b32 s23, -1
	s_and_b32 vcc_lo, exec_lo, s35
	s_cbranch_vccnz .LBB1139_327
.LBB1139_325:
                                        ; implicit-def: $sgpr1
	v_mov_b32_e32 v113, s1
	s_and_saveexec_b32 s1, s23
	s_cbranch_execnz .LBB1139_330
	s_branch .LBB1139_331
.LBB1139_326:
                                        ; implicit-def: $sgpr0
                                        ; implicit-def: $vgpr105
                                        ; implicit-def: $vgpr99
                                        ; implicit-def: $vgpr100
                                        ; implicit-def: $vgpr101
                                        ; implicit-def: $vgpr102
                                        ; implicit-def: $vgpr103
                                        ; implicit-def: $vgpr104
                                        ; implicit-def: $vgpr106
                                        ; implicit-def: $vgpr107
                                        ; implicit-def: $vgpr108
                                        ; implicit-def: $vgpr109
                                        ; implicit-def: $vgpr110
                                        ; implicit-def: $vgpr111
                                        ; implicit-def: $vgpr112
	s_cbranch_execz .LBB1139_325
.LBB1139_327:
	v_mad_u32_u24 v61, v0, 15, 14
	v_dual_mov_b32 v62, 0 :: v_dual_lshlrev_b32 v63, 3, v0
	v_cmp_ne_u64_e64 s5, v[1:2], v[3:4]
	v_cmp_ne_u64_e64 s4, v[3:4], v[57:58]
	;; [unrolled: 1-line block ×3, first 2 shown]
	s_delay_alu instid0(VALU_DEP_4)
	v_cmp_gt_u64_e32 vcc_lo, s[30:31], v[61:62]
	v_mad_u32_u24 v61, v0, 15, 13
	v_cmp_ne_u64_e64 s8, v[5:6], v[7:8]
	v_cmp_ne_u64_e64 s9, v[11:12], v[5:6]
	;; [unrolled: 1-line block ×4, first 2 shown]
	v_cmp_gt_u64_e64 s0, s[30:31], v[61:62]
	v_mad_u32_u24 v61, v0, 15, 12
	s_and_b32 s4, vcc_lo, s4
	v_cmp_ne_u64_e64 s13, v[13:14], v[15:16]
	v_cmp_ne_u64_e64 s14, v[19:20], v[13:14]
	;; [unrolled: 1-line block ×3, first 2 shown]
	v_cmp_gt_u64_e64 s1, s[30:31], v[61:62]
	v_mad_u32_u24 v61, v0, 15, 11
	s_and_b32 s0, s0, s5
	v_cmp_ne_u64_e64 s17, v[23:24], v[17:18]
	v_cndmask_b32_e64 v99, 0, 1, s0
	v_cmp_ne_u64_e64 s19, v[21:22], v[23:24]
	v_cmp_gt_u64_e64 s2, s[30:31], v[61:62]
	v_mad_u32_u24 v61, v0, 15, 10
	s_and_b32 s0, s1, s6
	v_cmp_ne_u64_e64 s20, v[27:28], v[21:22]
	v_cndmask_b32_e64 v100, 0, 1, s0
	v_cmp_ne_u64_e64 s21, v[25:26], v[27:28]
	v_cmp_gt_u64_e64 s3, s[30:31], v[61:62]
	v_mad_u32_u24 v61, v0, 15, 9
	s_and_b32 s0, s2, s8
	v_cndmask_b32_e64 v105, 0, 1, s4
	v_cndmask_b32_e64 v101, 0, 1, s0
	ds_store_b64 v63, v[57:58]
	v_cmp_gt_u64_e64 s7, s[30:31], v[61:62]
	v_mad_u32_u24 v61, v0, 15, 8
	s_and_b32 s1, s3, s9
	s_waitcnt lgkmcnt(0)
	v_cndmask_b32_e64 v102, 0, 1, s1
	s_barrier
	v_cmp_gt_u64_e64 s12, s[30:31], v[61:62]
	v_mad_u32_u24 v61, v0, 15, 7
	s_and_b32 s1, s7, s10
	buffer_gl0_inv
	v_cndmask_b32_e64 v103, 0, 1, s1
	v_cmp_gt_u64_e64 s18, s[30:31], v[61:62]
	v_mad_u32_u24 v61, v0, 15, 6
	s_and_b32 s2, s12, s11
	s_delay_alu instid0(SALU_CYCLE_1) | instskip(NEXT) | instid1(VALU_DEP_2)
	v_cndmask_b32_e64 v104, 0, 1, s2
	v_cmp_gt_u64_e64 s22, s[30:31], v[61:62]
	v_mad_u32_u24 v61, v0, 15, 5
	s_and_b32 s2, s18, s13
	s_delay_alu instid0(SALU_CYCLE_1) | instskip(NEXT) | instid1(VALU_DEP_2)
	v_cndmask_b32_e64 v106, 0, 1, s2
	v_cmp_gt_u64_e32 vcc_lo, s[30:31], v[61:62]
	v_mad_u32_u24 v61, v0, 15, 4
	s_and_b32 s3, s22, s14
	s_delay_alu instid0(SALU_CYCLE_1) | instskip(NEXT) | instid1(VALU_DEP_2)
	v_cndmask_b32_e64 v107, 0, 1, s3
	v_cmp_gt_u64_e64 s0, s[30:31], v[61:62]
	v_mad_u32_u24 v61, v0, 15, 3
	s_and_b32 s3, vcc_lo, s16
	s_delay_alu instid0(SALU_CYCLE_1) | instskip(NEXT) | instid1(VALU_DEP_2)
	v_cndmask_b32_e64 v108, 0, 1, s3
	v_cmp_gt_u64_e64 s1, s[30:31], v[61:62]
	v_mad_u32_u24 v61, v0, 15, 2
	s_and_b32 s0, s0, s17
	s_delay_alu instid0(SALU_CYCLE_1) | instskip(NEXT) | instid1(VALU_DEP_2)
	v_cndmask_b32_e64 v109, 0, 1, s0
	v_cmp_gt_u64_e64 s2, s[30:31], v[61:62]
	v_mad_u32_u24 v61, v0, 15, 1
	s_and_b32 s0, s1, s19
	s_mov_b32 s1, 1
	v_cndmask_b32_e64 v110, 0, 1, s0
	s_delay_alu instid0(VALU_DEP_2) | instskip(SKIP_4) | instid1(SALU_CYCLE_1)
	v_cmp_gt_u64_e32 vcc_lo, s[30:31], v[61:62]
	s_and_b32 s0, s2, s20
	s_mov_b32 s2, exec_lo
	v_cndmask_b32_e64 v111, 0, 1, s0
	s_and_b32 s0, vcc_lo, s21
	v_cndmask_b32_e64 v112, 0, 1, s0
                                        ; implicit-def: $sgpr0
	v_cmpx_ne_u32_e32 0, v0
	s_cbranch_execz .LBB1139_462
; %bb.328:
	v_add_nc_u32_e32 v61, -8, v63
	s_or_b32 s23, s23, exec_lo
	ds_load_b64 v[63:64], v61
	v_mul_u32_u24_e32 v61, 15, v0
	s_delay_alu instid0(VALU_DEP_1) | instskip(SKIP_2) | instid1(VALU_DEP_1)
	v_cmp_gt_u64_e32 vcc_lo, s[30:31], v[61:62]
	s_waitcnt lgkmcnt(0)
	v_cmp_ne_u64_e64 s0, v[63:64], v[25:26]
	s_and_b32 s0, vcc_lo, s0
	s_delay_alu instid0(SALU_CYCLE_1)
	s_and_b32 s0, s0, exec_lo
	s_or_b32 exec_lo, exec_lo, s2
.LBB1139_329:
	v_mov_b32_e32 v113, s1
	s_and_saveexec_b32 s1, s23
.LBB1139_330:
	v_cndmask_b32_e64 v113, 0, 1, s0
.LBB1139_331:
	s_or_b32 exec_lo, exec_lo, s1
	s_delay_alu instid0(VALU_DEP_1)
	v_add3_u32 v61, v112, v113, v111
	v_dual_mov_b32 v95, v53 :: v_dual_mov_b32 v96, v54
	v_cmp_eq_u32_e64 s12, 0, v112
	v_cmp_eq_u32_e64 s11, 0, v111
	;; [unrolled: 1-line block ×3, first 2 shown]
	v_add3_u32 v116, v61, v110, v109
	v_cmp_eq_u32_e64 s9, 0, v109
	v_cmp_eq_u32_e64 s8, 0, v108
	;; [unrolled: 1-line block ×10, first 2 shown]
	v_cmp_eq_u32_e32 vcc_lo, 0, v105
	v_mbcnt_lo_u32_b32 v115, -1, 0
	s_cmp_eq_u64 s[58:59], 0
	s_cselect_b32 s14, -1, 0
	s_cmp_lg_u32 s15, 0
	s_cbranch_scc0 .LBB1139_394
; %bb.332:
	v_cndmask_b32_e64 v61, 0, v53, s12
	v_cndmask_b32_e64 v62, 0, v54, s12
	v_add3_u32 v63, v116, v108, v107
	s_delay_alu instid0(VALU_DEP_3) | instskip(NEXT) | instid1(VALU_DEP_1)
	v_add_co_u32 v61, s13, v61, v55
	v_add_co_ci_u32_e64 v62, s13, v62, v56, s13
	s_delay_alu instid0(VALU_DEP_3) | instskip(NEXT) | instid1(VALU_DEP_3)
	v_add3_u32 v63, v63, v106, v104
	v_cndmask_b32_e64 v61, 0, v61, s11
	s_delay_alu instid0(VALU_DEP_3) | instskip(NEXT) | instid1(VALU_DEP_3)
	v_cndmask_b32_e64 v62, 0, v62, s11
	v_add3_u32 v63, v63, v103, v102
	s_delay_alu instid0(VALU_DEP_3) | instskip(NEXT) | instid1(VALU_DEP_1)
	v_add_co_u32 v61, s13, v61, v49
	v_add_co_ci_u32_e64 v62, s13, v62, v50, s13
	s_delay_alu instid0(VALU_DEP_3) | instskip(NEXT) | instid1(VALU_DEP_3)
	v_add3_u32 v63, v63, v101, v100
	v_cndmask_b32_e64 v61, 0, v61, s10
	s_delay_alu instid0(VALU_DEP_3) | instskip(NEXT) | instid1(VALU_DEP_3)
	v_cndmask_b32_e64 v62, 0, v62, s10
	v_add3_u32 v65, v63, v99, v105
	s_delay_alu instid0(VALU_DEP_3) | instskip(NEXT) | instid1(VALU_DEP_1)
	v_add_co_u32 v61, s13, v61, v51
	v_add_co_ci_u32_e64 v62, s13, v62, v52, s13
	s_delay_alu instid0(VALU_DEP_2) | instskip(NEXT) | instid1(VALU_DEP_2)
	v_cndmask_b32_e64 v61, 0, v61, s9
	v_cndmask_b32_e64 v62, 0, v62, s9
	s_delay_alu instid0(VALU_DEP_2) | instskip(NEXT) | instid1(VALU_DEP_1)
	v_add_co_u32 v61, s13, v61, v45
	v_add_co_ci_u32_e64 v62, s13, v62, v46, s13
	s_delay_alu instid0(VALU_DEP_2) | instskip(NEXT) | instid1(VALU_DEP_2)
	v_cndmask_b32_e64 v61, 0, v61, s8
	v_cndmask_b32_e64 v62, 0, v62, s8
	s_delay_alu instid0(VALU_DEP_2) | instskip(NEXT) | instid1(VALU_DEP_1)
	;; [unrolled: 6-line block ×10, first 2 shown]
	v_add_co_u32 v61, s13, v61, v31
	v_add_co_ci_u32_e64 v62, s13, v62, v32, s13
	s_mov_b32 s13, exec_lo
	s_delay_alu instid0(VALU_DEP_1) | instskip(NEXT) | instid1(VALU_DEP_1)
	v_dual_cndmask_b32 v61, 0, v61 :: v_dual_cndmask_b32 v62, 0, v62
	v_add_co_u32 v63, vcc_lo, v61, v59
	s_delay_alu instid0(VALU_DEP_2) | instskip(SKIP_2) | instid1(VALU_DEP_4)
	v_add_co_ci_u32_e32 v64, vcc_lo, v62, v60, vcc_lo
	v_and_b32_e32 v61, 15, v115
	v_mov_b32_dpp v62, v65 row_shr:1 row_mask:0xf bank_mask:0xf
	v_mov_b32_dpp v66, v63 row_shr:1 row_mask:0xf bank_mask:0xf
	s_delay_alu instid0(VALU_DEP_4) | instskip(NEXT) | instid1(VALU_DEP_4)
	v_mov_b32_dpp v67, v64 row_shr:1 row_mask:0xf bank_mask:0xf
	v_cmpx_ne_u32_e32 0, v61
; %bb.333:
	v_cmp_eq_u32_e32 vcc_lo, 0, v65
	v_add_nc_u32_e32 v65, v62, v65
	s_delay_alu instid0(VALU_DEP_4) | instskip(NEXT) | instid1(VALU_DEP_1)
	v_dual_cndmask_b32 v67, 0, v67 :: v_dual_cndmask_b32 v66, 0, v66
	v_add_co_u32 v63, vcc_lo, v66, v63
	s_delay_alu instid0(VALU_DEP_2)
	v_add_co_ci_u32_e32 v64, vcc_lo, v67, v64, vcc_lo
; %bb.334:
	s_or_b32 exec_lo, exec_lo, s13
	v_mov_b32_dpp v62, v65 row_shr:2 row_mask:0xf bank_mask:0xf
	s_delay_alu instid0(VALU_DEP_3) | instskip(NEXT) | instid1(VALU_DEP_3)
	v_mov_b32_dpp v66, v63 row_shr:2 row_mask:0xf bank_mask:0xf
	v_mov_b32_dpp v67, v64 row_shr:2 row_mask:0xf bank_mask:0xf
	s_mov_b32 s13, exec_lo
	v_cmpx_lt_u32_e32 1, v61
; %bb.335:
	v_cmp_eq_u32_e32 vcc_lo, 0, v65
	v_add_nc_u32_e32 v65, v62, v65
	v_dual_cndmask_b32 v67, 0, v67 :: v_dual_cndmask_b32 v66, 0, v66
	s_delay_alu instid0(VALU_DEP_1) | instskip(NEXT) | instid1(VALU_DEP_2)
	v_add_co_u32 v63, vcc_lo, v66, v63
	v_add_co_ci_u32_e32 v64, vcc_lo, v67, v64, vcc_lo
; %bb.336:
	s_or_b32 exec_lo, exec_lo, s13
	v_mov_b32_dpp v62, v65 row_shr:4 row_mask:0xf bank_mask:0xf
	s_delay_alu instid0(VALU_DEP_3) | instskip(NEXT) | instid1(VALU_DEP_3)
	v_mov_b32_dpp v66, v63 row_shr:4 row_mask:0xf bank_mask:0xf
	v_mov_b32_dpp v67, v64 row_shr:4 row_mask:0xf bank_mask:0xf
	s_mov_b32 s13, exec_lo
	v_cmpx_lt_u32_e32 3, v61
; %bb.337:
	v_cmp_eq_u32_e32 vcc_lo, 0, v65
	v_add_nc_u32_e32 v65, v62, v65
	v_dual_cndmask_b32 v67, 0, v67 :: v_dual_cndmask_b32 v66, 0, v66
	s_delay_alu instid0(VALU_DEP_1) | instskip(NEXT) | instid1(VALU_DEP_2)
	v_add_co_u32 v63, vcc_lo, v66, v63
	;; [unrolled: 15-line block ×3, first 2 shown]
	v_add_co_ci_u32_e32 v64, vcc_lo, v61, v64, vcc_lo
; %bb.340:
	s_or_b32 exec_lo, exec_lo, s13
	ds_swizzle_b32 v61, v65 offset:swizzle(BROADCAST,32,15)
	ds_swizzle_b32 v62, v63 offset:swizzle(BROADCAST,32,15)
	ds_swizzle_b32 v66, v64 offset:swizzle(BROADCAST,32,15)
	v_and_b32_e32 v67, 16, v115
	s_mov_b32 s13, exec_lo
	s_delay_alu instid0(VALU_DEP_1)
	v_cmpx_ne_u32_e32 0, v67
	s_cbranch_execz .LBB1139_342
; %bb.341:
	v_cmp_eq_u32_e32 vcc_lo, 0, v65
	s_waitcnt lgkmcnt(1)
	v_dual_cndmask_b32 v62, 0, v62 :: v_dual_add_nc_u32 v65, v61, v65
	s_waitcnt lgkmcnt(0)
	v_cndmask_b32_e32 v66, 0, v66, vcc_lo
	s_delay_alu instid0(VALU_DEP_2) | instskip(NEXT) | instid1(VALU_DEP_2)
	v_add_co_u32 v63, vcc_lo, v62, v63
	v_add_co_ci_u32_e32 v64, vcc_lo, v66, v64, vcc_lo
.LBB1139_342:
	s_or_b32 exec_lo, exec_lo, s13
	s_waitcnt lgkmcnt(1)
	v_lshrrev_b32_e32 v62, 5, v0
	v_or_b32_e32 v61, 31, v0
	s_mov_b32 s13, exec_lo
	s_waitcnt lgkmcnt(0)
	s_delay_alu instid0(VALU_DEP_2) | instskip(NEXT) | instid1(VALU_DEP_2)
	v_lshlrev_b32_e32 v66, 4, v62
	v_cmpx_eq_u32_e64 v61, v0
	s_cbranch_execz .LBB1139_344
; %bb.343:
	ds_store_b32 v66, v65 offset:4128
	ds_store_b64 v66, v[63:64] offset:4136
.LBB1139_344:
	s_or_b32 exec_lo, exec_lo, s13
	s_delay_alu instid0(SALU_CYCLE_1)
	s_mov_b32 s13, exec_lo
	s_waitcnt lgkmcnt(0)
	s_barrier
	buffer_gl0_inv
	v_cmpx_gt_u32_e32 8, v0
	s_cbranch_execz .LBB1139_352
; %bb.345:
	v_lshlrev_b32_e32 v67, 4, v0
	v_and_b32_e32 v69, 7, v115
	s_mov_b32 s16, exec_lo
	ds_load_b32 v68, v67 offset:4128
	ds_load_b64 v[61:62], v67 offset:4136
	s_waitcnt lgkmcnt(1)
	v_mov_b32_dpp v70, v68 row_shr:1 row_mask:0xf bank_mask:0xf
	s_waitcnt lgkmcnt(0)
	v_mov_b32_dpp v71, v61 row_shr:1 row_mask:0xf bank_mask:0xf
	v_mov_b32_dpp v72, v62 row_shr:1 row_mask:0xf bank_mask:0xf
	v_cmpx_ne_u32_e32 0, v69
; %bb.346:
	v_cmp_eq_u32_e32 vcc_lo, 0, v68
	v_add_nc_u32_e32 v68, v70, v68
	s_delay_alu instid0(VALU_DEP_4) | instskip(NEXT) | instid1(VALU_DEP_1)
	v_dual_cndmask_b32 v72, 0, v72 :: v_dual_cndmask_b32 v71, 0, v71
	v_add_co_u32 v61, vcc_lo, v71, v61
	s_delay_alu instid0(VALU_DEP_2)
	v_add_co_ci_u32_e32 v62, vcc_lo, v72, v62, vcc_lo
; %bb.347:
	s_or_b32 exec_lo, exec_lo, s16
	v_mov_b32_dpp v70, v68 row_shr:2 row_mask:0xf bank_mask:0xf
	s_delay_alu instid0(VALU_DEP_3) | instskip(NEXT) | instid1(VALU_DEP_3)
	v_mov_b32_dpp v71, v61 row_shr:2 row_mask:0xf bank_mask:0xf
	v_mov_b32_dpp v72, v62 row_shr:2 row_mask:0xf bank_mask:0xf
	s_mov_b32 s16, exec_lo
	v_cmpx_lt_u32_e32 1, v69
; %bb.348:
	v_cmp_eq_u32_e32 vcc_lo, 0, v68
	v_add_nc_u32_e32 v68, v70, v68
	v_dual_cndmask_b32 v72, 0, v72 :: v_dual_cndmask_b32 v71, 0, v71
	s_delay_alu instid0(VALU_DEP_1) | instskip(NEXT) | instid1(VALU_DEP_2)
	v_add_co_u32 v61, vcc_lo, v71, v61
	v_add_co_ci_u32_e32 v62, vcc_lo, v72, v62, vcc_lo
; %bb.349:
	s_or_b32 exec_lo, exec_lo, s16
	v_mov_b32_dpp v70, v68 row_shr:4 row_mask:0xf bank_mask:0xf
	s_delay_alu instid0(VALU_DEP_3) | instskip(NEXT) | instid1(VALU_DEP_3)
	v_mov_b32_dpp v71, v61 row_shr:4 row_mask:0xf bank_mask:0xf
	v_mov_b32_dpp v72, v62 row_shr:4 row_mask:0xf bank_mask:0xf
	s_mov_b32 s16, exec_lo
	v_cmpx_lt_u32_e32 3, v69
; %bb.350:
	v_cmp_eq_u32_e32 vcc_lo, 0, v68
	v_dual_cndmask_b32 v71, 0, v71 :: v_dual_add_nc_u32 v68, v70, v68
	v_cndmask_b32_e32 v69, 0, v72, vcc_lo
	s_delay_alu instid0(VALU_DEP_2) | instskip(NEXT) | instid1(VALU_DEP_2)
	v_add_co_u32 v61, vcc_lo, v71, v61
	v_add_co_ci_u32_e32 v62, vcc_lo, v69, v62, vcc_lo
; %bb.351:
	s_or_b32 exec_lo, exec_lo, s16
	ds_store_b32 v67, v68 offset:4128
	ds_store_b64 v67, v[61:62] offset:4136
.LBB1139_352:
	s_or_b32 exec_lo, exec_lo, s13
	v_mov_b32_e32 v61, 0
	v_cmp_gt_u32_e32 vcc_lo, 32, v0
	v_dual_mov_b32 v62, 0 :: v_dual_mov_b32 v71, 0
	s_mov_b32 s16, exec_lo
	s_waitcnt lgkmcnt(0)
	s_barrier
	buffer_gl0_inv
	v_cmpx_lt_u32_e32 31, v0
	s_cbranch_execz .LBB1139_354
; %bb.353:
	ds_load_b64 v[61:62], v66 offset:4120
	ds_load_b32 v71, v66 offset:4112
	v_cmp_eq_u32_e64 s13, 0, v65
	s_waitcnt lgkmcnt(1)
	s_delay_alu instid0(VALU_DEP_1) | instskip(SKIP_3) | instid1(VALU_DEP_3)
	v_cndmask_b32_e64 v67, 0, v61, s13
	v_cndmask_b32_e64 v66, 0, v62, s13
	s_waitcnt lgkmcnt(0)
	v_add_nc_u32_e32 v65, v71, v65
	v_add_co_u32 v63, s13, v67, v63
	s_delay_alu instid0(VALU_DEP_1)
	v_add_co_ci_u32_e64 v64, s13, v66, v64, s13
.LBB1139_354:
	s_or_b32 exec_lo, exec_lo, s16
	v_add_nc_u32_e32 v66, -1, v115
	s_delay_alu instid0(VALU_DEP_1) | instskip(NEXT) | instid1(VALU_DEP_1)
	v_cmp_gt_i32_e64 s13, 0, v66
	v_cndmask_b32_e64 v66, v66, v115, s13
	v_cmp_eq_u32_e64 s13, 0, v115
	s_delay_alu instid0(VALU_DEP_2)
	v_lshlrev_b32_e32 v66, 2, v66
	ds_bpermute_b32 v74, v66, v65
	ds_bpermute_b32 v73, v66, v63
	;; [unrolled: 1-line block ×3, first 2 shown]
	s_and_saveexec_b32 s16, vcc_lo
	s_cbranch_execz .LBB1139_393
; %bb.355:
	v_mov_b32_e32 v67, 0
	ds_load_b32 v75, v67 offset:4240
	ds_load_b64 v[63:64], v67 offset:4248
	s_and_saveexec_b32 s17, s13
	s_cbranch_execz .LBB1139_357
; %bb.356:
	s_add_i32 s18, s15, 32
	s_mov_b32 s19, 0
	v_dual_mov_b32 v65, s18 :: v_dual_mov_b32 v66, 1
	s_lshl_b64 s[20:21], s[18:19], 4
	s_delay_alu instid0(SALU_CYCLE_1)
	s_add_u32 s18, s52, s20
	s_addc_u32 s19, s53, s21
	s_waitcnt lgkmcnt(1)
	global_store_b32 v67, v75, s[18:19]
	s_waitcnt lgkmcnt(0)
	global_store_b64 v67, v[63:64], s[18:19] offset:8
	s_waitcnt_vscnt null, 0x0
	buffer_gl1_inv
	buffer_gl0_inv
	global_store_b8 v65, v66, s[56:57]
.LBB1139_357:
	s_or_b32 exec_lo, exec_lo, s17
	v_xad_u32 v65, v115, -1, s15
	s_mov_b32 s18, 0
	s_mov_b32 s17, exec_lo
	s_delay_alu instid0(VALU_DEP_1)
	v_add_nc_u32_e32 v66, 32, v65
	global_load_u8 v76, v66, s[56:57] glc
	s_waitcnt vmcnt(0)
	v_cmpx_eq_u16_e32 0, v76
	s_cbranch_execz .LBB1139_361
; %bb.358:
	v_add_co_u32 v68, s19, s56, v66
	s_delay_alu instid0(VALU_DEP_1)
	v_add_co_ci_u32_e64 v69, null, s57, 0, s19
.LBB1139_359:                           ; =>This Inner Loop Header: Depth=1
	global_load_u8 v76, v[68:69], off glc
	s_waitcnt vmcnt(0)
	v_cmp_ne_u16_e32 vcc_lo, 0, v76
	s_or_b32 s18, vcc_lo, s18
	s_delay_alu instid0(SALU_CYCLE_1)
	s_and_not1_b32 exec_lo, exec_lo, s18
	s_cbranch_execnz .LBB1139_359
; %bb.360:
	s_or_b32 exec_lo, exec_lo, s18
.LBB1139_361:
	s_delay_alu instid0(SALU_CYCLE_1)
	s_or_b32 exec_lo, exec_lo, s17
	v_dual_mov_b32 v68, s53 :: v_dual_mov_b32 v69, s52
	v_cmp_eq_u16_e32 vcc_lo, 1, v76
	v_lshlrev_b64 v[66:67], 4, v[66:67]
	s_waitcnt lgkmcnt(0)
	s_waitcnt_vscnt null, 0x0
	buffer_gl1_inv
	buffer_gl0_inv
	v_lshlrev_b32_e64 v78, v115, -1
	s_mov_b32 s17, exec_lo
	v_cndmask_b32_e32 v69, s54, v69, vcc_lo
	v_cndmask_b32_e32 v68, s55, v68, vcc_lo
	s_delay_alu instid0(VALU_DEP_2) | instskip(NEXT) | instid1(VALU_DEP_2)
	v_add_co_u32 v66, vcc_lo, v69, v66
	v_add_co_ci_u32_e32 v67, vcc_lo, v68, v67, vcc_lo
	v_cmp_ne_u32_e32 vcc_lo, 31, v115
	s_clause 0x1
	global_load_b32 v88, v[66:67], off
	global_load_b64 v[69:70], v[66:67], off offset:8
	v_add_co_ci_u32_e32 v66, vcc_lo, 0, v115, vcc_lo
	v_cmp_eq_u16_e32 vcc_lo, 2, v76
	s_delay_alu instid0(VALU_DEP_2) | instskip(SKIP_1) | instid1(VALU_DEP_1)
	v_lshlrev_b32_e32 v77, 2, v66
	v_and_or_b32 v66, vcc_lo, v78, 0x80000000
	v_ctz_i32_b32_e32 v66, v66
	s_waitcnt vmcnt(1)
	ds_bpermute_b32 v67, v77, v88
	s_waitcnt vmcnt(0)
	ds_bpermute_b32 v68, v77, v69
	ds_bpermute_b32 v79, v77, v70
	v_cmpx_lt_u32_e64 v115, v66
	s_cbranch_execz .LBB1139_363
; %bb.362:
	v_cmp_eq_u32_e32 vcc_lo, 0, v88
	s_waitcnt lgkmcnt(0)
	v_dual_cndmask_b32 v79, 0, v79 :: v_dual_add_nc_u32 v88, v67, v88
	v_cndmask_b32_e32 v68, 0, v68, vcc_lo
	s_delay_alu instid0(VALU_DEP_1) | instskip(NEXT) | instid1(VALU_DEP_3)
	v_add_co_u32 v69, vcc_lo, v68, v69
	v_add_co_ci_u32_e32 v70, vcc_lo, v79, v70, vcc_lo
.LBB1139_363:
	s_or_b32 exec_lo, exec_lo, s17
	v_cmp_gt_u32_e32 vcc_lo, 30, v115
	v_add_nc_u32_e32 v80, 2, v115
	s_mov_b32 s17, exec_lo
	s_waitcnt lgkmcnt(2)
	v_cndmask_b32_e64 v67, 0, 1, vcc_lo
	s_delay_alu instid0(VALU_DEP_1) | instskip(SKIP_1) | instid1(VALU_DEP_1)
	v_lshlrev_b32_e32 v67, 1, v67
	s_waitcnt lgkmcnt(0)
	v_add_lshl_u32 v79, v67, v115, 2
	ds_bpermute_b32 v67, v79, v88
	ds_bpermute_b32 v68, v79, v69
	ds_bpermute_b32 v81, v79, v70
	v_cmpx_le_u32_e64 v80, v66
	s_cbranch_execz .LBB1139_365
; %bb.364:
	v_cmp_eq_u32_e32 vcc_lo, 0, v88
	s_waitcnt lgkmcnt(0)
	v_dual_cndmask_b32 v81, 0, v81 :: v_dual_add_nc_u32 v88, v67, v88
	v_cndmask_b32_e32 v68, 0, v68, vcc_lo
	s_delay_alu instid0(VALU_DEP_1) | instskip(NEXT) | instid1(VALU_DEP_3)
	v_add_co_u32 v69, vcc_lo, v68, v69
	v_add_co_ci_u32_e32 v70, vcc_lo, v81, v70, vcc_lo
.LBB1139_365:
	s_or_b32 exec_lo, exec_lo, s17
	v_cmp_gt_u32_e32 vcc_lo, 28, v115
	v_add_nc_u32_e32 v82, 4, v115
	s_mov_b32 s17, exec_lo
	s_waitcnt lgkmcnt(2)
	v_cndmask_b32_e64 v67, 0, 1, vcc_lo
	s_delay_alu instid0(VALU_DEP_1) | instskip(SKIP_1) | instid1(VALU_DEP_1)
	v_lshlrev_b32_e32 v67, 2, v67
	s_waitcnt lgkmcnt(0)
	v_add_lshl_u32 v81, v67, v115, 2
	ds_bpermute_b32 v67, v81, v88
	ds_bpermute_b32 v68, v81, v69
	ds_bpermute_b32 v83, v81, v70
	v_cmpx_le_u32_e64 v82, v66
	;; [unrolled: 24-line block ×3, first 2 shown]
	s_cbranch_execz .LBB1139_369
; %bb.368:
	v_cmp_eq_u32_e32 vcc_lo, 0, v88
	s_waitcnt lgkmcnt(0)
	v_dual_cndmask_b32 v85, 0, v85 :: v_dual_add_nc_u32 v88, v67, v88
	v_cndmask_b32_e32 v68, 0, v68, vcc_lo
	s_delay_alu instid0(VALU_DEP_1) | instskip(NEXT) | instid1(VALU_DEP_3)
	v_add_co_u32 v69, vcc_lo, v68, v69
	v_add_co_ci_u32_e32 v70, vcc_lo, v85, v70, vcc_lo
.LBB1139_369:
	s_or_b32 exec_lo, exec_lo, s17
	v_cmp_gt_u32_e32 vcc_lo, 16, v115
	v_add_nc_u32_e32 v87, 16, v115
	s_mov_b32 s17, exec_lo
	s_waitcnt lgkmcnt(2)
	v_cndmask_b32_e64 v67, 0, 1, vcc_lo
	s_delay_alu instid0(VALU_DEP_1) | instskip(NEXT) | instid1(VALU_DEP_1)
	v_lshlrev_b32_e32 v67, 4, v67
	v_add_lshl_u32 v86, v67, v115, 2
	ds_bpermute_b32 v67, v86, v88
	s_waitcnt lgkmcnt(2)
	ds_bpermute_b32 v68, v86, v69
	s_waitcnt lgkmcnt(2)
	ds_bpermute_b32 v85, v86, v70
	v_cmpx_le_u32_e64 v87, v66
	s_cbranch_execz .LBB1139_371
; %bb.370:
	v_cmp_eq_u32_e32 vcc_lo, 0, v88
	s_waitcnt lgkmcnt(2)
	v_add_nc_u32_e32 v88, v67, v88
	s_waitcnt lgkmcnt(1)
	v_cndmask_b32_e32 v68, 0, v68, vcc_lo
	s_waitcnt lgkmcnt(0)
	v_cndmask_b32_e32 v66, 0, v85, vcc_lo
	s_delay_alu instid0(VALU_DEP_2) | instskip(NEXT) | instid1(VALU_DEP_2)
	v_add_co_u32 v69, vcc_lo, v68, v69
	v_add_co_ci_u32_e32 v70, vcc_lo, v66, v70, vcc_lo
.LBB1139_371:
	s_or_b32 exec_lo, exec_lo, s17
	v_mov_b32_e32 v66, 0
	s_branch .LBB1139_373
.LBB1139_372:                           ;   in Loop: Header=BB1139_373 Depth=1
	s_or_b32 exec_lo, exec_lo, s17
	v_cmp_eq_u32_e32 vcc_lo, 0, v85
	v_subrev_nc_u32_e32 v65, 32, v65
	v_add_nc_u32_e32 v88, v88, v85
	v_dual_cndmask_b32 v70, 0, v70 :: v_dual_cndmask_b32 v69, 0, v69
	s_delay_alu instid0(VALU_DEP_1) | instskip(NEXT) | instid1(VALU_DEP_2)
	v_add_co_u32 v69, vcc_lo, v69, v67
	v_add_co_ci_u32_e32 v70, vcc_lo, v70, v68, vcc_lo
.LBB1139_373:                           ; =>This Loop Header: Depth=1
                                        ;     Child Loop BB1139_376 Depth 2
	s_waitcnt lgkmcnt(2)
	v_and_b32_e32 v67, 0xff, v76
	s_waitcnt lgkmcnt(0)
	v_mov_b32_e32 v85, v88
	s_delay_alu instid0(VALU_DEP_2) | instskip(SKIP_2) | instid1(VALU_DEP_1)
	v_cmp_ne_u16_e32 vcc_lo, 2, v67
	v_cndmask_b32_e64 v67, 0, 1, vcc_lo
	;;#ASMSTART
	;;#ASMEND
	v_cmp_ne_u32_e32 vcc_lo, 0, v67
	v_dual_mov_b32 v67, v69 :: v_dual_mov_b32 v68, v70
	s_cmp_lg_u32 vcc_lo, exec_lo
	s_cbranch_scc1 .LBB1139_388
; %bb.374:                              ;   in Loop: Header=BB1139_373 Depth=1
	global_load_u8 v76, v65, s[56:57] glc
	s_mov_b32 s17, exec_lo
	s_waitcnt vmcnt(0)
	v_cmpx_eq_u16_e32 0, v76
	s_cbranch_execz .LBB1139_378
; %bb.375:                              ;   in Loop: Header=BB1139_373 Depth=1
	v_add_co_u32 v69, s18, s56, v65
	s_delay_alu instid0(VALU_DEP_1)
	v_add_co_ci_u32_e64 v70, null, s57, 0, s18
	s_mov_b32 s18, 0
.LBB1139_376:                           ;   Parent Loop BB1139_373 Depth=1
                                        ; =>  This Inner Loop Header: Depth=2
	global_load_u8 v76, v[69:70], off glc
	s_waitcnt vmcnt(0)
	v_cmp_ne_u16_e32 vcc_lo, 0, v76
	s_or_b32 s18, vcc_lo, s18
	s_delay_alu instid0(SALU_CYCLE_1)
	s_and_not1_b32 exec_lo, exec_lo, s18
	s_cbranch_execnz .LBB1139_376
; %bb.377:                              ;   in Loop: Header=BB1139_373 Depth=1
	s_or_b32 exec_lo, exec_lo, s18
.LBB1139_378:                           ;   in Loop: Header=BB1139_373 Depth=1
	s_delay_alu instid0(SALU_CYCLE_1)
	s_or_b32 exec_lo, exec_lo, s17
	v_dual_mov_b32 v88, s53 :: v_dual_mov_b32 v89, s52
	v_cmp_eq_u16_e32 vcc_lo, 1, v76
	v_lshlrev_b64 v[69:70], 4, v[65:66]
	buffer_gl1_inv
	buffer_gl0_inv
	s_mov_b32 s17, exec_lo
	v_cndmask_b32_e32 v89, s54, v89, vcc_lo
	v_cndmask_b32_e32 v88, s55, v88, vcc_lo
	s_delay_alu instid0(VALU_DEP_2) | instskip(NEXT) | instid1(VALU_DEP_2)
	v_add_co_u32 v69, vcc_lo, v89, v69
	v_add_co_ci_u32_e32 v70, vcc_lo, v88, v70, vcc_lo
	v_cmp_eq_u16_e32 vcc_lo, 2, v76
	s_clause 0x1
	global_load_b32 v88, v[69:70], off
	global_load_b64 v[69:70], v[69:70], off offset:8
	v_and_or_b32 v89, vcc_lo, v78, 0x80000000
	s_delay_alu instid0(VALU_DEP_1)
	v_ctz_i32_b32_e32 v89, v89
	s_waitcnt vmcnt(1)
	ds_bpermute_b32 v90, v77, v88
	s_waitcnt vmcnt(0)
	ds_bpermute_b32 v91, v77, v69
	ds_bpermute_b32 v92, v77, v70
	v_cmpx_lt_u32_e64 v115, v89
	s_cbranch_execz .LBB1139_380
; %bb.379:                              ;   in Loop: Header=BB1139_373 Depth=1
	v_cmp_eq_u32_e32 vcc_lo, 0, v88
	s_waitcnt lgkmcnt(2)
	v_add_nc_u32_e32 v88, v90, v88
	s_waitcnt lgkmcnt(0)
	v_dual_cndmask_b32 v92, 0, v92 :: v_dual_cndmask_b32 v91, 0, v91
	s_delay_alu instid0(VALU_DEP_1) | instskip(NEXT) | instid1(VALU_DEP_2)
	v_add_co_u32 v69, vcc_lo, v91, v69
	v_add_co_ci_u32_e32 v70, vcc_lo, v92, v70, vcc_lo
.LBB1139_380:                           ;   in Loop: Header=BB1139_373 Depth=1
	s_or_b32 exec_lo, exec_lo, s17
	s_waitcnt lgkmcnt(2)
	ds_bpermute_b32 v90, v79, v88
	s_waitcnt lgkmcnt(2)
	ds_bpermute_b32 v91, v79, v69
	s_waitcnt lgkmcnt(2)
	ds_bpermute_b32 v92, v79, v70
	s_mov_b32 s17, exec_lo
	v_cmpx_le_u32_e64 v80, v89
	s_cbranch_execz .LBB1139_382
; %bb.381:                              ;   in Loop: Header=BB1139_373 Depth=1
	v_cmp_eq_u32_e32 vcc_lo, 0, v88
	s_waitcnt lgkmcnt(2)
	v_add_nc_u32_e32 v88, v90, v88
	s_waitcnt lgkmcnt(0)
	v_dual_cndmask_b32 v92, 0, v92 :: v_dual_cndmask_b32 v91, 0, v91
	s_delay_alu instid0(VALU_DEP_1) | instskip(NEXT) | instid1(VALU_DEP_2)
	v_add_co_u32 v69, vcc_lo, v91, v69
	v_add_co_ci_u32_e32 v70, vcc_lo, v92, v70, vcc_lo
.LBB1139_382:                           ;   in Loop: Header=BB1139_373 Depth=1
	s_or_b32 exec_lo, exec_lo, s17
	s_waitcnt lgkmcnt(2)
	ds_bpermute_b32 v90, v81, v88
	s_waitcnt lgkmcnt(2)
	ds_bpermute_b32 v91, v81, v69
	s_waitcnt lgkmcnt(2)
	ds_bpermute_b32 v92, v81, v70
	s_mov_b32 s17, exec_lo
	v_cmpx_le_u32_e64 v82, v89
	s_cbranch_execz .LBB1139_384
; %bb.383:                              ;   in Loop: Header=BB1139_373 Depth=1
	v_cmp_eq_u32_e32 vcc_lo, 0, v88
	s_waitcnt lgkmcnt(2)
	v_add_nc_u32_e32 v88, v90, v88
	s_waitcnt lgkmcnt(0)
	v_dual_cndmask_b32 v92, 0, v92 :: v_dual_cndmask_b32 v91, 0, v91
	s_delay_alu instid0(VALU_DEP_1) | instskip(NEXT) | instid1(VALU_DEP_2)
	v_add_co_u32 v69, vcc_lo, v91, v69
	v_add_co_ci_u32_e32 v70, vcc_lo, v92, v70, vcc_lo
.LBB1139_384:                           ;   in Loop: Header=BB1139_373 Depth=1
	s_or_b32 exec_lo, exec_lo, s17
	s_waitcnt lgkmcnt(2)
	ds_bpermute_b32 v90, v83, v88
	s_waitcnt lgkmcnt(2)
	ds_bpermute_b32 v91, v83, v69
	s_waitcnt lgkmcnt(2)
	ds_bpermute_b32 v92, v83, v70
	s_mov_b32 s17, exec_lo
	v_cmpx_le_u32_e64 v84, v89
	s_cbranch_execz .LBB1139_386
; %bb.385:                              ;   in Loop: Header=BB1139_373 Depth=1
	v_cmp_eq_u32_e32 vcc_lo, 0, v88
	s_waitcnt lgkmcnt(2)
	v_add_nc_u32_e32 v88, v90, v88
	s_waitcnt lgkmcnt(0)
	v_dual_cndmask_b32 v92, 0, v92 :: v_dual_cndmask_b32 v91, 0, v91
	s_delay_alu instid0(VALU_DEP_1) | instskip(NEXT) | instid1(VALU_DEP_2)
	v_add_co_u32 v69, vcc_lo, v91, v69
	v_add_co_ci_u32_e32 v70, vcc_lo, v92, v70, vcc_lo
.LBB1139_386:                           ;   in Loop: Header=BB1139_373 Depth=1
	s_or_b32 exec_lo, exec_lo, s17
	s_waitcnt lgkmcnt(2)
	ds_bpermute_b32 v90, v86, v88
	s_waitcnt lgkmcnt(2)
	ds_bpermute_b32 v91, v86, v69
	s_waitcnt lgkmcnt(2)
	ds_bpermute_b32 v92, v86, v70
	s_mov_b32 s17, exec_lo
	v_cmpx_le_u32_e64 v87, v89
	s_cbranch_execz .LBB1139_372
; %bb.387:                              ;   in Loop: Header=BB1139_373 Depth=1
	v_cmp_eq_u32_e32 vcc_lo, 0, v88
	s_waitcnt lgkmcnt(1)
	v_dual_cndmask_b32 v91, 0, v91 :: v_dual_add_nc_u32 v88, v90, v88
	s_waitcnt lgkmcnt(0)
	v_cndmask_b32_e32 v89, 0, v92, vcc_lo
	s_delay_alu instid0(VALU_DEP_2) | instskip(NEXT) | instid1(VALU_DEP_2)
	v_add_co_u32 v69, vcc_lo, v91, v69
	v_add_co_ci_u32_e32 v70, vcc_lo, v89, v70, vcc_lo
	s_branch .LBB1139_372
.LBB1139_388:                           ;   in Loop: Header=BB1139_373 Depth=1
                                        ; implicit-def: $vgpr69_vgpr70
                                        ; implicit-def: $vgpr88
                                        ; implicit-def: $vgpr76
	s_cbranch_execz .LBB1139_373
; %bb.389:
	s_and_saveexec_b32 s17, s13
	s_cbranch_execz .LBB1139_391
; %bb.390:
	v_cmp_eq_u32_e32 vcc_lo, 0, v75
	s_mov_b32 s19, 0
	s_add_i32 s18, s15, 32
	v_dual_mov_b32 v70, 0 :: v_dual_add_nc_u32 v69, v85, v75
	v_dual_cndmask_b32 v66, 0, v68 :: v_dual_cndmask_b32 v65, 0, v67
	s_lshl_b64 s[20:21], s[18:19], 4
	v_dual_mov_b32 v76, s18 :: v_dual_mov_b32 v77, 2
	s_add_u32 s20, s54, s20
	s_delay_alu instid0(VALU_DEP_2)
	v_add_co_u32 v65, vcc_lo, v65, v63
	v_add_co_ci_u32_e32 v66, vcc_lo, v66, v64, vcc_lo
	s_addc_u32 s21, s55, s21
	s_clause 0x1
	global_store_b32 v70, v69, s[20:21]
	global_store_b64 v70, v[65:66], s[20:21] offset:8
	s_waitcnt lgkmcnt(0)
	s_waitcnt_vscnt null, 0x0
	buffer_gl1_inv
	buffer_gl0_inv
	global_store_b8 v76, v77, s[56:57]
	ds_store_b32 v70, v75 offset:4096
	ds_store_b64 v70, v[63:64] offset:4104
	ds_store_b32 v70, v85 offset:4112
	ds_store_b64 v70, v[67:68] offset:4120
.LBB1139_391:
	s_or_b32 exec_lo, exec_lo, s17
	v_cmp_eq_u32_e32 vcc_lo, 0, v0
	s_and_b32 exec_lo, exec_lo, vcc_lo
	s_cbranch_execz .LBB1139_393
; %bb.392:
	v_mov_b32_e32 v63, 0
	ds_store_b32 v63, v85 offset:4240
	ds_store_b64 v63, v[67:68] offset:4248
.LBB1139_393:
	s_or_b32 exec_lo, exec_lo, s16
	s_waitcnt lgkmcnt(2)
	v_cndmask_b32_e64 v66, v74, v71, s13
	s_waitcnt lgkmcnt(0)
	s_waitcnt_vscnt null, 0x0
	s_barrier
	buffer_gl0_inv
	v_cndmask_b32_e64 v61, v73, v61, s13
	v_cmp_eq_u32_e32 vcc_lo, 0, v66
	v_mov_b32_e32 v65, 0
	v_cndmask_b32_e64 v62, v72, v62, s13
	ds_load_b64 v[63:64], v65 offset:4248
	s_waitcnt lgkmcnt(0)
	v_dual_cndmask_b32 v68, 0, v63 :: v_dual_cndmask_b32 v67, 0, v64
	s_delay_alu instid0(VALU_DEP_1) | instskip(NEXT) | instid1(VALU_DEP_2)
	v_add_co_u32 v61, vcc_lo, v68, v61
	v_add_co_ci_u32_e32 v62, vcc_lo, v67, v62, vcc_lo
	v_cmp_eq_u32_e32 vcc_lo, 0, v0
	v_cndmask_b32_e64 v66, v66, 0, vcc_lo
	s_delay_alu instid0(VALU_DEP_3)
	v_dual_cndmask_b32 v78, v62, v64 :: v_dual_cndmask_b32 v77, v61, v63
	v_cmp_eq_u32_e32 vcc_lo, 0, v113
	ds_load_b32 v64, v65 offset:4240
	s_waitcnt lgkmcnt(0)
	s_barrier
	buffer_gl0_inv
	v_dual_cndmask_b32 v62, 0, v77 :: v_dual_cndmask_b32 v61, 0, v78
	ds_load_b64 v[117:118], v65 offset:4104
	v_add_co_u32 v75, vcc_lo, v62, v53
	v_add_co_ci_u32_e32 v76, vcc_lo, v61, v54, vcc_lo
	s_delay_alu instid0(VALU_DEP_2) | instskip(NEXT) | instid1(VALU_DEP_2)
	v_cndmask_b32_e64 v61, 0, v75, s12
	v_cndmask_b32_e64 v62, 0, v76, s12
	s_delay_alu instid0(VALU_DEP_2) | instskip(NEXT) | instid1(VALU_DEP_2)
	v_add_co_u32 v81, vcc_lo, v61, v55
	v_add_co_ci_u32_e32 v82, vcc_lo, v62, v56, vcc_lo
	v_add_nc_u32_e32 v114, v64, v66
	s_delay_alu instid0(VALU_DEP_3) | instskip(NEXT) | instid1(VALU_DEP_3)
	v_cndmask_b32_e64 v61, 0, v81, s11
	v_cndmask_b32_e64 v62, 0, v82, s11
	s_delay_alu instid0(VALU_DEP_2) | instskip(NEXT) | instid1(VALU_DEP_2)
	v_add_co_u32 v85, vcc_lo, v61, v49
	v_add_co_ci_u32_e32 v86, vcc_lo, v62, v50, vcc_lo
	s_delay_alu instid0(VALU_DEP_2) | instskip(NEXT) | instid1(VALU_DEP_2)
	v_cndmask_b32_e64 v61, 0, v85, s10
	v_cndmask_b32_e64 v62, 0, v86, s10
	s_delay_alu instid0(VALU_DEP_2) | instskip(NEXT) | instid1(VALU_DEP_2)
	v_add_co_u32 v67, vcc_lo, v61, v51
	v_add_co_ci_u32_e32 v68, vcc_lo, v62, v52, vcc_lo
	s_delay_alu instid0(VALU_DEP_2) | instskip(NEXT) | instid1(VALU_DEP_2)
	;; [unrolled: 6-line block ×7, first 2 shown]
	v_cndmask_b32_e64 v61, 0, v69, s4
	v_cndmask_b32_e64 v62, 0, v70, s4
	s_delay_alu instid0(VALU_DEP_2) | instskip(NEXT) | instid1(VALU_DEP_2)
	v_add_co_u32 v73, vcc_lo, v61, v39
	v_add_co_ci_u32_e32 v74, vcc_lo, v62, v40, vcc_lo
	ds_load_b32 v61, v65 offset:4096
	v_cndmask_b32_e64 v62, 0, v73, s3
	v_cndmask_b32_e64 v63, 0, v74, s3
	s_delay_alu instid0(VALU_DEP_2) | instskip(NEXT) | instid1(VALU_DEP_2)
	v_add_co_u32 v89, vcc_lo, v62, v33
	v_add_co_ci_u32_e32 v90, vcc_lo, v63, v34, vcc_lo
	ds_load_b64 v[62:63], v65 offset:4120
	v_cndmask_b32_e64 v91, 0, v89, s2
	ds_load_b32 v65, v65 offset:4112
	v_cndmask_b32_e64 v92, 0, v90, s2
	v_add_co_u32 v93, vcc_lo, v91, v35
	s_delay_alu instid0(VALU_DEP_2) | instskip(SKIP_2) | instid1(VALU_DEP_3)
	v_add_co_ci_u32_e32 v94, vcc_lo, v92, v36, vcc_lo
	s_waitcnt lgkmcnt(2)
	v_cmp_eq_u32_e32 vcc_lo, 0, v61
	v_cndmask_b32_e64 v91, 0, v93, s1
	s_delay_alu instid0(VALU_DEP_3) | instskip(NEXT) | instid1(VALU_DEP_2)
	v_cndmask_b32_e64 v92, 0, v94, s1
	v_add_co_u32 v91, s1, v91, v29
	s_delay_alu instid0(VALU_DEP_1) | instskip(SKIP_2) | instid1(VALU_DEP_3)
	v_add_co_ci_u32_e64 v92, s1, v92, v30, s1
	s_waitcnt lgkmcnt(1)
	v_dual_cndmask_b32 v119, 0, v63 :: v_dual_cndmask_b32 v62, 0, v62
	v_cndmask_b32_e64 v97, 0, v91, s0
	s_delay_alu instid0(VALU_DEP_3) | instskip(NEXT) | instid1(VALU_DEP_3)
	v_cndmask_b32_e64 v98, 0, v92, s0
	v_add_co_u32 v63, vcc_lo, v62, v117
	s_delay_alu instid0(VALU_DEP_4)
	v_add_co_ci_u32_e32 v64, vcc_lo, v119, v118, vcc_lo
	s_branch .LBB1139_422
.LBB1139_394:
                                        ; implicit-def: $vgpr61
                                        ; implicit-def: $vgpr63_vgpr64
                                        ; implicit-def: $vgpr65
                                        ; implicit-def: $vgpr77_vgpr78
                                        ; implicit-def: $vgpr75_vgpr76
                                        ; implicit-def: $vgpr81_vgpr82
                                        ; implicit-def: $vgpr85_vgpr86
                                        ; implicit-def: $vgpr67_vgpr68
                                        ; implicit-def: $vgpr71_vgpr72
                                        ; implicit-def: $vgpr79_vgpr80
                                        ; implicit-def: $vgpr83_vgpr84
                                        ; implicit-def: $vgpr87_vgpr88
                                        ; implicit-def: $vgpr69_vgpr70
                                        ; implicit-def: $vgpr73_vgpr74
                                        ; implicit-def: $vgpr89_vgpr90
                                        ; implicit-def: $vgpr93_vgpr94
                                        ; implicit-def: $vgpr91_vgpr92
                                        ; implicit-def: $vgpr97_vgpr98
                                        ; implicit-def: $vgpr114
	s_cbranch_execz .LBB1139_422
; %bb.395:
	s_and_b32 s0, s14, exec_lo
	s_cselect_b32 s1, 0, s29
	s_cselect_b32 s0, 0, s28
	s_delay_alu instid0(SALU_CYCLE_1)
	s_cmp_eq_u64 s[0:1], 0
	s_cbranch_scc1 .LBB1139_397
; %bb.396:
	v_mov_b32_e32 v61, 0
	global_load_b64 v[95:96], v61, s[0:1]
.LBB1139_397:
	v_cmp_eq_u32_e64 s11, 0, v112
	v_cmp_eq_u32_e64 s10, 0, v111
	v_cmp_eq_u32_e64 s9, 0, v110
	v_cmp_eq_u32_e64 s8, 0, v109
	v_cmp_eq_u32_e64 s7, 0, v108
	v_cndmask_b32_e64 v62, 0, v53, s11
	v_cndmask_b32_e64 v61, 0, v54, s11
	v_cmp_eq_u32_e64 s6, 0, v107
	v_cmp_eq_u32_e64 s5, 0, v106
	;; [unrolled: 1-line block ×3, first 2 shown]
	v_add_co_u32 v62, vcc_lo, v62, v55
	v_add_co_ci_u32_e32 v61, vcc_lo, v61, v56, vcc_lo
	v_cmp_eq_u32_e64 s3, 0, v103
	s_delay_alu instid0(VALU_DEP_3) | instskip(SKIP_1) | instid1(VALU_DEP_4)
	v_cndmask_b32_e64 v62, 0, v62, s10
	v_cmp_eq_u32_e64 s2, 0, v102
	v_cndmask_b32_e64 v61, 0, v61, s10
	v_cmp_eq_u32_e64 s1, 0, v100
	v_add3_u32 v63, v116, v108, v107
	v_add_co_u32 v62, vcc_lo, v62, v49
	s_delay_alu instid0(VALU_DEP_4) | instskip(NEXT) | instid1(VALU_DEP_3)
	v_add_co_ci_u32_e32 v61, vcc_lo, v61, v50, vcc_lo
	v_add3_u32 v63, v63, v106, v104
	s_delay_alu instid0(VALU_DEP_3) | instskip(SKIP_1) | instid1(VALU_DEP_3)
	v_cndmask_b32_e64 v62, 0, v62, s9
	s_mov_b32 s13, exec_lo
	v_cndmask_b32_e64 v61, 0, v61, s9
	s_delay_alu instid0(VALU_DEP_3) | instskip(NEXT) | instid1(VALU_DEP_3)
	v_add3_u32 v63, v63, v103, v102
	v_add_co_u32 v62, vcc_lo, v62, v51
	s_delay_alu instid0(VALU_DEP_3) | instskip(NEXT) | instid1(VALU_DEP_3)
	v_add_co_ci_u32_e32 v61, vcc_lo, v61, v52, vcc_lo
	v_add3_u32 v63, v63, v101, v100
	s_delay_alu instid0(VALU_DEP_3) | instskip(NEXT) | instid1(VALU_DEP_3)
	v_cndmask_b32_e64 v62, 0, v62, s8
	v_cndmask_b32_e64 v61, 0, v61, s8
	s_delay_alu instid0(VALU_DEP_3) | instskip(NEXT) | instid1(VALU_DEP_3)
	v_add3_u32 v63, v63, v99, v105
	v_add_co_u32 v62, vcc_lo, v62, v45
	s_delay_alu instid0(VALU_DEP_3) | instskip(NEXT) | instid1(VALU_DEP_2)
	v_add_co_ci_u32_e32 v61, vcc_lo, v61, v46, vcc_lo
	v_cndmask_b32_e64 v62, 0, v62, s7
	s_delay_alu instid0(VALU_DEP_2) | instskip(NEXT) | instid1(VALU_DEP_2)
	v_cndmask_b32_e64 v61, 0, v61, s7
	v_add_co_u32 v62, vcc_lo, v62, v47
	s_delay_alu instid0(VALU_DEP_2) | instskip(NEXT) | instid1(VALU_DEP_2)
	v_add_co_ci_u32_e32 v61, vcc_lo, v61, v48, vcc_lo
	v_cndmask_b32_e64 v62, 0, v62, s6
	s_delay_alu instid0(VALU_DEP_2) | instskip(NEXT) | instid1(VALU_DEP_2)
	v_cndmask_b32_e64 v61, 0, v61, s6
	v_add_co_u32 v62, vcc_lo, v62, v41
	s_delay_alu instid0(VALU_DEP_2) | instskip(NEXT) | instid1(VALU_DEP_2)
	;; [unrolled: 6-line block ×5, first 2 shown]
	v_add_co_ci_u32_e32 v61, vcc_lo, v61, v40, vcc_lo
	v_cndmask_b32_e64 v62, 0, v62, s2
	s_delay_alu instid0(VALU_DEP_2) | instskip(NEXT) | instid1(VALU_DEP_2)
	v_cndmask_b32_e64 v61, 0, v61, s2
	v_add_co_u32 v62, vcc_lo, v62, v33
	s_delay_alu instid0(VALU_DEP_2) | instskip(SKIP_1) | instid1(VALU_DEP_2)
	v_add_co_ci_u32_e32 v61, vcc_lo, v61, v34, vcc_lo
	v_cmp_eq_u32_e32 vcc_lo, 0, v101
	v_dual_cndmask_b32 v61, 0, v61 :: v_dual_cndmask_b32 v62, 0, v62
	s_delay_alu instid0(VALU_DEP_1) | instskip(NEXT) | instid1(VALU_DEP_1)
	v_add_co_u32 v62, s0, v62, v35
	v_add_co_ci_u32_e64 v61, s0, v61, v36, s0
	s_delay_alu instid0(VALU_DEP_2) | instskip(NEXT) | instid1(VALU_DEP_2)
	v_cndmask_b32_e64 v62, 0, v62, s1
	v_cndmask_b32_e64 v61, 0, v61, s1
	s_delay_alu instid0(VALU_DEP_2) | instskip(NEXT) | instid1(VALU_DEP_1)
	v_add_co_u32 v62, s0, v62, v29
	v_add_co_ci_u32_e64 v61, s0, v61, v30, s0
	v_cmp_eq_u32_e64 s0, 0, v99
	s_delay_alu instid0(VALU_DEP_1) | instskip(NEXT) | instid1(VALU_DEP_3)
	v_cndmask_b32_e64 v62, 0, v62, s0
	v_cndmask_b32_e64 v61, 0, v61, s0
	s_delay_alu instid0(VALU_DEP_2) | instskip(NEXT) | instid1(VALU_DEP_1)
	v_add_co_u32 v62, s12, v62, v31
	v_add_co_ci_u32_e64 v61, s12, v61, v32, s12
	v_cmp_eq_u32_e64 s12, 0, v105
	s_delay_alu instid0(VALU_DEP_1) | instskip(NEXT) | instid1(VALU_DEP_3)
	v_cndmask_b32_e64 v62, 0, v62, s12
	v_cndmask_b32_e64 v61, 0, v61, s12
	s_delay_alu instid0(VALU_DEP_2) | instskip(NEXT) | instid1(VALU_DEP_1)
	v_add_co_u32 v59, s12, v62, v59
	v_add_co_ci_u32_e64 v60, s12, v61, v60, s12
	v_and_b32_e32 v61, 15, v115
	v_mov_b32_dpp v62, v63 row_shr:1 row_mask:0xf bank_mask:0xf
	s_delay_alu instid0(VALU_DEP_4)
	v_mov_b32_dpp v64, v59 row_shr:1 row_mask:0xf bank_mask:0xf
	s_waitcnt lgkmcnt(0)
	v_mov_b32_dpp v65, v60 row_shr:1 row_mask:0xf bank_mask:0xf
	v_cmpx_ne_u32_e32 0, v61
; %bb.398:
	v_cmp_eq_u32_e64 s12, 0, v63
	v_add_nc_u32_e32 v63, v62, v63
	s_delay_alu instid0(VALU_DEP_2) | instskip(SKIP_1) | instid1(VALU_DEP_2)
	v_cndmask_b32_e64 v64, 0, v64, s12
	v_cndmask_b32_e64 v65, 0, v65, s12
	v_add_co_u32 v59, s12, v64, v59
	s_delay_alu instid0(VALU_DEP_1)
	v_add_co_ci_u32_e64 v60, s12, v65, v60, s12
; %bb.399:
	s_or_b32 exec_lo, exec_lo, s13
	v_mov_b32_dpp v62, v63 row_shr:2 row_mask:0xf bank_mask:0xf
	s_delay_alu instid0(VALU_DEP_3) | instskip(NEXT) | instid1(VALU_DEP_3)
	v_mov_b32_dpp v64, v59 row_shr:2 row_mask:0xf bank_mask:0xf
	v_mov_b32_dpp v65, v60 row_shr:2 row_mask:0xf bank_mask:0xf
	s_mov_b32 s13, exec_lo
	v_cmpx_lt_u32_e32 1, v61
; %bb.400:
	v_cmp_eq_u32_e64 s12, 0, v63
	v_add_nc_u32_e32 v63, v62, v63
	s_delay_alu instid0(VALU_DEP_2) | instskip(SKIP_1) | instid1(VALU_DEP_2)
	v_cndmask_b32_e64 v64, 0, v64, s12
	v_cndmask_b32_e64 v65, 0, v65, s12
	v_add_co_u32 v59, s12, v64, v59
	s_delay_alu instid0(VALU_DEP_1)
	v_add_co_ci_u32_e64 v60, s12, v65, v60, s12
; %bb.401:
	s_or_b32 exec_lo, exec_lo, s13
	v_mov_b32_dpp v62, v63 row_shr:4 row_mask:0xf bank_mask:0xf
	s_delay_alu instid0(VALU_DEP_3) | instskip(NEXT) | instid1(VALU_DEP_3)
	v_mov_b32_dpp v64, v59 row_shr:4 row_mask:0xf bank_mask:0xf
	v_mov_b32_dpp v65, v60 row_shr:4 row_mask:0xf bank_mask:0xf
	s_mov_b32 s13, exec_lo
	v_cmpx_lt_u32_e32 3, v61
	;; [unrolled: 17-line block ×3, first 2 shown]
; %bb.404:
	v_cmp_eq_u32_e64 s12, 0, v63
	v_add_nc_u32_e32 v63, v62, v63
	s_delay_alu instid0(VALU_DEP_2) | instskip(SKIP_1) | instid1(VALU_DEP_2)
	v_cndmask_b32_e64 v64, 0, v64, s12
	v_cndmask_b32_e64 v61, 0, v65, s12
	v_add_co_u32 v59, s12, v64, v59
	s_delay_alu instid0(VALU_DEP_1)
	v_add_co_ci_u32_e64 v60, s12, v61, v60, s12
; %bb.405:
	s_or_b32 exec_lo, exec_lo, s13
	ds_swizzle_b32 v61, v63 offset:swizzle(BROADCAST,32,15)
	ds_swizzle_b32 v62, v59 offset:swizzle(BROADCAST,32,15)
	;; [unrolled: 1-line block ×3, first 2 shown]
	v_and_b32_e32 v65, 16, v115
	s_mov_b32 s13, exec_lo
	s_delay_alu instid0(VALU_DEP_1)
	v_cmpx_ne_u32_e32 0, v65
	s_cbranch_execz .LBB1139_407
; %bb.406:
	v_cmp_eq_u32_e64 s12, 0, v63
	s_waitcnt lgkmcnt(2)
	v_add_nc_u32_e32 v63, v61, v63
	s_waitcnt lgkmcnt(1)
	s_delay_alu instid0(VALU_DEP_2) | instskip(SKIP_2) | instid1(VALU_DEP_2)
	v_cndmask_b32_e64 v62, 0, v62, s12
	s_waitcnt lgkmcnt(0)
	v_cndmask_b32_e64 v64, 0, v64, s12
	v_add_co_u32 v59, s12, v62, v59
	s_delay_alu instid0(VALU_DEP_1)
	v_add_co_ci_u32_e64 v60, s12, v64, v60, s12
.LBB1139_407:
	s_or_b32 exec_lo, exec_lo, s13
	s_waitcnt lgkmcnt(1)
	v_lshrrev_b32_e32 v62, 5, v0
	v_or_b32_e32 v61, 31, v0
	s_mov_b32 s13, exec_lo
	s_delay_alu instid0(VALU_DEP_2) | instskip(NEXT) | instid1(VALU_DEP_2)
	v_lshlrev_b32_e32 v65, 4, v62
	v_cmpx_eq_u32_e64 v61, v0
	s_cbranch_execz .LBB1139_409
; %bb.408:
	ds_store_b32 v65, v63 offset:4128
	ds_store_b64 v65, v[59:60] offset:4136
.LBB1139_409:
	s_or_b32 exec_lo, exec_lo, s13
	s_delay_alu instid0(SALU_CYCLE_1)
	s_mov_b32 s13, exec_lo
	s_waitcnt vmcnt(0) lgkmcnt(0)
	s_barrier
	buffer_gl0_inv
	v_cmpx_gt_u32_e32 8, v0
	s_cbranch_execz .LBB1139_417
; %bb.410:
	v_lshlrev_b32_e32 v64, 4, v0
	v_and_b32_e32 v67, 7, v115
	s_mov_b32 s15, exec_lo
	ds_load_b32 v66, v64 offset:4128
	ds_load_b64 v[61:62], v64 offset:4136
	s_waitcnt lgkmcnt(1)
	v_mov_b32_dpp v68, v66 row_shr:1 row_mask:0xf bank_mask:0xf
	s_waitcnt lgkmcnt(0)
	v_mov_b32_dpp v69, v61 row_shr:1 row_mask:0xf bank_mask:0xf
	v_mov_b32_dpp v70, v62 row_shr:1 row_mask:0xf bank_mask:0xf
	v_cmpx_ne_u32_e32 0, v67
; %bb.411:
	v_cmp_eq_u32_e64 s12, 0, v66
	v_add_nc_u32_e32 v66, v68, v66
	s_delay_alu instid0(VALU_DEP_2) | instskip(SKIP_1) | instid1(VALU_DEP_2)
	v_cndmask_b32_e64 v69, 0, v69, s12
	v_cndmask_b32_e64 v70, 0, v70, s12
	v_add_co_u32 v61, s12, v69, v61
	s_delay_alu instid0(VALU_DEP_1)
	v_add_co_ci_u32_e64 v62, s12, v70, v62, s12
; %bb.412:
	s_or_b32 exec_lo, exec_lo, s15
	v_mov_b32_dpp v68, v66 row_shr:2 row_mask:0xf bank_mask:0xf
	s_delay_alu instid0(VALU_DEP_3) | instskip(NEXT) | instid1(VALU_DEP_3)
	v_mov_b32_dpp v69, v61 row_shr:2 row_mask:0xf bank_mask:0xf
	v_mov_b32_dpp v70, v62 row_shr:2 row_mask:0xf bank_mask:0xf
	s_mov_b32 s15, exec_lo
	v_cmpx_lt_u32_e32 1, v67
; %bb.413:
	v_cmp_eq_u32_e64 s12, 0, v66
	v_add_nc_u32_e32 v66, v68, v66
	s_delay_alu instid0(VALU_DEP_2) | instskip(SKIP_1) | instid1(VALU_DEP_2)
	v_cndmask_b32_e64 v69, 0, v69, s12
	v_cndmask_b32_e64 v70, 0, v70, s12
	v_add_co_u32 v61, s12, v69, v61
	s_delay_alu instid0(VALU_DEP_1)
	v_add_co_ci_u32_e64 v62, s12, v70, v62, s12
; %bb.414:
	s_or_b32 exec_lo, exec_lo, s15
	v_mov_b32_dpp v68, v66 row_shr:4 row_mask:0xf bank_mask:0xf
	s_delay_alu instid0(VALU_DEP_3) | instskip(NEXT) | instid1(VALU_DEP_3)
	v_mov_b32_dpp v69, v61 row_shr:4 row_mask:0xf bank_mask:0xf
	v_mov_b32_dpp v70, v62 row_shr:4 row_mask:0xf bank_mask:0xf
	s_mov_b32 s15, exec_lo
	v_cmpx_lt_u32_e32 3, v67
; %bb.415:
	v_cmp_eq_u32_e64 s12, 0, v66
	v_add_nc_u32_e32 v66, v68, v66
	s_delay_alu instid0(VALU_DEP_2) | instskip(SKIP_1) | instid1(VALU_DEP_2)
	v_cndmask_b32_e64 v69, 0, v69, s12
	v_cndmask_b32_e64 v67, 0, v70, s12
	v_add_co_u32 v61, s12, v69, v61
	s_delay_alu instid0(VALU_DEP_1)
	v_add_co_ci_u32_e64 v62, s12, v67, v62, s12
; %bb.416:
	s_or_b32 exec_lo, exec_lo, s15
	ds_store_b32 v64, v66 offset:4128
	ds_store_b64 v64, v[61:62] offset:4136
.LBB1139_417:
	s_or_b32 exec_lo, exec_lo, s13
	v_dual_mov_b32 v64, 0 :: v_dual_mov_b32 v61, v95
	v_mov_b32_e32 v66, 0
	v_mov_b32_e32 v62, v96
	s_mov_b32 s13, exec_lo
	s_waitcnt lgkmcnt(0)
	s_barrier
	buffer_gl0_inv
	v_cmpx_lt_u32_e32 31, v0
	s_cbranch_execz .LBB1139_419
; %bb.418:
	ds_load_b32 v66, v65 offset:4112
	ds_load_b64 v[61:62], v65 offset:4120
	s_waitcnt lgkmcnt(1)
	v_cmp_eq_u32_e64 s12, 0, v66
	s_delay_alu instid0(VALU_DEP_1) | instskip(SKIP_2) | instid1(VALU_DEP_2)
	v_cndmask_b32_e64 v67, 0, v95, s12
	v_cndmask_b32_e64 v65, 0, v96, s12
	s_waitcnt lgkmcnt(0)
	v_add_co_u32 v61, s12, v67, v61
	s_delay_alu instid0(VALU_DEP_1)
	v_add_co_ci_u32_e64 v62, s12, v65, v62, s12
.LBB1139_419:
	s_or_b32 exec_lo, exec_lo, s13
	v_add_nc_u32_e32 v65, -1, v115
	v_cmp_eq_u32_e64 s12, 0, v63
	v_add_nc_u32_e32 v63, v66, v63
	s_delay_alu instid0(VALU_DEP_3) | instskip(NEXT) | instid1(VALU_DEP_3)
	v_cmp_gt_i32_e64 s13, 0, v65
	v_cndmask_b32_e64 v68, 0, v61, s12
	v_cndmask_b32_e64 v67, 0, v62, s12
	s_delay_alu instid0(VALU_DEP_3) | instskip(NEXT) | instid1(VALU_DEP_3)
	v_cndmask_b32_e64 v65, v65, v115, s13
	v_add_co_u32 v59, s12, v68, v59
	s_delay_alu instid0(VALU_DEP_1) | instskip(NEXT) | instid1(VALU_DEP_3)
	v_add_co_ci_u32_e64 v60, s12, v67, v60, s12
	v_lshlrev_b32_e32 v65, 2, v65
	v_cmp_eq_u32_e64 s12, 0, v115
	v_cmp_eq_u32_e64 s13, 0, v113
	ds_bpermute_b32 v63, v65, v63
	ds_bpermute_b32 v60, v65, v60
	;; [unrolled: 1-line block ×3, first 2 shown]
	s_waitcnt lgkmcnt(2)
	v_cndmask_b32_e64 v114, v63, v66, s12
	s_waitcnt lgkmcnt(1)
	v_cndmask_b32_e64 v78, v60, v62, s12
	;; [unrolled: 2-line block ×3, first 2 shown]
	v_cmp_eq_u32_e64 s12, 0, v0
	ds_load_b32 v61, v64 offset:4240
	v_cndmask_b32_e64 v59, v77, v95, s12
	v_cndmask_b32_e64 v60, v78, v96, s12
	s_delay_alu instid0(VALU_DEP_2) | instskip(NEXT) | instid1(VALU_DEP_2)
	v_cndmask_b32_e64 v59, 0, v59, s13
	v_cndmask_b32_e64 v60, 0, v60, s13
	s_delay_alu instid0(VALU_DEP_2) | instskip(NEXT) | instid1(VALU_DEP_1)
	v_add_co_u32 v75, s13, v59, v53
	v_add_co_ci_u32_e64 v76, s13, v60, v54, s13
	s_delay_alu instid0(VALU_DEP_2) | instskip(NEXT) | instid1(VALU_DEP_2)
	v_cndmask_b32_e64 v53, 0, v75, s11
	v_cndmask_b32_e64 v54, 0, v76, s11
	s_delay_alu instid0(VALU_DEP_2) | instskip(NEXT) | instid1(VALU_DEP_1)
	v_add_co_u32 v81, s11, v53, v55
	v_add_co_ci_u32_e64 v82, s11, v54, v56, s11
	;; [unrolled: 6-line block ×11, first 2 shown]
	ds_load_b64 v[33:34], v64 offset:4248
	v_dual_cndmask_b32 v37, 0, v89 :: v_dual_cndmask_b32 v38, 0, v90
	s_delay_alu instid0(VALU_DEP_1) | instskip(NEXT) | instid1(VALU_DEP_2)
	v_add_co_u32 v93, vcc_lo, v37, v35
	v_add_co_ci_u32_e32 v94, vcc_lo, v38, v36, vcc_lo
	s_waitcnt lgkmcnt(1)
	v_cmp_eq_u32_e32 vcc_lo, 0, v61
	s_delay_alu instid0(VALU_DEP_3) | instskip(NEXT) | instid1(VALU_DEP_3)
	v_cndmask_b32_e64 v35, 0, v93, s1
	v_cndmask_b32_e64 v36, 0, v94, s1
	s_delay_alu instid0(VALU_DEP_2) | instskip(NEXT) | instid1(VALU_DEP_1)
	v_add_co_u32 v91, s1, v35, v29
	v_add_co_ci_u32_e64 v92, s1, v36, v30, s1
	v_dual_cndmask_b32 v30, 0, v95 :: v_dual_cndmask_b32 v29, 0, v96
	s_delay_alu instid0(VALU_DEP_3) | instskip(NEXT) | instid1(VALU_DEP_3)
	v_cndmask_b32_e64 v97, 0, v91, s0
	v_cndmask_b32_e64 v98, 0, v92, s0
	s_waitcnt lgkmcnt(0)
	s_delay_alu instid0(VALU_DEP_3)
	v_add_co_u32 v63, vcc_lo, v30, v33
	v_add_co_ci_u32_e32 v64, vcc_lo, v29, v34, vcc_lo
	s_and_saveexec_b32 s0, s12
	s_cbranch_execz .LBB1139_421
; %bb.420:
	v_dual_mov_b32 v114, 0 :: v_dual_mov_b32 v29, 2
	v_dual_mov_b32 v77, v95 :: v_dual_mov_b32 v78, v96
	s_clause 0x1
	global_store_b32 v114, v61, s[54:55] offset:512
	global_store_b64 v114, v[63:64], s[54:55] offset:520
	s_waitcnt_vscnt null, 0x0
	buffer_gl1_inv
	buffer_gl0_inv
	global_store_b8 v114, v29, s[56:57] offset:32
.LBB1139_421:
	s_or_b32 exec_lo, exec_lo, s0
	v_mov_b32_e32 v65, 0
.LBB1139_422:
	v_mov_b32_e32 v29, 0
	s_and_b32 s0, s14, exec_lo
	v_mov_b32_e32 v30, 0
	s_cselect_b32 s1, 0, s67
	s_cselect_b32 s0, 0, s66
	s_waitcnt lgkmcnt(0)
	s_waitcnt_vscnt null, 0x0
	s_cmp_eq_u64 s[0:1], 0
	s_barrier
	buffer_gl0_inv
	s_cbranch_scc1 .LBB1139_424
; %bb.423:
	v_mov_b32_e32 v29, 0
	global_load_b64 v[29:30], v29, s[0:1]
.LBB1139_424:
	v_cmp_eq_u32_e32 vcc_lo, 0, v113
	v_add_nc_u32_e32 v48, v114, v113
	v_cmp_ne_u32_e64 s12, 0, v113
	v_cmp_ne_u32_e64 s11, 0, v112
	;; [unrolled: 1-line block ×3, first 2 shown]
	v_cndmask_b32_e64 v33, 1, 2, vcc_lo
	v_cmp_eq_u32_e32 vcc_lo, 0, v112
	v_add_nc_u32_e32 v50, v48, v112
	v_cmp_ne_u32_e64 s8, 0, v110
	v_cmp_ne_u32_e64 s14, 0, v109
	;; [unrolled: 1-line block ×3, first 2 shown]
	v_cndmask_b32_e64 v34, 1, 2, vcc_lo
	v_cmp_eq_u32_e32 vcc_lo, 0, v111
	v_add_nc_u32_e32 v49, v50, v111
	v_cmp_ne_u32_e64 s10, 0, v107
	s_delay_alu instid0(VALU_DEP_4)
	v_dual_mov_b32 v66, 0 :: v_dual_and_b32 v33, v34, v33
	v_cndmask_b32_e64 v35, 1, 2, vcc_lo
	v_cmp_eq_u32_e32 vcc_lo, 0, v110
	v_add_nc_u32_e32 v47, v49, v110
	v_cmp_ne_u32_e64 s7, 0, v106
	v_cmp_ne_u32_e64 s6, 0, v104
	v_and_b32_e32 v35, v33, v35
	v_cndmask_b32_e64 v36, 1, 2, vcc_lo
	v_cmp_eq_u32_e32 vcc_lo, 0, v109
	v_add_nc_u32_e32 v46, v47, v109
	s_waitcnt vmcnt(0)
	v_lshlrev_b64 v[33:34], 3, v[29:30]
	v_cmp_ne_u32_e64 s5, 0, v103
	v_and_b32_e32 v35, v35, v36
	v_cndmask_b32_e64 v37, 1, 2, vcc_lo
	v_cmp_eq_u32_e32 vcc_lo, 0, v108
	v_add_nc_u32_e32 v45, v46, v108
	v_cmp_ne_u32_e64 s4, 0, v102
	v_cmp_ne_u32_e64 s3, 0, v101
	v_and_b32_e32 v35, v35, v37
	v_cndmask_b32_e64 v36, 1, 2, vcc_lo
	v_cmp_eq_u32_e32 vcc_lo, 0, v107
	v_add_nc_u32_e32 v44, v45, v107
	v_cmp_ne_u32_e64 s2, 0, v100
	;; [unrolled: 6-line block ×3, first 2 shown]
	s_mov_b32 s16, -1
	v_and_b32_e32 v35, v35, v37
	v_cndmask_b32_e64 v36, 1, 2, vcc_lo
	v_cmp_eq_u32_e32 vcc_lo, 0, v104
	v_add_nc_u32_e32 v42, v43, v104
	s_delay_alu instid0(VALU_DEP_3) | instskip(SKIP_2) | instid1(VALU_DEP_4)
	v_and_b32_e32 v35, v35, v36
	v_cndmask_b32_e64 v37, 1, 2, vcc_lo
	v_cmp_eq_u32_e32 vcc_lo, 0, v103
	v_add_nc_u32_e32 v41, v42, v103
	s_delay_alu instid0(VALU_DEP_3) | instskip(SKIP_2) | instid1(VALU_DEP_4)
	v_and_b32_e32 v35, v35, v37
	v_cndmask_b32_e64 v36, 1, 2, vcc_lo
	v_cmp_eq_u32_e32 vcc_lo, 0, v102
	v_add_nc_u32_e32 v40, v41, v102
	s_delay_alu instid0(VALU_DEP_3) | instskip(SKIP_3) | instid1(VALU_DEP_3)
	v_and_b32_e32 v39, v35, v36
	v_cndmask_b32_e64 v37, 1, 2, vcc_lo
	v_cmp_eq_u32_e32 vcc_lo, 0, v101
	v_lshlrev_b64 v[35:36], 3, v[65:66]
	v_and_b32_e32 v37, v39, v37
	v_cndmask_b32_e64 v38, 1, 2, vcc_lo
	v_cmp_eq_u32_e32 vcc_lo, 0, v100
	v_add_nc_u32_e32 v39, v40, v101
	s_delay_alu instid0(VALU_DEP_3) | instskip(SKIP_3) | instid1(VALU_DEP_3)
	v_and_b32_e32 v54, v37, v38
	v_cndmask_b32_e64 v53, 1, 2, vcc_lo
	v_add_co_u32 v51, vcc_lo, s46, v33
	v_add_co_ci_u32_e32 v52, vcc_lo, s47, v34, vcc_lo
	v_and_b32_e32 v53, v54, v53
	s_delay_alu instid0(VALU_DEP_3) | instskip(NEXT) | instid1(VALU_DEP_3)
	v_add_co_u32 v51, vcc_lo, v51, v35
	v_add_co_ci_u32_e32 v52, vcc_lo, v52, v36, vcc_lo
	v_cmp_eq_u32_e32 vcc_lo, 0, v99
	v_add_nc_u32_e32 v38, v39, v100
	v_cndmask_b32_e64 v54, 1, 2, vcc_lo
	v_cmp_eq_u32_e32 vcc_lo, 0, v105
	s_delay_alu instid0(VALU_DEP_3) | instskip(NEXT) | instid1(VALU_DEP_3)
	v_add_nc_u32_e32 v37, v38, v99
	v_and_b32_e32 v53, v53, v54
	v_cndmask_b32_e64 v54, 1, 2, vcc_lo
	v_cmp_gt_u32_e32 vcc_lo, 0x100, v61
	s_delay_alu instid0(VALU_DEP_2) | instskip(NEXT) | instid1(VALU_DEP_1)
	v_and_b32_e32 v53, v53, v54
	v_cmp_gt_i16_e64 s15, 2, v53
	s_cbranch_vccz .LBB1139_431
; %bb.425:
	s_delay_alu instid0(VALU_DEP_1)
	s_and_saveexec_b32 s16, s15
	s_cbranch_execz .LBB1139_430
; %bb.426:
	s_mov_b32 s17, 0
	s_mov_b32 s15, exec_lo
	v_cmpx_ne_u16_e32 1, v53
	s_xor_b32 s15, exec_lo, s15
	s_cbranch_execnz .LBB1139_463
; %bb.427:
	s_and_not1_saveexec_b32 s15, s15
	s_cbranch_execnz .LBB1139_479
.LBB1139_428:
	s_or_b32 exec_lo, exec_lo, s15
	s_delay_alu instid0(SALU_CYCLE_1)
	s_and_b32 exec_lo, exec_lo, s17
	s_cbranch_execz .LBB1139_430
.LBB1139_429:
	v_sub_nc_u32_e32 v54, v37, v65
	v_mov_b32_e32 v55, 0
	s_delay_alu instid0(VALU_DEP_1) | instskip(NEXT) | instid1(VALU_DEP_1)
	v_lshlrev_b64 v[54:55], 3, v[54:55]
	v_add_co_u32 v54, vcc_lo, v51, v54
	s_delay_alu instid0(VALU_DEP_2)
	v_add_co_ci_u32_e32 v55, vcc_lo, v52, v55, vcc_lo
	global_store_b64 v[54:55], v[57:58], off
.LBB1139_430:
	s_or_b32 exec_lo, exec_lo, s16
	s_mov_b32 s16, 0
.LBB1139_431:
	s_delay_alu instid0(SALU_CYCLE_1)
	s_and_b32 vcc_lo, exec_lo, s16
	s_cbranch_vccz .LBB1139_441
; %bb.432:
	s_mov_b32 s15, exec_lo
	v_cmpx_gt_i16_e32 2, v53
	s_cbranch_execz .LBB1139_437
; %bb.433:
	s_mov_b32 s17, 0
	s_mov_b32 s16, exec_lo
	v_cmpx_ne_u16_e32 1, v53
	s_xor_b32 s16, exec_lo, s16
	s_cbranch_execnz .LBB1139_480
; %bb.434:
	s_and_not1_saveexec_b32 s0, s16
	s_cbranch_execnz .LBB1139_496
.LBB1139_435:
	s_or_b32 exec_lo, exec_lo, s0
	s_delay_alu instid0(SALU_CYCLE_1)
	s_and_b32 exec_lo, exec_lo, s17
	s_cbranch_execz .LBB1139_437
.LBB1139_436:
	v_sub_nc_u32_e32 v1, v37, v65
	s_delay_alu instid0(VALU_DEP_1)
	v_lshlrev_b32_e32 v1, 3, v1
	ds_store_b64 v1, v[57:58]
.LBB1139_437:
	s_or_b32 exec_lo, exec_lo, s15
	s_delay_alu instid0(SALU_CYCLE_1)
	s_mov_b32 s1, exec_lo
	s_waitcnt lgkmcnt(0)
	s_waitcnt_vscnt null, 0x0
	s_barrier
	buffer_gl0_inv
	v_cmpx_lt_u32_e64 v0, v61
	s_cbranch_execz .LBB1139_440
; %bb.438:
	v_dual_mov_b32 v2, 0 :: v_dual_lshlrev_b32 v3, 3, v0
	v_mov_b32_e32 v1, v0
	s_mov_b32 s2, 0
	.p2align	6
.LBB1139_439:                           ; =>This Inner Loop Header: Depth=1
	ds_load_b64 v[4:5], v3
	v_lshlrev_b64 v[6:7], 3, v[1:2]
	v_add_nc_u32_e32 v1, 0x100, v1
	v_add_nc_u32_e32 v3, 0x800, v3
	s_delay_alu instid0(VALU_DEP_2) | instskip(NEXT) | instid1(VALU_DEP_4)
	v_cmp_ge_u32_e32 vcc_lo, v1, v61
	v_add_co_u32 v6, s0, v51, v6
	s_delay_alu instid0(VALU_DEP_1)
	v_add_co_ci_u32_e64 v7, s0, v52, v7, s0
	s_or_b32 s2, vcc_lo, s2
	s_waitcnt lgkmcnt(0)
	global_store_b64 v[6:7], v[4:5], off
	s_and_not1_b32 exec_lo, exec_lo, s2
	s_cbranch_execnz .LBB1139_439
.LBB1139_440:
	s_or_b32 exec_lo, exec_lo, s1
.LBB1139_441:
	v_add_co_u32 v1, vcc_lo, v97, v31
	s_cmpk_lg_i32 s33, 0xf00
	v_add_co_ci_u32_e32 v2, vcc_lo, v98, v32, vcc_lo
	s_cselect_b32 s0, -1, 0
	v_cmp_eq_u32_e32 vcc_lo, 0, v0
	s_and_b32 s0, s27, s0
	v_cndmask_b32_e64 v8, 0, 1, s34
	v_mad_i32_i24 v5, v0, -15, s33
	v_cndmask_b32_e64 v4, 0, 1, s0
	s_mul_hi_u32 s0, s33, 0x88888889
	s_and_b32 s1, vcc_lo, s34
	s_lshr_b32 s0, s0, 3
	v_sub_nc_u32_e32 v3, v61, v8
	v_cndmask_b32_e64 v6, v113, 0, s1
	v_cmp_eq_u32_e32 vcc_lo, s0, v0
	v_cmp_ne_u32_e64 s0, 0, v5
	s_mov_b32 s16, -1
	s_waitcnt_vscnt null, 0x0
	s_barrier
	s_and_b32 vcc_lo, s27, vcc_lo
	v_add_nc_u32_e32 v3, v3, v4
	v_cndmask_b32_e64 v4, 1, v6, s0
	v_cmp_ne_u32_e64 s0, 1, v5
	buffer_gl0_inv
	v_cndmask_b32_e64 v7, 1, v112, s0
	v_cmp_ne_u32_e64 s0, 14, v5
	s_delay_alu instid0(VALU_DEP_1) | instskip(SKIP_1) | instid1(VALU_DEP_2)
	v_cndmask_b32_e64 v9, 1, v105, s0
	v_cmp_ne_u32_e64 s0, 2, v5
	v_cndmask_b32_e32 v12, v105, v9, vcc_lo
	s_delay_alu instid0(VALU_DEP_2) | instskip(SKIP_1) | instid1(VALU_DEP_2)
	v_cndmask_b32_e64 v10, 1, v111, s0
	v_cmp_ne_u32_e64 s0, 3, v5
	v_dual_cndmask_b32 v9, v6, v4 :: v_dual_cndmask_b32 v10, v111, v10
	s_delay_alu instid0(VALU_DEP_2) | instskip(SKIP_1) | instid1(VALU_DEP_3)
	v_cndmask_b32_e64 v11, 1, v110, s0
	v_cmp_ne_u32_e64 s0, 4, v5
	v_cmp_ne_u32_e64 s14, 0, v9
	s_delay_alu instid0(VALU_DEP_4) | instskip(NEXT) | instid1(VALU_DEP_3)
	v_cmp_ne_u32_e64 s12, 0, v10
	v_cndmask_b32_e64 v4, 1, v109, s0
	v_cmp_ne_u32_e64 s0, 5, v5
	s_delay_alu instid0(VALU_DEP_2) | instskip(NEXT) | instid1(VALU_DEP_2)
	v_dual_cndmask_b32 v13, v112, v7 :: v_dual_cndmask_b32 v18, v109, v4
	v_cndmask_b32_e64 v6, 1, v108, s0
	v_cmp_eq_u32_e64 s0, 0, v9
	s_delay_alu instid0(VALU_DEP_3) | instskip(NEXT) | instid1(VALU_DEP_4)
	v_cmp_ne_u32_e64 s13, 0, v13
	v_cmp_ne_u32_e64 s10, 0, v18
	s_delay_alu instid0(VALU_DEP_4) | instskip(NEXT) | instid1(VALU_DEP_4)
	v_cndmask_b32_e32 v19, v108, v6, vcc_lo
	v_cndmask_b32_e64 v7, 1, 2, s0
	v_cmp_eq_u32_e64 s0, 0, v13
	s_delay_alu instid0(VALU_DEP_1) | instskip(SKIP_1) | instid1(VALU_DEP_2)
	v_cndmask_b32_e64 v14, 1, 2, s0
	v_cmp_ne_u32_e64 s0, 6, v5
	v_and_b32_e32 v7, v14, v7
	s_delay_alu instid0(VALU_DEP_2) | instskip(SKIP_1) | instid1(VALU_DEP_2)
	v_cndmask_b32_e64 v15, 1, v107, s0
	v_cmp_eq_u32_e64 s0, 0, v10
	v_cndmask_b32_e32 v15, v107, v15, vcc_lo
	s_delay_alu instid0(VALU_DEP_2) | instskip(SKIP_1) | instid1(VALU_DEP_1)
	v_cndmask_b32_e64 v14, 1, 2, s0
	v_cmp_ne_u32_e64 s0, 7, v5
	v_cndmask_b32_e64 v16, 1, v106, s0
	v_cmp_ne_u32_e64 s0, 8, v5
	s_delay_alu instid0(VALU_DEP_2) | instskip(SKIP_1) | instid1(VALU_DEP_3)
	v_dual_cndmask_b32 v16, v106, v16 :: v_dual_and_b32 v7, v7, v14
	v_cndmask_b32_e32 v11, v110, v11, vcc_lo
	v_cndmask_b32_e64 v17, 1, v104, s0
	s_delay_alu instid0(VALU_DEP_3) | instskip(NEXT) | instid1(VALU_DEP_3)
	v_cmp_ne_u32_e64 s7, 0, v16
	v_cmp_eq_u32_e64 s0, 0, v11
	s_delay_alu instid0(VALU_DEP_3) | instskip(NEXT) | instid1(VALU_DEP_2)
	v_cndmask_b32_e32 v17, v104, v17, vcc_lo
	v_cndmask_b32_e64 v14, 1, 2, s0
	v_cmp_ne_u32_e64 s0, 9, v5
	s_delay_alu instid0(VALU_DEP_3) | instskip(NEXT) | instid1(VALU_DEP_3)
	v_cmp_ne_u32_e64 s6, 0, v17
	v_and_b32_e32 v6, v7, v14
	s_delay_alu instid0(VALU_DEP_3) | instskip(SKIP_2) | instid1(VALU_DEP_3)
	v_cndmask_b32_e64 v4, 1, v103, s0
	v_cmp_eq_u32_e64 s0, 0, v18
	v_cmp_ne_u32_e64 s11, 0, v11
	v_cndmask_b32_e32 v23, v103, v4, vcc_lo
	s_delay_alu instid0(VALU_DEP_3) | instskip(SKIP_1) | instid1(VALU_DEP_3)
	v_cndmask_b32_e64 v7, 1, 2, s0
	v_cmp_ne_u32_e64 s0, 10, v5
	v_cmp_ne_u32_e64 s5, 0, v23
	s_delay_alu instid0(VALU_DEP_3) | instskip(NEXT) | instid1(VALU_DEP_3)
	v_and_b32_e32 v6, v6, v7
	v_cndmask_b32_e64 v14, 1, v102, s0
	v_cmp_ne_u32_e64 s0, 12, v5
	v_cmp_ne_u32_e64 s9, 0, v19
	s_delay_alu instid0(VALU_DEP_3) | instskip(NEXT) | instid1(VALU_DEP_3)
	v_cndmask_b32_e32 v14, v102, v14, vcc_lo
	v_cndmask_b32_e64 v20, 1, v100, s0
	v_cmp_eq_u32_e64 s0, 0, v19
	s_delay_alu instid0(VALU_DEP_3) | instskip(NEXT) | instid1(VALU_DEP_3)
	v_cmp_ne_u32_e64 s4, 0, v14
	v_cndmask_b32_e32 v20, v100, v20, vcc_lo
	s_delay_alu instid0(VALU_DEP_3) | instskip(SKIP_1) | instid1(VALU_DEP_3)
	v_cndmask_b32_e64 v7, 1, 2, s0
	v_cmp_ne_u32_e64 s0, 13, v5
	v_cmp_ne_u32_e64 s2, 0, v20
	s_delay_alu instid0(VALU_DEP_2) | instskip(SKIP_1) | instid1(VALU_DEP_2)
	v_cndmask_b32_e64 v21, 1, v99, s0
	v_cmp_eq_u32_e64 s0, 0, v15
	v_dual_cndmask_b32 v21, v99, v21 :: v_dual_and_b32 v6, v6, v7
	s_delay_alu instid0(VALU_DEP_2) | instskip(SKIP_1) | instid1(VALU_DEP_3)
	v_cndmask_b32_e64 v7, 1, 2, s0
	v_cmp_ne_u32_e64 s0, 11, v5
	v_cmp_ne_u32_e64 s1, 0, v21
	s_delay_alu instid0(VALU_DEP_3) | instskip(NEXT) | instid1(VALU_DEP_3)
	v_and_b32_e32 v6, v6, v7
	v_cndmask_b32_e64 v5, 1, v101, s0
	v_cmp_eq_u32_e64 s0, 0, v16
	s_delay_alu instid0(VALU_DEP_2) | instskip(NEXT) | instid1(VALU_DEP_2)
	v_cndmask_b32_e32 v22, v101, v5, vcc_lo
	v_cndmask_b32_e64 v7, 1, 2, s0
	v_cmp_eq_u32_e32 vcc_lo, 0, v17
	v_cmp_ne_u32_e64 s8, 0, v15
	v_cmp_ne_u32_e64 s0, 0, v12
	;; [unrolled: 1-line block ×3, first 2 shown]
	v_and_b32_e32 v4, v6, v7
	v_cndmask_b32_e64 v5, 1, 2, vcc_lo
	v_add_co_u32 v6, vcc_lo, s48, v33
	v_add_co_ci_u32_e32 v7, vcc_lo, s49, v34, vcc_lo
	v_cmp_eq_u32_e32 vcc_lo, 0, v23
	s_delay_alu instid0(VALU_DEP_4)
	v_and_b32_e32 v24, v4, v5
	v_cndmask_b32_e64 v25, 1, 2, vcc_lo
	v_add_co_u32 v4, vcc_lo, v6, v35
	v_add_co_ci_u32_e32 v5, vcc_lo, v7, v36, vcc_lo
	v_lshlrev_b32_e32 v6, 3, v8
	v_cmp_eq_u32_e32 vcc_lo, 0, v14
	v_and_b32_e32 v7, v24, v25
	v_add_nc_u32_e32 v8, v65, v8
	v_cndmask_b32_e64 v24, 1, 2, vcc_lo
	v_add_co_u32 v6, vcc_lo, v6, v4
	v_add_co_ci_u32_e32 v25, vcc_lo, 0, v5, vcc_lo
	v_cmp_eq_u32_e32 vcc_lo, 0, v22
	s_delay_alu instid0(VALU_DEP_4) | instskip(SKIP_4) | instid1(VALU_DEP_4)
	v_and_b32_e32 v24, v7, v24
	v_cndmask_b32_e64 v26, 1, 2, vcc_lo
	v_add_co_u32 v6, vcc_lo, v6, -8
	v_add_co_ci_u32_e32 v7, vcc_lo, -1, v25, vcc_lo
	v_cmp_eq_u32_e32 vcc_lo, 0, v20
	v_and_b32_e32 v24, v24, v26
	v_cndmask_b32_e64 v25, 1, 2, vcc_lo
	v_cmp_eq_u32_e32 vcc_lo, 0, v21
	s_delay_alu instid0(VALU_DEP_2) | instskip(SKIP_2) | instid1(VALU_DEP_2)
	v_and_b32_e32 v9, v24, v25
	v_cndmask_b32_e64 v10, 1, 2, vcc_lo
	v_cmp_eq_u32_e32 vcc_lo, 0, v12
	v_and_b32_e32 v9, v9, v10
	v_cndmask_b32_e64 v10, 1, 2, vcc_lo
	v_cmp_gt_u32_e32 vcc_lo, 0x100, v3
	s_delay_alu instid0(VALU_DEP_2) | instskip(NEXT) | instid1(VALU_DEP_1)
	v_and_b32_e32 v9, v9, v10
	v_cmp_gt_i16_e64 s15, 2, v9
	s_cbranch_vccnz .LBB1139_445
; %bb.442:
	s_and_b32 vcc_lo, exec_lo, s16
	s_cbranch_vccnz .LBB1139_451
.LBB1139_443:
	v_cmp_eq_u32_e32 vcc_lo, 0xff, v0
	s_and_b32 s0, vcc_lo, s27
	s_delay_alu instid0(SALU_CYCLE_1)
	s_and_saveexec_b32 s1, s0
	s_cbranch_execnz .LBB1139_460
.LBB1139_444:
	s_nop 0
	s_sendmsg sendmsg(MSG_DEALLOC_VGPRS)
	s_endpgm
.LBB1139_445:
	s_delay_alu instid0(VALU_DEP_1)
	s_and_saveexec_b32 s16, s15
	s_cbranch_execz .LBB1139_450
; %bb.446:
	s_mov_b32 s17, 0
	s_mov_b32 s15, exec_lo
	v_cmpx_ne_u16_e32 1, v9
	s_xor_b32 s15, exec_lo, s15
	s_cbranch_execnz .LBB1139_497
; %bb.447:
	s_and_not1_saveexec_b32 s15, s15
	s_cbranch_execnz .LBB1139_513
.LBB1139_448:
	s_or_b32 exec_lo, exec_lo, s15
	s_delay_alu instid0(SALU_CYCLE_1)
	s_and_b32 exec_lo, exec_lo, s17
	s_cbranch_execz .LBB1139_450
.LBB1139_449:
	v_sub_nc_u32_e32 v10, v37, v8
	v_mov_b32_e32 v11, 0
	s_delay_alu instid0(VALU_DEP_1) | instskip(NEXT) | instid1(VALU_DEP_1)
	v_lshlrev_b64 v[10:11], 3, v[10:11]
	v_add_co_u32 v10, vcc_lo, v6, v10
	s_delay_alu instid0(VALU_DEP_2)
	v_add_co_ci_u32_e32 v11, vcc_lo, v7, v11, vcc_lo
	global_store_b64 v[10:11], v[1:2], off
.LBB1139_450:
	s_or_b32 exec_lo, exec_lo, s16
	s_branch .LBB1139_443
.LBB1139_451:
	s_mov_b32 s15, exec_lo
	v_cmpx_gt_i16_e32 2, v9
	s_cbranch_execz .LBB1139_456
; %bb.452:
	s_mov_b32 s17, 0
	s_mov_b32 s16, exec_lo
	v_cmpx_ne_u16_e32 1, v9
	s_xor_b32 s16, exec_lo, s16
	s_cbranch_execnz .LBB1139_514
; %bb.453:
	s_and_not1_saveexec_b32 s0, s16
	s_cbranch_execnz .LBB1139_530
.LBB1139_454:
	s_or_b32 exec_lo, exec_lo, s0
	s_delay_alu instid0(SALU_CYCLE_1)
	s_and_b32 exec_lo, exec_lo, s17
	s_cbranch_execz .LBB1139_456
.LBB1139_455:
	v_sub_nc_u32_e32 v8, v37, v8
	s_delay_alu instid0(VALU_DEP_1)
	v_lshlrev_b32_e32 v8, 3, v8
	ds_store_b64 v8, v[1:2]
.LBB1139_456:
	s_or_b32 exec_lo, exec_lo, s15
	s_delay_alu instid0(SALU_CYCLE_1)
	s_mov_b32 s1, exec_lo
	s_waitcnt lgkmcnt(0)
	s_waitcnt_vscnt null, 0x0
	s_barrier
	buffer_gl0_inv
	v_cmpx_lt_u32_e64 v0, v3
	s_cbranch_execz .LBB1139_459
; %bb.457:
	v_dual_mov_b32 v1, v0 :: v_dual_lshlrev_b32 v8, 3, v0
	v_mov_b32_e32 v2, 0
	s_mov_b32 s2, 0
	.p2align	6
.LBB1139_458:                           ; =>This Inner Loop Header: Depth=1
	ds_load_b64 v[9:10], v8
	v_lshlrev_b64 v[11:12], 3, v[1:2]
	v_add_nc_u32_e32 v1, 0x100, v1
	v_add_nc_u32_e32 v8, 0x800, v8
	s_delay_alu instid0(VALU_DEP_2) | instskip(NEXT) | instid1(VALU_DEP_4)
	v_cmp_ge_u32_e32 vcc_lo, v1, v3
	v_add_co_u32 v11, s0, v6, v11
	s_delay_alu instid0(VALU_DEP_1)
	v_add_co_ci_u32_e64 v12, s0, v7, v12, s0
	s_or_b32 s2, vcc_lo, s2
	s_waitcnt lgkmcnt(0)
	global_store_b64 v[11:12], v[9:10], off
	s_and_not1_b32 exec_lo, exec_lo, s2
	s_cbranch_execnz .LBB1139_458
.LBB1139_459:
	s_or_b32 exec_lo, exec_lo, s1
	v_cmp_eq_u32_e32 vcc_lo, 0xff, v0
	s_and_b32 s0, vcc_lo, s27
	s_delay_alu instid0(SALU_CYCLE_1)
	s_and_saveexec_b32 s1, s0
	s_cbranch_execz .LBB1139_444
.LBB1139_460:
	v_add_co_u32 v0, s0, v61, v65
	s_delay_alu instid0(VALU_DEP_1) | instskip(SKIP_1) | instid1(VALU_DEP_3)
	v_add_co_ci_u32_e64 v1, null, 0, 0, s0
	v_mov_b32_e32 v62, 0
	v_add_co_u32 v0, vcc_lo, v0, v29
	s_delay_alu instid0(VALU_DEP_3)
	v_add_co_ci_u32_e32 v1, vcc_lo, v1, v30, vcc_lo
	s_cmpk_lg_i32 s33, 0xf00
	global_store_b64 v62, v[0:1], s[50:51]
	s_cbranch_scc1 .LBB1139_444
; %bb.461:
	v_lshlrev_b64 v[0:1], 3, v[61:62]
	s_delay_alu instid0(VALU_DEP_1) | instskip(NEXT) | instid1(VALU_DEP_2)
	v_add_co_u32 v0, vcc_lo, v4, v0
	v_add_co_ci_u32_e32 v1, vcc_lo, v5, v1, vcc_lo
	global_store_b64 v[0:1], v[63:64], off offset:-8
	s_nop 0
	s_sendmsg sendmsg(MSG_DEALLOC_VGPRS)
	s_endpgm
.LBB1139_462:
	s_or_b32 exec_lo, exec_lo, s2
	v_mov_b32_e32 v113, s1
	s_and_saveexec_b32 s1, s23
	s_cbranch_execnz .LBB1139_330
	s_branch .LBB1139_331
.LBB1139_463:
	s_and_saveexec_b32 s17, s12
	s_cbranch_execnz .LBB1139_533
; %bb.464:
	s_or_b32 exec_lo, exec_lo, s17
	s_and_saveexec_b32 s17, s11
	s_cbranch_execnz .LBB1139_534
.LBB1139_465:
	s_or_b32 exec_lo, exec_lo, s17
	s_and_saveexec_b32 s17, s9
	s_cbranch_execnz .LBB1139_535
.LBB1139_466:
	s_or_b32 exec_lo, exec_lo, s17
	s_and_saveexec_b32 s17, s8
	s_cbranch_execnz .LBB1139_536
.LBB1139_467:
	s_or_b32 exec_lo, exec_lo, s17
	s_and_saveexec_b32 s17, s14
	s_cbranch_execnz .LBB1139_537
.LBB1139_468:
	s_or_b32 exec_lo, exec_lo, s17
	s_and_saveexec_b32 s17, s13
	s_cbranch_execnz .LBB1139_538
.LBB1139_469:
	s_or_b32 exec_lo, exec_lo, s17
	s_and_saveexec_b32 s17, s10
	s_cbranch_execnz .LBB1139_539
.LBB1139_470:
	s_or_b32 exec_lo, exec_lo, s17
	s_and_saveexec_b32 s17, s7
	s_cbranch_execnz .LBB1139_540
.LBB1139_471:
	s_or_b32 exec_lo, exec_lo, s17
	s_and_saveexec_b32 s17, s6
	s_cbranch_execnz .LBB1139_541
.LBB1139_472:
	s_or_b32 exec_lo, exec_lo, s17
	s_and_saveexec_b32 s17, s5
	s_cbranch_execnz .LBB1139_542
.LBB1139_473:
	s_or_b32 exec_lo, exec_lo, s17
	s_and_saveexec_b32 s17, s4
	s_cbranch_execnz .LBB1139_543
.LBB1139_474:
	s_or_b32 exec_lo, exec_lo, s17
	s_and_saveexec_b32 s17, s3
	s_cbranch_execnz .LBB1139_544
.LBB1139_475:
	s_or_b32 exec_lo, exec_lo, s17
	s_and_saveexec_b32 s17, s2
	s_cbranch_execnz .LBB1139_545
.LBB1139_476:
	s_or_b32 exec_lo, exec_lo, s17
	s_and_saveexec_b32 s17, s1
	s_cbranch_execz .LBB1139_478
.LBB1139_477:
	v_sub_nc_u32_e32 v54, v38, v65
	v_mov_b32_e32 v55, 0
	s_delay_alu instid0(VALU_DEP_1) | instskip(NEXT) | instid1(VALU_DEP_1)
	v_lshlrev_b64 v[54:55], 3, v[54:55]
	v_add_co_u32 v54, vcc_lo, v51, v54
	s_delay_alu instid0(VALU_DEP_2)
	v_add_co_ci_u32_e32 v55, vcc_lo, v52, v55, vcc_lo
	global_store_b64 v[54:55], v[3:4], off
.LBB1139_478:
	s_or_b32 exec_lo, exec_lo, s17
	s_delay_alu instid0(SALU_CYCLE_1)
	s_and_b32 s17, s0, exec_lo
	s_and_not1_saveexec_b32 s15, s15
	s_cbranch_execz .LBB1139_428
.LBB1139_479:
	v_sub_nc_u32_e32 v54, v114, v65
	v_mov_b32_e32 v55, 0
	s_or_b32 s17, s17, exec_lo
	s_delay_alu instid0(VALU_DEP_1) | instskip(SKIP_1) | instid1(VALU_DEP_1)
	v_lshlrev_b64 v[59:60], 3, v[54:55]
	v_sub_nc_u32_e32 v54, v48, v65
	v_lshlrev_b64 v[95:96], 3, v[54:55]
	v_sub_nc_u32_e32 v54, v50, v65
	s_delay_alu instid0(VALU_DEP_4) | instskip(SKIP_1) | instid1(VALU_DEP_3)
	v_add_co_u32 v59, vcc_lo, v51, v59
	v_add_co_ci_u32_e32 v60, vcc_lo, v52, v60, vcc_lo
	v_lshlrev_b64 v[115:116], 3, v[54:55]
	v_sub_nc_u32_e32 v54, v49, v65
	v_add_co_u32 v95, vcc_lo, v51, v95
	v_add_co_ci_u32_e32 v96, vcc_lo, v52, v96, vcc_lo
	global_store_b64 v[59:60], v[25:26], off
	v_lshlrev_b64 v[59:60], 3, v[54:55]
	v_sub_nc_u32_e32 v54, v47, v65
	global_store_b64 v[95:96], v[27:28], off
	v_add_co_u32 v95, vcc_lo, v51, v115
	v_add_co_ci_u32_e32 v96, vcc_lo, v52, v116, vcc_lo
	v_lshlrev_b64 v[115:116], 3, v[54:55]
	v_sub_nc_u32_e32 v54, v46, v65
	v_add_co_u32 v59, vcc_lo, v51, v59
	v_add_co_ci_u32_e32 v60, vcc_lo, v52, v60, vcc_lo
	s_delay_alu instid0(VALU_DEP_3) | instskip(SKIP_3) | instid1(VALU_DEP_3)
	v_lshlrev_b64 v[117:118], 3, v[54:55]
	v_sub_nc_u32_e32 v54, v45, v65
	v_add_co_u32 v115, vcc_lo, v51, v115
	v_add_co_ci_u32_e32 v116, vcc_lo, v52, v116, vcc_lo
	v_lshlrev_b64 v[119:120], 3, v[54:55]
	v_sub_nc_u32_e32 v54, v44, v65
	v_add_co_u32 v117, vcc_lo, v51, v117
	v_add_co_ci_u32_e32 v118, vcc_lo, v52, v118, vcc_lo
	s_clause 0x3
	global_store_b64 v[95:96], v[21:22], off
	global_store_b64 v[59:60], v[23:24], off
	;; [unrolled: 1-line block ×4, first 2 shown]
	v_lshlrev_b64 v[59:60], 3, v[54:55]
	v_sub_nc_u32_e32 v54, v43, v65
	v_add_co_u32 v95, vcc_lo, v51, v119
	v_add_co_ci_u32_e32 v96, vcc_lo, v52, v120, vcc_lo
	s_delay_alu instid0(VALU_DEP_3) | instskip(SKIP_3) | instid1(VALU_DEP_3)
	v_lshlrev_b64 v[115:116], 3, v[54:55]
	v_sub_nc_u32_e32 v54, v42, v65
	v_add_co_u32 v59, vcc_lo, v51, v59
	v_add_co_ci_u32_e32 v60, vcc_lo, v52, v60, vcc_lo
	v_lshlrev_b64 v[117:118], 3, v[54:55]
	v_sub_nc_u32_e32 v54, v41, v65
	v_add_co_u32 v115, vcc_lo, v51, v115
	v_add_co_ci_u32_e32 v116, vcc_lo, v52, v116, vcc_lo
	s_delay_alu instid0(VALU_DEP_3)
	v_lshlrev_b64 v[119:120], 3, v[54:55]
	v_sub_nc_u32_e32 v54, v40, v65
	v_add_co_u32 v117, vcc_lo, v51, v117
	v_add_co_ci_u32_e32 v118, vcc_lo, v52, v118, vcc_lo
	s_clause 0x3
	global_store_b64 v[95:96], v[13:14], off
	global_store_b64 v[59:60], v[15:16], off
	;; [unrolled: 1-line block ×4, first 2 shown]
	v_lshlrev_b64 v[59:60], 3, v[54:55]
	v_sub_nc_u32_e32 v54, v39, v65
	v_add_co_u32 v95, vcc_lo, v51, v119
	v_add_co_ci_u32_e32 v96, vcc_lo, v52, v120, vcc_lo
	s_delay_alu instid0(VALU_DEP_3) | instskip(SKIP_3) | instid1(VALU_DEP_3)
	v_lshlrev_b64 v[115:116], 3, v[54:55]
	v_sub_nc_u32_e32 v54, v38, v65
	v_add_co_u32 v59, vcc_lo, v51, v59
	v_add_co_ci_u32_e32 v60, vcc_lo, v52, v60, vcc_lo
	v_lshlrev_b64 v[54:55], 3, v[54:55]
	v_add_co_u32 v115, vcc_lo, v51, v115
	v_add_co_ci_u32_e32 v116, vcc_lo, v52, v116, vcc_lo
	s_clause 0x2
	global_store_b64 v[95:96], v[5:6], off
	global_store_b64 v[59:60], v[7:8], off
	;; [unrolled: 1-line block ×3, first 2 shown]
	v_add_co_u32 v54, vcc_lo, v51, v54
	v_add_co_ci_u32_e32 v55, vcc_lo, v52, v55, vcc_lo
	global_store_b64 v[54:55], v[3:4], off
	s_or_b32 exec_lo, exec_lo, s15
	s_delay_alu instid0(SALU_CYCLE_1)
	s_and_b32 exec_lo, exec_lo, s17
	s_cbranch_execnz .LBB1139_429
	s_branch .LBB1139_430
.LBB1139_480:
	s_and_saveexec_b32 s17, s12
	s_cbranch_execnz .LBB1139_546
; %bb.481:
	s_or_b32 exec_lo, exec_lo, s17
	s_and_saveexec_b32 s12, s11
	s_cbranch_execnz .LBB1139_547
.LBB1139_482:
	s_or_b32 exec_lo, exec_lo, s12
	s_and_saveexec_b32 s11, s9
	s_cbranch_execnz .LBB1139_548
.LBB1139_483:
	s_or_b32 exec_lo, exec_lo, s11
	s_and_saveexec_b32 s9, s8
	s_cbranch_execnz .LBB1139_549
.LBB1139_484:
	s_or_b32 exec_lo, exec_lo, s9
	s_and_saveexec_b32 s8, s14
	s_cbranch_execnz .LBB1139_550
.LBB1139_485:
	s_or_b32 exec_lo, exec_lo, s8
	s_and_saveexec_b32 s8, s13
	s_cbranch_execnz .LBB1139_551
.LBB1139_486:
	s_or_b32 exec_lo, exec_lo, s8
	s_and_saveexec_b32 s8, s10
	s_cbranch_execnz .LBB1139_552
.LBB1139_487:
	s_or_b32 exec_lo, exec_lo, s8
	s_and_saveexec_b32 s8, s7
	s_cbranch_execnz .LBB1139_553
.LBB1139_488:
	s_or_b32 exec_lo, exec_lo, s8
	s_and_saveexec_b32 s7, s6
	s_cbranch_execnz .LBB1139_554
.LBB1139_489:
	s_or_b32 exec_lo, exec_lo, s7
	s_and_saveexec_b32 s6, s5
	s_cbranch_execnz .LBB1139_555
.LBB1139_490:
	s_or_b32 exec_lo, exec_lo, s6
	s_and_saveexec_b32 s5, s4
	s_cbranch_execnz .LBB1139_556
.LBB1139_491:
	s_or_b32 exec_lo, exec_lo, s5
	s_and_saveexec_b32 s4, s3
	s_cbranch_execnz .LBB1139_557
.LBB1139_492:
	s_or_b32 exec_lo, exec_lo, s4
	s_and_saveexec_b32 s3, s2
	s_cbranch_execnz .LBB1139_558
.LBB1139_493:
	s_or_b32 exec_lo, exec_lo, s3
	s_and_saveexec_b32 s2, s1
	s_cbranch_execz .LBB1139_495
.LBB1139_494:
	v_sub_nc_u32_e32 v1, v38, v65
	s_delay_alu instid0(VALU_DEP_1)
	v_lshlrev_b32_e32 v1, 3, v1
	ds_store_b64 v1, v[3:4]
.LBB1139_495:
	s_or_b32 exec_lo, exec_lo, s2
	s_delay_alu instid0(SALU_CYCLE_1)
	s_and_b32 s17, s0, exec_lo
                                        ; implicit-def: $vgpr25_vgpr26
                                        ; implicit-def: $vgpr21_vgpr22
                                        ; implicit-def: $vgpr17_vgpr18
                                        ; implicit-def: $vgpr13_vgpr14
                                        ; implicit-def: $vgpr9_vgpr10
                                        ; implicit-def: $vgpr5_vgpr6
                                        ; implicit-def: $vgpr1_vgpr2
	s_and_not1_saveexec_b32 s0, s16
	s_cbranch_execz .LBB1139_435
.LBB1139_496:
	v_sub_nc_u32_e32 v53, v114, v65
	v_sub_nc_u32_e32 v54, v48, v65
	;; [unrolled: 1-line block ×4, first 2 shown]
	s_or_b32 s17, s17, exec_lo
	v_lshlrev_b32_e32 v53, 3, v53
	v_lshlrev_b32_e32 v54, 3, v54
	;; [unrolled: 1-line block ×4, first 2 shown]
	ds_store_b64 v53, v[25:26]
	ds_store_b64 v54, v[27:28]
	;; [unrolled: 1-line block ×3, first 2 shown]
	v_sub_nc_u32_e32 v21, v47, v65
	v_sub_nc_u32_e32 v22, v46, v65
	ds_store_b64 v56, v[23:24]
	v_sub_nc_u32_e32 v23, v45, v65
	v_sub_nc_u32_e32 v24, v44, v65
	v_lshlrev_b32_e32 v21, 3, v21
	v_sub_nc_u32_e32 v25, v43, v65
	v_lshlrev_b32_e32 v22, 3, v22
	v_lshlrev_b32_e32 v23, 3, v23
	;; [unrolled: 1-line block ×3, first 2 shown]
	ds_store_b64 v21, v[17:18]
	v_lshlrev_b32_e32 v17, 3, v25
	ds_store_b64 v22, v[19:20]
	ds_store_b64 v23, v[13:14]
	;; [unrolled: 1-line block ×3, first 2 shown]
	v_sub_nc_u32_e32 v13, v42, v65
	v_sub_nc_u32_e32 v15, v38, v65
	;; [unrolled: 1-line block ×3, first 2 shown]
	ds_store_b64 v17, v[9:10]
	v_sub_nc_u32_e32 v9, v41, v65
	v_lshlrev_b32_e32 v13, 3, v13
	v_sub_nc_u32_e32 v10, v40, v65
	v_lshlrev_b32_e32 v14, 3, v14
	s_delay_alu instid0(VALU_DEP_4)
	v_lshlrev_b32_e32 v9, 3, v9
	ds_store_b64 v13, v[11:12]
	v_lshlrev_b32_e32 v11, 3, v15
	v_lshlrev_b32_e32 v10, 3, v10
	ds_store_b64 v9, v[5:6]
	ds_store_b64 v10, v[7:8]
	;; [unrolled: 1-line block ×4, first 2 shown]
	s_or_b32 exec_lo, exec_lo, s0
	s_delay_alu instid0(SALU_CYCLE_1)
	s_and_b32 exec_lo, exec_lo, s17
	s_cbranch_execnz .LBB1139_436
	s_branch .LBB1139_437
.LBB1139_497:
	s_and_saveexec_b32 s17, s14
	s_cbranch_execnz .LBB1139_559
; %bb.498:
	s_or_b32 exec_lo, exec_lo, s17
	s_and_saveexec_b32 s17, s13
	s_cbranch_execnz .LBB1139_560
.LBB1139_499:
	s_or_b32 exec_lo, exec_lo, s17
	s_and_saveexec_b32 s17, s12
	s_cbranch_execnz .LBB1139_561
.LBB1139_500:
	s_or_b32 exec_lo, exec_lo, s17
	s_and_saveexec_b32 s17, s11
	s_cbranch_execnz .LBB1139_562
.LBB1139_501:
	s_or_b32 exec_lo, exec_lo, s17
	s_and_saveexec_b32 s17, s10
	s_cbranch_execnz .LBB1139_563
.LBB1139_502:
	s_or_b32 exec_lo, exec_lo, s17
	s_and_saveexec_b32 s17, s9
	s_cbranch_execnz .LBB1139_564
.LBB1139_503:
	s_or_b32 exec_lo, exec_lo, s17
	s_and_saveexec_b32 s17, s8
	s_cbranch_execnz .LBB1139_565
.LBB1139_504:
	s_or_b32 exec_lo, exec_lo, s17
	s_and_saveexec_b32 s17, s7
	s_cbranch_execnz .LBB1139_566
.LBB1139_505:
	s_or_b32 exec_lo, exec_lo, s17
	s_and_saveexec_b32 s17, s6
	s_cbranch_execnz .LBB1139_567
.LBB1139_506:
	s_or_b32 exec_lo, exec_lo, s17
	s_and_saveexec_b32 s17, s5
	s_cbranch_execnz .LBB1139_568
.LBB1139_507:
	s_or_b32 exec_lo, exec_lo, s17
	s_and_saveexec_b32 s17, s4
	s_cbranch_execnz .LBB1139_569
.LBB1139_508:
	s_or_b32 exec_lo, exec_lo, s17
	s_and_saveexec_b32 s17, s3
	s_cbranch_execnz .LBB1139_570
.LBB1139_509:
	s_or_b32 exec_lo, exec_lo, s17
	s_and_saveexec_b32 s17, s2
	s_cbranch_execnz .LBB1139_571
.LBB1139_510:
	s_or_b32 exec_lo, exec_lo, s17
	s_and_saveexec_b32 s17, s1
	s_cbranch_execz .LBB1139_512
.LBB1139_511:
	v_sub_nc_u32_e32 v10, v38, v8
	v_mov_b32_e32 v11, 0
	s_delay_alu instid0(VALU_DEP_1) | instskip(NEXT) | instid1(VALU_DEP_1)
	v_lshlrev_b64 v[10:11], 3, v[10:11]
	v_add_co_u32 v10, vcc_lo, v6, v10
	s_delay_alu instid0(VALU_DEP_2)
	v_add_co_ci_u32_e32 v11, vcc_lo, v7, v11, vcc_lo
	global_store_b64 v[10:11], v[91:92], off
.LBB1139_512:
	s_or_b32 exec_lo, exec_lo, s17
	s_delay_alu instid0(SALU_CYCLE_1)
	s_and_b32 s17, s0, exec_lo
	s_and_not1_saveexec_b32 s15, s15
	s_cbranch_execz .LBB1139_448
.LBB1139_513:
	v_sub_nc_u32_e32 v10, v114, v8
	v_mov_b32_e32 v11, 0
	s_or_b32 s17, s17, exec_lo
	s_delay_alu instid0(VALU_DEP_1) | instskip(SKIP_1) | instid1(VALU_DEP_1)
	v_lshlrev_b64 v[12:13], 3, v[10:11]
	v_sub_nc_u32_e32 v10, v48, v8
	v_lshlrev_b64 v[14:15], 3, v[10:11]
	v_sub_nc_u32_e32 v10, v50, v8
	s_delay_alu instid0(VALU_DEP_4) | instskip(SKIP_1) | instid1(VALU_DEP_3)
	v_add_co_u32 v12, vcc_lo, v6, v12
	v_add_co_ci_u32_e32 v13, vcc_lo, v7, v13, vcc_lo
	v_lshlrev_b64 v[16:17], 3, v[10:11]
	v_sub_nc_u32_e32 v10, v49, v8
	v_add_co_u32 v14, vcc_lo, v6, v14
	v_add_co_ci_u32_e32 v15, vcc_lo, v7, v15, vcc_lo
	global_store_b64 v[12:13], v[77:78], off
	v_lshlrev_b64 v[12:13], 3, v[10:11]
	v_sub_nc_u32_e32 v10, v47, v8
	global_store_b64 v[14:15], v[75:76], off
	v_add_co_u32 v14, vcc_lo, v6, v16
	v_add_co_ci_u32_e32 v15, vcc_lo, v7, v17, vcc_lo
	v_lshlrev_b64 v[16:17], 3, v[10:11]
	v_sub_nc_u32_e32 v10, v46, v8
	v_add_co_u32 v12, vcc_lo, v6, v12
	v_add_co_ci_u32_e32 v13, vcc_lo, v7, v13, vcc_lo
	s_delay_alu instid0(VALU_DEP_3) | instskip(SKIP_3) | instid1(VALU_DEP_3)
	v_lshlrev_b64 v[18:19], 3, v[10:11]
	v_sub_nc_u32_e32 v10, v45, v8
	v_add_co_u32 v16, vcc_lo, v6, v16
	v_add_co_ci_u32_e32 v17, vcc_lo, v7, v17, vcc_lo
	v_lshlrev_b64 v[20:21], 3, v[10:11]
	v_sub_nc_u32_e32 v10, v44, v8
	v_add_co_u32 v18, vcc_lo, v6, v18
	v_add_co_ci_u32_e32 v19, vcc_lo, v7, v19, vcc_lo
	s_clause 0x3
	global_store_b64 v[14:15], v[81:82], off
	global_store_b64 v[12:13], v[85:86], off
	;; [unrolled: 1-line block ×4, first 2 shown]
	v_lshlrev_b64 v[12:13], 3, v[10:11]
	v_sub_nc_u32_e32 v10, v43, v8
	v_add_co_u32 v14, vcc_lo, v6, v20
	v_add_co_ci_u32_e32 v15, vcc_lo, v7, v21, vcc_lo
	s_delay_alu instid0(VALU_DEP_3) | instskip(SKIP_3) | instid1(VALU_DEP_3)
	v_lshlrev_b64 v[16:17], 3, v[10:11]
	v_sub_nc_u32_e32 v10, v42, v8
	v_add_co_u32 v12, vcc_lo, v6, v12
	v_add_co_ci_u32_e32 v13, vcc_lo, v7, v13, vcc_lo
	v_lshlrev_b64 v[18:19], 3, v[10:11]
	v_sub_nc_u32_e32 v10, v41, v8
	v_add_co_u32 v16, vcc_lo, v6, v16
	v_add_co_ci_u32_e32 v17, vcc_lo, v7, v17, vcc_lo
	s_delay_alu instid0(VALU_DEP_3)
	v_lshlrev_b64 v[20:21], 3, v[10:11]
	v_sub_nc_u32_e32 v10, v40, v8
	v_add_co_u32 v18, vcc_lo, v6, v18
	v_add_co_ci_u32_e32 v19, vcc_lo, v7, v19, vcc_lo
	s_clause 0x3
	global_store_b64 v[14:15], v[79:80], off
	global_store_b64 v[12:13], v[83:84], off
	;; [unrolled: 1-line block ×4, first 2 shown]
	v_lshlrev_b64 v[12:13], 3, v[10:11]
	v_sub_nc_u32_e32 v10, v39, v8
	v_add_co_u32 v14, vcc_lo, v6, v20
	v_add_co_ci_u32_e32 v15, vcc_lo, v7, v21, vcc_lo
	s_delay_alu instid0(VALU_DEP_3) | instskip(SKIP_3) | instid1(VALU_DEP_3)
	v_lshlrev_b64 v[16:17], 3, v[10:11]
	v_sub_nc_u32_e32 v10, v38, v8
	v_add_co_u32 v12, vcc_lo, v6, v12
	v_add_co_ci_u32_e32 v13, vcc_lo, v7, v13, vcc_lo
	v_lshlrev_b64 v[10:11], 3, v[10:11]
	v_add_co_u32 v16, vcc_lo, v6, v16
	v_add_co_ci_u32_e32 v17, vcc_lo, v7, v17, vcc_lo
	s_clause 0x2
	global_store_b64 v[14:15], v[73:74], off
	global_store_b64 v[12:13], v[89:90], off
	;; [unrolled: 1-line block ×3, first 2 shown]
	v_add_co_u32 v10, vcc_lo, v6, v10
	v_add_co_ci_u32_e32 v11, vcc_lo, v7, v11, vcc_lo
	global_store_b64 v[10:11], v[91:92], off
	s_or_b32 exec_lo, exec_lo, s15
	s_delay_alu instid0(SALU_CYCLE_1)
	s_and_b32 exec_lo, exec_lo, s17
	s_cbranch_execnz .LBB1139_449
	s_branch .LBB1139_450
.LBB1139_514:
	s_and_saveexec_b32 s17, s14
	s_cbranch_execnz .LBB1139_572
; %bb.515:
	s_or_b32 exec_lo, exec_lo, s17
	s_and_saveexec_b32 s14, s13
	s_cbranch_execnz .LBB1139_573
.LBB1139_516:
	s_or_b32 exec_lo, exec_lo, s14
	s_and_saveexec_b32 s13, s12
	s_cbranch_execnz .LBB1139_574
.LBB1139_517:
	s_or_b32 exec_lo, exec_lo, s13
	s_and_saveexec_b32 s12, s11
	s_cbranch_execnz .LBB1139_575
.LBB1139_518:
	s_or_b32 exec_lo, exec_lo, s12
	s_and_saveexec_b32 s11, s10
	s_cbranch_execnz .LBB1139_576
.LBB1139_519:
	s_or_b32 exec_lo, exec_lo, s11
	s_and_saveexec_b32 s10, s9
	s_cbranch_execnz .LBB1139_577
.LBB1139_520:
	s_or_b32 exec_lo, exec_lo, s10
	s_and_saveexec_b32 s9, s8
	s_cbranch_execnz .LBB1139_578
.LBB1139_521:
	s_or_b32 exec_lo, exec_lo, s9
	s_and_saveexec_b32 s8, s7
	s_cbranch_execnz .LBB1139_579
.LBB1139_522:
	s_or_b32 exec_lo, exec_lo, s8
	s_and_saveexec_b32 s7, s6
	s_cbranch_execnz .LBB1139_580
.LBB1139_523:
	s_or_b32 exec_lo, exec_lo, s7
	s_and_saveexec_b32 s6, s5
	s_cbranch_execnz .LBB1139_581
.LBB1139_524:
	s_or_b32 exec_lo, exec_lo, s6
	s_and_saveexec_b32 s5, s4
	s_cbranch_execnz .LBB1139_582
.LBB1139_525:
	s_or_b32 exec_lo, exec_lo, s5
	s_and_saveexec_b32 s4, s3
	s_cbranch_execnz .LBB1139_583
.LBB1139_526:
	s_or_b32 exec_lo, exec_lo, s4
	s_and_saveexec_b32 s3, s2
	s_cbranch_execnz .LBB1139_584
.LBB1139_527:
	s_or_b32 exec_lo, exec_lo, s3
	s_and_saveexec_b32 s2, s1
	s_cbranch_execz .LBB1139_529
.LBB1139_528:
	v_sub_nc_u32_e32 v9, v38, v8
	s_delay_alu instid0(VALU_DEP_1)
	v_lshlrev_b32_e32 v9, 3, v9
	ds_store_b64 v9, v[91:92]
.LBB1139_529:
	s_or_b32 exec_lo, exec_lo, s2
	s_delay_alu instid0(SALU_CYCLE_1)
	s_and_b32 s17, s0, exec_lo
                                        ; implicit-def: $vgpr77_vgpr78
                                        ; implicit-def: $vgpr75_vgpr76
                                        ; implicit-def: $vgpr81_vgpr82
                                        ; implicit-def: $vgpr85_vgpr86
                                        ; implicit-def: $vgpr67_vgpr68
                                        ; implicit-def: $vgpr71_vgpr72
                                        ; implicit-def: $vgpr79_vgpr80
                                        ; implicit-def: $vgpr83_vgpr84
                                        ; implicit-def: $vgpr87_vgpr88
                                        ; implicit-def: $vgpr69_vgpr70
                                        ; implicit-def: $vgpr73_vgpr74
                                        ; implicit-def: $vgpr89_vgpr90
                                        ; implicit-def: $vgpr93_vgpr94
                                        ; implicit-def: $vgpr91_vgpr92
                                        ; implicit-def: $vgpr114
                                        ; implicit-def: $vgpr48
                                        ; implicit-def: $vgpr50
                                        ; implicit-def: $vgpr49
                                        ; implicit-def: $vgpr47
                                        ; implicit-def: $vgpr46
                                        ; implicit-def: $vgpr45
                                        ; implicit-def: $vgpr44
                                        ; implicit-def: $vgpr43
                                        ; implicit-def: $vgpr42
                                        ; implicit-def: $vgpr41
                                        ; implicit-def: $vgpr40
                                        ; implicit-def: $vgpr39
                                        ; implicit-def: $vgpr38
	s_and_not1_saveexec_b32 s0, s16
	s_cbranch_execz .LBB1139_454
.LBB1139_530:
	v_sub_nc_u32_e32 v9, v114, v8
	v_sub_nc_u32_e32 v10, v48, v8
	;; [unrolled: 1-line block ×5, first 2 shown]
	v_lshlrev_b32_e32 v9, 3, v9
	v_lshlrev_b32_e32 v10, 3, v10
	;; [unrolled: 1-line block ×4, first 2 shown]
	s_or_b32 s17, s17, exec_lo
	ds_store_b64 v9, v[77:78]
	ds_store_b64 v10, v[75:76]
	;; [unrolled: 1-line block ×3, first 2 shown]
	v_sub_nc_u32_e32 v9, v47, v8
	v_sub_nc_u32_e32 v10, v46, v8
	;; [unrolled: 1-line block ×3, first 2 shown]
	ds_store_b64 v12, v[85:86]
	v_sub_nc_u32_e32 v12, v44, v8
	v_lshlrev_b32_e32 v9, 3, v9
	v_lshlrev_b32_e32 v10, 3, v10
	;; [unrolled: 1-line block ×3, first 2 shown]
	s_delay_alu instid0(VALU_DEP_4)
	v_lshlrev_b32_e32 v12, 3, v12
	ds_store_b64 v9, v[67:68]
	v_lshlrev_b32_e32 v9, 3, v13
	ds_store_b64 v10, v[71:72]
	ds_store_b64 v11, v[79:80]
	;; [unrolled: 1-line block ×3, first 2 shown]
	v_sub_nc_u32_e32 v10, v42, v8
	v_sub_nc_u32_e32 v13, v38, v8
	;; [unrolled: 1-line block ×3, first 2 shown]
	ds_store_b64 v9, v[87:88]
	v_sub_nc_u32_e32 v9, v41, v8
	v_lshlrev_b32_e32 v10, 3, v10
	v_sub_nc_u32_e32 v12, v39, v8
	v_lshlrev_b32_e32 v11, 3, v11
	s_delay_alu instid0(VALU_DEP_4)
	v_lshlrev_b32_e32 v9, 3, v9
	ds_store_b64 v10, v[69:70]
	v_lshlrev_b32_e32 v10, 3, v13
	v_lshlrev_b32_e32 v12, 3, v12
	ds_store_b64 v9, v[73:74]
	ds_store_b64 v11, v[89:90]
	;; [unrolled: 1-line block ×4, first 2 shown]
	s_or_b32 exec_lo, exec_lo, s0
	s_delay_alu instid0(SALU_CYCLE_1)
	s_and_b32 exec_lo, exec_lo, s17
	s_cbranch_execnz .LBB1139_455
	s_branch .LBB1139_456
.LBB1139_531:
                                        ; implicit-def: $vgpr61_vgpr62
	s_branch .LBB1139_308
.LBB1139_532:
                                        ; implicit-def: $vgpr61_vgpr62
	s_branch .LBB1139_321
.LBB1139_533:
	v_sub_nc_u32_e32 v54, v114, v65
	v_mov_b32_e32 v55, 0
	s_delay_alu instid0(VALU_DEP_1) | instskip(NEXT) | instid1(VALU_DEP_1)
	v_lshlrev_b64 v[54:55], 3, v[54:55]
	v_add_co_u32 v54, vcc_lo, v51, v54
	s_delay_alu instid0(VALU_DEP_2)
	v_add_co_ci_u32_e32 v55, vcc_lo, v52, v55, vcc_lo
	global_store_b64 v[54:55], v[25:26], off
	s_or_b32 exec_lo, exec_lo, s17
	s_and_saveexec_b32 s17, s11
	s_cbranch_execz .LBB1139_465
.LBB1139_534:
	v_sub_nc_u32_e32 v54, v48, v65
	v_mov_b32_e32 v55, 0
	s_delay_alu instid0(VALU_DEP_1) | instskip(NEXT) | instid1(VALU_DEP_1)
	v_lshlrev_b64 v[54:55], 3, v[54:55]
	v_add_co_u32 v54, vcc_lo, v51, v54
	s_delay_alu instid0(VALU_DEP_2)
	v_add_co_ci_u32_e32 v55, vcc_lo, v52, v55, vcc_lo
	global_store_b64 v[54:55], v[27:28], off
	s_or_b32 exec_lo, exec_lo, s17
	s_and_saveexec_b32 s17, s9
	s_cbranch_execz .LBB1139_466
.LBB1139_535:
	v_sub_nc_u32_e32 v54, v50, v65
	v_mov_b32_e32 v55, 0
	s_delay_alu instid0(VALU_DEP_1) | instskip(NEXT) | instid1(VALU_DEP_1)
	v_lshlrev_b64 v[54:55], 3, v[54:55]
	v_add_co_u32 v54, vcc_lo, v51, v54
	s_delay_alu instid0(VALU_DEP_2)
	v_add_co_ci_u32_e32 v55, vcc_lo, v52, v55, vcc_lo
	global_store_b64 v[54:55], v[21:22], off
	s_or_b32 exec_lo, exec_lo, s17
	s_and_saveexec_b32 s17, s8
	s_cbranch_execz .LBB1139_467
.LBB1139_536:
	v_sub_nc_u32_e32 v54, v49, v65
	v_mov_b32_e32 v55, 0
	s_delay_alu instid0(VALU_DEP_1) | instskip(NEXT) | instid1(VALU_DEP_1)
	v_lshlrev_b64 v[54:55], 3, v[54:55]
	v_add_co_u32 v54, vcc_lo, v51, v54
	s_delay_alu instid0(VALU_DEP_2)
	v_add_co_ci_u32_e32 v55, vcc_lo, v52, v55, vcc_lo
	global_store_b64 v[54:55], v[23:24], off
	s_or_b32 exec_lo, exec_lo, s17
	s_and_saveexec_b32 s17, s14
	s_cbranch_execz .LBB1139_468
.LBB1139_537:
	v_sub_nc_u32_e32 v54, v47, v65
	v_mov_b32_e32 v55, 0
	s_delay_alu instid0(VALU_DEP_1) | instskip(NEXT) | instid1(VALU_DEP_1)
	v_lshlrev_b64 v[54:55], 3, v[54:55]
	v_add_co_u32 v54, vcc_lo, v51, v54
	s_delay_alu instid0(VALU_DEP_2)
	v_add_co_ci_u32_e32 v55, vcc_lo, v52, v55, vcc_lo
	global_store_b64 v[54:55], v[17:18], off
	s_or_b32 exec_lo, exec_lo, s17
	s_and_saveexec_b32 s17, s13
	s_cbranch_execz .LBB1139_469
.LBB1139_538:
	v_sub_nc_u32_e32 v54, v46, v65
	v_mov_b32_e32 v55, 0
	s_delay_alu instid0(VALU_DEP_1) | instskip(NEXT) | instid1(VALU_DEP_1)
	v_lshlrev_b64 v[54:55], 3, v[54:55]
	v_add_co_u32 v54, vcc_lo, v51, v54
	s_delay_alu instid0(VALU_DEP_2)
	v_add_co_ci_u32_e32 v55, vcc_lo, v52, v55, vcc_lo
	global_store_b64 v[54:55], v[19:20], off
	s_or_b32 exec_lo, exec_lo, s17
	s_and_saveexec_b32 s17, s10
	s_cbranch_execz .LBB1139_470
.LBB1139_539:
	v_sub_nc_u32_e32 v54, v45, v65
	v_mov_b32_e32 v55, 0
	s_delay_alu instid0(VALU_DEP_1) | instskip(NEXT) | instid1(VALU_DEP_1)
	v_lshlrev_b64 v[54:55], 3, v[54:55]
	v_add_co_u32 v54, vcc_lo, v51, v54
	s_delay_alu instid0(VALU_DEP_2)
	v_add_co_ci_u32_e32 v55, vcc_lo, v52, v55, vcc_lo
	global_store_b64 v[54:55], v[13:14], off
	s_or_b32 exec_lo, exec_lo, s17
	s_and_saveexec_b32 s17, s7
	s_cbranch_execz .LBB1139_471
.LBB1139_540:
	v_sub_nc_u32_e32 v54, v44, v65
	v_mov_b32_e32 v55, 0
	s_delay_alu instid0(VALU_DEP_1) | instskip(NEXT) | instid1(VALU_DEP_1)
	v_lshlrev_b64 v[54:55], 3, v[54:55]
	v_add_co_u32 v54, vcc_lo, v51, v54
	s_delay_alu instid0(VALU_DEP_2)
	v_add_co_ci_u32_e32 v55, vcc_lo, v52, v55, vcc_lo
	global_store_b64 v[54:55], v[15:16], off
	s_or_b32 exec_lo, exec_lo, s17
	s_and_saveexec_b32 s17, s6
	s_cbranch_execz .LBB1139_472
.LBB1139_541:
	v_sub_nc_u32_e32 v54, v43, v65
	v_mov_b32_e32 v55, 0
	s_delay_alu instid0(VALU_DEP_1) | instskip(NEXT) | instid1(VALU_DEP_1)
	v_lshlrev_b64 v[54:55], 3, v[54:55]
	v_add_co_u32 v54, vcc_lo, v51, v54
	s_delay_alu instid0(VALU_DEP_2)
	v_add_co_ci_u32_e32 v55, vcc_lo, v52, v55, vcc_lo
	global_store_b64 v[54:55], v[9:10], off
	s_or_b32 exec_lo, exec_lo, s17
	s_and_saveexec_b32 s17, s5
	s_cbranch_execz .LBB1139_473
.LBB1139_542:
	v_sub_nc_u32_e32 v54, v42, v65
	v_mov_b32_e32 v55, 0
	s_delay_alu instid0(VALU_DEP_1) | instskip(NEXT) | instid1(VALU_DEP_1)
	v_lshlrev_b64 v[54:55], 3, v[54:55]
	v_add_co_u32 v54, vcc_lo, v51, v54
	s_delay_alu instid0(VALU_DEP_2)
	v_add_co_ci_u32_e32 v55, vcc_lo, v52, v55, vcc_lo
	global_store_b64 v[54:55], v[11:12], off
	s_or_b32 exec_lo, exec_lo, s17
	s_and_saveexec_b32 s17, s4
	s_cbranch_execz .LBB1139_474
.LBB1139_543:
	v_sub_nc_u32_e32 v54, v41, v65
	v_mov_b32_e32 v55, 0
	s_delay_alu instid0(VALU_DEP_1) | instskip(NEXT) | instid1(VALU_DEP_1)
	v_lshlrev_b64 v[54:55], 3, v[54:55]
	v_add_co_u32 v54, vcc_lo, v51, v54
	s_delay_alu instid0(VALU_DEP_2)
	v_add_co_ci_u32_e32 v55, vcc_lo, v52, v55, vcc_lo
	global_store_b64 v[54:55], v[5:6], off
	s_or_b32 exec_lo, exec_lo, s17
	s_and_saveexec_b32 s17, s3
	s_cbranch_execz .LBB1139_475
.LBB1139_544:
	v_sub_nc_u32_e32 v54, v40, v65
	v_mov_b32_e32 v55, 0
	s_delay_alu instid0(VALU_DEP_1) | instskip(NEXT) | instid1(VALU_DEP_1)
	v_lshlrev_b64 v[54:55], 3, v[54:55]
	v_add_co_u32 v54, vcc_lo, v51, v54
	s_delay_alu instid0(VALU_DEP_2)
	v_add_co_ci_u32_e32 v55, vcc_lo, v52, v55, vcc_lo
	global_store_b64 v[54:55], v[7:8], off
	s_or_b32 exec_lo, exec_lo, s17
	s_and_saveexec_b32 s17, s2
	s_cbranch_execz .LBB1139_476
.LBB1139_545:
	v_sub_nc_u32_e32 v54, v39, v65
	v_mov_b32_e32 v55, 0
	s_delay_alu instid0(VALU_DEP_1) | instskip(NEXT) | instid1(VALU_DEP_1)
	v_lshlrev_b64 v[54:55], 3, v[54:55]
	v_add_co_u32 v54, vcc_lo, v51, v54
	s_delay_alu instid0(VALU_DEP_2)
	v_add_co_ci_u32_e32 v55, vcc_lo, v52, v55, vcc_lo
	global_store_b64 v[54:55], v[1:2], off
	s_or_b32 exec_lo, exec_lo, s17
	s_and_saveexec_b32 s17, s1
	s_cbranch_execnz .LBB1139_477
	s_branch .LBB1139_478
.LBB1139_546:
	v_sub_nc_u32_e32 v53, v114, v65
	s_delay_alu instid0(VALU_DEP_1)
	v_lshlrev_b32_e32 v53, 3, v53
	ds_store_b64 v53, v[25:26]
	s_or_b32 exec_lo, exec_lo, s17
	s_and_saveexec_b32 s12, s11
	s_cbranch_execz .LBB1139_482
.LBB1139_547:
	v_sub_nc_u32_e32 v25, v48, v65
	s_delay_alu instid0(VALU_DEP_1)
	v_lshlrev_b32_e32 v25, 3, v25
	ds_store_b64 v25, v[27:28]
	s_or_b32 exec_lo, exec_lo, s12
	s_and_saveexec_b32 s11, s9
	s_cbranch_execz .LBB1139_483
.LBB1139_548:
	v_sub_nc_u32_e32 v25, v50, v65
	s_delay_alu instid0(VALU_DEP_1)
	v_lshlrev_b32_e32 v25, 3, v25
	ds_store_b64 v25, v[21:22]
	s_or_b32 exec_lo, exec_lo, s11
	s_and_saveexec_b32 s9, s8
	s_cbranch_execz .LBB1139_484
.LBB1139_549:
	v_sub_nc_u32_e32 v21, v49, v65
	s_delay_alu instid0(VALU_DEP_1)
	v_lshlrev_b32_e32 v21, 3, v21
	ds_store_b64 v21, v[23:24]
	s_or_b32 exec_lo, exec_lo, s9
	s_and_saveexec_b32 s8, s14
	s_cbranch_execz .LBB1139_485
.LBB1139_550:
	v_sub_nc_u32_e32 v21, v47, v65
	s_delay_alu instid0(VALU_DEP_1)
	v_lshlrev_b32_e32 v21, 3, v21
	ds_store_b64 v21, v[17:18]
	s_or_b32 exec_lo, exec_lo, s8
	s_and_saveexec_b32 s8, s13
	s_cbranch_execz .LBB1139_486
.LBB1139_551:
	v_sub_nc_u32_e32 v17, v46, v65
	s_delay_alu instid0(VALU_DEP_1)
	v_lshlrev_b32_e32 v17, 3, v17
	ds_store_b64 v17, v[19:20]
	s_or_b32 exec_lo, exec_lo, s8
	s_and_saveexec_b32 s8, s10
	s_cbranch_execz .LBB1139_487
.LBB1139_552:
	v_sub_nc_u32_e32 v17, v45, v65
	s_delay_alu instid0(VALU_DEP_1)
	v_lshlrev_b32_e32 v17, 3, v17
	ds_store_b64 v17, v[13:14]
	s_or_b32 exec_lo, exec_lo, s8
	s_and_saveexec_b32 s8, s7
	s_cbranch_execz .LBB1139_488
.LBB1139_553:
	v_sub_nc_u32_e32 v13, v44, v65
	s_delay_alu instid0(VALU_DEP_1)
	v_lshlrev_b32_e32 v13, 3, v13
	ds_store_b64 v13, v[15:16]
	s_or_b32 exec_lo, exec_lo, s8
	s_and_saveexec_b32 s7, s6
	s_cbranch_execz .LBB1139_489
.LBB1139_554:
	v_sub_nc_u32_e32 v13, v43, v65
	s_delay_alu instid0(VALU_DEP_1)
	v_lshlrev_b32_e32 v13, 3, v13
	ds_store_b64 v13, v[9:10]
	s_or_b32 exec_lo, exec_lo, s7
	s_and_saveexec_b32 s6, s5
	s_cbranch_execz .LBB1139_490
.LBB1139_555:
	v_sub_nc_u32_e32 v9, v42, v65
	s_delay_alu instid0(VALU_DEP_1)
	v_lshlrev_b32_e32 v9, 3, v9
	ds_store_b64 v9, v[11:12]
	s_or_b32 exec_lo, exec_lo, s6
	s_and_saveexec_b32 s5, s4
	s_cbranch_execz .LBB1139_491
.LBB1139_556:
	v_sub_nc_u32_e32 v9, v41, v65
	s_delay_alu instid0(VALU_DEP_1)
	v_lshlrev_b32_e32 v9, 3, v9
	ds_store_b64 v9, v[5:6]
	s_or_b32 exec_lo, exec_lo, s5
	s_and_saveexec_b32 s4, s3
	s_cbranch_execz .LBB1139_492
.LBB1139_557:
	v_sub_nc_u32_e32 v5, v40, v65
	s_delay_alu instid0(VALU_DEP_1)
	v_lshlrev_b32_e32 v5, 3, v5
	ds_store_b64 v5, v[7:8]
	s_or_b32 exec_lo, exec_lo, s4
	s_and_saveexec_b32 s3, s2
	s_cbranch_execz .LBB1139_493
.LBB1139_558:
	v_sub_nc_u32_e32 v5, v39, v65
	s_delay_alu instid0(VALU_DEP_1)
	v_lshlrev_b32_e32 v5, 3, v5
	ds_store_b64 v5, v[1:2]
	s_or_b32 exec_lo, exec_lo, s3
	s_and_saveexec_b32 s2, s1
	s_cbranch_execnz .LBB1139_494
	s_branch .LBB1139_495
.LBB1139_559:
	v_sub_nc_u32_e32 v10, v114, v8
	v_mov_b32_e32 v11, 0
	s_delay_alu instid0(VALU_DEP_1) | instskip(NEXT) | instid1(VALU_DEP_1)
	v_lshlrev_b64 v[10:11], 3, v[10:11]
	v_add_co_u32 v10, vcc_lo, v6, v10
	s_delay_alu instid0(VALU_DEP_2)
	v_add_co_ci_u32_e32 v11, vcc_lo, v7, v11, vcc_lo
	global_store_b64 v[10:11], v[77:78], off
	s_or_b32 exec_lo, exec_lo, s17
	s_and_saveexec_b32 s17, s13
	s_cbranch_execz .LBB1139_499
.LBB1139_560:
	v_sub_nc_u32_e32 v10, v48, v8
	v_mov_b32_e32 v11, 0
	s_delay_alu instid0(VALU_DEP_1) | instskip(NEXT) | instid1(VALU_DEP_1)
	v_lshlrev_b64 v[10:11], 3, v[10:11]
	v_add_co_u32 v10, vcc_lo, v6, v10
	s_delay_alu instid0(VALU_DEP_2)
	v_add_co_ci_u32_e32 v11, vcc_lo, v7, v11, vcc_lo
	global_store_b64 v[10:11], v[75:76], off
	s_or_b32 exec_lo, exec_lo, s17
	s_and_saveexec_b32 s17, s12
	s_cbranch_execz .LBB1139_500
.LBB1139_561:
	v_sub_nc_u32_e32 v10, v50, v8
	v_mov_b32_e32 v11, 0
	s_delay_alu instid0(VALU_DEP_1) | instskip(NEXT) | instid1(VALU_DEP_1)
	v_lshlrev_b64 v[10:11], 3, v[10:11]
	v_add_co_u32 v10, vcc_lo, v6, v10
	s_delay_alu instid0(VALU_DEP_2)
	v_add_co_ci_u32_e32 v11, vcc_lo, v7, v11, vcc_lo
	global_store_b64 v[10:11], v[81:82], off
	s_or_b32 exec_lo, exec_lo, s17
	s_and_saveexec_b32 s17, s11
	s_cbranch_execz .LBB1139_501
.LBB1139_562:
	v_sub_nc_u32_e32 v10, v49, v8
	v_mov_b32_e32 v11, 0
	s_delay_alu instid0(VALU_DEP_1) | instskip(NEXT) | instid1(VALU_DEP_1)
	v_lshlrev_b64 v[10:11], 3, v[10:11]
	v_add_co_u32 v10, vcc_lo, v6, v10
	s_delay_alu instid0(VALU_DEP_2)
	v_add_co_ci_u32_e32 v11, vcc_lo, v7, v11, vcc_lo
	global_store_b64 v[10:11], v[85:86], off
	s_or_b32 exec_lo, exec_lo, s17
	s_and_saveexec_b32 s17, s10
	s_cbranch_execz .LBB1139_502
.LBB1139_563:
	v_sub_nc_u32_e32 v10, v47, v8
	v_mov_b32_e32 v11, 0
	s_delay_alu instid0(VALU_DEP_1) | instskip(NEXT) | instid1(VALU_DEP_1)
	v_lshlrev_b64 v[10:11], 3, v[10:11]
	v_add_co_u32 v10, vcc_lo, v6, v10
	s_delay_alu instid0(VALU_DEP_2)
	v_add_co_ci_u32_e32 v11, vcc_lo, v7, v11, vcc_lo
	global_store_b64 v[10:11], v[67:68], off
	s_or_b32 exec_lo, exec_lo, s17
	s_and_saveexec_b32 s17, s9
	s_cbranch_execz .LBB1139_503
.LBB1139_564:
	v_sub_nc_u32_e32 v10, v46, v8
	v_mov_b32_e32 v11, 0
	s_delay_alu instid0(VALU_DEP_1) | instskip(NEXT) | instid1(VALU_DEP_1)
	v_lshlrev_b64 v[10:11], 3, v[10:11]
	v_add_co_u32 v10, vcc_lo, v6, v10
	s_delay_alu instid0(VALU_DEP_2)
	v_add_co_ci_u32_e32 v11, vcc_lo, v7, v11, vcc_lo
	global_store_b64 v[10:11], v[71:72], off
	s_or_b32 exec_lo, exec_lo, s17
	s_and_saveexec_b32 s17, s8
	s_cbranch_execz .LBB1139_504
.LBB1139_565:
	v_sub_nc_u32_e32 v10, v45, v8
	v_mov_b32_e32 v11, 0
	s_delay_alu instid0(VALU_DEP_1) | instskip(NEXT) | instid1(VALU_DEP_1)
	v_lshlrev_b64 v[10:11], 3, v[10:11]
	v_add_co_u32 v10, vcc_lo, v6, v10
	s_delay_alu instid0(VALU_DEP_2)
	v_add_co_ci_u32_e32 v11, vcc_lo, v7, v11, vcc_lo
	global_store_b64 v[10:11], v[79:80], off
	s_or_b32 exec_lo, exec_lo, s17
	s_and_saveexec_b32 s17, s7
	s_cbranch_execz .LBB1139_505
.LBB1139_566:
	v_sub_nc_u32_e32 v10, v44, v8
	v_mov_b32_e32 v11, 0
	s_delay_alu instid0(VALU_DEP_1) | instskip(NEXT) | instid1(VALU_DEP_1)
	v_lshlrev_b64 v[10:11], 3, v[10:11]
	v_add_co_u32 v10, vcc_lo, v6, v10
	s_delay_alu instid0(VALU_DEP_2)
	v_add_co_ci_u32_e32 v11, vcc_lo, v7, v11, vcc_lo
	global_store_b64 v[10:11], v[83:84], off
	s_or_b32 exec_lo, exec_lo, s17
	s_and_saveexec_b32 s17, s6
	s_cbranch_execz .LBB1139_506
.LBB1139_567:
	v_sub_nc_u32_e32 v10, v43, v8
	v_mov_b32_e32 v11, 0
	s_delay_alu instid0(VALU_DEP_1) | instskip(NEXT) | instid1(VALU_DEP_1)
	v_lshlrev_b64 v[10:11], 3, v[10:11]
	v_add_co_u32 v10, vcc_lo, v6, v10
	s_delay_alu instid0(VALU_DEP_2)
	v_add_co_ci_u32_e32 v11, vcc_lo, v7, v11, vcc_lo
	global_store_b64 v[10:11], v[87:88], off
	s_or_b32 exec_lo, exec_lo, s17
	s_and_saveexec_b32 s17, s5
	s_cbranch_execz .LBB1139_507
.LBB1139_568:
	v_sub_nc_u32_e32 v10, v42, v8
	v_mov_b32_e32 v11, 0
	s_delay_alu instid0(VALU_DEP_1) | instskip(NEXT) | instid1(VALU_DEP_1)
	v_lshlrev_b64 v[10:11], 3, v[10:11]
	v_add_co_u32 v10, vcc_lo, v6, v10
	s_delay_alu instid0(VALU_DEP_2)
	v_add_co_ci_u32_e32 v11, vcc_lo, v7, v11, vcc_lo
	global_store_b64 v[10:11], v[69:70], off
	s_or_b32 exec_lo, exec_lo, s17
	s_and_saveexec_b32 s17, s4
	s_cbranch_execz .LBB1139_508
.LBB1139_569:
	v_sub_nc_u32_e32 v10, v41, v8
	v_mov_b32_e32 v11, 0
	s_delay_alu instid0(VALU_DEP_1) | instskip(NEXT) | instid1(VALU_DEP_1)
	v_lshlrev_b64 v[10:11], 3, v[10:11]
	v_add_co_u32 v10, vcc_lo, v6, v10
	s_delay_alu instid0(VALU_DEP_2)
	v_add_co_ci_u32_e32 v11, vcc_lo, v7, v11, vcc_lo
	global_store_b64 v[10:11], v[73:74], off
	s_or_b32 exec_lo, exec_lo, s17
	s_and_saveexec_b32 s17, s3
	s_cbranch_execz .LBB1139_509
.LBB1139_570:
	v_sub_nc_u32_e32 v10, v40, v8
	v_mov_b32_e32 v11, 0
	s_delay_alu instid0(VALU_DEP_1) | instskip(NEXT) | instid1(VALU_DEP_1)
	v_lshlrev_b64 v[10:11], 3, v[10:11]
	v_add_co_u32 v10, vcc_lo, v6, v10
	s_delay_alu instid0(VALU_DEP_2)
	v_add_co_ci_u32_e32 v11, vcc_lo, v7, v11, vcc_lo
	global_store_b64 v[10:11], v[89:90], off
	s_or_b32 exec_lo, exec_lo, s17
	s_and_saveexec_b32 s17, s2
	s_cbranch_execz .LBB1139_510
.LBB1139_571:
	v_sub_nc_u32_e32 v10, v39, v8
	v_mov_b32_e32 v11, 0
	s_delay_alu instid0(VALU_DEP_1) | instskip(NEXT) | instid1(VALU_DEP_1)
	v_lshlrev_b64 v[10:11], 3, v[10:11]
	v_add_co_u32 v10, vcc_lo, v6, v10
	s_delay_alu instid0(VALU_DEP_2)
	v_add_co_ci_u32_e32 v11, vcc_lo, v7, v11, vcc_lo
	global_store_b64 v[10:11], v[93:94], off
	s_or_b32 exec_lo, exec_lo, s17
	s_and_saveexec_b32 s17, s1
	s_cbranch_execnz .LBB1139_511
	s_branch .LBB1139_512
.LBB1139_572:
	v_sub_nc_u32_e32 v9, v114, v8
	s_delay_alu instid0(VALU_DEP_1)
	v_lshlrev_b32_e32 v9, 3, v9
	ds_store_b64 v9, v[77:78]
	s_or_b32 exec_lo, exec_lo, s17
	s_and_saveexec_b32 s14, s13
	s_cbranch_execz .LBB1139_516
.LBB1139_573:
	v_sub_nc_u32_e32 v9, v48, v8
	s_delay_alu instid0(VALU_DEP_1)
	v_lshlrev_b32_e32 v9, 3, v9
	ds_store_b64 v9, v[75:76]
	s_or_b32 exec_lo, exec_lo, s14
	s_and_saveexec_b32 s13, s12
	s_cbranch_execz .LBB1139_517
.LBB1139_574:
	v_sub_nc_u32_e32 v9, v50, v8
	s_delay_alu instid0(VALU_DEP_1)
	v_lshlrev_b32_e32 v9, 3, v9
	ds_store_b64 v9, v[81:82]
	s_or_b32 exec_lo, exec_lo, s13
	s_and_saveexec_b32 s12, s11
	s_cbranch_execz .LBB1139_518
.LBB1139_575:
	v_sub_nc_u32_e32 v9, v49, v8
	s_delay_alu instid0(VALU_DEP_1)
	v_lshlrev_b32_e32 v9, 3, v9
	ds_store_b64 v9, v[85:86]
	s_or_b32 exec_lo, exec_lo, s12
	s_and_saveexec_b32 s11, s10
	s_cbranch_execz .LBB1139_519
.LBB1139_576:
	v_sub_nc_u32_e32 v9, v47, v8
	s_delay_alu instid0(VALU_DEP_1)
	v_lshlrev_b32_e32 v9, 3, v9
	ds_store_b64 v9, v[67:68]
	s_or_b32 exec_lo, exec_lo, s11
	s_and_saveexec_b32 s10, s9
	s_cbranch_execz .LBB1139_520
.LBB1139_577:
	v_sub_nc_u32_e32 v9, v46, v8
	s_delay_alu instid0(VALU_DEP_1)
	v_lshlrev_b32_e32 v9, 3, v9
	ds_store_b64 v9, v[71:72]
	s_or_b32 exec_lo, exec_lo, s10
	s_and_saveexec_b32 s9, s8
	s_cbranch_execz .LBB1139_521
.LBB1139_578:
	v_sub_nc_u32_e32 v9, v45, v8
	s_delay_alu instid0(VALU_DEP_1)
	v_lshlrev_b32_e32 v9, 3, v9
	ds_store_b64 v9, v[79:80]
	s_or_b32 exec_lo, exec_lo, s9
	s_and_saveexec_b32 s8, s7
	s_cbranch_execz .LBB1139_522
.LBB1139_579:
	v_sub_nc_u32_e32 v9, v44, v8
	s_delay_alu instid0(VALU_DEP_1)
	v_lshlrev_b32_e32 v9, 3, v9
	ds_store_b64 v9, v[83:84]
	s_or_b32 exec_lo, exec_lo, s8
	s_and_saveexec_b32 s7, s6
	s_cbranch_execz .LBB1139_523
.LBB1139_580:
	v_sub_nc_u32_e32 v9, v43, v8
	s_delay_alu instid0(VALU_DEP_1)
	v_lshlrev_b32_e32 v9, 3, v9
	ds_store_b64 v9, v[87:88]
	s_or_b32 exec_lo, exec_lo, s7
	s_and_saveexec_b32 s6, s5
	s_cbranch_execz .LBB1139_524
.LBB1139_581:
	v_sub_nc_u32_e32 v9, v42, v8
	s_delay_alu instid0(VALU_DEP_1)
	v_lshlrev_b32_e32 v9, 3, v9
	ds_store_b64 v9, v[69:70]
	s_or_b32 exec_lo, exec_lo, s6
	s_and_saveexec_b32 s5, s4
	s_cbranch_execz .LBB1139_525
.LBB1139_582:
	v_sub_nc_u32_e32 v9, v41, v8
	s_delay_alu instid0(VALU_DEP_1)
	v_lshlrev_b32_e32 v9, 3, v9
	ds_store_b64 v9, v[73:74]
	s_or_b32 exec_lo, exec_lo, s5
	s_and_saveexec_b32 s4, s3
	s_cbranch_execz .LBB1139_526
.LBB1139_583:
	v_sub_nc_u32_e32 v9, v40, v8
	s_delay_alu instid0(VALU_DEP_1)
	v_lshlrev_b32_e32 v9, 3, v9
	ds_store_b64 v9, v[89:90]
	s_or_b32 exec_lo, exec_lo, s4
	s_and_saveexec_b32 s3, s2
	s_cbranch_execz .LBB1139_527
.LBB1139_584:
	v_sub_nc_u32_e32 v9, v39, v8
	s_delay_alu instid0(VALU_DEP_1)
	v_lshlrev_b32_e32 v9, 3, v9
	ds_store_b64 v9, v[93:94]
	s_or_b32 exec_lo, exec_lo, s3
	s_and_saveexec_b32 s2, s1
	s_cbranch_execnz .LBB1139_528
	s_branch .LBB1139_529
	.section	.rodata,"a",@progbits
	.p2align	6, 0x0
	.amdhsa_kernel _ZN7rocprim17ROCPRIM_400000_NS6detail17trampoline_kernelINS0_14default_configENS1_29reduce_by_key_config_selectorIllN6thrust23THRUST_200600_302600_NS4plusIlEEEEZZNS1_33reduce_by_key_impl_wrapped_configILNS1_25lookback_scan_determinismE0ES3_S9_NS6_18transform_iteratorI6div_opNS6_17counting_iteratorIlNS6_11use_defaultESF_SF_EESF_SF_EENSC_I6mod_opSG_SF_SF_EENS6_6detail15normal_iteratorINS6_10device_ptrIlEEEESO_PmS8_NS6_8equal_toIlEEEE10hipError_tPvRmT2_T3_mT4_T5_T6_T7_T8_P12ihipStream_tbENKUlT_T0_E_clISt17integral_constantIbLb0EES19_EEDaS14_S15_EUlS14_E_NS1_11comp_targetILNS1_3genE9ELNS1_11target_archE1100ELNS1_3gpuE3ELNS1_3repE0EEENS1_30default_config_static_selectorELNS0_4arch9wavefront6targetE0EEEvT1_
		.amdhsa_group_segment_fixed_size 30720
		.amdhsa_private_segment_fixed_size 0
		.amdhsa_kernarg_size 152
		.amdhsa_user_sgpr_count 15
		.amdhsa_user_sgpr_dispatch_ptr 0
		.amdhsa_user_sgpr_queue_ptr 0
		.amdhsa_user_sgpr_kernarg_segment_ptr 1
		.amdhsa_user_sgpr_dispatch_id 0
		.amdhsa_user_sgpr_private_segment_size 0
		.amdhsa_wavefront_size32 1
		.amdhsa_uses_dynamic_stack 0
		.amdhsa_enable_private_segment 0
		.amdhsa_system_sgpr_workgroup_id_x 1
		.amdhsa_system_sgpr_workgroup_id_y 0
		.amdhsa_system_sgpr_workgroup_id_z 0
		.amdhsa_system_sgpr_workgroup_info 0
		.amdhsa_system_vgpr_workitem_id 0
		.amdhsa_next_free_vgpr 121
		.amdhsa_next_free_sgpr 68
		.amdhsa_reserve_vcc 1
		.amdhsa_float_round_mode_32 0
		.amdhsa_float_round_mode_16_64 0
		.amdhsa_float_denorm_mode_32 3
		.amdhsa_float_denorm_mode_16_64 3
		.amdhsa_dx10_clamp 1
		.amdhsa_ieee_mode 1
		.amdhsa_fp16_overflow 0
		.amdhsa_workgroup_processor_mode 1
		.amdhsa_memory_ordered 1
		.amdhsa_forward_progress 0
		.amdhsa_shared_vgpr_count 0
		.amdhsa_exception_fp_ieee_invalid_op 0
		.amdhsa_exception_fp_denorm_src 0
		.amdhsa_exception_fp_ieee_div_zero 0
		.amdhsa_exception_fp_ieee_overflow 0
		.amdhsa_exception_fp_ieee_underflow 0
		.amdhsa_exception_fp_ieee_inexact 0
		.amdhsa_exception_int_div_zero 0
	.end_amdhsa_kernel
	.section	.text._ZN7rocprim17ROCPRIM_400000_NS6detail17trampoline_kernelINS0_14default_configENS1_29reduce_by_key_config_selectorIllN6thrust23THRUST_200600_302600_NS4plusIlEEEEZZNS1_33reduce_by_key_impl_wrapped_configILNS1_25lookback_scan_determinismE0ES3_S9_NS6_18transform_iteratorI6div_opNS6_17counting_iteratorIlNS6_11use_defaultESF_SF_EESF_SF_EENSC_I6mod_opSG_SF_SF_EENS6_6detail15normal_iteratorINS6_10device_ptrIlEEEESO_PmS8_NS6_8equal_toIlEEEE10hipError_tPvRmT2_T3_mT4_T5_T6_T7_T8_P12ihipStream_tbENKUlT_T0_E_clISt17integral_constantIbLb0EES19_EEDaS14_S15_EUlS14_E_NS1_11comp_targetILNS1_3genE9ELNS1_11target_archE1100ELNS1_3gpuE3ELNS1_3repE0EEENS1_30default_config_static_selectorELNS0_4arch9wavefront6targetE0EEEvT1_,"axG",@progbits,_ZN7rocprim17ROCPRIM_400000_NS6detail17trampoline_kernelINS0_14default_configENS1_29reduce_by_key_config_selectorIllN6thrust23THRUST_200600_302600_NS4plusIlEEEEZZNS1_33reduce_by_key_impl_wrapped_configILNS1_25lookback_scan_determinismE0ES3_S9_NS6_18transform_iteratorI6div_opNS6_17counting_iteratorIlNS6_11use_defaultESF_SF_EESF_SF_EENSC_I6mod_opSG_SF_SF_EENS6_6detail15normal_iteratorINS6_10device_ptrIlEEEESO_PmS8_NS6_8equal_toIlEEEE10hipError_tPvRmT2_T3_mT4_T5_T6_T7_T8_P12ihipStream_tbENKUlT_T0_E_clISt17integral_constantIbLb0EES19_EEDaS14_S15_EUlS14_E_NS1_11comp_targetILNS1_3genE9ELNS1_11target_archE1100ELNS1_3gpuE3ELNS1_3repE0EEENS1_30default_config_static_selectorELNS0_4arch9wavefront6targetE0EEEvT1_,comdat
.Lfunc_end1139:
	.size	_ZN7rocprim17ROCPRIM_400000_NS6detail17trampoline_kernelINS0_14default_configENS1_29reduce_by_key_config_selectorIllN6thrust23THRUST_200600_302600_NS4plusIlEEEEZZNS1_33reduce_by_key_impl_wrapped_configILNS1_25lookback_scan_determinismE0ES3_S9_NS6_18transform_iteratorI6div_opNS6_17counting_iteratorIlNS6_11use_defaultESF_SF_EESF_SF_EENSC_I6mod_opSG_SF_SF_EENS6_6detail15normal_iteratorINS6_10device_ptrIlEEEESO_PmS8_NS6_8equal_toIlEEEE10hipError_tPvRmT2_T3_mT4_T5_T6_T7_T8_P12ihipStream_tbENKUlT_T0_E_clISt17integral_constantIbLb0EES19_EEDaS14_S15_EUlS14_E_NS1_11comp_targetILNS1_3genE9ELNS1_11target_archE1100ELNS1_3gpuE3ELNS1_3repE0EEENS1_30default_config_static_selectorELNS0_4arch9wavefront6targetE0EEEvT1_, .Lfunc_end1139-_ZN7rocprim17ROCPRIM_400000_NS6detail17trampoline_kernelINS0_14default_configENS1_29reduce_by_key_config_selectorIllN6thrust23THRUST_200600_302600_NS4plusIlEEEEZZNS1_33reduce_by_key_impl_wrapped_configILNS1_25lookback_scan_determinismE0ES3_S9_NS6_18transform_iteratorI6div_opNS6_17counting_iteratorIlNS6_11use_defaultESF_SF_EESF_SF_EENSC_I6mod_opSG_SF_SF_EENS6_6detail15normal_iteratorINS6_10device_ptrIlEEEESO_PmS8_NS6_8equal_toIlEEEE10hipError_tPvRmT2_T3_mT4_T5_T6_T7_T8_P12ihipStream_tbENKUlT_T0_E_clISt17integral_constantIbLb0EES19_EEDaS14_S15_EUlS14_E_NS1_11comp_targetILNS1_3genE9ELNS1_11target_archE1100ELNS1_3gpuE3ELNS1_3repE0EEENS1_30default_config_static_selectorELNS0_4arch9wavefront6targetE0EEEvT1_
                                        ; -- End function
	.section	.AMDGPU.csdata,"",@progbits
; Kernel info:
; codeLenInByte = 82068
; NumSgprs: 70
; NumVgprs: 121
; ScratchSize: 0
; MemoryBound: 0
; FloatMode: 240
; IeeeMode: 1
; LDSByteSize: 30720 bytes/workgroup (compile time only)
; SGPRBlocks: 8
; VGPRBlocks: 15
; NumSGPRsForWavesPerEU: 70
; NumVGPRsForWavesPerEU: 121
; Occupancy: 8
; WaveLimiterHint : 1
; COMPUTE_PGM_RSRC2:SCRATCH_EN: 0
; COMPUTE_PGM_RSRC2:USER_SGPR: 15
; COMPUTE_PGM_RSRC2:TRAP_HANDLER: 0
; COMPUTE_PGM_RSRC2:TGID_X_EN: 1
; COMPUTE_PGM_RSRC2:TGID_Y_EN: 0
; COMPUTE_PGM_RSRC2:TGID_Z_EN: 0
; COMPUTE_PGM_RSRC2:TIDIG_COMP_CNT: 0
	.section	.text._ZN7rocprim17ROCPRIM_400000_NS6detail17trampoline_kernelINS0_14default_configENS1_29reduce_by_key_config_selectorIllN6thrust23THRUST_200600_302600_NS4plusIlEEEEZZNS1_33reduce_by_key_impl_wrapped_configILNS1_25lookback_scan_determinismE0ES3_S9_NS6_18transform_iteratorI6div_opNS6_17counting_iteratorIlNS6_11use_defaultESF_SF_EESF_SF_EENSC_I6mod_opSG_SF_SF_EENS6_6detail15normal_iteratorINS6_10device_ptrIlEEEESO_PmS8_NS6_8equal_toIlEEEE10hipError_tPvRmT2_T3_mT4_T5_T6_T7_T8_P12ihipStream_tbENKUlT_T0_E_clISt17integral_constantIbLb0EES19_EEDaS14_S15_EUlS14_E_NS1_11comp_targetILNS1_3genE8ELNS1_11target_archE1030ELNS1_3gpuE2ELNS1_3repE0EEENS1_30default_config_static_selectorELNS0_4arch9wavefront6targetE0EEEvT1_,"axG",@progbits,_ZN7rocprim17ROCPRIM_400000_NS6detail17trampoline_kernelINS0_14default_configENS1_29reduce_by_key_config_selectorIllN6thrust23THRUST_200600_302600_NS4plusIlEEEEZZNS1_33reduce_by_key_impl_wrapped_configILNS1_25lookback_scan_determinismE0ES3_S9_NS6_18transform_iteratorI6div_opNS6_17counting_iteratorIlNS6_11use_defaultESF_SF_EESF_SF_EENSC_I6mod_opSG_SF_SF_EENS6_6detail15normal_iteratorINS6_10device_ptrIlEEEESO_PmS8_NS6_8equal_toIlEEEE10hipError_tPvRmT2_T3_mT4_T5_T6_T7_T8_P12ihipStream_tbENKUlT_T0_E_clISt17integral_constantIbLb0EES19_EEDaS14_S15_EUlS14_E_NS1_11comp_targetILNS1_3genE8ELNS1_11target_archE1030ELNS1_3gpuE2ELNS1_3repE0EEENS1_30default_config_static_selectorELNS0_4arch9wavefront6targetE0EEEvT1_,comdat
	.protected	_ZN7rocprim17ROCPRIM_400000_NS6detail17trampoline_kernelINS0_14default_configENS1_29reduce_by_key_config_selectorIllN6thrust23THRUST_200600_302600_NS4plusIlEEEEZZNS1_33reduce_by_key_impl_wrapped_configILNS1_25lookback_scan_determinismE0ES3_S9_NS6_18transform_iteratorI6div_opNS6_17counting_iteratorIlNS6_11use_defaultESF_SF_EESF_SF_EENSC_I6mod_opSG_SF_SF_EENS6_6detail15normal_iteratorINS6_10device_ptrIlEEEESO_PmS8_NS6_8equal_toIlEEEE10hipError_tPvRmT2_T3_mT4_T5_T6_T7_T8_P12ihipStream_tbENKUlT_T0_E_clISt17integral_constantIbLb0EES19_EEDaS14_S15_EUlS14_E_NS1_11comp_targetILNS1_3genE8ELNS1_11target_archE1030ELNS1_3gpuE2ELNS1_3repE0EEENS1_30default_config_static_selectorELNS0_4arch9wavefront6targetE0EEEvT1_ ; -- Begin function _ZN7rocprim17ROCPRIM_400000_NS6detail17trampoline_kernelINS0_14default_configENS1_29reduce_by_key_config_selectorIllN6thrust23THRUST_200600_302600_NS4plusIlEEEEZZNS1_33reduce_by_key_impl_wrapped_configILNS1_25lookback_scan_determinismE0ES3_S9_NS6_18transform_iteratorI6div_opNS6_17counting_iteratorIlNS6_11use_defaultESF_SF_EESF_SF_EENSC_I6mod_opSG_SF_SF_EENS6_6detail15normal_iteratorINS6_10device_ptrIlEEEESO_PmS8_NS6_8equal_toIlEEEE10hipError_tPvRmT2_T3_mT4_T5_T6_T7_T8_P12ihipStream_tbENKUlT_T0_E_clISt17integral_constantIbLb0EES19_EEDaS14_S15_EUlS14_E_NS1_11comp_targetILNS1_3genE8ELNS1_11target_archE1030ELNS1_3gpuE2ELNS1_3repE0EEENS1_30default_config_static_selectorELNS0_4arch9wavefront6targetE0EEEvT1_
	.globl	_ZN7rocprim17ROCPRIM_400000_NS6detail17trampoline_kernelINS0_14default_configENS1_29reduce_by_key_config_selectorIllN6thrust23THRUST_200600_302600_NS4plusIlEEEEZZNS1_33reduce_by_key_impl_wrapped_configILNS1_25lookback_scan_determinismE0ES3_S9_NS6_18transform_iteratorI6div_opNS6_17counting_iteratorIlNS6_11use_defaultESF_SF_EESF_SF_EENSC_I6mod_opSG_SF_SF_EENS6_6detail15normal_iteratorINS6_10device_ptrIlEEEESO_PmS8_NS6_8equal_toIlEEEE10hipError_tPvRmT2_T3_mT4_T5_T6_T7_T8_P12ihipStream_tbENKUlT_T0_E_clISt17integral_constantIbLb0EES19_EEDaS14_S15_EUlS14_E_NS1_11comp_targetILNS1_3genE8ELNS1_11target_archE1030ELNS1_3gpuE2ELNS1_3repE0EEENS1_30default_config_static_selectorELNS0_4arch9wavefront6targetE0EEEvT1_
	.p2align	8
	.type	_ZN7rocprim17ROCPRIM_400000_NS6detail17trampoline_kernelINS0_14default_configENS1_29reduce_by_key_config_selectorIllN6thrust23THRUST_200600_302600_NS4plusIlEEEEZZNS1_33reduce_by_key_impl_wrapped_configILNS1_25lookback_scan_determinismE0ES3_S9_NS6_18transform_iteratorI6div_opNS6_17counting_iteratorIlNS6_11use_defaultESF_SF_EESF_SF_EENSC_I6mod_opSG_SF_SF_EENS6_6detail15normal_iteratorINS6_10device_ptrIlEEEESO_PmS8_NS6_8equal_toIlEEEE10hipError_tPvRmT2_T3_mT4_T5_T6_T7_T8_P12ihipStream_tbENKUlT_T0_E_clISt17integral_constantIbLb0EES19_EEDaS14_S15_EUlS14_E_NS1_11comp_targetILNS1_3genE8ELNS1_11target_archE1030ELNS1_3gpuE2ELNS1_3repE0EEENS1_30default_config_static_selectorELNS0_4arch9wavefront6targetE0EEEvT1_,@function
_ZN7rocprim17ROCPRIM_400000_NS6detail17trampoline_kernelINS0_14default_configENS1_29reduce_by_key_config_selectorIllN6thrust23THRUST_200600_302600_NS4plusIlEEEEZZNS1_33reduce_by_key_impl_wrapped_configILNS1_25lookback_scan_determinismE0ES3_S9_NS6_18transform_iteratorI6div_opNS6_17counting_iteratorIlNS6_11use_defaultESF_SF_EESF_SF_EENSC_I6mod_opSG_SF_SF_EENS6_6detail15normal_iteratorINS6_10device_ptrIlEEEESO_PmS8_NS6_8equal_toIlEEEE10hipError_tPvRmT2_T3_mT4_T5_T6_T7_T8_P12ihipStream_tbENKUlT_T0_E_clISt17integral_constantIbLb0EES19_EEDaS14_S15_EUlS14_E_NS1_11comp_targetILNS1_3genE8ELNS1_11target_archE1030ELNS1_3gpuE2ELNS1_3repE0EEENS1_30default_config_static_selectorELNS0_4arch9wavefront6targetE0EEEvT1_: ; @_ZN7rocprim17ROCPRIM_400000_NS6detail17trampoline_kernelINS0_14default_configENS1_29reduce_by_key_config_selectorIllN6thrust23THRUST_200600_302600_NS4plusIlEEEEZZNS1_33reduce_by_key_impl_wrapped_configILNS1_25lookback_scan_determinismE0ES3_S9_NS6_18transform_iteratorI6div_opNS6_17counting_iteratorIlNS6_11use_defaultESF_SF_EESF_SF_EENSC_I6mod_opSG_SF_SF_EENS6_6detail15normal_iteratorINS6_10device_ptrIlEEEESO_PmS8_NS6_8equal_toIlEEEE10hipError_tPvRmT2_T3_mT4_T5_T6_T7_T8_P12ihipStream_tbENKUlT_T0_E_clISt17integral_constantIbLb0EES19_EEDaS14_S15_EUlS14_E_NS1_11comp_targetILNS1_3genE8ELNS1_11target_archE1030ELNS1_3gpuE2ELNS1_3repE0EEENS1_30default_config_static_selectorELNS0_4arch9wavefront6targetE0EEEvT1_
; %bb.0:
	.section	.rodata,"a",@progbits
	.p2align	6, 0x0
	.amdhsa_kernel _ZN7rocprim17ROCPRIM_400000_NS6detail17trampoline_kernelINS0_14default_configENS1_29reduce_by_key_config_selectorIllN6thrust23THRUST_200600_302600_NS4plusIlEEEEZZNS1_33reduce_by_key_impl_wrapped_configILNS1_25lookback_scan_determinismE0ES3_S9_NS6_18transform_iteratorI6div_opNS6_17counting_iteratorIlNS6_11use_defaultESF_SF_EESF_SF_EENSC_I6mod_opSG_SF_SF_EENS6_6detail15normal_iteratorINS6_10device_ptrIlEEEESO_PmS8_NS6_8equal_toIlEEEE10hipError_tPvRmT2_T3_mT4_T5_T6_T7_T8_P12ihipStream_tbENKUlT_T0_E_clISt17integral_constantIbLb0EES19_EEDaS14_S15_EUlS14_E_NS1_11comp_targetILNS1_3genE8ELNS1_11target_archE1030ELNS1_3gpuE2ELNS1_3repE0EEENS1_30default_config_static_selectorELNS0_4arch9wavefront6targetE0EEEvT1_
		.amdhsa_group_segment_fixed_size 0
		.amdhsa_private_segment_fixed_size 0
		.amdhsa_kernarg_size 152
		.amdhsa_user_sgpr_count 15
		.amdhsa_user_sgpr_dispatch_ptr 0
		.amdhsa_user_sgpr_queue_ptr 0
		.amdhsa_user_sgpr_kernarg_segment_ptr 1
		.amdhsa_user_sgpr_dispatch_id 0
		.amdhsa_user_sgpr_private_segment_size 0
		.amdhsa_wavefront_size32 1
		.amdhsa_uses_dynamic_stack 0
		.amdhsa_enable_private_segment 0
		.amdhsa_system_sgpr_workgroup_id_x 1
		.amdhsa_system_sgpr_workgroup_id_y 0
		.amdhsa_system_sgpr_workgroup_id_z 0
		.amdhsa_system_sgpr_workgroup_info 0
		.amdhsa_system_vgpr_workitem_id 0
		.amdhsa_next_free_vgpr 1
		.amdhsa_next_free_sgpr 1
		.amdhsa_reserve_vcc 0
		.amdhsa_float_round_mode_32 0
		.amdhsa_float_round_mode_16_64 0
		.amdhsa_float_denorm_mode_32 3
		.amdhsa_float_denorm_mode_16_64 3
		.amdhsa_dx10_clamp 1
		.amdhsa_ieee_mode 1
		.amdhsa_fp16_overflow 0
		.amdhsa_workgroup_processor_mode 1
		.amdhsa_memory_ordered 1
		.amdhsa_forward_progress 0
		.amdhsa_shared_vgpr_count 0
		.amdhsa_exception_fp_ieee_invalid_op 0
		.amdhsa_exception_fp_denorm_src 0
		.amdhsa_exception_fp_ieee_div_zero 0
		.amdhsa_exception_fp_ieee_overflow 0
		.amdhsa_exception_fp_ieee_underflow 0
		.amdhsa_exception_fp_ieee_inexact 0
		.amdhsa_exception_int_div_zero 0
	.end_amdhsa_kernel
	.section	.text._ZN7rocprim17ROCPRIM_400000_NS6detail17trampoline_kernelINS0_14default_configENS1_29reduce_by_key_config_selectorIllN6thrust23THRUST_200600_302600_NS4plusIlEEEEZZNS1_33reduce_by_key_impl_wrapped_configILNS1_25lookback_scan_determinismE0ES3_S9_NS6_18transform_iteratorI6div_opNS6_17counting_iteratorIlNS6_11use_defaultESF_SF_EESF_SF_EENSC_I6mod_opSG_SF_SF_EENS6_6detail15normal_iteratorINS6_10device_ptrIlEEEESO_PmS8_NS6_8equal_toIlEEEE10hipError_tPvRmT2_T3_mT4_T5_T6_T7_T8_P12ihipStream_tbENKUlT_T0_E_clISt17integral_constantIbLb0EES19_EEDaS14_S15_EUlS14_E_NS1_11comp_targetILNS1_3genE8ELNS1_11target_archE1030ELNS1_3gpuE2ELNS1_3repE0EEENS1_30default_config_static_selectorELNS0_4arch9wavefront6targetE0EEEvT1_,"axG",@progbits,_ZN7rocprim17ROCPRIM_400000_NS6detail17trampoline_kernelINS0_14default_configENS1_29reduce_by_key_config_selectorIllN6thrust23THRUST_200600_302600_NS4plusIlEEEEZZNS1_33reduce_by_key_impl_wrapped_configILNS1_25lookback_scan_determinismE0ES3_S9_NS6_18transform_iteratorI6div_opNS6_17counting_iteratorIlNS6_11use_defaultESF_SF_EESF_SF_EENSC_I6mod_opSG_SF_SF_EENS6_6detail15normal_iteratorINS6_10device_ptrIlEEEESO_PmS8_NS6_8equal_toIlEEEE10hipError_tPvRmT2_T3_mT4_T5_T6_T7_T8_P12ihipStream_tbENKUlT_T0_E_clISt17integral_constantIbLb0EES19_EEDaS14_S15_EUlS14_E_NS1_11comp_targetILNS1_3genE8ELNS1_11target_archE1030ELNS1_3gpuE2ELNS1_3repE0EEENS1_30default_config_static_selectorELNS0_4arch9wavefront6targetE0EEEvT1_,comdat
.Lfunc_end1140:
	.size	_ZN7rocprim17ROCPRIM_400000_NS6detail17trampoline_kernelINS0_14default_configENS1_29reduce_by_key_config_selectorIllN6thrust23THRUST_200600_302600_NS4plusIlEEEEZZNS1_33reduce_by_key_impl_wrapped_configILNS1_25lookback_scan_determinismE0ES3_S9_NS6_18transform_iteratorI6div_opNS6_17counting_iteratorIlNS6_11use_defaultESF_SF_EESF_SF_EENSC_I6mod_opSG_SF_SF_EENS6_6detail15normal_iteratorINS6_10device_ptrIlEEEESO_PmS8_NS6_8equal_toIlEEEE10hipError_tPvRmT2_T3_mT4_T5_T6_T7_T8_P12ihipStream_tbENKUlT_T0_E_clISt17integral_constantIbLb0EES19_EEDaS14_S15_EUlS14_E_NS1_11comp_targetILNS1_3genE8ELNS1_11target_archE1030ELNS1_3gpuE2ELNS1_3repE0EEENS1_30default_config_static_selectorELNS0_4arch9wavefront6targetE0EEEvT1_, .Lfunc_end1140-_ZN7rocprim17ROCPRIM_400000_NS6detail17trampoline_kernelINS0_14default_configENS1_29reduce_by_key_config_selectorIllN6thrust23THRUST_200600_302600_NS4plusIlEEEEZZNS1_33reduce_by_key_impl_wrapped_configILNS1_25lookback_scan_determinismE0ES3_S9_NS6_18transform_iteratorI6div_opNS6_17counting_iteratorIlNS6_11use_defaultESF_SF_EESF_SF_EENSC_I6mod_opSG_SF_SF_EENS6_6detail15normal_iteratorINS6_10device_ptrIlEEEESO_PmS8_NS6_8equal_toIlEEEE10hipError_tPvRmT2_T3_mT4_T5_T6_T7_T8_P12ihipStream_tbENKUlT_T0_E_clISt17integral_constantIbLb0EES19_EEDaS14_S15_EUlS14_E_NS1_11comp_targetILNS1_3genE8ELNS1_11target_archE1030ELNS1_3gpuE2ELNS1_3repE0EEENS1_30default_config_static_selectorELNS0_4arch9wavefront6targetE0EEEvT1_
                                        ; -- End function
	.section	.AMDGPU.csdata,"",@progbits
; Kernel info:
; codeLenInByte = 0
; NumSgprs: 0
; NumVgprs: 0
; ScratchSize: 0
; MemoryBound: 0
; FloatMode: 240
; IeeeMode: 1
; LDSByteSize: 0 bytes/workgroup (compile time only)
; SGPRBlocks: 0
; VGPRBlocks: 0
; NumSGPRsForWavesPerEU: 1
; NumVGPRsForWavesPerEU: 1
; Occupancy: 16
; WaveLimiterHint : 0
; COMPUTE_PGM_RSRC2:SCRATCH_EN: 0
; COMPUTE_PGM_RSRC2:USER_SGPR: 15
; COMPUTE_PGM_RSRC2:TRAP_HANDLER: 0
; COMPUTE_PGM_RSRC2:TGID_X_EN: 1
; COMPUTE_PGM_RSRC2:TGID_Y_EN: 0
; COMPUTE_PGM_RSRC2:TGID_Z_EN: 0
; COMPUTE_PGM_RSRC2:TIDIG_COMP_CNT: 0
	.section	.text._ZN7rocprim17ROCPRIM_400000_NS6detail25reduce_by_key_init_kernelINS1_19lookback_scan_stateINS0_5tupleIJjlEEELb1ELb0EEElNS1_16block_id_wrapperIjLb1EEEEEvT_jbjPmPT0_T1_,"axG",@progbits,_ZN7rocprim17ROCPRIM_400000_NS6detail25reduce_by_key_init_kernelINS1_19lookback_scan_stateINS0_5tupleIJjlEEELb1ELb0EEElNS1_16block_id_wrapperIjLb1EEEEEvT_jbjPmPT0_T1_,comdat
	.protected	_ZN7rocprim17ROCPRIM_400000_NS6detail25reduce_by_key_init_kernelINS1_19lookback_scan_stateINS0_5tupleIJjlEEELb1ELb0EEElNS1_16block_id_wrapperIjLb1EEEEEvT_jbjPmPT0_T1_ ; -- Begin function _ZN7rocprim17ROCPRIM_400000_NS6detail25reduce_by_key_init_kernelINS1_19lookback_scan_stateINS0_5tupleIJjlEEELb1ELb0EEElNS1_16block_id_wrapperIjLb1EEEEEvT_jbjPmPT0_T1_
	.globl	_ZN7rocprim17ROCPRIM_400000_NS6detail25reduce_by_key_init_kernelINS1_19lookback_scan_stateINS0_5tupleIJjlEEELb1ELb0EEElNS1_16block_id_wrapperIjLb1EEEEEvT_jbjPmPT0_T1_
	.p2align	8
	.type	_ZN7rocprim17ROCPRIM_400000_NS6detail25reduce_by_key_init_kernelINS1_19lookback_scan_stateINS0_5tupleIJjlEEELb1ELb0EEElNS1_16block_id_wrapperIjLb1EEEEEvT_jbjPmPT0_T1_,@function
_ZN7rocprim17ROCPRIM_400000_NS6detail25reduce_by_key_init_kernelINS1_19lookback_scan_stateINS0_5tupleIJjlEEELb1ELb0EEElNS1_16block_id_wrapperIjLb1EEEEEvT_jbjPmPT0_T1_: ; @_ZN7rocprim17ROCPRIM_400000_NS6detail25reduce_by_key_init_kernelINS1_19lookback_scan_stateINS0_5tupleIJjlEEELb1ELb0EEElNS1_16block_id_wrapperIjLb1EEEEEvT_jbjPmPT0_T1_
; %bb.0:
	s_clause 0x3
	s_load_b32 s2, s[0:1], 0x4c
	s_load_b256 s[4:11], s[0:1], 0x18
	s_load_b64 s[16:17], s[0:1], 0x38
	s_load_b64 s[12:13], s[0:1], 0x10
	s_waitcnt lgkmcnt(0)
	s_and_b32 s2, s2, 0xffff
	s_delay_alu instid0(SALU_CYCLE_1) | instskip(SKIP_1) | instid1(SALU_CYCLE_1)
	v_mad_u64_u32 v[1:2], null, s15, s2, v[0:1]
	s_and_b32 s2, s5, 1
	s_cmp_eq_u32 s2, 0
	s_mov_b32 s2, -1
	s_cbranch_scc0 .LBB1141_11
; %bb.1:
	s_cmp_lt_u32 s6, s4
	s_mov_b32 s5, exec_lo
	s_cselect_b32 s2, s6, 0
	s_delay_alu instid0(SALU_CYCLE_1)
	v_cmpx_eq_u32_e64 s2, v1
	s_cbranch_execz .LBB1141_10
; %bb.2:
	s_add_i32 s6, s6, 32
	s_load_b128 s[0:3], s[0:1], 0x0
	v_mov_b32_e32 v0, s6
	s_add_u32 s14, s12, s6
	s_addc_u32 s15, s13, 0
	s_mov_b32 s7, 0
	global_load_u8 v0, v0, s[12:13] glc
	s_waitcnt vmcnt(0)
	v_cmp_ne_u16_e32 vcc_lo, 0, v0
	v_readfirstlane_b32 s18, v0
	s_cbranch_vccz .LBB1141_4
; %bb.3:
	s_delay_alu instid0(VALU_DEP_1)
	s_and_b32 s14, 0xffff, s18
	s_branch .LBB1141_9
.LBB1141_4:
	v_mov_b32_e32 v0, 0
	s_mov_b32 s18, 1
.LBB1141_5:                             ; =>This Loop Header: Depth=1
                                        ;     Child Loop BB1141_6 Depth 2
	s_delay_alu instid0(SALU_CYCLE_1)
	s_max_u32 s19, s18, 1
.LBB1141_6:                             ;   Parent Loop BB1141_5 Depth=1
                                        ; =>  This Inner Loop Header: Depth=2
	s_delay_alu instid0(SALU_CYCLE_1)
	s_add_i32 s19, s19, -1
	s_sleep 1
	s_cmp_eq_u32 s19, 0
	s_cbranch_scc0 .LBB1141_6
; %bb.7:                                ;   in Loop: Header=BB1141_5 Depth=1
	global_load_u8 v2, v0, s[14:15] glc
	s_cmp_lt_u32 s18, 32
	s_cselect_b32 s19, -1, 0
	s_delay_alu instid0(SALU_CYCLE_1)
	s_cmp_lg_u32 s19, 0
	s_addc_u32 s18, s18, 0
	s_waitcnt vmcnt(0)
	v_cmp_ne_u16_e32 vcc_lo, 0, v2
	v_readfirstlane_b32 s19, v2
	s_cbranch_vccz .LBB1141_5
; %bb.8:
	s_delay_alu instid0(VALU_DEP_1)
	s_and_b32 s14, 0xffff, s19
.LBB1141_9:
	s_delay_alu instid0(SALU_CYCLE_1)
	s_cmp_eq_u32 s14, 1
	v_mov_b32_e32 v0, 0
	s_waitcnt lgkmcnt(0)
	s_cselect_b32 s3, s1, s3
	s_cselect_b32 s2, s0, s2
	s_lshl_b64 s[0:1], s[6:7], 4
	buffer_gl1_inv
	buffer_gl0_inv
	s_add_u32 s0, s2, s0
	s_addc_u32 s1, s3, s1
	s_clause 0x2
	global_load_b64 v[2:3], v0, s[8:9]
	global_load_b32 v6, v0, s[0:1]
	global_load_b64 v[4:5], v0, s[0:1] offset:8
	s_waitcnt vmcnt(1)
	v_add_co_u32 v2, vcc_lo, v2, v6
	v_add_co_ci_u32_e32 v3, vcc_lo, 0, v3, vcc_lo
	global_store_b64 v0, v[2:3], s[8:9]
	s_waitcnt vmcnt(0)
	global_store_b64 v0, v[4:5], s[10:11]
.LBB1141_10:
	s_or_b32 exec_lo, exec_lo, s5
	s_mov_b32 s2, 0
.LBB1141_11:
	s_delay_alu instid0(VALU_DEP_1)
	v_cmp_eq_u32_e64 s0, 0, v1
	s_and_not1_b32 vcc_lo, exec_lo, s2
	s_cbranch_vccnz .LBB1141_15
; %bb.12:
	s_cmp_lg_u64 s[8:9], 0
	s_cselect_b32 s1, -1, 0
	s_delay_alu instid0(SALU_CYCLE_1) | instskip(NEXT) | instid1(SALU_CYCLE_1)
	s_and_b32 s1, s1, s0
	s_and_saveexec_b32 s0, s1
	s_cbranch_execz .LBB1141_14
; %bb.13:
	v_mov_b32_e32 v2, 0
	s_delay_alu instid0(VALU_DEP_1)
	v_mov_b32_e32 v3, v2
	global_store_b64 v2, v[2:3], s[8:9]
.LBB1141_14:
	s_or_b32 exec_lo, exec_lo, s0
.LBB1141_15:
	s_delay_alu instid0(SALU_CYCLE_1)
	s_mov_b32 s0, exec_lo
	v_cmpx_eq_u32_e32 0, v1
	s_cbranch_execz .LBB1141_17
; %bb.16:
	v_mov_b32_e32 v0, 0
	global_store_b32 v0, v0, s[16:17]
.LBB1141_17:
	s_or_b32 exec_lo, exec_lo, s0
	s_delay_alu instid0(SALU_CYCLE_1)
	s_mov_b32 s0, exec_lo
	v_cmpx_gt_u32_e64 s4, v1
	s_cbranch_execz .LBB1141_19
; %bb.18:
	v_add_nc_u32_e32 v0, 32, v1
	v_mov_b32_e32 v2, 0
	global_store_b8 v0, v2, s[12:13]
.LBB1141_19:
	s_or_b32 exec_lo, exec_lo, s0
	s_delay_alu instid0(SALU_CYCLE_1)
	s_mov_b32 s0, exec_lo
	v_cmpx_gt_u32_e32 32, v1
	s_cbranch_execz .LBB1141_21
; %bb.20:
	v_mov_b32_e32 v0, 0xff
	global_store_b8 v1, v0, s[12:13]
.LBB1141_21:
	s_nop 0
	s_sendmsg sendmsg(MSG_DEALLOC_VGPRS)
	s_endpgm
	.section	.rodata,"a",@progbits
	.p2align	6, 0x0
	.amdhsa_kernel _ZN7rocprim17ROCPRIM_400000_NS6detail25reduce_by_key_init_kernelINS1_19lookback_scan_stateINS0_5tupleIJjlEEELb1ELb0EEElNS1_16block_id_wrapperIjLb1EEEEEvT_jbjPmPT0_T1_
		.amdhsa_group_segment_fixed_size 0
		.amdhsa_private_segment_fixed_size 0
		.amdhsa_kernarg_size 320
		.amdhsa_user_sgpr_count 15
		.amdhsa_user_sgpr_dispatch_ptr 0
		.amdhsa_user_sgpr_queue_ptr 0
		.amdhsa_user_sgpr_kernarg_segment_ptr 1
		.amdhsa_user_sgpr_dispatch_id 0
		.amdhsa_user_sgpr_private_segment_size 0
		.amdhsa_wavefront_size32 1
		.amdhsa_uses_dynamic_stack 0
		.amdhsa_enable_private_segment 0
		.amdhsa_system_sgpr_workgroup_id_x 1
		.amdhsa_system_sgpr_workgroup_id_y 0
		.amdhsa_system_sgpr_workgroup_id_z 0
		.amdhsa_system_sgpr_workgroup_info 0
		.amdhsa_system_vgpr_workitem_id 0
		.amdhsa_next_free_vgpr 7
		.amdhsa_next_free_sgpr 20
		.amdhsa_reserve_vcc 1
		.amdhsa_float_round_mode_32 0
		.amdhsa_float_round_mode_16_64 0
		.amdhsa_float_denorm_mode_32 3
		.amdhsa_float_denorm_mode_16_64 3
		.amdhsa_dx10_clamp 1
		.amdhsa_ieee_mode 1
		.amdhsa_fp16_overflow 0
		.amdhsa_workgroup_processor_mode 1
		.amdhsa_memory_ordered 1
		.amdhsa_forward_progress 0
		.amdhsa_shared_vgpr_count 0
		.amdhsa_exception_fp_ieee_invalid_op 0
		.amdhsa_exception_fp_denorm_src 0
		.amdhsa_exception_fp_ieee_div_zero 0
		.amdhsa_exception_fp_ieee_overflow 0
		.amdhsa_exception_fp_ieee_underflow 0
		.amdhsa_exception_fp_ieee_inexact 0
		.amdhsa_exception_int_div_zero 0
	.end_amdhsa_kernel
	.section	.text._ZN7rocprim17ROCPRIM_400000_NS6detail25reduce_by_key_init_kernelINS1_19lookback_scan_stateINS0_5tupleIJjlEEELb1ELb0EEElNS1_16block_id_wrapperIjLb1EEEEEvT_jbjPmPT0_T1_,"axG",@progbits,_ZN7rocprim17ROCPRIM_400000_NS6detail25reduce_by_key_init_kernelINS1_19lookback_scan_stateINS0_5tupleIJjlEEELb1ELb0EEElNS1_16block_id_wrapperIjLb1EEEEEvT_jbjPmPT0_T1_,comdat
.Lfunc_end1141:
	.size	_ZN7rocprim17ROCPRIM_400000_NS6detail25reduce_by_key_init_kernelINS1_19lookback_scan_stateINS0_5tupleIJjlEEELb1ELb0EEElNS1_16block_id_wrapperIjLb1EEEEEvT_jbjPmPT0_T1_, .Lfunc_end1141-_ZN7rocprim17ROCPRIM_400000_NS6detail25reduce_by_key_init_kernelINS1_19lookback_scan_stateINS0_5tupleIJjlEEELb1ELb0EEElNS1_16block_id_wrapperIjLb1EEEEEvT_jbjPmPT0_T1_
                                        ; -- End function
	.section	.AMDGPU.csdata,"",@progbits
; Kernel info:
; codeLenInByte = 572
; NumSgprs: 22
; NumVgprs: 7
; ScratchSize: 0
; MemoryBound: 0
; FloatMode: 240
; IeeeMode: 1
; LDSByteSize: 0 bytes/workgroup (compile time only)
; SGPRBlocks: 2
; VGPRBlocks: 0
; NumSGPRsForWavesPerEU: 22
; NumVGPRsForWavesPerEU: 7
; Occupancy: 16
; WaveLimiterHint : 0
; COMPUTE_PGM_RSRC2:SCRATCH_EN: 0
; COMPUTE_PGM_RSRC2:USER_SGPR: 15
; COMPUTE_PGM_RSRC2:TRAP_HANDLER: 0
; COMPUTE_PGM_RSRC2:TGID_X_EN: 1
; COMPUTE_PGM_RSRC2:TGID_Y_EN: 0
; COMPUTE_PGM_RSRC2:TGID_Z_EN: 0
; COMPUTE_PGM_RSRC2:TIDIG_COMP_CNT: 0
	.section	.text._ZN7rocprim17ROCPRIM_400000_NS6detail17trampoline_kernelINS0_14default_configENS1_29reduce_by_key_config_selectorIllN6thrust23THRUST_200600_302600_NS4plusIlEEEEZZNS1_33reduce_by_key_impl_wrapped_configILNS1_25lookback_scan_determinismE0ES3_S9_NS6_18transform_iteratorI6div_opNS6_17counting_iteratorIlNS6_11use_defaultESF_SF_EESF_SF_EENSC_I6mod_opSG_SF_SF_EENS6_6detail15normal_iteratorINS6_10device_ptrIlEEEESO_PmS8_NS6_8equal_toIlEEEE10hipError_tPvRmT2_T3_mT4_T5_T6_T7_T8_P12ihipStream_tbENKUlT_T0_E_clISt17integral_constantIbLb1EES19_EEDaS14_S15_EUlS14_E_NS1_11comp_targetILNS1_3genE0ELNS1_11target_archE4294967295ELNS1_3gpuE0ELNS1_3repE0EEENS1_30default_config_static_selectorELNS0_4arch9wavefront6targetE0EEEvT1_,"axG",@progbits,_ZN7rocprim17ROCPRIM_400000_NS6detail17trampoline_kernelINS0_14default_configENS1_29reduce_by_key_config_selectorIllN6thrust23THRUST_200600_302600_NS4plusIlEEEEZZNS1_33reduce_by_key_impl_wrapped_configILNS1_25lookback_scan_determinismE0ES3_S9_NS6_18transform_iteratorI6div_opNS6_17counting_iteratorIlNS6_11use_defaultESF_SF_EESF_SF_EENSC_I6mod_opSG_SF_SF_EENS6_6detail15normal_iteratorINS6_10device_ptrIlEEEESO_PmS8_NS6_8equal_toIlEEEE10hipError_tPvRmT2_T3_mT4_T5_T6_T7_T8_P12ihipStream_tbENKUlT_T0_E_clISt17integral_constantIbLb1EES19_EEDaS14_S15_EUlS14_E_NS1_11comp_targetILNS1_3genE0ELNS1_11target_archE4294967295ELNS1_3gpuE0ELNS1_3repE0EEENS1_30default_config_static_selectorELNS0_4arch9wavefront6targetE0EEEvT1_,comdat
	.protected	_ZN7rocprim17ROCPRIM_400000_NS6detail17trampoline_kernelINS0_14default_configENS1_29reduce_by_key_config_selectorIllN6thrust23THRUST_200600_302600_NS4plusIlEEEEZZNS1_33reduce_by_key_impl_wrapped_configILNS1_25lookback_scan_determinismE0ES3_S9_NS6_18transform_iteratorI6div_opNS6_17counting_iteratorIlNS6_11use_defaultESF_SF_EESF_SF_EENSC_I6mod_opSG_SF_SF_EENS6_6detail15normal_iteratorINS6_10device_ptrIlEEEESO_PmS8_NS6_8equal_toIlEEEE10hipError_tPvRmT2_T3_mT4_T5_T6_T7_T8_P12ihipStream_tbENKUlT_T0_E_clISt17integral_constantIbLb1EES19_EEDaS14_S15_EUlS14_E_NS1_11comp_targetILNS1_3genE0ELNS1_11target_archE4294967295ELNS1_3gpuE0ELNS1_3repE0EEENS1_30default_config_static_selectorELNS0_4arch9wavefront6targetE0EEEvT1_ ; -- Begin function _ZN7rocprim17ROCPRIM_400000_NS6detail17trampoline_kernelINS0_14default_configENS1_29reduce_by_key_config_selectorIllN6thrust23THRUST_200600_302600_NS4plusIlEEEEZZNS1_33reduce_by_key_impl_wrapped_configILNS1_25lookback_scan_determinismE0ES3_S9_NS6_18transform_iteratorI6div_opNS6_17counting_iteratorIlNS6_11use_defaultESF_SF_EESF_SF_EENSC_I6mod_opSG_SF_SF_EENS6_6detail15normal_iteratorINS6_10device_ptrIlEEEESO_PmS8_NS6_8equal_toIlEEEE10hipError_tPvRmT2_T3_mT4_T5_T6_T7_T8_P12ihipStream_tbENKUlT_T0_E_clISt17integral_constantIbLb1EES19_EEDaS14_S15_EUlS14_E_NS1_11comp_targetILNS1_3genE0ELNS1_11target_archE4294967295ELNS1_3gpuE0ELNS1_3repE0EEENS1_30default_config_static_selectorELNS0_4arch9wavefront6targetE0EEEvT1_
	.globl	_ZN7rocprim17ROCPRIM_400000_NS6detail17trampoline_kernelINS0_14default_configENS1_29reduce_by_key_config_selectorIllN6thrust23THRUST_200600_302600_NS4plusIlEEEEZZNS1_33reduce_by_key_impl_wrapped_configILNS1_25lookback_scan_determinismE0ES3_S9_NS6_18transform_iteratorI6div_opNS6_17counting_iteratorIlNS6_11use_defaultESF_SF_EESF_SF_EENSC_I6mod_opSG_SF_SF_EENS6_6detail15normal_iteratorINS6_10device_ptrIlEEEESO_PmS8_NS6_8equal_toIlEEEE10hipError_tPvRmT2_T3_mT4_T5_T6_T7_T8_P12ihipStream_tbENKUlT_T0_E_clISt17integral_constantIbLb1EES19_EEDaS14_S15_EUlS14_E_NS1_11comp_targetILNS1_3genE0ELNS1_11target_archE4294967295ELNS1_3gpuE0ELNS1_3repE0EEENS1_30default_config_static_selectorELNS0_4arch9wavefront6targetE0EEEvT1_
	.p2align	8
	.type	_ZN7rocprim17ROCPRIM_400000_NS6detail17trampoline_kernelINS0_14default_configENS1_29reduce_by_key_config_selectorIllN6thrust23THRUST_200600_302600_NS4plusIlEEEEZZNS1_33reduce_by_key_impl_wrapped_configILNS1_25lookback_scan_determinismE0ES3_S9_NS6_18transform_iteratorI6div_opNS6_17counting_iteratorIlNS6_11use_defaultESF_SF_EESF_SF_EENSC_I6mod_opSG_SF_SF_EENS6_6detail15normal_iteratorINS6_10device_ptrIlEEEESO_PmS8_NS6_8equal_toIlEEEE10hipError_tPvRmT2_T3_mT4_T5_T6_T7_T8_P12ihipStream_tbENKUlT_T0_E_clISt17integral_constantIbLb1EES19_EEDaS14_S15_EUlS14_E_NS1_11comp_targetILNS1_3genE0ELNS1_11target_archE4294967295ELNS1_3gpuE0ELNS1_3repE0EEENS1_30default_config_static_selectorELNS0_4arch9wavefront6targetE0EEEvT1_,@function
_ZN7rocprim17ROCPRIM_400000_NS6detail17trampoline_kernelINS0_14default_configENS1_29reduce_by_key_config_selectorIllN6thrust23THRUST_200600_302600_NS4plusIlEEEEZZNS1_33reduce_by_key_impl_wrapped_configILNS1_25lookback_scan_determinismE0ES3_S9_NS6_18transform_iteratorI6div_opNS6_17counting_iteratorIlNS6_11use_defaultESF_SF_EESF_SF_EENSC_I6mod_opSG_SF_SF_EENS6_6detail15normal_iteratorINS6_10device_ptrIlEEEESO_PmS8_NS6_8equal_toIlEEEE10hipError_tPvRmT2_T3_mT4_T5_T6_T7_T8_P12ihipStream_tbENKUlT_T0_E_clISt17integral_constantIbLb1EES19_EEDaS14_S15_EUlS14_E_NS1_11comp_targetILNS1_3genE0ELNS1_11target_archE4294967295ELNS1_3gpuE0ELNS1_3repE0EEENS1_30default_config_static_selectorELNS0_4arch9wavefront6targetE0EEEvT1_: ; @_ZN7rocprim17ROCPRIM_400000_NS6detail17trampoline_kernelINS0_14default_configENS1_29reduce_by_key_config_selectorIllN6thrust23THRUST_200600_302600_NS4plusIlEEEEZZNS1_33reduce_by_key_impl_wrapped_configILNS1_25lookback_scan_determinismE0ES3_S9_NS6_18transform_iteratorI6div_opNS6_17counting_iteratorIlNS6_11use_defaultESF_SF_EESF_SF_EENSC_I6mod_opSG_SF_SF_EENS6_6detail15normal_iteratorINS6_10device_ptrIlEEEESO_PmS8_NS6_8equal_toIlEEEE10hipError_tPvRmT2_T3_mT4_T5_T6_T7_T8_P12ihipStream_tbENKUlT_T0_E_clISt17integral_constantIbLb1EES19_EEDaS14_S15_EUlS14_E_NS1_11comp_targetILNS1_3genE0ELNS1_11target_archE4294967295ELNS1_3gpuE0ELNS1_3repE0EEENS1_30default_config_static_selectorELNS0_4arch9wavefront6targetE0EEEvT1_
; %bb.0:
	.section	.rodata,"a",@progbits
	.p2align	6, 0x0
	.amdhsa_kernel _ZN7rocprim17ROCPRIM_400000_NS6detail17trampoline_kernelINS0_14default_configENS1_29reduce_by_key_config_selectorIllN6thrust23THRUST_200600_302600_NS4plusIlEEEEZZNS1_33reduce_by_key_impl_wrapped_configILNS1_25lookback_scan_determinismE0ES3_S9_NS6_18transform_iteratorI6div_opNS6_17counting_iteratorIlNS6_11use_defaultESF_SF_EESF_SF_EENSC_I6mod_opSG_SF_SF_EENS6_6detail15normal_iteratorINS6_10device_ptrIlEEEESO_PmS8_NS6_8equal_toIlEEEE10hipError_tPvRmT2_T3_mT4_T5_T6_T7_T8_P12ihipStream_tbENKUlT_T0_E_clISt17integral_constantIbLb1EES19_EEDaS14_S15_EUlS14_E_NS1_11comp_targetILNS1_3genE0ELNS1_11target_archE4294967295ELNS1_3gpuE0ELNS1_3repE0EEENS1_30default_config_static_selectorELNS0_4arch9wavefront6targetE0EEEvT1_
		.amdhsa_group_segment_fixed_size 0
		.amdhsa_private_segment_fixed_size 0
		.amdhsa_kernarg_size 152
		.amdhsa_user_sgpr_count 15
		.amdhsa_user_sgpr_dispatch_ptr 0
		.amdhsa_user_sgpr_queue_ptr 0
		.amdhsa_user_sgpr_kernarg_segment_ptr 1
		.amdhsa_user_sgpr_dispatch_id 0
		.amdhsa_user_sgpr_private_segment_size 0
		.amdhsa_wavefront_size32 1
		.amdhsa_uses_dynamic_stack 0
		.amdhsa_enable_private_segment 0
		.amdhsa_system_sgpr_workgroup_id_x 1
		.amdhsa_system_sgpr_workgroup_id_y 0
		.amdhsa_system_sgpr_workgroup_id_z 0
		.amdhsa_system_sgpr_workgroup_info 0
		.amdhsa_system_vgpr_workitem_id 0
		.amdhsa_next_free_vgpr 1
		.amdhsa_next_free_sgpr 1
		.amdhsa_reserve_vcc 0
		.amdhsa_float_round_mode_32 0
		.amdhsa_float_round_mode_16_64 0
		.amdhsa_float_denorm_mode_32 3
		.amdhsa_float_denorm_mode_16_64 3
		.amdhsa_dx10_clamp 1
		.amdhsa_ieee_mode 1
		.amdhsa_fp16_overflow 0
		.amdhsa_workgroup_processor_mode 1
		.amdhsa_memory_ordered 1
		.amdhsa_forward_progress 0
		.amdhsa_shared_vgpr_count 0
		.amdhsa_exception_fp_ieee_invalid_op 0
		.amdhsa_exception_fp_denorm_src 0
		.amdhsa_exception_fp_ieee_div_zero 0
		.amdhsa_exception_fp_ieee_overflow 0
		.amdhsa_exception_fp_ieee_underflow 0
		.amdhsa_exception_fp_ieee_inexact 0
		.amdhsa_exception_int_div_zero 0
	.end_amdhsa_kernel
	.section	.text._ZN7rocprim17ROCPRIM_400000_NS6detail17trampoline_kernelINS0_14default_configENS1_29reduce_by_key_config_selectorIllN6thrust23THRUST_200600_302600_NS4plusIlEEEEZZNS1_33reduce_by_key_impl_wrapped_configILNS1_25lookback_scan_determinismE0ES3_S9_NS6_18transform_iteratorI6div_opNS6_17counting_iteratorIlNS6_11use_defaultESF_SF_EESF_SF_EENSC_I6mod_opSG_SF_SF_EENS6_6detail15normal_iteratorINS6_10device_ptrIlEEEESO_PmS8_NS6_8equal_toIlEEEE10hipError_tPvRmT2_T3_mT4_T5_T6_T7_T8_P12ihipStream_tbENKUlT_T0_E_clISt17integral_constantIbLb1EES19_EEDaS14_S15_EUlS14_E_NS1_11comp_targetILNS1_3genE0ELNS1_11target_archE4294967295ELNS1_3gpuE0ELNS1_3repE0EEENS1_30default_config_static_selectorELNS0_4arch9wavefront6targetE0EEEvT1_,"axG",@progbits,_ZN7rocprim17ROCPRIM_400000_NS6detail17trampoline_kernelINS0_14default_configENS1_29reduce_by_key_config_selectorIllN6thrust23THRUST_200600_302600_NS4plusIlEEEEZZNS1_33reduce_by_key_impl_wrapped_configILNS1_25lookback_scan_determinismE0ES3_S9_NS6_18transform_iteratorI6div_opNS6_17counting_iteratorIlNS6_11use_defaultESF_SF_EESF_SF_EENSC_I6mod_opSG_SF_SF_EENS6_6detail15normal_iteratorINS6_10device_ptrIlEEEESO_PmS8_NS6_8equal_toIlEEEE10hipError_tPvRmT2_T3_mT4_T5_T6_T7_T8_P12ihipStream_tbENKUlT_T0_E_clISt17integral_constantIbLb1EES19_EEDaS14_S15_EUlS14_E_NS1_11comp_targetILNS1_3genE0ELNS1_11target_archE4294967295ELNS1_3gpuE0ELNS1_3repE0EEENS1_30default_config_static_selectorELNS0_4arch9wavefront6targetE0EEEvT1_,comdat
.Lfunc_end1142:
	.size	_ZN7rocprim17ROCPRIM_400000_NS6detail17trampoline_kernelINS0_14default_configENS1_29reduce_by_key_config_selectorIllN6thrust23THRUST_200600_302600_NS4plusIlEEEEZZNS1_33reduce_by_key_impl_wrapped_configILNS1_25lookback_scan_determinismE0ES3_S9_NS6_18transform_iteratorI6div_opNS6_17counting_iteratorIlNS6_11use_defaultESF_SF_EESF_SF_EENSC_I6mod_opSG_SF_SF_EENS6_6detail15normal_iteratorINS6_10device_ptrIlEEEESO_PmS8_NS6_8equal_toIlEEEE10hipError_tPvRmT2_T3_mT4_T5_T6_T7_T8_P12ihipStream_tbENKUlT_T0_E_clISt17integral_constantIbLb1EES19_EEDaS14_S15_EUlS14_E_NS1_11comp_targetILNS1_3genE0ELNS1_11target_archE4294967295ELNS1_3gpuE0ELNS1_3repE0EEENS1_30default_config_static_selectorELNS0_4arch9wavefront6targetE0EEEvT1_, .Lfunc_end1142-_ZN7rocprim17ROCPRIM_400000_NS6detail17trampoline_kernelINS0_14default_configENS1_29reduce_by_key_config_selectorIllN6thrust23THRUST_200600_302600_NS4plusIlEEEEZZNS1_33reduce_by_key_impl_wrapped_configILNS1_25lookback_scan_determinismE0ES3_S9_NS6_18transform_iteratorI6div_opNS6_17counting_iteratorIlNS6_11use_defaultESF_SF_EESF_SF_EENSC_I6mod_opSG_SF_SF_EENS6_6detail15normal_iteratorINS6_10device_ptrIlEEEESO_PmS8_NS6_8equal_toIlEEEE10hipError_tPvRmT2_T3_mT4_T5_T6_T7_T8_P12ihipStream_tbENKUlT_T0_E_clISt17integral_constantIbLb1EES19_EEDaS14_S15_EUlS14_E_NS1_11comp_targetILNS1_3genE0ELNS1_11target_archE4294967295ELNS1_3gpuE0ELNS1_3repE0EEENS1_30default_config_static_selectorELNS0_4arch9wavefront6targetE0EEEvT1_
                                        ; -- End function
	.section	.AMDGPU.csdata,"",@progbits
; Kernel info:
; codeLenInByte = 0
; NumSgprs: 0
; NumVgprs: 0
; ScratchSize: 0
; MemoryBound: 0
; FloatMode: 240
; IeeeMode: 1
; LDSByteSize: 0 bytes/workgroup (compile time only)
; SGPRBlocks: 0
; VGPRBlocks: 0
; NumSGPRsForWavesPerEU: 1
; NumVGPRsForWavesPerEU: 1
; Occupancy: 16
; WaveLimiterHint : 0
; COMPUTE_PGM_RSRC2:SCRATCH_EN: 0
; COMPUTE_PGM_RSRC2:USER_SGPR: 15
; COMPUTE_PGM_RSRC2:TRAP_HANDLER: 0
; COMPUTE_PGM_RSRC2:TGID_X_EN: 1
; COMPUTE_PGM_RSRC2:TGID_Y_EN: 0
; COMPUTE_PGM_RSRC2:TGID_Z_EN: 0
; COMPUTE_PGM_RSRC2:TIDIG_COMP_CNT: 0
	.section	.text._ZN7rocprim17ROCPRIM_400000_NS6detail17trampoline_kernelINS0_14default_configENS1_29reduce_by_key_config_selectorIllN6thrust23THRUST_200600_302600_NS4plusIlEEEEZZNS1_33reduce_by_key_impl_wrapped_configILNS1_25lookback_scan_determinismE0ES3_S9_NS6_18transform_iteratorI6div_opNS6_17counting_iteratorIlNS6_11use_defaultESF_SF_EESF_SF_EENSC_I6mod_opSG_SF_SF_EENS6_6detail15normal_iteratorINS6_10device_ptrIlEEEESO_PmS8_NS6_8equal_toIlEEEE10hipError_tPvRmT2_T3_mT4_T5_T6_T7_T8_P12ihipStream_tbENKUlT_T0_E_clISt17integral_constantIbLb1EES19_EEDaS14_S15_EUlS14_E_NS1_11comp_targetILNS1_3genE5ELNS1_11target_archE942ELNS1_3gpuE9ELNS1_3repE0EEENS1_30default_config_static_selectorELNS0_4arch9wavefront6targetE0EEEvT1_,"axG",@progbits,_ZN7rocprim17ROCPRIM_400000_NS6detail17trampoline_kernelINS0_14default_configENS1_29reduce_by_key_config_selectorIllN6thrust23THRUST_200600_302600_NS4plusIlEEEEZZNS1_33reduce_by_key_impl_wrapped_configILNS1_25lookback_scan_determinismE0ES3_S9_NS6_18transform_iteratorI6div_opNS6_17counting_iteratorIlNS6_11use_defaultESF_SF_EESF_SF_EENSC_I6mod_opSG_SF_SF_EENS6_6detail15normal_iteratorINS6_10device_ptrIlEEEESO_PmS8_NS6_8equal_toIlEEEE10hipError_tPvRmT2_T3_mT4_T5_T6_T7_T8_P12ihipStream_tbENKUlT_T0_E_clISt17integral_constantIbLb1EES19_EEDaS14_S15_EUlS14_E_NS1_11comp_targetILNS1_3genE5ELNS1_11target_archE942ELNS1_3gpuE9ELNS1_3repE0EEENS1_30default_config_static_selectorELNS0_4arch9wavefront6targetE0EEEvT1_,comdat
	.protected	_ZN7rocprim17ROCPRIM_400000_NS6detail17trampoline_kernelINS0_14default_configENS1_29reduce_by_key_config_selectorIllN6thrust23THRUST_200600_302600_NS4plusIlEEEEZZNS1_33reduce_by_key_impl_wrapped_configILNS1_25lookback_scan_determinismE0ES3_S9_NS6_18transform_iteratorI6div_opNS6_17counting_iteratorIlNS6_11use_defaultESF_SF_EESF_SF_EENSC_I6mod_opSG_SF_SF_EENS6_6detail15normal_iteratorINS6_10device_ptrIlEEEESO_PmS8_NS6_8equal_toIlEEEE10hipError_tPvRmT2_T3_mT4_T5_T6_T7_T8_P12ihipStream_tbENKUlT_T0_E_clISt17integral_constantIbLb1EES19_EEDaS14_S15_EUlS14_E_NS1_11comp_targetILNS1_3genE5ELNS1_11target_archE942ELNS1_3gpuE9ELNS1_3repE0EEENS1_30default_config_static_selectorELNS0_4arch9wavefront6targetE0EEEvT1_ ; -- Begin function _ZN7rocprim17ROCPRIM_400000_NS6detail17trampoline_kernelINS0_14default_configENS1_29reduce_by_key_config_selectorIllN6thrust23THRUST_200600_302600_NS4plusIlEEEEZZNS1_33reduce_by_key_impl_wrapped_configILNS1_25lookback_scan_determinismE0ES3_S9_NS6_18transform_iteratorI6div_opNS6_17counting_iteratorIlNS6_11use_defaultESF_SF_EESF_SF_EENSC_I6mod_opSG_SF_SF_EENS6_6detail15normal_iteratorINS6_10device_ptrIlEEEESO_PmS8_NS6_8equal_toIlEEEE10hipError_tPvRmT2_T3_mT4_T5_T6_T7_T8_P12ihipStream_tbENKUlT_T0_E_clISt17integral_constantIbLb1EES19_EEDaS14_S15_EUlS14_E_NS1_11comp_targetILNS1_3genE5ELNS1_11target_archE942ELNS1_3gpuE9ELNS1_3repE0EEENS1_30default_config_static_selectorELNS0_4arch9wavefront6targetE0EEEvT1_
	.globl	_ZN7rocprim17ROCPRIM_400000_NS6detail17trampoline_kernelINS0_14default_configENS1_29reduce_by_key_config_selectorIllN6thrust23THRUST_200600_302600_NS4plusIlEEEEZZNS1_33reduce_by_key_impl_wrapped_configILNS1_25lookback_scan_determinismE0ES3_S9_NS6_18transform_iteratorI6div_opNS6_17counting_iteratorIlNS6_11use_defaultESF_SF_EESF_SF_EENSC_I6mod_opSG_SF_SF_EENS6_6detail15normal_iteratorINS6_10device_ptrIlEEEESO_PmS8_NS6_8equal_toIlEEEE10hipError_tPvRmT2_T3_mT4_T5_T6_T7_T8_P12ihipStream_tbENKUlT_T0_E_clISt17integral_constantIbLb1EES19_EEDaS14_S15_EUlS14_E_NS1_11comp_targetILNS1_3genE5ELNS1_11target_archE942ELNS1_3gpuE9ELNS1_3repE0EEENS1_30default_config_static_selectorELNS0_4arch9wavefront6targetE0EEEvT1_
	.p2align	8
	.type	_ZN7rocprim17ROCPRIM_400000_NS6detail17trampoline_kernelINS0_14default_configENS1_29reduce_by_key_config_selectorIllN6thrust23THRUST_200600_302600_NS4plusIlEEEEZZNS1_33reduce_by_key_impl_wrapped_configILNS1_25lookback_scan_determinismE0ES3_S9_NS6_18transform_iteratorI6div_opNS6_17counting_iteratorIlNS6_11use_defaultESF_SF_EESF_SF_EENSC_I6mod_opSG_SF_SF_EENS6_6detail15normal_iteratorINS6_10device_ptrIlEEEESO_PmS8_NS6_8equal_toIlEEEE10hipError_tPvRmT2_T3_mT4_T5_T6_T7_T8_P12ihipStream_tbENKUlT_T0_E_clISt17integral_constantIbLb1EES19_EEDaS14_S15_EUlS14_E_NS1_11comp_targetILNS1_3genE5ELNS1_11target_archE942ELNS1_3gpuE9ELNS1_3repE0EEENS1_30default_config_static_selectorELNS0_4arch9wavefront6targetE0EEEvT1_,@function
_ZN7rocprim17ROCPRIM_400000_NS6detail17trampoline_kernelINS0_14default_configENS1_29reduce_by_key_config_selectorIllN6thrust23THRUST_200600_302600_NS4plusIlEEEEZZNS1_33reduce_by_key_impl_wrapped_configILNS1_25lookback_scan_determinismE0ES3_S9_NS6_18transform_iteratorI6div_opNS6_17counting_iteratorIlNS6_11use_defaultESF_SF_EESF_SF_EENSC_I6mod_opSG_SF_SF_EENS6_6detail15normal_iteratorINS6_10device_ptrIlEEEESO_PmS8_NS6_8equal_toIlEEEE10hipError_tPvRmT2_T3_mT4_T5_T6_T7_T8_P12ihipStream_tbENKUlT_T0_E_clISt17integral_constantIbLb1EES19_EEDaS14_S15_EUlS14_E_NS1_11comp_targetILNS1_3genE5ELNS1_11target_archE942ELNS1_3gpuE9ELNS1_3repE0EEENS1_30default_config_static_selectorELNS0_4arch9wavefront6targetE0EEEvT1_: ; @_ZN7rocprim17ROCPRIM_400000_NS6detail17trampoline_kernelINS0_14default_configENS1_29reduce_by_key_config_selectorIllN6thrust23THRUST_200600_302600_NS4plusIlEEEEZZNS1_33reduce_by_key_impl_wrapped_configILNS1_25lookback_scan_determinismE0ES3_S9_NS6_18transform_iteratorI6div_opNS6_17counting_iteratorIlNS6_11use_defaultESF_SF_EESF_SF_EENSC_I6mod_opSG_SF_SF_EENS6_6detail15normal_iteratorINS6_10device_ptrIlEEEESO_PmS8_NS6_8equal_toIlEEEE10hipError_tPvRmT2_T3_mT4_T5_T6_T7_T8_P12ihipStream_tbENKUlT_T0_E_clISt17integral_constantIbLb1EES19_EEDaS14_S15_EUlS14_E_NS1_11comp_targetILNS1_3genE5ELNS1_11target_archE942ELNS1_3gpuE9ELNS1_3repE0EEENS1_30default_config_static_selectorELNS0_4arch9wavefront6targetE0EEEvT1_
; %bb.0:
	.section	.rodata,"a",@progbits
	.p2align	6, 0x0
	.amdhsa_kernel _ZN7rocprim17ROCPRIM_400000_NS6detail17trampoline_kernelINS0_14default_configENS1_29reduce_by_key_config_selectorIllN6thrust23THRUST_200600_302600_NS4plusIlEEEEZZNS1_33reduce_by_key_impl_wrapped_configILNS1_25lookback_scan_determinismE0ES3_S9_NS6_18transform_iteratorI6div_opNS6_17counting_iteratorIlNS6_11use_defaultESF_SF_EESF_SF_EENSC_I6mod_opSG_SF_SF_EENS6_6detail15normal_iteratorINS6_10device_ptrIlEEEESO_PmS8_NS6_8equal_toIlEEEE10hipError_tPvRmT2_T3_mT4_T5_T6_T7_T8_P12ihipStream_tbENKUlT_T0_E_clISt17integral_constantIbLb1EES19_EEDaS14_S15_EUlS14_E_NS1_11comp_targetILNS1_3genE5ELNS1_11target_archE942ELNS1_3gpuE9ELNS1_3repE0EEENS1_30default_config_static_selectorELNS0_4arch9wavefront6targetE0EEEvT1_
		.amdhsa_group_segment_fixed_size 0
		.amdhsa_private_segment_fixed_size 0
		.amdhsa_kernarg_size 152
		.amdhsa_user_sgpr_count 15
		.amdhsa_user_sgpr_dispatch_ptr 0
		.amdhsa_user_sgpr_queue_ptr 0
		.amdhsa_user_sgpr_kernarg_segment_ptr 1
		.amdhsa_user_sgpr_dispatch_id 0
		.amdhsa_user_sgpr_private_segment_size 0
		.amdhsa_wavefront_size32 1
		.amdhsa_uses_dynamic_stack 0
		.amdhsa_enable_private_segment 0
		.amdhsa_system_sgpr_workgroup_id_x 1
		.amdhsa_system_sgpr_workgroup_id_y 0
		.amdhsa_system_sgpr_workgroup_id_z 0
		.amdhsa_system_sgpr_workgroup_info 0
		.amdhsa_system_vgpr_workitem_id 0
		.amdhsa_next_free_vgpr 1
		.amdhsa_next_free_sgpr 1
		.amdhsa_reserve_vcc 0
		.amdhsa_float_round_mode_32 0
		.amdhsa_float_round_mode_16_64 0
		.amdhsa_float_denorm_mode_32 3
		.amdhsa_float_denorm_mode_16_64 3
		.amdhsa_dx10_clamp 1
		.amdhsa_ieee_mode 1
		.amdhsa_fp16_overflow 0
		.amdhsa_workgroup_processor_mode 1
		.amdhsa_memory_ordered 1
		.amdhsa_forward_progress 0
		.amdhsa_shared_vgpr_count 0
		.amdhsa_exception_fp_ieee_invalid_op 0
		.amdhsa_exception_fp_denorm_src 0
		.amdhsa_exception_fp_ieee_div_zero 0
		.amdhsa_exception_fp_ieee_overflow 0
		.amdhsa_exception_fp_ieee_underflow 0
		.amdhsa_exception_fp_ieee_inexact 0
		.amdhsa_exception_int_div_zero 0
	.end_amdhsa_kernel
	.section	.text._ZN7rocprim17ROCPRIM_400000_NS6detail17trampoline_kernelINS0_14default_configENS1_29reduce_by_key_config_selectorIllN6thrust23THRUST_200600_302600_NS4plusIlEEEEZZNS1_33reduce_by_key_impl_wrapped_configILNS1_25lookback_scan_determinismE0ES3_S9_NS6_18transform_iteratorI6div_opNS6_17counting_iteratorIlNS6_11use_defaultESF_SF_EESF_SF_EENSC_I6mod_opSG_SF_SF_EENS6_6detail15normal_iteratorINS6_10device_ptrIlEEEESO_PmS8_NS6_8equal_toIlEEEE10hipError_tPvRmT2_T3_mT4_T5_T6_T7_T8_P12ihipStream_tbENKUlT_T0_E_clISt17integral_constantIbLb1EES19_EEDaS14_S15_EUlS14_E_NS1_11comp_targetILNS1_3genE5ELNS1_11target_archE942ELNS1_3gpuE9ELNS1_3repE0EEENS1_30default_config_static_selectorELNS0_4arch9wavefront6targetE0EEEvT1_,"axG",@progbits,_ZN7rocprim17ROCPRIM_400000_NS6detail17trampoline_kernelINS0_14default_configENS1_29reduce_by_key_config_selectorIllN6thrust23THRUST_200600_302600_NS4plusIlEEEEZZNS1_33reduce_by_key_impl_wrapped_configILNS1_25lookback_scan_determinismE0ES3_S9_NS6_18transform_iteratorI6div_opNS6_17counting_iteratorIlNS6_11use_defaultESF_SF_EESF_SF_EENSC_I6mod_opSG_SF_SF_EENS6_6detail15normal_iteratorINS6_10device_ptrIlEEEESO_PmS8_NS6_8equal_toIlEEEE10hipError_tPvRmT2_T3_mT4_T5_T6_T7_T8_P12ihipStream_tbENKUlT_T0_E_clISt17integral_constantIbLb1EES19_EEDaS14_S15_EUlS14_E_NS1_11comp_targetILNS1_3genE5ELNS1_11target_archE942ELNS1_3gpuE9ELNS1_3repE0EEENS1_30default_config_static_selectorELNS0_4arch9wavefront6targetE0EEEvT1_,comdat
.Lfunc_end1143:
	.size	_ZN7rocprim17ROCPRIM_400000_NS6detail17trampoline_kernelINS0_14default_configENS1_29reduce_by_key_config_selectorIllN6thrust23THRUST_200600_302600_NS4plusIlEEEEZZNS1_33reduce_by_key_impl_wrapped_configILNS1_25lookback_scan_determinismE0ES3_S9_NS6_18transform_iteratorI6div_opNS6_17counting_iteratorIlNS6_11use_defaultESF_SF_EESF_SF_EENSC_I6mod_opSG_SF_SF_EENS6_6detail15normal_iteratorINS6_10device_ptrIlEEEESO_PmS8_NS6_8equal_toIlEEEE10hipError_tPvRmT2_T3_mT4_T5_T6_T7_T8_P12ihipStream_tbENKUlT_T0_E_clISt17integral_constantIbLb1EES19_EEDaS14_S15_EUlS14_E_NS1_11comp_targetILNS1_3genE5ELNS1_11target_archE942ELNS1_3gpuE9ELNS1_3repE0EEENS1_30default_config_static_selectorELNS0_4arch9wavefront6targetE0EEEvT1_, .Lfunc_end1143-_ZN7rocprim17ROCPRIM_400000_NS6detail17trampoline_kernelINS0_14default_configENS1_29reduce_by_key_config_selectorIllN6thrust23THRUST_200600_302600_NS4plusIlEEEEZZNS1_33reduce_by_key_impl_wrapped_configILNS1_25lookback_scan_determinismE0ES3_S9_NS6_18transform_iteratorI6div_opNS6_17counting_iteratorIlNS6_11use_defaultESF_SF_EESF_SF_EENSC_I6mod_opSG_SF_SF_EENS6_6detail15normal_iteratorINS6_10device_ptrIlEEEESO_PmS8_NS6_8equal_toIlEEEE10hipError_tPvRmT2_T3_mT4_T5_T6_T7_T8_P12ihipStream_tbENKUlT_T0_E_clISt17integral_constantIbLb1EES19_EEDaS14_S15_EUlS14_E_NS1_11comp_targetILNS1_3genE5ELNS1_11target_archE942ELNS1_3gpuE9ELNS1_3repE0EEENS1_30default_config_static_selectorELNS0_4arch9wavefront6targetE0EEEvT1_
                                        ; -- End function
	.section	.AMDGPU.csdata,"",@progbits
; Kernel info:
; codeLenInByte = 0
; NumSgprs: 0
; NumVgprs: 0
; ScratchSize: 0
; MemoryBound: 0
; FloatMode: 240
; IeeeMode: 1
; LDSByteSize: 0 bytes/workgroup (compile time only)
; SGPRBlocks: 0
; VGPRBlocks: 0
; NumSGPRsForWavesPerEU: 1
; NumVGPRsForWavesPerEU: 1
; Occupancy: 16
; WaveLimiterHint : 0
; COMPUTE_PGM_RSRC2:SCRATCH_EN: 0
; COMPUTE_PGM_RSRC2:USER_SGPR: 15
; COMPUTE_PGM_RSRC2:TRAP_HANDLER: 0
; COMPUTE_PGM_RSRC2:TGID_X_EN: 1
; COMPUTE_PGM_RSRC2:TGID_Y_EN: 0
; COMPUTE_PGM_RSRC2:TGID_Z_EN: 0
; COMPUTE_PGM_RSRC2:TIDIG_COMP_CNT: 0
	.section	.text._ZN7rocprim17ROCPRIM_400000_NS6detail17trampoline_kernelINS0_14default_configENS1_29reduce_by_key_config_selectorIllN6thrust23THRUST_200600_302600_NS4plusIlEEEEZZNS1_33reduce_by_key_impl_wrapped_configILNS1_25lookback_scan_determinismE0ES3_S9_NS6_18transform_iteratorI6div_opNS6_17counting_iteratorIlNS6_11use_defaultESF_SF_EESF_SF_EENSC_I6mod_opSG_SF_SF_EENS6_6detail15normal_iteratorINS6_10device_ptrIlEEEESO_PmS8_NS6_8equal_toIlEEEE10hipError_tPvRmT2_T3_mT4_T5_T6_T7_T8_P12ihipStream_tbENKUlT_T0_E_clISt17integral_constantIbLb1EES19_EEDaS14_S15_EUlS14_E_NS1_11comp_targetILNS1_3genE4ELNS1_11target_archE910ELNS1_3gpuE8ELNS1_3repE0EEENS1_30default_config_static_selectorELNS0_4arch9wavefront6targetE0EEEvT1_,"axG",@progbits,_ZN7rocprim17ROCPRIM_400000_NS6detail17trampoline_kernelINS0_14default_configENS1_29reduce_by_key_config_selectorIllN6thrust23THRUST_200600_302600_NS4plusIlEEEEZZNS1_33reduce_by_key_impl_wrapped_configILNS1_25lookback_scan_determinismE0ES3_S9_NS6_18transform_iteratorI6div_opNS6_17counting_iteratorIlNS6_11use_defaultESF_SF_EESF_SF_EENSC_I6mod_opSG_SF_SF_EENS6_6detail15normal_iteratorINS6_10device_ptrIlEEEESO_PmS8_NS6_8equal_toIlEEEE10hipError_tPvRmT2_T3_mT4_T5_T6_T7_T8_P12ihipStream_tbENKUlT_T0_E_clISt17integral_constantIbLb1EES19_EEDaS14_S15_EUlS14_E_NS1_11comp_targetILNS1_3genE4ELNS1_11target_archE910ELNS1_3gpuE8ELNS1_3repE0EEENS1_30default_config_static_selectorELNS0_4arch9wavefront6targetE0EEEvT1_,comdat
	.protected	_ZN7rocprim17ROCPRIM_400000_NS6detail17trampoline_kernelINS0_14default_configENS1_29reduce_by_key_config_selectorIllN6thrust23THRUST_200600_302600_NS4plusIlEEEEZZNS1_33reduce_by_key_impl_wrapped_configILNS1_25lookback_scan_determinismE0ES3_S9_NS6_18transform_iteratorI6div_opNS6_17counting_iteratorIlNS6_11use_defaultESF_SF_EESF_SF_EENSC_I6mod_opSG_SF_SF_EENS6_6detail15normal_iteratorINS6_10device_ptrIlEEEESO_PmS8_NS6_8equal_toIlEEEE10hipError_tPvRmT2_T3_mT4_T5_T6_T7_T8_P12ihipStream_tbENKUlT_T0_E_clISt17integral_constantIbLb1EES19_EEDaS14_S15_EUlS14_E_NS1_11comp_targetILNS1_3genE4ELNS1_11target_archE910ELNS1_3gpuE8ELNS1_3repE0EEENS1_30default_config_static_selectorELNS0_4arch9wavefront6targetE0EEEvT1_ ; -- Begin function _ZN7rocprim17ROCPRIM_400000_NS6detail17trampoline_kernelINS0_14default_configENS1_29reduce_by_key_config_selectorIllN6thrust23THRUST_200600_302600_NS4plusIlEEEEZZNS1_33reduce_by_key_impl_wrapped_configILNS1_25lookback_scan_determinismE0ES3_S9_NS6_18transform_iteratorI6div_opNS6_17counting_iteratorIlNS6_11use_defaultESF_SF_EESF_SF_EENSC_I6mod_opSG_SF_SF_EENS6_6detail15normal_iteratorINS6_10device_ptrIlEEEESO_PmS8_NS6_8equal_toIlEEEE10hipError_tPvRmT2_T3_mT4_T5_T6_T7_T8_P12ihipStream_tbENKUlT_T0_E_clISt17integral_constantIbLb1EES19_EEDaS14_S15_EUlS14_E_NS1_11comp_targetILNS1_3genE4ELNS1_11target_archE910ELNS1_3gpuE8ELNS1_3repE0EEENS1_30default_config_static_selectorELNS0_4arch9wavefront6targetE0EEEvT1_
	.globl	_ZN7rocprim17ROCPRIM_400000_NS6detail17trampoline_kernelINS0_14default_configENS1_29reduce_by_key_config_selectorIllN6thrust23THRUST_200600_302600_NS4plusIlEEEEZZNS1_33reduce_by_key_impl_wrapped_configILNS1_25lookback_scan_determinismE0ES3_S9_NS6_18transform_iteratorI6div_opNS6_17counting_iteratorIlNS6_11use_defaultESF_SF_EESF_SF_EENSC_I6mod_opSG_SF_SF_EENS6_6detail15normal_iteratorINS6_10device_ptrIlEEEESO_PmS8_NS6_8equal_toIlEEEE10hipError_tPvRmT2_T3_mT4_T5_T6_T7_T8_P12ihipStream_tbENKUlT_T0_E_clISt17integral_constantIbLb1EES19_EEDaS14_S15_EUlS14_E_NS1_11comp_targetILNS1_3genE4ELNS1_11target_archE910ELNS1_3gpuE8ELNS1_3repE0EEENS1_30default_config_static_selectorELNS0_4arch9wavefront6targetE0EEEvT1_
	.p2align	8
	.type	_ZN7rocprim17ROCPRIM_400000_NS6detail17trampoline_kernelINS0_14default_configENS1_29reduce_by_key_config_selectorIllN6thrust23THRUST_200600_302600_NS4plusIlEEEEZZNS1_33reduce_by_key_impl_wrapped_configILNS1_25lookback_scan_determinismE0ES3_S9_NS6_18transform_iteratorI6div_opNS6_17counting_iteratorIlNS6_11use_defaultESF_SF_EESF_SF_EENSC_I6mod_opSG_SF_SF_EENS6_6detail15normal_iteratorINS6_10device_ptrIlEEEESO_PmS8_NS6_8equal_toIlEEEE10hipError_tPvRmT2_T3_mT4_T5_T6_T7_T8_P12ihipStream_tbENKUlT_T0_E_clISt17integral_constantIbLb1EES19_EEDaS14_S15_EUlS14_E_NS1_11comp_targetILNS1_3genE4ELNS1_11target_archE910ELNS1_3gpuE8ELNS1_3repE0EEENS1_30default_config_static_selectorELNS0_4arch9wavefront6targetE0EEEvT1_,@function
_ZN7rocprim17ROCPRIM_400000_NS6detail17trampoline_kernelINS0_14default_configENS1_29reduce_by_key_config_selectorIllN6thrust23THRUST_200600_302600_NS4plusIlEEEEZZNS1_33reduce_by_key_impl_wrapped_configILNS1_25lookback_scan_determinismE0ES3_S9_NS6_18transform_iteratorI6div_opNS6_17counting_iteratorIlNS6_11use_defaultESF_SF_EESF_SF_EENSC_I6mod_opSG_SF_SF_EENS6_6detail15normal_iteratorINS6_10device_ptrIlEEEESO_PmS8_NS6_8equal_toIlEEEE10hipError_tPvRmT2_T3_mT4_T5_T6_T7_T8_P12ihipStream_tbENKUlT_T0_E_clISt17integral_constantIbLb1EES19_EEDaS14_S15_EUlS14_E_NS1_11comp_targetILNS1_3genE4ELNS1_11target_archE910ELNS1_3gpuE8ELNS1_3repE0EEENS1_30default_config_static_selectorELNS0_4arch9wavefront6targetE0EEEvT1_: ; @_ZN7rocprim17ROCPRIM_400000_NS6detail17trampoline_kernelINS0_14default_configENS1_29reduce_by_key_config_selectorIllN6thrust23THRUST_200600_302600_NS4plusIlEEEEZZNS1_33reduce_by_key_impl_wrapped_configILNS1_25lookback_scan_determinismE0ES3_S9_NS6_18transform_iteratorI6div_opNS6_17counting_iteratorIlNS6_11use_defaultESF_SF_EESF_SF_EENSC_I6mod_opSG_SF_SF_EENS6_6detail15normal_iteratorINS6_10device_ptrIlEEEESO_PmS8_NS6_8equal_toIlEEEE10hipError_tPvRmT2_T3_mT4_T5_T6_T7_T8_P12ihipStream_tbENKUlT_T0_E_clISt17integral_constantIbLb1EES19_EEDaS14_S15_EUlS14_E_NS1_11comp_targetILNS1_3genE4ELNS1_11target_archE910ELNS1_3gpuE8ELNS1_3repE0EEENS1_30default_config_static_selectorELNS0_4arch9wavefront6targetE0EEEvT1_
; %bb.0:
	.section	.rodata,"a",@progbits
	.p2align	6, 0x0
	.amdhsa_kernel _ZN7rocprim17ROCPRIM_400000_NS6detail17trampoline_kernelINS0_14default_configENS1_29reduce_by_key_config_selectorIllN6thrust23THRUST_200600_302600_NS4plusIlEEEEZZNS1_33reduce_by_key_impl_wrapped_configILNS1_25lookback_scan_determinismE0ES3_S9_NS6_18transform_iteratorI6div_opNS6_17counting_iteratorIlNS6_11use_defaultESF_SF_EESF_SF_EENSC_I6mod_opSG_SF_SF_EENS6_6detail15normal_iteratorINS6_10device_ptrIlEEEESO_PmS8_NS6_8equal_toIlEEEE10hipError_tPvRmT2_T3_mT4_T5_T6_T7_T8_P12ihipStream_tbENKUlT_T0_E_clISt17integral_constantIbLb1EES19_EEDaS14_S15_EUlS14_E_NS1_11comp_targetILNS1_3genE4ELNS1_11target_archE910ELNS1_3gpuE8ELNS1_3repE0EEENS1_30default_config_static_selectorELNS0_4arch9wavefront6targetE0EEEvT1_
		.amdhsa_group_segment_fixed_size 0
		.amdhsa_private_segment_fixed_size 0
		.amdhsa_kernarg_size 152
		.amdhsa_user_sgpr_count 15
		.amdhsa_user_sgpr_dispatch_ptr 0
		.amdhsa_user_sgpr_queue_ptr 0
		.amdhsa_user_sgpr_kernarg_segment_ptr 1
		.amdhsa_user_sgpr_dispatch_id 0
		.amdhsa_user_sgpr_private_segment_size 0
		.amdhsa_wavefront_size32 1
		.amdhsa_uses_dynamic_stack 0
		.amdhsa_enable_private_segment 0
		.amdhsa_system_sgpr_workgroup_id_x 1
		.amdhsa_system_sgpr_workgroup_id_y 0
		.amdhsa_system_sgpr_workgroup_id_z 0
		.amdhsa_system_sgpr_workgroup_info 0
		.amdhsa_system_vgpr_workitem_id 0
		.amdhsa_next_free_vgpr 1
		.amdhsa_next_free_sgpr 1
		.amdhsa_reserve_vcc 0
		.amdhsa_float_round_mode_32 0
		.amdhsa_float_round_mode_16_64 0
		.amdhsa_float_denorm_mode_32 3
		.amdhsa_float_denorm_mode_16_64 3
		.amdhsa_dx10_clamp 1
		.amdhsa_ieee_mode 1
		.amdhsa_fp16_overflow 0
		.amdhsa_workgroup_processor_mode 1
		.amdhsa_memory_ordered 1
		.amdhsa_forward_progress 0
		.amdhsa_shared_vgpr_count 0
		.amdhsa_exception_fp_ieee_invalid_op 0
		.amdhsa_exception_fp_denorm_src 0
		.amdhsa_exception_fp_ieee_div_zero 0
		.amdhsa_exception_fp_ieee_overflow 0
		.amdhsa_exception_fp_ieee_underflow 0
		.amdhsa_exception_fp_ieee_inexact 0
		.amdhsa_exception_int_div_zero 0
	.end_amdhsa_kernel
	.section	.text._ZN7rocprim17ROCPRIM_400000_NS6detail17trampoline_kernelINS0_14default_configENS1_29reduce_by_key_config_selectorIllN6thrust23THRUST_200600_302600_NS4plusIlEEEEZZNS1_33reduce_by_key_impl_wrapped_configILNS1_25lookback_scan_determinismE0ES3_S9_NS6_18transform_iteratorI6div_opNS6_17counting_iteratorIlNS6_11use_defaultESF_SF_EESF_SF_EENSC_I6mod_opSG_SF_SF_EENS6_6detail15normal_iteratorINS6_10device_ptrIlEEEESO_PmS8_NS6_8equal_toIlEEEE10hipError_tPvRmT2_T3_mT4_T5_T6_T7_T8_P12ihipStream_tbENKUlT_T0_E_clISt17integral_constantIbLb1EES19_EEDaS14_S15_EUlS14_E_NS1_11comp_targetILNS1_3genE4ELNS1_11target_archE910ELNS1_3gpuE8ELNS1_3repE0EEENS1_30default_config_static_selectorELNS0_4arch9wavefront6targetE0EEEvT1_,"axG",@progbits,_ZN7rocprim17ROCPRIM_400000_NS6detail17trampoline_kernelINS0_14default_configENS1_29reduce_by_key_config_selectorIllN6thrust23THRUST_200600_302600_NS4plusIlEEEEZZNS1_33reduce_by_key_impl_wrapped_configILNS1_25lookback_scan_determinismE0ES3_S9_NS6_18transform_iteratorI6div_opNS6_17counting_iteratorIlNS6_11use_defaultESF_SF_EESF_SF_EENSC_I6mod_opSG_SF_SF_EENS6_6detail15normal_iteratorINS6_10device_ptrIlEEEESO_PmS8_NS6_8equal_toIlEEEE10hipError_tPvRmT2_T3_mT4_T5_T6_T7_T8_P12ihipStream_tbENKUlT_T0_E_clISt17integral_constantIbLb1EES19_EEDaS14_S15_EUlS14_E_NS1_11comp_targetILNS1_3genE4ELNS1_11target_archE910ELNS1_3gpuE8ELNS1_3repE0EEENS1_30default_config_static_selectorELNS0_4arch9wavefront6targetE0EEEvT1_,comdat
.Lfunc_end1144:
	.size	_ZN7rocprim17ROCPRIM_400000_NS6detail17trampoline_kernelINS0_14default_configENS1_29reduce_by_key_config_selectorIllN6thrust23THRUST_200600_302600_NS4plusIlEEEEZZNS1_33reduce_by_key_impl_wrapped_configILNS1_25lookback_scan_determinismE0ES3_S9_NS6_18transform_iteratorI6div_opNS6_17counting_iteratorIlNS6_11use_defaultESF_SF_EESF_SF_EENSC_I6mod_opSG_SF_SF_EENS6_6detail15normal_iteratorINS6_10device_ptrIlEEEESO_PmS8_NS6_8equal_toIlEEEE10hipError_tPvRmT2_T3_mT4_T5_T6_T7_T8_P12ihipStream_tbENKUlT_T0_E_clISt17integral_constantIbLb1EES19_EEDaS14_S15_EUlS14_E_NS1_11comp_targetILNS1_3genE4ELNS1_11target_archE910ELNS1_3gpuE8ELNS1_3repE0EEENS1_30default_config_static_selectorELNS0_4arch9wavefront6targetE0EEEvT1_, .Lfunc_end1144-_ZN7rocprim17ROCPRIM_400000_NS6detail17trampoline_kernelINS0_14default_configENS1_29reduce_by_key_config_selectorIllN6thrust23THRUST_200600_302600_NS4plusIlEEEEZZNS1_33reduce_by_key_impl_wrapped_configILNS1_25lookback_scan_determinismE0ES3_S9_NS6_18transform_iteratorI6div_opNS6_17counting_iteratorIlNS6_11use_defaultESF_SF_EESF_SF_EENSC_I6mod_opSG_SF_SF_EENS6_6detail15normal_iteratorINS6_10device_ptrIlEEEESO_PmS8_NS6_8equal_toIlEEEE10hipError_tPvRmT2_T3_mT4_T5_T6_T7_T8_P12ihipStream_tbENKUlT_T0_E_clISt17integral_constantIbLb1EES19_EEDaS14_S15_EUlS14_E_NS1_11comp_targetILNS1_3genE4ELNS1_11target_archE910ELNS1_3gpuE8ELNS1_3repE0EEENS1_30default_config_static_selectorELNS0_4arch9wavefront6targetE0EEEvT1_
                                        ; -- End function
	.section	.AMDGPU.csdata,"",@progbits
; Kernel info:
; codeLenInByte = 0
; NumSgprs: 0
; NumVgprs: 0
; ScratchSize: 0
; MemoryBound: 0
; FloatMode: 240
; IeeeMode: 1
; LDSByteSize: 0 bytes/workgroup (compile time only)
; SGPRBlocks: 0
; VGPRBlocks: 0
; NumSGPRsForWavesPerEU: 1
; NumVGPRsForWavesPerEU: 1
; Occupancy: 16
; WaveLimiterHint : 0
; COMPUTE_PGM_RSRC2:SCRATCH_EN: 0
; COMPUTE_PGM_RSRC2:USER_SGPR: 15
; COMPUTE_PGM_RSRC2:TRAP_HANDLER: 0
; COMPUTE_PGM_RSRC2:TGID_X_EN: 1
; COMPUTE_PGM_RSRC2:TGID_Y_EN: 0
; COMPUTE_PGM_RSRC2:TGID_Z_EN: 0
; COMPUTE_PGM_RSRC2:TIDIG_COMP_CNT: 0
	.section	.text._ZN7rocprim17ROCPRIM_400000_NS6detail17trampoline_kernelINS0_14default_configENS1_29reduce_by_key_config_selectorIllN6thrust23THRUST_200600_302600_NS4plusIlEEEEZZNS1_33reduce_by_key_impl_wrapped_configILNS1_25lookback_scan_determinismE0ES3_S9_NS6_18transform_iteratorI6div_opNS6_17counting_iteratorIlNS6_11use_defaultESF_SF_EESF_SF_EENSC_I6mod_opSG_SF_SF_EENS6_6detail15normal_iteratorINS6_10device_ptrIlEEEESO_PmS8_NS6_8equal_toIlEEEE10hipError_tPvRmT2_T3_mT4_T5_T6_T7_T8_P12ihipStream_tbENKUlT_T0_E_clISt17integral_constantIbLb1EES19_EEDaS14_S15_EUlS14_E_NS1_11comp_targetILNS1_3genE3ELNS1_11target_archE908ELNS1_3gpuE7ELNS1_3repE0EEENS1_30default_config_static_selectorELNS0_4arch9wavefront6targetE0EEEvT1_,"axG",@progbits,_ZN7rocprim17ROCPRIM_400000_NS6detail17trampoline_kernelINS0_14default_configENS1_29reduce_by_key_config_selectorIllN6thrust23THRUST_200600_302600_NS4plusIlEEEEZZNS1_33reduce_by_key_impl_wrapped_configILNS1_25lookback_scan_determinismE0ES3_S9_NS6_18transform_iteratorI6div_opNS6_17counting_iteratorIlNS6_11use_defaultESF_SF_EESF_SF_EENSC_I6mod_opSG_SF_SF_EENS6_6detail15normal_iteratorINS6_10device_ptrIlEEEESO_PmS8_NS6_8equal_toIlEEEE10hipError_tPvRmT2_T3_mT4_T5_T6_T7_T8_P12ihipStream_tbENKUlT_T0_E_clISt17integral_constantIbLb1EES19_EEDaS14_S15_EUlS14_E_NS1_11comp_targetILNS1_3genE3ELNS1_11target_archE908ELNS1_3gpuE7ELNS1_3repE0EEENS1_30default_config_static_selectorELNS0_4arch9wavefront6targetE0EEEvT1_,comdat
	.protected	_ZN7rocprim17ROCPRIM_400000_NS6detail17trampoline_kernelINS0_14default_configENS1_29reduce_by_key_config_selectorIllN6thrust23THRUST_200600_302600_NS4plusIlEEEEZZNS1_33reduce_by_key_impl_wrapped_configILNS1_25lookback_scan_determinismE0ES3_S9_NS6_18transform_iteratorI6div_opNS6_17counting_iteratorIlNS6_11use_defaultESF_SF_EESF_SF_EENSC_I6mod_opSG_SF_SF_EENS6_6detail15normal_iteratorINS6_10device_ptrIlEEEESO_PmS8_NS6_8equal_toIlEEEE10hipError_tPvRmT2_T3_mT4_T5_T6_T7_T8_P12ihipStream_tbENKUlT_T0_E_clISt17integral_constantIbLb1EES19_EEDaS14_S15_EUlS14_E_NS1_11comp_targetILNS1_3genE3ELNS1_11target_archE908ELNS1_3gpuE7ELNS1_3repE0EEENS1_30default_config_static_selectorELNS0_4arch9wavefront6targetE0EEEvT1_ ; -- Begin function _ZN7rocprim17ROCPRIM_400000_NS6detail17trampoline_kernelINS0_14default_configENS1_29reduce_by_key_config_selectorIllN6thrust23THRUST_200600_302600_NS4plusIlEEEEZZNS1_33reduce_by_key_impl_wrapped_configILNS1_25lookback_scan_determinismE0ES3_S9_NS6_18transform_iteratorI6div_opNS6_17counting_iteratorIlNS6_11use_defaultESF_SF_EESF_SF_EENSC_I6mod_opSG_SF_SF_EENS6_6detail15normal_iteratorINS6_10device_ptrIlEEEESO_PmS8_NS6_8equal_toIlEEEE10hipError_tPvRmT2_T3_mT4_T5_T6_T7_T8_P12ihipStream_tbENKUlT_T0_E_clISt17integral_constantIbLb1EES19_EEDaS14_S15_EUlS14_E_NS1_11comp_targetILNS1_3genE3ELNS1_11target_archE908ELNS1_3gpuE7ELNS1_3repE0EEENS1_30default_config_static_selectorELNS0_4arch9wavefront6targetE0EEEvT1_
	.globl	_ZN7rocprim17ROCPRIM_400000_NS6detail17trampoline_kernelINS0_14default_configENS1_29reduce_by_key_config_selectorIllN6thrust23THRUST_200600_302600_NS4plusIlEEEEZZNS1_33reduce_by_key_impl_wrapped_configILNS1_25lookback_scan_determinismE0ES3_S9_NS6_18transform_iteratorI6div_opNS6_17counting_iteratorIlNS6_11use_defaultESF_SF_EESF_SF_EENSC_I6mod_opSG_SF_SF_EENS6_6detail15normal_iteratorINS6_10device_ptrIlEEEESO_PmS8_NS6_8equal_toIlEEEE10hipError_tPvRmT2_T3_mT4_T5_T6_T7_T8_P12ihipStream_tbENKUlT_T0_E_clISt17integral_constantIbLb1EES19_EEDaS14_S15_EUlS14_E_NS1_11comp_targetILNS1_3genE3ELNS1_11target_archE908ELNS1_3gpuE7ELNS1_3repE0EEENS1_30default_config_static_selectorELNS0_4arch9wavefront6targetE0EEEvT1_
	.p2align	8
	.type	_ZN7rocprim17ROCPRIM_400000_NS6detail17trampoline_kernelINS0_14default_configENS1_29reduce_by_key_config_selectorIllN6thrust23THRUST_200600_302600_NS4plusIlEEEEZZNS1_33reduce_by_key_impl_wrapped_configILNS1_25lookback_scan_determinismE0ES3_S9_NS6_18transform_iteratorI6div_opNS6_17counting_iteratorIlNS6_11use_defaultESF_SF_EESF_SF_EENSC_I6mod_opSG_SF_SF_EENS6_6detail15normal_iteratorINS6_10device_ptrIlEEEESO_PmS8_NS6_8equal_toIlEEEE10hipError_tPvRmT2_T3_mT4_T5_T6_T7_T8_P12ihipStream_tbENKUlT_T0_E_clISt17integral_constantIbLb1EES19_EEDaS14_S15_EUlS14_E_NS1_11comp_targetILNS1_3genE3ELNS1_11target_archE908ELNS1_3gpuE7ELNS1_3repE0EEENS1_30default_config_static_selectorELNS0_4arch9wavefront6targetE0EEEvT1_,@function
_ZN7rocprim17ROCPRIM_400000_NS6detail17trampoline_kernelINS0_14default_configENS1_29reduce_by_key_config_selectorIllN6thrust23THRUST_200600_302600_NS4plusIlEEEEZZNS1_33reduce_by_key_impl_wrapped_configILNS1_25lookback_scan_determinismE0ES3_S9_NS6_18transform_iteratorI6div_opNS6_17counting_iteratorIlNS6_11use_defaultESF_SF_EESF_SF_EENSC_I6mod_opSG_SF_SF_EENS6_6detail15normal_iteratorINS6_10device_ptrIlEEEESO_PmS8_NS6_8equal_toIlEEEE10hipError_tPvRmT2_T3_mT4_T5_T6_T7_T8_P12ihipStream_tbENKUlT_T0_E_clISt17integral_constantIbLb1EES19_EEDaS14_S15_EUlS14_E_NS1_11comp_targetILNS1_3genE3ELNS1_11target_archE908ELNS1_3gpuE7ELNS1_3repE0EEENS1_30default_config_static_selectorELNS0_4arch9wavefront6targetE0EEEvT1_: ; @_ZN7rocprim17ROCPRIM_400000_NS6detail17trampoline_kernelINS0_14default_configENS1_29reduce_by_key_config_selectorIllN6thrust23THRUST_200600_302600_NS4plusIlEEEEZZNS1_33reduce_by_key_impl_wrapped_configILNS1_25lookback_scan_determinismE0ES3_S9_NS6_18transform_iteratorI6div_opNS6_17counting_iteratorIlNS6_11use_defaultESF_SF_EESF_SF_EENSC_I6mod_opSG_SF_SF_EENS6_6detail15normal_iteratorINS6_10device_ptrIlEEEESO_PmS8_NS6_8equal_toIlEEEE10hipError_tPvRmT2_T3_mT4_T5_T6_T7_T8_P12ihipStream_tbENKUlT_T0_E_clISt17integral_constantIbLb1EES19_EEDaS14_S15_EUlS14_E_NS1_11comp_targetILNS1_3genE3ELNS1_11target_archE908ELNS1_3gpuE7ELNS1_3repE0EEENS1_30default_config_static_selectorELNS0_4arch9wavefront6targetE0EEEvT1_
; %bb.0:
	.section	.rodata,"a",@progbits
	.p2align	6, 0x0
	.amdhsa_kernel _ZN7rocprim17ROCPRIM_400000_NS6detail17trampoline_kernelINS0_14default_configENS1_29reduce_by_key_config_selectorIllN6thrust23THRUST_200600_302600_NS4plusIlEEEEZZNS1_33reduce_by_key_impl_wrapped_configILNS1_25lookback_scan_determinismE0ES3_S9_NS6_18transform_iteratorI6div_opNS6_17counting_iteratorIlNS6_11use_defaultESF_SF_EESF_SF_EENSC_I6mod_opSG_SF_SF_EENS6_6detail15normal_iteratorINS6_10device_ptrIlEEEESO_PmS8_NS6_8equal_toIlEEEE10hipError_tPvRmT2_T3_mT4_T5_T6_T7_T8_P12ihipStream_tbENKUlT_T0_E_clISt17integral_constantIbLb1EES19_EEDaS14_S15_EUlS14_E_NS1_11comp_targetILNS1_3genE3ELNS1_11target_archE908ELNS1_3gpuE7ELNS1_3repE0EEENS1_30default_config_static_selectorELNS0_4arch9wavefront6targetE0EEEvT1_
		.amdhsa_group_segment_fixed_size 0
		.amdhsa_private_segment_fixed_size 0
		.amdhsa_kernarg_size 152
		.amdhsa_user_sgpr_count 15
		.amdhsa_user_sgpr_dispatch_ptr 0
		.amdhsa_user_sgpr_queue_ptr 0
		.amdhsa_user_sgpr_kernarg_segment_ptr 1
		.amdhsa_user_sgpr_dispatch_id 0
		.amdhsa_user_sgpr_private_segment_size 0
		.amdhsa_wavefront_size32 1
		.amdhsa_uses_dynamic_stack 0
		.amdhsa_enable_private_segment 0
		.amdhsa_system_sgpr_workgroup_id_x 1
		.amdhsa_system_sgpr_workgroup_id_y 0
		.amdhsa_system_sgpr_workgroup_id_z 0
		.amdhsa_system_sgpr_workgroup_info 0
		.amdhsa_system_vgpr_workitem_id 0
		.amdhsa_next_free_vgpr 1
		.amdhsa_next_free_sgpr 1
		.amdhsa_reserve_vcc 0
		.amdhsa_float_round_mode_32 0
		.amdhsa_float_round_mode_16_64 0
		.amdhsa_float_denorm_mode_32 3
		.amdhsa_float_denorm_mode_16_64 3
		.amdhsa_dx10_clamp 1
		.amdhsa_ieee_mode 1
		.amdhsa_fp16_overflow 0
		.amdhsa_workgroup_processor_mode 1
		.amdhsa_memory_ordered 1
		.amdhsa_forward_progress 0
		.amdhsa_shared_vgpr_count 0
		.amdhsa_exception_fp_ieee_invalid_op 0
		.amdhsa_exception_fp_denorm_src 0
		.amdhsa_exception_fp_ieee_div_zero 0
		.amdhsa_exception_fp_ieee_overflow 0
		.amdhsa_exception_fp_ieee_underflow 0
		.amdhsa_exception_fp_ieee_inexact 0
		.amdhsa_exception_int_div_zero 0
	.end_amdhsa_kernel
	.section	.text._ZN7rocprim17ROCPRIM_400000_NS6detail17trampoline_kernelINS0_14default_configENS1_29reduce_by_key_config_selectorIllN6thrust23THRUST_200600_302600_NS4plusIlEEEEZZNS1_33reduce_by_key_impl_wrapped_configILNS1_25lookback_scan_determinismE0ES3_S9_NS6_18transform_iteratorI6div_opNS6_17counting_iteratorIlNS6_11use_defaultESF_SF_EESF_SF_EENSC_I6mod_opSG_SF_SF_EENS6_6detail15normal_iteratorINS6_10device_ptrIlEEEESO_PmS8_NS6_8equal_toIlEEEE10hipError_tPvRmT2_T3_mT4_T5_T6_T7_T8_P12ihipStream_tbENKUlT_T0_E_clISt17integral_constantIbLb1EES19_EEDaS14_S15_EUlS14_E_NS1_11comp_targetILNS1_3genE3ELNS1_11target_archE908ELNS1_3gpuE7ELNS1_3repE0EEENS1_30default_config_static_selectorELNS0_4arch9wavefront6targetE0EEEvT1_,"axG",@progbits,_ZN7rocprim17ROCPRIM_400000_NS6detail17trampoline_kernelINS0_14default_configENS1_29reduce_by_key_config_selectorIllN6thrust23THRUST_200600_302600_NS4plusIlEEEEZZNS1_33reduce_by_key_impl_wrapped_configILNS1_25lookback_scan_determinismE0ES3_S9_NS6_18transform_iteratorI6div_opNS6_17counting_iteratorIlNS6_11use_defaultESF_SF_EESF_SF_EENSC_I6mod_opSG_SF_SF_EENS6_6detail15normal_iteratorINS6_10device_ptrIlEEEESO_PmS8_NS6_8equal_toIlEEEE10hipError_tPvRmT2_T3_mT4_T5_T6_T7_T8_P12ihipStream_tbENKUlT_T0_E_clISt17integral_constantIbLb1EES19_EEDaS14_S15_EUlS14_E_NS1_11comp_targetILNS1_3genE3ELNS1_11target_archE908ELNS1_3gpuE7ELNS1_3repE0EEENS1_30default_config_static_selectorELNS0_4arch9wavefront6targetE0EEEvT1_,comdat
.Lfunc_end1145:
	.size	_ZN7rocprim17ROCPRIM_400000_NS6detail17trampoline_kernelINS0_14default_configENS1_29reduce_by_key_config_selectorIllN6thrust23THRUST_200600_302600_NS4plusIlEEEEZZNS1_33reduce_by_key_impl_wrapped_configILNS1_25lookback_scan_determinismE0ES3_S9_NS6_18transform_iteratorI6div_opNS6_17counting_iteratorIlNS6_11use_defaultESF_SF_EESF_SF_EENSC_I6mod_opSG_SF_SF_EENS6_6detail15normal_iteratorINS6_10device_ptrIlEEEESO_PmS8_NS6_8equal_toIlEEEE10hipError_tPvRmT2_T3_mT4_T5_T6_T7_T8_P12ihipStream_tbENKUlT_T0_E_clISt17integral_constantIbLb1EES19_EEDaS14_S15_EUlS14_E_NS1_11comp_targetILNS1_3genE3ELNS1_11target_archE908ELNS1_3gpuE7ELNS1_3repE0EEENS1_30default_config_static_selectorELNS0_4arch9wavefront6targetE0EEEvT1_, .Lfunc_end1145-_ZN7rocprim17ROCPRIM_400000_NS6detail17trampoline_kernelINS0_14default_configENS1_29reduce_by_key_config_selectorIllN6thrust23THRUST_200600_302600_NS4plusIlEEEEZZNS1_33reduce_by_key_impl_wrapped_configILNS1_25lookback_scan_determinismE0ES3_S9_NS6_18transform_iteratorI6div_opNS6_17counting_iteratorIlNS6_11use_defaultESF_SF_EESF_SF_EENSC_I6mod_opSG_SF_SF_EENS6_6detail15normal_iteratorINS6_10device_ptrIlEEEESO_PmS8_NS6_8equal_toIlEEEE10hipError_tPvRmT2_T3_mT4_T5_T6_T7_T8_P12ihipStream_tbENKUlT_T0_E_clISt17integral_constantIbLb1EES19_EEDaS14_S15_EUlS14_E_NS1_11comp_targetILNS1_3genE3ELNS1_11target_archE908ELNS1_3gpuE7ELNS1_3repE0EEENS1_30default_config_static_selectorELNS0_4arch9wavefront6targetE0EEEvT1_
                                        ; -- End function
	.section	.AMDGPU.csdata,"",@progbits
; Kernel info:
; codeLenInByte = 0
; NumSgprs: 0
; NumVgprs: 0
; ScratchSize: 0
; MemoryBound: 0
; FloatMode: 240
; IeeeMode: 1
; LDSByteSize: 0 bytes/workgroup (compile time only)
; SGPRBlocks: 0
; VGPRBlocks: 0
; NumSGPRsForWavesPerEU: 1
; NumVGPRsForWavesPerEU: 1
; Occupancy: 16
; WaveLimiterHint : 0
; COMPUTE_PGM_RSRC2:SCRATCH_EN: 0
; COMPUTE_PGM_RSRC2:USER_SGPR: 15
; COMPUTE_PGM_RSRC2:TRAP_HANDLER: 0
; COMPUTE_PGM_RSRC2:TGID_X_EN: 1
; COMPUTE_PGM_RSRC2:TGID_Y_EN: 0
; COMPUTE_PGM_RSRC2:TGID_Z_EN: 0
; COMPUTE_PGM_RSRC2:TIDIG_COMP_CNT: 0
	.section	.text._ZN7rocprim17ROCPRIM_400000_NS6detail17trampoline_kernelINS0_14default_configENS1_29reduce_by_key_config_selectorIllN6thrust23THRUST_200600_302600_NS4plusIlEEEEZZNS1_33reduce_by_key_impl_wrapped_configILNS1_25lookback_scan_determinismE0ES3_S9_NS6_18transform_iteratorI6div_opNS6_17counting_iteratorIlNS6_11use_defaultESF_SF_EESF_SF_EENSC_I6mod_opSG_SF_SF_EENS6_6detail15normal_iteratorINS6_10device_ptrIlEEEESO_PmS8_NS6_8equal_toIlEEEE10hipError_tPvRmT2_T3_mT4_T5_T6_T7_T8_P12ihipStream_tbENKUlT_T0_E_clISt17integral_constantIbLb1EES19_EEDaS14_S15_EUlS14_E_NS1_11comp_targetILNS1_3genE2ELNS1_11target_archE906ELNS1_3gpuE6ELNS1_3repE0EEENS1_30default_config_static_selectorELNS0_4arch9wavefront6targetE0EEEvT1_,"axG",@progbits,_ZN7rocprim17ROCPRIM_400000_NS6detail17trampoline_kernelINS0_14default_configENS1_29reduce_by_key_config_selectorIllN6thrust23THRUST_200600_302600_NS4plusIlEEEEZZNS1_33reduce_by_key_impl_wrapped_configILNS1_25lookback_scan_determinismE0ES3_S9_NS6_18transform_iteratorI6div_opNS6_17counting_iteratorIlNS6_11use_defaultESF_SF_EESF_SF_EENSC_I6mod_opSG_SF_SF_EENS6_6detail15normal_iteratorINS6_10device_ptrIlEEEESO_PmS8_NS6_8equal_toIlEEEE10hipError_tPvRmT2_T3_mT4_T5_T6_T7_T8_P12ihipStream_tbENKUlT_T0_E_clISt17integral_constantIbLb1EES19_EEDaS14_S15_EUlS14_E_NS1_11comp_targetILNS1_3genE2ELNS1_11target_archE906ELNS1_3gpuE6ELNS1_3repE0EEENS1_30default_config_static_selectorELNS0_4arch9wavefront6targetE0EEEvT1_,comdat
	.protected	_ZN7rocprim17ROCPRIM_400000_NS6detail17trampoline_kernelINS0_14default_configENS1_29reduce_by_key_config_selectorIllN6thrust23THRUST_200600_302600_NS4plusIlEEEEZZNS1_33reduce_by_key_impl_wrapped_configILNS1_25lookback_scan_determinismE0ES3_S9_NS6_18transform_iteratorI6div_opNS6_17counting_iteratorIlNS6_11use_defaultESF_SF_EESF_SF_EENSC_I6mod_opSG_SF_SF_EENS6_6detail15normal_iteratorINS6_10device_ptrIlEEEESO_PmS8_NS6_8equal_toIlEEEE10hipError_tPvRmT2_T3_mT4_T5_T6_T7_T8_P12ihipStream_tbENKUlT_T0_E_clISt17integral_constantIbLb1EES19_EEDaS14_S15_EUlS14_E_NS1_11comp_targetILNS1_3genE2ELNS1_11target_archE906ELNS1_3gpuE6ELNS1_3repE0EEENS1_30default_config_static_selectorELNS0_4arch9wavefront6targetE0EEEvT1_ ; -- Begin function _ZN7rocprim17ROCPRIM_400000_NS6detail17trampoline_kernelINS0_14default_configENS1_29reduce_by_key_config_selectorIllN6thrust23THRUST_200600_302600_NS4plusIlEEEEZZNS1_33reduce_by_key_impl_wrapped_configILNS1_25lookback_scan_determinismE0ES3_S9_NS6_18transform_iteratorI6div_opNS6_17counting_iteratorIlNS6_11use_defaultESF_SF_EESF_SF_EENSC_I6mod_opSG_SF_SF_EENS6_6detail15normal_iteratorINS6_10device_ptrIlEEEESO_PmS8_NS6_8equal_toIlEEEE10hipError_tPvRmT2_T3_mT4_T5_T6_T7_T8_P12ihipStream_tbENKUlT_T0_E_clISt17integral_constantIbLb1EES19_EEDaS14_S15_EUlS14_E_NS1_11comp_targetILNS1_3genE2ELNS1_11target_archE906ELNS1_3gpuE6ELNS1_3repE0EEENS1_30default_config_static_selectorELNS0_4arch9wavefront6targetE0EEEvT1_
	.globl	_ZN7rocprim17ROCPRIM_400000_NS6detail17trampoline_kernelINS0_14default_configENS1_29reduce_by_key_config_selectorIllN6thrust23THRUST_200600_302600_NS4plusIlEEEEZZNS1_33reduce_by_key_impl_wrapped_configILNS1_25lookback_scan_determinismE0ES3_S9_NS6_18transform_iteratorI6div_opNS6_17counting_iteratorIlNS6_11use_defaultESF_SF_EESF_SF_EENSC_I6mod_opSG_SF_SF_EENS6_6detail15normal_iteratorINS6_10device_ptrIlEEEESO_PmS8_NS6_8equal_toIlEEEE10hipError_tPvRmT2_T3_mT4_T5_T6_T7_T8_P12ihipStream_tbENKUlT_T0_E_clISt17integral_constantIbLb1EES19_EEDaS14_S15_EUlS14_E_NS1_11comp_targetILNS1_3genE2ELNS1_11target_archE906ELNS1_3gpuE6ELNS1_3repE0EEENS1_30default_config_static_selectorELNS0_4arch9wavefront6targetE0EEEvT1_
	.p2align	8
	.type	_ZN7rocprim17ROCPRIM_400000_NS6detail17trampoline_kernelINS0_14default_configENS1_29reduce_by_key_config_selectorIllN6thrust23THRUST_200600_302600_NS4plusIlEEEEZZNS1_33reduce_by_key_impl_wrapped_configILNS1_25lookback_scan_determinismE0ES3_S9_NS6_18transform_iteratorI6div_opNS6_17counting_iteratorIlNS6_11use_defaultESF_SF_EESF_SF_EENSC_I6mod_opSG_SF_SF_EENS6_6detail15normal_iteratorINS6_10device_ptrIlEEEESO_PmS8_NS6_8equal_toIlEEEE10hipError_tPvRmT2_T3_mT4_T5_T6_T7_T8_P12ihipStream_tbENKUlT_T0_E_clISt17integral_constantIbLb1EES19_EEDaS14_S15_EUlS14_E_NS1_11comp_targetILNS1_3genE2ELNS1_11target_archE906ELNS1_3gpuE6ELNS1_3repE0EEENS1_30default_config_static_selectorELNS0_4arch9wavefront6targetE0EEEvT1_,@function
_ZN7rocprim17ROCPRIM_400000_NS6detail17trampoline_kernelINS0_14default_configENS1_29reduce_by_key_config_selectorIllN6thrust23THRUST_200600_302600_NS4plusIlEEEEZZNS1_33reduce_by_key_impl_wrapped_configILNS1_25lookback_scan_determinismE0ES3_S9_NS6_18transform_iteratorI6div_opNS6_17counting_iteratorIlNS6_11use_defaultESF_SF_EESF_SF_EENSC_I6mod_opSG_SF_SF_EENS6_6detail15normal_iteratorINS6_10device_ptrIlEEEESO_PmS8_NS6_8equal_toIlEEEE10hipError_tPvRmT2_T3_mT4_T5_T6_T7_T8_P12ihipStream_tbENKUlT_T0_E_clISt17integral_constantIbLb1EES19_EEDaS14_S15_EUlS14_E_NS1_11comp_targetILNS1_3genE2ELNS1_11target_archE906ELNS1_3gpuE6ELNS1_3repE0EEENS1_30default_config_static_selectorELNS0_4arch9wavefront6targetE0EEEvT1_: ; @_ZN7rocprim17ROCPRIM_400000_NS6detail17trampoline_kernelINS0_14default_configENS1_29reduce_by_key_config_selectorIllN6thrust23THRUST_200600_302600_NS4plusIlEEEEZZNS1_33reduce_by_key_impl_wrapped_configILNS1_25lookback_scan_determinismE0ES3_S9_NS6_18transform_iteratorI6div_opNS6_17counting_iteratorIlNS6_11use_defaultESF_SF_EESF_SF_EENSC_I6mod_opSG_SF_SF_EENS6_6detail15normal_iteratorINS6_10device_ptrIlEEEESO_PmS8_NS6_8equal_toIlEEEE10hipError_tPvRmT2_T3_mT4_T5_T6_T7_T8_P12ihipStream_tbENKUlT_T0_E_clISt17integral_constantIbLb1EES19_EEDaS14_S15_EUlS14_E_NS1_11comp_targetILNS1_3genE2ELNS1_11target_archE906ELNS1_3gpuE6ELNS1_3repE0EEENS1_30default_config_static_selectorELNS0_4arch9wavefront6targetE0EEEvT1_
; %bb.0:
	.section	.rodata,"a",@progbits
	.p2align	6, 0x0
	.amdhsa_kernel _ZN7rocprim17ROCPRIM_400000_NS6detail17trampoline_kernelINS0_14default_configENS1_29reduce_by_key_config_selectorIllN6thrust23THRUST_200600_302600_NS4plusIlEEEEZZNS1_33reduce_by_key_impl_wrapped_configILNS1_25lookback_scan_determinismE0ES3_S9_NS6_18transform_iteratorI6div_opNS6_17counting_iteratorIlNS6_11use_defaultESF_SF_EESF_SF_EENSC_I6mod_opSG_SF_SF_EENS6_6detail15normal_iteratorINS6_10device_ptrIlEEEESO_PmS8_NS6_8equal_toIlEEEE10hipError_tPvRmT2_T3_mT4_T5_T6_T7_T8_P12ihipStream_tbENKUlT_T0_E_clISt17integral_constantIbLb1EES19_EEDaS14_S15_EUlS14_E_NS1_11comp_targetILNS1_3genE2ELNS1_11target_archE906ELNS1_3gpuE6ELNS1_3repE0EEENS1_30default_config_static_selectorELNS0_4arch9wavefront6targetE0EEEvT1_
		.amdhsa_group_segment_fixed_size 0
		.amdhsa_private_segment_fixed_size 0
		.amdhsa_kernarg_size 152
		.amdhsa_user_sgpr_count 15
		.amdhsa_user_sgpr_dispatch_ptr 0
		.amdhsa_user_sgpr_queue_ptr 0
		.amdhsa_user_sgpr_kernarg_segment_ptr 1
		.amdhsa_user_sgpr_dispatch_id 0
		.amdhsa_user_sgpr_private_segment_size 0
		.amdhsa_wavefront_size32 1
		.amdhsa_uses_dynamic_stack 0
		.amdhsa_enable_private_segment 0
		.amdhsa_system_sgpr_workgroup_id_x 1
		.amdhsa_system_sgpr_workgroup_id_y 0
		.amdhsa_system_sgpr_workgroup_id_z 0
		.amdhsa_system_sgpr_workgroup_info 0
		.amdhsa_system_vgpr_workitem_id 0
		.amdhsa_next_free_vgpr 1
		.amdhsa_next_free_sgpr 1
		.amdhsa_reserve_vcc 0
		.amdhsa_float_round_mode_32 0
		.amdhsa_float_round_mode_16_64 0
		.amdhsa_float_denorm_mode_32 3
		.amdhsa_float_denorm_mode_16_64 3
		.amdhsa_dx10_clamp 1
		.amdhsa_ieee_mode 1
		.amdhsa_fp16_overflow 0
		.amdhsa_workgroup_processor_mode 1
		.amdhsa_memory_ordered 1
		.amdhsa_forward_progress 0
		.amdhsa_shared_vgpr_count 0
		.amdhsa_exception_fp_ieee_invalid_op 0
		.amdhsa_exception_fp_denorm_src 0
		.amdhsa_exception_fp_ieee_div_zero 0
		.amdhsa_exception_fp_ieee_overflow 0
		.amdhsa_exception_fp_ieee_underflow 0
		.amdhsa_exception_fp_ieee_inexact 0
		.amdhsa_exception_int_div_zero 0
	.end_amdhsa_kernel
	.section	.text._ZN7rocprim17ROCPRIM_400000_NS6detail17trampoline_kernelINS0_14default_configENS1_29reduce_by_key_config_selectorIllN6thrust23THRUST_200600_302600_NS4plusIlEEEEZZNS1_33reduce_by_key_impl_wrapped_configILNS1_25lookback_scan_determinismE0ES3_S9_NS6_18transform_iteratorI6div_opNS6_17counting_iteratorIlNS6_11use_defaultESF_SF_EESF_SF_EENSC_I6mod_opSG_SF_SF_EENS6_6detail15normal_iteratorINS6_10device_ptrIlEEEESO_PmS8_NS6_8equal_toIlEEEE10hipError_tPvRmT2_T3_mT4_T5_T6_T7_T8_P12ihipStream_tbENKUlT_T0_E_clISt17integral_constantIbLb1EES19_EEDaS14_S15_EUlS14_E_NS1_11comp_targetILNS1_3genE2ELNS1_11target_archE906ELNS1_3gpuE6ELNS1_3repE0EEENS1_30default_config_static_selectorELNS0_4arch9wavefront6targetE0EEEvT1_,"axG",@progbits,_ZN7rocprim17ROCPRIM_400000_NS6detail17trampoline_kernelINS0_14default_configENS1_29reduce_by_key_config_selectorIllN6thrust23THRUST_200600_302600_NS4plusIlEEEEZZNS1_33reduce_by_key_impl_wrapped_configILNS1_25lookback_scan_determinismE0ES3_S9_NS6_18transform_iteratorI6div_opNS6_17counting_iteratorIlNS6_11use_defaultESF_SF_EESF_SF_EENSC_I6mod_opSG_SF_SF_EENS6_6detail15normal_iteratorINS6_10device_ptrIlEEEESO_PmS8_NS6_8equal_toIlEEEE10hipError_tPvRmT2_T3_mT4_T5_T6_T7_T8_P12ihipStream_tbENKUlT_T0_E_clISt17integral_constantIbLb1EES19_EEDaS14_S15_EUlS14_E_NS1_11comp_targetILNS1_3genE2ELNS1_11target_archE906ELNS1_3gpuE6ELNS1_3repE0EEENS1_30default_config_static_selectorELNS0_4arch9wavefront6targetE0EEEvT1_,comdat
.Lfunc_end1146:
	.size	_ZN7rocprim17ROCPRIM_400000_NS6detail17trampoline_kernelINS0_14default_configENS1_29reduce_by_key_config_selectorIllN6thrust23THRUST_200600_302600_NS4plusIlEEEEZZNS1_33reduce_by_key_impl_wrapped_configILNS1_25lookback_scan_determinismE0ES3_S9_NS6_18transform_iteratorI6div_opNS6_17counting_iteratorIlNS6_11use_defaultESF_SF_EESF_SF_EENSC_I6mod_opSG_SF_SF_EENS6_6detail15normal_iteratorINS6_10device_ptrIlEEEESO_PmS8_NS6_8equal_toIlEEEE10hipError_tPvRmT2_T3_mT4_T5_T6_T7_T8_P12ihipStream_tbENKUlT_T0_E_clISt17integral_constantIbLb1EES19_EEDaS14_S15_EUlS14_E_NS1_11comp_targetILNS1_3genE2ELNS1_11target_archE906ELNS1_3gpuE6ELNS1_3repE0EEENS1_30default_config_static_selectorELNS0_4arch9wavefront6targetE0EEEvT1_, .Lfunc_end1146-_ZN7rocprim17ROCPRIM_400000_NS6detail17trampoline_kernelINS0_14default_configENS1_29reduce_by_key_config_selectorIllN6thrust23THRUST_200600_302600_NS4plusIlEEEEZZNS1_33reduce_by_key_impl_wrapped_configILNS1_25lookback_scan_determinismE0ES3_S9_NS6_18transform_iteratorI6div_opNS6_17counting_iteratorIlNS6_11use_defaultESF_SF_EESF_SF_EENSC_I6mod_opSG_SF_SF_EENS6_6detail15normal_iteratorINS6_10device_ptrIlEEEESO_PmS8_NS6_8equal_toIlEEEE10hipError_tPvRmT2_T3_mT4_T5_T6_T7_T8_P12ihipStream_tbENKUlT_T0_E_clISt17integral_constantIbLb1EES19_EEDaS14_S15_EUlS14_E_NS1_11comp_targetILNS1_3genE2ELNS1_11target_archE906ELNS1_3gpuE6ELNS1_3repE0EEENS1_30default_config_static_selectorELNS0_4arch9wavefront6targetE0EEEvT1_
                                        ; -- End function
	.section	.AMDGPU.csdata,"",@progbits
; Kernel info:
; codeLenInByte = 0
; NumSgprs: 0
; NumVgprs: 0
; ScratchSize: 0
; MemoryBound: 0
; FloatMode: 240
; IeeeMode: 1
; LDSByteSize: 0 bytes/workgroup (compile time only)
; SGPRBlocks: 0
; VGPRBlocks: 0
; NumSGPRsForWavesPerEU: 1
; NumVGPRsForWavesPerEU: 1
; Occupancy: 16
; WaveLimiterHint : 0
; COMPUTE_PGM_RSRC2:SCRATCH_EN: 0
; COMPUTE_PGM_RSRC2:USER_SGPR: 15
; COMPUTE_PGM_RSRC2:TRAP_HANDLER: 0
; COMPUTE_PGM_RSRC2:TGID_X_EN: 1
; COMPUTE_PGM_RSRC2:TGID_Y_EN: 0
; COMPUTE_PGM_RSRC2:TGID_Z_EN: 0
; COMPUTE_PGM_RSRC2:TIDIG_COMP_CNT: 0
	.section	.text._ZN7rocprim17ROCPRIM_400000_NS6detail17trampoline_kernelINS0_14default_configENS1_29reduce_by_key_config_selectorIllN6thrust23THRUST_200600_302600_NS4plusIlEEEEZZNS1_33reduce_by_key_impl_wrapped_configILNS1_25lookback_scan_determinismE0ES3_S9_NS6_18transform_iteratorI6div_opNS6_17counting_iteratorIlNS6_11use_defaultESF_SF_EESF_SF_EENSC_I6mod_opSG_SF_SF_EENS6_6detail15normal_iteratorINS6_10device_ptrIlEEEESO_PmS8_NS6_8equal_toIlEEEE10hipError_tPvRmT2_T3_mT4_T5_T6_T7_T8_P12ihipStream_tbENKUlT_T0_E_clISt17integral_constantIbLb1EES19_EEDaS14_S15_EUlS14_E_NS1_11comp_targetILNS1_3genE10ELNS1_11target_archE1201ELNS1_3gpuE5ELNS1_3repE0EEENS1_30default_config_static_selectorELNS0_4arch9wavefront6targetE0EEEvT1_,"axG",@progbits,_ZN7rocprim17ROCPRIM_400000_NS6detail17trampoline_kernelINS0_14default_configENS1_29reduce_by_key_config_selectorIllN6thrust23THRUST_200600_302600_NS4plusIlEEEEZZNS1_33reduce_by_key_impl_wrapped_configILNS1_25lookback_scan_determinismE0ES3_S9_NS6_18transform_iteratorI6div_opNS6_17counting_iteratorIlNS6_11use_defaultESF_SF_EESF_SF_EENSC_I6mod_opSG_SF_SF_EENS6_6detail15normal_iteratorINS6_10device_ptrIlEEEESO_PmS8_NS6_8equal_toIlEEEE10hipError_tPvRmT2_T3_mT4_T5_T6_T7_T8_P12ihipStream_tbENKUlT_T0_E_clISt17integral_constantIbLb1EES19_EEDaS14_S15_EUlS14_E_NS1_11comp_targetILNS1_3genE10ELNS1_11target_archE1201ELNS1_3gpuE5ELNS1_3repE0EEENS1_30default_config_static_selectorELNS0_4arch9wavefront6targetE0EEEvT1_,comdat
	.protected	_ZN7rocprim17ROCPRIM_400000_NS6detail17trampoline_kernelINS0_14default_configENS1_29reduce_by_key_config_selectorIllN6thrust23THRUST_200600_302600_NS4plusIlEEEEZZNS1_33reduce_by_key_impl_wrapped_configILNS1_25lookback_scan_determinismE0ES3_S9_NS6_18transform_iteratorI6div_opNS6_17counting_iteratorIlNS6_11use_defaultESF_SF_EESF_SF_EENSC_I6mod_opSG_SF_SF_EENS6_6detail15normal_iteratorINS6_10device_ptrIlEEEESO_PmS8_NS6_8equal_toIlEEEE10hipError_tPvRmT2_T3_mT4_T5_T6_T7_T8_P12ihipStream_tbENKUlT_T0_E_clISt17integral_constantIbLb1EES19_EEDaS14_S15_EUlS14_E_NS1_11comp_targetILNS1_3genE10ELNS1_11target_archE1201ELNS1_3gpuE5ELNS1_3repE0EEENS1_30default_config_static_selectorELNS0_4arch9wavefront6targetE0EEEvT1_ ; -- Begin function _ZN7rocprim17ROCPRIM_400000_NS6detail17trampoline_kernelINS0_14default_configENS1_29reduce_by_key_config_selectorIllN6thrust23THRUST_200600_302600_NS4plusIlEEEEZZNS1_33reduce_by_key_impl_wrapped_configILNS1_25lookback_scan_determinismE0ES3_S9_NS6_18transform_iteratorI6div_opNS6_17counting_iteratorIlNS6_11use_defaultESF_SF_EESF_SF_EENSC_I6mod_opSG_SF_SF_EENS6_6detail15normal_iteratorINS6_10device_ptrIlEEEESO_PmS8_NS6_8equal_toIlEEEE10hipError_tPvRmT2_T3_mT4_T5_T6_T7_T8_P12ihipStream_tbENKUlT_T0_E_clISt17integral_constantIbLb1EES19_EEDaS14_S15_EUlS14_E_NS1_11comp_targetILNS1_3genE10ELNS1_11target_archE1201ELNS1_3gpuE5ELNS1_3repE0EEENS1_30default_config_static_selectorELNS0_4arch9wavefront6targetE0EEEvT1_
	.globl	_ZN7rocprim17ROCPRIM_400000_NS6detail17trampoline_kernelINS0_14default_configENS1_29reduce_by_key_config_selectorIllN6thrust23THRUST_200600_302600_NS4plusIlEEEEZZNS1_33reduce_by_key_impl_wrapped_configILNS1_25lookback_scan_determinismE0ES3_S9_NS6_18transform_iteratorI6div_opNS6_17counting_iteratorIlNS6_11use_defaultESF_SF_EESF_SF_EENSC_I6mod_opSG_SF_SF_EENS6_6detail15normal_iteratorINS6_10device_ptrIlEEEESO_PmS8_NS6_8equal_toIlEEEE10hipError_tPvRmT2_T3_mT4_T5_T6_T7_T8_P12ihipStream_tbENKUlT_T0_E_clISt17integral_constantIbLb1EES19_EEDaS14_S15_EUlS14_E_NS1_11comp_targetILNS1_3genE10ELNS1_11target_archE1201ELNS1_3gpuE5ELNS1_3repE0EEENS1_30default_config_static_selectorELNS0_4arch9wavefront6targetE0EEEvT1_
	.p2align	8
	.type	_ZN7rocprim17ROCPRIM_400000_NS6detail17trampoline_kernelINS0_14default_configENS1_29reduce_by_key_config_selectorIllN6thrust23THRUST_200600_302600_NS4plusIlEEEEZZNS1_33reduce_by_key_impl_wrapped_configILNS1_25lookback_scan_determinismE0ES3_S9_NS6_18transform_iteratorI6div_opNS6_17counting_iteratorIlNS6_11use_defaultESF_SF_EESF_SF_EENSC_I6mod_opSG_SF_SF_EENS6_6detail15normal_iteratorINS6_10device_ptrIlEEEESO_PmS8_NS6_8equal_toIlEEEE10hipError_tPvRmT2_T3_mT4_T5_T6_T7_T8_P12ihipStream_tbENKUlT_T0_E_clISt17integral_constantIbLb1EES19_EEDaS14_S15_EUlS14_E_NS1_11comp_targetILNS1_3genE10ELNS1_11target_archE1201ELNS1_3gpuE5ELNS1_3repE0EEENS1_30default_config_static_selectorELNS0_4arch9wavefront6targetE0EEEvT1_,@function
_ZN7rocprim17ROCPRIM_400000_NS6detail17trampoline_kernelINS0_14default_configENS1_29reduce_by_key_config_selectorIllN6thrust23THRUST_200600_302600_NS4plusIlEEEEZZNS1_33reduce_by_key_impl_wrapped_configILNS1_25lookback_scan_determinismE0ES3_S9_NS6_18transform_iteratorI6div_opNS6_17counting_iteratorIlNS6_11use_defaultESF_SF_EESF_SF_EENSC_I6mod_opSG_SF_SF_EENS6_6detail15normal_iteratorINS6_10device_ptrIlEEEESO_PmS8_NS6_8equal_toIlEEEE10hipError_tPvRmT2_T3_mT4_T5_T6_T7_T8_P12ihipStream_tbENKUlT_T0_E_clISt17integral_constantIbLb1EES19_EEDaS14_S15_EUlS14_E_NS1_11comp_targetILNS1_3genE10ELNS1_11target_archE1201ELNS1_3gpuE5ELNS1_3repE0EEENS1_30default_config_static_selectorELNS0_4arch9wavefront6targetE0EEEvT1_: ; @_ZN7rocprim17ROCPRIM_400000_NS6detail17trampoline_kernelINS0_14default_configENS1_29reduce_by_key_config_selectorIllN6thrust23THRUST_200600_302600_NS4plusIlEEEEZZNS1_33reduce_by_key_impl_wrapped_configILNS1_25lookback_scan_determinismE0ES3_S9_NS6_18transform_iteratorI6div_opNS6_17counting_iteratorIlNS6_11use_defaultESF_SF_EESF_SF_EENSC_I6mod_opSG_SF_SF_EENS6_6detail15normal_iteratorINS6_10device_ptrIlEEEESO_PmS8_NS6_8equal_toIlEEEE10hipError_tPvRmT2_T3_mT4_T5_T6_T7_T8_P12ihipStream_tbENKUlT_T0_E_clISt17integral_constantIbLb1EES19_EEDaS14_S15_EUlS14_E_NS1_11comp_targetILNS1_3genE10ELNS1_11target_archE1201ELNS1_3gpuE5ELNS1_3repE0EEENS1_30default_config_static_selectorELNS0_4arch9wavefront6targetE0EEEvT1_
; %bb.0:
	.section	.rodata,"a",@progbits
	.p2align	6, 0x0
	.amdhsa_kernel _ZN7rocprim17ROCPRIM_400000_NS6detail17trampoline_kernelINS0_14default_configENS1_29reduce_by_key_config_selectorIllN6thrust23THRUST_200600_302600_NS4plusIlEEEEZZNS1_33reduce_by_key_impl_wrapped_configILNS1_25lookback_scan_determinismE0ES3_S9_NS6_18transform_iteratorI6div_opNS6_17counting_iteratorIlNS6_11use_defaultESF_SF_EESF_SF_EENSC_I6mod_opSG_SF_SF_EENS6_6detail15normal_iteratorINS6_10device_ptrIlEEEESO_PmS8_NS6_8equal_toIlEEEE10hipError_tPvRmT2_T3_mT4_T5_T6_T7_T8_P12ihipStream_tbENKUlT_T0_E_clISt17integral_constantIbLb1EES19_EEDaS14_S15_EUlS14_E_NS1_11comp_targetILNS1_3genE10ELNS1_11target_archE1201ELNS1_3gpuE5ELNS1_3repE0EEENS1_30default_config_static_selectorELNS0_4arch9wavefront6targetE0EEEvT1_
		.amdhsa_group_segment_fixed_size 0
		.amdhsa_private_segment_fixed_size 0
		.amdhsa_kernarg_size 152
		.amdhsa_user_sgpr_count 15
		.amdhsa_user_sgpr_dispatch_ptr 0
		.amdhsa_user_sgpr_queue_ptr 0
		.amdhsa_user_sgpr_kernarg_segment_ptr 1
		.amdhsa_user_sgpr_dispatch_id 0
		.amdhsa_user_sgpr_private_segment_size 0
		.amdhsa_wavefront_size32 1
		.amdhsa_uses_dynamic_stack 0
		.amdhsa_enable_private_segment 0
		.amdhsa_system_sgpr_workgroup_id_x 1
		.amdhsa_system_sgpr_workgroup_id_y 0
		.amdhsa_system_sgpr_workgroup_id_z 0
		.amdhsa_system_sgpr_workgroup_info 0
		.amdhsa_system_vgpr_workitem_id 0
		.amdhsa_next_free_vgpr 1
		.amdhsa_next_free_sgpr 1
		.amdhsa_reserve_vcc 0
		.amdhsa_float_round_mode_32 0
		.amdhsa_float_round_mode_16_64 0
		.amdhsa_float_denorm_mode_32 3
		.amdhsa_float_denorm_mode_16_64 3
		.amdhsa_dx10_clamp 1
		.amdhsa_ieee_mode 1
		.amdhsa_fp16_overflow 0
		.amdhsa_workgroup_processor_mode 1
		.amdhsa_memory_ordered 1
		.amdhsa_forward_progress 0
		.amdhsa_shared_vgpr_count 0
		.amdhsa_exception_fp_ieee_invalid_op 0
		.amdhsa_exception_fp_denorm_src 0
		.amdhsa_exception_fp_ieee_div_zero 0
		.amdhsa_exception_fp_ieee_overflow 0
		.amdhsa_exception_fp_ieee_underflow 0
		.amdhsa_exception_fp_ieee_inexact 0
		.amdhsa_exception_int_div_zero 0
	.end_amdhsa_kernel
	.section	.text._ZN7rocprim17ROCPRIM_400000_NS6detail17trampoline_kernelINS0_14default_configENS1_29reduce_by_key_config_selectorIllN6thrust23THRUST_200600_302600_NS4plusIlEEEEZZNS1_33reduce_by_key_impl_wrapped_configILNS1_25lookback_scan_determinismE0ES3_S9_NS6_18transform_iteratorI6div_opNS6_17counting_iteratorIlNS6_11use_defaultESF_SF_EESF_SF_EENSC_I6mod_opSG_SF_SF_EENS6_6detail15normal_iteratorINS6_10device_ptrIlEEEESO_PmS8_NS6_8equal_toIlEEEE10hipError_tPvRmT2_T3_mT4_T5_T6_T7_T8_P12ihipStream_tbENKUlT_T0_E_clISt17integral_constantIbLb1EES19_EEDaS14_S15_EUlS14_E_NS1_11comp_targetILNS1_3genE10ELNS1_11target_archE1201ELNS1_3gpuE5ELNS1_3repE0EEENS1_30default_config_static_selectorELNS0_4arch9wavefront6targetE0EEEvT1_,"axG",@progbits,_ZN7rocprim17ROCPRIM_400000_NS6detail17trampoline_kernelINS0_14default_configENS1_29reduce_by_key_config_selectorIllN6thrust23THRUST_200600_302600_NS4plusIlEEEEZZNS1_33reduce_by_key_impl_wrapped_configILNS1_25lookback_scan_determinismE0ES3_S9_NS6_18transform_iteratorI6div_opNS6_17counting_iteratorIlNS6_11use_defaultESF_SF_EESF_SF_EENSC_I6mod_opSG_SF_SF_EENS6_6detail15normal_iteratorINS6_10device_ptrIlEEEESO_PmS8_NS6_8equal_toIlEEEE10hipError_tPvRmT2_T3_mT4_T5_T6_T7_T8_P12ihipStream_tbENKUlT_T0_E_clISt17integral_constantIbLb1EES19_EEDaS14_S15_EUlS14_E_NS1_11comp_targetILNS1_3genE10ELNS1_11target_archE1201ELNS1_3gpuE5ELNS1_3repE0EEENS1_30default_config_static_selectorELNS0_4arch9wavefront6targetE0EEEvT1_,comdat
.Lfunc_end1147:
	.size	_ZN7rocprim17ROCPRIM_400000_NS6detail17trampoline_kernelINS0_14default_configENS1_29reduce_by_key_config_selectorIllN6thrust23THRUST_200600_302600_NS4plusIlEEEEZZNS1_33reduce_by_key_impl_wrapped_configILNS1_25lookback_scan_determinismE0ES3_S9_NS6_18transform_iteratorI6div_opNS6_17counting_iteratorIlNS6_11use_defaultESF_SF_EESF_SF_EENSC_I6mod_opSG_SF_SF_EENS6_6detail15normal_iteratorINS6_10device_ptrIlEEEESO_PmS8_NS6_8equal_toIlEEEE10hipError_tPvRmT2_T3_mT4_T5_T6_T7_T8_P12ihipStream_tbENKUlT_T0_E_clISt17integral_constantIbLb1EES19_EEDaS14_S15_EUlS14_E_NS1_11comp_targetILNS1_3genE10ELNS1_11target_archE1201ELNS1_3gpuE5ELNS1_3repE0EEENS1_30default_config_static_selectorELNS0_4arch9wavefront6targetE0EEEvT1_, .Lfunc_end1147-_ZN7rocprim17ROCPRIM_400000_NS6detail17trampoline_kernelINS0_14default_configENS1_29reduce_by_key_config_selectorIllN6thrust23THRUST_200600_302600_NS4plusIlEEEEZZNS1_33reduce_by_key_impl_wrapped_configILNS1_25lookback_scan_determinismE0ES3_S9_NS6_18transform_iteratorI6div_opNS6_17counting_iteratorIlNS6_11use_defaultESF_SF_EESF_SF_EENSC_I6mod_opSG_SF_SF_EENS6_6detail15normal_iteratorINS6_10device_ptrIlEEEESO_PmS8_NS6_8equal_toIlEEEE10hipError_tPvRmT2_T3_mT4_T5_T6_T7_T8_P12ihipStream_tbENKUlT_T0_E_clISt17integral_constantIbLb1EES19_EEDaS14_S15_EUlS14_E_NS1_11comp_targetILNS1_3genE10ELNS1_11target_archE1201ELNS1_3gpuE5ELNS1_3repE0EEENS1_30default_config_static_selectorELNS0_4arch9wavefront6targetE0EEEvT1_
                                        ; -- End function
	.section	.AMDGPU.csdata,"",@progbits
; Kernel info:
; codeLenInByte = 0
; NumSgprs: 0
; NumVgprs: 0
; ScratchSize: 0
; MemoryBound: 0
; FloatMode: 240
; IeeeMode: 1
; LDSByteSize: 0 bytes/workgroup (compile time only)
; SGPRBlocks: 0
; VGPRBlocks: 0
; NumSGPRsForWavesPerEU: 1
; NumVGPRsForWavesPerEU: 1
; Occupancy: 16
; WaveLimiterHint : 0
; COMPUTE_PGM_RSRC2:SCRATCH_EN: 0
; COMPUTE_PGM_RSRC2:USER_SGPR: 15
; COMPUTE_PGM_RSRC2:TRAP_HANDLER: 0
; COMPUTE_PGM_RSRC2:TGID_X_EN: 1
; COMPUTE_PGM_RSRC2:TGID_Y_EN: 0
; COMPUTE_PGM_RSRC2:TGID_Z_EN: 0
; COMPUTE_PGM_RSRC2:TIDIG_COMP_CNT: 0
	.section	.text._ZN7rocprim17ROCPRIM_400000_NS6detail17trampoline_kernelINS0_14default_configENS1_29reduce_by_key_config_selectorIllN6thrust23THRUST_200600_302600_NS4plusIlEEEEZZNS1_33reduce_by_key_impl_wrapped_configILNS1_25lookback_scan_determinismE0ES3_S9_NS6_18transform_iteratorI6div_opNS6_17counting_iteratorIlNS6_11use_defaultESF_SF_EESF_SF_EENSC_I6mod_opSG_SF_SF_EENS6_6detail15normal_iteratorINS6_10device_ptrIlEEEESO_PmS8_NS6_8equal_toIlEEEE10hipError_tPvRmT2_T3_mT4_T5_T6_T7_T8_P12ihipStream_tbENKUlT_T0_E_clISt17integral_constantIbLb1EES19_EEDaS14_S15_EUlS14_E_NS1_11comp_targetILNS1_3genE10ELNS1_11target_archE1200ELNS1_3gpuE4ELNS1_3repE0EEENS1_30default_config_static_selectorELNS0_4arch9wavefront6targetE0EEEvT1_,"axG",@progbits,_ZN7rocprim17ROCPRIM_400000_NS6detail17trampoline_kernelINS0_14default_configENS1_29reduce_by_key_config_selectorIllN6thrust23THRUST_200600_302600_NS4plusIlEEEEZZNS1_33reduce_by_key_impl_wrapped_configILNS1_25lookback_scan_determinismE0ES3_S9_NS6_18transform_iteratorI6div_opNS6_17counting_iteratorIlNS6_11use_defaultESF_SF_EESF_SF_EENSC_I6mod_opSG_SF_SF_EENS6_6detail15normal_iteratorINS6_10device_ptrIlEEEESO_PmS8_NS6_8equal_toIlEEEE10hipError_tPvRmT2_T3_mT4_T5_T6_T7_T8_P12ihipStream_tbENKUlT_T0_E_clISt17integral_constantIbLb1EES19_EEDaS14_S15_EUlS14_E_NS1_11comp_targetILNS1_3genE10ELNS1_11target_archE1200ELNS1_3gpuE4ELNS1_3repE0EEENS1_30default_config_static_selectorELNS0_4arch9wavefront6targetE0EEEvT1_,comdat
	.protected	_ZN7rocprim17ROCPRIM_400000_NS6detail17trampoline_kernelINS0_14default_configENS1_29reduce_by_key_config_selectorIllN6thrust23THRUST_200600_302600_NS4plusIlEEEEZZNS1_33reduce_by_key_impl_wrapped_configILNS1_25lookback_scan_determinismE0ES3_S9_NS6_18transform_iteratorI6div_opNS6_17counting_iteratorIlNS6_11use_defaultESF_SF_EESF_SF_EENSC_I6mod_opSG_SF_SF_EENS6_6detail15normal_iteratorINS6_10device_ptrIlEEEESO_PmS8_NS6_8equal_toIlEEEE10hipError_tPvRmT2_T3_mT4_T5_T6_T7_T8_P12ihipStream_tbENKUlT_T0_E_clISt17integral_constantIbLb1EES19_EEDaS14_S15_EUlS14_E_NS1_11comp_targetILNS1_3genE10ELNS1_11target_archE1200ELNS1_3gpuE4ELNS1_3repE0EEENS1_30default_config_static_selectorELNS0_4arch9wavefront6targetE0EEEvT1_ ; -- Begin function _ZN7rocprim17ROCPRIM_400000_NS6detail17trampoline_kernelINS0_14default_configENS1_29reduce_by_key_config_selectorIllN6thrust23THRUST_200600_302600_NS4plusIlEEEEZZNS1_33reduce_by_key_impl_wrapped_configILNS1_25lookback_scan_determinismE0ES3_S9_NS6_18transform_iteratorI6div_opNS6_17counting_iteratorIlNS6_11use_defaultESF_SF_EESF_SF_EENSC_I6mod_opSG_SF_SF_EENS6_6detail15normal_iteratorINS6_10device_ptrIlEEEESO_PmS8_NS6_8equal_toIlEEEE10hipError_tPvRmT2_T3_mT4_T5_T6_T7_T8_P12ihipStream_tbENKUlT_T0_E_clISt17integral_constantIbLb1EES19_EEDaS14_S15_EUlS14_E_NS1_11comp_targetILNS1_3genE10ELNS1_11target_archE1200ELNS1_3gpuE4ELNS1_3repE0EEENS1_30default_config_static_selectorELNS0_4arch9wavefront6targetE0EEEvT1_
	.globl	_ZN7rocprim17ROCPRIM_400000_NS6detail17trampoline_kernelINS0_14default_configENS1_29reduce_by_key_config_selectorIllN6thrust23THRUST_200600_302600_NS4plusIlEEEEZZNS1_33reduce_by_key_impl_wrapped_configILNS1_25lookback_scan_determinismE0ES3_S9_NS6_18transform_iteratorI6div_opNS6_17counting_iteratorIlNS6_11use_defaultESF_SF_EESF_SF_EENSC_I6mod_opSG_SF_SF_EENS6_6detail15normal_iteratorINS6_10device_ptrIlEEEESO_PmS8_NS6_8equal_toIlEEEE10hipError_tPvRmT2_T3_mT4_T5_T6_T7_T8_P12ihipStream_tbENKUlT_T0_E_clISt17integral_constantIbLb1EES19_EEDaS14_S15_EUlS14_E_NS1_11comp_targetILNS1_3genE10ELNS1_11target_archE1200ELNS1_3gpuE4ELNS1_3repE0EEENS1_30default_config_static_selectorELNS0_4arch9wavefront6targetE0EEEvT1_
	.p2align	8
	.type	_ZN7rocprim17ROCPRIM_400000_NS6detail17trampoline_kernelINS0_14default_configENS1_29reduce_by_key_config_selectorIllN6thrust23THRUST_200600_302600_NS4plusIlEEEEZZNS1_33reduce_by_key_impl_wrapped_configILNS1_25lookback_scan_determinismE0ES3_S9_NS6_18transform_iteratorI6div_opNS6_17counting_iteratorIlNS6_11use_defaultESF_SF_EESF_SF_EENSC_I6mod_opSG_SF_SF_EENS6_6detail15normal_iteratorINS6_10device_ptrIlEEEESO_PmS8_NS6_8equal_toIlEEEE10hipError_tPvRmT2_T3_mT4_T5_T6_T7_T8_P12ihipStream_tbENKUlT_T0_E_clISt17integral_constantIbLb1EES19_EEDaS14_S15_EUlS14_E_NS1_11comp_targetILNS1_3genE10ELNS1_11target_archE1200ELNS1_3gpuE4ELNS1_3repE0EEENS1_30default_config_static_selectorELNS0_4arch9wavefront6targetE0EEEvT1_,@function
_ZN7rocprim17ROCPRIM_400000_NS6detail17trampoline_kernelINS0_14default_configENS1_29reduce_by_key_config_selectorIllN6thrust23THRUST_200600_302600_NS4plusIlEEEEZZNS1_33reduce_by_key_impl_wrapped_configILNS1_25lookback_scan_determinismE0ES3_S9_NS6_18transform_iteratorI6div_opNS6_17counting_iteratorIlNS6_11use_defaultESF_SF_EESF_SF_EENSC_I6mod_opSG_SF_SF_EENS6_6detail15normal_iteratorINS6_10device_ptrIlEEEESO_PmS8_NS6_8equal_toIlEEEE10hipError_tPvRmT2_T3_mT4_T5_T6_T7_T8_P12ihipStream_tbENKUlT_T0_E_clISt17integral_constantIbLb1EES19_EEDaS14_S15_EUlS14_E_NS1_11comp_targetILNS1_3genE10ELNS1_11target_archE1200ELNS1_3gpuE4ELNS1_3repE0EEENS1_30default_config_static_selectorELNS0_4arch9wavefront6targetE0EEEvT1_: ; @_ZN7rocprim17ROCPRIM_400000_NS6detail17trampoline_kernelINS0_14default_configENS1_29reduce_by_key_config_selectorIllN6thrust23THRUST_200600_302600_NS4plusIlEEEEZZNS1_33reduce_by_key_impl_wrapped_configILNS1_25lookback_scan_determinismE0ES3_S9_NS6_18transform_iteratorI6div_opNS6_17counting_iteratorIlNS6_11use_defaultESF_SF_EESF_SF_EENSC_I6mod_opSG_SF_SF_EENS6_6detail15normal_iteratorINS6_10device_ptrIlEEEESO_PmS8_NS6_8equal_toIlEEEE10hipError_tPvRmT2_T3_mT4_T5_T6_T7_T8_P12ihipStream_tbENKUlT_T0_E_clISt17integral_constantIbLb1EES19_EEDaS14_S15_EUlS14_E_NS1_11comp_targetILNS1_3genE10ELNS1_11target_archE1200ELNS1_3gpuE4ELNS1_3repE0EEENS1_30default_config_static_selectorELNS0_4arch9wavefront6targetE0EEEvT1_
; %bb.0:
	.section	.rodata,"a",@progbits
	.p2align	6, 0x0
	.amdhsa_kernel _ZN7rocprim17ROCPRIM_400000_NS6detail17trampoline_kernelINS0_14default_configENS1_29reduce_by_key_config_selectorIllN6thrust23THRUST_200600_302600_NS4plusIlEEEEZZNS1_33reduce_by_key_impl_wrapped_configILNS1_25lookback_scan_determinismE0ES3_S9_NS6_18transform_iteratorI6div_opNS6_17counting_iteratorIlNS6_11use_defaultESF_SF_EESF_SF_EENSC_I6mod_opSG_SF_SF_EENS6_6detail15normal_iteratorINS6_10device_ptrIlEEEESO_PmS8_NS6_8equal_toIlEEEE10hipError_tPvRmT2_T3_mT4_T5_T6_T7_T8_P12ihipStream_tbENKUlT_T0_E_clISt17integral_constantIbLb1EES19_EEDaS14_S15_EUlS14_E_NS1_11comp_targetILNS1_3genE10ELNS1_11target_archE1200ELNS1_3gpuE4ELNS1_3repE0EEENS1_30default_config_static_selectorELNS0_4arch9wavefront6targetE0EEEvT1_
		.amdhsa_group_segment_fixed_size 0
		.amdhsa_private_segment_fixed_size 0
		.amdhsa_kernarg_size 152
		.amdhsa_user_sgpr_count 15
		.amdhsa_user_sgpr_dispatch_ptr 0
		.amdhsa_user_sgpr_queue_ptr 0
		.amdhsa_user_sgpr_kernarg_segment_ptr 1
		.amdhsa_user_sgpr_dispatch_id 0
		.amdhsa_user_sgpr_private_segment_size 0
		.amdhsa_wavefront_size32 1
		.amdhsa_uses_dynamic_stack 0
		.amdhsa_enable_private_segment 0
		.amdhsa_system_sgpr_workgroup_id_x 1
		.amdhsa_system_sgpr_workgroup_id_y 0
		.amdhsa_system_sgpr_workgroup_id_z 0
		.amdhsa_system_sgpr_workgroup_info 0
		.amdhsa_system_vgpr_workitem_id 0
		.amdhsa_next_free_vgpr 1
		.amdhsa_next_free_sgpr 1
		.amdhsa_reserve_vcc 0
		.amdhsa_float_round_mode_32 0
		.amdhsa_float_round_mode_16_64 0
		.amdhsa_float_denorm_mode_32 3
		.amdhsa_float_denorm_mode_16_64 3
		.amdhsa_dx10_clamp 1
		.amdhsa_ieee_mode 1
		.amdhsa_fp16_overflow 0
		.amdhsa_workgroup_processor_mode 1
		.amdhsa_memory_ordered 1
		.amdhsa_forward_progress 0
		.amdhsa_shared_vgpr_count 0
		.amdhsa_exception_fp_ieee_invalid_op 0
		.amdhsa_exception_fp_denorm_src 0
		.amdhsa_exception_fp_ieee_div_zero 0
		.amdhsa_exception_fp_ieee_overflow 0
		.amdhsa_exception_fp_ieee_underflow 0
		.amdhsa_exception_fp_ieee_inexact 0
		.amdhsa_exception_int_div_zero 0
	.end_amdhsa_kernel
	.section	.text._ZN7rocprim17ROCPRIM_400000_NS6detail17trampoline_kernelINS0_14default_configENS1_29reduce_by_key_config_selectorIllN6thrust23THRUST_200600_302600_NS4plusIlEEEEZZNS1_33reduce_by_key_impl_wrapped_configILNS1_25lookback_scan_determinismE0ES3_S9_NS6_18transform_iteratorI6div_opNS6_17counting_iteratorIlNS6_11use_defaultESF_SF_EESF_SF_EENSC_I6mod_opSG_SF_SF_EENS6_6detail15normal_iteratorINS6_10device_ptrIlEEEESO_PmS8_NS6_8equal_toIlEEEE10hipError_tPvRmT2_T3_mT4_T5_T6_T7_T8_P12ihipStream_tbENKUlT_T0_E_clISt17integral_constantIbLb1EES19_EEDaS14_S15_EUlS14_E_NS1_11comp_targetILNS1_3genE10ELNS1_11target_archE1200ELNS1_3gpuE4ELNS1_3repE0EEENS1_30default_config_static_selectorELNS0_4arch9wavefront6targetE0EEEvT1_,"axG",@progbits,_ZN7rocprim17ROCPRIM_400000_NS6detail17trampoline_kernelINS0_14default_configENS1_29reduce_by_key_config_selectorIllN6thrust23THRUST_200600_302600_NS4plusIlEEEEZZNS1_33reduce_by_key_impl_wrapped_configILNS1_25lookback_scan_determinismE0ES3_S9_NS6_18transform_iteratorI6div_opNS6_17counting_iteratorIlNS6_11use_defaultESF_SF_EESF_SF_EENSC_I6mod_opSG_SF_SF_EENS6_6detail15normal_iteratorINS6_10device_ptrIlEEEESO_PmS8_NS6_8equal_toIlEEEE10hipError_tPvRmT2_T3_mT4_T5_T6_T7_T8_P12ihipStream_tbENKUlT_T0_E_clISt17integral_constantIbLb1EES19_EEDaS14_S15_EUlS14_E_NS1_11comp_targetILNS1_3genE10ELNS1_11target_archE1200ELNS1_3gpuE4ELNS1_3repE0EEENS1_30default_config_static_selectorELNS0_4arch9wavefront6targetE0EEEvT1_,comdat
.Lfunc_end1148:
	.size	_ZN7rocprim17ROCPRIM_400000_NS6detail17trampoline_kernelINS0_14default_configENS1_29reduce_by_key_config_selectorIllN6thrust23THRUST_200600_302600_NS4plusIlEEEEZZNS1_33reduce_by_key_impl_wrapped_configILNS1_25lookback_scan_determinismE0ES3_S9_NS6_18transform_iteratorI6div_opNS6_17counting_iteratorIlNS6_11use_defaultESF_SF_EESF_SF_EENSC_I6mod_opSG_SF_SF_EENS6_6detail15normal_iteratorINS6_10device_ptrIlEEEESO_PmS8_NS6_8equal_toIlEEEE10hipError_tPvRmT2_T3_mT4_T5_T6_T7_T8_P12ihipStream_tbENKUlT_T0_E_clISt17integral_constantIbLb1EES19_EEDaS14_S15_EUlS14_E_NS1_11comp_targetILNS1_3genE10ELNS1_11target_archE1200ELNS1_3gpuE4ELNS1_3repE0EEENS1_30default_config_static_selectorELNS0_4arch9wavefront6targetE0EEEvT1_, .Lfunc_end1148-_ZN7rocprim17ROCPRIM_400000_NS6detail17trampoline_kernelINS0_14default_configENS1_29reduce_by_key_config_selectorIllN6thrust23THRUST_200600_302600_NS4plusIlEEEEZZNS1_33reduce_by_key_impl_wrapped_configILNS1_25lookback_scan_determinismE0ES3_S9_NS6_18transform_iteratorI6div_opNS6_17counting_iteratorIlNS6_11use_defaultESF_SF_EESF_SF_EENSC_I6mod_opSG_SF_SF_EENS6_6detail15normal_iteratorINS6_10device_ptrIlEEEESO_PmS8_NS6_8equal_toIlEEEE10hipError_tPvRmT2_T3_mT4_T5_T6_T7_T8_P12ihipStream_tbENKUlT_T0_E_clISt17integral_constantIbLb1EES19_EEDaS14_S15_EUlS14_E_NS1_11comp_targetILNS1_3genE10ELNS1_11target_archE1200ELNS1_3gpuE4ELNS1_3repE0EEENS1_30default_config_static_selectorELNS0_4arch9wavefront6targetE0EEEvT1_
                                        ; -- End function
	.section	.AMDGPU.csdata,"",@progbits
; Kernel info:
; codeLenInByte = 0
; NumSgprs: 0
; NumVgprs: 0
; ScratchSize: 0
; MemoryBound: 0
; FloatMode: 240
; IeeeMode: 1
; LDSByteSize: 0 bytes/workgroup (compile time only)
; SGPRBlocks: 0
; VGPRBlocks: 0
; NumSGPRsForWavesPerEU: 1
; NumVGPRsForWavesPerEU: 1
; Occupancy: 16
; WaveLimiterHint : 0
; COMPUTE_PGM_RSRC2:SCRATCH_EN: 0
; COMPUTE_PGM_RSRC2:USER_SGPR: 15
; COMPUTE_PGM_RSRC2:TRAP_HANDLER: 0
; COMPUTE_PGM_RSRC2:TGID_X_EN: 1
; COMPUTE_PGM_RSRC2:TGID_Y_EN: 0
; COMPUTE_PGM_RSRC2:TGID_Z_EN: 0
; COMPUTE_PGM_RSRC2:TIDIG_COMP_CNT: 0
	.section	.text._ZN7rocprim17ROCPRIM_400000_NS6detail17trampoline_kernelINS0_14default_configENS1_29reduce_by_key_config_selectorIllN6thrust23THRUST_200600_302600_NS4plusIlEEEEZZNS1_33reduce_by_key_impl_wrapped_configILNS1_25lookback_scan_determinismE0ES3_S9_NS6_18transform_iteratorI6div_opNS6_17counting_iteratorIlNS6_11use_defaultESF_SF_EESF_SF_EENSC_I6mod_opSG_SF_SF_EENS6_6detail15normal_iteratorINS6_10device_ptrIlEEEESO_PmS8_NS6_8equal_toIlEEEE10hipError_tPvRmT2_T3_mT4_T5_T6_T7_T8_P12ihipStream_tbENKUlT_T0_E_clISt17integral_constantIbLb1EES19_EEDaS14_S15_EUlS14_E_NS1_11comp_targetILNS1_3genE9ELNS1_11target_archE1100ELNS1_3gpuE3ELNS1_3repE0EEENS1_30default_config_static_selectorELNS0_4arch9wavefront6targetE0EEEvT1_,"axG",@progbits,_ZN7rocprim17ROCPRIM_400000_NS6detail17trampoline_kernelINS0_14default_configENS1_29reduce_by_key_config_selectorIllN6thrust23THRUST_200600_302600_NS4plusIlEEEEZZNS1_33reduce_by_key_impl_wrapped_configILNS1_25lookback_scan_determinismE0ES3_S9_NS6_18transform_iteratorI6div_opNS6_17counting_iteratorIlNS6_11use_defaultESF_SF_EESF_SF_EENSC_I6mod_opSG_SF_SF_EENS6_6detail15normal_iteratorINS6_10device_ptrIlEEEESO_PmS8_NS6_8equal_toIlEEEE10hipError_tPvRmT2_T3_mT4_T5_T6_T7_T8_P12ihipStream_tbENKUlT_T0_E_clISt17integral_constantIbLb1EES19_EEDaS14_S15_EUlS14_E_NS1_11comp_targetILNS1_3genE9ELNS1_11target_archE1100ELNS1_3gpuE3ELNS1_3repE0EEENS1_30default_config_static_selectorELNS0_4arch9wavefront6targetE0EEEvT1_,comdat
	.protected	_ZN7rocprim17ROCPRIM_400000_NS6detail17trampoline_kernelINS0_14default_configENS1_29reduce_by_key_config_selectorIllN6thrust23THRUST_200600_302600_NS4plusIlEEEEZZNS1_33reduce_by_key_impl_wrapped_configILNS1_25lookback_scan_determinismE0ES3_S9_NS6_18transform_iteratorI6div_opNS6_17counting_iteratorIlNS6_11use_defaultESF_SF_EESF_SF_EENSC_I6mod_opSG_SF_SF_EENS6_6detail15normal_iteratorINS6_10device_ptrIlEEEESO_PmS8_NS6_8equal_toIlEEEE10hipError_tPvRmT2_T3_mT4_T5_T6_T7_T8_P12ihipStream_tbENKUlT_T0_E_clISt17integral_constantIbLb1EES19_EEDaS14_S15_EUlS14_E_NS1_11comp_targetILNS1_3genE9ELNS1_11target_archE1100ELNS1_3gpuE3ELNS1_3repE0EEENS1_30default_config_static_selectorELNS0_4arch9wavefront6targetE0EEEvT1_ ; -- Begin function _ZN7rocprim17ROCPRIM_400000_NS6detail17trampoline_kernelINS0_14default_configENS1_29reduce_by_key_config_selectorIllN6thrust23THRUST_200600_302600_NS4plusIlEEEEZZNS1_33reduce_by_key_impl_wrapped_configILNS1_25lookback_scan_determinismE0ES3_S9_NS6_18transform_iteratorI6div_opNS6_17counting_iteratorIlNS6_11use_defaultESF_SF_EESF_SF_EENSC_I6mod_opSG_SF_SF_EENS6_6detail15normal_iteratorINS6_10device_ptrIlEEEESO_PmS8_NS6_8equal_toIlEEEE10hipError_tPvRmT2_T3_mT4_T5_T6_T7_T8_P12ihipStream_tbENKUlT_T0_E_clISt17integral_constantIbLb1EES19_EEDaS14_S15_EUlS14_E_NS1_11comp_targetILNS1_3genE9ELNS1_11target_archE1100ELNS1_3gpuE3ELNS1_3repE0EEENS1_30default_config_static_selectorELNS0_4arch9wavefront6targetE0EEEvT1_
	.globl	_ZN7rocprim17ROCPRIM_400000_NS6detail17trampoline_kernelINS0_14default_configENS1_29reduce_by_key_config_selectorIllN6thrust23THRUST_200600_302600_NS4plusIlEEEEZZNS1_33reduce_by_key_impl_wrapped_configILNS1_25lookback_scan_determinismE0ES3_S9_NS6_18transform_iteratorI6div_opNS6_17counting_iteratorIlNS6_11use_defaultESF_SF_EESF_SF_EENSC_I6mod_opSG_SF_SF_EENS6_6detail15normal_iteratorINS6_10device_ptrIlEEEESO_PmS8_NS6_8equal_toIlEEEE10hipError_tPvRmT2_T3_mT4_T5_T6_T7_T8_P12ihipStream_tbENKUlT_T0_E_clISt17integral_constantIbLb1EES19_EEDaS14_S15_EUlS14_E_NS1_11comp_targetILNS1_3genE9ELNS1_11target_archE1100ELNS1_3gpuE3ELNS1_3repE0EEENS1_30default_config_static_selectorELNS0_4arch9wavefront6targetE0EEEvT1_
	.p2align	8
	.type	_ZN7rocprim17ROCPRIM_400000_NS6detail17trampoline_kernelINS0_14default_configENS1_29reduce_by_key_config_selectorIllN6thrust23THRUST_200600_302600_NS4plusIlEEEEZZNS1_33reduce_by_key_impl_wrapped_configILNS1_25lookback_scan_determinismE0ES3_S9_NS6_18transform_iteratorI6div_opNS6_17counting_iteratorIlNS6_11use_defaultESF_SF_EESF_SF_EENSC_I6mod_opSG_SF_SF_EENS6_6detail15normal_iteratorINS6_10device_ptrIlEEEESO_PmS8_NS6_8equal_toIlEEEE10hipError_tPvRmT2_T3_mT4_T5_T6_T7_T8_P12ihipStream_tbENKUlT_T0_E_clISt17integral_constantIbLb1EES19_EEDaS14_S15_EUlS14_E_NS1_11comp_targetILNS1_3genE9ELNS1_11target_archE1100ELNS1_3gpuE3ELNS1_3repE0EEENS1_30default_config_static_selectorELNS0_4arch9wavefront6targetE0EEEvT1_,@function
_ZN7rocprim17ROCPRIM_400000_NS6detail17trampoline_kernelINS0_14default_configENS1_29reduce_by_key_config_selectorIllN6thrust23THRUST_200600_302600_NS4plusIlEEEEZZNS1_33reduce_by_key_impl_wrapped_configILNS1_25lookback_scan_determinismE0ES3_S9_NS6_18transform_iteratorI6div_opNS6_17counting_iteratorIlNS6_11use_defaultESF_SF_EESF_SF_EENSC_I6mod_opSG_SF_SF_EENS6_6detail15normal_iteratorINS6_10device_ptrIlEEEESO_PmS8_NS6_8equal_toIlEEEE10hipError_tPvRmT2_T3_mT4_T5_T6_T7_T8_P12ihipStream_tbENKUlT_T0_E_clISt17integral_constantIbLb1EES19_EEDaS14_S15_EUlS14_E_NS1_11comp_targetILNS1_3genE9ELNS1_11target_archE1100ELNS1_3gpuE3ELNS1_3repE0EEENS1_30default_config_static_selectorELNS0_4arch9wavefront6targetE0EEEvT1_: ; @_ZN7rocprim17ROCPRIM_400000_NS6detail17trampoline_kernelINS0_14default_configENS1_29reduce_by_key_config_selectorIllN6thrust23THRUST_200600_302600_NS4plusIlEEEEZZNS1_33reduce_by_key_impl_wrapped_configILNS1_25lookback_scan_determinismE0ES3_S9_NS6_18transform_iteratorI6div_opNS6_17counting_iteratorIlNS6_11use_defaultESF_SF_EESF_SF_EENSC_I6mod_opSG_SF_SF_EENS6_6detail15normal_iteratorINS6_10device_ptrIlEEEESO_PmS8_NS6_8equal_toIlEEEE10hipError_tPvRmT2_T3_mT4_T5_T6_T7_T8_P12ihipStream_tbENKUlT_T0_E_clISt17integral_constantIbLb1EES19_EEDaS14_S15_EUlS14_E_NS1_11comp_targetILNS1_3genE9ELNS1_11target_archE1100ELNS1_3gpuE3ELNS1_3repE0EEENS1_30default_config_static_selectorELNS0_4arch9wavefront6targetE0EEEvT1_
; %bb.0:
	s_load_b64 s[28:29], s[0:1], 0x88
	v_cmp_ne_u32_e64 s3, 0, v0
	v_cmp_eq_u32_e64 s2, 0, v0
	s_delay_alu instid0(VALU_DEP_1)
	s_and_saveexec_b32 s4, s2
	s_cbranch_execz .LBB1149_4
; %bb.1:
	s_mov_b32 s6, exec_lo
	s_mov_b32 s5, exec_lo
	v_mbcnt_lo_u32_b32 v1, s6, 0
                                        ; implicit-def: $vgpr2
	s_delay_alu instid0(VALU_DEP_1)
	v_cmpx_eq_u32_e32 0, v1
	s_cbranch_execz .LBB1149_3
; %bb.2:
	s_load_b64 s[8:9], s[0:1], 0x90
	s_bcnt1_i32_b32 s6, s6
	s_delay_alu instid0(SALU_CYCLE_1)
	v_dual_mov_b32 v2, 0 :: v_dual_mov_b32 v3, s6
	s_waitcnt lgkmcnt(0)
	global_atomic_add_u32 v2, v2, v3, s[8:9] glc
.LBB1149_3:
	s_or_b32 exec_lo, exec_lo, s5
	s_waitcnt vmcnt(0)
	v_readfirstlane_b32 s5, v2
	s_delay_alu instid0(VALU_DEP_1)
	v_dual_mov_b32 v2, 0 :: v_dual_add_nc_u32 v1, s5, v1
	ds_store_b32 v2, v1
.LBB1149_4:
	s_or_b32 exec_lo, exec_lo, s4
	v_mov_b32_e32 v1, 0
	s_clause 0x1
	s_load_b512 s[36:51], s[0:1], 0x0
	s_load_b512 s[52:67], s[0:1], 0x48
	s_waitcnt lgkmcnt(0)
	s_barrier
	buffer_gl0_inv
	ds_load_b32 v2, v1
	s_waitcnt lgkmcnt(0)
	s_barrier
	buffer_gl0_inv
	s_add_u32 s0, s40, s36
	s_mul_i32 s1, s60, s59
	s_mul_hi_u32 s4, s60, s58
	s_addc_u32 s7, s41, s37
	s_add_u32 s8, s42, s40
	v_readfirstlane_b32 s33, v2
	s_mul_i32 s5, s61, s58
	s_addc_u32 s9, s43, s41
	s_add_i32 s1, s4, s1
	s_mul_i32 s6, s60, s58
	s_mul_i32 s4, s33, 0xf00
	s_add_i32 s1, s1, s5
	s_add_u32 s24, s0, s4
	s_addc_u32 s25, s7, 0
	s_add_u32 s30, s8, s4
	s_addc_u32 s31, s9, 0
	;; [unrolled: 2-line block ×3, first 2 shown]
	s_add_u32 s0, s62, -1
	s_addc_u32 s1, s63, -1
	s_mul_i32 s34, s0, 0xfffff100
	s_cmp_eq_u64 s[18:19], s[0:1]
	s_cselect_b32 s27, -1, 0
	s_cmp_lg_u64 s[18:19], s[0:1]
	s_cselect_b32 s26, -1, 0
	s_and_b32 vcc_lo, exec_lo, s27
	s_cbranch_vccnz .LBB1149_126
; %bb.5:
	v_add_co_u32 v29, s0, s24, v0
	s_delay_alu instid0(VALU_DEP_1) | instskip(NEXT) | instid1(VALU_DEP_1)
	v_add_co_ci_u32_e64 v30, null, s25, 0, s0
	v_or_b32_e32 v2, s39, v30
	s_delay_alu instid0(VALU_DEP_1) | instskip(SKIP_1) | instid1(SALU_CYCLE_1)
	v_cmp_ne_u64_e32 vcc_lo, 0, v[1:2]
                                        ; implicit-def: $vgpr1_vgpr2
	s_and_saveexec_b32 s0, vcc_lo
	s_xor_b32 s1, exec_lo, s0
	s_cbranch_execz .LBB1149_7
; %bb.6:
	s_ashr_i32 s4, s39, 31
	s_delay_alu instid0(SALU_CYCLE_1) | instskip(SKIP_2) | instid1(SALU_CYCLE_1)
	s_add_u32 s6, s38, s4
	s_mov_b32 s5, s4
	s_addc_u32 s7, s39, s4
	s_xor_b64 s[6:7], s[6:7], s[4:5]
	s_delay_alu instid0(SALU_CYCLE_1) | instskip(SKIP_3) | instid1(VALU_DEP_1)
	v_cvt_f32_u32_e32 v1, s6
	v_cvt_f32_u32_e32 v2, s7
	s_sub_u32 s0, 0, s6
	s_subb_u32 s5, 0, s7
	v_fmamk_f32 v1, v2, 0x4f800000, v1
	s_delay_alu instid0(VALU_DEP_1) | instskip(SKIP_2) | instid1(VALU_DEP_1)
	v_rcp_f32_e32 v1, v1
	s_waitcnt_depctr 0xfff
	v_mul_f32_e32 v1, 0x5f7ffffc, v1
	v_mul_f32_e32 v2, 0x2f800000, v1
	s_delay_alu instid0(VALU_DEP_1) | instskip(NEXT) | instid1(VALU_DEP_1)
	v_trunc_f32_e32 v2, v2
	v_fmamk_f32 v1, v2, 0xcf800000, v1
	v_cvt_u32_f32_e32 v2, v2
	s_delay_alu instid0(VALU_DEP_2) | instskip(NEXT) | instid1(VALU_DEP_2)
	v_cvt_u32_f32_e32 v1, v1
	v_mul_lo_u32 v3, s0, v2
	s_delay_alu instid0(VALU_DEP_2) | instskip(SKIP_1) | instid1(VALU_DEP_2)
	v_mul_hi_u32 v4, s0, v1
	v_mul_lo_u32 v5, s5, v1
	v_add_nc_u32_e32 v3, v4, v3
	v_mul_lo_u32 v4, s0, v1
	s_delay_alu instid0(VALU_DEP_2) | instskip(NEXT) | instid1(VALU_DEP_2)
	v_add_nc_u32_e32 v3, v3, v5
	v_mul_hi_u32 v5, v1, v4
	s_delay_alu instid0(VALU_DEP_2)
	v_mul_lo_u32 v6, v1, v3
	v_mul_hi_u32 v7, v1, v3
	v_mul_hi_u32 v8, v2, v4
	v_mul_lo_u32 v4, v2, v4
	v_mul_hi_u32 v9, v2, v3
	v_mul_lo_u32 v3, v2, v3
	v_add_co_u32 v5, vcc_lo, v5, v6
	v_add_co_ci_u32_e32 v6, vcc_lo, 0, v7, vcc_lo
	s_delay_alu instid0(VALU_DEP_2) | instskip(NEXT) | instid1(VALU_DEP_2)
	v_add_co_u32 v4, vcc_lo, v5, v4
	v_add_co_ci_u32_e32 v4, vcc_lo, v6, v8, vcc_lo
	v_add_co_ci_u32_e32 v5, vcc_lo, 0, v9, vcc_lo
	v_ashrrev_i32_e32 v8, 31, v30
	s_delay_alu instid0(VALU_DEP_3) | instskip(NEXT) | instid1(VALU_DEP_3)
	v_add_co_u32 v3, vcc_lo, v4, v3
	v_add_co_ci_u32_e32 v4, vcc_lo, 0, v5, vcc_lo
	s_delay_alu instid0(VALU_DEP_2) | instskip(NEXT) | instid1(VALU_DEP_2)
	v_add_co_u32 v1, vcc_lo, v1, v3
	v_add_co_ci_u32_e32 v2, vcc_lo, v2, v4, vcc_lo
	s_delay_alu instid0(VALU_DEP_2) | instskip(SKIP_1) | instid1(VALU_DEP_3)
	v_mul_hi_u32 v3, s0, v1
	v_mul_lo_u32 v5, s5, v1
	v_mul_lo_u32 v4, s0, v2
	s_delay_alu instid0(VALU_DEP_1) | instskip(SKIP_1) | instid1(VALU_DEP_2)
	v_add_nc_u32_e32 v3, v3, v4
	v_mul_lo_u32 v4, s0, v1
	v_add_nc_u32_e32 v3, v3, v5
	s_delay_alu instid0(VALU_DEP_2) | instskip(NEXT) | instid1(VALU_DEP_2)
	v_mul_hi_u32 v5, v1, v4
	v_mul_lo_u32 v6, v1, v3
	v_mul_hi_u32 v7, v1, v3
	v_mul_hi_u32 v9, v2, v4
	v_mul_lo_u32 v4, v2, v4
	v_mul_hi_u32 v10, v2, v3
	v_mul_lo_u32 v3, v2, v3
	v_add_co_u32 v5, vcc_lo, v5, v6
	v_add_co_ci_u32_e32 v6, vcc_lo, 0, v7, vcc_lo
	s_delay_alu instid0(VALU_DEP_2) | instskip(NEXT) | instid1(VALU_DEP_2)
	v_add_co_u32 v4, vcc_lo, v5, v4
	v_add_co_ci_u32_e32 v4, vcc_lo, v6, v9, vcc_lo
	v_add_co_ci_u32_e32 v5, vcc_lo, 0, v10, vcc_lo
	v_add_co_u32 v6, vcc_lo, v29, v8
	v_add_co_ci_u32_e32 v7, vcc_lo, v30, v8, vcc_lo
	s_delay_alu instid0(VALU_DEP_4) | instskip(NEXT) | instid1(VALU_DEP_4)
	v_add_co_u32 v3, vcc_lo, v4, v3
	v_add_co_ci_u32_e32 v4, vcc_lo, 0, v5, vcc_lo
	s_delay_alu instid0(VALU_DEP_4) | instskip(NEXT) | instid1(VALU_DEP_3)
	v_xor_b32_e32 v9, v6, v8
	v_add_co_u32 v5, vcc_lo, v1, v3
	s_delay_alu instid0(VALU_DEP_3) | instskip(SKIP_1) | instid1(VALU_DEP_3)
	v_add_co_ci_u32_e32 v10, vcc_lo, v2, v4, vcc_lo
	v_xor_b32_e32 v7, v7, v8
	v_mul_hi_u32 v11, v9, v5
	s_delay_alu instid0(VALU_DEP_3) | instskip(NEXT) | instid1(VALU_DEP_3)
	v_mad_u64_u32 v[1:2], null, v9, v10, 0
	v_mad_u64_u32 v[3:4], null, v7, v5, 0
	;; [unrolled: 1-line block ×3, first 2 shown]
	s_delay_alu instid0(VALU_DEP_3) | instskip(NEXT) | instid1(VALU_DEP_4)
	v_add_co_u32 v1, vcc_lo, v11, v1
	v_add_co_ci_u32_e32 v2, vcc_lo, 0, v2, vcc_lo
	s_delay_alu instid0(VALU_DEP_2) | instskip(NEXT) | instid1(VALU_DEP_2)
	v_add_co_u32 v1, vcc_lo, v1, v3
	v_add_co_ci_u32_e32 v1, vcc_lo, v2, v4, vcc_lo
	v_add_co_ci_u32_e32 v2, vcc_lo, 0, v6, vcc_lo
	s_delay_alu instid0(VALU_DEP_2) | instskip(NEXT) | instid1(VALU_DEP_2)
	v_add_co_u32 v3, vcc_lo, v1, v5
	v_add_co_ci_u32_e32 v4, vcc_lo, 0, v2, vcc_lo
	s_delay_alu instid0(VALU_DEP_2) | instskip(SKIP_1) | instid1(VALU_DEP_3)
	v_mul_lo_u32 v5, s7, v3
	v_mad_u64_u32 v[1:2], null, s6, v3, 0
	v_mul_lo_u32 v6, s6, v4
	s_delay_alu instid0(VALU_DEP_2) | instskip(NEXT) | instid1(VALU_DEP_2)
	v_sub_co_u32 v1, vcc_lo, v9, v1
	v_add3_u32 v2, v2, v6, v5
	s_delay_alu instid0(VALU_DEP_1) | instskip(NEXT) | instid1(VALU_DEP_1)
	v_sub_nc_u32_e32 v5, v7, v2
	v_subrev_co_ci_u32_e64 v5, s0, s7, v5, vcc_lo
	v_add_co_u32 v6, s0, v3, 2
	s_delay_alu instid0(VALU_DEP_1) | instskip(SKIP_3) | instid1(VALU_DEP_3)
	v_add_co_ci_u32_e64 v9, s0, 0, v4, s0
	v_sub_co_u32 v10, s0, v1, s6
	v_sub_co_ci_u32_e32 v2, vcc_lo, v7, v2, vcc_lo
	v_subrev_co_ci_u32_e64 v5, s0, 0, v5, s0
	v_cmp_le_u32_e32 vcc_lo, s6, v10
	s_delay_alu instid0(VALU_DEP_3) | instskip(SKIP_1) | instid1(VALU_DEP_4)
	v_cmp_eq_u32_e64 s0, s7, v2
	v_cndmask_b32_e64 v7, 0, -1, vcc_lo
	v_cmp_le_u32_e32 vcc_lo, s7, v5
	v_cndmask_b32_e64 v10, 0, -1, vcc_lo
	v_cmp_le_u32_e32 vcc_lo, s6, v1
	;; [unrolled: 2-line block ×3, first 2 shown]
	v_cndmask_b32_e64 v11, 0, -1, vcc_lo
	v_cmp_eq_u32_e32 vcc_lo, s7, v5
	s_delay_alu instid0(VALU_DEP_2) | instskip(SKIP_3) | instid1(VALU_DEP_3)
	v_cndmask_b32_e64 v1, v11, v1, s0
	v_cndmask_b32_e32 v5, v10, v7, vcc_lo
	v_add_co_u32 v7, vcc_lo, v3, 1
	v_add_co_ci_u32_e32 v10, vcc_lo, 0, v4, vcc_lo
	v_cmp_ne_u32_e32 vcc_lo, 0, v5
	s_delay_alu instid0(VALU_DEP_2) | instskip(SKIP_2) | instid1(VALU_DEP_3)
	v_dual_cndmask_b32 v2, v10, v9 :: v_dual_cndmask_b32 v5, v7, v6
	v_cmp_ne_u32_e32 vcc_lo, 0, v1
	v_xor_b32_e32 v6, s4, v8
	v_dual_cndmask_b32 v1, v4, v2 :: v_dual_cndmask_b32 v2, v3, v5
	s_delay_alu instid0(VALU_DEP_1) | instskip(NEXT) | instid1(VALU_DEP_2)
	v_xor_b32_e32 v3, v1, v6
	v_xor_b32_e32 v2, v2, v6
	s_delay_alu instid0(VALU_DEP_1) | instskip(NEXT) | instid1(VALU_DEP_3)
	v_sub_co_u32 v1, vcc_lo, v2, v6
	v_sub_co_ci_u32_e32 v2, vcc_lo, v3, v6, vcc_lo
.LBB1149_7:
	s_and_not1_saveexec_b32 s0, s1
	s_cbranch_execz .LBB1149_9
; %bb.8:
	v_cvt_f32_u32_e32 v1, s38
	s_sub_i32 s1, 0, s38
	s_delay_alu instid0(VALU_DEP_1) | instskip(SKIP_2) | instid1(VALU_DEP_1)
	v_rcp_iflag_f32_e32 v1, v1
	s_waitcnt_depctr 0xfff
	v_mul_f32_e32 v1, 0x4f7ffffe, v1
	v_cvt_u32_f32_e32 v1, v1
	s_delay_alu instid0(VALU_DEP_1) | instskip(NEXT) | instid1(VALU_DEP_1)
	v_mul_lo_u32 v2, s1, v1
	v_mul_hi_u32 v2, v1, v2
	s_delay_alu instid0(VALU_DEP_1) | instskip(NEXT) | instid1(VALU_DEP_1)
	v_add_nc_u32_e32 v1, v1, v2
	v_mul_hi_u32 v1, v29, v1
	s_delay_alu instid0(VALU_DEP_1) | instskip(SKIP_1) | instid1(VALU_DEP_2)
	v_mul_lo_u32 v2, v1, s38
	v_add_nc_u32_e32 v3, 1, v1
	v_sub_nc_u32_e32 v2, v29, v2
	s_delay_alu instid0(VALU_DEP_1) | instskip(SKIP_1) | instid1(VALU_DEP_2)
	v_subrev_nc_u32_e32 v4, s38, v2
	v_cmp_le_u32_e32 vcc_lo, s38, v2
	v_dual_cndmask_b32 v2, v2, v4 :: v_dual_cndmask_b32 v1, v1, v3
	s_delay_alu instid0(VALU_DEP_1) | instskip(NEXT) | instid1(VALU_DEP_2)
	v_cmp_le_u32_e32 vcc_lo, s38, v2
	v_dual_mov_b32 v2, 0 :: v_dual_add_nc_u32 v3, 1, v1
	s_delay_alu instid0(VALU_DEP_1)
	v_cndmask_b32_e32 v1, v1, v3, vcc_lo
.LBB1149_9:
	s_or_b32 exec_lo, exec_lo, s0
	v_add_co_u32 v5, vcc_lo, 0x100, v29
	v_add_co_ci_u32_e32 v6, vcc_lo, 0, v30, vcc_lo
	v_mov_b32_e32 v3, 0
	s_delay_alu instid0(VALU_DEP_2) | instskip(NEXT) | instid1(VALU_DEP_1)
	v_or_b32_e32 v4, s39, v6
	v_cmp_ne_u64_e32 vcc_lo, 0, v[3:4]
                                        ; implicit-def: $vgpr3_vgpr4
	s_and_saveexec_b32 s0, vcc_lo
	s_delay_alu instid0(SALU_CYCLE_1)
	s_xor_b32 s1, exec_lo, s0
	s_cbranch_execz .LBB1149_11
; %bb.10:
	s_ashr_i32 s4, s39, 31
	s_delay_alu instid0(SALU_CYCLE_1) | instskip(SKIP_2) | instid1(SALU_CYCLE_1)
	s_add_u32 s6, s38, s4
	s_mov_b32 s5, s4
	s_addc_u32 s7, s39, s4
	s_xor_b64 s[6:7], s[6:7], s[4:5]
	s_delay_alu instid0(SALU_CYCLE_1) | instskip(SKIP_3) | instid1(VALU_DEP_1)
	v_cvt_f32_u32_e32 v3, s6
	v_cvt_f32_u32_e32 v4, s7
	s_sub_u32 s0, 0, s6
	s_subb_u32 s5, 0, s7
	v_fmamk_f32 v3, v4, 0x4f800000, v3
	s_delay_alu instid0(VALU_DEP_1) | instskip(SKIP_2) | instid1(VALU_DEP_1)
	v_rcp_f32_e32 v3, v3
	s_waitcnt_depctr 0xfff
	v_mul_f32_e32 v3, 0x5f7ffffc, v3
	v_mul_f32_e32 v4, 0x2f800000, v3
	s_delay_alu instid0(VALU_DEP_1) | instskip(NEXT) | instid1(VALU_DEP_1)
	v_trunc_f32_e32 v4, v4
	v_fmamk_f32 v3, v4, 0xcf800000, v3
	v_cvt_u32_f32_e32 v4, v4
	s_delay_alu instid0(VALU_DEP_2) | instskip(NEXT) | instid1(VALU_DEP_2)
	v_cvt_u32_f32_e32 v3, v3
	v_mul_lo_u32 v7, s0, v4
	s_delay_alu instid0(VALU_DEP_2) | instskip(SKIP_1) | instid1(VALU_DEP_2)
	v_mul_hi_u32 v8, s0, v3
	v_mul_lo_u32 v9, s5, v3
	v_add_nc_u32_e32 v7, v8, v7
	v_mul_lo_u32 v8, s0, v3
	s_delay_alu instid0(VALU_DEP_2) | instskip(NEXT) | instid1(VALU_DEP_2)
	v_add_nc_u32_e32 v7, v7, v9
	v_mul_hi_u32 v9, v3, v8
	s_delay_alu instid0(VALU_DEP_2)
	v_mul_lo_u32 v10, v3, v7
	v_mul_hi_u32 v11, v3, v7
	v_mul_hi_u32 v12, v4, v8
	v_mul_lo_u32 v8, v4, v8
	v_mul_hi_u32 v13, v4, v7
	v_mul_lo_u32 v7, v4, v7
	v_add_co_u32 v9, vcc_lo, v9, v10
	v_add_co_ci_u32_e32 v10, vcc_lo, 0, v11, vcc_lo
	s_delay_alu instid0(VALU_DEP_2) | instskip(NEXT) | instid1(VALU_DEP_2)
	v_add_co_u32 v8, vcc_lo, v9, v8
	v_add_co_ci_u32_e32 v8, vcc_lo, v10, v12, vcc_lo
	v_add_co_ci_u32_e32 v9, vcc_lo, 0, v13, vcc_lo
	v_ashrrev_i32_e32 v12, 31, v6
	s_delay_alu instid0(VALU_DEP_3) | instskip(NEXT) | instid1(VALU_DEP_3)
	v_add_co_u32 v7, vcc_lo, v8, v7
	v_add_co_ci_u32_e32 v8, vcc_lo, 0, v9, vcc_lo
	s_delay_alu instid0(VALU_DEP_2) | instskip(NEXT) | instid1(VALU_DEP_2)
	v_add_co_u32 v3, vcc_lo, v3, v7
	v_add_co_ci_u32_e32 v4, vcc_lo, v4, v8, vcc_lo
	s_delay_alu instid0(VALU_DEP_2) | instskip(SKIP_1) | instid1(VALU_DEP_3)
	v_mul_hi_u32 v7, s0, v3
	v_mul_lo_u32 v9, s5, v3
	v_mul_lo_u32 v8, s0, v4
	s_delay_alu instid0(VALU_DEP_1) | instskip(SKIP_1) | instid1(VALU_DEP_2)
	v_add_nc_u32_e32 v7, v7, v8
	v_mul_lo_u32 v8, s0, v3
	v_add_nc_u32_e32 v7, v7, v9
	s_delay_alu instid0(VALU_DEP_2) | instskip(NEXT) | instid1(VALU_DEP_2)
	v_mul_hi_u32 v9, v3, v8
	v_mul_lo_u32 v10, v3, v7
	v_mul_hi_u32 v11, v3, v7
	v_mul_hi_u32 v13, v4, v8
	v_mul_lo_u32 v8, v4, v8
	v_mul_hi_u32 v14, v4, v7
	v_mul_lo_u32 v7, v4, v7
	v_add_co_u32 v9, vcc_lo, v9, v10
	v_add_co_ci_u32_e32 v10, vcc_lo, 0, v11, vcc_lo
	s_delay_alu instid0(VALU_DEP_2) | instskip(NEXT) | instid1(VALU_DEP_2)
	v_add_co_u32 v8, vcc_lo, v9, v8
	v_add_co_ci_u32_e32 v8, vcc_lo, v10, v13, vcc_lo
	v_add_co_ci_u32_e32 v9, vcc_lo, 0, v14, vcc_lo
	v_add_co_u32 v5, vcc_lo, v5, v12
	v_add_co_ci_u32_e32 v6, vcc_lo, v6, v12, vcc_lo
	s_delay_alu instid0(VALU_DEP_4) | instskip(NEXT) | instid1(VALU_DEP_4)
	v_add_co_u32 v7, vcc_lo, v8, v7
	v_add_co_ci_u32_e32 v8, vcc_lo, 0, v9, vcc_lo
	s_delay_alu instid0(VALU_DEP_4) | instskip(NEXT) | instid1(VALU_DEP_3)
	v_xor_b32_e32 v9, v5, v12
	v_add_co_u32 v7, vcc_lo, v3, v7
	s_delay_alu instid0(VALU_DEP_3) | instskip(SKIP_1) | instid1(VALU_DEP_3)
	v_add_co_ci_u32_e32 v10, vcc_lo, v4, v8, vcc_lo
	v_xor_b32_e32 v11, v6, v12
	v_mul_hi_u32 v13, v9, v7
	s_delay_alu instid0(VALU_DEP_3) | instskip(NEXT) | instid1(VALU_DEP_3)
	v_mad_u64_u32 v[3:4], null, v9, v10, 0
	v_mad_u64_u32 v[5:6], null, v11, v7, 0
	;; [unrolled: 1-line block ×3, first 2 shown]
	s_delay_alu instid0(VALU_DEP_3) | instskip(NEXT) | instid1(VALU_DEP_4)
	v_add_co_u32 v3, vcc_lo, v13, v3
	v_add_co_ci_u32_e32 v4, vcc_lo, 0, v4, vcc_lo
	s_delay_alu instid0(VALU_DEP_2) | instskip(NEXT) | instid1(VALU_DEP_2)
	v_add_co_u32 v3, vcc_lo, v3, v5
	v_add_co_ci_u32_e32 v3, vcc_lo, v4, v6, vcc_lo
	v_add_co_ci_u32_e32 v4, vcc_lo, 0, v8, vcc_lo
	s_delay_alu instid0(VALU_DEP_2) | instskip(NEXT) | instid1(VALU_DEP_2)
	v_add_co_u32 v5, vcc_lo, v3, v7
	v_add_co_ci_u32_e32 v6, vcc_lo, 0, v4, vcc_lo
	s_delay_alu instid0(VALU_DEP_2) | instskip(SKIP_1) | instid1(VALU_DEP_3)
	v_mul_lo_u32 v7, s7, v5
	v_mad_u64_u32 v[3:4], null, s6, v5, 0
	v_mul_lo_u32 v8, s6, v6
	s_delay_alu instid0(VALU_DEP_2) | instskip(NEXT) | instid1(VALU_DEP_2)
	v_sub_co_u32 v3, vcc_lo, v9, v3
	v_add3_u32 v4, v4, v8, v7
	s_delay_alu instid0(VALU_DEP_1) | instskip(NEXT) | instid1(VALU_DEP_1)
	v_sub_nc_u32_e32 v7, v11, v4
	v_subrev_co_ci_u32_e64 v7, s0, s7, v7, vcc_lo
	v_add_co_u32 v8, s0, v5, 2
	s_delay_alu instid0(VALU_DEP_1) | instskip(SKIP_3) | instid1(VALU_DEP_3)
	v_add_co_ci_u32_e64 v9, s0, 0, v6, s0
	v_sub_co_u32 v10, s0, v3, s6
	v_sub_co_ci_u32_e32 v4, vcc_lo, v11, v4, vcc_lo
	v_subrev_co_ci_u32_e64 v7, s0, 0, v7, s0
	v_cmp_le_u32_e32 vcc_lo, s6, v10
	s_delay_alu instid0(VALU_DEP_3) | instskip(SKIP_1) | instid1(VALU_DEP_4)
	v_cmp_eq_u32_e64 s0, s7, v4
	v_cndmask_b32_e64 v10, 0, -1, vcc_lo
	v_cmp_le_u32_e32 vcc_lo, s7, v7
	v_cndmask_b32_e64 v11, 0, -1, vcc_lo
	v_cmp_le_u32_e32 vcc_lo, s6, v3
	;; [unrolled: 2-line block ×3, first 2 shown]
	v_cndmask_b32_e64 v13, 0, -1, vcc_lo
	v_cmp_eq_u32_e32 vcc_lo, s7, v7
	s_delay_alu instid0(VALU_DEP_2) | instskip(SKIP_3) | instid1(VALU_DEP_3)
	v_cndmask_b32_e64 v3, v13, v3, s0
	v_cndmask_b32_e32 v7, v11, v10, vcc_lo
	v_add_co_u32 v10, vcc_lo, v5, 1
	v_add_co_ci_u32_e32 v11, vcc_lo, 0, v6, vcc_lo
	v_cmp_ne_u32_e32 vcc_lo, 0, v7
	s_delay_alu instid0(VALU_DEP_2) | instskip(SKIP_2) | instid1(VALU_DEP_3)
	v_dual_cndmask_b32 v4, v11, v9 :: v_dual_cndmask_b32 v7, v10, v8
	v_cmp_ne_u32_e32 vcc_lo, 0, v3
	v_xor_b32_e32 v8, s4, v12
	v_dual_cndmask_b32 v3, v6, v4 :: v_dual_cndmask_b32 v4, v5, v7
	s_delay_alu instid0(VALU_DEP_1) | instskip(NEXT) | instid1(VALU_DEP_2)
	v_xor_b32_e32 v5, v3, v8
	v_xor_b32_e32 v4, v4, v8
	s_delay_alu instid0(VALU_DEP_1) | instskip(NEXT) | instid1(VALU_DEP_3)
	v_sub_co_u32 v3, vcc_lo, v4, v8
	v_sub_co_ci_u32_e32 v4, vcc_lo, v5, v8, vcc_lo
                                        ; implicit-def: $vgpr5
.LBB1149_11:
	s_and_not1_saveexec_b32 s0, s1
	s_cbranch_execz .LBB1149_13
; %bb.12:
	v_cvt_f32_u32_e32 v3, s38
	s_sub_i32 s1, 0, s38
	s_delay_alu instid0(VALU_DEP_1) | instskip(SKIP_2) | instid1(VALU_DEP_1)
	v_rcp_iflag_f32_e32 v3, v3
	s_waitcnt_depctr 0xfff
	v_mul_f32_e32 v3, 0x4f7ffffe, v3
	v_cvt_u32_f32_e32 v3, v3
	s_delay_alu instid0(VALU_DEP_1) | instskip(NEXT) | instid1(VALU_DEP_1)
	v_mul_lo_u32 v4, s1, v3
	v_mul_hi_u32 v4, v3, v4
	s_delay_alu instid0(VALU_DEP_1) | instskip(NEXT) | instid1(VALU_DEP_1)
	v_add_nc_u32_e32 v3, v3, v4
	v_mul_hi_u32 v3, v5, v3
	s_delay_alu instid0(VALU_DEP_1) | instskip(NEXT) | instid1(VALU_DEP_1)
	v_mul_lo_u32 v4, v3, s38
	v_sub_nc_u32_e32 v4, v5, v4
	v_add_nc_u32_e32 v5, 1, v3
	s_delay_alu instid0(VALU_DEP_2) | instskip(SKIP_1) | instid1(VALU_DEP_2)
	v_subrev_nc_u32_e32 v6, s38, v4
	v_cmp_le_u32_e32 vcc_lo, s38, v4
	v_dual_cndmask_b32 v4, v4, v6 :: v_dual_cndmask_b32 v3, v3, v5
	s_delay_alu instid0(VALU_DEP_1) | instskip(NEXT) | instid1(VALU_DEP_2)
	v_cmp_le_u32_e32 vcc_lo, s38, v4
	v_dual_mov_b32 v4, 0 :: v_dual_add_nc_u32 v5, 1, v3
	s_delay_alu instid0(VALU_DEP_1)
	v_cndmask_b32_e32 v3, v3, v5, vcc_lo
.LBB1149_13:
	s_or_b32 exec_lo, exec_lo, s0
	v_add_co_u32 v7, vcc_lo, 0x200, v29
	v_add_co_ci_u32_e32 v8, vcc_lo, 0, v30, vcc_lo
	v_mov_b32_e32 v5, 0
	s_delay_alu instid0(VALU_DEP_2) | instskip(NEXT) | instid1(VALU_DEP_1)
	v_or_b32_e32 v6, s39, v8
	v_cmp_ne_u64_e32 vcc_lo, 0, v[5:6]
                                        ; implicit-def: $vgpr5_vgpr6
	s_and_saveexec_b32 s0, vcc_lo
	s_delay_alu instid0(SALU_CYCLE_1)
	s_xor_b32 s1, exec_lo, s0
	s_cbranch_execz .LBB1149_15
; %bb.14:
	s_ashr_i32 s4, s39, 31
	s_delay_alu instid0(SALU_CYCLE_1) | instskip(SKIP_2) | instid1(SALU_CYCLE_1)
	s_add_u32 s6, s38, s4
	s_mov_b32 s5, s4
	s_addc_u32 s7, s39, s4
	s_xor_b64 s[6:7], s[6:7], s[4:5]
	s_delay_alu instid0(SALU_CYCLE_1) | instskip(SKIP_3) | instid1(VALU_DEP_1)
	v_cvt_f32_u32_e32 v5, s6
	v_cvt_f32_u32_e32 v6, s7
	s_sub_u32 s0, 0, s6
	s_subb_u32 s5, 0, s7
	v_fmamk_f32 v5, v6, 0x4f800000, v5
	s_delay_alu instid0(VALU_DEP_1) | instskip(SKIP_2) | instid1(VALU_DEP_1)
	v_rcp_f32_e32 v5, v5
	s_waitcnt_depctr 0xfff
	v_mul_f32_e32 v5, 0x5f7ffffc, v5
	v_mul_f32_e32 v6, 0x2f800000, v5
	s_delay_alu instid0(VALU_DEP_1) | instskip(NEXT) | instid1(VALU_DEP_1)
	v_trunc_f32_e32 v6, v6
	v_fmamk_f32 v5, v6, 0xcf800000, v5
	v_cvt_u32_f32_e32 v6, v6
	s_delay_alu instid0(VALU_DEP_2) | instskip(NEXT) | instid1(VALU_DEP_2)
	v_cvt_u32_f32_e32 v5, v5
	v_mul_lo_u32 v9, s0, v6
	s_delay_alu instid0(VALU_DEP_2) | instskip(SKIP_1) | instid1(VALU_DEP_2)
	v_mul_hi_u32 v10, s0, v5
	v_mul_lo_u32 v11, s5, v5
	v_add_nc_u32_e32 v9, v10, v9
	v_mul_lo_u32 v10, s0, v5
	s_delay_alu instid0(VALU_DEP_2) | instskip(NEXT) | instid1(VALU_DEP_2)
	v_add_nc_u32_e32 v9, v9, v11
	v_mul_hi_u32 v11, v5, v10
	s_delay_alu instid0(VALU_DEP_2)
	v_mul_lo_u32 v12, v5, v9
	v_mul_hi_u32 v13, v5, v9
	v_mul_hi_u32 v14, v6, v10
	v_mul_lo_u32 v10, v6, v10
	v_mul_hi_u32 v15, v6, v9
	v_mul_lo_u32 v9, v6, v9
	v_add_co_u32 v11, vcc_lo, v11, v12
	v_add_co_ci_u32_e32 v12, vcc_lo, 0, v13, vcc_lo
	s_delay_alu instid0(VALU_DEP_2) | instskip(NEXT) | instid1(VALU_DEP_2)
	v_add_co_u32 v10, vcc_lo, v11, v10
	v_add_co_ci_u32_e32 v10, vcc_lo, v12, v14, vcc_lo
	v_add_co_ci_u32_e32 v11, vcc_lo, 0, v15, vcc_lo
	v_ashrrev_i32_e32 v14, 31, v8
	s_delay_alu instid0(VALU_DEP_3) | instskip(NEXT) | instid1(VALU_DEP_3)
	v_add_co_u32 v9, vcc_lo, v10, v9
	v_add_co_ci_u32_e32 v10, vcc_lo, 0, v11, vcc_lo
	s_delay_alu instid0(VALU_DEP_2) | instskip(NEXT) | instid1(VALU_DEP_2)
	v_add_co_u32 v5, vcc_lo, v5, v9
	v_add_co_ci_u32_e32 v6, vcc_lo, v6, v10, vcc_lo
	s_delay_alu instid0(VALU_DEP_2) | instskip(SKIP_1) | instid1(VALU_DEP_3)
	v_mul_hi_u32 v9, s0, v5
	v_mul_lo_u32 v11, s5, v5
	v_mul_lo_u32 v10, s0, v6
	s_delay_alu instid0(VALU_DEP_1) | instskip(SKIP_1) | instid1(VALU_DEP_2)
	v_add_nc_u32_e32 v9, v9, v10
	v_mul_lo_u32 v10, s0, v5
	v_add_nc_u32_e32 v9, v9, v11
	s_delay_alu instid0(VALU_DEP_2) | instskip(NEXT) | instid1(VALU_DEP_2)
	v_mul_hi_u32 v11, v5, v10
	v_mul_lo_u32 v12, v5, v9
	v_mul_hi_u32 v13, v5, v9
	v_mul_hi_u32 v15, v6, v10
	v_mul_lo_u32 v10, v6, v10
	v_mul_hi_u32 v16, v6, v9
	v_mul_lo_u32 v9, v6, v9
	v_add_co_u32 v11, vcc_lo, v11, v12
	v_add_co_ci_u32_e32 v12, vcc_lo, 0, v13, vcc_lo
	s_delay_alu instid0(VALU_DEP_2) | instskip(NEXT) | instid1(VALU_DEP_2)
	v_add_co_u32 v10, vcc_lo, v11, v10
	v_add_co_ci_u32_e32 v10, vcc_lo, v12, v15, vcc_lo
	v_add_co_ci_u32_e32 v11, vcc_lo, 0, v16, vcc_lo
	v_add_co_u32 v7, vcc_lo, v7, v14
	v_add_co_ci_u32_e32 v8, vcc_lo, v8, v14, vcc_lo
	s_delay_alu instid0(VALU_DEP_4) | instskip(NEXT) | instid1(VALU_DEP_4)
	v_add_co_u32 v9, vcc_lo, v10, v9
	v_add_co_ci_u32_e32 v10, vcc_lo, 0, v11, vcc_lo
	s_delay_alu instid0(VALU_DEP_4) | instskip(NEXT) | instid1(VALU_DEP_3)
	v_xor_b32_e32 v11, v7, v14
	v_add_co_u32 v9, vcc_lo, v5, v9
	s_delay_alu instid0(VALU_DEP_3) | instskip(SKIP_1) | instid1(VALU_DEP_3)
	v_add_co_ci_u32_e32 v12, vcc_lo, v6, v10, vcc_lo
	v_xor_b32_e32 v13, v8, v14
	v_mul_hi_u32 v15, v11, v9
	s_delay_alu instid0(VALU_DEP_3) | instskip(NEXT) | instid1(VALU_DEP_3)
	v_mad_u64_u32 v[5:6], null, v11, v12, 0
	v_mad_u64_u32 v[7:8], null, v13, v9, 0
	v_mad_u64_u32 v[9:10], null, v13, v12, 0
	s_delay_alu instid0(VALU_DEP_3) | instskip(NEXT) | instid1(VALU_DEP_4)
	v_add_co_u32 v5, vcc_lo, v15, v5
	v_add_co_ci_u32_e32 v6, vcc_lo, 0, v6, vcc_lo
	s_delay_alu instid0(VALU_DEP_2) | instskip(NEXT) | instid1(VALU_DEP_2)
	v_add_co_u32 v5, vcc_lo, v5, v7
	v_add_co_ci_u32_e32 v5, vcc_lo, v6, v8, vcc_lo
	v_add_co_ci_u32_e32 v6, vcc_lo, 0, v10, vcc_lo
	s_delay_alu instid0(VALU_DEP_2) | instskip(NEXT) | instid1(VALU_DEP_2)
	v_add_co_u32 v7, vcc_lo, v5, v9
	v_add_co_ci_u32_e32 v8, vcc_lo, 0, v6, vcc_lo
	s_delay_alu instid0(VALU_DEP_2) | instskip(SKIP_1) | instid1(VALU_DEP_3)
	v_mul_lo_u32 v9, s7, v7
	v_mad_u64_u32 v[5:6], null, s6, v7, 0
	v_mul_lo_u32 v10, s6, v8
	s_delay_alu instid0(VALU_DEP_2) | instskip(NEXT) | instid1(VALU_DEP_2)
	v_sub_co_u32 v5, vcc_lo, v11, v5
	v_add3_u32 v6, v6, v10, v9
	s_delay_alu instid0(VALU_DEP_1) | instskip(NEXT) | instid1(VALU_DEP_1)
	v_sub_nc_u32_e32 v9, v13, v6
	v_subrev_co_ci_u32_e64 v9, s0, s7, v9, vcc_lo
	v_add_co_u32 v10, s0, v7, 2
	s_delay_alu instid0(VALU_DEP_1) | instskip(SKIP_3) | instid1(VALU_DEP_3)
	v_add_co_ci_u32_e64 v11, s0, 0, v8, s0
	v_sub_co_u32 v12, s0, v5, s6
	v_sub_co_ci_u32_e32 v6, vcc_lo, v13, v6, vcc_lo
	v_subrev_co_ci_u32_e64 v9, s0, 0, v9, s0
	v_cmp_le_u32_e32 vcc_lo, s6, v12
	s_delay_alu instid0(VALU_DEP_3) | instskip(SKIP_1) | instid1(VALU_DEP_4)
	v_cmp_eq_u32_e64 s0, s7, v6
	v_cndmask_b32_e64 v12, 0, -1, vcc_lo
	v_cmp_le_u32_e32 vcc_lo, s7, v9
	v_cndmask_b32_e64 v13, 0, -1, vcc_lo
	v_cmp_le_u32_e32 vcc_lo, s6, v5
	;; [unrolled: 2-line block ×3, first 2 shown]
	v_cndmask_b32_e64 v15, 0, -1, vcc_lo
	v_cmp_eq_u32_e32 vcc_lo, s7, v9
	s_delay_alu instid0(VALU_DEP_2) | instskip(SKIP_3) | instid1(VALU_DEP_3)
	v_cndmask_b32_e64 v5, v15, v5, s0
	v_cndmask_b32_e32 v9, v13, v12, vcc_lo
	v_add_co_u32 v12, vcc_lo, v7, 1
	v_add_co_ci_u32_e32 v13, vcc_lo, 0, v8, vcc_lo
	v_cmp_ne_u32_e32 vcc_lo, 0, v9
	s_delay_alu instid0(VALU_DEP_2) | instskip(SKIP_2) | instid1(VALU_DEP_3)
	v_dual_cndmask_b32 v6, v13, v11 :: v_dual_cndmask_b32 v9, v12, v10
	v_cmp_ne_u32_e32 vcc_lo, 0, v5
	v_xor_b32_e32 v10, s4, v14
	v_dual_cndmask_b32 v5, v8, v6 :: v_dual_cndmask_b32 v6, v7, v9
	s_delay_alu instid0(VALU_DEP_1) | instskip(NEXT) | instid1(VALU_DEP_2)
	v_xor_b32_e32 v7, v5, v10
	v_xor_b32_e32 v6, v6, v10
	s_delay_alu instid0(VALU_DEP_1) | instskip(NEXT) | instid1(VALU_DEP_3)
	v_sub_co_u32 v5, vcc_lo, v6, v10
	v_sub_co_ci_u32_e32 v6, vcc_lo, v7, v10, vcc_lo
                                        ; implicit-def: $vgpr7
.LBB1149_15:
	s_and_not1_saveexec_b32 s0, s1
	s_cbranch_execz .LBB1149_17
; %bb.16:
	v_cvt_f32_u32_e32 v5, s38
	s_sub_i32 s1, 0, s38
	s_delay_alu instid0(VALU_DEP_1) | instskip(SKIP_2) | instid1(VALU_DEP_1)
	v_rcp_iflag_f32_e32 v5, v5
	s_waitcnt_depctr 0xfff
	v_mul_f32_e32 v5, 0x4f7ffffe, v5
	v_cvt_u32_f32_e32 v5, v5
	s_delay_alu instid0(VALU_DEP_1) | instskip(NEXT) | instid1(VALU_DEP_1)
	v_mul_lo_u32 v6, s1, v5
	v_mul_hi_u32 v6, v5, v6
	s_delay_alu instid0(VALU_DEP_1) | instskip(NEXT) | instid1(VALU_DEP_1)
	v_add_nc_u32_e32 v5, v5, v6
	v_mul_hi_u32 v5, v7, v5
	s_delay_alu instid0(VALU_DEP_1) | instskip(NEXT) | instid1(VALU_DEP_1)
	v_mul_lo_u32 v6, v5, s38
	v_sub_nc_u32_e32 v6, v7, v6
	v_add_nc_u32_e32 v7, 1, v5
	s_delay_alu instid0(VALU_DEP_2) | instskip(SKIP_1) | instid1(VALU_DEP_2)
	v_subrev_nc_u32_e32 v8, s38, v6
	v_cmp_le_u32_e32 vcc_lo, s38, v6
	v_dual_cndmask_b32 v6, v6, v8 :: v_dual_cndmask_b32 v5, v5, v7
	s_delay_alu instid0(VALU_DEP_1) | instskip(NEXT) | instid1(VALU_DEP_2)
	v_cmp_le_u32_e32 vcc_lo, s38, v6
	v_dual_mov_b32 v6, 0 :: v_dual_add_nc_u32 v7, 1, v5
	s_delay_alu instid0(VALU_DEP_1)
	v_cndmask_b32_e32 v5, v5, v7, vcc_lo
.LBB1149_17:
	s_or_b32 exec_lo, exec_lo, s0
	v_add_co_u32 v9, vcc_lo, 0x300, v29
	v_add_co_ci_u32_e32 v10, vcc_lo, 0, v30, vcc_lo
	v_mov_b32_e32 v7, 0
	s_delay_alu instid0(VALU_DEP_2) | instskip(NEXT) | instid1(VALU_DEP_1)
	v_or_b32_e32 v8, s39, v10
	v_cmp_ne_u64_e32 vcc_lo, 0, v[7:8]
                                        ; implicit-def: $vgpr7_vgpr8
	s_and_saveexec_b32 s0, vcc_lo
	s_delay_alu instid0(SALU_CYCLE_1)
	s_xor_b32 s1, exec_lo, s0
	s_cbranch_execz .LBB1149_19
; %bb.18:
	s_ashr_i32 s4, s39, 31
	s_delay_alu instid0(SALU_CYCLE_1) | instskip(SKIP_2) | instid1(SALU_CYCLE_1)
	s_add_u32 s6, s38, s4
	s_mov_b32 s5, s4
	s_addc_u32 s7, s39, s4
	s_xor_b64 s[6:7], s[6:7], s[4:5]
	s_delay_alu instid0(SALU_CYCLE_1) | instskip(SKIP_3) | instid1(VALU_DEP_1)
	v_cvt_f32_u32_e32 v7, s6
	v_cvt_f32_u32_e32 v8, s7
	s_sub_u32 s0, 0, s6
	s_subb_u32 s5, 0, s7
	v_fmamk_f32 v7, v8, 0x4f800000, v7
	s_delay_alu instid0(VALU_DEP_1) | instskip(SKIP_2) | instid1(VALU_DEP_1)
	v_rcp_f32_e32 v7, v7
	s_waitcnt_depctr 0xfff
	v_mul_f32_e32 v7, 0x5f7ffffc, v7
	v_mul_f32_e32 v8, 0x2f800000, v7
	s_delay_alu instid0(VALU_DEP_1) | instskip(NEXT) | instid1(VALU_DEP_1)
	v_trunc_f32_e32 v8, v8
	v_fmamk_f32 v7, v8, 0xcf800000, v7
	v_cvt_u32_f32_e32 v8, v8
	s_delay_alu instid0(VALU_DEP_2) | instskip(NEXT) | instid1(VALU_DEP_2)
	v_cvt_u32_f32_e32 v7, v7
	v_mul_lo_u32 v11, s0, v8
	s_delay_alu instid0(VALU_DEP_2) | instskip(SKIP_1) | instid1(VALU_DEP_2)
	v_mul_hi_u32 v12, s0, v7
	v_mul_lo_u32 v13, s5, v7
	v_add_nc_u32_e32 v11, v12, v11
	v_mul_lo_u32 v12, s0, v7
	s_delay_alu instid0(VALU_DEP_2) | instskip(NEXT) | instid1(VALU_DEP_2)
	v_add_nc_u32_e32 v11, v11, v13
	v_mul_hi_u32 v13, v7, v12
	s_delay_alu instid0(VALU_DEP_2)
	v_mul_lo_u32 v14, v7, v11
	v_mul_hi_u32 v15, v7, v11
	v_mul_hi_u32 v16, v8, v12
	v_mul_lo_u32 v12, v8, v12
	v_mul_hi_u32 v17, v8, v11
	v_mul_lo_u32 v11, v8, v11
	v_add_co_u32 v13, vcc_lo, v13, v14
	v_add_co_ci_u32_e32 v14, vcc_lo, 0, v15, vcc_lo
	s_delay_alu instid0(VALU_DEP_2) | instskip(NEXT) | instid1(VALU_DEP_2)
	v_add_co_u32 v12, vcc_lo, v13, v12
	v_add_co_ci_u32_e32 v12, vcc_lo, v14, v16, vcc_lo
	v_add_co_ci_u32_e32 v13, vcc_lo, 0, v17, vcc_lo
	v_ashrrev_i32_e32 v16, 31, v10
	s_delay_alu instid0(VALU_DEP_3) | instskip(NEXT) | instid1(VALU_DEP_3)
	v_add_co_u32 v11, vcc_lo, v12, v11
	v_add_co_ci_u32_e32 v12, vcc_lo, 0, v13, vcc_lo
	s_delay_alu instid0(VALU_DEP_2) | instskip(NEXT) | instid1(VALU_DEP_2)
	v_add_co_u32 v7, vcc_lo, v7, v11
	v_add_co_ci_u32_e32 v8, vcc_lo, v8, v12, vcc_lo
	s_delay_alu instid0(VALU_DEP_2) | instskip(SKIP_1) | instid1(VALU_DEP_3)
	v_mul_hi_u32 v11, s0, v7
	v_mul_lo_u32 v13, s5, v7
	v_mul_lo_u32 v12, s0, v8
	s_delay_alu instid0(VALU_DEP_1) | instskip(SKIP_1) | instid1(VALU_DEP_2)
	v_add_nc_u32_e32 v11, v11, v12
	v_mul_lo_u32 v12, s0, v7
	v_add_nc_u32_e32 v11, v11, v13
	s_delay_alu instid0(VALU_DEP_2) | instskip(NEXT) | instid1(VALU_DEP_2)
	v_mul_hi_u32 v13, v7, v12
	v_mul_lo_u32 v14, v7, v11
	v_mul_hi_u32 v15, v7, v11
	v_mul_hi_u32 v17, v8, v12
	v_mul_lo_u32 v12, v8, v12
	v_mul_hi_u32 v18, v8, v11
	v_mul_lo_u32 v11, v8, v11
	v_add_co_u32 v13, vcc_lo, v13, v14
	v_add_co_ci_u32_e32 v14, vcc_lo, 0, v15, vcc_lo
	s_delay_alu instid0(VALU_DEP_2) | instskip(NEXT) | instid1(VALU_DEP_2)
	v_add_co_u32 v12, vcc_lo, v13, v12
	v_add_co_ci_u32_e32 v12, vcc_lo, v14, v17, vcc_lo
	v_add_co_ci_u32_e32 v13, vcc_lo, 0, v18, vcc_lo
	v_add_co_u32 v9, vcc_lo, v9, v16
	v_add_co_ci_u32_e32 v10, vcc_lo, v10, v16, vcc_lo
	s_delay_alu instid0(VALU_DEP_4) | instskip(NEXT) | instid1(VALU_DEP_4)
	v_add_co_u32 v11, vcc_lo, v12, v11
	v_add_co_ci_u32_e32 v12, vcc_lo, 0, v13, vcc_lo
	s_delay_alu instid0(VALU_DEP_4) | instskip(NEXT) | instid1(VALU_DEP_3)
	v_xor_b32_e32 v13, v9, v16
	v_add_co_u32 v11, vcc_lo, v7, v11
	s_delay_alu instid0(VALU_DEP_3) | instskip(SKIP_1) | instid1(VALU_DEP_3)
	v_add_co_ci_u32_e32 v14, vcc_lo, v8, v12, vcc_lo
	v_xor_b32_e32 v15, v10, v16
	v_mul_hi_u32 v17, v13, v11
	s_delay_alu instid0(VALU_DEP_3) | instskip(NEXT) | instid1(VALU_DEP_3)
	v_mad_u64_u32 v[7:8], null, v13, v14, 0
	v_mad_u64_u32 v[9:10], null, v15, v11, 0
	;; [unrolled: 1-line block ×3, first 2 shown]
	s_delay_alu instid0(VALU_DEP_3) | instskip(NEXT) | instid1(VALU_DEP_4)
	v_add_co_u32 v7, vcc_lo, v17, v7
	v_add_co_ci_u32_e32 v8, vcc_lo, 0, v8, vcc_lo
	s_delay_alu instid0(VALU_DEP_2) | instskip(NEXT) | instid1(VALU_DEP_2)
	v_add_co_u32 v7, vcc_lo, v7, v9
	v_add_co_ci_u32_e32 v7, vcc_lo, v8, v10, vcc_lo
	v_add_co_ci_u32_e32 v8, vcc_lo, 0, v12, vcc_lo
	s_delay_alu instid0(VALU_DEP_2) | instskip(NEXT) | instid1(VALU_DEP_2)
	v_add_co_u32 v9, vcc_lo, v7, v11
	v_add_co_ci_u32_e32 v10, vcc_lo, 0, v8, vcc_lo
	s_delay_alu instid0(VALU_DEP_2) | instskip(SKIP_1) | instid1(VALU_DEP_3)
	v_mul_lo_u32 v11, s7, v9
	v_mad_u64_u32 v[7:8], null, s6, v9, 0
	v_mul_lo_u32 v12, s6, v10
	s_delay_alu instid0(VALU_DEP_2) | instskip(NEXT) | instid1(VALU_DEP_2)
	v_sub_co_u32 v7, vcc_lo, v13, v7
	v_add3_u32 v8, v8, v12, v11
	s_delay_alu instid0(VALU_DEP_1) | instskip(NEXT) | instid1(VALU_DEP_1)
	v_sub_nc_u32_e32 v11, v15, v8
	v_subrev_co_ci_u32_e64 v11, s0, s7, v11, vcc_lo
	v_add_co_u32 v12, s0, v9, 2
	s_delay_alu instid0(VALU_DEP_1) | instskip(SKIP_3) | instid1(VALU_DEP_3)
	v_add_co_ci_u32_e64 v13, s0, 0, v10, s0
	v_sub_co_u32 v14, s0, v7, s6
	v_sub_co_ci_u32_e32 v8, vcc_lo, v15, v8, vcc_lo
	v_subrev_co_ci_u32_e64 v11, s0, 0, v11, s0
	v_cmp_le_u32_e32 vcc_lo, s6, v14
	s_delay_alu instid0(VALU_DEP_3) | instskip(SKIP_1) | instid1(VALU_DEP_4)
	v_cmp_eq_u32_e64 s0, s7, v8
	v_cndmask_b32_e64 v14, 0, -1, vcc_lo
	v_cmp_le_u32_e32 vcc_lo, s7, v11
	v_cndmask_b32_e64 v15, 0, -1, vcc_lo
	v_cmp_le_u32_e32 vcc_lo, s6, v7
	;; [unrolled: 2-line block ×3, first 2 shown]
	v_cndmask_b32_e64 v17, 0, -1, vcc_lo
	v_cmp_eq_u32_e32 vcc_lo, s7, v11
	s_delay_alu instid0(VALU_DEP_2) | instskip(SKIP_3) | instid1(VALU_DEP_3)
	v_cndmask_b32_e64 v7, v17, v7, s0
	v_cndmask_b32_e32 v11, v15, v14, vcc_lo
	v_add_co_u32 v14, vcc_lo, v9, 1
	v_add_co_ci_u32_e32 v15, vcc_lo, 0, v10, vcc_lo
	v_cmp_ne_u32_e32 vcc_lo, 0, v11
	s_delay_alu instid0(VALU_DEP_2) | instskip(SKIP_2) | instid1(VALU_DEP_3)
	v_dual_cndmask_b32 v8, v15, v13 :: v_dual_cndmask_b32 v11, v14, v12
	v_cmp_ne_u32_e32 vcc_lo, 0, v7
	v_xor_b32_e32 v12, s4, v16
	v_dual_cndmask_b32 v7, v10, v8 :: v_dual_cndmask_b32 v8, v9, v11
	s_delay_alu instid0(VALU_DEP_1) | instskip(NEXT) | instid1(VALU_DEP_2)
	v_xor_b32_e32 v9, v7, v12
	v_xor_b32_e32 v8, v8, v12
	s_delay_alu instid0(VALU_DEP_1) | instskip(NEXT) | instid1(VALU_DEP_3)
	v_sub_co_u32 v7, vcc_lo, v8, v12
	v_sub_co_ci_u32_e32 v8, vcc_lo, v9, v12, vcc_lo
                                        ; implicit-def: $vgpr9
.LBB1149_19:
	s_and_not1_saveexec_b32 s0, s1
	s_cbranch_execz .LBB1149_21
; %bb.20:
	v_cvt_f32_u32_e32 v7, s38
	s_sub_i32 s1, 0, s38
	s_delay_alu instid0(VALU_DEP_1) | instskip(SKIP_2) | instid1(VALU_DEP_1)
	v_rcp_iflag_f32_e32 v7, v7
	s_waitcnt_depctr 0xfff
	v_mul_f32_e32 v7, 0x4f7ffffe, v7
	v_cvt_u32_f32_e32 v7, v7
	s_delay_alu instid0(VALU_DEP_1) | instskip(NEXT) | instid1(VALU_DEP_1)
	v_mul_lo_u32 v8, s1, v7
	v_mul_hi_u32 v8, v7, v8
	s_delay_alu instid0(VALU_DEP_1) | instskip(NEXT) | instid1(VALU_DEP_1)
	v_add_nc_u32_e32 v7, v7, v8
	v_mul_hi_u32 v7, v9, v7
	s_delay_alu instid0(VALU_DEP_1) | instskip(NEXT) | instid1(VALU_DEP_1)
	v_mul_lo_u32 v8, v7, s38
	v_sub_nc_u32_e32 v8, v9, v8
	v_add_nc_u32_e32 v9, 1, v7
	s_delay_alu instid0(VALU_DEP_2) | instskip(SKIP_1) | instid1(VALU_DEP_2)
	v_subrev_nc_u32_e32 v10, s38, v8
	v_cmp_le_u32_e32 vcc_lo, s38, v8
	v_dual_cndmask_b32 v8, v8, v10 :: v_dual_cndmask_b32 v7, v7, v9
	s_delay_alu instid0(VALU_DEP_1) | instskip(NEXT) | instid1(VALU_DEP_2)
	v_cmp_le_u32_e32 vcc_lo, s38, v8
	v_dual_mov_b32 v8, 0 :: v_dual_add_nc_u32 v9, 1, v7
	s_delay_alu instid0(VALU_DEP_1)
	v_cndmask_b32_e32 v7, v7, v9, vcc_lo
.LBB1149_21:
	s_or_b32 exec_lo, exec_lo, s0
	v_add_co_u32 v11, vcc_lo, 0x400, v29
	v_add_co_ci_u32_e32 v12, vcc_lo, 0, v30, vcc_lo
	v_mov_b32_e32 v9, 0
	s_delay_alu instid0(VALU_DEP_2) | instskip(NEXT) | instid1(VALU_DEP_1)
	v_or_b32_e32 v10, s39, v12
	v_cmp_ne_u64_e32 vcc_lo, 0, v[9:10]
                                        ; implicit-def: $vgpr9_vgpr10
	s_and_saveexec_b32 s0, vcc_lo
	s_delay_alu instid0(SALU_CYCLE_1)
	s_xor_b32 s1, exec_lo, s0
	s_cbranch_execz .LBB1149_23
; %bb.22:
	s_ashr_i32 s4, s39, 31
	s_delay_alu instid0(SALU_CYCLE_1) | instskip(SKIP_2) | instid1(SALU_CYCLE_1)
	s_add_u32 s6, s38, s4
	s_mov_b32 s5, s4
	s_addc_u32 s7, s39, s4
	s_xor_b64 s[6:7], s[6:7], s[4:5]
	s_delay_alu instid0(SALU_CYCLE_1) | instskip(SKIP_3) | instid1(VALU_DEP_1)
	v_cvt_f32_u32_e32 v9, s6
	v_cvt_f32_u32_e32 v10, s7
	s_sub_u32 s0, 0, s6
	s_subb_u32 s5, 0, s7
	v_fmamk_f32 v9, v10, 0x4f800000, v9
	s_delay_alu instid0(VALU_DEP_1) | instskip(SKIP_2) | instid1(VALU_DEP_1)
	v_rcp_f32_e32 v9, v9
	s_waitcnt_depctr 0xfff
	v_mul_f32_e32 v9, 0x5f7ffffc, v9
	v_mul_f32_e32 v10, 0x2f800000, v9
	s_delay_alu instid0(VALU_DEP_1) | instskip(NEXT) | instid1(VALU_DEP_1)
	v_trunc_f32_e32 v10, v10
	v_fmamk_f32 v9, v10, 0xcf800000, v9
	v_cvt_u32_f32_e32 v10, v10
	s_delay_alu instid0(VALU_DEP_2) | instskip(NEXT) | instid1(VALU_DEP_2)
	v_cvt_u32_f32_e32 v9, v9
	v_mul_lo_u32 v13, s0, v10
	s_delay_alu instid0(VALU_DEP_2) | instskip(SKIP_1) | instid1(VALU_DEP_2)
	v_mul_hi_u32 v14, s0, v9
	v_mul_lo_u32 v15, s5, v9
	v_add_nc_u32_e32 v13, v14, v13
	v_mul_lo_u32 v14, s0, v9
	s_delay_alu instid0(VALU_DEP_2) | instskip(NEXT) | instid1(VALU_DEP_2)
	v_add_nc_u32_e32 v13, v13, v15
	v_mul_hi_u32 v15, v9, v14
	s_delay_alu instid0(VALU_DEP_2)
	v_mul_lo_u32 v16, v9, v13
	v_mul_hi_u32 v17, v9, v13
	v_mul_hi_u32 v18, v10, v14
	v_mul_lo_u32 v14, v10, v14
	v_mul_hi_u32 v19, v10, v13
	v_mul_lo_u32 v13, v10, v13
	v_add_co_u32 v15, vcc_lo, v15, v16
	v_add_co_ci_u32_e32 v16, vcc_lo, 0, v17, vcc_lo
	s_delay_alu instid0(VALU_DEP_2) | instskip(NEXT) | instid1(VALU_DEP_2)
	v_add_co_u32 v14, vcc_lo, v15, v14
	v_add_co_ci_u32_e32 v14, vcc_lo, v16, v18, vcc_lo
	v_add_co_ci_u32_e32 v15, vcc_lo, 0, v19, vcc_lo
	v_ashrrev_i32_e32 v18, 31, v12
	s_delay_alu instid0(VALU_DEP_3) | instskip(NEXT) | instid1(VALU_DEP_3)
	v_add_co_u32 v13, vcc_lo, v14, v13
	v_add_co_ci_u32_e32 v14, vcc_lo, 0, v15, vcc_lo
	s_delay_alu instid0(VALU_DEP_2) | instskip(NEXT) | instid1(VALU_DEP_2)
	v_add_co_u32 v9, vcc_lo, v9, v13
	v_add_co_ci_u32_e32 v10, vcc_lo, v10, v14, vcc_lo
	s_delay_alu instid0(VALU_DEP_2) | instskip(SKIP_1) | instid1(VALU_DEP_3)
	v_mul_hi_u32 v13, s0, v9
	v_mul_lo_u32 v15, s5, v9
	v_mul_lo_u32 v14, s0, v10
	s_delay_alu instid0(VALU_DEP_1) | instskip(SKIP_1) | instid1(VALU_DEP_2)
	v_add_nc_u32_e32 v13, v13, v14
	v_mul_lo_u32 v14, s0, v9
	v_add_nc_u32_e32 v13, v13, v15
	s_delay_alu instid0(VALU_DEP_2) | instskip(NEXT) | instid1(VALU_DEP_2)
	v_mul_hi_u32 v15, v9, v14
	v_mul_lo_u32 v16, v9, v13
	v_mul_hi_u32 v17, v9, v13
	v_mul_hi_u32 v19, v10, v14
	v_mul_lo_u32 v14, v10, v14
	v_mul_hi_u32 v20, v10, v13
	v_mul_lo_u32 v13, v10, v13
	v_add_co_u32 v15, vcc_lo, v15, v16
	v_add_co_ci_u32_e32 v16, vcc_lo, 0, v17, vcc_lo
	s_delay_alu instid0(VALU_DEP_2) | instskip(NEXT) | instid1(VALU_DEP_2)
	v_add_co_u32 v14, vcc_lo, v15, v14
	v_add_co_ci_u32_e32 v14, vcc_lo, v16, v19, vcc_lo
	v_add_co_ci_u32_e32 v15, vcc_lo, 0, v20, vcc_lo
	v_add_co_u32 v11, vcc_lo, v11, v18
	v_add_co_ci_u32_e32 v12, vcc_lo, v12, v18, vcc_lo
	s_delay_alu instid0(VALU_DEP_4) | instskip(NEXT) | instid1(VALU_DEP_4)
	v_add_co_u32 v13, vcc_lo, v14, v13
	v_add_co_ci_u32_e32 v14, vcc_lo, 0, v15, vcc_lo
	s_delay_alu instid0(VALU_DEP_4) | instskip(NEXT) | instid1(VALU_DEP_3)
	v_xor_b32_e32 v15, v11, v18
	v_add_co_u32 v13, vcc_lo, v9, v13
	s_delay_alu instid0(VALU_DEP_3) | instskip(SKIP_1) | instid1(VALU_DEP_3)
	v_add_co_ci_u32_e32 v16, vcc_lo, v10, v14, vcc_lo
	v_xor_b32_e32 v17, v12, v18
	v_mul_hi_u32 v19, v15, v13
	s_delay_alu instid0(VALU_DEP_3) | instskip(NEXT) | instid1(VALU_DEP_3)
	v_mad_u64_u32 v[9:10], null, v15, v16, 0
	v_mad_u64_u32 v[11:12], null, v17, v13, 0
	;; [unrolled: 1-line block ×3, first 2 shown]
	s_delay_alu instid0(VALU_DEP_3) | instskip(NEXT) | instid1(VALU_DEP_4)
	v_add_co_u32 v9, vcc_lo, v19, v9
	v_add_co_ci_u32_e32 v10, vcc_lo, 0, v10, vcc_lo
	s_delay_alu instid0(VALU_DEP_2) | instskip(NEXT) | instid1(VALU_DEP_2)
	v_add_co_u32 v9, vcc_lo, v9, v11
	v_add_co_ci_u32_e32 v9, vcc_lo, v10, v12, vcc_lo
	v_add_co_ci_u32_e32 v10, vcc_lo, 0, v14, vcc_lo
	s_delay_alu instid0(VALU_DEP_2) | instskip(NEXT) | instid1(VALU_DEP_2)
	v_add_co_u32 v11, vcc_lo, v9, v13
	v_add_co_ci_u32_e32 v12, vcc_lo, 0, v10, vcc_lo
	s_delay_alu instid0(VALU_DEP_2) | instskip(SKIP_1) | instid1(VALU_DEP_3)
	v_mul_lo_u32 v13, s7, v11
	v_mad_u64_u32 v[9:10], null, s6, v11, 0
	v_mul_lo_u32 v14, s6, v12
	s_delay_alu instid0(VALU_DEP_2) | instskip(NEXT) | instid1(VALU_DEP_2)
	v_sub_co_u32 v9, vcc_lo, v15, v9
	v_add3_u32 v10, v10, v14, v13
	s_delay_alu instid0(VALU_DEP_1) | instskip(NEXT) | instid1(VALU_DEP_1)
	v_sub_nc_u32_e32 v13, v17, v10
	v_subrev_co_ci_u32_e64 v13, s0, s7, v13, vcc_lo
	v_add_co_u32 v14, s0, v11, 2
	s_delay_alu instid0(VALU_DEP_1) | instskip(SKIP_3) | instid1(VALU_DEP_3)
	v_add_co_ci_u32_e64 v15, s0, 0, v12, s0
	v_sub_co_u32 v16, s0, v9, s6
	v_sub_co_ci_u32_e32 v10, vcc_lo, v17, v10, vcc_lo
	v_subrev_co_ci_u32_e64 v13, s0, 0, v13, s0
	v_cmp_le_u32_e32 vcc_lo, s6, v16
	s_delay_alu instid0(VALU_DEP_3) | instskip(SKIP_1) | instid1(VALU_DEP_4)
	v_cmp_eq_u32_e64 s0, s7, v10
	v_cndmask_b32_e64 v16, 0, -1, vcc_lo
	v_cmp_le_u32_e32 vcc_lo, s7, v13
	v_cndmask_b32_e64 v17, 0, -1, vcc_lo
	v_cmp_le_u32_e32 vcc_lo, s6, v9
	v_cndmask_b32_e64 v9, 0, -1, vcc_lo
	v_cmp_le_u32_e32 vcc_lo, s7, v10
	v_cndmask_b32_e64 v19, 0, -1, vcc_lo
	v_cmp_eq_u32_e32 vcc_lo, s7, v13
	s_delay_alu instid0(VALU_DEP_2) | instskip(SKIP_3) | instid1(VALU_DEP_3)
	v_cndmask_b32_e64 v9, v19, v9, s0
	v_cndmask_b32_e32 v13, v17, v16, vcc_lo
	v_add_co_u32 v16, vcc_lo, v11, 1
	v_add_co_ci_u32_e32 v17, vcc_lo, 0, v12, vcc_lo
	v_cmp_ne_u32_e32 vcc_lo, 0, v13
	s_delay_alu instid0(VALU_DEP_2) | instskip(SKIP_2) | instid1(VALU_DEP_3)
	v_dual_cndmask_b32 v10, v17, v15 :: v_dual_cndmask_b32 v13, v16, v14
	v_cmp_ne_u32_e32 vcc_lo, 0, v9
	v_xor_b32_e32 v14, s4, v18
	v_dual_cndmask_b32 v9, v12, v10 :: v_dual_cndmask_b32 v10, v11, v13
	s_delay_alu instid0(VALU_DEP_1) | instskip(NEXT) | instid1(VALU_DEP_2)
	v_xor_b32_e32 v11, v9, v14
	v_xor_b32_e32 v10, v10, v14
	s_delay_alu instid0(VALU_DEP_1) | instskip(NEXT) | instid1(VALU_DEP_3)
	v_sub_co_u32 v9, vcc_lo, v10, v14
	v_sub_co_ci_u32_e32 v10, vcc_lo, v11, v14, vcc_lo
                                        ; implicit-def: $vgpr11
.LBB1149_23:
	s_and_not1_saveexec_b32 s0, s1
	s_cbranch_execz .LBB1149_25
; %bb.24:
	v_cvt_f32_u32_e32 v9, s38
	s_sub_i32 s1, 0, s38
	s_delay_alu instid0(VALU_DEP_1) | instskip(SKIP_2) | instid1(VALU_DEP_1)
	v_rcp_iflag_f32_e32 v9, v9
	s_waitcnt_depctr 0xfff
	v_mul_f32_e32 v9, 0x4f7ffffe, v9
	v_cvt_u32_f32_e32 v9, v9
	s_delay_alu instid0(VALU_DEP_1) | instskip(NEXT) | instid1(VALU_DEP_1)
	v_mul_lo_u32 v10, s1, v9
	v_mul_hi_u32 v10, v9, v10
	s_delay_alu instid0(VALU_DEP_1) | instskip(NEXT) | instid1(VALU_DEP_1)
	v_add_nc_u32_e32 v9, v9, v10
	v_mul_hi_u32 v9, v11, v9
	s_delay_alu instid0(VALU_DEP_1) | instskip(NEXT) | instid1(VALU_DEP_1)
	v_mul_lo_u32 v10, v9, s38
	v_sub_nc_u32_e32 v10, v11, v10
	v_add_nc_u32_e32 v11, 1, v9
	s_delay_alu instid0(VALU_DEP_2) | instskip(SKIP_1) | instid1(VALU_DEP_2)
	v_subrev_nc_u32_e32 v12, s38, v10
	v_cmp_le_u32_e32 vcc_lo, s38, v10
	v_dual_cndmask_b32 v10, v10, v12 :: v_dual_cndmask_b32 v9, v9, v11
	s_delay_alu instid0(VALU_DEP_1) | instskip(NEXT) | instid1(VALU_DEP_2)
	v_cmp_le_u32_e32 vcc_lo, s38, v10
	v_dual_mov_b32 v10, 0 :: v_dual_add_nc_u32 v11, 1, v9
	s_delay_alu instid0(VALU_DEP_1)
	v_cndmask_b32_e32 v9, v9, v11, vcc_lo
.LBB1149_25:
	s_or_b32 exec_lo, exec_lo, s0
	v_add_co_u32 v13, vcc_lo, 0x500, v29
	v_add_co_ci_u32_e32 v14, vcc_lo, 0, v30, vcc_lo
	v_mov_b32_e32 v11, 0
	s_delay_alu instid0(VALU_DEP_2) | instskip(NEXT) | instid1(VALU_DEP_1)
	v_or_b32_e32 v12, s39, v14
	v_cmp_ne_u64_e32 vcc_lo, 0, v[11:12]
                                        ; implicit-def: $vgpr11_vgpr12
	s_and_saveexec_b32 s0, vcc_lo
	s_delay_alu instid0(SALU_CYCLE_1)
	s_xor_b32 s1, exec_lo, s0
	s_cbranch_execz .LBB1149_27
; %bb.26:
	s_ashr_i32 s4, s39, 31
	s_delay_alu instid0(SALU_CYCLE_1) | instskip(SKIP_2) | instid1(SALU_CYCLE_1)
	s_add_u32 s6, s38, s4
	s_mov_b32 s5, s4
	s_addc_u32 s7, s39, s4
	s_xor_b64 s[6:7], s[6:7], s[4:5]
	s_delay_alu instid0(SALU_CYCLE_1) | instskip(SKIP_3) | instid1(VALU_DEP_1)
	v_cvt_f32_u32_e32 v11, s6
	v_cvt_f32_u32_e32 v12, s7
	s_sub_u32 s0, 0, s6
	s_subb_u32 s5, 0, s7
	v_fmamk_f32 v11, v12, 0x4f800000, v11
	s_delay_alu instid0(VALU_DEP_1) | instskip(SKIP_2) | instid1(VALU_DEP_1)
	v_rcp_f32_e32 v11, v11
	s_waitcnt_depctr 0xfff
	v_mul_f32_e32 v11, 0x5f7ffffc, v11
	v_mul_f32_e32 v12, 0x2f800000, v11
	s_delay_alu instid0(VALU_DEP_1) | instskip(NEXT) | instid1(VALU_DEP_1)
	v_trunc_f32_e32 v12, v12
	v_fmamk_f32 v11, v12, 0xcf800000, v11
	v_cvt_u32_f32_e32 v12, v12
	s_delay_alu instid0(VALU_DEP_2) | instskip(NEXT) | instid1(VALU_DEP_2)
	v_cvt_u32_f32_e32 v11, v11
	v_mul_lo_u32 v15, s0, v12
	s_delay_alu instid0(VALU_DEP_2) | instskip(SKIP_1) | instid1(VALU_DEP_2)
	v_mul_hi_u32 v16, s0, v11
	v_mul_lo_u32 v17, s5, v11
	v_add_nc_u32_e32 v15, v16, v15
	v_mul_lo_u32 v16, s0, v11
	s_delay_alu instid0(VALU_DEP_2) | instskip(NEXT) | instid1(VALU_DEP_2)
	v_add_nc_u32_e32 v15, v15, v17
	v_mul_hi_u32 v17, v11, v16
	s_delay_alu instid0(VALU_DEP_2)
	v_mul_lo_u32 v18, v11, v15
	v_mul_hi_u32 v19, v11, v15
	v_mul_hi_u32 v20, v12, v16
	v_mul_lo_u32 v16, v12, v16
	v_mul_hi_u32 v21, v12, v15
	v_mul_lo_u32 v15, v12, v15
	v_add_co_u32 v17, vcc_lo, v17, v18
	v_add_co_ci_u32_e32 v18, vcc_lo, 0, v19, vcc_lo
	s_delay_alu instid0(VALU_DEP_2) | instskip(NEXT) | instid1(VALU_DEP_2)
	v_add_co_u32 v16, vcc_lo, v17, v16
	v_add_co_ci_u32_e32 v16, vcc_lo, v18, v20, vcc_lo
	v_add_co_ci_u32_e32 v17, vcc_lo, 0, v21, vcc_lo
	v_ashrrev_i32_e32 v20, 31, v14
	s_delay_alu instid0(VALU_DEP_3) | instskip(NEXT) | instid1(VALU_DEP_3)
	v_add_co_u32 v15, vcc_lo, v16, v15
	v_add_co_ci_u32_e32 v16, vcc_lo, 0, v17, vcc_lo
	s_delay_alu instid0(VALU_DEP_2) | instskip(NEXT) | instid1(VALU_DEP_2)
	v_add_co_u32 v11, vcc_lo, v11, v15
	v_add_co_ci_u32_e32 v12, vcc_lo, v12, v16, vcc_lo
	s_delay_alu instid0(VALU_DEP_2) | instskip(SKIP_1) | instid1(VALU_DEP_3)
	v_mul_hi_u32 v15, s0, v11
	v_mul_lo_u32 v17, s5, v11
	v_mul_lo_u32 v16, s0, v12
	s_delay_alu instid0(VALU_DEP_1) | instskip(SKIP_1) | instid1(VALU_DEP_2)
	v_add_nc_u32_e32 v15, v15, v16
	v_mul_lo_u32 v16, s0, v11
	v_add_nc_u32_e32 v15, v15, v17
	s_delay_alu instid0(VALU_DEP_2) | instskip(NEXT) | instid1(VALU_DEP_2)
	v_mul_hi_u32 v17, v11, v16
	v_mul_lo_u32 v18, v11, v15
	v_mul_hi_u32 v19, v11, v15
	v_mul_hi_u32 v21, v12, v16
	v_mul_lo_u32 v16, v12, v16
	v_mul_hi_u32 v22, v12, v15
	v_mul_lo_u32 v15, v12, v15
	v_add_co_u32 v17, vcc_lo, v17, v18
	v_add_co_ci_u32_e32 v18, vcc_lo, 0, v19, vcc_lo
	s_delay_alu instid0(VALU_DEP_2) | instskip(NEXT) | instid1(VALU_DEP_2)
	v_add_co_u32 v16, vcc_lo, v17, v16
	v_add_co_ci_u32_e32 v16, vcc_lo, v18, v21, vcc_lo
	v_add_co_ci_u32_e32 v17, vcc_lo, 0, v22, vcc_lo
	v_add_co_u32 v13, vcc_lo, v13, v20
	v_add_co_ci_u32_e32 v14, vcc_lo, v14, v20, vcc_lo
	s_delay_alu instid0(VALU_DEP_4) | instskip(NEXT) | instid1(VALU_DEP_4)
	v_add_co_u32 v15, vcc_lo, v16, v15
	v_add_co_ci_u32_e32 v16, vcc_lo, 0, v17, vcc_lo
	s_delay_alu instid0(VALU_DEP_4) | instskip(NEXT) | instid1(VALU_DEP_3)
	v_xor_b32_e32 v17, v13, v20
	v_add_co_u32 v15, vcc_lo, v11, v15
	s_delay_alu instid0(VALU_DEP_3) | instskip(SKIP_1) | instid1(VALU_DEP_3)
	v_add_co_ci_u32_e32 v18, vcc_lo, v12, v16, vcc_lo
	v_xor_b32_e32 v19, v14, v20
	v_mul_hi_u32 v21, v17, v15
	s_delay_alu instid0(VALU_DEP_3) | instskip(NEXT) | instid1(VALU_DEP_3)
	v_mad_u64_u32 v[11:12], null, v17, v18, 0
	v_mad_u64_u32 v[13:14], null, v19, v15, 0
	;; [unrolled: 1-line block ×3, first 2 shown]
	s_delay_alu instid0(VALU_DEP_3) | instskip(NEXT) | instid1(VALU_DEP_4)
	v_add_co_u32 v11, vcc_lo, v21, v11
	v_add_co_ci_u32_e32 v12, vcc_lo, 0, v12, vcc_lo
	s_delay_alu instid0(VALU_DEP_2) | instskip(NEXT) | instid1(VALU_DEP_2)
	v_add_co_u32 v11, vcc_lo, v11, v13
	v_add_co_ci_u32_e32 v11, vcc_lo, v12, v14, vcc_lo
	v_add_co_ci_u32_e32 v12, vcc_lo, 0, v16, vcc_lo
	s_delay_alu instid0(VALU_DEP_2) | instskip(NEXT) | instid1(VALU_DEP_2)
	v_add_co_u32 v13, vcc_lo, v11, v15
	v_add_co_ci_u32_e32 v14, vcc_lo, 0, v12, vcc_lo
	s_delay_alu instid0(VALU_DEP_2) | instskip(SKIP_1) | instid1(VALU_DEP_3)
	v_mul_lo_u32 v15, s7, v13
	v_mad_u64_u32 v[11:12], null, s6, v13, 0
	v_mul_lo_u32 v16, s6, v14
	s_delay_alu instid0(VALU_DEP_2) | instskip(NEXT) | instid1(VALU_DEP_2)
	v_sub_co_u32 v11, vcc_lo, v17, v11
	v_add3_u32 v12, v12, v16, v15
	s_delay_alu instid0(VALU_DEP_1) | instskip(NEXT) | instid1(VALU_DEP_1)
	v_sub_nc_u32_e32 v15, v19, v12
	v_subrev_co_ci_u32_e64 v15, s0, s7, v15, vcc_lo
	v_add_co_u32 v16, s0, v13, 2
	s_delay_alu instid0(VALU_DEP_1) | instskip(SKIP_3) | instid1(VALU_DEP_3)
	v_add_co_ci_u32_e64 v17, s0, 0, v14, s0
	v_sub_co_u32 v18, s0, v11, s6
	v_sub_co_ci_u32_e32 v12, vcc_lo, v19, v12, vcc_lo
	v_subrev_co_ci_u32_e64 v15, s0, 0, v15, s0
	v_cmp_le_u32_e32 vcc_lo, s6, v18
	s_delay_alu instid0(VALU_DEP_3) | instskip(SKIP_1) | instid1(VALU_DEP_4)
	v_cmp_eq_u32_e64 s0, s7, v12
	v_cndmask_b32_e64 v18, 0, -1, vcc_lo
	v_cmp_le_u32_e32 vcc_lo, s7, v15
	v_cndmask_b32_e64 v19, 0, -1, vcc_lo
	v_cmp_le_u32_e32 vcc_lo, s6, v11
	;; [unrolled: 2-line block ×3, first 2 shown]
	v_cndmask_b32_e64 v21, 0, -1, vcc_lo
	v_cmp_eq_u32_e32 vcc_lo, s7, v15
	s_delay_alu instid0(VALU_DEP_2) | instskip(SKIP_3) | instid1(VALU_DEP_3)
	v_cndmask_b32_e64 v11, v21, v11, s0
	v_cndmask_b32_e32 v15, v19, v18, vcc_lo
	v_add_co_u32 v18, vcc_lo, v13, 1
	v_add_co_ci_u32_e32 v19, vcc_lo, 0, v14, vcc_lo
	v_cmp_ne_u32_e32 vcc_lo, 0, v15
	s_delay_alu instid0(VALU_DEP_2) | instskip(SKIP_2) | instid1(VALU_DEP_3)
	v_dual_cndmask_b32 v12, v19, v17 :: v_dual_cndmask_b32 v15, v18, v16
	v_cmp_ne_u32_e32 vcc_lo, 0, v11
	v_xor_b32_e32 v16, s4, v20
	v_dual_cndmask_b32 v11, v14, v12 :: v_dual_cndmask_b32 v12, v13, v15
	s_delay_alu instid0(VALU_DEP_1) | instskip(NEXT) | instid1(VALU_DEP_2)
	v_xor_b32_e32 v13, v11, v16
	v_xor_b32_e32 v12, v12, v16
	s_delay_alu instid0(VALU_DEP_1) | instskip(NEXT) | instid1(VALU_DEP_3)
	v_sub_co_u32 v11, vcc_lo, v12, v16
	v_sub_co_ci_u32_e32 v12, vcc_lo, v13, v16, vcc_lo
                                        ; implicit-def: $vgpr13
.LBB1149_27:
	s_and_not1_saveexec_b32 s0, s1
	s_cbranch_execz .LBB1149_29
; %bb.28:
	v_cvt_f32_u32_e32 v11, s38
	s_sub_i32 s1, 0, s38
	s_delay_alu instid0(VALU_DEP_1) | instskip(SKIP_2) | instid1(VALU_DEP_1)
	v_rcp_iflag_f32_e32 v11, v11
	s_waitcnt_depctr 0xfff
	v_mul_f32_e32 v11, 0x4f7ffffe, v11
	v_cvt_u32_f32_e32 v11, v11
	s_delay_alu instid0(VALU_DEP_1) | instskip(NEXT) | instid1(VALU_DEP_1)
	v_mul_lo_u32 v12, s1, v11
	v_mul_hi_u32 v12, v11, v12
	s_delay_alu instid0(VALU_DEP_1) | instskip(NEXT) | instid1(VALU_DEP_1)
	v_add_nc_u32_e32 v11, v11, v12
	v_mul_hi_u32 v11, v13, v11
	s_delay_alu instid0(VALU_DEP_1) | instskip(NEXT) | instid1(VALU_DEP_1)
	v_mul_lo_u32 v12, v11, s38
	v_sub_nc_u32_e32 v12, v13, v12
	v_add_nc_u32_e32 v13, 1, v11
	s_delay_alu instid0(VALU_DEP_2) | instskip(SKIP_1) | instid1(VALU_DEP_2)
	v_subrev_nc_u32_e32 v14, s38, v12
	v_cmp_le_u32_e32 vcc_lo, s38, v12
	v_dual_cndmask_b32 v12, v12, v14 :: v_dual_cndmask_b32 v11, v11, v13
	s_delay_alu instid0(VALU_DEP_1) | instskip(NEXT) | instid1(VALU_DEP_2)
	v_cmp_le_u32_e32 vcc_lo, s38, v12
	v_dual_mov_b32 v12, 0 :: v_dual_add_nc_u32 v13, 1, v11
	s_delay_alu instid0(VALU_DEP_1)
	v_cndmask_b32_e32 v11, v11, v13, vcc_lo
.LBB1149_29:
	s_or_b32 exec_lo, exec_lo, s0
	v_add_co_u32 v15, vcc_lo, 0x600, v29
	v_add_co_ci_u32_e32 v16, vcc_lo, 0, v30, vcc_lo
	v_mov_b32_e32 v13, 0
	s_delay_alu instid0(VALU_DEP_2) | instskip(NEXT) | instid1(VALU_DEP_1)
	v_or_b32_e32 v14, s39, v16
	v_cmp_ne_u64_e32 vcc_lo, 0, v[13:14]
                                        ; implicit-def: $vgpr13_vgpr14
	s_and_saveexec_b32 s0, vcc_lo
	s_delay_alu instid0(SALU_CYCLE_1)
	s_xor_b32 s1, exec_lo, s0
	s_cbranch_execz .LBB1149_31
; %bb.30:
	s_ashr_i32 s4, s39, 31
	s_delay_alu instid0(SALU_CYCLE_1) | instskip(SKIP_2) | instid1(SALU_CYCLE_1)
	s_add_u32 s6, s38, s4
	s_mov_b32 s5, s4
	s_addc_u32 s7, s39, s4
	s_xor_b64 s[6:7], s[6:7], s[4:5]
	s_delay_alu instid0(SALU_CYCLE_1) | instskip(SKIP_3) | instid1(VALU_DEP_1)
	v_cvt_f32_u32_e32 v13, s6
	v_cvt_f32_u32_e32 v14, s7
	s_sub_u32 s0, 0, s6
	s_subb_u32 s5, 0, s7
	v_fmamk_f32 v13, v14, 0x4f800000, v13
	s_delay_alu instid0(VALU_DEP_1) | instskip(SKIP_2) | instid1(VALU_DEP_1)
	v_rcp_f32_e32 v13, v13
	s_waitcnt_depctr 0xfff
	v_mul_f32_e32 v13, 0x5f7ffffc, v13
	v_mul_f32_e32 v14, 0x2f800000, v13
	s_delay_alu instid0(VALU_DEP_1) | instskip(NEXT) | instid1(VALU_DEP_1)
	v_trunc_f32_e32 v14, v14
	v_fmamk_f32 v13, v14, 0xcf800000, v13
	v_cvt_u32_f32_e32 v14, v14
	s_delay_alu instid0(VALU_DEP_2) | instskip(NEXT) | instid1(VALU_DEP_2)
	v_cvt_u32_f32_e32 v13, v13
	v_mul_lo_u32 v17, s0, v14
	s_delay_alu instid0(VALU_DEP_2) | instskip(SKIP_1) | instid1(VALU_DEP_2)
	v_mul_hi_u32 v18, s0, v13
	v_mul_lo_u32 v19, s5, v13
	v_add_nc_u32_e32 v17, v18, v17
	v_mul_lo_u32 v18, s0, v13
	s_delay_alu instid0(VALU_DEP_2) | instskip(NEXT) | instid1(VALU_DEP_2)
	v_add_nc_u32_e32 v17, v17, v19
	v_mul_hi_u32 v19, v13, v18
	s_delay_alu instid0(VALU_DEP_2)
	v_mul_lo_u32 v20, v13, v17
	v_mul_hi_u32 v21, v13, v17
	v_mul_hi_u32 v22, v14, v18
	v_mul_lo_u32 v18, v14, v18
	v_mul_hi_u32 v23, v14, v17
	v_mul_lo_u32 v17, v14, v17
	v_add_co_u32 v19, vcc_lo, v19, v20
	v_add_co_ci_u32_e32 v20, vcc_lo, 0, v21, vcc_lo
	s_delay_alu instid0(VALU_DEP_2) | instskip(NEXT) | instid1(VALU_DEP_2)
	v_add_co_u32 v18, vcc_lo, v19, v18
	v_add_co_ci_u32_e32 v18, vcc_lo, v20, v22, vcc_lo
	v_add_co_ci_u32_e32 v19, vcc_lo, 0, v23, vcc_lo
	v_ashrrev_i32_e32 v22, 31, v16
	s_delay_alu instid0(VALU_DEP_3) | instskip(NEXT) | instid1(VALU_DEP_3)
	v_add_co_u32 v17, vcc_lo, v18, v17
	v_add_co_ci_u32_e32 v18, vcc_lo, 0, v19, vcc_lo
	s_delay_alu instid0(VALU_DEP_2) | instskip(NEXT) | instid1(VALU_DEP_2)
	v_add_co_u32 v13, vcc_lo, v13, v17
	v_add_co_ci_u32_e32 v14, vcc_lo, v14, v18, vcc_lo
	s_delay_alu instid0(VALU_DEP_2) | instskip(SKIP_1) | instid1(VALU_DEP_3)
	v_mul_hi_u32 v17, s0, v13
	v_mul_lo_u32 v19, s5, v13
	v_mul_lo_u32 v18, s0, v14
	s_delay_alu instid0(VALU_DEP_1) | instskip(SKIP_1) | instid1(VALU_DEP_2)
	v_add_nc_u32_e32 v17, v17, v18
	v_mul_lo_u32 v18, s0, v13
	v_add_nc_u32_e32 v17, v17, v19
	s_delay_alu instid0(VALU_DEP_2) | instskip(NEXT) | instid1(VALU_DEP_2)
	v_mul_hi_u32 v19, v13, v18
	v_mul_lo_u32 v20, v13, v17
	v_mul_hi_u32 v21, v13, v17
	v_mul_hi_u32 v23, v14, v18
	v_mul_lo_u32 v18, v14, v18
	v_mul_hi_u32 v24, v14, v17
	v_mul_lo_u32 v17, v14, v17
	v_add_co_u32 v19, vcc_lo, v19, v20
	v_add_co_ci_u32_e32 v20, vcc_lo, 0, v21, vcc_lo
	s_delay_alu instid0(VALU_DEP_2) | instskip(NEXT) | instid1(VALU_DEP_2)
	v_add_co_u32 v18, vcc_lo, v19, v18
	v_add_co_ci_u32_e32 v18, vcc_lo, v20, v23, vcc_lo
	v_add_co_ci_u32_e32 v19, vcc_lo, 0, v24, vcc_lo
	v_add_co_u32 v15, vcc_lo, v15, v22
	v_add_co_ci_u32_e32 v16, vcc_lo, v16, v22, vcc_lo
	s_delay_alu instid0(VALU_DEP_4) | instskip(NEXT) | instid1(VALU_DEP_4)
	v_add_co_u32 v17, vcc_lo, v18, v17
	v_add_co_ci_u32_e32 v18, vcc_lo, 0, v19, vcc_lo
	s_delay_alu instid0(VALU_DEP_4) | instskip(NEXT) | instid1(VALU_DEP_3)
	v_xor_b32_e32 v19, v15, v22
	v_add_co_u32 v17, vcc_lo, v13, v17
	s_delay_alu instid0(VALU_DEP_3) | instskip(SKIP_1) | instid1(VALU_DEP_3)
	v_add_co_ci_u32_e32 v20, vcc_lo, v14, v18, vcc_lo
	v_xor_b32_e32 v21, v16, v22
	v_mul_hi_u32 v23, v19, v17
	s_delay_alu instid0(VALU_DEP_3) | instskip(NEXT) | instid1(VALU_DEP_3)
	v_mad_u64_u32 v[13:14], null, v19, v20, 0
	v_mad_u64_u32 v[15:16], null, v21, v17, 0
	;; [unrolled: 1-line block ×3, first 2 shown]
	s_delay_alu instid0(VALU_DEP_3) | instskip(NEXT) | instid1(VALU_DEP_4)
	v_add_co_u32 v13, vcc_lo, v23, v13
	v_add_co_ci_u32_e32 v14, vcc_lo, 0, v14, vcc_lo
	s_delay_alu instid0(VALU_DEP_2) | instskip(NEXT) | instid1(VALU_DEP_2)
	v_add_co_u32 v13, vcc_lo, v13, v15
	v_add_co_ci_u32_e32 v13, vcc_lo, v14, v16, vcc_lo
	v_add_co_ci_u32_e32 v14, vcc_lo, 0, v18, vcc_lo
	s_delay_alu instid0(VALU_DEP_2) | instskip(NEXT) | instid1(VALU_DEP_2)
	v_add_co_u32 v15, vcc_lo, v13, v17
	v_add_co_ci_u32_e32 v16, vcc_lo, 0, v14, vcc_lo
	s_delay_alu instid0(VALU_DEP_2) | instskip(SKIP_1) | instid1(VALU_DEP_3)
	v_mul_lo_u32 v17, s7, v15
	v_mad_u64_u32 v[13:14], null, s6, v15, 0
	v_mul_lo_u32 v18, s6, v16
	s_delay_alu instid0(VALU_DEP_2) | instskip(NEXT) | instid1(VALU_DEP_2)
	v_sub_co_u32 v13, vcc_lo, v19, v13
	v_add3_u32 v14, v14, v18, v17
	s_delay_alu instid0(VALU_DEP_1) | instskip(NEXT) | instid1(VALU_DEP_1)
	v_sub_nc_u32_e32 v17, v21, v14
	v_subrev_co_ci_u32_e64 v17, s0, s7, v17, vcc_lo
	v_add_co_u32 v18, s0, v15, 2
	s_delay_alu instid0(VALU_DEP_1) | instskip(SKIP_3) | instid1(VALU_DEP_3)
	v_add_co_ci_u32_e64 v19, s0, 0, v16, s0
	v_sub_co_u32 v20, s0, v13, s6
	v_sub_co_ci_u32_e32 v14, vcc_lo, v21, v14, vcc_lo
	v_subrev_co_ci_u32_e64 v17, s0, 0, v17, s0
	v_cmp_le_u32_e32 vcc_lo, s6, v20
	s_delay_alu instid0(VALU_DEP_3) | instskip(SKIP_1) | instid1(VALU_DEP_4)
	v_cmp_eq_u32_e64 s0, s7, v14
	v_cndmask_b32_e64 v20, 0, -1, vcc_lo
	v_cmp_le_u32_e32 vcc_lo, s7, v17
	v_cndmask_b32_e64 v21, 0, -1, vcc_lo
	v_cmp_le_u32_e32 vcc_lo, s6, v13
	;; [unrolled: 2-line block ×3, first 2 shown]
	v_cndmask_b32_e64 v23, 0, -1, vcc_lo
	v_cmp_eq_u32_e32 vcc_lo, s7, v17
	s_delay_alu instid0(VALU_DEP_2) | instskip(SKIP_3) | instid1(VALU_DEP_3)
	v_cndmask_b32_e64 v13, v23, v13, s0
	v_cndmask_b32_e32 v17, v21, v20, vcc_lo
	v_add_co_u32 v20, vcc_lo, v15, 1
	v_add_co_ci_u32_e32 v21, vcc_lo, 0, v16, vcc_lo
	v_cmp_ne_u32_e32 vcc_lo, 0, v17
	s_delay_alu instid0(VALU_DEP_2) | instskip(SKIP_2) | instid1(VALU_DEP_3)
	v_dual_cndmask_b32 v14, v21, v19 :: v_dual_cndmask_b32 v17, v20, v18
	v_cmp_ne_u32_e32 vcc_lo, 0, v13
	v_xor_b32_e32 v18, s4, v22
	v_dual_cndmask_b32 v13, v16, v14 :: v_dual_cndmask_b32 v14, v15, v17
	s_delay_alu instid0(VALU_DEP_1) | instskip(NEXT) | instid1(VALU_DEP_2)
	v_xor_b32_e32 v15, v13, v18
	v_xor_b32_e32 v14, v14, v18
	s_delay_alu instid0(VALU_DEP_1) | instskip(NEXT) | instid1(VALU_DEP_3)
	v_sub_co_u32 v13, vcc_lo, v14, v18
	v_sub_co_ci_u32_e32 v14, vcc_lo, v15, v18, vcc_lo
                                        ; implicit-def: $vgpr15
.LBB1149_31:
	s_and_not1_saveexec_b32 s0, s1
	s_cbranch_execz .LBB1149_33
; %bb.32:
	v_cvt_f32_u32_e32 v13, s38
	s_sub_i32 s1, 0, s38
	s_delay_alu instid0(VALU_DEP_1) | instskip(SKIP_2) | instid1(VALU_DEP_1)
	v_rcp_iflag_f32_e32 v13, v13
	s_waitcnt_depctr 0xfff
	v_mul_f32_e32 v13, 0x4f7ffffe, v13
	v_cvt_u32_f32_e32 v13, v13
	s_delay_alu instid0(VALU_DEP_1) | instskip(NEXT) | instid1(VALU_DEP_1)
	v_mul_lo_u32 v14, s1, v13
	v_mul_hi_u32 v14, v13, v14
	s_delay_alu instid0(VALU_DEP_1) | instskip(NEXT) | instid1(VALU_DEP_1)
	v_add_nc_u32_e32 v13, v13, v14
	v_mul_hi_u32 v13, v15, v13
	s_delay_alu instid0(VALU_DEP_1) | instskip(NEXT) | instid1(VALU_DEP_1)
	v_mul_lo_u32 v14, v13, s38
	v_sub_nc_u32_e32 v14, v15, v14
	v_add_nc_u32_e32 v15, 1, v13
	s_delay_alu instid0(VALU_DEP_2) | instskip(SKIP_1) | instid1(VALU_DEP_2)
	v_subrev_nc_u32_e32 v16, s38, v14
	v_cmp_le_u32_e32 vcc_lo, s38, v14
	v_dual_cndmask_b32 v14, v14, v16 :: v_dual_cndmask_b32 v13, v13, v15
	s_delay_alu instid0(VALU_DEP_1) | instskip(NEXT) | instid1(VALU_DEP_2)
	v_cmp_le_u32_e32 vcc_lo, s38, v14
	v_dual_mov_b32 v14, 0 :: v_dual_add_nc_u32 v15, 1, v13
	s_delay_alu instid0(VALU_DEP_1)
	v_cndmask_b32_e32 v13, v13, v15, vcc_lo
.LBB1149_33:
	s_or_b32 exec_lo, exec_lo, s0
	v_add_co_u32 v17, vcc_lo, 0x700, v29
	v_add_co_ci_u32_e32 v18, vcc_lo, 0, v30, vcc_lo
	v_mov_b32_e32 v15, 0
	s_delay_alu instid0(VALU_DEP_2) | instskip(NEXT) | instid1(VALU_DEP_1)
	v_or_b32_e32 v16, s39, v18
	v_cmp_ne_u64_e32 vcc_lo, 0, v[15:16]
                                        ; implicit-def: $vgpr15_vgpr16
	s_and_saveexec_b32 s0, vcc_lo
	s_delay_alu instid0(SALU_CYCLE_1)
	s_xor_b32 s1, exec_lo, s0
	s_cbranch_execz .LBB1149_35
; %bb.34:
	s_ashr_i32 s4, s39, 31
	s_delay_alu instid0(SALU_CYCLE_1) | instskip(SKIP_2) | instid1(SALU_CYCLE_1)
	s_add_u32 s6, s38, s4
	s_mov_b32 s5, s4
	s_addc_u32 s7, s39, s4
	s_xor_b64 s[6:7], s[6:7], s[4:5]
	s_delay_alu instid0(SALU_CYCLE_1) | instskip(SKIP_3) | instid1(VALU_DEP_1)
	v_cvt_f32_u32_e32 v15, s6
	v_cvt_f32_u32_e32 v16, s7
	s_sub_u32 s0, 0, s6
	s_subb_u32 s5, 0, s7
	v_fmamk_f32 v15, v16, 0x4f800000, v15
	s_delay_alu instid0(VALU_DEP_1) | instskip(SKIP_2) | instid1(VALU_DEP_1)
	v_rcp_f32_e32 v15, v15
	s_waitcnt_depctr 0xfff
	v_mul_f32_e32 v15, 0x5f7ffffc, v15
	v_mul_f32_e32 v16, 0x2f800000, v15
	s_delay_alu instid0(VALU_DEP_1) | instskip(NEXT) | instid1(VALU_DEP_1)
	v_trunc_f32_e32 v16, v16
	v_fmamk_f32 v15, v16, 0xcf800000, v15
	v_cvt_u32_f32_e32 v16, v16
	s_delay_alu instid0(VALU_DEP_2) | instskip(NEXT) | instid1(VALU_DEP_2)
	v_cvt_u32_f32_e32 v15, v15
	v_mul_lo_u32 v19, s0, v16
	s_delay_alu instid0(VALU_DEP_2) | instskip(SKIP_1) | instid1(VALU_DEP_2)
	v_mul_hi_u32 v20, s0, v15
	v_mul_lo_u32 v21, s5, v15
	v_add_nc_u32_e32 v19, v20, v19
	v_mul_lo_u32 v20, s0, v15
	s_delay_alu instid0(VALU_DEP_2) | instskip(NEXT) | instid1(VALU_DEP_2)
	v_add_nc_u32_e32 v19, v19, v21
	v_mul_hi_u32 v21, v15, v20
	s_delay_alu instid0(VALU_DEP_2)
	v_mul_lo_u32 v22, v15, v19
	v_mul_hi_u32 v23, v15, v19
	v_mul_hi_u32 v24, v16, v20
	v_mul_lo_u32 v20, v16, v20
	v_mul_hi_u32 v25, v16, v19
	v_mul_lo_u32 v19, v16, v19
	v_add_co_u32 v21, vcc_lo, v21, v22
	v_add_co_ci_u32_e32 v22, vcc_lo, 0, v23, vcc_lo
	s_delay_alu instid0(VALU_DEP_2) | instskip(NEXT) | instid1(VALU_DEP_2)
	v_add_co_u32 v20, vcc_lo, v21, v20
	v_add_co_ci_u32_e32 v20, vcc_lo, v22, v24, vcc_lo
	v_add_co_ci_u32_e32 v21, vcc_lo, 0, v25, vcc_lo
	v_ashrrev_i32_e32 v24, 31, v18
	s_delay_alu instid0(VALU_DEP_3) | instskip(NEXT) | instid1(VALU_DEP_3)
	v_add_co_u32 v19, vcc_lo, v20, v19
	v_add_co_ci_u32_e32 v20, vcc_lo, 0, v21, vcc_lo
	s_delay_alu instid0(VALU_DEP_2) | instskip(NEXT) | instid1(VALU_DEP_2)
	v_add_co_u32 v15, vcc_lo, v15, v19
	v_add_co_ci_u32_e32 v16, vcc_lo, v16, v20, vcc_lo
	s_delay_alu instid0(VALU_DEP_2) | instskip(SKIP_1) | instid1(VALU_DEP_3)
	v_mul_hi_u32 v19, s0, v15
	v_mul_lo_u32 v21, s5, v15
	v_mul_lo_u32 v20, s0, v16
	s_delay_alu instid0(VALU_DEP_1) | instskip(SKIP_1) | instid1(VALU_DEP_2)
	v_add_nc_u32_e32 v19, v19, v20
	v_mul_lo_u32 v20, s0, v15
	v_add_nc_u32_e32 v19, v19, v21
	s_delay_alu instid0(VALU_DEP_2) | instskip(NEXT) | instid1(VALU_DEP_2)
	v_mul_hi_u32 v21, v15, v20
	v_mul_lo_u32 v22, v15, v19
	v_mul_hi_u32 v23, v15, v19
	v_mul_hi_u32 v25, v16, v20
	v_mul_lo_u32 v20, v16, v20
	v_mul_hi_u32 v26, v16, v19
	v_mul_lo_u32 v19, v16, v19
	v_add_co_u32 v21, vcc_lo, v21, v22
	v_add_co_ci_u32_e32 v22, vcc_lo, 0, v23, vcc_lo
	s_delay_alu instid0(VALU_DEP_2) | instskip(NEXT) | instid1(VALU_DEP_2)
	v_add_co_u32 v20, vcc_lo, v21, v20
	v_add_co_ci_u32_e32 v20, vcc_lo, v22, v25, vcc_lo
	v_add_co_ci_u32_e32 v21, vcc_lo, 0, v26, vcc_lo
	v_add_co_u32 v17, vcc_lo, v17, v24
	v_add_co_ci_u32_e32 v18, vcc_lo, v18, v24, vcc_lo
	s_delay_alu instid0(VALU_DEP_4) | instskip(NEXT) | instid1(VALU_DEP_4)
	v_add_co_u32 v19, vcc_lo, v20, v19
	v_add_co_ci_u32_e32 v20, vcc_lo, 0, v21, vcc_lo
	s_delay_alu instid0(VALU_DEP_4) | instskip(NEXT) | instid1(VALU_DEP_3)
	v_xor_b32_e32 v21, v17, v24
	v_add_co_u32 v19, vcc_lo, v15, v19
	s_delay_alu instid0(VALU_DEP_3) | instskip(SKIP_1) | instid1(VALU_DEP_3)
	v_add_co_ci_u32_e32 v22, vcc_lo, v16, v20, vcc_lo
	v_xor_b32_e32 v23, v18, v24
	v_mul_hi_u32 v25, v21, v19
	s_delay_alu instid0(VALU_DEP_3) | instskip(NEXT) | instid1(VALU_DEP_3)
	v_mad_u64_u32 v[15:16], null, v21, v22, 0
	v_mad_u64_u32 v[17:18], null, v23, v19, 0
	;; [unrolled: 1-line block ×3, first 2 shown]
	s_delay_alu instid0(VALU_DEP_3) | instskip(NEXT) | instid1(VALU_DEP_4)
	v_add_co_u32 v15, vcc_lo, v25, v15
	v_add_co_ci_u32_e32 v16, vcc_lo, 0, v16, vcc_lo
	s_delay_alu instid0(VALU_DEP_2) | instskip(NEXT) | instid1(VALU_DEP_2)
	v_add_co_u32 v15, vcc_lo, v15, v17
	v_add_co_ci_u32_e32 v15, vcc_lo, v16, v18, vcc_lo
	v_add_co_ci_u32_e32 v16, vcc_lo, 0, v20, vcc_lo
	s_delay_alu instid0(VALU_DEP_2) | instskip(NEXT) | instid1(VALU_DEP_2)
	v_add_co_u32 v17, vcc_lo, v15, v19
	v_add_co_ci_u32_e32 v18, vcc_lo, 0, v16, vcc_lo
	s_delay_alu instid0(VALU_DEP_2) | instskip(SKIP_1) | instid1(VALU_DEP_3)
	v_mul_lo_u32 v19, s7, v17
	v_mad_u64_u32 v[15:16], null, s6, v17, 0
	v_mul_lo_u32 v20, s6, v18
	s_delay_alu instid0(VALU_DEP_2) | instskip(NEXT) | instid1(VALU_DEP_2)
	v_sub_co_u32 v15, vcc_lo, v21, v15
	v_add3_u32 v16, v16, v20, v19
	s_delay_alu instid0(VALU_DEP_1) | instskip(NEXT) | instid1(VALU_DEP_1)
	v_sub_nc_u32_e32 v19, v23, v16
	v_subrev_co_ci_u32_e64 v19, s0, s7, v19, vcc_lo
	v_add_co_u32 v20, s0, v17, 2
	s_delay_alu instid0(VALU_DEP_1) | instskip(SKIP_3) | instid1(VALU_DEP_3)
	v_add_co_ci_u32_e64 v21, s0, 0, v18, s0
	v_sub_co_u32 v22, s0, v15, s6
	v_sub_co_ci_u32_e32 v16, vcc_lo, v23, v16, vcc_lo
	v_subrev_co_ci_u32_e64 v19, s0, 0, v19, s0
	v_cmp_le_u32_e32 vcc_lo, s6, v22
	s_delay_alu instid0(VALU_DEP_3) | instskip(SKIP_1) | instid1(VALU_DEP_4)
	v_cmp_eq_u32_e64 s0, s7, v16
	v_cndmask_b32_e64 v22, 0, -1, vcc_lo
	v_cmp_le_u32_e32 vcc_lo, s7, v19
	v_cndmask_b32_e64 v23, 0, -1, vcc_lo
	v_cmp_le_u32_e32 vcc_lo, s6, v15
	;; [unrolled: 2-line block ×3, first 2 shown]
	v_cndmask_b32_e64 v25, 0, -1, vcc_lo
	v_cmp_eq_u32_e32 vcc_lo, s7, v19
	s_delay_alu instid0(VALU_DEP_2) | instskip(SKIP_3) | instid1(VALU_DEP_3)
	v_cndmask_b32_e64 v15, v25, v15, s0
	v_cndmask_b32_e32 v19, v23, v22, vcc_lo
	v_add_co_u32 v22, vcc_lo, v17, 1
	v_add_co_ci_u32_e32 v23, vcc_lo, 0, v18, vcc_lo
	v_cmp_ne_u32_e32 vcc_lo, 0, v19
	s_delay_alu instid0(VALU_DEP_2) | instskip(SKIP_2) | instid1(VALU_DEP_3)
	v_dual_cndmask_b32 v16, v23, v21 :: v_dual_cndmask_b32 v19, v22, v20
	v_cmp_ne_u32_e32 vcc_lo, 0, v15
	v_xor_b32_e32 v20, s4, v24
	v_dual_cndmask_b32 v15, v18, v16 :: v_dual_cndmask_b32 v16, v17, v19
	s_delay_alu instid0(VALU_DEP_1) | instskip(NEXT) | instid1(VALU_DEP_2)
	v_xor_b32_e32 v17, v15, v20
	v_xor_b32_e32 v16, v16, v20
	s_delay_alu instid0(VALU_DEP_1) | instskip(NEXT) | instid1(VALU_DEP_3)
	v_sub_co_u32 v15, vcc_lo, v16, v20
	v_sub_co_ci_u32_e32 v16, vcc_lo, v17, v20, vcc_lo
                                        ; implicit-def: $vgpr17
.LBB1149_35:
	s_and_not1_saveexec_b32 s0, s1
	s_cbranch_execz .LBB1149_37
; %bb.36:
	v_cvt_f32_u32_e32 v15, s38
	s_sub_i32 s1, 0, s38
	s_delay_alu instid0(VALU_DEP_1) | instskip(SKIP_2) | instid1(VALU_DEP_1)
	v_rcp_iflag_f32_e32 v15, v15
	s_waitcnt_depctr 0xfff
	v_mul_f32_e32 v15, 0x4f7ffffe, v15
	v_cvt_u32_f32_e32 v15, v15
	s_delay_alu instid0(VALU_DEP_1) | instskip(NEXT) | instid1(VALU_DEP_1)
	v_mul_lo_u32 v16, s1, v15
	v_mul_hi_u32 v16, v15, v16
	s_delay_alu instid0(VALU_DEP_1) | instskip(NEXT) | instid1(VALU_DEP_1)
	v_add_nc_u32_e32 v15, v15, v16
	v_mul_hi_u32 v15, v17, v15
	s_delay_alu instid0(VALU_DEP_1) | instskip(NEXT) | instid1(VALU_DEP_1)
	v_mul_lo_u32 v16, v15, s38
	v_sub_nc_u32_e32 v16, v17, v16
	v_add_nc_u32_e32 v17, 1, v15
	s_delay_alu instid0(VALU_DEP_2) | instskip(SKIP_1) | instid1(VALU_DEP_2)
	v_subrev_nc_u32_e32 v18, s38, v16
	v_cmp_le_u32_e32 vcc_lo, s38, v16
	v_dual_cndmask_b32 v16, v16, v18 :: v_dual_cndmask_b32 v15, v15, v17
	s_delay_alu instid0(VALU_DEP_1) | instskip(NEXT) | instid1(VALU_DEP_2)
	v_cmp_le_u32_e32 vcc_lo, s38, v16
	v_dual_mov_b32 v16, 0 :: v_dual_add_nc_u32 v17, 1, v15
	s_delay_alu instid0(VALU_DEP_1)
	v_cndmask_b32_e32 v15, v15, v17, vcc_lo
.LBB1149_37:
	s_or_b32 exec_lo, exec_lo, s0
	v_add_co_u32 v19, vcc_lo, 0x800, v29
	v_add_co_ci_u32_e32 v20, vcc_lo, 0, v30, vcc_lo
	v_mov_b32_e32 v17, 0
	s_delay_alu instid0(VALU_DEP_2) | instskip(NEXT) | instid1(VALU_DEP_1)
	v_or_b32_e32 v18, s39, v20
	v_cmp_ne_u64_e32 vcc_lo, 0, v[17:18]
                                        ; implicit-def: $vgpr17_vgpr18
	s_and_saveexec_b32 s0, vcc_lo
	s_delay_alu instid0(SALU_CYCLE_1)
	s_xor_b32 s1, exec_lo, s0
	s_cbranch_execz .LBB1149_39
; %bb.38:
	s_ashr_i32 s4, s39, 31
	s_delay_alu instid0(SALU_CYCLE_1) | instskip(SKIP_2) | instid1(SALU_CYCLE_1)
	s_add_u32 s6, s38, s4
	s_mov_b32 s5, s4
	s_addc_u32 s7, s39, s4
	s_xor_b64 s[6:7], s[6:7], s[4:5]
	s_delay_alu instid0(SALU_CYCLE_1) | instskip(SKIP_3) | instid1(VALU_DEP_1)
	v_cvt_f32_u32_e32 v17, s6
	v_cvt_f32_u32_e32 v18, s7
	s_sub_u32 s0, 0, s6
	s_subb_u32 s5, 0, s7
	v_fmamk_f32 v17, v18, 0x4f800000, v17
	s_delay_alu instid0(VALU_DEP_1) | instskip(SKIP_2) | instid1(VALU_DEP_1)
	v_rcp_f32_e32 v17, v17
	s_waitcnt_depctr 0xfff
	v_mul_f32_e32 v17, 0x5f7ffffc, v17
	v_mul_f32_e32 v18, 0x2f800000, v17
	s_delay_alu instid0(VALU_DEP_1) | instskip(NEXT) | instid1(VALU_DEP_1)
	v_trunc_f32_e32 v18, v18
	v_fmamk_f32 v17, v18, 0xcf800000, v17
	v_cvt_u32_f32_e32 v18, v18
	s_delay_alu instid0(VALU_DEP_2) | instskip(NEXT) | instid1(VALU_DEP_2)
	v_cvt_u32_f32_e32 v17, v17
	v_mul_lo_u32 v21, s0, v18
	s_delay_alu instid0(VALU_DEP_2) | instskip(SKIP_1) | instid1(VALU_DEP_2)
	v_mul_hi_u32 v22, s0, v17
	v_mul_lo_u32 v23, s5, v17
	v_add_nc_u32_e32 v21, v22, v21
	v_mul_lo_u32 v22, s0, v17
	s_delay_alu instid0(VALU_DEP_2) | instskip(NEXT) | instid1(VALU_DEP_2)
	v_add_nc_u32_e32 v21, v21, v23
	v_mul_hi_u32 v23, v17, v22
	s_delay_alu instid0(VALU_DEP_2)
	v_mul_lo_u32 v24, v17, v21
	v_mul_hi_u32 v25, v17, v21
	v_mul_hi_u32 v26, v18, v22
	v_mul_lo_u32 v22, v18, v22
	v_mul_hi_u32 v27, v18, v21
	v_mul_lo_u32 v21, v18, v21
	v_add_co_u32 v23, vcc_lo, v23, v24
	v_add_co_ci_u32_e32 v24, vcc_lo, 0, v25, vcc_lo
	s_delay_alu instid0(VALU_DEP_2) | instskip(NEXT) | instid1(VALU_DEP_2)
	v_add_co_u32 v22, vcc_lo, v23, v22
	v_add_co_ci_u32_e32 v22, vcc_lo, v24, v26, vcc_lo
	v_add_co_ci_u32_e32 v23, vcc_lo, 0, v27, vcc_lo
	v_ashrrev_i32_e32 v26, 31, v20
	s_delay_alu instid0(VALU_DEP_3) | instskip(NEXT) | instid1(VALU_DEP_3)
	v_add_co_u32 v21, vcc_lo, v22, v21
	v_add_co_ci_u32_e32 v22, vcc_lo, 0, v23, vcc_lo
	s_delay_alu instid0(VALU_DEP_2) | instskip(NEXT) | instid1(VALU_DEP_2)
	v_add_co_u32 v17, vcc_lo, v17, v21
	v_add_co_ci_u32_e32 v18, vcc_lo, v18, v22, vcc_lo
	s_delay_alu instid0(VALU_DEP_2) | instskip(SKIP_1) | instid1(VALU_DEP_3)
	v_mul_hi_u32 v21, s0, v17
	v_mul_lo_u32 v23, s5, v17
	v_mul_lo_u32 v22, s0, v18
	s_delay_alu instid0(VALU_DEP_1) | instskip(SKIP_1) | instid1(VALU_DEP_2)
	v_add_nc_u32_e32 v21, v21, v22
	v_mul_lo_u32 v22, s0, v17
	v_add_nc_u32_e32 v21, v21, v23
	s_delay_alu instid0(VALU_DEP_2) | instskip(NEXT) | instid1(VALU_DEP_2)
	v_mul_hi_u32 v23, v17, v22
	v_mul_lo_u32 v24, v17, v21
	v_mul_hi_u32 v25, v17, v21
	v_mul_hi_u32 v27, v18, v22
	v_mul_lo_u32 v22, v18, v22
	v_mul_hi_u32 v28, v18, v21
	v_mul_lo_u32 v21, v18, v21
	v_add_co_u32 v23, vcc_lo, v23, v24
	v_add_co_ci_u32_e32 v24, vcc_lo, 0, v25, vcc_lo
	s_delay_alu instid0(VALU_DEP_2) | instskip(NEXT) | instid1(VALU_DEP_2)
	v_add_co_u32 v22, vcc_lo, v23, v22
	v_add_co_ci_u32_e32 v22, vcc_lo, v24, v27, vcc_lo
	v_add_co_ci_u32_e32 v23, vcc_lo, 0, v28, vcc_lo
	v_add_co_u32 v19, vcc_lo, v19, v26
	v_add_co_ci_u32_e32 v20, vcc_lo, v20, v26, vcc_lo
	s_delay_alu instid0(VALU_DEP_4) | instskip(NEXT) | instid1(VALU_DEP_4)
	v_add_co_u32 v21, vcc_lo, v22, v21
	v_add_co_ci_u32_e32 v22, vcc_lo, 0, v23, vcc_lo
	s_delay_alu instid0(VALU_DEP_4) | instskip(NEXT) | instid1(VALU_DEP_3)
	v_xor_b32_e32 v23, v19, v26
	v_add_co_u32 v21, vcc_lo, v17, v21
	s_delay_alu instid0(VALU_DEP_3) | instskip(SKIP_1) | instid1(VALU_DEP_3)
	v_add_co_ci_u32_e32 v24, vcc_lo, v18, v22, vcc_lo
	v_xor_b32_e32 v25, v20, v26
	v_mul_hi_u32 v27, v23, v21
	s_delay_alu instid0(VALU_DEP_3) | instskip(NEXT) | instid1(VALU_DEP_3)
	v_mad_u64_u32 v[17:18], null, v23, v24, 0
	v_mad_u64_u32 v[19:20], null, v25, v21, 0
	;; [unrolled: 1-line block ×3, first 2 shown]
	s_delay_alu instid0(VALU_DEP_3) | instskip(NEXT) | instid1(VALU_DEP_4)
	v_add_co_u32 v17, vcc_lo, v27, v17
	v_add_co_ci_u32_e32 v18, vcc_lo, 0, v18, vcc_lo
	s_delay_alu instid0(VALU_DEP_2) | instskip(NEXT) | instid1(VALU_DEP_2)
	v_add_co_u32 v17, vcc_lo, v17, v19
	v_add_co_ci_u32_e32 v17, vcc_lo, v18, v20, vcc_lo
	v_add_co_ci_u32_e32 v18, vcc_lo, 0, v22, vcc_lo
	s_delay_alu instid0(VALU_DEP_2) | instskip(NEXT) | instid1(VALU_DEP_2)
	v_add_co_u32 v19, vcc_lo, v17, v21
	v_add_co_ci_u32_e32 v20, vcc_lo, 0, v18, vcc_lo
	s_delay_alu instid0(VALU_DEP_2) | instskip(SKIP_1) | instid1(VALU_DEP_3)
	v_mul_lo_u32 v21, s7, v19
	v_mad_u64_u32 v[17:18], null, s6, v19, 0
	v_mul_lo_u32 v22, s6, v20
	s_delay_alu instid0(VALU_DEP_2) | instskip(NEXT) | instid1(VALU_DEP_2)
	v_sub_co_u32 v17, vcc_lo, v23, v17
	v_add3_u32 v18, v18, v22, v21
	s_delay_alu instid0(VALU_DEP_1) | instskip(NEXT) | instid1(VALU_DEP_1)
	v_sub_nc_u32_e32 v21, v25, v18
	v_subrev_co_ci_u32_e64 v21, s0, s7, v21, vcc_lo
	v_add_co_u32 v22, s0, v19, 2
	s_delay_alu instid0(VALU_DEP_1) | instskip(SKIP_3) | instid1(VALU_DEP_3)
	v_add_co_ci_u32_e64 v23, s0, 0, v20, s0
	v_sub_co_u32 v24, s0, v17, s6
	v_sub_co_ci_u32_e32 v18, vcc_lo, v25, v18, vcc_lo
	v_subrev_co_ci_u32_e64 v21, s0, 0, v21, s0
	v_cmp_le_u32_e32 vcc_lo, s6, v24
	s_delay_alu instid0(VALU_DEP_3) | instskip(SKIP_1) | instid1(VALU_DEP_4)
	v_cmp_eq_u32_e64 s0, s7, v18
	v_cndmask_b32_e64 v24, 0, -1, vcc_lo
	v_cmp_le_u32_e32 vcc_lo, s7, v21
	v_cndmask_b32_e64 v25, 0, -1, vcc_lo
	v_cmp_le_u32_e32 vcc_lo, s6, v17
	;; [unrolled: 2-line block ×3, first 2 shown]
	v_cndmask_b32_e64 v27, 0, -1, vcc_lo
	v_cmp_eq_u32_e32 vcc_lo, s7, v21
	s_delay_alu instid0(VALU_DEP_2) | instskip(SKIP_3) | instid1(VALU_DEP_3)
	v_cndmask_b32_e64 v17, v27, v17, s0
	v_cndmask_b32_e32 v21, v25, v24, vcc_lo
	v_add_co_u32 v24, vcc_lo, v19, 1
	v_add_co_ci_u32_e32 v25, vcc_lo, 0, v20, vcc_lo
	v_cmp_ne_u32_e32 vcc_lo, 0, v21
	s_delay_alu instid0(VALU_DEP_2) | instskip(SKIP_2) | instid1(VALU_DEP_3)
	v_dual_cndmask_b32 v18, v25, v23 :: v_dual_cndmask_b32 v21, v24, v22
	v_cmp_ne_u32_e32 vcc_lo, 0, v17
	v_xor_b32_e32 v22, s4, v26
	v_dual_cndmask_b32 v17, v20, v18 :: v_dual_cndmask_b32 v18, v19, v21
	s_delay_alu instid0(VALU_DEP_1) | instskip(NEXT) | instid1(VALU_DEP_2)
	v_xor_b32_e32 v19, v17, v22
	v_xor_b32_e32 v18, v18, v22
	s_delay_alu instid0(VALU_DEP_1) | instskip(NEXT) | instid1(VALU_DEP_3)
	v_sub_co_u32 v17, vcc_lo, v18, v22
	v_sub_co_ci_u32_e32 v18, vcc_lo, v19, v22, vcc_lo
                                        ; implicit-def: $vgpr19
.LBB1149_39:
	s_and_not1_saveexec_b32 s0, s1
	s_cbranch_execz .LBB1149_41
; %bb.40:
	v_cvt_f32_u32_e32 v17, s38
	s_sub_i32 s1, 0, s38
	s_delay_alu instid0(VALU_DEP_1) | instskip(SKIP_2) | instid1(VALU_DEP_1)
	v_rcp_iflag_f32_e32 v17, v17
	s_waitcnt_depctr 0xfff
	v_mul_f32_e32 v17, 0x4f7ffffe, v17
	v_cvt_u32_f32_e32 v17, v17
	s_delay_alu instid0(VALU_DEP_1) | instskip(NEXT) | instid1(VALU_DEP_1)
	v_mul_lo_u32 v18, s1, v17
	v_mul_hi_u32 v18, v17, v18
	s_delay_alu instid0(VALU_DEP_1) | instskip(NEXT) | instid1(VALU_DEP_1)
	v_add_nc_u32_e32 v17, v17, v18
	v_mul_hi_u32 v17, v19, v17
	s_delay_alu instid0(VALU_DEP_1) | instskip(NEXT) | instid1(VALU_DEP_1)
	v_mul_lo_u32 v18, v17, s38
	v_sub_nc_u32_e32 v18, v19, v18
	v_add_nc_u32_e32 v19, 1, v17
	s_delay_alu instid0(VALU_DEP_2) | instskip(SKIP_1) | instid1(VALU_DEP_2)
	v_subrev_nc_u32_e32 v20, s38, v18
	v_cmp_le_u32_e32 vcc_lo, s38, v18
	v_dual_cndmask_b32 v18, v18, v20 :: v_dual_cndmask_b32 v17, v17, v19
	s_delay_alu instid0(VALU_DEP_1) | instskip(NEXT) | instid1(VALU_DEP_2)
	v_cmp_le_u32_e32 vcc_lo, s38, v18
	v_dual_mov_b32 v18, 0 :: v_dual_add_nc_u32 v19, 1, v17
	s_delay_alu instid0(VALU_DEP_1)
	v_cndmask_b32_e32 v17, v17, v19, vcc_lo
.LBB1149_41:
	s_or_b32 exec_lo, exec_lo, s0
	v_add_co_u32 v21, vcc_lo, 0x900, v29
	v_add_co_ci_u32_e32 v22, vcc_lo, 0, v30, vcc_lo
	v_mov_b32_e32 v19, 0
	s_delay_alu instid0(VALU_DEP_2) | instskip(NEXT) | instid1(VALU_DEP_1)
	v_or_b32_e32 v20, s39, v22
	v_cmp_ne_u64_e32 vcc_lo, 0, v[19:20]
                                        ; implicit-def: $vgpr19_vgpr20
	s_and_saveexec_b32 s0, vcc_lo
	s_delay_alu instid0(SALU_CYCLE_1)
	s_xor_b32 s1, exec_lo, s0
	s_cbranch_execz .LBB1149_43
; %bb.42:
	s_ashr_i32 s4, s39, 31
	s_delay_alu instid0(SALU_CYCLE_1) | instskip(SKIP_2) | instid1(SALU_CYCLE_1)
	s_add_u32 s6, s38, s4
	s_mov_b32 s5, s4
	s_addc_u32 s7, s39, s4
	s_xor_b64 s[6:7], s[6:7], s[4:5]
	s_delay_alu instid0(SALU_CYCLE_1) | instskip(SKIP_3) | instid1(VALU_DEP_1)
	v_cvt_f32_u32_e32 v19, s6
	v_cvt_f32_u32_e32 v20, s7
	s_sub_u32 s0, 0, s6
	s_subb_u32 s5, 0, s7
	v_fmamk_f32 v19, v20, 0x4f800000, v19
	s_delay_alu instid0(VALU_DEP_1) | instskip(SKIP_2) | instid1(VALU_DEP_1)
	v_rcp_f32_e32 v19, v19
	s_waitcnt_depctr 0xfff
	v_mul_f32_e32 v19, 0x5f7ffffc, v19
	v_mul_f32_e32 v20, 0x2f800000, v19
	s_delay_alu instid0(VALU_DEP_1) | instskip(NEXT) | instid1(VALU_DEP_1)
	v_trunc_f32_e32 v20, v20
	v_fmamk_f32 v19, v20, 0xcf800000, v19
	v_cvt_u32_f32_e32 v20, v20
	s_delay_alu instid0(VALU_DEP_2) | instskip(NEXT) | instid1(VALU_DEP_2)
	v_cvt_u32_f32_e32 v19, v19
	v_mul_lo_u32 v23, s0, v20
	s_delay_alu instid0(VALU_DEP_2) | instskip(SKIP_1) | instid1(VALU_DEP_2)
	v_mul_hi_u32 v24, s0, v19
	v_mul_lo_u32 v25, s5, v19
	v_add_nc_u32_e32 v23, v24, v23
	v_mul_lo_u32 v24, s0, v19
	s_delay_alu instid0(VALU_DEP_2) | instskip(NEXT) | instid1(VALU_DEP_2)
	v_add_nc_u32_e32 v23, v23, v25
	v_mul_hi_u32 v25, v19, v24
	s_delay_alu instid0(VALU_DEP_2)
	v_mul_lo_u32 v26, v19, v23
	v_mul_hi_u32 v27, v19, v23
	v_mul_hi_u32 v28, v20, v24
	v_mul_lo_u32 v24, v20, v24
	v_mul_hi_u32 v31, v20, v23
	v_mul_lo_u32 v23, v20, v23
	v_add_co_u32 v25, vcc_lo, v25, v26
	v_add_co_ci_u32_e32 v26, vcc_lo, 0, v27, vcc_lo
	s_delay_alu instid0(VALU_DEP_2) | instskip(NEXT) | instid1(VALU_DEP_2)
	v_add_co_u32 v24, vcc_lo, v25, v24
	v_add_co_ci_u32_e32 v24, vcc_lo, v26, v28, vcc_lo
	v_add_co_ci_u32_e32 v25, vcc_lo, 0, v31, vcc_lo
	v_ashrrev_i32_e32 v28, 31, v22
	s_delay_alu instid0(VALU_DEP_3) | instskip(NEXT) | instid1(VALU_DEP_3)
	v_add_co_u32 v23, vcc_lo, v24, v23
	v_add_co_ci_u32_e32 v24, vcc_lo, 0, v25, vcc_lo
	s_delay_alu instid0(VALU_DEP_2) | instskip(NEXT) | instid1(VALU_DEP_2)
	v_add_co_u32 v19, vcc_lo, v19, v23
	v_add_co_ci_u32_e32 v20, vcc_lo, v20, v24, vcc_lo
	s_delay_alu instid0(VALU_DEP_2) | instskip(SKIP_1) | instid1(VALU_DEP_3)
	v_mul_hi_u32 v23, s0, v19
	v_mul_lo_u32 v25, s5, v19
	v_mul_lo_u32 v24, s0, v20
	s_delay_alu instid0(VALU_DEP_1) | instskip(SKIP_1) | instid1(VALU_DEP_2)
	v_add_nc_u32_e32 v23, v23, v24
	v_mul_lo_u32 v24, s0, v19
	v_add_nc_u32_e32 v23, v23, v25
	s_delay_alu instid0(VALU_DEP_2) | instskip(NEXT) | instid1(VALU_DEP_2)
	v_mul_hi_u32 v25, v19, v24
	v_mul_lo_u32 v26, v19, v23
	v_mul_hi_u32 v27, v19, v23
	v_mul_hi_u32 v31, v20, v24
	v_mul_lo_u32 v24, v20, v24
	v_mul_hi_u32 v32, v20, v23
	v_mul_lo_u32 v23, v20, v23
	v_add_co_u32 v25, vcc_lo, v25, v26
	v_add_co_ci_u32_e32 v26, vcc_lo, 0, v27, vcc_lo
	s_delay_alu instid0(VALU_DEP_2) | instskip(NEXT) | instid1(VALU_DEP_2)
	v_add_co_u32 v24, vcc_lo, v25, v24
	v_add_co_ci_u32_e32 v24, vcc_lo, v26, v31, vcc_lo
	v_add_co_ci_u32_e32 v25, vcc_lo, 0, v32, vcc_lo
	v_add_co_u32 v21, vcc_lo, v21, v28
	v_add_co_ci_u32_e32 v22, vcc_lo, v22, v28, vcc_lo
	s_delay_alu instid0(VALU_DEP_4) | instskip(NEXT) | instid1(VALU_DEP_4)
	v_add_co_u32 v23, vcc_lo, v24, v23
	v_add_co_ci_u32_e32 v24, vcc_lo, 0, v25, vcc_lo
	s_delay_alu instid0(VALU_DEP_4) | instskip(NEXT) | instid1(VALU_DEP_3)
	v_xor_b32_e32 v25, v21, v28
	v_add_co_u32 v23, vcc_lo, v19, v23
	s_delay_alu instid0(VALU_DEP_3) | instskip(SKIP_1) | instid1(VALU_DEP_3)
	v_add_co_ci_u32_e32 v26, vcc_lo, v20, v24, vcc_lo
	v_xor_b32_e32 v27, v22, v28
	v_mul_hi_u32 v31, v25, v23
	s_delay_alu instid0(VALU_DEP_3) | instskip(NEXT) | instid1(VALU_DEP_3)
	v_mad_u64_u32 v[19:20], null, v25, v26, 0
	v_mad_u64_u32 v[21:22], null, v27, v23, 0
	;; [unrolled: 1-line block ×3, first 2 shown]
	s_delay_alu instid0(VALU_DEP_3) | instskip(NEXT) | instid1(VALU_DEP_4)
	v_add_co_u32 v19, vcc_lo, v31, v19
	v_add_co_ci_u32_e32 v20, vcc_lo, 0, v20, vcc_lo
	s_delay_alu instid0(VALU_DEP_2) | instskip(NEXT) | instid1(VALU_DEP_2)
	v_add_co_u32 v19, vcc_lo, v19, v21
	v_add_co_ci_u32_e32 v19, vcc_lo, v20, v22, vcc_lo
	v_add_co_ci_u32_e32 v20, vcc_lo, 0, v24, vcc_lo
	s_delay_alu instid0(VALU_DEP_2) | instskip(NEXT) | instid1(VALU_DEP_2)
	v_add_co_u32 v21, vcc_lo, v19, v23
	v_add_co_ci_u32_e32 v22, vcc_lo, 0, v20, vcc_lo
	s_delay_alu instid0(VALU_DEP_2) | instskip(SKIP_1) | instid1(VALU_DEP_3)
	v_mul_lo_u32 v23, s7, v21
	v_mad_u64_u32 v[19:20], null, s6, v21, 0
	v_mul_lo_u32 v24, s6, v22
	s_delay_alu instid0(VALU_DEP_2) | instskip(NEXT) | instid1(VALU_DEP_2)
	v_sub_co_u32 v19, vcc_lo, v25, v19
	v_add3_u32 v20, v20, v24, v23
	s_delay_alu instid0(VALU_DEP_1) | instskip(NEXT) | instid1(VALU_DEP_1)
	v_sub_nc_u32_e32 v23, v27, v20
	v_subrev_co_ci_u32_e64 v23, s0, s7, v23, vcc_lo
	v_add_co_u32 v24, s0, v21, 2
	s_delay_alu instid0(VALU_DEP_1) | instskip(SKIP_3) | instid1(VALU_DEP_3)
	v_add_co_ci_u32_e64 v25, s0, 0, v22, s0
	v_sub_co_u32 v26, s0, v19, s6
	v_sub_co_ci_u32_e32 v20, vcc_lo, v27, v20, vcc_lo
	v_subrev_co_ci_u32_e64 v23, s0, 0, v23, s0
	v_cmp_le_u32_e32 vcc_lo, s6, v26
	s_delay_alu instid0(VALU_DEP_3) | instskip(SKIP_1) | instid1(VALU_DEP_4)
	v_cmp_eq_u32_e64 s0, s7, v20
	v_cndmask_b32_e64 v26, 0, -1, vcc_lo
	v_cmp_le_u32_e32 vcc_lo, s7, v23
	v_cndmask_b32_e64 v27, 0, -1, vcc_lo
	v_cmp_le_u32_e32 vcc_lo, s6, v19
	;; [unrolled: 2-line block ×3, first 2 shown]
	v_cndmask_b32_e64 v31, 0, -1, vcc_lo
	v_cmp_eq_u32_e32 vcc_lo, s7, v23
	s_delay_alu instid0(VALU_DEP_2) | instskip(SKIP_3) | instid1(VALU_DEP_3)
	v_cndmask_b32_e64 v19, v31, v19, s0
	v_cndmask_b32_e32 v23, v27, v26, vcc_lo
	v_add_co_u32 v26, vcc_lo, v21, 1
	v_add_co_ci_u32_e32 v27, vcc_lo, 0, v22, vcc_lo
	v_cmp_ne_u32_e32 vcc_lo, 0, v23
	s_delay_alu instid0(VALU_DEP_2) | instskip(SKIP_2) | instid1(VALU_DEP_3)
	v_dual_cndmask_b32 v20, v27, v25 :: v_dual_cndmask_b32 v23, v26, v24
	v_cmp_ne_u32_e32 vcc_lo, 0, v19
	v_xor_b32_e32 v24, s4, v28
	v_dual_cndmask_b32 v19, v22, v20 :: v_dual_cndmask_b32 v20, v21, v23
	s_delay_alu instid0(VALU_DEP_1) | instskip(NEXT) | instid1(VALU_DEP_2)
	v_xor_b32_e32 v21, v19, v24
	v_xor_b32_e32 v20, v20, v24
	s_delay_alu instid0(VALU_DEP_1) | instskip(NEXT) | instid1(VALU_DEP_3)
	v_sub_co_u32 v19, vcc_lo, v20, v24
	v_sub_co_ci_u32_e32 v20, vcc_lo, v21, v24, vcc_lo
                                        ; implicit-def: $vgpr21
.LBB1149_43:
	s_and_not1_saveexec_b32 s0, s1
	s_cbranch_execz .LBB1149_45
; %bb.44:
	v_cvt_f32_u32_e32 v19, s38
	s_sub_i32 s1, 0, s38
	s_delay_alu instid0(VALU_DEP_1) | instskip(SKIP_2) | instid1(VALU_DEP_1)
	v_rcp_iflag_f32_e32 v19, v19
	s_waitcnt_depctr 0xfff
	v_mul_f32_e32 v19, 0x4f7ffffe, v19
	v_cvt_u32_f32_e32 v19, v19
	s_delay_alu instid0(VALU_DEP_1) | instskip(NEXT) | instid1(VALU_DEP_1)
	v_mul_lo_u32 v20, s1, v19
	v_mul_hi_u32 v20, v19, v20
	s_delay_alu instid0(VALU_DEP_1) | instskip(NEXT) | instid1(VALU_DEP_1)
	v_add_nc_u32_e32 v19, v19, v20
	v_mul_hi_u32 v19, v21, v19
	s_delay_alu instid0(VALU_DEP_1) | instskip(NEXT) | instid1(VALU_DEP_1)
	v_mul_lo_u32 v20, v19, s38
	v_sub_nc_u32_e32 v20, v21, v20
	v_add_nc_u32_e32 v21, 1, v19
	s_delay_alu instid0(VALU_DEP_2) | instskip(SKIP_1) | instid1(VALU_DEP_2)
	v_subrev_nc_u32_e32 v22, s38, v20
	v_cmp_le_u32_e32 vcc_lo, s38, v20
	v_dual_cndmask_b32 v20, v20, v22 :: v_dual_cndmask_b32 v19, v19, v21
	s_delay_alu instid0(VALU_DEP_1) | instskip(NEXT) | instid1(VALU_DEP_2)
	v_cmp_le_u32_e32 vcc_lo, s38, v20
	v_dual_mov_b32 v20, 0 :: v_dual_add_nc_u32 v21, 1, v19
	s_delay_alu instid0(VALU_DEP_1)
	v_cndmask_b32_e32 v19, v19, v21, vcc_lo
.LBB1149_45:
	s_or_b32 exec_lo, exec_lo, s0
	v_add_co_u32 v23, vcc_lo, 0xa00, v29
	v_add_co_ci_u32_e32 v24, vcc_lo, 0, v30, vcc_lo
	v_mov_b32_e32 v21, 0
	s_delay_alu instid0(VALU_DEP_2) | instskip(NEXT) | instid1(VALU_DEP_1)
	v_or_b32_e32 v22, s39, v24
	v_cmp_ne_u64_e32 vcc_lo, 0, v[21:22]
                                        ; implicit-def: $vgpr21_vgpr22
	s_and_saveexec_b32 s0, vcc_lo
	s_delay_alu instid0(SALU_CYCLE_1)
	s_xor_b32 s1, exec_lo, s0
	s_cbranch_execz .LBB1149_47
; %bb.46:
	s_ashr_i32 s4, s39, 31
	s_delay_alu instid0(SALU_CYCLE_1) | instskip(SKIP_2) | instid1(SALU_CYCLE_1)
	s_add_u32 s6, s38, s4
	s_mov_b32 s5, s4
	s_addc_u32 s7, s39, s4
	s_xor_b64 s[6:7], s[6:7], s[4:5]
	s_delay_alu instid0(SALU_CYCLE_1) | instskip(SKIP_3) | instid1(VALU_DEP_1)
	v_cvt_f32_u32_e32 v21, s6
	v_cvt_f32_u32_e32 v22, s7
	s_sub_u32 s0, 0, s6
	s_subb_u32 s5, 0, s7
	v_fmamk_f32 v21, v22, 0x4f800000, v21
	s_delay_alu instid0(VALU_DEP_1) | instskip(SKIP_2) | instid1(VALU_DEP_1)
	v_rcp_f32_e32 v21, v21
	s_waitcnt_depctr 0xfff
	v_mul_f32_e32 v21, 0x5f7ffffc, v21
	v_mul_f32_e32 v22, 0x2f800000, v21
	s_delay_alu instid0(VALU_DEP_1) | instskip(NEXT) | instid1(VALU_DEP_1)
	v_trunc_f32_e32 v22, v22
	v_fmamk_f32 v21, v22, 0xcf800000, v21
	v_cvt_u32_f32_e32 v22, v22
	s_delay_alu instid0(VALU_DEP_2) | instskip(NEXT) | instid1(VALU_DEP_2)
	v_cvt_u32_f32_e32 v21, v21
	v_mul_lo_u32 v25, s0, v22
	s_delay_alu instid0(VALU_DEP_2) | instskip(SKIP_1) | instid1(VALU_DEP_2)
	v_mul_hi_u32 v26, s0, v21
	v_mul_lo_u32 v27, s5, v21
	v_add_nc_u32_e32 v25, v26, v25
	v_mul_lo_u32 v26, s0, v21
	s_delay_alu instid0(VALU_DEP_2) | instskip(NEXT) | instid1(VALU_DEP_2)
	v_add_nc_u32_e32 v25, v25, v27
	v_mul_hi_u32 v27, v21, v26
	s_delay_alu instid0(VALU_DEP_2)
	v_mul_lo_u32 v28, v21, v25
	v_mul_hi_u32 v31, v21, v25
	v_mul_hi_u32 v32, v22, v26
	v_mul_lo_u32 v26, v22, v26
	v_mul_hi_u32 v33, v22, v25
	v_mul_lo_u32 v25, v22, v25
	v_add_co_u32 v27, vcc_lo, v27, v28
	v_add_co_ci_u32_e32 v28, vcc_lo, 0, v31, vcc_lo
	s_delay_alu instid0(VALU_DEP_2) | instskip(NEXT) | instid1(VALU_DEP_2)
	v_add_co_u32 v26, vcc_lo, v27, v26
	v_add_co_ci_u32_e32 v26, vcc_lo, v28, v32, vcc_lo
	v_add_co_ci_u32_e32 v27, vcc_lo, 0, v33, vcc_lo
	v_ashrrev_i32_e32 v32, 31, v24
	s_delay_alu instid0(VALU_DEP_3) | instskip(NEXT) | instid1(VALU_DEP_3)
	v_add_co_u32 v25, vcc_lo, v26, v25
	v_add_co_ci_u32_e32 v26, vcc_lo, 0, v27, vcc_lo
	s_delay_alu instid0(VALU_DEP_2) | instskip(NEXT) | instid1(VALU_DEP_2)
	v_add_co_u32 v21, vcc_lo, v21, v25
	v_add_co_ci_u32_e32 v22, vcc_lo, v22, v26, vcc_lo
	s_delay_alu instid0(VALU_DEP_2) | instskip(SKIP_1) | instid1(VALU_DEP_3)
	v_mul_hi_u32 v25, s0, v21
	v_mul_lo_u32 v27, s5, v21
	v_mul_lo_u32 v26, s0, v22
	s_delay_alu instid0(VALU_DEP_1) | instskip(SKIP_1) | instid1(VALU_DEP_2)
	v_add_nc_u32_e32 v25, v25, v26
	v_mul_lo_u32 v26, s0, v21
	v_add_nc_u32_e32 v25, v25, v27
	s_delay_alu instid0(VALU_DEP_2) | instskip(NEXT) | instid1(VALU_DEP_2)
	v_mul_hi_u32 v27, v21, v26
	v_mul_lo_u32 v28, v21, v25
	v_mul_hi_u32 v31, v21, v25
	v_mul_hi_u32 v33, v22, v26
	v_mul_lo_u32 v26, v22, v26
	v_mul_hi_u32 v34, v22, v25
	v_mul_lo_u32 v25, v22, v25
	v_add_co_u32 v27, vcc_lo, v27, v28
	v_add_co_ci_u32_e32 v28, vcc_lo, 0, v31, vcc_lo
	s_delay_alu instid0(VALU_DEP_2) | instskip(NEXT) | instid1(VALU_DEP_2)
	v_add_co_u32 v26, vcc_lo, v27, v26
	v_add_co_ci_u32_e32 v26, vcc_lo, v28, v33, vcc_lo
	v_add_co_ci_u32_e32 v27, vcc_lo, 0, v34, vcc_lo
	v_add_co_u32 v23, vcc_lo, v23, v32
	v_add_co_ci_u32_e32 v24, vcc_lo, v24, v32, vcc_lo
	s_delay_alu instid0(VALU_DEP_4) | instskip(NEXT) | instid1(VALU_DEP_4)
	v_add_co_u32 v25, vcc_lo, v26, v25
	v_add_co_ci_u32_e32 v26, vcc_lo, 0, v27, vcc_lo
	s_delay_alu instid0(VALU_DEP_4) | instskip(NEXT) | instid1(VALU_DEP_3)
	v_xor_b32_e32 v27, v23, v32
	v_add_co_u32 v25, vcc_lo, v21, v25
	s_delay_alu instid0(VALU_DEP_3) | instskip(SKIP_1) | instid1(VALU_DEP_3)
	v_add_co_ci_u32_e32 v28, vcc_lo, v22, v26, vcc_lo
	v_xor_b32_e32 v31, v24, v32
	v_mul_hi_u32 v33, v27, v25
	s_delay_alu instid0(VALU_DEP_3) | instskip(NEXT) | instid1(VALU_DEP_3)
	v_mad_u64_u32 v[21:22], null, v27, v28, 0
	v_mad_u64_u32 v[23:24], null, v31, v25, 0
	;; [unrolled: 1-line block ×3, first 2 shown]
	s_delay_alu instid0(VALU_DEP_3) | instskip(NEXT) | instid1(VALU_DEP_4)
	v_add_co_u32 v21, vcc_lo, v33, v21
	v_add_co_ci_u32_e32 v22, vcc_lo, 0, v22, vcc_lo
	s_delay_alu instid0(VALU_DEP_2) | instskip(NEXT) | instid1(VALU_DEP_2)
	v_add_co_u32 v21, vcc_lo, v21, v23
	v_add_co_ci_u32_e32 v21, vcc_lo, v22, v24, vcc_lo
	v_add_co_ci_u32_e32 v22, vcc_lo, 0, v26, vcc_lo
	s_delay_alu instid0(VALU_DEP_2) | instskip(NEXT) | instid1(VALU_DEP_2)
	v_add_co_u32 v23, vcc_lo, v21, v25
	v_add_co_ci_u32_e32 v24, vcc_lo, 0, v22, vcc_lo
	s_delay_alu instid0(VALU_DEP_2) | instskip(SKIP_1) | instid1(VALU_DEP_3)
	v_mul_lo_u32 v25, s7, v23
	v_mad_u64_u32 v[21:22], null, s6, v23, 0
	v_mul_lo_u32 v26, s6, v24
	s_delay_alu instid0(VALU_DEP_2) | instskip(NEXT) | instid1(VALU_DEP_2)
	v_sub_co_u32 v21, vcc_lo, v27, v21
	v_add3_u32 v22, v22, v26, v25
	s_delay_alu instid0(VALU_DEP_1) | instskip(NEXT) | instid1(VALU_DEP_1)
	v_sub_nc_u32_e32 v25, v31, v22
	v_subrev_co_ci_u32_e64 v25, s0, s7, v25, vcc_lo
	v_add_co_u32 v26, s0, v23, 2
	s_delay_alu instid0(VALU_DEP_1) | instskip(SKIP_3) | instid1(VALU_DEP_3)
	v_add_co_ci_u32_e64 v27, s0, 0, v24, s0
	v_sub_co_u32 v28, s0, v21, s6
	v_sub_co_ci_u32_e32 v22, vcc_lo, v31, v22, vcc_lo
	v_subrev_co_ci_u32_e64 v25, s0, 0, v25, s0
	v_cmp_le_u32_e32 vcc_lo, s6, v28
	s_delay_alu instid0(VALU_DEP_3) | instskip(SKIP_1) | instid1(VALU_DEP_4)
	v_cmp_eq_u32_e64 s0, s7, v22
	v_cndmask_b32_e64 v28, 0, -1, vcc_lo
	v_cmp_le_u32_e32 vcc_lo, s7, v25
	v_cndmask_b32_e64 v31, 0, -1, vcc_lo
	v_cmp_le_u32_e32 vcc_lo, s6, v21
	;; [unrolled: 2-line block ×3, first 2 shown]
	v_cndmask_b32_e64 v33, 0, -1, vcc_lo
	v_cmp_eq_u32_e32 vcc_lo, s7, v25
	s_delay_alu instid0(VALU_DEP_2) | instskip(SKIP_3) | instid1(VALU_DEP_3)
	v_cndmask_b32_e64 v21, v33, v21, s0
	v_cndmask_b32_e32 v25, v31, v28, vcc_lo
	v_add_co_u32 v28, vcc_lo, v23, 1
	v_add_co_ci_u32_e32 v31, vcc_lo, 0, v24, vcc_lo
	v_cmp_ne_u32_e32 vcc_lo, 0, v25
	s_delay_alu instid0(VALU_DEP_2) | instskip(SKIP_2) | instid1(VALU_DEP_3)
	v_dual_cndmask_b32 v22, v31, v27 :: v_dual_cndmask_b32 v25, v28, v26
	v_cmp_ne_u32_e32 vcc_lo, 0, v21
	v_xor_b32_e32 v26, s4, v32
	v_dual_cndmask_b32 v21, v24, v22 :: v_dual_cndmask_b32 v22, v23, v25
	s_delay_alu instid0(VALU_DEP_1) | instskip(NEXT) | instid1(VALU_DEP_2)
	v_xor_b32_e32 v23, v21, v26
	v_xor_b32_e32 v22, v22, v26
	s_delay_alu instid0(VALU_DEP_1) | instskip(NEXT) | instid1(VALU_DEP_3)
	v_sub_co_u32 v21, vcc_lo, v22, v26
	v_sub_co_ci_u32_e32 v22, vcc_lo, v23, v26, vcc_lo
                                        ; implicit-def: $vgpr23
.LBB1149_47:
	s_and_not1_saveexec_b32 s0, s1
	s_cbranch_execz .LBB1149_49
; %bb.48:
	v_cvt_f32_u32_e32 v21, s38
	s_sub_i32 s1, 0, s38
	s_delay_alu instid0(VALU_DEP_1) | instskip(SKIP_2) | instid1(VALU_DEP_1)
	v_rcp_iflag_f32_e32 v21, v21
	s_waitcnt_depctr 0xfff
	v_mul_f32_e32 v21, 0x4f7ffffe, v21
	v_cvt_u32_f32_e32 v21, v21
	s_delay_alu instid0(VALU_DEP_1) | instskip(NEXT) | instid1(VALU_DEP_1)
	v_mul_lo_u32 v22, s1, v21
	v_mul_hi_u32 v22, v21, v22
	s_delay_alu instid0(VALU_DEP_1) | instskip(NEXT) | instid1(VALU_DEP_1)
	v_add_nc_u32_e32 v21, v21, v22
	v_mul_hi_u32 v21, v23, v21
	s_delay_alu instid0(VALU_DEP_1) | instskip(NEXT) | instid1(VALU_DEP_1)
	v_mul_lo_u32 v22, v21, s38
	v_sub_nc_u32_e32 v22, v23, v22
	v_add_nc_u32_e32 v23, 1, v21
	s_delay_alu instid0(VALU_DEP_2) | instskip(SKIP_1) | instid1(VALU_DEP_2)
	v_subrev_nc_u32_e32 v24, s38, v22
	v_cmp_le_u32_e32 vcc_lo, s38, v22
	v_dual_cndmask_b32 v22, v22, v24 :: v_dual_cndmask_b32 v21, v21, v23
	s_delay_alu instid0(VALU_DEP_1) | instskip(NEXT) | instid1(VALU_DEP_2)
	v_cmp_le_u32_e32 vcc_lo, s38, v22
	v_dual_mov_b32 v22, 0 :: v_dual_add_nc_u32 v23, 1, v21
	s_delay_alu instid0(VALU_DEP_1)
	v_cndmask_b32_e32 v21, v21, v23, vcc_lo
.LBB1149_49:
	s_or_b32 exec_lo, exec_lo, s0
	v_add_co_u32 v25, vcc_lo, 0xb00, v29
	v_add_co_ci_u32_e32 v26, vcc_lo, 0, v30, vcc_lo
	v_mov_b32_e32 v23, 0
	s_delay_alu instid0(VALU_DEP_2) | instskip(NEXT) | instid1(VALU_DEP_1)
	v_or_b32_e32 v24, s39, v26
	v_cmp_ne_u64_e32 vcc_lo, 0, v[23:24]
                                        ; implicit-def: $vgpr23_vgpr24
	s_and_saveexec_b32 s0, vcc_lo
	s_delay_alu instid0(SALU_CYCLE_1)
	s_xor_b32 s1, exec_lo, s0
	s_cbranch_execz .LBB1149_51
; %bb.50:
	s_ashr_i32 s4, s39, 31
	s_delay_alu instid0(SALU_CYCLE_1) | instskip(SKIP_2) | instid1(SALU_CYCLE_1)
	s_add_u32 s6, s38, s4
	s_mov_b32 s5, s4
	s_addc_u32 s7, s39, s4
	s_xor_b64 s[6:7], s[6:7], s[4:5]
	s_delay_alu instid0(SALU_CYCLE_1) | instskip(SKIP_3) | instid1(VALU_DEP_1)
	v_cvt_f32_u32_e32 v23, s6
	v_cvt_f32_u32_e32 v24, s7
	s_sub_u32 s0, 0, s6
	s_subb_u32 s5, 0, s7
	v_fmamk_f32 v23, v24, 0x4f800000, v23
	s_delay_alu instid0(VALU_DEP_1) | instskip(SKIP_2) | instid1(VALU_DEP_1)
	v_rcp_f32_e32 v23, v23
	s_waitcnt_depctr 0xfff
	v_mul_f32_e32 v23, 0x5f7ffffc, v23
	v_mul_f32_e32 v24, 0x2f800000, v23
	s_delay_alu instid0(VALU_DEP_1) | instskip(NEXT) | instid1(VALU_DEP_1)
	v_trunc_f32_e32 v24, v24
	v_fmamk_f32 v23, v24, 0xcf800000, v23
	v_cvt_u32_f32_e32 v24, v24
	s_delay_alu instid0(VALU_DEP_2) | instskip(NEXT) | instid1(VALU_DEP_2)
	v_cvt_u32_f32_e32 v23, v23
	v_mul_lo_u32 v27, s0, v24
	s_delay_alu instid0(VALU_DEP_2) | instskip(SKIP_1) | instid1(VALU_DEP_2)
	v_mul_hi_u32 v28, s0, v23
	v_mul_lo_u32 v31, s5, v23
	v_add_nc_u32_e32 v27, v28, v27
	v_mul_lo_u32 v28, s0, v23
	s_delay_alu instid0(VALU_DEP_2) | instskip(NEXT) | instid1(VALU_DEP_2)
	v_add_nc_u32_e32 v27, v27, v31
	v_mul_hi_u32 v31, v23, v28
	s_delay_alu instid0(VALU_DEP_2)
	v_mul_lo_u32 v32, v23, v27
	v_mul_hi_u32 v33, v23, v27
	v_mul_hi_u32 v34, v24, v28
	v_mul_lo_u32 v28, v24, v28
	v_mul_hi_u32 v35, v24, v27
	v_mul_lo_u32 v27, v24, v27
	v_add_co_u32 v31, vcc_lo, v31, v32
	v_add_co_ci_u32_e32 v32, vcc_lo, 0, v33, vcc_lo
	s_delay_alu instid0(VALU_DEP_2) | instskip(NEXT) | instid1(VALU_DEP_2)
	v_add_co_u32 v28, vcc_lo, v31, v28
	v_add_co_ci_u32_e32 v28, vcc_lo, v32, v34, vcc_lo
	v_add_co_ci_u32_e32 v31, vcc_lo, 0, v35, vcc_lo
	v_ashrrev_i32_e32 v34, 31, v26
	s_delay_alu instid0(VALU_DEP_3) | instskip(NEXT) | instid1(VALU_DEP_3)
	v_add_co_u32 v27, vcc_lo, v28, v27
	v_add_co_ci_u32_e32 v28, vcc_lo, 0, v31, vcc_lo
	s_delay_alu instid0(VALU_DEP_2) | instskip(NEXT) | instid1(VALU_DEP_2)
	v_add_co_u32 v23, vcc_lo, v23, v27
	v_add_co_ci_u32_e32 v24, vcc_lo, v24, v28, vcc_lo
	s_delay_alu instid0(VALU_DEP_2) | instskip(SKIP_1) | instid1(VALU_DEP_3)
	v_mul_hi_u32 v27, s0, v23
	v_mul_lo_u32 v31, s5, v23
	v_mul_lo_u32 v28, s0, v24
	s_delay_alu instid0(VALU_DEP_1) | instskip(SKIP_1) | instid1(VALU_DEP_2)
	v_add_nc_u32_e32 v27, v27, v28
	v_mul_lo_u32 v28, s0, v23
	v_add_nc_u32_e32 v27, v27, v31
	s_delay_alu instid0(VALU_DEP_2) | instskip(NEXT) | instid1(VALU_DEP_2)
	v_mul_hi_u32 v31, v23, v28
	v_mul_lo_u32 v32, v23, v27
	v_mul_hi_u32 v33, v23, v27
	v_mul_hi_u32 v35, v24, v28
	v_mul_lo_u32 v28, v24, v28
	v_mul_hi_u32 v36, v24, v27
	v_mul_lo_u32 v27, v24, v27
	v_add_co_u32 v31, vcc_lo, v31, v32
	v_add_co_ci_u32_e32 v32, vcc_lo, 0, v33, vcc_lo
	s_delay_alu instid0(VALU_DEP_2) | instskip(NEXT) | instid1(VALU_DEP_2)
	v_add_co_u32 v28, vcc_lo, v31, v28
	v_add_co_ci_u32_e32 v28, vcc_lo, v32, v35, vcc_lo
	v_add_co_ci_u32_e32 v31, vcc_lo, 0, v36, vcc_lo
	v_add_co_u32 v25, vcc_lo, v25, v34
	v_add_co_ci_u32_e32 v26, vcc_lo, v26, v34, vcc_lo
	s_delay_alu instid0(VALU_DEP_4) | instskip(NEXT) | instid1(VALU_DEP_4)
	v_add_co_u32 v27, vcc_lo, v28, v27
	v_add_co_ci_u32_e32 v28, vcc_lo, 0, v31, vcc_lo
	s_delay_alu instid0(VALU_DEP_4) | instskip(NEXT) | instid1(VALU_DEP_3)
	v_xor_b32_e32 v31, v25, v34
	v_add_co_u32 v27, vcc_lo, v23, v27
	s_delay_alu instid0(VALU_DEP_3) | instskip(SKIP_1) | instid1(VALU_DEP_3)
	v_add_co_ci_u32_e32 v32, vcc_lo, v24, v28, vcc_lo
	v_xor_b32_e32 v33, v26, v34
	v_mul_hi_u32 v35, v31, v27
	s_delay_alu instid0(VALU_DEP_3) | instskip(NEXT) | instid1(VALU_DEP_3)
	v_mad_u64_u32 v[23:24], null, v31, v32, 0
	v_mad_u64_u32 v[25:26], null, v33, v27, 0
	;; [unrolled: 1-line block ×3, first 2 shown]
	s_delay_alu instid0(VALU_DEP_3) | instskip(NEXT) | instid1(VALU_DEP_4)
	v_add_co_u32 v23, vcc_lo, v35, v23
	v_add_co_ci_u32_e32 v24, vcc_lo, 0, v24, vcc_lo
	s_delay_alu instid0(VALU_DEP_2) | instskip(NEXT) | instid1(VALU_DEP_2)
	v_add_co_u32 v23, vcc_lo, v23, v25
	v_add_co_ci_u32_e32 v23, vcc_lo, v24, v26, vcc_lo
	v_add_co_ci_u32_e32 v24, vcc_lo, 0, v28, vcc_lo
	s_delay_alu instid0(VALU_DEP_2) | instskip(NEXT) | instid1(VALU_DEP_2)
	v_add_co_u32 v25, vcc_lo, v23, v27
	v_add_co_ci_u32_e32 v26, vcc_lo, 0, v24, vcc_lo
	s_delay_alu instid0(VALU_DEP_2) | instskip(SKIP_1) | instid1(VALU_DEP_3)
	v_mul_lo_u32 v27, s7, v25
	v_mad_u64_u32 v[23:24], null, s6, v25, 0
	v_mul_lo_u32 v28, s6, v26
	s_delay_alu instid0(VALU_DEP_2) | instskip(NEXT) | instid1(VALU_DEP_2)
	v_sub_co_u32 v23, vcc_lo, v31, v23
	v_add3_u32 v24, v24, v28, v27
	s_delay_alu instid0(VALU_DEP_1) | instskip(NEXT) | instid1(VALU_DEP_1)
	v_sub_nc_u32_e32 v27, v33, v24
	v_subrev_co_ci_u32_e64 v27, s0, s7, v27, vcc_lo
	v_add_co_u32 v28, s0, v25, 2
	s_delay_alu instid0(VALU_DEP_1) | instskip(SKIP_3) | instid1(VALU_DEP_3)
	v_add_co_ci_u32_e64 v31, s0, 0, v26, s0
	v_sub_co_u32 v32, s0, v23, s6
	v_sub_co_ci_u32_e32 v24, vcc_lo, v33, v24, vcc_lo
	v_subrev_co_ci_u32_e64 v27, s0, 0, v27, s0
	v_cmp_le_u32_e32 vcc_lo, s6, v32
	s_delay_alu instid0(VALU_DEP_3) | instskip(SKIP_1) | instid1(VALU_DEP_4)
	v_cmp_eq_u32_e64 s0, s7, v24
	v_cndmask_b32_e64 v32, 0, -1, vcc_lo
	v_cmp_le_u32_e32 vcc_lo, s7, v27
	v_cndmask_b32_e64 v33, 0, -1, vcc_lo
	v_cmp_le_u32_e32 vcc_lo, s6, v23
	v_cndmask_b32_e64 v23, 0, -1, vcc_lo
	v_cmp_le_u32_e32 vcc_lo, s7, v24
	v_cndmask_b32_e64 v35, 0, -1, vcc_lo
	v_cmp_eq_u32_e32 vcc_lo, s7, v27
	s_delay_alu instid0(VALU_DEP_2) | instskip(SKIP_3) | instid1(VALU_DEP_3)
	v_cndmask_b32_e64 v23, v35, v23, s0
	v_cndmask_b32_e32 v27, v33, v32, vcc_lo
	v_add_co_u32 v32, vcc_lo, v25, 1
	v_add_co_ci_u32_e32 v33, vcc_lo, 0, v26, vcc_lo
	v_cmp_ne_u32_e32 vcc_lo, 0, v27
	s_delay_alu instid0(VALU_DEP_2) | instskip(SKIP_2) | instid1(VALU_DEP_3)
	v_dual_cndmask_b32 v24, v33, v31 :: v_dual_cndmask_b32 v27, v32, v28
	v_cmp_ne_u32_e32 vcc_lo, 0, v23
	v_xor_b32_e32 v28, s4, v34
	v_dual_cndmask_b32 v23, v26, v24 :: v_dual_cndmask_b32 v24, v25, v27
	s_delay_alu instid0(VALU_DEP_1) | instskip(NEXT) | instid1(VALU_DEP_2)
	v_xor_b32_e32 v25, v23, v28
	v_xor_b32_e32 v24, v24, v28
	s_delay_alu instid0(VALU_DEP_1) | instskip(NEXT) | instid1(VALU_DEP_3)
	v_sub_co_u32 v23, vcc_lo, v24, v28
	v_sub_co_ci_u32_e32 v24, vcc_lo, v25, v28, vcc_lo
                                        ; implicit-def: $vgpr25
.LBB1149_51:
	s_and_not1_saveexec_b32 s0, s1
	s_cbranch_execz .LBB1149_53
; %bb.52:
	v_cvt_f32_u32_e32 v23, s38
	s_sub_i32 s1, 0, s38
	s_delay_alu instid0(VALU_DEP_1) | instskip(SKIP_2) | instid1(VALU_DEP_1)
	v_rcp_iflag_f32_e32 v23, v23
	s_waitcnt_depctr 0xfff
	v_mul_f32_e32 v23, 0x4f7ffffe, v23
	v_cvt_u32_f32_e32 v23, v23
	s_delay_alu instid0(VALU_DEP_1) | instskip(NEXT) | instid1(VALU_DEP_1)
	v_mul_lo_u32 v24, s1, v23
	v_mul_hi_u32 v24, v23, v24
	s_delay_alu instid0(VALU_DEP_1) | instskip(NEXT) | instid1(VALU_DEP_1)
	v_add_nc_u32_e32 v23, v23, v24
	v_mul_hi_u32 v23, v25, v23
	s_delay_alu instid0(VALU_DEP_1) | instskip(NEXT) | instid1(VALU_DEP_1)
	v_mul_lo_u32 v24, v23, s38
	v_sub_nc_u32_e32 v24, v25, v24
	v_add_nc_u32_e32 v25, 1, v23
	s_delay_alu instid0(VALU_DEP_2) | instskip(SKIP_1) | instid1(VALU_DEP_2)
	v_subrev_nc_u32_e32 v26, s38, v24
	v_cmp_le_u32_e32 vcc_lo, s38, v24
	v_dual_cndmask_b32 v24, v24, v26 :: v_dual_cndmask_b32 v23, v23, v25
	s_delay_alu instid0(VALU_DEP_1) | instskip(NEXT) | instid1(VALU_DEP_2)
	v_cmp_le_u32_e32 vcc_lo, s38, v24
	v_dual_mov_b32 v24, 0 :: v_dual_add_nc_u32 v25, 1, v23
	s_delay_alu instid0(VALU_DEP_1)
	v_cndmask_b32_e32 v23, v23, v25, vcc_lo
.LBB1149_53:
	s_or_b32 exec_lo, exec_lo, s0
	v_add_co_u32 v27, vcc_lo, 0xc00, v29
	v_add_co_ci_u32_e32 v28, vcc_lo, 0, v30, vcc_lo
	v_mov_b32_e32 v25, 0
	s_delay_alu instid0(VALU_DEP_2) | instskip(NEXT) | instid1(VALU_DEP_1)
	v_or_b32_e32 v26, s39, v28
	v_cmp_ne_u64_e32 vcc_lo, 0, v[25:26]
                                        ; implicit-def: $vgpr25_vgpr26
	s_and_saveexec_b32 s0, vcc_lo
	s_delay_alu instid0(SALU_CYCLE_1)
	s_xor_b32 s1, exec_lo, s0
	s_cbranch_execz .LBB1149_55
; %bb.54:
	s_ashr_i32 s4, s39, 31
	s_delay_alu instid0(SALU_CYCLE_1) | instskip(SKIP_2) | instid1(SALU_CYCLE_1)
	s_add_u32 s6, s38, s4
	s_mov_b32 s5, s4
	s_addc_u32 s7, s39, s4
	s_xor_b64 s[6:7], s[6:7], s[4:5]
	s_delay_alu instid0(SALU_CYCLE_1) | instskip(SKIP_3) | instid1(VALU_DEP_1)
	v_cvt_f32_u32_e32 v25, s6
	v_cvt_f32_u32_e32 v26, s7
	s_sub_u32 s0, 0, s6
	s_subb_u32 s5, 0, s7
	v_fmamk_f32 v25, v26, 0x4f800000, v25
	s_delay_alu instid0(VALU_DEP_1) | instskip(SKIP_2) | instid1(VALU_DEP_1)
	v_rcp_f32_e32 v25, v25
	s_waitcnt_depctr 0xfff
	v_mul_f32_e32 v25, 0x5f7ffffc, v25
	v_mul_f32_e32 v26, 0x2f800000, v25
	s_delay_alu instid0(VALU_DEP_1) | instskip(NEXT) | instid1(VALU_DEP_1)
	v_trunc_f32_e32 v26, v26
	v_fmamk_f32 v25, v26, 0xcf800000, v25
	v_cvt_u32_f32_e32 v26, v26
	s_delay_alu instid0(VALU_DEP_2) | instskip(NEXT) | instid1(VALU_DEP_2)
	v_cvt_u32_f32_e32 v25, v25
	v_mul_lo_u32 v31, s0, v26
	s_delay_alu instid0(VALU_DEP_2) | instskip(SKIP_1) | instid1(VALU_DEP_2)
	v_mul_hi_u32 v32, s0, v25
	v_mul_lo_u32 v33, s5, v25
	v_add_nc_u32_e32 v31, v32, v31
	v_mul_lo_u32 v32, s0, v25
	s_delay_alu instid0(VALU_DEP_2) | instskip(NEXT) | instid1(VALU_DEP_2)
	v_add_nc_u32_e32 v31, v31, v33
	v_mul_hi_u32 v33, v25, v32
	s_delay_alu instid0(VALU_DEP_2)
	v_mul_lo_u32 v34, v25, v31
	v_mul_hi_u32 v35, v25, v31
	v_mul_hi_u32 v36, v26, v32
	v_mul_lo_u32 v32, v26, v32
	v_mul_hi_u32 v37, v26, v31
	v_mul_lo_u32 v31, v26, v31
	v_add_co_u32 v33, vcc_lo, v33, v34
	v_add_co_ci_u32_e32 v34, vcc_lo, 0, v35, vcc_lo
	s_delay_alu instid0(VALU_DEP_2) | instskip(NEXT) | instid1(VALU_DEP_2)
	v_add_co_u32 v32, vcc_lo, v33, v32
	v_add_co_ci_u32_e32 v32, vcc_lo, v34, v36, vcc_lo
	v_add_co_ci_u32_e32 v33, vcc_lo, 0, v37, vcc_lo
	v_ashrrev_i32_e32 v36, 31, v28
	s_delay_alu instid0(VALU_DEP_3) | instskip(NEXT) | instid1(VALU_DEP_3)
	v_add_co_u32 v31, vcc_lo, v32, v31
	v_add_co_ci_u32_e32 v32, vcc_lo, 0, v33, vcc_lo
	s_delay_alu instid0(VALU_DEP_2) | instskip(NEXT) | instid1(VALU_DEP_2)
	v_add_co_u32 v25, vcc_lo, v25, v31
	v_add_co_ci_u32_e32 v26, vcc_lo, v26, v32, vcc_lo
	s_delay_alu instid0(VALU_DEP_2) | instskip(SKIP_1) | instid1(VALU_DEP_3)
	v_mul_hi_u32 v31, s0, v25
	v_mul_lo_u32 v33, s5, v25
	v_mul_lo_u32 v32, s0, v26
	s_delay_alu instid0(VALU_DEP_1) | instskip(SKIP_1) | instid1(VALU_DEP_2)
	v_add_nc_u32_e32 v31, v31, v32
	v_mul_lo_u32 v32, s0, v25
	v_add_nc_u32_e32 v31, v31, v33
	s_delay_alu instid0(VALU_DEP_2) | instskip(NEXT) | instid1(VALU_DEP_2)
	v_mul_hi_u32 v33, v25, v32
	v_mul_lo_u32 v34, v25, v31
	v_mul_hi_u32 v35, v25, v31
	v_mul_hi_u32 v37, v26, v32
	v_mul_lo_u32 v32, v26, v32
	v_mul_hi_u32 v38, v26, v31
	v_mul_lo_u32 v31, v26, v31
	v_add_co_u32 v33, vcc_lo, v33, v34
	v_add_co_ci_u32_e32 v34, vcc_lo, 0, v35, vcc_lo
	s_delay_alu instid0(VALU_DEP_2) | instskip(NEXT) | instid1(VALU_DEP_2)
	v_add_co_u32 v32, vcc_lo, v33, v32
	v_add_co_ci_u32_e32 v32, vcc_lo, v34, v37, vcc_lo
	v_add_co_ci_u32_e32 v33, vcc_lo, 0, v38, vcc_lo
	v_add_co_u32 v27, vcc_lo, v27, v36
	v_add_co_ci_u32_e32 v28, vcc_lo, v28, v36, vcc_lo
	s_delay_alu instid0(VALU_DEP_4) | instskip(NEXT) | instid1(VALU_DEP_4)
	v_add_co_u32 v31, vcc_lo, v32, v31
	v_add_co_ci_u32_e32 v32, vcc_lo, 0, v33, vcc_lo
	s_delay_alu instid0(VALU_DEP_4) | instskip(NEXT) | instid1(VALU_DEP_3)
	v_xor_b32_e32 v33, v27, v36
	v_add_co_u32 v31, vcc_lo, v25, v31
	s_delay_alu instid0(VALU_DEP_3) | instskip(SKIP_1) | instid1(VALU_DEP_3)
	v_add_co_ci_u32_e32 v34, vcc_lo, v26, v32, vcc_lo
	v_xor_b32_e32 v35, v28, v36
	v_mul_hi_u32 v37, v33, v31
	s_delay_alu instid0(VALU_DEP_3) | instskip(NEXT) | instid1(VALU_DEP_3)
	v_mad_u64_u32 v[25:26], null, v33, v34, 0
	v_mad_u64_u32 v[27:28], null, v35, v31, 0
	;; [unrolled: 1-line block ×3, first 2 shown]
	s_delay_alu instid0(VALU_DEP_3) | instskip(NEXT) | instid1(VALU_DEP_4)
	v_add_co_u32 v25, vcc_lo, v37, v25
	v_add_co_ci_u32_e32 v26, vcc_lo, 0, v26, vcc_lo
	s_delay_alu instid0(VALU_DEP_2) | instskip(NEXT) | instid1(VALU_DEP_2)
	v_add_co_u32 v25, vcc_lo, v25, v27
	v_add_co_ci_u32_e32 v25, vcc_lo, v26, v28, vcc_lo
	v_add_co_ci_u32_e32 v26, vcc_lo, 0, v32, vcc_lo
	s_delay_alu instid0(VALU_DEP_2) | instskip(NEXT) | instid1(VALU_DEP_2)
	v_add_co_u32 v27, vcc_lo, v25, v31
	v_add_co_ci_u32_e32 v28, vcc_lo, 0, v26, vcc_lo
	s_delay_alu instid0(VALU_DEP_2) | instskip(SKIP_1) | instid1(VALU_DEP_3)
	v_mul_lo_u32 v31, s7, v27
	v_mad_u64_u32 v[25:26], null, s6, v27, 0
	v_mul_lo_u32 v32, s6, v28
	s_delay_alu instid0(VALU_DEP_2) | instskip(NEXT) | instid1(VALU_DEP_2)
	v_sub_co_u32 v25, vcc_lo, v33, v25
	v_add3_u32 v26, v26, v32, v31
	s_delay_alu instid0(VALU_DEP_1) | instskip(NEXT) | instid1(VALU_DEP_1)
	v_sub_nc_u32_e32 v31, v35, v26
	v_subrev_co_ci_u32_e64 v31, s0, s7, v31, vcc_lo
	v_add_co_u32 v32, s0, v27, 2
	s_delay_alu instid0(VALU_DEP_1) | instskip(SKIP_3) | instid1(VALU_DEP_3)
	v_add_co_ci_u32_e64 v33, s0, 0, v28, s0
	v_sub_co_u32 v34, s0, v25, s6
	v_sub_co_ci_u32_e32 v26, vcc_lo, v35, v26, vcc_lo
	v_subrev_co_ci_u32_e64 v31, s0, 0, v31, s0
	v_cmp_le_u32_e32 vcc_lo, s6, v34
	s_delay_alu instid0(VALU_DEP_3) | instskip(SKIP_1) | instid1(VALU_DEP_4)
	v_cmp_eq_u32_e64 s0, s7, v26
	v_cndmask_b32_e64 v34, 0, -1, vcc_lo
	v_cmp_le_u32_e32 vcc_lo, s7, v31
	v_cndmask_b32_e64 v35, 0, -1, vcc_lo
	v_cmp_le_u32_e32 vcc_lo, s6, v25
	;; [unrolled: 2-line block ×3, first 2 shown]
	v_cndmask_b32_e64 v37, 0, -1, vcc_lo
	v_cmp_eq_u32_e32 vcc_lo, s7, v31
	s_delay_alu instid0(VALU_DEP_2) | instskip(SKIP_3) | instid1(VALU_DEP_3)
	v_cndmask_b32_e64 v25, v37, v25, s0
	v_cndmask_b32_e32 v31, v35, v34, vcc_lo
	v_add_co_u32 v34, vcc_lo, v27, 1
	v_add_co_ci_u32_e32 v35, vcc_lo, 0, v28, vcc_lo
	v_cmp_ne_u32_e32 vcc_lo, 0, v31
	s_delay_alu instid0(VALU_DEP_2) | instskip(SKIP_2) | instid1(VALU_DEP_3)
	v_dual_cndmask_b32 v26, v35, v33 :: v_dual_cndmask_b32 v31, v34, v32
	v_cmp_ne_u32_e32 vcc_lo, 0, v25
	v_xor_b32_e32 v32, s4, v36
	v_dual_cndmask_b32 v25, v28, v26 :: v_dual_cndmask_b32 v26, v27, v31
	s_delay_alu instid0(VALU_DEP_1) | instskip(NEXT) | instid1(VALU_DEP_2)
	v_xor_b32_e32 v27, v25, v32
	v_xor_b32_e32 v26, v26, v32
	s_delay_alu instid0(VALU_DEP_1) | instskip(NEXT) | instid1(VALU_DEP_3)
	v_sub_co_u32 v25, vcc_lo, v26, v32
	v_sub_co_ci_u32_e32 v26, vcc_lo, v27, v32, vcc_lo
                                        ; implicit-def: $vgpr27
.LBB1149_55:
	s_and_not1_saveexec_b32 s0, s1
	s_cbranch_execz .LBB1149_57
; %bb.56:
	v_cvt_f32_u32_e32 v25, s38
	s_sub_i32 s1, 0, s38
	s_delay_alu instid0(VALU_DEP_1) | instskip(SKIP_2) | instid1(VALU_DEP_1)
	v_rcp_iflag_f32_e32 v25, v25
	s_waitcnt_depctr 0xfff
	v_mul_f32_e32 v25, 0x4f7ffffe, v25
	v_cvt_u32_f32_e32 v25, v25
	s_delay_alu instid0(VALU_DEP_1) | instskip(NEXT) | instid1(VALU_DEP_1)
	v_mul_lo_u32 v26, s1, v25
	v_mul_hi_u32 v26, v25, v26
	s_delay_alu instid0(VALU_DEP_1) | instskip(NEXT) | instid1(VALU_DEP_1)
	v_add_nc_u32_e32 v25, v25, v26
	v_mul_hi_u32 v25, v27, v25
	s_delay_alu instid0(VALU_DEP_1) | instskip(NEXT) | instid1(VALU_DEP_1)
	v_mul_lo_u32 v26, v25, s38
	v_sub_nc_u32_e32 v26, v27, v26
	v_add_nc_u32_e32 v27, 1, v25
	s_delay_alu instid0(VALU_DEP_2) | instskip(SKIP_1) | instid1(VALU_DEP_2)
	v_subrev_nc_u32_e32 v28, s38, v26
	v_cmp_le_u32_e32 vcc_lo, s38, v26
	v_dual_cndmask_b32 v26, v26, v28 :: v_dual_cndmask_b32 v25, v25, v27
	s_delay_alu instid0(VALU_DEP_1) | instskip(NEXT) | instid1(VALU_DEP_2)
	v_cmp_le_u32_e32 vcc_lo, s38, v26
	v_dual_mov_b32 v26, 0 :: v_dual_add_nc_u32 v27, 1, v25
	s_delay_alu instid0(VALU_DEP_1)
	v_cndmask_b32_e32 v25, v25, v27, vcc_lo
.LBB1149_57:
	s_or_b32 exec_lo, exec_lo, s0
	v_add_co_u32 v31, vcc_lo, 0xd00, v29
	v_add_co_ci_u32_e32 v32, vcc_lo, 0, v30, vcc_lo
	v_mov_b32_e32 v27, 0
	s_delay_alu instid0(VALU_DEP_2) | instskip(NEXT) | instid1(VALU_DEP_1)
	v_or_b32_e32 v28, s39, v32
	v_cmp_ne_u64_e32 vcc_lo, 0, v[27:28]
                                        ; implicit-def: $vgpr27_vgpr28
	s_and_saveexec_b32 s0, vcc_lo
	s_delay_alu instid0(SALU_CYCLE_1)
	s_xor_b32 s1, exec_lo, s0
	s_cbranch_execz .LBB1149_59
; %bb.58:
	s_ashr_i32 s4, s39, 31
	s_delay_alu instid0(SALU_CYCLE_1) | instskip(SKIP_2) | instid1(SALU_CYCLE_1)
	s_add_u32 s6, s38, s4
	s_mov_b32 s5, s4
	s_addc_u32 s7, s39, s4
	s_xor_b64 s[6:7], s[6:7], s[4:5]
	s_delay_alu instid0(SALU_CYCLE_1) | instskip(SKIP_3) | instid1(VALU_DEP_1)
	v_cvt_f32_u32_e32 v27, s6
	v_cvt_f32_u32_e32 v28, s7
	s_sub_u32 s0, 0, s6
	s_subb_u32 s5, 0, s7
	v_fmamk_f32 v27, v28, 0x4f800000, v27
	s_delay_alu instid0(VALU_DEP_1) | instskip(SKIP_2) | instid1(VALU_DEP_1)
	v_rcp_f32_e32 v27, v27
	s_waitcnt_depctr 0xfff
	v_mul_f32_e32 v27, 0x5f7ffffc, v27
	v_mul_f32_e32 v28, 0x2f800000, v27
	s_delay_alu instid0(VALU_DEP_1) | instskip(NEXT) | instid1(VALU_DEP_1)
	v_trunc_f32_e32 v28, v28
	v_fmamk_f32 v27, v28, 0xcf800000, v27
	v_cvt_u32_f32_e32 v28, v28
	s_delay_alu instid0(VALU_DEP_2) | instskip(NEXT) | instid1(VALU_DEP_2)
	v_cvt_u32_f32_e32 v27, v27
	v_mul_lo_u32 v33, s0, v28
	s_delay_alu instid0(VALU_DEP_2) | instskip(SKIP_1) | instid1(VALU_DEP_2)
	v_mul_hi_u32 v34, s0, v27
	v_mul_lo_u32 v35, s5, v27
	v_add_nc_u32_e32 v33, v34, v33
	v_mul_lo_u32 v34, s0, v27
	s_delay_alu instid0(VALU_DEP_2) | instskip(NEXT) | instid1(VALU_DEP_2)
	v_add_nc_u32_e32 v33, v33, v35
	v_mul_hi_u32 v35, v27, v34
	s_delay_alu instid0(VALU_DEP_2)
	v_mul_lo_u32 v36, v27, v33
	v_mul_hi_u32 v37, v27, v33
	v_mul_hi_u32 v38, v28, v34
	v_mul_lo_u32 v34, v28, v34
	v_mul_hi_u32 v39, v28, v33
	v_mul_lo_u32 v33, v28, v33
	v_add_co_u32 v35, vcc_lo, v35, v36
	v_add_co_ci_u32_e32 v36, vcc_lo, 0, v37, vcc_lo
	s_delay_alu instid0(VALU_DEP_2) | instskip(NEXT) | instid1(VALU_DEP_2)
	v_add_co_u32 v34, vcc_lo, v35, v34
	v_add_co_ci_u32_e32 v34, vcc_lo, v36, v38, vcc_lo
	v_add_co_ci_u32_e32 v35, vcc_lo, 0, v39, vcc_lo
	v_ashrrev_i32_e32 v38, 31, v32
	s_delay_alu instid0(VALU_DEP_3) | instskip(NEXT) | instid1(VALU_DEP_3)
	v_add_co_u32 v33, vcc_lo, v34, v33
	v_add_co_ci_u32_e32 v34, vcc_lo, 0, v35, vcc_lo
	s_delay_alu instid0(VALU_DEP_2) | instskip(NEXT) | instid1(VALU_DEP_2)
	v_add_co_u32 v27, vcc_lo, v27, v33
	v_add_co_ci_u32_e32 v28, vcc_lo, v28, v34, vcc_lo
	s_delay_alu instid0(VALU_DEP_2) | instskip(SKIP_1) | instid1(VALU_DEP_3)
	v_mul_hi_u32 v33, s0, v27
	v_mul_lo_u32 v35, s5, v27
	v_mul_lo_u32 v34, s0, v28
	s_delay_alu instid0(VALU_DEP_1) | instskip(SKIP_1) | instid1(VALU_DEP_2)
	v_add_nc_u32_e32 v33, v33, v34
	v_mul_lo_u32 v34, s0, v27
	v_add_nc_u32_e32 v33, v33, v35
	s_delay_alu instid0(VALU_DEP_2) | instskip(NEXT) | instid1(VALU_DEP_2)
	v_mul_hi_u32 v35, v27, v34
	v_mul_lo_u32 v36, v27, v33
	v_mul_hi_u32 v37, v27, v33
	v_mul_hi_u32 v39, v28, v34
	v_mul_lo_u32 v34, v28, v34
	v_mul_hi_u32 v40, v28, v33
	v_mul_lo_u32 v33, v28, v33
	v_add_co_u32 v35, vcc_lo, v35, v36
	v_add_co_ci_u32_e32 v36, vcc_lo, 0, v37, vcc_lo
	s_delay_alu instid0(VALU_DEP_2) | instskip(NEXT) | instid1(VALU_DEP_2)
	v_add_co_u32 v34, vcc_lo, v35, v34
	v_add_co_ci_u32_e32 v34, vcc_lo, v36, v39, vcc_lo
	v_add_co_ci_u32_e32 v35, vcc_lo, 0, v40, vcc_lo
	v_add_co_u32 v31, vcc_lo, v31, v38
	v_add_co_ci_u32_e32 v32, vcc_lo, v32, v38, vcc_lo
	s_delay_alu instid0(VALU_DEP_4) | instskip(NEXT) | instid1(VALU_DEP_4)
	v_add_co_u32 v33, vcc_lo, v34, v33
	v_add_co_ci_u32_e32 v34, vcc_lo, 0, v35, vcc_lo
	s_delay_alu instid0(VALU_DEP_4) | instskip(NEXT) | instid1(VALU_DEP_3)
	v_xor_b32_e32 v35, v31, v38
	v_add_co_u32 v33, vcc_lo, v27, v33
	s_delay_alu instid0(VALU_DEP_3) | instskip(SKIP_1) | instid1(VALU_DEP_3)
	v_add_co_ci_u32_e32 v36, vcc_lo, v28, v34, vcc_lo
	v_xor_b32_e32 v37, v32, v38
	v_mul_hi_u32 v39, v35, v33
	s_delay_alu instid0(VALU_DEP_3) | instskip(NEXT) | instid1(VALU_DEP_3)
	v_mad_u64_u32 v[27:28], null, v35, v36, 0
	v_mad_u64_u32 v[31:32], null, v37, v33, 0
	;; [unrolled: 1-line block ×3, first 2 shown]
	s_delay_alu instid0(VALU_DEP_3) | instskip(NEXT) | instid1(VALU_DEP_4)
	v_add_co_u32 v27, vcc_lo, v39, v27
	v_add_co_ci_u32_e32 v28, vcc_lo, 0, v28, vcc_lo
	s_delay_alu instid0(VALU_DEP_2) | instskip(NEXT) | instid1(VALU_DEP_2)
	v_add_co_u32 v27, vcc_lo, v27, v31
	v_add_co_ci_u32_e32 v27, vcc_lo, v28, v32, vcc_lo
	v_add_co_ci_u32_e32 v28, vcc_lo, 0, v34, vcc_lo
	s_delay_alu instid0(VALU_DEP_2) | instskip(NEXT) | instid1(VALU_DEP_2)
	v_add_co_u32 v31, vcc_lo, v27, v33
	v_add_co_ci_u32_e32 v32, vcc_lo, 0, v28, vcc_lo
	s_delay_alu instid0(VALU_DEP_2) | instskip(SKIP_1) | instid1(VALU_DEP_3)
	v_mul_lo_u32 v33, s7, v31
	v_mad_u64_u32 v[27:28], null, s6, v31, 0
	v_mul_lo_u32 v34, s6, v32
	s_delay_alu instid0(VALU_DEP_2) | instskip(NEXT) | instid1(VALU_DEP_2)
	v_sub_co_u32 v27, vcc_lo, v35, v27
	v_add3_u32 v28, v28, v34, v33
	s_delay_alu instid0(VALU_DEP_1) | instskip(NEXT) | instid1(VALU_DEP_1)
	v_sub_nc_u32_e32 v33, v37, v28
	v_subrev_co_ci_u32_e64 v33, s0, s7, v33, vcc_lo
	v_add_co_u32 v34, s0, v31, 2
	s_delay_alu instid0(VALU_DEP_1) | instskip(SKIP_3) | instid1(VALU_DEP_3)
	v_add_co_ci_u32_e64 v35, s0, 0, v32, s0
	v_sub_co_u32 v36, s0, v27, s6
	v_sub_co_ci_u32_e32 v28, vcc_lo, v37, v28, vcc_lo
	v_subrev_co_ci_u32_e64 v33, s0, 0, v33, s0
	v_cmp_le_u32_e32 vcc_lo, s6, v36
	s_delay_alu instid0(VALU_DEP_3) | instskip(SKIP_1) | instid1(VALU_DEP_4)
	v_cmp_eq_u32_e64 s0, s7, v28
	v_cndmask_b32_e64 v36, 0, -1, vcc_lo
	v_cmp_le_u32_e32 vcc_lo, s7, v33
	v_cndmask_b32_e64 v37, 0, -1, vcc_lo
	v_cmp_le_u32_e32 vcc_lo, s6, v27
	;; [unrolled: 2-line block ×3, first 2 shown]
	v_cndmask_b32_e64 v39, 0, -1, vcc_lo
	v_cmp_eq_u32_e32 vcc_lo, s7, v33
	s_delay_alu instid0(VALU_DEP_2) | instskip(SKIP_3) | instid1(VALU_DEP_3)
	v_cndmask_b32_e64 v27, v39, v27, s0
	v_cndmask_b32_e32 v33, v37, v36, vcc_lo
	v_add_co_u32 v36, vcc_lo, v31, 1
	v_add_co_ci_u32_e32 v37, vcc_lo, 0, v32, vcc_lo
	v_cmp_ne_u32_e32 vcc_lo, 0, v33
	s_delay_alu instid0(VALU_DEP_2) | instskip(SKIP_2) | instid1(VALU_DEP_3)
	v_dual_cndmask_b32 v28, v37, v35 :: v_dual_cndmask_b32 v33, v36, v34
	v_cmp_ne_u32_e32 vcc_lo, 0, v27
	v_xor_b32_e32 v34, s4, v38
	v_dual_cndmask_b32 v27, v32, v28 :: v_dual_cndmask_b32 v28, v31, v33
	s_delay_alu instid0(VALU_DEP_1) | instskip(NEXT) | instid1(VALU_DEP_2)
	v_xor_b32_e32 v31, v27, v34
	v_xor_b32_e32 v28, v28, v34
	s_delay_alu instid0(VALU_DEP_1) | instskip(NEXT) | instid1(VALU_DEP_3)
	v_sub_co_u32 v27, vcc_lo, v28, v34
	v_sub_co_ci_u32_e32 v28, vcc_lo, v31, v34, vcc_lo
                                        ; implicit-def: $vgpr31
.LBB1149_59:
	s_and_not1_saveexec_b32 s0, s1
	s_cbranch_execz .LBB1149_61
; %bb.60:
	v_cvt_f32_u32_e32 v27, s38
	s_sub_i32 s1, 0, s38
	s_delay_alu instid0(VALU_DEP_1) | instskip(SKIP_2) | instid1(VALU_DEP_1)
	v_rcp_iflag_f32_e32 v27, v27
	s_waitcnt_depctr 0xfff
	v_mul_f32_e32 v27, 0x4f7ffffe, v27
	v_cvt_u32_f32_e32 v27, v27
	s_delay_alu instid0(VALU_DEP_1) | instskip(NEXT) | instid1(VALU_DEP_1)
	v_mul_lo_u32 v28, s1, v27
	v_mul_hi_u32 v28, v27, v28
	s_delay_alu instid0(VALU_DEP_1) | instskip(NEXT) | instid1(VALU_DEP_1)
	v_add_nc_u32_e32 v27, v27, v28
	v_mul_hi_u32 v27, v31, v27
	s_delay_alu instid0(VALU_DEP_1) | instskip(NEXT) | instid1(VALU_DEP_1)
	v_mul_lo_u32 v28, v27, s38
	v_sub_nc_u32_e32 v28, v31, v28
	v_add_nc_u32_e32 v31, 1, v27
	s_delay_alu instid0(VALU_DEP_2) | instskip(SKIP_1) | instid1(VALU_DEP_2)
	v_subrev_nc_u32_e32 v32, s38, v28
	v_cmp_le_u32_e32 vcc_lo, s38, v28
	v_dual_cndmask_b32 v28, v28, v32 :: v_dual_cndmask_b32 v27, v27, v31
	s_delay_alu instid0(VALU_DEP_1) | instskip(NEXT) | instid1(VALU_DEP_2)
	v_cmp_le_u32_e32 vcc_lo, s38, v28
	v_dual_mov_b32 v28, 0 :: v_dual_add_nc_u32 v31, 1, v27
	s_delay_alu instid0(VALU_DEP_1)
	v_cndmask_b32_e32 v27, v27, v31, vcc_lo
.LBB1149_61:
	s_or_b32 exec_lo, exec_lo, s0
	v_add_co_u32 v31, vcc_lo, 0xe00, v29
	v_add_co_ci_u32_e32 v32, vcc_lo, 0, v30, vcc_lo
	v_mov_b32_e32 v29, 0
	s_delay_alu instid0(VALU_DEP_2) | instskip(NEXT) | instid1(VALU_DEP_1)
	v_or_b32_e32 v30, s39, v32
	v_cmp_ne_u64_e32 vcc_lo, 0, v[29:30]
                                        ; implicit-def: $vgpr29_vgpr30
	s_and_saveexec_b32 s0, vcc_lo
	s_delay_alu instid0(SALU_CYCLE_1)
	s_xor_b32 s1, exec_lo, s0
	s_cbranch_execz .LBB1149_63
; %bb.62:
	s_ashr_i32 s4, s39, 31
	s_delay_alu instid0(SALU_CYCLE_1) | instskip(SKIP_2) | instid1(SALU_CYCLE_1)
	s_add_u32 s6, s38, s4
	s_mov_b32 s5, s4
	s_addc_u32 s7, s39, s4
	s_xor_b64 s[6:7], s[6:7], s[4:5]
	s_delay_alu instid0(SALU_CYCLE_1) | instskip(SKIP_3) | instid1(VALU_DEP_1)
	v_cvt_f32_u32_e32 v29, s6
	v_cvt_f32_u32_e32 v30, s7
	s_sub_u32 s0, 0, s6
	s_subb_u32 s5, 0, s7
	v_fmamk_f32 v29, v30, 0x4f800000, v29
	s_delay_alu instid0(VALU_DEP_1) | instskip(SKIP_2) | instid1(VALU_DEP_1)
	v_rcp_f32_e32 v29, v29
	s_waitcnt_depctr 0xfff
	v_mul_f32_e32 v29, 0x5f7ffffc, v29
	v_mul_f32_e32 v30, 0x2f800000, v29
	s_delay_alu instid0(VALU_DEP_1) | instskip(NEXT) | instid1(VALU_DEP_1)
	v_trunc_f32_e32 v30, v30
	v_fmamk_f32 v29, v30, 0xcf800000, v29
	v_cvt_u32_f32_e32 v30, v30
	s_delay_alu instid0(VALU_DEP_2) | instskip(NEXT) | instid1(VALU_DEP_2)
	v_cvt_u32_f32_e32 v29, v29
	v_mul_lo_u32 v33, s0, v30
	s_delay_alu instid0(VALU_DEP_2) | instskip(SKIP_1) | instid1(VALU_DEP_2)
	v_mul_hi_u32 v34, s0, v29
	v_mul_lo_u32 v35, s5, v29
	v_add_nc_u32_e32 v33, v34, v33
	v_mul_lo_u32 v34, s0, v29
	s_delay_alu instid0(VALU_DEP_2) | instskip(NEXT) | instid1(VALU_DEP_2)
	v_add_nc_u32_e32 v33, v33, v35
	v_mul_hi_u32 v35, v29, v34
	s_delay_alu instid0(VALU_DEP_2)
	v_mul_lo_u32 v36, v29, v33
	v_mul_hi_u32 v37, v29, v33
	v_mul_hi_u32 v38, v30, v34
	v_mul_lo_u32 v34, v30, v34
	v_mul_hi_u32 v39, v30, v33
	v_mul_lo_u32 v33, v30, v33
	v_add_co_u32 v35, vcc_lo, v35, v36
	v_add_co_ci_u32_e32 v36, vcc_lo, 0, v37, vcc_lo
	s_delay_alu instid0(VALU_DEP_2) | instskip(NEXT) | instid1(VALU_DEP_2)
	v_add_co_u32 v34, vcc_lo, v35, v34
	v_add_co_ci_u32_e32 v34, vcc_lo, v36, v38, vcc_lo
	v_add_co_ci_u32_e32 v35, vcc_lo, 0, v39, vcc_lo
	v_ashrrev_i32_e32 v38, 31, v32
	s_delay_alu instid0(VALU_DEP_3) | instskip(NEXT) | instid1(VALU_DEP_3)
	v_add_co_u32 v33, vcc_lo, v34, v33
	v_add_co_ci_u32_e32 v34, vcc_lo, 0, v35, vcc_lo
	s_delay_alu instid0(VALU_DEP_2) | instskip(NEXT) | instid1(VALU_DEP_2)
	v_add_co_u32 v29, vcc_lo, v29, v33
	v_add_co_ci_u32_e32 v30, vcc_lo, v30, v34, vcc_lo
	s_delay_alu instid0(VALU_DEP_2) | instskip(SKIP_1) | instid1(VALU_DEP_3)
	v_mul_hi_u32 v33, s0, v29
	v_mul_lo_u32 v35, s5, v29
	v_mul_lo_u32 v34, s0, v30
	s_delay_alu instid0(VALU_DEP_1) | instskip(SKIP_1) | instid1(VALU_DEP_2)
	v_add_nc_u32_e32 v33, v33, v34
	v_mul_lo_u32 v34, s0, v29
	v_add_nc_u32_e32 v33, v33, v35
	s_delay_alu instid0(VALU_DEP_2) | instskip(NEXT) | instid1(VALU_DEP_2)
	v_mul_hi_u32 v35, v29, v34
	v_mul_lo_u32 v36, v29, v33
	v_mul_hi_u32 v37, v29, v33
	v_mul_hi_u32 v39, v30, v34
	v_mul_lo_u32 v34, v30, v34
	v_mul_hi_u32 v40, v30, v33
	v_mul_lo_u32 v33, v30, v33
	v_add_co_u32 v35, vcc_lo, v35, v36
	v_add_co_ci_u32_e32 v36, vcc_lo, 0, v37, vcc_lo
	s_delay_alu instid0(VALU_DEP_2) | instskip(NEXT) | instid1(VALU_DEP_2)
	v_add_co_u32 v34, vcc_lo, v35, v34
	v_add_co_ci_u32_e32 v34, vcc_lo, v36, v39, vcc_lo
	v_add_co_ci_u32_e32 v35, vcc_lo, 0, v40, vcc_lo
	v_add_co_u32 v31, vcc_lo, v31, v38
	v_add_co_ci_u32_e32 v32, vcc_lo, v32, v38, vcc_lo
	s_delay_alu instid0(VALU_DEP_4) | instskip(NEXT) | instid1(VALU_DEP_4)
	v_add_co_u32 v33, vcc_lo, v34, v33
	v_add_co_ci_u32_e32 v34, vcc_lo, 0, v35, vcc_lo
	s_delay_alu instid0(VALU_DEP_4) | instskip(NEXT) | instid1(VALU_DEP_3)
	v_xor_b32_e32 v35, v31, v38
	v_add_co_u32 v33, vcc_lo, v29, v33
	s_delay_alu instid0(VALU_DEP_3) | instskip(SKIP_1) | instid1(VALU_DEP_3)
	v_add_co_ci_u32_e32 v36, vcc_lo, v30, v34, vcc_lo
	v_xor_b32_e32 v37, v32, v38
	v_mul_hi_u32 v39, v35, v33
	s_delay_alu instid0(VALU_DEP_3) | instskip(NEXT) | instid1(VALU_DEP_3)
	v_mad_u64_u32 v[29:30], null, v35, v36, 0
	v_mad_u64_u32 v[31:32], null, v37, v33, 0
	;; [unrolled: 1-line block ×3, first 2 shown]
	s_delay_alu instid0(VALU_DEP_3) | instskip(NEXT) | instid1(VALU_DEP_4)
	v_add_co_u32 v29, vcc_lo, v39, v29
	v_add_co_ci_u32_e32 v30, vcc_lo, 0, v30, vcc_lo
	s_delay_alu instid0(VALU_DEP_2) | instskip(NEXT) | instid1(VALU_DEP_2)
	v_add_co_u32 v29, vcc_lo, v29, v31
	v_add_co_ci_u32_e32 v29, vcc_lo, v30, v32, vcc_lo
	v_add_co_ci_u32_e32 v30, vcc_lo, 0, v34, vcc_lo
	s_delay_alu instid0(VALU_DEP_2) | instskip(NEXT) | instid1(VALU_DEP_2)
	v_add_co_u32 v31, vcc_lo, v29, v33
	v_add_co_ci_u32_e32 v32, vcc_lo, 0, v30, vcc_lo
	s_delay_alu instid0(VALU_DEP_2) | instskip(SKIP_1) | instid1(VALU_DEP_3)
	v_mul_lo_u32 v33, s7, v31
	v_mad_u64_u32 v[29:30], null, s6, v31, 0
	v_mul_lo_u32 v34, s6, v32
	s_delay_alu instid0(VALU_DEP_2) | instskip(NEXT) | instid1(VALU_DEP_2)
	v_sub_co_u32 v29, vcc_lo, v35, v29
	v_add3_u32 v30, v30, v34, v33
	s_delay_alu instid0(VALU_DEP_1) | instskip(NEXT) | instid1(VALU_DEP_1)
	v_sub_nc_u32_e32 v33, v37, v30
	v_subrev_co_ci_u32_e64 v33, s0, s7, v33, vcc_lo
	v_add_co_u32 v34, s0, v31, 2
	s_delay_alu instid0(VALU_DEP_1) | instskip(SKIP_3) | instid1(VALU_DEP_3)
	v_add_co_ci_u32_e64 v35, s0, 0, v32, s0
	v_sub_co_u32 v36, s0, v29, s6
	v_sub_co_ci_u32_e32 v30, vcc_lo, v37, v30, vcc_lo
	v_subrev_co_ci_u32_e64 v33, s0, 0, v33, s0
	v_cmp_le_u32_e32 vcc_lo, s6, v36
	s_delay_alu instid0(VALU_DEP_3) | instskip(SKIP_1) | instid1(VALU_DEP_4)
	v_cmp_eq_u32_e64 s0, s7, v30
	v_cndmask_b32_e64 v36, 0, -1, vcc_lo
	v_cmp_le_u32_e32 vcc_lo, s7, v33
	v_cndmask_b32_e64 v37, 0, -1, vcc_lo
	v_cmp_le_u32_e32 vcc_lo, s6, v29
	;; [unrolled: 2-line block ×3, first 2 shown]
	v_cndmask_b32_e64 v39, 0, -1, vcc_lo
	v_cmp_eq_u32_e32 vcc_lo, s7, v33
	s_delay_alu instid0(VALU_DEP_2) | instskip(SKIP_3) | instid1(VALU_DEP_3)
	v_cndmask_b32_e64 v29, v39, v29, s0
	v_cndmask_b32_e32 v33, v37, v36, vcc_lo
	v_add_co_u32 v36, vcc_lo, v31, 1
	v_add_co_ci_u32_e32 v37, vcc_lo, 0, v32, vcc_lo
	v_cmp_ne_u32_e32 vcc_lo, 0, v33
	s_delay_alu instid0(VALU_DEP_2) | instskip(SKIP_2) | instid1(VALU_DEP_3)
	v_dual_cndmask_b32 v30, v37, v35 :: v_dual_cndmask_b32 v33, v36, v34
	v_cmp_ne_u32_e32 vcc_lo, 0, v29
	v_xor_b32_e32 v34, s4, v38
	v_dual_cndmask_b32 v29, v32, v30 :: v_dual_cndmask_b32 v30, v31, v33
	s_delay_alu instid0(VALU_DEP_1) | instskip(NEXT) | instid1(VALU_DEP_2)
	v_xor_b32_e32 v31, v29, v34
	v_xor_b32_e32 v30, v30, v34
	s_delay_alu instid0(VALU_DEP_1) | instskip(NEXT) | instid1(VALU_DEP_3)
	v_sub_co_u32 v29, vcc_lo, v30, v34
	v_sub_co_ci_u32_e32 v30, vcc_lo, v31, v34, vcc_lo
                                        ; implicit-def: $vgpr31
.LBB1149_63:
	s_and_not1_saveexec_b32 s0, s1
	s_cbranch_execz .LBB1149_65
; %bb.64:
	v_cvt_f32_u32_e32 v29, s38
	s_sub_i32 s1, 0, s38
	s_delay_alu instid0(VALU_DEP_1) | instskip(SKIP_2) | instid1(VALU_DEP_1)
	v_rcp_iflag_f32_e32 v29, v29
	s_waitcnt_depctr 0xfff
	v_mul_f32_e32 v29, 0x4f7ffffe, v29
	v_cvt_u32_f32_e32 v29, v29
	s_delay_alu instid0(VALU_DEP_1) | instskip(NEXT) | instid1(VALU_DEP_1)
	v_mul_lo_u32 v30, s1, v29
	v_mul_hi_u32 v30, v29, v30
	s_delay_alu instid0(VALU_DEP_1) | instskip(NEXT) | instid1(VALU_DEP_1)
	v_add_nc_u32_e32 v29, v29, v30
	v_mul_hi_u32 v29, v31, v29
	s_delay_alu instid0(VALU_DEP_1) | instskip(NEXT) | instid1(VALU_DEP_1)
	v_mul_lo_u32 v30, v29, s38
	v_sub_nc_u32_e32 v30, v31, v30
	v_add_nc_u32_e32 v31, 1, v29
	s_delay_alu instid0(VALU_DEP_2) | instskip(SKIP_1) | instid1(VALU_DEP_2)
	v_subrev_nc_u32_e32 v32, s38, v30
	v_cmp_le_u32_e32 vcc_lo, s38, v30
	v_dual_cndmask_b32 v30, v30, v32 :: v_dual_cndmask_b32 v29, v29, v31
	s_delay_alu instid0(VALU_DEP_1) | instskip(NEXT) | instid1(VALU_DEP_2)
	v_cmp_le_u32_e32 vcc_lo, s38, v30
	v_dual_mov_b32 v30, 0 :: v_dual_add_nc_u32 v31, 1, v29
	s_delay_alu instid0(VALU_DEP_1)
	v_cndmask_b32_e32 v29, v29, v31, vcc_lo
.LBB1149_65:
	s_or_b32 exec_lo, exec_lo, s0
	v_lshlrev_b32_e32 v62, 3, v0
	v_add_co_u32 v63, s0, s30, v0
	s_delay_alu instid0(VALU_DEP_1)
	v_add_co_ci_u32_e64 v64, null, s31, 0, s0
	ds_store_2addr_stride64_b64 v62, v[1:2], v[3:4] offset1:4
	ds_store_2addr_stride64_b64 v62, v[5:6], v[7:8] offset0:8 offset1:12
	ds_store_2addr_stride64_b64 v62, v[9:10], v[11:12] offset0:16 offset1:20
	;; [unrolled: 1-line block ×6, first 2 shown]
	ds_store_b64 v62, v[29:30] offset:28672
	v_mov_b32_e32 v29, 0
	v_mad_u32_u24 v61, 0x70, v0, v62
	s_waitcnt lgkmcnt(0)
	s_barrier
	buffer_gl0_inv
	ds_load_2addr_b64 v[25:28], v61 offset1:1
	ds_load_2addr_b64 v[21:24], v61 offset0:2 offset1:3
	ds_load_2addr_b64 v[17:20], v61 offset0:4 offset1:5
	;; [unrolled: 1-line block ×6, first 2 shown]
	ds_load_b64 v[57:58], v61 offset:112
	v_or_b32_e32 v30, s45, v64
	s_waitcnt lgkmcnt(0)
	s_barrier
	buffer_gl0_inv
	v_cmp_ne_u64_e32 vcc_lo, 0, v[29:30]
                                        ; implicit-def: $vgpr29_vgpr30
	s_and_saveexec_b32 s0, vcc_lo
	s_delay_alu instid0(SALU_CYCLE_1)
	s_xor_b32 s1, exec_lo, s0
	s_cbranch_execz .LBB1149_67
; %bb.66:
	s_ashr_i32 s4, s45, 31
	s_delay_alu instid0(SALU_CYCLE_1) | instskip(SKIP_2) | instid1(SALU_CYCLE_1)
	s_add_u32 s6, s44, s4
	s_mov_b32 s5, s4
	s_addc_u32 s7, s45, s4
	s_xor_b64 s[6:7], s[6:7], s[4:5]
	s_delay_alu instid0(SALU_CYCLE_1) | instskip(SKIP_3) | instid1(VALU_DEP_1)
	v_cvt_f32_u32_e32 v29, s6
	v_cvt_f32_u32_e32 v30, s7
	s_sub_u32 s0, 0, s6
	s_subb_u32 s5, 0, s7
	v_fmamk_f32 v29, v30, 0x4f800000, v29
	s_delay_alu instid0(VALU_DEP_1) | instskip(SKIP_2) | instid1(VALU_DEP_1)
	v_rcp_f32_e32 v29, v29
	s_waitcnt_depctr 0xfff
	v_mul_f32_e32 v29, 0x5f7ffffc, v29
	v_mul_f32_e32 v30, 0x2f800000, v29
	s_delay_alu instid0(VALU_DEP_1) | instskip(NEXT) | instid1(VALU_DEP_1)
	v_trunc_f32_e32 v30, v30
	v_fmamk_f32 v29, v30, 0xcf800000, v29
	v_cvt_u32_f32_e32 v30, v30
	s_delay_alu instid0(VALU_DEP_2) | instskip(NEXT) | instid1(VALU_DEP_2)
	v_cvt_u32_f32_e32 v29, v29
	v_mul_lo_u32 v31, s0, v30
	s_delay_alu instid0(VALU_DEP_2) | instskip(SKIP_1) | instid1(VALU_DEP_2)
	v_mul_hi_u32 v32, s0, v29
	v_mul_lo_u32 v33, s5, v29
	v_add_nc_u32_e32 v31, v32, v31
	v_mul_lo_u32 v32, s0, v29
	s_delay_alu instid0(VALU_DEP_2) | instskip(NEXT) | instid1(VALU_DEP_2)
	v_add_nc_u32_e32 v31, v31, v33
	v_mul_hi_u32 v33, v29, v32
	s_delay_alu instid0(VALU_DEP_2)
	v_mul_lo_u32 v34, v29, v31
	v_mul_hi_u32 v35, v29, v31
	v_mul_hi_u32 v36, v30, v32
	v_mul_lo_u32 v32, v30, v32
	v_mul_hi_u32 v37, v30, v31
	v_mul_lo_u32 v31, v30, v31
	v_add_co_u32 v33, vcc_lo, v33, v34
	v_add_co_ci_u32_e32 v34, vcc_lo, 0, v35, vcc_lo
	s_delay_alu instid0(VALU_DEP_2) | instskip(NEXT) | instid1(VALU_DEP_2)
	v_add_co_u32 v32, vcc_lo, v33, v32
	v_add_co_ci_u32_e32 v32, vcc_lo, v34, v36, vcc_lo
	v_add_co_ci_u32_e32 v33, vcc_lo, 0, v37, vcc_lo
	v_ashrrev_i32_e32 v36, 31, v64
	s_delay_alu instid0(VALU_DEP_3) | instskip(NEXT) | instid1(VALU_DEP_3)
	v_add_co_u32 v31, vcc_lo, v32, v31
	v_add_co_ci_u32_e32 v32, vcc_lo, 0, v33, vcc_lo
	s_delay_alu instid0(VALU_DEP_2) | instskip(NEXT) | instid1(VALU_DEP_2)
	v_add_co_u32 v29, vcc_lo, v29, v31
	v_add_co_ci_u32_e32 v30, vcc_lo, v30, v32, vcc_lo
	s_delay_alu instid0(VALU_DEP_2) | instskip(SKIP_1) | instid1(VALU_DEP_3)
	v_mul_hi_u32 v31, s0, v29
	v_mul_lo_u32 v33, s5, v29
	v_mul_lo_u32 v32, s0, v30
	s_delay_alu instid0(VALU_DEP_1) | instskip(SKIP_1) | instid1(VALU_DEP_2)
	v_add_nc_u32_e32 v31, v31, v32
	v_mul_lo_u32 v32, s0, v29
	v_add_nc_u32_e32 v31, v31, v33
	s_delay_alu instid0(VALU_DEP_2) | instskip(NEXT) | instid1(VALU_DEP_2)
	v_mul_hi_u32 v33, v29, v32
	v_mul_lo_u32 v34, v29, v31
	v_mul_hi_u32 v35, v29, v31
	v_mul_hi_u32 v37, v30, v32
	v_mul_lo_u32 v32, v30, v32
	v_mul_hi_u32 v38, v30, v31
	v_mul_lo_u32 v31, v30, v31
	v_add_co_u32 v33, vcc_lo, v33, v34
	v_add_co_ci_u32_e32 v34, vcc_lo, 0, v35, vcc_lo
	s_delay_alu instid0(VALU_DEP_2) | instskip(NEXT) | instid1(VALU_DEP_2)
	v_add_co_u32 v32, vcc_lo, v33, v32
	v_add_co_ci_u32_e32 v32, vcc_lo, v34, v37, vcc_lo
	v_add_co_ci_u32_e32 v33, vcc_lo, 0, v38, vcc_lo
	v_add_co_u32 v34, vcc_lo, v63, v36
	v_add_co_ci_u32_e32 v35, vcc_lo, v64, v36, vcc_lo
	s_delay_alu instid0(VALU_DEP_4) | instskip(NEXT) | instid1(VALU_DEP_4)
	v_add_co_u32 v31, vcc_lo, v32, v31
	v_add_co_ci_u32_e32 v32, vcc_lo, 0, v33, vcc_lo
	s_delay_alu instid0(VALU_DEP_4) | instskip(NEXT) | instid1(VALU_DEP_3)
	v_xor_b32_e32 v37, v34, v36
	v_add_co_u32 v33, vcc_lo, v29, v31
	s_delay_alu instid0(VALU_DEP_3) | instskip(SKIP_1) | instid1(VALU_DEP_3)
	v_add_co_ci_u32_e32 v38, vcc_lo, v30, v32, vcc_lo
	v_xor_b32_e32 v35, v35, v36
	v_mul_hi_u32 v39, v37, v33
	s_delay_alu instid0(VALU_DEP_3) | instskip(NEXT) | instid1(VALU_DEP_3)
	v_mad_u64_u32 v[29:30], null, v37, v38, 0
	v_mad_u64_u32 v[31:32], null, v35, v33, 0
	;; [unrolled: 1-line block ×3, first 2 shown]
	s_delay_alu instid0(VALU_DEP_3) | instskip(NEXT) | instid1(VALU_DEP_4)
	v_add_co_u32 v29, vcc_lo, v39, v29
	v_add_co_ci_u32_e32 v30, vcc_lo, 0, v30, vcc_lo
	s_delay_alu instid0(VALU_DEP_2) | instskip(NEXT) | instid1(VALU_DEP_2)
	v_add_co_u32 v29, vcc_lo, v29, v31
	v_add_co_ci_u32_e32 v29, vcc_lo, v30, v32, vcc_lo
	v_add_co_ci_u32_e32 v30, vcc_lo, 0, v34, vcc_lo
	s_delay_alu instid0(VALU_DEP_2) | instskip(NEXT) | instid1(VALU_DEP_2)
	v_add_co_u32 v31, vcc_lo, v29, v33
	v_add_co_ci_u32_e32 v32, vcc_lo, 0, v30, vcc_lo
	s_delay_alu instid0(VALU_DEP_2) | instskip(SKIP_1) | instid1(VALU_DEP_3)
	v_mul_lo_u32 v33, s7, v31
	v_mad_u64_u32 v[29:30], null, s6, v31, 0
	v_mul_lo_u32 v34, s6, v32
	s_delay_alu instid0(VALU_DEP_2) | instskip(NEXT) | instid1(VALU_DEP_2)
	v_sub_co_u32 v29, vcc_lo, v37, v29
	v_add3_u32 v30, v30, v34, v33
	s_delay_alu instid0(VALU_DEP_1) | instskip(NEXT) | instid1(VALU_DEP_1)
	v_sub_nc_u32_e32 v33, v35, v30
	v_subrev_co_ci_u32_e64 v33, s0, s7, v33, vcc_lo
	v_add_co_u32 v34, s0, v31, 2
	s_delay_alu instid0(VALU_DEP_1) | instskip(SKIP_3) | instid1(VALU_DEP_3)
	v_add_co_ci_u32_e64 v37, s0, 0, v32, s0
	v_sub_co_u32 v38, s0, v29, s6
	v_sub_co_ci_u32_e32 v30, vcc_lo, v35, v30, vcc_lo
	v_subrev_co_ci_u32_e64 v33, s0, 0, v33, s0
	v_cmp_le_u32_e32 vcc_lo, s6, v38
	s_delay_alu instid0(VALU_DEP_3) | instskip(SKIP_1) | instid1(VALU_DEP_4)
	v_cmp_eq_u32_e64 s0, s7, v30
	v_cndmask_b32_e64 v35, 0, -1, vcc_lo
	v_cmp_le_u32_e32 vcc_lo, s7, v33
	v_cndmask_b32_e64 v38, 0, -1, vcc_lo
	v_cmp_le_u32_e32 vcc_lo, s6, v29
	;; [unrolled: 2-line block ×3, first 2 shown]
	v_cndmask_b32_e64 v39, 0, -1, vcc_lo
	v_cmp_eq_u32_e32 vcc_lo, s7, v33
	s_delay_alu instid0(VALU_DEP_2) | instskip(SKIP_3) | instid1(VALU_DEP_3)
	v_cndmask_b32_e64 v29, v39, v29, s0
	v_cndmask_b32_e32 v33, v38, v35, vcc_lo
	v_add_co_u32 v35, vcc_lo, v31, 1
	v_add_co_ci_u32_e32 v38, vcc_lo, 0, v32, vcc_lo
	v_cmp_ne_u32_e32 vcc_lo, 0, v33
	s_delay_alu instid0(VALU_DEP_2) | instskip(SKIP_2) | instid1(VALU_DEP_3)
	v_dual_cndmask_b32 v30, v38, v37 :: v_dual_cndmask_b32 v33, v35, v34
	v_cmp_ne_u32_e32 vcc_lo, 0, v29
	v_xor_b32_e32 v34, s4, v36
	v_dual_cndmask_b32 v29, v32, v30 :: v_dual_cndmask_b32 v30, v31, v33
	s_delay_alu instid0(VALU_DEP_1) | instskip(NEXT) | instid1(VALU_DEP_2)
	v_xor_b32_e32 v31, v29, v34
	v_xor_b32_e32 v30, v30, v34
	s_delay_alu instid0(VALU_DEP_1) | instskip(NEXT) | instid1(VALU_DEP_3)
	v_sub_co_u32 v29, vcc_lo, v30, v34
	v_sub_co_ci_u32_e32 v30, vcc_lo, v31, v34, vcc_lo
.LBB1149_67:
	s_and_not1_saveexec_b32 s0, s1
	s_cbranch_execz .LBB1149_69
; %bb.68:
	v_cvt_f32_u32_e32 v29, s44
	s_sub_i32 s1, 0, s44
	s_delay_alu instid0(VALU_DEP_1) | instskip(SKIP_2) | instid1(VALU_DEP_1)
	v_rcp_iflag_f32_e32 v29, v29
	s_waitcnt_depctr 0xfff
	v_mul_f32_e32 v29, 0x4f7ffffe, v29
	v_cvt_u32_f32_e32 v29, v29
	s_delay_alu instid0(VALU_DEP_1) | instskip(NEXT) | instid1(VALU_DEP_1)
	v_mul_lo_u32 v30, s1, v29
	v_mul_hi_u32 v30, v29, v30
	s_delay_alu instid0(VALU_DEP_1) | instskip(NEXT) | instid1(VALU_DEP_1)
	v_add_nc_u32_e32 v29, v29, v30
	v_mul_hi_u32 v29, v63, v29
	s_delay_alu instid0(VALU_DEP_1) | instskip(SKIP_1) | instid1(VALU_DEP_2)
	v_mul_lo_u32 v30, v29, s44
	v_add_nc_u32_e32 v31, 1, v29
	v_sub_nc_u32_e32 v30, v63, v30
	s_delay_alu instid0(VALU_DEP_1) | instskip(SKIP_1) | instid1(VALU_DEP_2)
	v_subrev_nc_u32_e32 v32, s44, v30
	v_cmp_le_u32_e32 vcc_lo, s44, v30
	v_dual_cndmask_b32 v30, v30, v32 :: v_dual_cndmask_b32 v29, v29, v31
	s_delay_alu instid0(VALU_DEP_1) | instskip(NEXT) | instid1(VALU_DEP_2)
	v_cmp_le_u32_e32 vcc_lo, s44, v30
	v_dual_mov_b32 v30, 0 :: v_dual_add_nc_u32 v31, 1, v29
	s_delay_alu instid0(VALU_DEP_1)
	v_cndmask_b32_e32 v29, v29, v31, vcc_lo
.LBB1149_69:
	s_or_b32 exec_lo, exec_lo, s0
	v_add_co_u32 v65, vcc_lo, 0x100, v63
	v_add_co_ci_u32_e32 v66, vcc_lo, 0, v64, vcc_lo
	v_mov_b32_e32 v31, 0
	s_delay_alu instid0(VALU_DEP_2) | instskip(NEXT) | instid1(VALU_DEP_1)
	v_or_b32_e32 v32, s45, v66
	v_cmp_ne_u64_e32 vcc_lo, 0, v[31:32]
                                        ; implicit-def: $vgpr31_vgpr32
	s_and_saveexec_b32 s0, vcc_lo
	s_delay_alu instid0(SALU_CYCLE_1)
	s_xor_b32 s1, exec_lo, s0
	s_cbranch_execz .LBB1149_71
; %bb.70:
	s_ashr_i32 s4, s45, 31
	s_delay_alu instid0(SALU_CYCLE_1) | instskip(SKIP_2) | instid1(SALU_CYCLE_1)
	s_add_u32 s6, s44, s4
	s_mov_b32 s5, s4
	s_addc_u32 s7, s45, s4
	s_xor_b64 s[6:7], s[6:7], s[4:5]
	s_delay_alu instid0(SALU_CYCLE_1) | instskip(SKIP_3) | instid1(VALU_DEP_1)
	v_cvt_f32_u32_e32 v31, s6
	v_cvt_f32_u32_e32 v32, s7
	s_sub_u32 s0, 0, s6
	s_subb_u32 s5, 0, s7
	v_fmamk_f32 v31, v32, 0x4f800000, v31
	s_delay_alu instid0(VALU_DEP_1) | instskip(SKIP_2) | instid1(VALU_DEP_1)
	v_rcp_f32_e32 v31, v31
	s_waitcnt_depctr 0xfff
	v_mul_f32_e32 v31, 0x5f7ffffc, v31
	v_mul_f32_e32 v32, 0x2f800000, v31
	s_delay_alu instid0(VALU_DEP_1) | instskip(NEXT) | instid1(VALU_DEP_1)
	v_trunc_f32_e32 v32, v32
	v_fmamk_f32 v31, v32, 0xcf800000, v31
	v_cvt_u32_f32_e32 v32, v32
	s_delay_alu instid0(VALU_DEP_2) | instskip(NEXT) | instid1(VALU_DEP_2)
	v_cvt_u32_f32_e32 v31, v31
	v_mul_lo_u32 v33, s0, v32
	s_delay_alu instid0(VALU_DEP_2) | instskip(SKIP_1) | instid1(VALU_DEP_2)
	v_mul_hi_u32 v34, s0, v31
	v_mul_lo_u32 v35, s5, v31
	v_add_nc_u32_e32 v33, v34, v33
	v_mul_lo_u32 v34, s0, v31
	s_delay_alu instid0(VALU_DEP_2) | instskip(NEXT) | instid1(VALU_DEP_2)
	v_add_nc_u32_e32 v33, v33, v35
	v_mul_hi_u32 v35, v31, v34
	s_delay_alu instid0(VALU_DEP_2)
	v_mul_lo_u32 v36, v31, v33
	v_mul_hi_u32 v37, v31, v33
	v_mul_hi_u32 v38, v32, v34
	v_mul_lo_u32 v34, v32, v34
	v_mul_hi_u32 v39, v32, v33
	v_mul_lo_u32 v33, v32, v33
	v_add_co_u32 v35, vcc_lo, v35, v36
	v_add_co_ci_u32_e32 v36, vcc_lo, 0, v37, vcc_lo
	s_delay_alu instid0(VALU_DEP_2) | instskip(NEXT) | instid1(VALU_DEP_2)
	v_add_co_u32 v34, vcc_lo, v35, v34
	v_add_co_ci_u32_e32 v34, vcc_lo, v36, v38, vcc_lo
	v_add_co_ci_u32_e32 v35, vcc_lo, 0, v39, vcc_lo
	v_ashrrev_i32_e32 v38, 31, v66
	s_delay_alu instid0(VALU_DEP_3) | instskip(NEXT) | instid1(VALU_DEP_3)
	v_add_co_u32 v33, vcc_lo, v34, v33
	v_add_co_ci_u32_e32 v34, vcc_lo, 0, v35, vcc_lo
	s_delay_alu instid0(VALU_DEP_2) | instskip(NEXT) | instid1(VALU_DEP_2)
	v_add_co_u32 v31, vcc_lo, v31, v33
	v_add_co_ci_u32_e32 v32, vcc_lo, v32, v34, vcc_lo
	s_delay_alu instid0(VALU_DEP_2) | instskip(SKIP_1) | instid1(VALU_DEP_3)
	v_mul_hi_u32 v33, s0, v31
	v_mul_lo_u32 v35, s5, v31
	v_mul_lo_u32 v34, s0, v32
	s_delay_alu instid0(VALU_DEP_1) | instskip(SKIP_1) | instid1(VALU_DEP_2)
	v_add_nc_u32_e32 v33, v33, v34
	v_mul_lo_u32 v34, s0, v31
	v_add_nc_u32_e32 v33, v33, v35
	s_delay_alu instid0(VALU_DEP_2) | instskip(NEXT) | instid1(VALU_DEP_2)
	v_mul_hi_u32 v35, v31, v34
	v_mul_lo_u32 v36, v31, v33
	v_mul_hi_u32 v37, v31, v33
	v_mul_hi_u32 v39, v32, v34
	v_mul_lo_u32 v34, v32, v34
	v_mul_hi_u32 v40, v32, v33
	v_mul_lo_u32 v33, v32, v33
	v_add_co_u32 v35, vcc_lo, v35, v36
	v_add_co_ci_u32_e32 v36, vcc_lo, 0, v37, vcc_lo
	s_delay_alu instid0(VALU_DEP_2) | instskip(NEXT) | instid1(VALU_DEP_2)
	v_add_co_u32 v34, vcc_lo, v35, v34
	v_add_co_ci_u32_e32 v34, vcc_lo, v36, v39, vcc_lo
	v_add_co_ci_u32_e32 v35, vcc_lo, 0, v40, vcc_lo
	v_add_co_u32 v36, vcc_lo, v65, v38
	v_add_co_ci_u32_e32 v37, vcc_lo, v66, v38, vcc_lo
	s_delay_alu instid0(VALU_DEP_4) | instskip(NEXT) | instid1(VALU_DEP_4)
	v_add_co_u32 v33, vcc_lo, v34, v33
	v_add_co_ci_u32_e32 v34, vcc_lo, 0, v35, vcc_lo
	s_delay_alu instid0(VALU_DEP_4) | instskip(NEXT) | instid1(VALU_DEP_3)
	v_xor_b32_e32 v39, v36, v38
	v_add_co_u32 v35, vcc_lo, v31, v33
	s_delay_alu instid0(VALU_DEP_3) | instskip(SKIP_1) | instid1(VALU_DEP_3)
	v_add_co_ci_u32_e32 v40, vcc_lo, v32, v34, vcc_lo
	v_xor_b32_e32 v37, v37, v38
	v_mul_hi_u32 v41, v39, v35
	s_delay_alu instid0(VALU_DEP_3) | instskip(NEXT) | instid1(VALU_DEP_3)
	v_mad_u64_u32 v[31:32], null, v39, v40, 0
	v_mad_u64_u32 v[33:34], null, v37, v35, 0
	;; [unrolled: 1-line block ×3, first 2 shown]
	s_delay_alu instid0(VALU_DEP_3) | instskip(NEXT) | instid1(VALU_DEP_4)
	v_add_co_u32 v31, vcc_lo, v41, v31
	v_add_co_ci_u32_e32 v32, vcc_lo, 0, v32, vcc_lo
	s_delay_alu instid0(VALU_DEP_2) | instskip(NEXT) | instid1(VALU_DEP_2)
	v_add_co_u32 v31, vcc_lo, v31, v33
	v_add_co_ci_u32_e32 v31, vcc_lo, v32, v34, vcc_lo
	v_add_co_ci_u32_e32 v32, vcc_lo, 0, v36, vcc_lo
	s_delay_alu instid0(VALU_DEP_2) | instskip(NEXT) | instid1(VALU_DEP_2)
	v_add_co_u32 v33, vcc_lo, v31, v35
	v_add_co_ci_u32_e32 v34, vcc_lo, 0, v32, vcc_lo
	s_delay_alu instid0(VALU_DEP_2) | instskip(SKIP_1) | instid1(VALU_DEP_3)
	v_mul_lo_u32 v35, s7, v33
	v_mad_u64_u32 v[31:32], null, s6, v33, 0
	v_mul_lo_u32 v36, s6, v34
	s_delay_alu instid0(VALU_DEP_2) | instskip(NEXT) | instid1(VALU_DEP_2)
	v_sub_co_u32 v31, vcc_lo, v39, v31
	v_add3_u32 v32, v32, v36, v35
	s_delay_alu instid0(VALU_DEP_1) | instskip(NEXT) | instid1(VALU_DEP_1)
	v_sub_nc_u32_e32 v35, v37, v32
	v_subrev_co_ci_u32_e64 v35, s0, s7, v35, vcc_lo
	v_add_co_u32 v36, s0, v33, 2
	s_delay_alu instid0(VALU_DEP_1) | instskip(SKIP_3) | instid1(VALU_DEP_3)
	v_add_co_ci_u32_e64 v39, s0, 0, v34, s0
	v_sub_co_u32 v40, s0, v31, s6
	v_sub_co_ci_u32_e32 v32, vcc_lo, v37, v32, vcc_lo
	v_subrev_co_ci_u32_e64 v35, s0, 0, v35, s0
	v_cmp_le_u32_e32 vcc_lo, s6, v40
	s_delay_alu instid0(VALU_DEP_3) | instskip(SKIP_1) | instid1(VALU_DEP_4)
	v_cmp_eq_u32_e64 s0, s7, v32
	v_cndmask_b32_e64 v37, 0, -1, vcc_lo
	v_cmp_le_u32_e32 vcc_lo, s7, v35
	v_cndmask_b32_e64 v40, 0, -1, vcc_lo
	v_cmp_le_u32_e32 vcc_lo, s6, v31
	;; [unrolled: 2-line block ×3, first 2 shown]
	v_cndmask_b32_e64 v41, 0, -1, vcc_lo
	v_cmp_eq_u32_e32 vcc_lo, s7, v35
	s_delay_alu instid0(VALU_DEP_2) | instskip(SKIP_3) | instid1(VALU_DEP_3)
	v_cndmask_b32_e64 v31, v41, v31, s0
	v_cndmask_b32_e32 v35, v40, v37, vcc_lo
	v_add_co_u32 v37, vcc_lo, v33, 1
	v_add_co_ci_u32_e32 v40, vcc_lo, 0, v34, vcc_lo
	v_cmp_ne_u32_e32 vcc_lo, 0, v35
	s_delay_alu instid0(VALU_DEP_2) | instskip(SKIP_2) | instid1(VALU_DEP_3)
	v_dual_cndmask_b32 v32, v40, v39 :: v_dual_cndmask_b32 v35, v37, v36
	v_cmp_ne_u32_e32 vcc_lo, 0, v31
	v_xor_b32_e32 v36, s4, v38
	v_dual_cndmask_b32 v31, v34, v32 :: v_dual_cndmask_b32 v32, v33, v35
	s_delay_alu instid0(VALU_DEP_1) | instskip(NEXT) | instid1(VALU_DEP_2)
	v_xor_b32_e32 v33, v31, v36
	v_xor_b32_e32 v32, v32, v36
	s_delay_alu instid0(VALU_DEP_1) | instskip(NEXT) | instid1(VALU_DEP_3)
	v_sub_co_u32 v31, vcc_lo, v32, v36
	v_sub_co_ci_u32_e32 v32, vcc_lo, v33, v36, vcc_lo
.LBB1149_71:
	s_and_not1_saveexec_b32 s0, s1
	s_cbranch_execz .LBB1149_73
; %bb.72:
	v_cvt_f32_u32_e32 v31, s44
	s_sub_i32 s1, 0, s44
	s_delay_alu instid0(VALU_DEP_1) | instskip(SKIP_2) | instid1(VALU_DEP_1)
	v_rcp_iflag_f32_e32 v31, v31
	s_waitcnt_depctr 0xfff
	v_mul_f32_e32 v31, 0x4f7ffffe, v31
	v_cvt_u32_f32_e32 v31, v31
	s_delay_alu instid0(VALU_DEP_1) | instskip(NEXT) | instid1(VALU_DEP_1)
	v_mul_lo_u32 v32, s1, v31
	v_mul_hi_u32 v32, v31, v32
	s_delay_alu instid0(VALU_DEP_1) | instskip(NEXT) | instid1(VALU_DEP_1)
	v_add_nc_u32_e32 v31, v31, v32
	v_mul_hi_u32 v31, v65, v31
	s_delay_alu instid0(VALU_DEP_1) | instskip(SKIP_1) | instid1(VALU_DEP_2)
	v_mul_lo_u32 v32, v31, s44
	v_add_nc_u32_e32 v33, 1, v31
	v_sub_nc_u32_e32 v32, v65, v32
	s_delay_alu instid0(VALU_DEP_1) | instskip(SKIP_1) | instid1(VALU_DEP_2)
	v_subrev_nc_u32_e32 v34, s44, v32
	v_cmp_le_u32_e32 vcc_lo, s44, v32
	v_dual_cndmask_b32 v32, v32, v34 :: v_dual_cndmask_b32 v31, v31, v33
	s_delay_alu instid0(VALU_DEP_1) | instskip(NEXT) | instid1(VALU_DEP_2)
	v_cmp_le_u32_e32 vcc_lo, s44, v32
	v_dual_mov_b32 v32, 0 :: v_dual_add_nc_u32 v33, 1, v31
	s_delay_alu instid0(VALU_DEP_1)
	v_cndmask_b32_e32 v31, v31, v33, vcc_lo
.LBB1149_73:
	s_or_b32 exec_lo, exec_lo, s0
	v_add_co_u32 v67, vcc_lo, 0x200, v63
	v_add_co_ci_u32_e32 v68, vcc_lo, 0, v64, vcc_lo
	v_mov_b32_e32 v33, 0
	s_delay_alu instid0(VALU_DEP_2) | instskip(NEXT) | instid1(VALU_DEP_1)
	v_or_b32_e32 v34, s45, v68
	v_cmp_ne_u64_e32 vcc_lo, 0, v[33:34]
                                        ; implicit-def: $vgpr33_vgpr34
	s_and_saveexec_b32 s0, vcc_lo
	s_delay_alu instid0(SALU_CYCLE_1)
	s_xor_b32 s1, exec_lo, s0
	s_cbranch_execz .LBB1149_75
; %bb.74:
	s_ashr_i32 s4, s45, 31
	s_delay_alu instid0(SALU_CYCLE_1) | instskip(SKIP_2) | instid1(SALU_CYCLE_1)
	s_add_u32 s6, s44, s4
	s_mov_b32 s5, s4
	s_addc_u32 s7, s45, s4
	s_xor_b64 s[6:7], s[6:7], s[4:5]
	s_delay_alu instid0(SALU_CYCLE_1) | instskip(SKIP_3) | instid1(VALU_DEP_1)
	v_cvt_f32_u32_e32 v33, s6
	v_cvt_f32_u32_e32 v34, s7
	s_sub_u32 s0, 0, s6
	s_subb_u32 s5, 0, s7
	v_fmamk_f32 v33, v34, 0x4f800000, v33
	s_delay_alu instid0(VALU_DEP_1) | instskip(SKIP_2) | instid1(VALU_DEP_1)
	v_rcp_f32_e32 v33, v33
	s_waitcnt_depctr 0xfff
	v_mul_f32_e32 v33, 0x5f7ffffc, v33
	v_mul_f32_e32 v34, 0x2f800000, v33
	s_delay_alu instid0(VALU_DEP_1) | instskip(NEXT) | instid1(VALU_DEP_1)
	v_trunc_f32_e32 v34, v34
	v_fmamk_f32 v33, v34, 0xcf800000, v33
	v_cvt_u32_f32_e32 v34, v34
	s_delay_alu instid0(VALU_DEP_2) | instskip(NEXT) | instid1(VALU_DEP_2)
	v_cvt_u32_f32_e32 v33, v33
	v_mul_lo_u32 v35, s0, v34
	s_delay_alu instid0(VALU_DEP_2) | instskip(SKIP_1) | instid1(VALU_DEP_2)
	v_mul_hi_u32 v36, s0, v33
	v_mul_lo_u32 v37, s5, v33
	v_add_nc_u32_e32 v35, v36, v35
	v_mul_lo_u32 v36, s0, v33
	s_delay_alu instid0(VALU_DEP_2) | instskip(NEXT) | instid1(VALU_DEP_2)
	v_add_nc_u32_e32 v35, v35, v37
	v_mul_hi_u32 v37, v33, v36
	s_delay_alu instid0(VALU_DEP_2)
	v_mul_lo_u32 v38, v33, v35
	v_mul_hi_u32 v39, v33, v35
	v_mul_hi_u32 v40, v34, v36
	v_mul_lo_u32 v36, v34, v36
	v_mul_hi_u32 v41, v34, v35
	v_mul_lo_u32 v35, v34, v35
	v_add_co_u32 v37, vcc_lo, v37, v38
	v_add_co_ci_u32_e32 v38, vcc_lo, 0, v39, vcc_lo
	s_delay_alu instid0(VALU_DEP_2) | instskip(NEXT) | instid1(VALU_DEP_2)
	v_add_co_u32 v36, vcc_lo, v37, v36
	v_add_co_ci_u32_e32 v36, vcc_lo, v38, v40, vcc_lo
	v_add_co_ci_u32_e32 v37, vcc_lo, 0, v41, vcc_lo
	v_ashrrev_i32_e32 v40, 31, v68
	s_delay_alu instid0(VALU_DEP_3) | instskip(NEXT) | instid1(VALU_DEP_3)
	v_add_co_u32 v35, vcc_lo, v36, v35
	v_add_co_ci_u32_e32 v36, vcc_lo, 0, v37, vcc_lo
	s_delay_alu instid0(VALU_DEP_2) | instskip(NEXT) | instid1(VALU_DEP_2)
	v_add_co_u32 v33, vcc_lo, v33, v35
	v_add_co_ci_u32_e32 v34, vcc_lo, v34, v36, vcc_lo
	s_delay_alu instid0(VALU_DEP_2) | instskip(SKIP_1) | instid1(VALU_DEP_3)
	v_mul_hi_u32 v35, s0, v33
	v_mul_lo_u32 v37, s5, v33
	v_mul_lo_u32 v36, s0, v34
	s_delay_alu instid0(VALU_DEP_1) | instskip(SKIP_1) | instid1(VALU_DEP_2)
	v_add_nc_u32_e32 v35, v35, v36
	v_mul_lo_u32 v36, s0, v33
	v_add_nc_u32_e32 v35, v35, v37
	s_delay_alu instid0(VALU_DEP_2) | instskip(NEXT) | instid1(VALU_DEP_2)
	v_mul_hi_u32 v37, v33, v36
	v_mul_lo_u32 v38, v33, v35
	v_mul_hi_u32 v39, v33, v35
	v_mul_hi_u32 v41, v34, v36
	v_mul_lo_u32 v36, v34, v36
	v_mul_hi_u32 v42, v34, v35
	v_mul_lo_u32 v35, v34, v35
	v_add_co_u32 v37, vcc_lo, v37, v38
	v_add_co_ci_u32_e32 v38, vcc_lo, 0, v39, vcc_lo
	s_delay_alu instid0(VALU_DEP_2) | instskip(NEXT) | instid1(VALU_DEP_2)
	v_add_co_u32 v36, vcc_lo, v37, v36
	v_add_co_ci_u32_e32 v36, vcc_lo, v38, v41, vcc_lo
	v_add_co_ci_u32_e32 v37, vcc_lo, 0, v42, vcc_lo
	v_add_co_u32 v38, vcc_lo, v67, v40
	v_add_co_ci_u32_e32 v39, vcc_lo, v68, v40, vcc_lo
	s_delay_alu instid0(VALU_DEP_4) | instskip(NEXT) | instid1(VALU_DEP_4)
	v_add_co_u32 v35, vcc_lo, v36, v35
	v_add_co_ci_u32_e32 v36, vcc_lo, 0, v37, vcc_lo
	s_delay_alu instid0(VALU_DEP_4) | instskip(NEXT) | instid1(VALU_DEP_3)
	v_xor_b32_e32 v41, v38, v40
	v_add_co_u32 v37, vcc_lo, v33, v35
	s_delay_alu instid0(VALU_DEP_3) | instskip(SKIP_1) | instid1(VALU_DEP_3)
	v_add_co_ci_u32_e32 v42, vcc_lo, v34, v36, vcc_lo
	v_xor_b32_e32 v39, v39, v40
	v_mul_hi_u32 v43, v41, v37
	s_delay_alu instid0(VALU_DEP_3) | instskip(NEXT) | instid1(VALU_DEP_3)
	v_mad_u64_u32 v[33:34], null, v41, v42, 0
	v_mad_u64_u32 v[35:36], null, v39, v37, 0
	;; [unrolled: 1-line block ×3, first 2 shown]
	s_delay_alu instid0(VALU_DEP_3) | instskip(NEXT) | instid1(VALU_DEP_4)
	v_add_co_u32 v33, vcc_lo, v43, v33
	v_add_co_ci_u32_e32 v34, vcc_lo, 0, v34, vcc_lo
	s_delay_alu instid0(VALU_DEP_2) | instskip(NEXT) | instid1(VALU_DEP_2)
	v_add_co_u32 v33, vcc_lo, v33, v35
	v_add_co_ci_u32_e32 v33, vcc_lo, v34, v36, vcc_lo
	v_add_co_ci_u32_e32 v34, vcc_lo, 0, v38, vcc_lo
	s_delay_alu instid0(VALU_DEP_2) | instskip(NEXT) | instid1(VALU_DEP_2)
	v_add_co_u32 v35, vcc_lo, v33, v37
	v_add_co_ci_u32_e32 v36, vcc_lo, 0, v34, vcc_lo
	s_delay_alu instid0(VALU_DEP_2) | instskip(SKIP_1) | instid1(VALU_DEP_3)
	v_mul_lo_u32 v37, s7, v35
	v_mad_u64_u32 v[33:34], null, s6, v35, 0
	v_mul_lo_u32 v38, s6, v36
	s_delay_alu instid0(VALU_DEP_2) | instskip(NEXT) | instid1(VALU_DEP_2)
	v_sub_co_u32 v33, vcc_lo, v41, v33
	v_add3_u32 v34, v34, v38, v37
	s_delay_alu instid0(VALU_DEP_1) | instskip(NEXT) | instid1(VALU_DEP_1)
	v_sub_nc_u32_e32 v37, v39, v34
	v_subrev_co_ci_u32_e64 v37, s0, s7, v37, vcc_lo
	v_add_co_u32 v38, s0, v35, 2
	s_delay_alu instid0(VALU_DEP_1) | instskip(SKIP_3) | instid1(VALU_DEP_3)
	v_add_co_ci_u32_e64 v41, s0, 0, v36, s0
	v_sub_co_u32 v42, s0, v33, s6
	v_sub_co_ci_u32_e32 v34, vcc_lo, v39, v34, vcc_lo
	v_subrev_co_ci_u32_e64 v37, s0, 0, v37, s0
	v_cmp_le_u32_e32 vcc_lo, s6, v42
	s_delay_alu instid0(VALU_DEP_3) | instskip(SKIP_1) | instid1(VALU_DEP_4)
	v_cmp_eq_u32_e64 s0, s7, v34
	v_cndmask_b32_e64 v39, 0, -1, vcc_lo
	v_cmp_le_u32_e32 vcc_lo, s7, v37
	v_cndmask_b32_e64 v42, 0, -1, vcc_lo
	v_cmp_le_u32_e32 vcc_lo, s6, v33
	;; [unrolled: 2-line block ×3, first 2 shown]
	v_cndmask_b32_e64 v43, 0, -1, vcc_lo
	v_cmp_eq_u32_e32 vcc_lo, s7, v37
	s_delay_alu instid0(VALU_DEP_2) | instskip(SKIP_3) | instid1(VALU_DEP_3)
	v_cndmask_b32_e64 v33, v43, v33, s0
	v_cndmask_b32_e32 v37, v42, v39, vcc_lo
	v_add_co_u32 v39, vcc_lo, v35, 1
	v_add_co_ci_u32_e32 v42, vcc_lo, 0, v36, vcc_lo
	v_cmp_ne_u32_e32 vcc_lo, 0, v37
	s_delay_alu instid0(VALU_DEP_2) | instskip(SKIP_2) | instid1(VALU_DEP_3)
	v_dual_cndmask_b32 v34, v42, v41 :: v_dual_cndmask_b32 v37, v39, v38
	v_cmp_ne_u32_e32 vcc_lo, 0, v33
	v_xor_b32_e32 v38, s4, v40
	v_dual_cndmask_b32 v33, v36, v34 :: v_dual_cndmask_b32 v34, v35, v37
	s_delay_alu instid0(VALU_DEP_1) | instskip(NEXT) | instid1(VALU_DEP_2)
	v_xor_b32_e32 v35, v33, v38
	v_xor_b32_e32 v34, v34, v38
	s_delay_alu instid0(VALU_DEP_1) | instskip(NEXT) | instid1(VALU_DEP_3)
	v_sub_co_u32 v33, vcc_lo, v34, v38
	v_sub_co_ci_u32_e32 v34, vcc_lo, v35, v38, vcc_lo
.LBB1149_75:
	s_and_not1_saveexec_b32 s0, s1
	s_cbranch_execz .LBB1149_77
; %bb.76:
	v_cvt_f32_u32_e32 v33, s44
	s_sub_i32 s1, 0, s44
	s_delay_alu instid0(VALU_DEP_1) | instskip(SKIP_2) | instid1(VALU_DEP_1)
	v_rcp_iflag_f32_e32 v33, v33
	s_waitcnt_depctr 0xfff
	v_mul_f32_e32 v33, 0x4f7ffffe, v33
	v_cvt_u32_f32_e32 v33, v33
	s_delay_alu instid0(VALU_DEP_1) | instskip(NEXT) | instid1(VALU_DEP_1)
	v_mul_lo_u32 v34, s1, v33
	v_mul_hi_u32 v34, v33, v34
	s_delay_alu instid0(VALU_DEP_1) | instskip(NEXT) | instid1(VALU_DEP_1)
	v_add_nc_u32_e32 v33, v33, v34
	v_mul_hi_u32 v33, v67, v33
	s_delay_alu instid0(VALU_DEP_1) | instskip(SKIP_1) | instid1(VALU_DEP_2)
	v_mul_lo_u32 v34, v33, s44
	v_add_nc_u32_e32 v35, 1, v33
	v_sub_nc_u32_e32 v34, v67, v34
	s_delay_alu instid0(VALU_DEP_1) | instskip(SKIP_1) | instid1(VALU_DEP_2)
	v_subrev_nc_u32_e32 v36, s44, v34
	v_cmp_le_u32_e32 vcc_lo, s44, v34
	v_dual_cndmask_b32 v34, v34, v36 :: v_dual_cndmask_b32 v33, v33, v35
	s_delay_alu instid0(VALU_DEP_1) | instskip(NEXT) | instid1(VALU_DEP_2)
	v_cmp_le_u32_e32 vcc_lo, s44, v34
	v_dual_mov_b32 v34, 0 :: v_dual_add_nc_u32 v35, 1, v33
	s_delay_alu instid0(VALU_DEP_1)
	v_cndmask_b32_e32 v33, v33, v35, vcc_lo
.LBB1149_77:
	s_or_b32 exec_lo, exec_lo, s0
	v_add_co_u32 v69, vcc_lo, 0x300, v63
	v_add_co_ci_u32_e32 v70, vcc_lo, 0, v64, vcc_lo
	v_mov_b32_e32 v35, 0
	s_delay_alu instid0(VALU_DEP_2) | instskip(NEXT) | instid1(VALU_DEP_1)
	v_or_b32_e32 v36, s45, v70
	v_cmp_ne_u64_e32 vcc_lo, 0, v[35:36]
                                        ; implicit-def: $vgpr35_vgpr36
	s_and_saveexec_b32 s0, vcc_lo
	s_delay_alu instid0(SALU_CYCLE_1)
	s_xor_b32 s1, exec_lo, s0
	s_cbranch_execz .LBB1149_79
; %bb.78:
	s_ashr_i32 s4, s45, 31
	s_delay_alu instid0(SALU_CYCLE_1) | instskip(SKIP_2) | instid1(SALU_CYCLE_1)
	s_add_u32 s6, s44, s4
	s_mov_b32 s5, s4
	s_addc_u32 s7, s45, s4
	s_xor_b64 s[6:7], s[6:7], s[4:5]
	s_delay_alu instid0(SALU_CYCLE_1) | instskip(SKIP_3) | instid1(VALU_DEP_1)
	v_cvt_f32_u32_e32 v35, s6
	v_cvt_f32_u32_e32 v36, s7
	s_sub_u32 s0, 0, s6
	s_subb_u32 s5, 0, s7
	v_fmamk_f32 v35, v36, 0x4f800000, v35
	s_delay_alu instid0(VALU_DEP_1) | instskip(SKIP_2) | instid1(VALU_DEP_1)
	v_rcp_f32_e32 v35, v35
	s_waitcnt_depctr 0xfff
	v_mul_f32_e32 v35, 0x5f7ffffc, v35
	v_mul_f32_e32 v36, 0x2f800000, v35
	s_delay_alu instid0(VALU_DEP_1) | instskip(NEXT) | instid1(VALU_DEP_1)
	v_trunc_f32_e32 v36, v36
	v_fmamk_f32 v35, v36, 0xcf800000, v35
	v_cvt_u32_f32_e32 v36, v36
	s_delay_alu instid0(VALU_DEP_2) | instskip(NEXT) | instid1(VALU_DEP_2)
	v_cvt_u32_f32_e32 v35, v35
	v_mul_lo_u32 v37, s0, v36
	s_delay_alu instid0(VALU_DEP_2) | instskip(SKIP_1) | instid1(VALU_DEP_2)
	v_mul_hi_u32 v38, s0, v35
	v_mul_lo_u32 v39, s5, v35
	v_add_nc_u32_e32 v37, v38, v37
	v_mul_lo_u32 v38, s0, v35
	s_delay_alu instid0(VALU_DEP_2) | instskip(NEXT) | instid1(VALU_DEP_2)
	v_add_nc_u32_e32 v37, v37, v39
	v_mul_hi_u32 v39, v35, v38
	s_delay_alu instid0(VALU_DEP_2)
	v_mul_lo_u32 v40, v35, v37
	v_mul_hi_u32 v41, v35, v37
	v_mul_hi_u32 v42, v36, v38
	v_mul_lo_u32 v38, v36, v38
	v_mul_hi_u32 v43, v36, v37
	v_mul_lo_u32 v37, v36, v37
	v_add_co_u32 v39, vcc_lo, v39, v40
	v_add_co_ci_u32_e32 v40, vcc_lo, 0, v41, vcc_lo
	s_delay_alu instid0(VALU_DEP_2) | instskip(NEXT) | instid1(VALU_DEP_2)
	v_add_co_u32 v38, vcc_lo, v39, v38
	v_add_co_ci_u32_e32 v38, vcc_lo, v40, v42, vcc_lo
	v_add_co_ci_u32_e32 v39, vcc_lo, 0, v43, vcc_lo
	v_ashrrev_i32_e32 v42, 31, v70
	s_delay_alu instid0(VALU_DEP_3) | instskip(NEXT) | instid1(VALU_DEP_3)
	v_add_co_u32 v37, vcc_lo, v38, v37
	v_add_co_ci_u32_e32 v38, vcc_lo, 0, v39, vcc_lo
	s_delay_alu instid0(VALU_DEP_2) | instskip(NEXT) | instid1(VALU_DEP_2)
	v_add_co_u32 v35, vcc_lo, v35, v37
	v_add_co_ci_u32_e32 v36, vcc_lo, v36, v38, vcc_lo
	s_delay_alu instid0(VALU_DEP_2) | instskip(SKIP_1) | instid1(VALU_DEP_3)
	v_mul_hi_u32 v37, s0, v35
	v_mul_lo_u32 v39, s5, v35
	v_mul_lo_u32 v38, s0, v36
	s_delay_alu instid0(VALU_DEP_1) | instskip(SKIP_1) | instid1(VALU_DEP_2)
	v_add_nc_u32_e32 v37, v37, v38
	v_mul_lo_u32 v38, s0, v35
	v_add_nc_u32_e32 v37, v37, v39
	s_delay_alu instid0(VALU_DEP_2) | instskip(NEXT) | instid1(VALU_DEP_2)
	v_mul_hi_u32 v39, v35, v38
	v_mul_lo_u32 v40, v35, v37
	v_mul_hi_u32 v41, v35, v37
	v_mul_hi_u32 v43, v36, v38
	v_mul_lo_u32 v38, v36, v38
	v_mul_hi_u32 v44, v36, v37
	v_mul_lo_u32 v37, v36, v37
	v_add_co_u32 v39, vcc_lo, v39, v40
	v_add_co_ci_u32_e32 v40, vcc_lo, 0, v41, vcc_lo
	s_delay_alu instid0(VALU_DEP_2) | instskip(NEXT) | instid1(VALU_DEP_2)
	v_add_co_u32 v38, vcc_lo, v39, v38
	v_add_co_ci_u32_e32 v38, vcc_lo, v40, v43, vcc_lo
	v_add_co_ci_u32_e32 v39, vcc_lo, 0, v44, vcc_lo
	v_add_co_u32 v40, vcc_lo, v69, v42
	v_add_co_ci_u32_e32 v41, vcc_lo, v70, v42, vcc_lo
	s_delay_alu instid0(VALU_DEP_4) | instskip(NEXT) | instid1(VALU_DEP_4)
	v_add_co_u32 v37, vcc_lo, v38, v37
	v_add_co_ci_u32_e32 v38, vcc_lo, 0, v39, vcc_lo
	s_delay_alu instid0(VALU_DEP_4) | instskip(NEXT) | instid1(VALU_DEP_3)
	v_xor_b32_e32 v43, v40, v42
	v_add_co_u32 v39, vcc_lo, v35, v37
	s_delay_alu instid0(VALU_DEP_3) | instskip(SKIP_1) | instid1(VALU_DEP_3)
	v_add_co_ci_u32_e32 v44, vcc_lo, v36, v38, vcc_lo
	v_xor_b32_e32 v41, v41, v42
	v_mul_hi_u32 v45, v43, v39
	s_delay_alu instid0(VALU_DEP_3) | instskip(NEXT) | instid1(VALU_DEP_3)
	v_mad_u64_u32 v[35:36], null, v43, v44, 0
	v_mad_u64_u32 v[37:38], null, v41, v39, 0
	;; [unrolled: 1-line block ×3, first 2 shown]
	s_delay_alu instid0(VALU_DEP_3) | instskip(NEXT) | instid1(VALU_DEP_4)
	v_add_co_u32 v35, vcc_lo, v45, v35
	v_add_co_ci_u32_e32 v36, vcc_lo, 0, v36, vcc_lo
	s_delay_alu instid0(VALU_DEP_2) | instskip(NEXT) | instid1(VALU_DEP_2)
	v_add_co_u32 v35, vcc_lo, v35, v37
	v_add_co_ci_u32_e32 v35, vcc_lo, v36, v38, vcc_lo
	v_add_co_ci_u32_e32 v36, vcc_lo, 0, v40, vcc_lo
	s_delay_alu instid0(VALU_DEP_2) | instskip(NEXT) | instid1(VALU_DEP_2)
	v_add_co_u32 v37, vcc_lo, v35, v39
	v_add_co_ci_u32_e32 v38, vcc_lo, 0, v36, vcc_lo
	s_delay_alu instid0(VALU_DEP_2) | instskip(SKIP_1) | instid1(VALU_DEP_3)
	v_mul_lo_u32 v39, s7, v37
	v_mad_u64_u32 v[35:36], null, s6, v37, 0
	v_mul_lo_u32 v40, s6, v38
	s_delay_alu instid0(VALU_DEP_2) | instskip(NEXT) | instid1(VALU_DEP_2)
	v_sub_co_u32 v35, vcc_lo, v43, v35
	v_add3_u32 v36, v36, v40, v39
	s_delay_alu instid0(VALU_DEP_1) | instskip(NEXT) | instid1(VALU_DEP_1)
	v_sub_nc_u32_e32 v39, v41, v36
	v_subrev_co_ci_u32_e64 v39, s0, s7, v39, vcc_lo
	v_add_co_u32 v40, s0, v37, 2
	s_delay_alu instid0(VALU_DEP_1) | instskip(SKIP_3) | instid1(VALU_DEP_3)
	v_add_co_ci_u32_e64 v43, s0, 0, v38, s0
	v_sub_co_u32 v44, s0, v35, s6
	v_sub_co_ci_u32_e32 v36, vcc_lo, v41, v36, vcc_lo
	v_subrev_co_ci_u32_e64 v39, s0, 0, v39, s0
	v_cmp_le_u32_e32 vcc_lo, s6, v44
	s_delay_alu instid0(VALU_DEP_3) | instskip(SKIP_1) | instid1(VALU_DEP_4)
	v_cmp_eq_u32_e64 s0, s7, v36
	v_cndmask_b32_e64 v41, 0, -1, vcc_lo
	v_cmp_le_u32_e32 vcc_lo, s7, v39
	v_cndmask_b32_e64 v44, 0, -1, vcc_lo
	v_cmp_le_u32_e32 vcc_lo, s6, v35
	;; [unrolled: 2-line block ×3, first 2 shown]
	v_cndmask_b32_e64 v45, 0, -1, vcc_lo
	v_cmp_eq_u32_e32 vcc_lo, s7, v39
	s_delay_alu instid0(VALU_DEP_2) | instskip(SKIP_3) | instid1(VALU_DEP_3)
	v_cndmask_b32_e64 v35, v45, v35, s0
	v_cndmask_b32_e32 v39, v44, v41, vcc_lo
	v_add_co_u32 v41, vcc_lo, v37, 1
	v_add_co_ci_u32_e32 v44, vcc_lo, 0, v38, vcc_lo
	v_cmp_ne_u32_e32 vcc_lo, 0, v39
	s_delay_alu instid0(VALU_DEP_2) | instskip(SKIP_2) | instid1(VALU_DEP_3)
	v_dual_cndmask_b32 v36, v44, v43 :: v_dual_cndmask_b32 v39, v41, v40
	v_cmp_ne_u32_e32 vcc_lo, 0, v35
	v_xor_b32_e32 v40, s4, v42
	v_dual_cndmask_b32 v35, v38, v36 :: v_dual_cndmask_b32 v36, v37, v39
	s_delay_alu instid0(VALU_DEP_1) | instskip(NEXT) | instid1(VALU_DEP_2)
	v_xor_b32_e32 v37, v35, v40
	v_xor_b32_e32 v36, v36, v40
	s_delay_alu instid0(VALU_DEP_1) | instskip(NEXT) | instid1(VALU_DEP_3)
	v_sub_co_u32 v35, vcc_lo, v36, v40
	v_sub_co_ci_u32_e32 v36, vcc_lo, v37, v40, vcc_lo
.LBB1149_79:
	s_and_not1_saveexec_b32 s0, s1
	s_cbranch_execz .LBB1149_81
; %bb.80:
	v_cvt_f32_u32_e32 v35, s44
	s_sub_i32 s1, 0, s44
	s_delay_alu instid0(VALU_DEP_1) | instskip(SKIP_2) | instid1(VALU_DEP_1)
	v_rcp_iflag_f32_e32 v35, v35
	s_waitcnt_depctr 0xfff
	v_mul_f32_e32 v35, 0x4f7ffffe, v35
	v_cvt_u32_f32_e32 v35, v35
	s_delay_alu instid0(VALU_DEP_1) | instskip(NEXT) | instid1(VALU_DEP_1)
	v_mul_lo_u32 v36, s1, v35
	v_mul_hi_u32 v36, v35, v36
	s_delay_alu instid0(VALU_DEP_1) | instskip(NEXT) | instid1(VALU_DEP_1)
	v_add_nc_u32_e32 v35, v35, v36
	v_mul_hi_u32 v35, v69, v35
	s_delay_alu instid0(VALU_DEP_1) | instskip(SKIP_1) | instid1(VALU_DEP_2)
	v_mul_lo_u32 v36, v35, s44
	v_add_nc_u32_e32 v37, 1, v35
	v_sub_nc_u32_e32 v36, v69, v36
	s_delay_alu instid0(VALU_DEP_1) | instskip(SKIP_1) | instid1(VALU_DEP_2)
	v_subrev_nc_u32_e32 v38, s44, v36
	v_cmp_le_u32_e32 vcc_lo, s44, v36
	v_dual_cndmask_b32 v36, v36, v38 :: v_dual_cndmask_b32 v35, v35, v37
	s_delay_alu instid0(VALU_DEP_1) | instskip(NEXT) | instid1(VALU_DEP_2)
	v_cmp_le_u32_e32 vcc_lo, s44, v36
	v_dual_mov_b32 v36, 0 :: v_dual_add_nc_u32 v37, 1, v35
	s_delay_alu instid0(VALU_DEP_1)
	v_cndmask_b32_e32 v35, v35, v37, vcc_lo
.LBB1149_81:
	s_or_b32 exec_lo, exec_lo, s0
	v_add_co_u32 v71, vcc_lo, 0x400, v63
	v_add_co_ci_u32_e32 v72, vcc_lo, 0, v64, vcc_lo
	v_mov_b32_e32 v37, 0
	s_delay_alu instid0(VALU_DEP_2) | instskip(NEXT) | instid1(VALU_DEP_1)
	v_or_b32_e32 v38, s45, v72
	v_cmp_ne_u64_e32 vcc_lo, 0, v[37:38]
                                        ; implicit-def: $vgpr37_vgpr38
	s_and_saveexec_b32 s0, vcc_lo
	s_delay_alu instid0(SALU_CYCLE_1)
	s_xor_b32 s1, exec_lo, s0
	s_cbranch_execz .LBB1149_83
; %bb.82:
	s_ashr_i32 s4, s45, 31
	s_delay_alu instid0(SALU_CYCLE_1) | instskip(SKIP_2) | instid1(SALU_CYCLE_1)
	s_add_u32 s6, s44, s4
	s_mov_b32 s5, s4
	s_addc_u32 s7, s45, s4
	s_xor_b64 s[6:7], s[6:7], s[4:5]
	s_delay_alu instid0(SALU_CYCLE_1) | instskip(SKIP_3) | instid1(VALU_DEP_1)
	v_cvt_f32_u32_e32 v37, s6
	v_cvt_f32_u32_e32 v38, s7
	s_sub_u32 s0, 0, s6
	s_subb_u32 s5, 0, s7
	v_fmamk_f32 v37, v38, 0x4f800000, v37
	s_delay_alu instid0(VALU_DEP_1) | instskip(SKIP_2) | instid1(VALU_DEP_1)
	v_rcp_f32_e32 v37, v37
	s_waitcnt_depctr 0xfff
	v_mul_f32_e32 v37, 0x5f7ffffc, v37
	v_mul_f32_e32 v38, 0x2f800000, v37
	s_delay_alu instid0(VALU_DEP_1) | instskip(NEXT) | instid1(VALU_DEP_1)
	v_trunc_f32_e32 v38, v38
	v_fmamk_f32 v37, v38, 0xcf800000, v37
	v_cvt_u32_f32_e32 v38, v38
	s_delay_alu instid0(VALU_DEP_2) | instskip(NEXT) | instid1(VALU_DEP_2)
	v_cvt_u32_f32_e32 v37, v37
	v_mul_lo_u32 v39, s0, v38
	s_delay_alu instid0(VALU_DEP_2) | instskip(SKIP_1) | instid1(VALU_DEP_2)
	v_mul_hi_u32 v40, s0, v37
	v_mul_lo_u32 v41, s5, v37
	v_add_nc_u32_e32 v39, v40, v39
	v_mul_lo_u32 v40, s0, v37
	s_delay_alu instid0(VALU_DEP_2) | instskip(NEXT) | instid1(VALU_DEP_2)
	v_add_nc_u32_e32 v39, v39, v41
	v_mul_hi_u32 v41, v37, v40
	s_delay_alu instid0(VALU_DEP_2)
	v_mul_lo_u32 v42, v37, v39
	v_mul_hi_u32 v43, v37, v39
	v_mul_hi_u32 v44, v38, v40
	v_mul_lo_u32 v40, v38, v40
	v_mul_hi_u32 v45, v38, v39
	v_mul_lo_u32 v39, v38, v39
	v_add_co_u32 v41, vcc_lo, v41, v42
	v_add_co_ci_u32_e32 v42, vcc_lo, 0, v43, vcc_lo
	s_delay_alu instid0(VALU_DEP_2) | instskip(NEXT) | instid1(VALU_DEP_2)
	v_add_co_u32 v40, vcc_lo, v41, v40
	v_add_co_ci_u32_e32 v40, vcc_lo, v42, v44, vcc_lo
	v_add_co_ci_u32_e32 v41, vcc_lo, 0, v45, vcc_lo
	v_ashrrev_i32_e32 v44, 31, v72
	s_delay_alu instid0(VALU_DEP_3) | instskip(NEXT) | instid1(VALU_DEP_3)
	v_add_co_u32 v39, vcc_lo, v40, v39
	v_add_co_ci_u32_e32 v40, vcc_lo, 0, v41, vcc_lo
	s_delay_alu instid0(VALU_DEP_2) | instskip(NEXT) | instid1(VALU_DEP_2)
	v_add_co_u32 v37, vcc_lo, v37, v39
	v_add_co_ci_u32_e32 v38, vcc_lo, v38, v40, vcc_lo
	s_delay_alu instid0(VALU_DEP_2) | instskip(SKIP_1) | instid1(VALU_DEP_3)
	v_mul_hi_u32 v39, s0, v37
	v_mul_lo_u32 v41, s5, v37
	v_mul_lo_u32 v40, s0, v38
	s_delay_alu instid0(VALU_DEP_1) | instskip(SKIP_1) | instid1(VALU_DEP_2)
	v_add_nc_u32_e32 v39, v39, v40
	v_mul_lo_u32 v40, s0, v37
	v_add_nc_u32_e32 v39, v39, v41
	s_delay_alu instid0(VALU_DEP_2) | instskip(NEXT) | instid1(VALU_DEP_2)
	v_mul_hi_u32 v41, v37, v40
	v_mul_lo_u32 v42, v37, v39
	v_mul_hi_u32 v43, v37, v39
	v_mul_hi_u32 v45, v38, v40
	v_mul_lo_u32 v40, v38, v40
	v_mul_hi_u32 v46, v38, v39
	v_mul_lo_u32 v39, v38, v39
	v_add_co_u32 v41, vcc_lo, v41, v42
	v_add_co_ci_u32_e32 v42, vcc_lo, 0, v43, vcc_lo
	s_delay_alu instid0(VALU_DEP_2) | instskip(NEXT) | instid1(VALU_DEP_2)
	v_add_co_u32 v40, vcc_lo, v41, v40
	v_add_co_ci_u32_e32 v40, vcc_lo, v42, v45, vcc_lo
	v_add_co_ci_u32_e32 v41, vcc_lo, 0, v46, vcc_lo
	v_add_co_u32 v42, vcc_lo, v71, v44
	v_add_co_ci_u32_e32 v43, vcc_lo, v72, v44, vcc_lo
	s_delay_alu instid0(VALU_DEP_4) | instskip(NEXT) | instid1(VALU_DEP_4)
	v_add_co_u32 v39, vcc_lo, v40, v39
	v_add_co_ci_u32_e32 v40, vcc_lo, 0, v41, vcc_lo
	s_delay_alu instid0(VALU_DEP_4) | instskip(NEXT) | instid1(VALU_DEP_3)
	v_xor_b32_e32 v45, v42, v44
	v_add_co_u32 v41, vcc_lo, v37, v39
	s_delay_alu instid0(VALU_DEP_3) | instskip(SKIP_1) | instid1(VALU_DEP_3)
	v_add_co_ci_u32_e32 v46, vcc_lo, v38, v40, vcc_lo
	v_xor_b32_e32 v43, v43, v44
	v_mul_hi_u32 v47, v45, v41
	s_delay_alu instid0(VALU_DEP_3) | instskip(NEXT) | instid1(VALU_DEP_3)
	v_mad_u64_u32 v[37:38], null, v45, v46, 0
	v_mad_u64_u32 v[39:40], null, v43, v41, 0
	;; [unrolled: 1-line block ×3, first 2 shown]
	s_delay_alu instid0(VALU_DEP_3) | instskip(NEXT) | instid1(VALU_DEP_4)
	v_add_co_u32 v37, vcc_lo, v47, v37
	v_add_co_ci_u32_e32 v38, vcc_lo, 0, v38, vcc_lo
	s_delay_alu instid0(VALU_DEP_2) | instskip(NEXT) | instid1(VALU_DEP_2)
	v_add_co_u32 v37, vcc_lo, v37, v39
	v_add_co_ci_u32_e32 v37, vcc_lo, v38, v40, vcc_lo
	v_add_co_ci_u32_e32 v38, vcc_lo, 0, v42, vcc_lo
	s_delay_alu instid0(VALU_DEP_2) | instskip(NEXT) | instid1(VALU_DEP_2)
	v_add_co_u32 v39, vcc_lo, v37, v41
	v_add_co_ci_u32_e32 v40, vcc_lo, 0, v38, vcc_lo
	s_delay_alu instid0(VALU_DEP_2) | instskip(SKIP_1) | instid1(VALU_DEP_3)
	v_mul_lo_u32 v41, s7, v39
	v_mad_u64_u32 v[37:38], null, s6, v39, 0
	v_mul_lo_u32 v42, s6, v40
	s_delay_alu instid0(VALU_DEP_2) | instskip(NEXT) | instid1(VALU_DEP_2)
	v_sub_co_u32 v37, vcc_lo, v45, v37
	v_add3_u32 v38, v38, v42, v41
	s_delay_alu instid0(VALU_DEP_1) | instskip(NEXT) | instid1(VALU_DEP_1)
	v_sub_nc_u32_e32 v41, v43, v38
	v_subrev_co_ci_u32_e64 v41, s0, s7, v41, vcc_lo
	v_add_co_u32 v42, s0, v39, 2
	s_delay_alu instid0(VALU_DEP_1) | instskip(SKIP_3) | instid1(VALU_DEP_3)
	v_add_co_ci_u32_e64 v45, s0, 0, v40, s0
	v_sub_co_u32 v46, s0, v37, s6
	v_sub_co_ci_u32_e32 v38, vcc_lo, v43, v38, vcc_lo
	v_subrev_co_ci_u32_e64 v41, s0, 0, v41, s0
	v_cmp_le_u32_e32 vcc_lo, s6, v46
	s_delay_alu instid0(VALU_DEP_3) | instskip(SKIP_1) | instid1(VALU_DEP_4)
	v_cmp_eq_u32_e64 s0, s7, v38
	v_cndmask_b32_e64 v43, 0, -1, vcc_lo
	v_cmp_le_u32_e32 vcc_lo, s7, v41
	v_cndmask_b32_e64 v46, 0, -1, vcc_lo
	v_cmp_le_u32_e32 vcc_lo, s6, v37
	;; [unrolled: 2-line block ×3, first 2 shown]
	v_cndmask_b32_e64 v47, 0, -1, vcc_lo
	v_cmp_eq_u32_e32 vcc_lo, s7, v41
	s_delay_alu instid0(VALU_DEP_2) | instskip(SKIP_3) | instid1(VALU_DEP_3)
	v_cndmask_b32_e64 v37, v47, v37, s0
	v_cndmask_b32_e32 v41, v46, v43, vcc_lo
	v_add_co_u32 v43, vcc_lo, v39, 1
	v_add_co_ci_u32_e32 v46, vcc_lo, 0, v40, vcc_lo
	v_cmp_ne_u32_e32 vcc_lo, 0, v41
	s_delay_alu instid0(VALU_DEP_2) | instskip(SKIP_2) | instid1(VALU_DEP_3)
	v_dual_cndmask_b32 v38, v46, v45 :: v_dual_cndmask_b32 v41, v43, v42
	v_cmp_ne_u32_e32 vcc_lo, 0, v37
	v_xor_b32_e32 v42, s4, v44
	v_dual_cndmask_b32 v37, v40, v38 :: v_dual_cndmask_b32 v38, v39, v41
	s_delay_alu instid0(VALU_DEP_1) | instskip(NEXT) | instid1(VALU_DEP_2)
	v_xor_b32_e32 v39, v37, v42
	v_xor_b32_e32 v38, v38, v42
	s_delay_alu instid0(VALU_DEP_1) | instskip(NEXT) | instid1(VALU_DEP_3)
	v_sub_co_u32 v37, vcc_lo, v38, v42
	v_sub_co_ci_u32_e32 v38, vcc_lo, v39, v42, vcc_lo
.LBB1149_83:
	s_and_not1_saveexec_b32 s0, s1
	s_cbranch_execz .LBB1149_85
; %bb.84:
	v_cvt_f32_u32_e32 v37, s44
	s_sub_i32 s1, 0, s44
	s_delay_alu instid0(VALU_DEP_1) | instskip(SKIP_2) | instid1(VALU_DEP_1)
	v_rcp_iflag_f32_e32 v37, v37
	s_waitcnt_depctr 0xfff
	v_mul_f32_e32 v37, 0x4f7ffffe, v37
	v_cvt_u32_f32_e32 v37, v37
	s_delay_alu instid0(VALU_DEP_1) | instskip(NEXT) | instid1(VALU_DEP_1)
	v_mul_lo_u32 v38, s1, v37
	v_mul_hi_u32 v38, v37, v38
	s_delay_alu instid0(VALU_DEP_1) | instskip(NEXT) | instid1(VALU_DEP_1)
	v_add_nc_u32_e32 v37, v37, v38
	v_mul_hi_u32 v37, v71, v37
	s_delay_alu instid0(VALU_DEP_1) | instskip(SKIP_1) | instid1(VALU_DEP_2)
	v_mul_lo_u32 v38, v37, s44
	v_add_nc_u32_e32 v39, 1, v37
	v_sub_nc_u32_e32 v38, v71, v38
	s_delay_alu instid0(VALU_DEP_1) | instskip(SKIP_1) | instid1(VALU_DEP_2)
	v_subrev_nc_u32_e32 v40, s44, v38
	v_cmp_le_u32_e32 vcc_lo, s44, v38
	v_dual_cndmask_b32 v38, v38, v40 :: v_dual_cndmask_b32 v37, v37, v39
	s_delay_alu instid0(VALU_DEP_1) | instskip(NEXT) | instid1(VALU_DEP_2)
	v_cmp_le_u32_e32 vcc_lo, s44, v38
	v_dual_mov_b32 v38, 0 :: v_dual_add_nc_u32 v39, 1, v37
	s_delay_alu instid0(VALU_DEP_1)
	v_cndmask_b32_e32 v37, v37, v39, vcc_lo
.LBB1149_85:
	s_or_b32 exec_lo, exec_lo, s0
	v_add_co_u32 v73, vcc_lo, 0x500, v63
	v_add_co_ci_u32_e32 v74, vcc_lo, 0, v64, vcc_lo
	v_mov_b32_e32 v39, 0
	s_delay_alu instid0(VALU_DEP_2) | instskip(NEXT) | instid1(VALU_DEP_1)
	v_or_b32_e32 v40, s45, v74
	v_cmp_ne_u64_e32 vcc_lo, 0, v[39:40]
                                        ; implicit-def: $vgpr39_vgpr40
	s_and_saveexec_b32 s0, vcc_lo
	s_delay_alu instid0(SALU_CYCLE_1)
	s_xor_b32 s1, exec_lo, s0
	s_cbranch_execz .LBB1149_87
; %bb.86:
	s_ashr_i32 s4, s45, 31
	s_delay_alu instid0(SALU_CYCLE_1) | instskip(SKIP_2) | instid1(SALU_CYCLE_1)
	s_add_u32 s6, s44, s4
	s_mov_b32 s5, s4
	s_addc_u32 s7, s45, s4
	s_xor_b64 s[6:7], s[6:7], s[4:5]
	s_delay_alu instid0(SALU_CYCLE_1) | instskip(SKIP_3) | instid1(VALU_DEP_1)
	v_cvt_f32_u32_e32 v39, s6
	v_cvt_f32_u32_e32 v40, s7
	s_sub_u32 s0, 0, s6
	s_subb_u32 s5, 0, s7
	v_fmamk_f32 v39, v40, 0x4f800000, v39
	s_delay_alu instid0(VALU_DEP_1) | instskip(SKIP_2) | instid1(VALU_DEP_1)
	v_rcp_f32_e32 v39, v39
	s_waitcnt_depctr 0xfff
	v_mul_f32_e32 v39, 0x5f7ffffc, v39
	v_mul_f32_e32 v40, 0x2f800000, v39
	s_delay_alu instid0(VALU_DEP_1) | instskip(NEXT) | instid1(VALU_DEP_1)
	v_trunc_f32_e32 v40, v40
	v_fmamk_f32 v39, v40, 0xcf800000, v39
	v_cvt_u32_f32_e32 v40, v40
	s_delay_alu instid0(VALU_DEP_2) | instskip(NEXT) | instid1(VALU_DEP_2)
	v_cvt_u32_f32_e32 v39, v39
	v_mul_lo_u32 v41, s0, v40
	s_delay_alu instid0(VALU_DEP_2) | instskip(SKIP_1) | instid1(VALU_DEP_2)
	v_mul_hi_u32 v42, s0, v39
	v_mul_lo_u32 v43, s5, v39
	v_add_nc_u32_e32 v41, v42, v41
	v_mul_lo_u32 v42, s0, v39
	s_delay_alu instid0(VALU_DEP_2) | instskip(NEXT) | instid1(VALU_DEP_2)
	v_add_nc_u32_e32 v41, v41, v43
	v_mul_hi_u32 v43, v39, v42
	s_delay_alu instid0(VALU_DEP_2)
	v_mul_lo_u32 v44, v39, v41
	v_mul_hi_u32 v45, v39, v41
	v_mul_hi_u32 v46, v40, v42
	v_mul_lo_u32 v42, v40, v42
	v_mul_hi_u32 v47, v40, v41
	v_mul_lo_u32 v41, v40, v41
	v_add_co_u32 v43, vcc_lo, v43, v44
	v_add_co_ci_u32_e32 v44, vcc_lo, 0, v45, vcc_lo
	s_delay_alu instid0(VALU_DEP_2) | instskip(NEXT) | instid1(VALU_DEP_2)
	v_add_co_u32 v42, vcc_lo, v43, v42
	v_add_co_ci_u32_e32 v42, vcc_lo, v44, v46, vcc_lo
	v_add_co_ci_u32_e32 v43, vcc_lo, 0, v47, vcc_lo
	v_ashrrev_i32_e32 v46, 31, v74
	s_delay_alu instid0(VALU_DEP_3) | instskip(NEXT) | instid1(VALU_DEP_3)
	v_add_co_u32 v41, vcc_lo, v42, v41
	v_add_co_ci_u32_e32 v42, vcc_lo, 0, v43, vcc_lo
	s_delay_alu instid0(VALU_DEP_2) | instskip(NEXT) | instid1(VALU_DEP_2)
	v_add_co_u32 v39, vcc_lo, v39, v41
	v_add_co_ci_u32_e32 v40, vcc_lo, v40, v42, vcc_lo
	s_delay_alu instid0(VALU_DEP_2) | instskip(SKIP_1) | instid1(VALU_DEP_3)
	v_mul_hi_u32 v41, s0, v39
	v_mul_lo_u32 v43, s5, v39
	v_mul_lo_u32 v42, s0, v40
	s_delay_alu instid0(VALU_DEP_1) | instskip(SKIP_1) | instid1(VALU_DEP_2)
	v_add_nc_u32_e32 v41, v41, v42
	v_mul_lo_u32 v42, s0, v39
	v_add_nc_u32_e32 v41, v41, v43
	s_delay_alu instid0(VALU_DEP_2) | instskip(NEXT) | instid1(VALU_DEP_2)
	v_mul_hi_u32 v43, v39, v42
	v_mul_lo_u32 v44, v39, v41
	v_mul_hi_u32 v45, v39, v41
	v_mul_hi_u32 v47, v40, v42
	v_mul_lo_u32 v42, v40, v42
	v_mul_hi_u32 v48, v40, v41
	v_mul_lo_u32 v41, v40, v41
	v_add_co_u32 v43, vcc_lo, v43, v44
	v_add_co_ci_u32_e32 v44, vcc_lo, 0, v45, vcc_lo
	s_delay_alu instid0(VALU_DEP_2) | instskip(NEXT) | instid1(VALU_DEP_2)
	v_add_co_u32 v42, vcc_lo, v43, v42
	v_add_co_ci_u32_e32 v42, vcc_lo, v44, v47, vcc_lo
	v_add_co_ci_u32_e32 v43, vcc_lo, 0, v48, vcc_lo
	v_add_co_u32 v44, vcc_lo, v73, v46
	v_add_co_ci_u32_e32 v45, vcc_lo, v74, v46, vcc_lo
	s_delay_alu instid0(VALU_DEP_4) | instskip(NEXT) | instid1(VALU_DEP_4)
	v_add_co_u32 v41, vcc_lo, v42, v41
	v_add_co_ci_u32_e32 v42, vcc_lo, 0, v43, vcc_lo
	s_delay_alu instid0(VALU_DEP_4) | instskip(NEXT) | instid1(VALU_DEP_3)
	v_xor_b32_e32 v47, v44, v46
	v_add_co_u32 v43, vcc_lo, v39, v41
	s_delay_alu instid0(VALU_DEP_3) | instskip(SKIP_1) | instid1(VALU_DEP_3)
	v_add_co_ci_u32_e32 v48, vcc_lo, v40, v42, vcc_lo
	v_xor_b32_e32 v45, v45, v46
	v_mul_hi_u32 v49, v47, v43
	s_delay_alu instid0(VALU_DEP_3) | instskip(NEXT) | instid1(VALU_DEP_3)
	v_mad_u64_u32 v[39:40], null, v47, v48, 0
	v_mad_u64_u32 v[41:42], null, v45, v43, 0
	;; [unrolled: 1-line block ×3, first 2 shown]
	s_delay_alu instid0(VALU_DEP_3) | instskip(NEXT) | instid1(VALU_DEP_4)
	v_add_co_u32 v39, vcc_lo, v49, v39
	v_add_co_ci_u32_e32 v40, vcc_lo, 0, v40, vcc_lo
	s_delay_alu instid0(VALU_DEP_2) | instskip(NEXT) | instid1(VALU_DEP_2)
	v_add_co_u32 v39, vcc_lo, v39, v41
	v_add_co_ci_u32_e32 v39, vcc_lo, v40, v42, vcc_lo
	v_add_co_ci_u32_e32 v40, vcc_lo, 0, v44, vcc_lo
	s_delay_alu instid0(VALU_DEP_2) | instskip(NEXT) | instid1(VALU_DEP_2)
	v_add_co_u32 v41, vcc_lo, v39, v43
	v_add_co_ci_u32_e32 v42, vcc_lo, 0, v40, vcc_lo
	s_delay_alu instid0(VALU_DEP_2) | instskip(SKIP_1) | instid1(VALU_DEP_3)
	v_mul_lo_u32 v43, s7, v41
	v_mad_u64_u32 v[39:40], null, s6, v41, 0
	v_mul_lo_u32 v44, s6, v42
	s_delay_alu instid0(VALU_DEP_2) | instskip(NEXT) | instid1(VALU_DEP_2)
	v_sub_co_u32 v39, vcc_lo, v47, v39
	v_add3_u32 v40, v40, v44, v43
	s_delay_alu instid0(VALU_DEP_1) | instskip(NEXT) | instid1(VALU_DEP_1)
	v_sub_nc_u32_e32 v43, v45, v40
	v_subrev_co_ci_u32_e64 v43, s0, s7, v43, vcc_lo
	v_add_co_u32 v44, s0, v41, 2
	s_delay_alu instid0(VALU_DEP_1) | instskip(SKIP_3) | instid1(VALU_DEP_3)
	v_add_co_ci_u32_e64 v47, s0, 0, v42, s0
	v_sub_co_u32 v48, s0, v39, s6
	v_sub_co_ci_u32_e32 v40, vcc_lo, v45, v40, vcc_lo
	v_subrev_co_ci_u32_e64 v43, s0, 0, v43, s0
	v_cmp_le_u32_e32 vcc_lo, s6, v48
	s_delay_alu instid0(VALU_DEP_3) | instskip(SKIP_1) | instid1(VALU_DEP_4)
	v_cmp_eq_u32_e64 s0, s7, v40
	v_cndmask_b32_e64 v45, 0, -1, vcc_lo
	v_cmp_le_u32_e32 vcc_lo, s7, v43
	v_cndmask_b32_e64 v48, 0, -1, vcc_lo
	v_cmp_le_u32_e32 vcc_lo, s6, v39
	;; [unrolled: 2-line block ×3, first 2 shown]
	v_cndmask_b32_e64 v49, 0, -1, vcc_lo
	v_cmp_eq_u32_e32 vcc_lo, s7, v43
	s_delay_alu instid0(VALU_DEP_2) | instskip(SKIP_3) | instid1(VALU_DEP_3)
	v_cndmask_b32_e64 v39, v49, v39, s0
	v_cndmask_b32_e32 v43, v48, v45, vcc_lo
	v_add_co_u32 v45, vcc_lo, v41, 1
	v_add_co_ci_u32_e32 v48, vcc_lo, 0, v42, vcc_lo
	v_cmp_ne_u32_e32 vcc_lo, 0, v43
	s_delay_alu instid0(VALU_DEP_2) | instskip(SKIP_2) | instid1(VALU_DEP_3)
	v_dual_cndmask_b32 v40, v48, v47 :: v_dual_cndmask_b32 v43, v45, v44
	v_cmp_ne_u32_e32 vcc_lo, 0, v39
	v_xor_b32_e32 v44, s4, v46
	v_dual_cndmask_b32 v39, v42, v40 :: v_dual_cndmask_b32 v40, v41, v43
	s_delay_alu instid0(VALU_DEP_1) | instskip(NEXT) | instid1(VALU_DEP_2)
	v_xor_b32_e32 v41, v39, v44
	v_xor_b32_e32 v40, v40, v44
	s_delay_alu instid0(VALU_DEP_1) | instskip(NEXT) | instid1(VALU_DEP_3)
	v_sub_co_u32 v39, vcc_lo, v40, v44
	v_sub_co_ci_u32_e32 v40, vcc_lo, v41, v44, vcc_lo
.LBB1149_87:
	s_and_not1_saveexec_b32 s0, s1
	s_cbranch_execz .LBB1149_89
; %bb.88:
	v_cvt_f32_u32_e32 v39, s44
	s_sub_i32 s1, 0, s44
	s_delay_alu instid0(VALU_DEP_1) | instskip(SKIP_2) | instid1(VALU_DEP_1)
	v_rcp_iflag_f32_e32 v39, v39
	s_waitcnt_depctr 0xfff
	v_mul_f32_e32 v39, 0x4f7ffffe, v39
	v_cvt_u32_f32_e32 v39, v39
	s_delay_alu instid0(VALU_DEP_1) | instskip(NEXT) | instid1(VALU_DEP_1)
	v_mul_lo_u32 v40, s1, v39
	v_mul_hi_u32 v40, v39, v40
	s_delay_alu instid0(VALU_DEP_1) | instskip(NEXT) | instid1(VALU_DEP_1)
	v_add_nc_u32_e32 v39, v39, v40
	v_mul_hi_u32 v39, v73, v39
	s_delay_alu instid0(VALU_DEP_1) | instskip(SKIP_1) | instid1(VALU_DEP_2)
	v_mul_lo_u32 v40, v39, s44
	v_add_nc_u32_e32 v41, 1, v39
	v_sub_nc_u32_e32 v40, v73, v40
	s_delay_alu instid0(VALU_DEP_1) | instskip(SKIP_1) | instid1(VALU_DEP_2)
	v_subrev_nc_u32_e32 v42, s44, v40
	v_cmp_le_u32_e32 vcc_lo, s44, v40
	v_dual_cndmask_b32 v40, v40, v42 :: v_dual_cndmask_b32 v39, v39, v41
	s_delay_alu instid0(VALU_DEP_1) | instskip(NEXT) | instid1(VALU_DEP_2)
	v_cmp_le_u32_e32 vcc_lo, s44, v40
	v_dual_mov_b32 v40, 0 :: v_dual_add_nc_u32 v41, 1, v39
	s_delay_alu instid0(VALU_DEP_1)
	v_cndmask_b32_e32 v39, v39, v41, vcc_lo
.LBB1149_89:
	s_or_b32 exec_lo, exec_lo, s0
	v_add_co_u32 v75, vcc_lo, 0x600, v63
	v_add_co_ci_u32_e32 v76, vcc_lo, 0, v64, vcc_lo
	v_mov_b32_e32 v41, 0
	s_delay_alu instid0(VALU_DEP_2) | instskip(NEXT) | instid1(VALU_DEP_1)
	v_or_b32_e32 v42, s45, v76
	v_cmp_ne_u64_e32 vcc_lo, 0, v[41:42]
                                        ; implicit-def: $vgpr41_vgpr42
	s_and_saveexec_b32 s0, vcc_lo
	s_delay_alu instid0(SALU_CYCLE_1)
	s_xor_b32 s1, exec_lo, s0
	s_cbranch_execz .LBB1149_91
; %bb.90:
	s_ashr_i32 s4, s45, 31
	s_delay_alu instid0(SALU_CYCLE_1) | instskip(SKIP_2) | instid1(SALU_CYCLE_1)
	s_add_u32 s6, s44, s4
	s_mov_b32 s5, s4
	s_addc_u32 s7, s45, s4
	s_xor_b64 s[6:7], s[6:7], s[4:5]
	s_delay_alu instid0(SALU_CYCLE_1) | instskip(SKIP_3) | instid1(VALU_DEP_1)
	v_cvt_f32_u32_e32 v41, s6
	v_cvt_f32_u32_e32 v42, s7
	s_sub_u32 s0, 0, s6
	s_subb_u32 s5, 0, s7
	v_fmamk_f32 v41, v42, 0x4f800000, v41
	s_delay_alu instid0(VALU_DEP_1) | instskip(SKIP_2) | instid1(VALU_DEP_1)
	v_rcp_f32_e32 v41, v41
	s_waitcnt_depctr 0xfff
	v_mul_f32_e32 v41, 0x5f7ffffc, v41
	v_mul_f32_e32 v42, 0x2f800000, v41
	s_delay_alu instid0(VALU_DEP_1) | instskip(NEXT) | instid1(VALU_DEP_1)
	v_trunc_f32_e32 v42, v42
	v_fmamk_f32 v41, v42, 0xcf800000, v41
	v_cvt_u32_f32_e32 v42, v42
	s_delay_alu instid0(VALU_DEP_2) | instskip(NEXT) | instid1(VALU_DEP_2)
	v_cvt_u32_f32_e32 v41, v41
	v_mul_lo_u32 v43, s0, v42
	s_delay_alu instid0(VALU_DEP_2) | instskip(SKIP_1) | instid1(VALU_DEP_2)
	v_mul_hi_u32 v44, s0, v41
	v_mul_lo_u32 v45, s5, v41
	v_add_nc_u32_e32 v43, v44, v43
	v_mul_lo_u32 v44, s0, v41
	s_delay_alu instid0(VALU_DEP_2) | instskip(NEXT) | instid1(VALU_DEP_2)
	v_add_nc_u32_e32 v43, v43, v45
	v_mul_hi_u32 v45, v41, v44
	s_delay_alu instid0(VALU_DEP_2)
	v_mul_lo_u32 v46, v41, v43
	v_mul_hi_u32 v47, v41, v43
	v_mul_hi_u32 v48, v42, v44
	v_mul_lo_u32 v44, v42, v44
	v_mul_hi_u32 v49, v42, v43
	v_mul_lo_u32 v43, v42, v43
	v_add_co_u32 v45, vcc_lo, v45, v46
	v_add_co_ci_u32_e32 v46, vcc_lo, 0, v47, vcc_lo
	s_delay_alu instid0(VALU_DEP_2) | instskip(NEXT) | instid1(VALU_DEP_2)
	v_add_co_u32 v44, vcc_lo, v45, v44
	v_add_co_ci_u32_e32 v44, vcc_lo, v46, v48, vcc_lo
	v_add_co_ci_u32_e32 v45, vcc_lo, 0, v49, vcc_lo
	v_ashrrev_i32_e32 v48, 31, v76
	s_delay_alu instid0(VALU_DEP_3) | instskip(NEXT) | instid1(VALU_DEP_3)
	v_add_co_u32 v43, vcc_lo, v44, v43
	v_add_co_ci_u32_e32 v44, vcc_lo, 0, v45, vcc_lo
	s_delay_alu instid0(VALU_DEP_2) | instskip(NEXT) | instid1(VALU_DEP_2)
	v_add_co_u32 v41, vcc_lo, v41, v43
	v_add_co_ci_u32_e32 v42, vcc_lo, v42, v44, vcc_lo
	s_delay_alu instid0(VALU_DEP_2) | instskip(SKIP_1) | instid1(VALU_DEP_3)
	v_mul_hi_u32 v43, s0, v41
	v_mul_lo_u32 v45, s5, v41
	v_mul_lo_u32 v44, s0, v42
	s_delay_alu instid0(VALU_DEP_1) | instskip(SKIP_1) | instid1(VALU_DEP_2)
	v_add_nc_u32_e32 v43, v43, v44
	v_mul_lo_u32 v44, s0, v41
	v_add_nc_u32_e32 v43, v43, v45
	s_delay_alu instid0(VALU_DEP_2) | instskip(NEXT) | instid1(VALU_DEP_2)
	v_mul_hi_u32 v45, v41, v44
	v_mul_lo_u32 v46, v41, v43
	v_mul_hi_u32 v47, v41, v43
	v_mul_hi_u32 v49, v42, v44
	v_mul_lo_u32 v44, v42, v44
	v_mul_hi_u32 v50, v42, v43
	v_mul_lo_u32 v43, v42, v43
	v_add_co_u32 v45, vcc_lo, v45, v46
	v_add_co_ci_u32_e32 v46, vcc_lo, 0, v47, vcc_lo
	s_delay_alu instid0(VALU_DEP_2) | instskip(NEXT) | instid1(VALU_DEP_2)
	v_add_co_u32 v44, vcc_lo, v45, v44
	v_add_co_ci_u32_e32 v44, vcc_lo, v46, v49, vcc_lo
	v_add_co_ci_u32_e32 v45, vcc_lo, 0, v50, vcc_lo
	v_add_co_u32 v46, vcc_lo, v75, v48
	v_add_co_ci_u32_e32 v47, vcc_lo, v76, v48, vcc_lo
	s_delay_alu instid0(VALU_DEP_4) | instskip(NEXT) | instid1(VALU_DEP_4)
	v_add_co_u32 v43, vcc_lo, v44, v43
	v_add_co_ci_u32_e32 v44, vcc_lo, 0, v45, vcc_lo
	s_delay_alu instid0(VALU_DEP_4) | instskip(NEXT) | instid1(VALU_DEP_3)
	v_xor_b32_e32 v49, v46, v48
	v_add_co_u32 v45, vcc_lo, v41, v43
	s_delay_alu instid0(VALU_DEP_3) | instskip(SKIP_1) | instid1(VALU_DEP_3)
	v_add_co_ci_u32_e32 v50, vcc_lo, v42, v44, vcc_lo
	v_xor_b32_e32 v47, v47, v48
	v_mul_hi_u32 v51, v49, v45
	s_delay_alu instid0(VALU_DEP_3) | instskip(NEXT) | instid1(VALU_DEP_3)
	v_mad_u64_u32 v[41:42], null, v49, v50, 0
	v_mad_u64_u32 v[43:44], null, v47, v45, 0
	;; [unrolled: 1-line block ×3, first 2 shown]
	s_delay_alu instid0(VALU_DEP_3) | instskip(NEXT) | instid1(VALU_DEP_4)
	v_add_co_u32 v41, vcc_lo, v51, v41
	v_add_co_ci_u32_e32 v42, vcc_lo, 0, v42, vcc_lo
	s_delay_alu instid0(VALU_DEP_2) | instskip(NEXT) | instid1(VALU_DEP_2)
	v_add_co_u32 v41, vcc_lo, v41, v43
	v_add_co_ci_u32_e32 v41, vcc_lo, v42, v44, vcc_lo
	v_add_co_ci_u32_e32 v42, vcc_lo, 0, v46, vcc_lo
	s_delay_alu instid0(VALU_DEP_2) | instskip(NEXT) | instid1(VALU_DEP_2)
	v_add_co_u32 v43, vcc_lo, v41, v45
	v_add_co_ci_u32_e32 v44, vcc_lo, 0, v42, vcc_lo
	s_delay_alu instid0(VALU_DEP_2) | instskip(SKIP_1) | instid1(VALU_DEP_3)
	v_mul_lo_u32 v45, s7, v43
	v_mad_u64_u32 v[41:42], null, s6, v43, 0
	v_mul_lo_u32 v46, s6, v44
	s_delay_alu instid0(VALU_DEP_2) | instskip(NEXT) | instid1(VALU_DEP_2)
	v_sub_co_u32 v41, vcc_lo, v49, v41
	v_add3_u32 v42, v42, v46, v45
	s_delay_alu instid0(VALU_DEP_1) | instskip(NEXT) | instid1(VALU_DEP_1)
	v_sub_nc_u32_e32 v45, v47, v42
	v_subrev_co_ci_u32_e64 v45, s0, s7, v45, vcc_lo
	v_add_co_u32 v46, s0, v43, 2
	s_delay_alu instid0(VALU_DEP_1) | instskip(SKIP_3) | instid1(VALU_DEP_3)
	v_add_co_ci_u32_e64 v49, s0, 0, v44, s0
	v_sub_co_u32 v50, s0, v41, s6
	v_sub_co_ci_u32_e32 v42, vcc_lo, v47, v42, vcc_lo
	v_subrev_co_ci_u32_e64 v45, s0, 0, v45, s0
	v_cmp_le_u32_e32 vcc_lo, s6, v50
	s_delay_alu instid0(VALU_DEP_3) | instskip(SKIP_1) | instid1(VALU_DEP_4)
	v_cmp_eq_u32_e64 s0, s7, v42
	v_cndmask_b32_e64 v47, 0, -1, vcc_lo
	v_cmp_le_u32_e32 vcc_lo, s7, v45
	v_cndmask_b32_e64 v50, 0, -1, vcc_lo
	v_cmp_le_u32_e32 vcc_lo, s6, v41
	;; [unrolled: 2-line block ×3, first 2 shown]
	v_cndmask_b32_e64 v51, 0, -1, vcc_lo
	v_cmp_eq_u32_e32 vcc_lo, s7, v45
	s_delay_alu instid0(VALU_DEP_2) | instskip(SKIP_3) | instid1(VALU_DEP_3)
	v_cndmask_b32_e64 v41, v51, v41, s0
	v_cndmask_b32_e32 v45, v50, v47, vcc_lo
	v_add_co_u32 v47, vcc_lo, v43, 1
	v_add_co_ci_u32_e32 v50, vcc_lo, 0, v44, vcc_lo
	v_cmp_ne_u32_e32 vcc_lo, 0, v45
	s_delay_alu instid0(VALU_DEP_2) | instskip(SKIP_2) | instid1(VALU_DEP_3)
	v_dual_cndmask_b32 v42, v50, v49 :: v_dual_cndmask_b32 v45, v47, v46
	v_cmp_ne_u32_e32 vcc_lo, 0, v41
	v_xor_b32_e32 v46, s4, v48
	v_dual_cndmask_b32 v41, v44, v42 :: v_dual_cndmask_b32 v42, v43, v45
	s_delay_alu instid0(VALU_DEP_1) | instskip(NEXT) | instid1(VALU_DEP_2)
	v_xor_b32_e32 v43, v41, v46
	v_xor_b32_e32 v42, v42, v46
	s_delay_alu instid0(VALU_DEP_1) | instskip(NEXT) | instid1(VALU_DEP_3)
	v_sub_co_u32 v41, vcc_lo, v42, v46
	v_sub_co_ci_u32_e32 v42, vcc_lo, v43, v46, vcc_lo
.LBB1149_91:
	s_and_not1_saveexec_b32 s0, s1
	s_cbranch_execz .LBB1149_93
; %bb.92:
	v_cvt_f32_u32_e32 v41, s44
	s_sub_i32 s1, 0, s44
	s_delay_alu instid0(VALU_DEP_1) | instskip(SKIP_2) | instid1(VALU_DEP_1)
	v_rcp_iflag_f32_e32 v41, v41
	s_waitcnt_depctr 0xfff
	v_mul_f32_e32 v41, 0x4f7ffffe, v41
	v_cvt_u32_f32_e32 v41, v41
	s_delay_alu instid0(VALU_DEP_1) | instskip(NEXT) | instid1(VALU_DEP_1)
	v_mul_lo_u32 v42, s1, v41
	v_mul_hi_u32 v42, v41, v42
	s_delay_alu instid0(VALU_DEP_1) | instskip(NEXT) | instid1(VALU_DEP_1)
	v_add_nc_u32_e32 v41, v41, v42
	v_mul_hi_u32 v41, v75, v41
	s_delay_alu instid0(VALU_DEP_1) | instskip(SKIP_1) | instid1(VALU_DEP_2)
	v_mul_lo_u32 v42, v41, s44
	v_add_nc_u32_e32 v43, 1, v41
	v_sub_nc_u32_e32 v42, v75, v42
	s_delay_alu instid0(VALU_DEP_1) | instskip(SKIP_1) | instid1(VALU_DEP_2)
	v_subrev_nc_u32_e32 v44, s44, v42
	v_cmp_le_u32_e32 vcc_lo, s44, v42
	v_dual_cndmask_b32 v42, v42, v44 :: v_dual_cndmask_b32 v41, v41, v43
	s_delay_alu instid0(VALU_DEP_1) | instskip(NEXT) | instid1(VALU_DEP_2)
	v_cmp_le_u32_e32 vcc_lo, s44, v42
	v_dual_mov_b32 v42, 0 :: v_dual_add_nc_u32 v43, 1, v41
	s_delay_alu instid0(VALU_DEP_1)
	v_cndmask_b32_e32 v41, v41, v43, vcc_lo
.LBB1149_93:
	s_or_b32 exec_lo, exec_lo, s0
	v_add_co_u32 v77, vcc_lo, 0x700, v63
	v_add_co_ci_u32_e32 v78, vcc_lo, 0, v64, vcc_lo
	v_mov_b32_e32 v43, 0
	s_delay_alu instid0(VALU_DEP_2) | instskip(NEXT) | instid1(VALU_DEP_1)
	v_or_b32_e32 v44, s45, v78
	v_cmp_ne_u64_e32 vcc_lo, 0, v[43:44]
                                        ; implicit-def: $vgpr43_vgpr44
	s_and_saveexec_b32 s0, vcc_lo
	s_delay_alu instid0(SALU_CYCLE_1)
	s_xor_b32 s1, exec_lo, s0
	s_cbranch_execz .LBB1149_95
; %bb.94:
	s_ashr_i32 s4, s45, 31
	s_delay_alu instid0(SALU_CYCLE_1) | instskip(SKIP_2) | instid1(SALU_CYCLE_1)
	s_add_u32 s6, s44, s4
	s_mov_b32 s5, s4
	s_addc_u32 s7, s45, s4
	s_xor_b64 s[6:7], s[6:7], s[4:5]
	s_delay_alu instid0(SALU_CYCLE_1) | instskip(SKIP_3) | instid1(VALU_DEP_1)
	v_cvt_f32_u32_e32 v43, s6
	v_cvt_f32_u32_e32 v44, s7
	s_sub_u32 s0, 0, s6
	s_subb_u32 s5, 0, s7
	v_fmamk_f32 v43, v44, 0x4f800000, v43
	s_delay_alu instid0(VALU_DEP_1) | instskip(SKIP_2) | instid1(VALU_DEP_1)
	v_rcp_f32_e32 v43, v43
	s_waitcnt_depctr 0xfff
	v_mul_f32_e32 v43, 0x5f7ffffc, v43
	v_mul_f32_e32 v44, 0x2f800000, v43
	s_delay_alu instid0(VALU_DEP_1) | instskip(NEXT) | instid1(VALU_DEP_1)
	v_trunc_f32_e32 v44, v44
	v_fmamk_f32 v43, v44, 0xcf800000, v43
	v_cvt_u32_f32_e32 v44, v44
	s_delay_alu instid0(VALU_DEP_2) | instskip(NEXT) | instid1(VALU_DEP_2)
	v_cvt_u32_f32_e32 v43, v43
	v_mul_lo_u32 v45, s0, v44
	s_delay_alu instid0(VALU_DEP_2) | instskip(SKIP_1) | instid1(VALU_DEP_2)
	v_mul_hi_u32 v46, s0, v43
	v_mul_lo_u32 v47, s5, v43
	v_add_nc_u32_e32 v45, v46, v45
	v_mul_lo_u32 v46, s0, v43
	s_delay_alu instid0(VALU_DEP_2) | instskip(NEXT) | instid1(VALU_DEP_2)
	v_add_nc_u32_e32 v45, v45, v47
	v_mul_hi_u32 v47, v43, v46
	s_delay_alu instid0(VALU_DEP_2)
	v_mul_lo_u32 v48, v43, v45
	v_mul_hi_u32 v49, v43, v45
	v_mul_hi_u32 v50, v44, v46
	v_mul_lo_u32 v46, v44, v46
	v_mul_hi_u32 v51, v44, v45
	v_mul_lo_u32 v45, v44, v45
	v_add_co_u32 v47, vcc_lo, v47, v48
	v_add_co_ci_u32_e32 v48, vcc_lo, 0, v49, vcc_lo
	s_delay_alu instid0(VALU_DEP_2) | instskip(NEXT) | instid1(VALU_DEP_2)
	v_add_co_u32 v46, vcc_lo, v47, v46
	v_add_co_ci_u32_e32 v46, vcc_lo, v48, v50, vcc_lo
	v_add_co_ci_u32_e32 v47, vcc_lo, 0, v51, vcc_lo
	v_ashrrev_i32_e32 v50, 31, v78
	s_delay_alu instid0(VALU_DEP_3) | instskip(NEXT) | instid1(VALU_DEP_3)
	v_add_co_u32 v45, vcc_lo, v46, v45
	v_add_co_ci_u32_e32 v46, vcc_lo, 0, v47, vcc_lo
	s_delay_alu instid0(VALU_DEP_2) | instskip(NEXT) | instid1(VALU_DEP_2)
	v_add_co_u32 v43, vcc_lo, v43, v45
	v_add_co_ci_u32_e32 v44, vcc_lo, v44, v46, vcc_lo
	s_delay_alu instid0(VALU_DEP_2) | instskip(SKIP_1) | instid1(VALU_DEP_3)
	v_mul_hi_u32 v45, s0, v43
	v_mul_lo_u32 v47, s5, v43
	v_mul_lo_u32 v46, s0, v44
	s_delay_alu instid0(VALU_DEP_1) | instskip(SKIP_1) | instid1(VALU_DEP_2)
	v_add_nc_u32_e32 v45, v45, v46
	v_mul_lo_u32 v46, s0, v43
	v_add_nc_u32_e32 v45, v45, v47
	s_delay_alu instid0(VALU_DEP_2) | instskip(NEXT) | instid1(VALU_DEP_2)
	v_mul_hi_u32 v47, v43, v46
	v_mul_lo_u32 v48, v43, v45
	v_mul_hi_u32 v49, v43, v45
	v_mul_hi_u32 v51, v44, v46
	v_mul_lo_u32 v46, v44, v46
	v_mul_hi_u32 v52, v44, v45
	v_mul_lo_u32 v45, v44, v45
	v_add_co_u32 v47, vcc_lo, v47, v48
	v_add_co_ci_u32_e32 v48, vcc_lo, 0, v49, vcc_lo
	s_delay_alu instid0(VALU_DEP_2) | instskip(NEXT) | instid1(VALU_DEP_2)
	v_add_co_u32 v46, vcc_lo, v47, v46
	v_add_co_ci_u32_e32 v46, vcc_lo, v48, v51, vcc_lo
	v_add_co_ci_u32_e32 v47, vcc_lo, 0, v52, vcc_lo
	v_add_co_u32 v48, vcc_lo, v77, v50
	v_add_co_ci_u32_e32 v49, vcc_lo, v78, v50, vcc_lo
	s_delay_alu instid0(VALU_DEP_4) | instskip(NEXT) | instid1(VALU_DEP_4)
	v_add_co_u32 v45, vcc_lo, v46, v45
	v_add_co_ci_u32_e32 v46, vcc_lo, 0, v47, vcc_lo
	s_delay_alu instid0(VALU_DEP_4) | instskip(NEXT) | instid1(VALU_DEP_3)
	v_xor_b32_e32 v51, v48, v50
	v_add_co_u32 v47, vcc_lo, v43, v45
	s_delay_alu instid0(VALU_DEP_3) | instskip(SKIP_1) | instid1(VALU_DEP_3)
	v_add_co_ci_u32_e32 v52, vcc_lo, v44, v46, vcc_lo
	v_xor_b32_e32 v49, v49, v50
	v_mul_hi_u32 v53, v51, v47
	s_delay_alu instid0(VALU_DEP_3) | instskip(NEXT) | instid1(VALU_DEP_3)
	v_mad_u64_u32 v[43:44], null, v51, v52, 0
	v_mad_u64_u32 v[45:46], null, v49, v47, 0
	v_mad_u64_u32 v[47:48], null, v49, v52, 0
	s_delay_alu instid0(VALU_DEP_3) | instskip(NEXT) | instid1(VALU_DEP_4)
	v_add_co_u32 v43, vcc_lo, v53, v43
	v_add_co_ci_u32_e32 v44, vcc_lo, 0, v44, vcc_lo
	s_delay_alu instid0(VALU_DEP_2) | instskip(NEXT) | instid1(VALU_DEP_2)
	v_add_co_u32 v43, vcc_lo, v43, v45
	v_add_co_ci_u32_e32 v43, vcc_lo, v44, v46, vcc_lo
	v_add_co_ci_u32_e32 v44, vcc_lo, 0, v48, vcc_lo
	s_delay_alu instid0(VALU_DEP_2) | instskip(NEXT) | instid1(VALU_DEP_2)
	v_add_co_u32 v45, vcc_lo, v43, v47
	v_add_co_ci_u32_e32 v46, vcc_lo, 0, v44, vcc_lo
	s_delay_alu instid0(VALU_DEP_2) | instskip(SKIP_1) | instid1(VALU_DEP_3)
	v_mul_lo_u32 v47, s7, v45
	v_mad_u64_u32 v[43:44], null, s6, v45, 0
	v_mul_lo_u32 v48, s6, v46
	s_delay_alu instid0(VALU_DEP_2) | instskip(NEXT) | instid1(VALU_DEP_2)
	v_sub_co_u32 v43, vcc_lo, v51, v43
	v_add3_u32 v44, v44, v48, v47
	s_delay_alu instid0(VALU_DEP_1) | instskip(NEXT) | instid1(VALU_DEP_1)
	v_sub_nc_u32_e32 v47, v49, v44
	v_subrev_co_ci_u32_e64 v47, s0, s7, v47, vcc_lo
	v_add_co_u32 v48, s0, v45, 2
	s_delay_alu instid0(VALU_DEP_1) | instskip(SKIP_3) | instid1(VALU_DEP_3)
	v_add_co_ci_u32_e64 v51, s0, 0, v46, s0
	v_sub_co_u32 v52, s0, v43, s6
	v_sub_co_ci_u32_e32 v44, vcc_lo, v49, v44, vcc_lo
	v_subrev_co_ci_u32_e64 v47, s0, 0, v47, s0
	v_cmp_le_u32_e32 vcc_lo, s6, v52
	s_delay_alu instid0(VALU_DEP_3) | instskip(SKIP_1) | instid1(VALU_DEP_4)
	v_cmp_eq_u32_e64 s0, s7, v44
	v_cndmask_b32_e64 v49, 0, -1, vcc_lo
	v_cmp_le_u32_e32 vcc_lo, s7, v47
	v_cndmask_b32_e64 v52, 0, -1, vcc_lo
	v_cmp_le_u32_e32 vcc_lo, s6, v43
	;; [unrolled: 2-line block ×3, first 2 shown]
	v_cndmask_b32_e64 v53, 0, -1, vcc_lo
	v_cmp_eq_u32_e32 vcc_lo, s7, v47
	s_delay_alu instid0(VALU_DEP_2) | instskip(SKIP_3) | instid1(VALU_DEP_3)
	v_cndmask_b32_e64 v43, v53, v43, s0
	v_cndmask_b32_e32 v47, v52, v49, vcc_lo
	v_add_co_u32 v49, vcc_lo, v45, 1
	v_add_co_ci_u32_e32 v52, vcc_lo, 0, v46, vcc_lo
	v_cmp_ne_u32_e32 vcc_lo, 0, v47
	s_delay_alu instid0(VALU_DEP_2) | instskip(SKIP_2) | instid1(VALU_DEP_3)
	v_dual_cndmask_b32 v44, v52, v51 :: v_dual_cndmask_b32 v47, v49, v48
	v_cmp_ne_u32_e32 vcc_lo, 0, v43
	v_xor_b32_e32 v48, s4, v50
	v_dual_cndmask_b32 v43, v46, v44 :: v_dual_cndmask_b32 v44, v45, v47
	s_delay_alu instid0(VALU_DEP_1) | instskip(NEXT) | instid1(VALU_DEP_2)
	v_xor_b32_e32 v45, v43, v48
	v_xor_b32_e32 v44, v44, v48
	s_delay_alu instid0(VALU_DEP_1) | instskip(NEXT) | instid1(VALU_DEP_3)
	v_sub_co_u32 v43, vcc_lo, v44, v48
	v_sub_co_ci_u32_e32 v44, vcc_lo, v45, v48, vcc_lo
.LBB1149_95:
	s_and_not1_saveexec_b32 s0, s1
	s_cbranch_execz .LBB1149_97
; %bb.96:
	v_cvt_f32_u32_e32 v43, s44
	s_sub_i32 s1, 0, s44
	s_delay_alu instid0(VALU_DEP_1) | instskip(SKIP_2) | instid1(VALU_DEP_1)
	v_rcp_iflag_f32_e32 v43, v43
	s_waitcnt_depctr 0xfff
	v_mul_f32_e32 v43, 0x4f7ffffe, v43
	v_cvt_u32_f32_e32 v43, v43
	s_delay_alu instid0(VALU_DEP_1) | instskip(NEXT) | instid1(VALU_DEP_1)
	v_mul_lo_u32 v44, s1, v43
	v_mul_hi_u32 v44, v43, v44
	s_delay_alu instid0(VALU_DEP_1) | instskip(NEXT) | instid1(VALU_DEP_1)
	v_add_nc_u32_e32 v43, v43, v44
	v_mul_hi_u32 v43, v77, v43
	s_delay_alu instid0(VALU_DEP_1) | instskip(SKIP_1) | instid1(VALU_DEP_2)
	v_mul_lo_u32 v44, v43, s44
	v_add_nc_u32_e32 v45, 1, v43
	v_sub_nc_u32_e32 v44, v77, v44
	s_delay_alu instid0(VALU_DEP_1) | instskip(SKIP_1) | instid1(VALU_DEP_2)
	v_subrev_nc_u32_e32 v46, s44, v44
	v_cmp_le_u32_e32 vcc_lo, s44, v44
	v_dual_cndmask_b32 v44, v44, v46 :: v_dual_cndmask_b32 v43, v43, v45
	s_delay_alu instid0(VALU_DEP_1) | instskip(NEXT) | instid1(VALU_DEP_2)
	v_cmp_le_u32_e32 vcc_lo, s44, v44
	v_dual_mov_b32 v44, 0 :: v_dual_add_nc_u32 v45, 1, v43
	s_delay_alu instid0(VALU_DEP_1)
	v_cndmask_b32_e32 v43, v43, v45, vcc_lo
.LBB1149_97:
	s_or_b32 exec_lo, exec_lo, s0
	v_add_co_u32 v79, vcc_lo, 0x800, v63
	v_add_co_ci_u32_e32 v80, vcc_lo, 0, v64, vcc_lo
	v_mov_b32_e32 v45, 0
	s_delay_alu instid0(VALU_DEP_2) | instskip(NEXT) | instid1(VALU_DEP_1)
	v_or_b32_e32 v46, s45, v80
	v_cmp_ne_u64_e32 vcc_lo, 0, v[45:46]
                                        ; implicit-def: $vgpr45_vgpr46
	s_and_saveexec_b32 s0, vcc_lo
	s_delay_alu instid0(SALU_CYCLE_1)
	s_xor_b32 s1, exec_lo, s0
	s_cbranch_execz .LBB1149_99
; %bb.98:
	s_ashr_i32 s4, s45, 31
	s_delay_alu instid0(SALU_CYCLE_1) | instskip(SKIP_2) | instid1(SALU_CYCLE_1)
	s_add_u32 s6, s44, s4
	s_mov_b32 s5, s4
	s_addc_u32 s7, s45, s4
	s_xor_b64 s[6:7], s[6:7], s[4:5]
	s_delay_alu instid0(SALU_CYCLE_1) | instskip(SKIP_3) | instid1(VALU_DEP_1)
	v_cvt_f32_u32_e32 v45, s6
	v_cvt_f32_u32_e32 v46, s7
	s_sub_u32 s0, 0, s6
	s_subb_u32 s5, 0, s7
	v_fmamk_f32 v45, v46, 0x4f800000, v45
	s_delay_alu instid0(VALU_DEP_1) | instskip(SKIP_2) | instid1(VALU_DEP_1)
	v_rcp_f32_e32 v45, v45
	s_waitcnt_depctr 0xfff
	v_mul_f32_e32 v45, 0x5f7ffffc, v45
	v_mul_f32_e32 v46, 0x2f800000, v45
	s_delay_alu instid0(VALU_DEP_1) | instskip(NEXT) | instid1(VALU_DEP_1)
	v_trunc_f32_e32 v46, v46
	v_fmamk_f32 v45, v46, 0xcf800000, v45
	v_cvt_u32_f32_e32 v46, v46
	s_delay_alu instid0(VALU_DEP_2) | instskip(NEXT) | instid1(VALU_DEP_2)
	v_cvt_u32_f32_e32 v45, v45
	v_mul_lo_u32 v47, s0, v46
	s_delay_alu instid0(VALU_DEP_2) | instskip(SKIP_1) | instid1(VALU_DEP_2)
	v_mul_hi_u32 v48, s0, v45
	v_mul_lo_u32 v49, s5, v45
	v_add_nc_u32_e32 v47, v48, v47
	v_mul_lo_u32 v48, s0, v45
	s_delay_alu instid0(VALU_DEP_2) | instskip(NEXT) | instid1(VALU_DEP_2)
	v_add_nc_u32_e32 v47, v47, v49
	v_mul_hi_u32 v49, v45, v48
	s_delay_alu instid0(VALU_DEP_2)
	v_mul_lo_u32 v50, v45, v47
	v_mul_hi_u32 v51, v45, v47
	v_mul_hi_u32 v52, v46, v48
	v_mul_lo_u32 v48, v46, v48
	v_mul_hi_u32 v53, v46, v47
	v_mul_lo_u32 v47, v46, v47
	v_add_co_u32 v49, vcc_lo, v49, v50
	v_add_co_ci_u32_e32 v50, vcc_lo, 0, v51, vcc_lo
	s_delay_alu instid0(VALU_DEP_2) | instskip(NEXT) | instid1(VALU_DEP_2)
	v_add_co_u32 v48, vcc_lo, v49, v48
	v_add_co_ci_u32_e32 v48, vcc_lo, v50, v52, vcc_lo
	v_add_co_ci_u32_e32 v49, vcc_lo, 0, v53, vcc_lo
	v_ashrrev_i32_e32 v52, 31, v80
	s_delay_alu instid0(VALU_DEP_3) | instskip(NEXT) | instid1(VALU_DEP_3)
	v_add_co_u32 v47, vcc_lo, v48, v47
	v_add_co_ci_u32_e32 v48, vcc_lo, 0, v49, vcc_lo
	s_delay_alu instid0(VALU_DEP_2) | instskip(NEXT) | instid1(VALU_DEP_2)
	v_add_co_u32 v45, vcc_lo, v45, v47
	v_add_co_ci_u32_e32 v46, vcc_lo, v46, v48, vcc_lo
	s_delay_alu instid0(VALU_DEP_2) | instskip(SKIP_1) | instid1(VALU_DEP_3)
	v_mul_hi_u32 v47, s0, v45
	v_mul_lo_u32 v49, s5, v45
	v_mul_lo_u32 v48, s0, v46
	s_delay_alu instid0(VALU_DEP_1) | instskip(SKIP_1) | instid1(VALU_DEP_2)
	v_add_nc_u32_e32 v47, v47, v48
	v_mul_lo_u32 v48, s0, v45
	v_add_nc_u32_e32 v47, v47, v49
	s_delay_alu instid0(VALU_DEP_2) | instskip(NEXT) | instid1(VALU_DEP_2)
	v_mul_hi_u32 v49, v45, v48
	v_mul_lo_u32 v50, v45, v47
	v_mul_hi_u32 v51, v45, v47
	v_mul_hi_u32 v53, v46, v48
	v_mul_lo_u32 v48, v46, v48
	v_mul_hi_u32 v54, v46, v47
	v_mul_lo_u32 v47, v46, v47
	v_add_co_u32 v49, vcc_lo, v49, v50
	v_add_co_ci_u32_e32 v50, vcc_lo, 0, v51, vcc_lo
	s_delay_alu instid0(VALU_DEP_2) | instskip(NEXT) | instid1(VALU_DEP_2)
	v_add_co_u32 v48, vcc_lo, v49, v48
	v_add_co_ci_u32_e32 v48, vcc_lo, v50, v53, vcc_lo
	v_add_co_ci_u32_e32 v49, vcc_lo, 0, v54, vcc_lo
	v_add_co_u32 v50, vcc_lo, v79, v52
	v_add_co_ci_u32_e32 v51, vcc_lo, v80, v52, vcc_lo
	s_delay_alu instid0(VALU_DEP_4) | instskip(NEXT) | instid1(VALU_DEP_4)
	v_add_co_u32 v47, vcc_lo, v48, v47
	v_add_co_ci_u32_e32 v48, vcc_lo, 0, v49, vcc_lo
	s_delay_alu instid0(VALU_DEP_4) | instskip(NEXT) | instid1(VALU_DEP_3)
	v_xor_b32_e32 v53, v50, v52
	v_add_co_u32 v49, vcc_lo, v45, v47
	s_delay_alu instid0(VALU_DEP_3) | instskip(SKIP_1) | instid1(VALU_DEP_3)
	v_add_co_ci_u32_e32 v54, vcc_lo, v46, v48, vcc_lo
	v_xor_b32_e32 v51, v51, v52
	v_mul_hi_u32 v55, v53, v49
	s_delay_alu instid0(VALU_DEP_3) | instskip(NEXT) | instid1(VALU_DEP_3)
	v_mad_u64_u32 v[45:46], null, v53, v54, 0
	v_mad_u64_u32 v[47:48], null, v51, v49, 0
	;; [unrolled: 1-line block ×3, first 2 shown]
	s_delay_alu instid0(VALU_DEP_3) | instskip(NEXT) | instid1(VALU_DEP_4)
	v_add_co_u32 v45, vcc_lo, v55, v45
	v_add_co_ci_u32_e32 v46, vcc_lo, 0, v46, vcc_lo
	s_delay_alu instid0(VALU_DEP_2) | instskip(NEXT) | instid1(VALU_DEP_2)
	v_add_co_u32 v45, vcc_lo, v45, v47
	v_add_co_ci_u32_e32 v45, vcc_lo, v46, v48, vcc_lo
	v_add_co_ci_u32_e32 v46, vcc_lo, 0, v50, vcc_lo
	s_delay_alu instid0(VALU_DEP_2) | instskip(NEXT) | instid1(VALU_DEP_2)
	v_add_co_u32 v47, vcc_lo, v45, v49
	v_add_co_ci_u32_e32 v48, vcc_lo, 0, v46, vcc_lo
	s_delay_alu instid0(VALU_DEP_2) | instskip(SKIP_1) | instid1(VALU_DEP_3)
	v_mul_lo_u32 v49, s7, v47
	v_mad_u64_u32 v[45:46], null, s6, v47, 0
	v_mul_lo_u32 v50, s6, v48
	s_delay_alu instid0(VALU_DEP_2) | instskip(NEXT) | instid1(VALU_DEP_2)
	v_sub_co_u32 v45, vcc_lo, v53, v45
	v_add3_u32 v46, v46, v50, v49
	s_delay_alu instid0(VALU_DEP_1) | instskip(NEXT) | instid1(VALU_DEP_1)
	v_sub_nc_u32_e32 v49, v51, v46
	v_subrev_co_ci_u32_e64 v49, s0, s7, v49, vcc_lo
	v_add_co_u32 v50, s0, v47, 2
	s_delay_alu instid0(VALU_DEP_1) | instskip(SKIP_3) | instid1(VALU_DEP_3)
	v_add_co_ci_u32_e64 v53, s0, 0, v48, s0
	v_sub_co_u32 v54, s0, v45, s6
	v_sub_co_ci_u32_e32 v46, vcc_lo, v51, v46, vcc_lo
	v_subrev_co_ci_u32_e64 v49, s0, 0, v49, s0
	v_cmp_le_u32_e32 vcc_lo, s6, v54
	s_delay_alu instid0(VALU_DEP_3) | instskip(SKIP_1) | instid1(VALU_DEP_4)
	v_cmp_eq_u32_e64 s0, s7, v46
	v_cndmask_b32_e64 v51, 0, -1, vcc_lo
	v_cmp_le_u32_e32 vcc_lo, s7, v49
	v_cndmask_b32_e64 v54, 0, -1, vcc_lo
	v_cmp_le_u32_e32 vcc_lo, s6, v45
	;; [unrolled: 2-line block ×3, first 2 shown]
	v_cndmask_b32_e64 v55, 0, -1, vcc_lo
	v_cmp_eq_u32_e32 vcc_lo, s7, v49
	s_delay_alu instid0(VALU_DEP_2) | instskip(SKIP_3) | instid1(VALU_DEP_3)
	v_cndmask_b32_e64 v45, v55, v45, s0
	v_cndmask_b32_e32 v49, v54, v51, vcc_lo
	v_add_co_u32 v51, vcc_lo, v47, 1
	v_add_co_ci_u32_e32 v54, vcc_lo, 0, v48, vcc_lo
	v_cmp_ne_u32_e32 vcc_lo, 0, v49
	s_delay_alu instid0(VALU_DEP_2) | instskip(SKIP_2) | instid1(VALU_DEP_3)
	v_dual_cndmask_b32 v46, v54, v53 :: v_dual_cndmask_b32 v49, v51, v50
	v_cmp_ne_u32_e32 vcc_lo, 0, v45
	v_xor_b32_e32 v50, s4, v52
	v_dual_cndmask_b32 v45, v48, v46 :: v_dual_cndmask_b32 v46, v47, v49
	s_delay_alu instid0(VALU_DEP_1) | instskip(NEXT) | instid1(VALU_DEP_2)
	v_xor_b32_e32 v47, v45, v50
	v_xor_b32_e32 v46, v46, v50
	s_delay_alu instid0(VALU_DEP_1) | instskip(NEXT) | instid1(VALU_DEP_3)
	v_sub_co_u32 v45, vcc_lo, v46, v50
	v_sub_co_ci_u32_e32 v46, vcc_lo, v47, v50, vcc_lo
.LBB1149_99:
	s_and_not1_saveexec_b32 s0, s1
	s_cbranch_execz .LBB1149_101
; %bb.100:
	v_cvt_f32_u32_e32 v45, s44
	s_sub_i32 s1, 0, s44
	s_delay_alu instid0(VALU_DEP_1) | instskip(SKIP_2) | instid1(VALU_DEP_1)
	v_rcp_iflag_f32_e32 v45, v45
	s_waitcnt_depctr 0xfff
	v_mul_f32_e32 v45, 0x4f7ffffe, v45
	v_cvt_u32_f32_e32 v45, v45
	s_delay_alu instid0(VALU_DEP_1) | instskip(NEXT) | instid1(VALU_DEP_1)
	v_mul_lo_u32 v46, s1, v45
	v_mul_hi_u32 v46, v45, v46
	s_delay_alu instid0(VALU_DEP_1) | instskip(NEXT) | instid1(VALU_DEP_1)
	v_add_nc_u32_e32 v45, v45, v46
	v_mul_hi_u32 v45, v79, v45
	s_delay_alu instid0(VALU_DEP_1) | instskip(SKIP_1) | instid1(VALU_DEP_2)
	v_mul_lo_u32 v46, v45, s44
	v_add_nc_u32_e32 v47, 1, v45
	v_sub_nc_u32_e32 v46, v79, v46
	s_delay_alu instid0(VALU_DEP_1) | instskip(SKIP_1) | instid1(VALU_DEP_2)
	v_subrev_nc_u32_e32 v48, s44, v46
	v_cmp_le_u32_e32 vcc_lo, s44, v46
	v_dual_cndmask_b32 v46, v46, v48 :: v_dual_cndmask_b32 v45, v45, v47
	s_delay_alu instid0(VALU_DEP_1) | instskip(NEXT) | instid1(VALU_DEP_2)
	v_cmp_le_u32_e32 vcc_lo, s44, v46
	v_dual_mov_b32 v46, 0 :: v_dual_add_nc_u32 v47, 1, v45
	s_delay_alu instid0(VALU_DEP_1)
	v_cndmask_b32_e32 v45, v45, v47, vcc_lo
.LBB1149_101:
	s_or_b32 exec_lo, exec_lo, s0
	v_add_co_u32 v81, vcc_lo, 0x900, v63
	v_add_co_ci_u32_e32 v82, vcc_lo, 0, v64, vcc_lo
	v_mov_b32_e32 v47, 0
	s_delay_alu instid0(VALU_DEP_2) | instskip(NEXT) | instid1(VALU_DEP_1)
	v_or_b32_e32 v48, s45, v82
	v_cmp_ne_u64_e32 vcc_lo, 0, v[47:48]
                                        ; implicit-def: $vgpr47_vgpr48
	s_and_saveexec_b32 s0, vcc_lo
	s_delay_alu instid0(SALU_CYCLE_1)
	s_xor_b32 s1, exec_lo, s0
	s_cbranch_execz .LBB1149_103
; %bb.102:
	s_ashr_i32 s4, s45, 31
	s_delay_alu instid0(SALU_CYCLE_1) | instskip(SKIP_2) | instid1(SALU_CYCLE_1)
	s_add_u32 s6, s44, s4
	s_mov_b32 s5, s4
	s_addc_u32 s7, s45, s4
	s_xor_b64 s[6:7], s[6:7], s[4:5]
	s_delay_alu instid0(SALU_CYCLE_1) | instskip(SKIP_3) | instid1(VALU_DEP_1)
	v_cvt_f32_u32_e32 v47, s6
	v_cvt_f32_u32_e32 v48, s7
	s_sub_u32 s0, 0, s6
	s_subb_u32 s5, 0, s7
	v_fmamk_f32 v47, v48, 0x4f800000, v47
	s_delay_alu instid0(VALU_DEP_1) | instskip(SKIP_2) | instid1(VALU_DEP_1)
	v_rcp_f32_e32 v47, v47
	s_waitcnt_depctr 0xfff
	v_mul_f32_e32 v47, 0x5f7ffffc, v47
	v_mul_f32_e32 v48, 0x2f800000, v47
	s_delay_alu instid0(VALU_DEP_1) | instskip(NEXT) | instid1(VALU_DEP_1)
	v_trunc_f32_e32 v48, v48
	v_fmamk_f32 v47, v48, 0xcf800000, v47
	v_cvt_u32_f32_e32 v48, v48
	s_delay_alu instid0(VALU_DEP_2) | instskip(NEXT) | instid1(VALU_DEP_2)
	v_cvt_u32_f32_e32 v47, v47
	v_mul_lo_u32 v49, s0, v48
	s_delay_alu instid0(VALU_DEP_2) | instskip(SKIP_1) | instid1(VALU_DEP_2)
	v_mul_hi_u32 v50, s0, v47
	v_mul_lo_u32 v51, s5, v47
	v_add_nc_u32_e32 v49, v50, v49
	v_mul_lo_u32 v50, s0, v47
	s_delay_alu instid0(VALU_DEP_2) | instskip(NEXT) | instid1(VALU_DEP_2)
	v_add_nc_u32_e32 v49, v49, v51
	v_mul_hi_u32 v51, v47, v50
	s_delay_alu instid0(VALU_DEP_2)
	v_mul_lo_u32 v52, v47, v49
	v_mul_hi_u32 v53, v47, v49
	v_mul_hi_u32 v54, v48, v50
	v_mul_lo_u32 v50, v48, v50
	v_mul_hi_u32 v55, v48, v49
	v_mul_lo_u32 v49, v48, v49
	v_add_co_u32 v51, vcc_lo, v51, v52
	v_add_co_ci_u32_e32 v52, vcc_lo, 0, v53, vcc_lo
	s_delay_alu instid0(VALU_DEP_2) | instskip(NEXT) | instid1(VALU_DEP_2)
	v_add_co_u32 v50, vcc_lo, v51, v50
	v_add_co_ci_u32_e32 v50, vcc_lo, v52, v54, vcc_lo
	v_add_co_ci_u32_e32 v51, vcc_lo, 0, v55, vcc_lo
	v_ashrrev_i32_e32 v54, 31, v82
	s_delay_alu instid0(VALU_DEP_3) | instskip(NEXT) | instid1(VALU_DEP_3)
	v_add_co_u32 v49, vcc_lo, v50, v49
	v_add_co_ci_u32_e32 v50, vcc_lo, 0, v51, vcc_lo
	s_delay_alu instid0(VALU_DEP_2) | instskip(NEXT) | instid1(VALU_DEP_2)
	v_add_co_u32 v47, vcc_lo, v47, v49
	v_add_co_ci_u32_e32 v48, vcc_lo, v48, v50, vcc_lo
	s_delay_alu instid0(VALU_DEP_2) | instskip(SKIP_1) | instid1(VALU_DEP_3)
	v_mul_hi_u32 v49, s0, v47
	v_mul_lo_u32 v51, s5, v47
	v_mul_lo_u32 v50, s0, v48
	s_delay_alu instid0(VALU_DEP_1) | instskip(SKIP_1) | instid1(VALU_DEP_2)
	v_add_nc_u32_e32 v49, v49, v50
	v_mul_lo_u32 v50, s0, v47
	v_add_nc_u32_e32 v49, v49, v51
	s_delay_alu instid0(VALU_DEP_2) | instskip(NEXT) | instid1(VALU_DEP_2)
	v_mul_hi_u32 v51, v47, v50
	v_mul_lo_u32 v52, v47, v49
	v_mul_hi_u32 v53, v47, v49
	v_mul_hi_u32 v55, v48, v50
	v_mul_lo_u32 v50, v48, v50
	v_mul_hi_u32 v56, v48, v49
	v_mul_lo_u32 v49, v48, v49
	v_add_co_u32 v51, vcc_lo, v51, v52
	v_add_co_ci_u32_e32 v52, vcc_lo, 0, v53, vcc_lo
	s_delay_alu instid0(VALU_DEP_2) | instskip(NEXT) | instid1(VALU_DEP_2)
	v_add_co_u32 v50, vcc_lo, v51, v50
	v_add_co_ci_u32_e32 v50, vcc_lo, v52, v55, vcc_lo
	v_add_co_ci_u32_e32 v51, vcc_lo, 0, v56, vcc_lo
	v_add_co_u32 v52, vcc_lo, v81, v54
	v_add_co_ci_u32_e32 v53, vcc_lo, v82, v54, vcc_lo
	s_delay_alu instid0(VALU_DEP_4) | instskip(NEXT) | instid1(VALU_DEP_4)
	v_add_co_u32 v49, vcc_lo, v50, v49
	v_add_co_ci_u32_e32 v50, vcc_lo, 0, v51, vcc_lo
	s_delay_alu instid0(VALU_DEP_4) | instskip(NEXT) | instid1(VALU_DEP_3)
	v_xor_b32_e32 v55, v52, v54
	v_add_co_u32 v51, vcc_lo, v47, v49
	s_delay_alu instid0(VALU_DEP_3) | instskip(SKIP_1) | instid1(VALU_DEP_3)
	v_add_co_ci_u32_e32 v56, vcc_lo, v48, v50, vcc_lo
	v_xor_b32_e32 v53, v53, v54
	v_mul_hi_u32 v59, v55, v51
	s_delay_alu instid0(VALU_DEP_3) | instskip(NEXT) | instid1(VALU_DEP_3)
	v_mad_u64_u32 v[47:48], null, v55, v56, 0
	v_mad_u64_u32 v[49:50], null, v53, v51, 0
	;; [unrolled: 1-line block ×3, first 2 shown]
	s_delay_alu instid0(VALU_DEP_3) | instskip(NEXT) | instid1(VALU_DEP_4)
	v_add_co_u32 v47, vcc_lo, v59, v47
	v_add_co_ci_u32_e32 v48, vcc_lo, 0, v48, vcc_lo
	s_delay_alu instid0(VALU_DEP_2) | instskip(NEXT) | instid1(VALU_DEP_2)
	v_add_co_u32 v47, vcc_lo, v47, v49
	v_add_co_ci_u32_e32 v47, vcc_lo, v48, v50, vcc_lo
	v_add_co_ci_u32_e32 v48, vcc_lo, 0, v52, vcc_lo
	s_delay_alu instid0(VALU_DEP_2) | instskip(NEXT) | instid1(VALU_DEP_2)
	v_add_co_u32 v49, vcc_lo, v47, v51
	v_add_co_ci_u32_e32 v50, vcc_lo, 0, v48, vcc_lo
	s_delay_alu instid0(VALU_DEP_2) | instskip(SKIP_1) | instid1(VALU_DEP_3)
	v_mul_lo_u32 v51, s7, v49
	v_mad_u64_u32 v[47:48], null, s6, v49, 0
	v_mul_lo_u32 v52, s6, v50
	s_delay_alu instid0(VALU_DEP_2) | instskip(NEXT) | instid1(VALU_DEP_2)
	v_sub_co_u32 v47, vcc_lo, v55, v47
	v_add3_u32 v48, v48, v52, v51
	s_delay_alu instid0(VALU_DEP_1) | instskip(NEXT) | instid1(VALU_DEP_1)
	v_sub_nc_u32_e32 v51, v53, v48
	v_subrev_co_ci_u32_e64 v51, s0, s7, v51, vcc_lo
	v_add_co_u32 v52, s0, v49, 2
	s_delay_alu instid0(VALU_DEP_1) | instskip(SKIP_3) | instid1(VALU_DEP_3)
	v_add_co_ci_u32_e64 v55, s0, 0, v50, s0
	v_sub_co_u32 v56, s0, v47, s6
	v_sub_co_ci_u32_e32 v48, vcc_lo, v53, v48, vcc_lo
	v_subrev_co_ci_u32_e64 v51, s0, 0, v51, s0
	v_cmp_le_u32_e32 vcc_lo, s6, v56
	s_delay_alu instid0(VALU_DEP_3) | instskip(SKIP_1) | instid1(VALU_DEP_4)
	v_cmp_eq_u32_e64 s0, s7, v48
	v_cndmask_b32_e64 v53, 0, -1, vcc_lo
	v_cmp_le_u32_e32 vcc_lo, s7, v51
	v_cndmask_b32_e64 v56, 0, -1, vcc_lo
	v_cmp_le_u32_e32 vcc_lo, s6, v47
	;; [unrolled: 2-line block ×3, first 2 shown]
	v_cndmask_b32_e64 v59, 0, -1, vcc_lo
	v_cmp_eq_u32_e32 vcc_lo, s7, v51
	s_delay_alu instid0(VALU_DEP_2) | instskip(SKIP_3) | instid1(VALU_DEP_3)
	v_cndmask_b32_e64 v47, v59, v47, s0
	v_cndmask_b32_e32 v51, v56, v53, vcc_lo
	v_add_co_u32 v53, vcc_lo, v49, 1
	v_add_co_ci_u32_e32 v56, vcc_lo, 0, v50, vcc_lo
	v_cmp_ne_u32_e32 vcc_lo, 0, v51
	s_delay_alu instid0(VALU_DEP_2) | instskip(SKIP_2) | instid1(VALU_DEP_3)
	v_dual_cndmask_b32 v48, v56, v55 :: v_dual_cndmask_b32 v51, v53, v52
	v_cmp_ne_u32_e32 vcc_lo, 0, v47
	v_xor_b32_e32 v52, s4, v54
	v_dual_cndmask_b32 v47, v50, v48 :: v_dual_cndmask_b32 v48, v49, v51
	s_delay_alu instid0(VALU_DEP_1) | instskip(NEXT) | instid1(VALU_DEP_2)
	v_xor_b32_e32 v49, v47, v52
	v_xor_b32_e32 v48, v48, v52
	s_delay_alu instid0(VALU_DEP_1) | instskip(NEXT) | instid1(VALU_DEP_3)
	v_sub_co_u32 v47, vcc_lo, v48, v52
	v_sub_co_ci_u32_e32 v48, vcc_lo, v49, v52, vcc_lo
.LBB1149_103:
	s_and_not1_saveexec_b32 s0, s1
	s_cbranch_execz .LBB1149_105
; %bb.104:
	v_cvt_f32_u32_e32 v47, s44
	s_sub_i32 s1, 0, s44
	s_delay_alu instid0(VALU_DEP_1) | instskip(SKIP_2) | instid1(VALU_DEP_1)
	v_rcp_iflag_f32_e32 v47, v47
	s_waitcnt_depctr 0xfff
	v_mul_f32_e32 v47, 0x4f7ffffe, v47
	v_cvt_u32_f32_e32 v47, v47
	s_delay_alu instid0(VALU_DEP_1) | instskip(NEXT) | instid1(VALU_DEP_1)
	v_mul_lo_u32 v48, s1, v47
	v_mul_hi_u32 v48, v47, v48
	s_delay_alu instid0(VALU_DEP_1) | instskip(NEXT) | instid1(VALU_DEP_1)
	v_add_nc_u32_e32 v47, v47, v48
	v_mul_hi_u32 v47, v81, v47
	s_delay_alu instid0(VALU_DEP_1) | instskip(SKIP_1) | instid1(VALU_DEP_2)
	v_mul_lo_u32 v48, v47, s44
	v_add_nc_u32_e32 v49, 1, v47
	v_sub_nc_u32_e32 v48, v81, v48
	s_delay_alu instid0(VALU_DEP_1) | instskip(SKIP_1) | instid1(VALU_DEP_2)
	v_subrev_nc_u32_e32 v50, s44, v48
	v_cmp_le_u32_e32 vcc_lo, s44, v48
	v_dual_cndmask_b32 v48, v48, v50 :: v_dual_cndmask_b32 v47, v47, v49
	s_delay_alu instid0(VALU_DEP_1) | instskip(NEXT) | instid1(VALU_DEP_2)
	v_cmp_le_u32_e32 vcc_lo, s44, v48
	v_dual_mov_b32 v48, 0 :: v_dual_add_nc_u32 v49, 1, v47
	s_delay_alu instid0(VALU_DEP_1)
	v_cndmask_b32_e32 v47, v47, v49, vcc_lo
.LBB1149_105:
	s_or_b32 exec_lo, exec_lo, s0
	v_add_co_u32 v83, vcc_lo, 0xa00, v63
	v_add_co_ci_u32_e32 v84, vcc_lo, 0, v64, vcc_lo
	v_mov_b32_e32 v49, 0
	s_delay_alu instid0(VALU_DEP_2) | instskip(NEXT) | instid1(VALU_DEP_1)
	v_or_b32_e32 v50, s45, v84
	v_cmp_ne_u64_e32 vcc_lo, 0, v[49:50]
                                        ; implicit-def: $vgpr49_vgpr50
	s_and_saveexec_b32 s0, vcc_lo
	s_delay_alu instid0(SALU_CYCLE_1)
	s_xor_b32 s1, exec_lo, s0
	s_cbranch_execz .LBB1149_107
; %bb.106:
	s_ashr_i32 s4, s45, 31
	s_delay_alu instid0(SALU_CYCLE_1) | instskip(SKIP_2) | instid1(SALU_CYCLE_1)
	s_add_u32 s6, s44, s4
	s_mov_b32 s5, s4
	s_addc_u32 s7, s45, s4
	s_xor_b64 s[6:7], s[6:7], s[4:5]
	s_delay_alu instid0(SALU_CYCLE_1) | instskip(SKIP_3) | instid1(VALU_DEP_1)
	v_cvt_f32_u32_e32 v49, s6
	v_cvt_f32_u32_e32 v50, s7
	s_sub_u32 s0, 0, s6
	s_subb_u32 s5, 0, s7
	v_fmamk_f32 v49, v50, 0x4f800000, v49
	s_delay_alu instid0(VALU_DEP_1) | instskip(SKIP_2) | instid1(VALU_DEP_1)
	v_rcp_f32_e32 v49, v49
	s_waitcnt_depctr 0xfff
	v_mul_f32_e32 v49, 0x5f7ffffc, v49
	v_mul_f32_e32 v50, 0x2f800000, v49
	s_delay_alu instid0(VALU_DEP_1) | instskip(NEXT) | instid1(VALU_DEP_1)
	v_trunc_f32_e32 v50, v50
	v_fmamk_f32 v49, v50, 0xcf800000, v49
	v_cvt_u32_f32_e32 v50, v50
	s_delay_alu instid0(VALU_DEP_2) | instskip(NEXT) | instid1(VALU_DEP_2)
	v_cvt_u32_f32_e32 v49, v49
	v_mul_lo_u32 v51, s0, v50
	s_delay_alu instid0(VALU_DEP_2) | instskip(SKIP_1) | instid1(VALU_DEP_2)
	v_mul_hi_u32 v52, s0, v49
	v_mul_lo_u32 v53, s5, v49
	v_add_nc_u32_e32 v51, v52, v51
	v_mul_lo_u32 v52, s0, v49
	s_delay_alu instid0(VALU_DEP_2) | instskip(NEXT) | instid1(VALU_DEP_2)
	v_add_nc_u32_e32 v51, v51, v53
	v_mul_hi_u32 v53, v49, v52
	s_delay_alu instid0(VALU_DEP_2)
	v_mul_lo_u32 v54, v49, v51
	v_mul_hi_u32 v55, v49, v51
	v_mul_hi_u32 v56, v50, v52
	v_mul_lo_u32 v52, v50, v52
	v_mul_hi_u32 v59, v50, v51
	v_mul_lo_u32 v51, v50, v51
	v_add_co_u32 v53, vcc_lo, v53, v54
	v_add_co_ci_u32_e32 v54, vcc_lo, 0, v55, vcc_lo
	s_delay_alu instid0(VALU_DEP_2) | instskip(NEXT) | instid1(VALU_DEP_2)
	v_add_co_u32 v52, vcc_lo, v53, v52
	v_add_co_ci_u32_e32 v52, vcc_lo, v54, v56, vcc_lo
	v_add_co_ci_u32_e32 v53, vcc_lo, 0, v59, vcc_lo
	v_ashrrev_i32_e32 v56, 31, v84
	s_delay_alu instid0(VALU_DEP_3) | instskip(NEXT) | instid1(VALU_DEP_3)
	v_add_co_u32 v51, vcc_lo, v52, v51
	v_add_co_ci_u32_e32 v52, vcc_lo, 0, v53, vcc_lo
	s_delay_alu instid0(VALU_DEP_2) | instskip(NEXT) | instid1(VALU_DEP_2)
	v_add_co_u32 v49, vcc_lo, v49, v51
	v_add_co_ci_u32_e32 v50, vcc_lo, v50, v52, vcc_lo
	s_delay_alu instid0(VALU_DEP_2) | instskip(SKIP_1) | instid1(VALU_DEP_3)
	v_mul_hi_u32 v51, s0, v49
	v_mul_lo_u32 v53, s5, v49
	v_mul_lo_u32 v52, s0, v50
	s_delay_alu instid0(VALU_DEP_1) | instskip(SKIP_1) | instid1(VALU_DEP_2)
	v_add_nc_u32_e32 v51, v51, v52
	v_mul_lo_u32 v52, s0, v49
	v_add_nc_u32_e32 v51, v51, v53
	s_delay_alu instid0(VALU_DEP_2) | instskip(NEXT) | instid1(VALU_DEP_2)
	v_mul_hi_u32 v53, v49, v52
	v_mul_lo_u32 v54, v49, v51
	v_mul_hi_u32 v55, v49, v51
	v_mul_hi_u32 v59, v50, v52
	v_mul_lo_u32 v52, v50, v52
	v_mul_hi_u32 v60, v50, v51
	v_mul_lo_u32 v51, v50, v51
	v_add_co_u32 v53, vcc_lo, v53, v54
	v_add_co_ci_u32_e32 v54, vcc_lo, 0, v55, vcc_lo
	s_delay_alu instid0(VALU_DEP_2) | instskip(NEXT) | instid1(VALU_DEP_2)
	v_add_co_u32 v52, vcc_lo, v53, v52
	v_add_co_ci_u32_e32 v52, vcc_lo, v54, v59, vcc_lo
	v_add_co_ci_u32_e32 v53, vcc_lo, 0, v60, vcc_lo
	v_add_co_u32 v54, vcc_lo, v83, v56
	v_add_co_ci_u32_e32 v55, vcc_lo, v84, v56, vcc_lo
	s_delay_alu instid0(VALU_DEP_4) | instskip(NEXT) | instid1(VALU_DEP_4)
	v_add_co_u32 v51, vcc_lo, v52, v51
	v_add_co_ci_u32_e32 v52, vcc_lo, 0, v53, vcc_lo
	s_delay_alu instid0(VALU_DEP_4) | instskip(NEXT) | instid1(VALU_DEP_3)
	v_xor_b32_e32 v59, v54, v56
	v_add_co_u32 v53, vcc_lo, v49, v51
	s_delay_alu instid0(VALU_DEP_3) | instskip(SKIP_1) | instid1(VALU_DEP_3)
	v_add_co_ci_u32_e32 v60, vcc_lo, v50, v52, vcc_lo
	v_xor_b32_e32 v55, v55, v56
	v_mul_hi_u32 v85, v59, v53
	s_delay_alu instid0(VALU_DEP_3) | instskip(NEXT) | instid1(VALU_DEP_3)
	v_mad_u64_u32 v[49:50], null, v59, v60, 0
	v_mad_u64_u32 v[51:52], null, v55, v53, 0
	;; [unrolled: 1-line block ×3, first 2 shown]
	s_delay_alu instid0(VALU_DEP_3) | instskip(NEXT) | instid1(VALU_DEP_4)
	v_add_co_u32 v49, vcc_lo, v85, v49
	v_add_co_ci_u32_e32 v50, vcc_lo, 0, v50, vcc_lo
	s_delay_alu instid0(VALU_DEP_2) | instskip(NEXT) | instid1(VALU_DEP_2)
	v_add_co_u32 v49, vcc_lo, v49, v51
	v_add_co_ci_u32_e32 v49, vcc_lo, v50, v52, vcc_lo
	v_add_co_ci_u32_e32 v50, vcc_lo, 0, v54, vcc_lo
	s_delay_alu instid0(VALU_DEP_2) | instskip(NEXT) | instid1(VALU_DEP_2)
	v_add_co_u32 v51, vcc_lo, v49, v53
	v_add_co_ci_u32_e32 v52, vcc_lo, 0, v50, vcc_lo
	s_delay_alu instid0(VALU_DEP_2) | instskip(SKIP_1) | instid1(VALU_DEP_3)
	v_mul_lo_u32 v53, s7, v51
	v_mad_u64_u32 v[49:50], null, s6, v51, 0
	v_mul_lo_u32 v54, s6, v52
	s_delay_alu instid0(VALU_DEP_2) | instskip(NEXT) | instid1(VALU_DEP_2)
	v_sub_co_u32 v49, vcc_lo, v59, v49
	v_add3_u32 v50, v50, v54, v53
	s_delay_alu instid0(VALU_DEP_1) | instskip(NEXT) | instid1(VALU_DEP_1)
	v_sub_nc_u32_e32 v53, v55, v50
	v_subrev_co_ci_u32_e64 v53, s0, s7, v53, vcc_lo
	v_add_co_u32 v54, s0, v51, 2
	s_delay_alu instid0(VALU_DEP_1) | instskip(SKIP_3) | instid1(VALU_DEP_3)
	v_add_co_ci_u32_e64 v59, s0, 0, v52, s0
	v_sub_co_u32 v60, s0, v49, s6
	v_sub_co_ci_u32_e32 v50, vcc_lo, v55, v50, vcc_lo
	v_subrev_co_ci_u32_e64 v53, s0, 0, v53, s0
	v_cmp_le_u32_e32 vcc_lo, s6, v60
	s_delay_alu instid0(VALU_DEP_3) | instskip(SKIP_1) | instid1(VALU_DEP_4)
	v_cmp_eq_u32_e64 s0, s7, v50
	v_cndmask_b32_e64 v55, 0, -1, vcc_lo
	v_cmp_le_u32_e32 vcc_lo, s7, v53
	v_cndmask_b32_e64 v60, 0, -1, vcc_lo
	v_cmp_le_u32_e32 vcc_lo, s6, v49
	;; [unrolled: 2-line block ×3, first 2 shown]
	v_cndmask_b32_e64 v85, 0, -1, vcc_lo
	v_cmp_eq_u32_e32 vcc_lo, s7, v53
	s_delay_alu instid0(VALU_DEP_2) | instskip(SKIP_3) | instid1(VALU_DEP_3)
	v_cndmask_b32_e64 v49, v85, v49, s0
	v_cndmask_b32_e32 v53, v60, v55, vcc_lo
	v_add_co_u32 v55, vcc_lo, v51, 1
	v_add_co_ci_u32_e32 v60, vcc_lo, 0, v52, vcc_lo
	v_cmp_ne_u32_e32 vcc_lo, 0, v53
	s_delay_alu instid0(VALU_DEP_2) | instskip(SKIP_2) | instid1(VALU_DEP_3)
	v_dual_cndmask_b32 v50, v60, v59 :: v_dual_cndmask_b32 v53, v55, v54
	v_cmp_ne_u32_e32 vcc_lo, 0, v49
	v_xor_b32_e32 v54, s4, v56
	v_dual_cndmask_b32 v49, v52, v50 :: v_dual_cndmask_b32 v50, v51, v53
	s_delay_alu instid0(VALU_DEP_1) | instskip(NEXT) | instid1(VALU_DEP_2)
	v_xor_b32_e32 v51, v49, v54
	v_xor_b32_e32 v50, v50, v54
	s_delay_alu instid0(VALU_DEP_1) | instskip(NEXT) | instid1(VALU_DEP_3)
	v_sub_co_u32 v49, vcc_lo, v50, v54
	v_sub_co_ci_u32_e32 v50, vcc_lo, v51, v54, vcc_lo
.LBB1149_107:
	s_and_not1_saveexec_b32 s0, s1
	s_cbranch_execz .LBB1149_109
; %bb.108:
	v_cvt_f32_u32_e32 v49, s44
	s_sub_i32 s1, 0, s44
	s_delay_alu instid0(VALU_DEP_1) | instskip(SKIP_2) | instid1(VALU_DEP_1)
	v_rcp_iflag_f32_e32 v49, v49
	s_waitcnt_depctr 0xfff
	v_mul_f32_e32 v49, 0x4f7ffffe, v49
	v_cvt_u32_f32_e32 v49, v49
	s_delay_alu instid0(VALU_DEP_1) | instskip(NEXT) | instid1(VALU_DEP_1)
	v_mul_lo_u32 v50, s1, v49
	v_mul_hi_u32 v50, v49, v50
	s_delay_alu instid0(VALU_DEP_1) | instskip(NEXT) | instid1(VALU_DEP_1)
	v_add_nc_u32_e32 v49, v49, v50
	v_mul_hi_u32 v49, v83, v49
	s_delay_alu instid0(VALU_DEP_1) | instskip(SKIP_1) | instid1(VALU_DEP_2)
	v_mul_lo_u32 v50, v49, s44
	v_add_nc_u32_e32 v51, 1, v49
	v_sub_nc_u32_e32 v50, v83, v50
	s_delay_alu instid0(VALU_DEP_1) | instskip(SKIP_1) | instid1(VALU_DEP_2)
	v_subrev_nc_u32_e32 v52, s44, v50
	v_cmp_le_u32_e32 vcc_lo, s44, v50
	v_dual_cndmask_b32 v50, v50, v52 :: v_dual_cndmask_b32 v49, v49, v51
	s_delay_alu instid0(VALU_DEP_1) | instskip(NEXT) | instid1(VALU_DEP_2)
	v_cmp_le_u32_e32 vcc_lo, s44, v50
	v_dual_mov_b32 v50, 0 :: v_dual_add_nc_u32 v51, 1, v49
	s_delay_alu instid0(VALU_DEP_1)
	v_cndmask_b32_e32 v49, v49, v51, vcc_lo
.LBB1149_109:
	s_or_b32 exec_lo, exec_lo, s0
	v_add_co_u32 v85, vcc_lo, 0xb00, v63
	v_add_co_ci_u32_e32 v86, vcc_lo, 0, v64, vcc_lo
	v_mov_b32_e32 v51, 0
	s_delay_alu instid0(VALU_DEP_2) | instskip(NEXT) | instid1(VALU_DEP_1)
	v_or_b32_e32 v52, s45, v86
	v_cmp_ne_u64_e32 vcc_lo, 0, v[51:52]
                                        ; implicit-def: $vgpr51_vgpr52
	s_and_saveexec_b32 s0, vcc_lo
	s_delay_alu instid0(SALU_CYCLE_1)
	s_xor_b32 s1, exec_lo, s0
	s_cbranch_execz .LBB1149_111
; %bb.110:
	s_ashr_i32 s4, s45, 31
	s_delay_alu instid0(SALU_CYCLE_1) | instskip(SKIP_2) | instid1(SALU_CYCLE_1)
	s_add_u32 s6, s44, s4
	s_mov_b32 s5, s4
	s_addc_u32 s7, s45, s4
	s_xor_b64 s[6:7], s[6:7], s[4:5]
	s_delay_alu instid0(SALU_CYCLE_1) | instskip(SKIP_3) | instid1(VALU_DEP_1)
	v_cvt_f32_u32_e32 v51, s6
	v_cvt_f32_u32_e32 v52, s7
	s_sub_u32 s0, 0, s6
	s_subb_u32 s5, 0, s7
	v_fmamk_f32 v51, v52, 0x4f800000, v51
	s_delay_alu instid0(VALU_DEP_1) | instskip(SKIP_2) | instid1(VALU_DEP_1)
	v_rcp_f32_e32 v51, v51
	s_waitcnt_depctr 0xfff
	v_mul_f32_e32 v51, 0x5f7ffffc, v51
	v_mul_f32_e32 v52, 0x2f800000, v51
	s_delay_alu instid0(VALU_DEP_1) | instskip(NEXT) | instid1(VALU_DEP_1)
	v_trunc_f32_e32 v52, v52
	v_fmamk_f32 v51, v52, 0xcf800000, v51
	v_cvt_u32_f32_e32 v52, v52
	s_delay_alu instid0(VALU_DEP_2) | instskip(NEXT) | instid1(VALU_DEP_2)
	v_cvt_u32_f32_e32 v51, v51
	v_mul_lo_u32 v53, s0, v52
	s_delay_alu instid0(VALU_DEP_2) | instskip(SKIP_1) | instid1(VALU_DEP_2)
	v_mul_hi_u32 v54, s0, v51
	v_mul_lo_u32 v55, s5, v51
	v_add_nc_u32_e32 v53, v54, v53
	v_mul_lo_u32 v54, s0, v51
	s_delay_alu instid0(VALU_DEP_2) | instskip(NEXT) | instid1(VALU_DEP_2)
	v_add_nc_u32_e32 v53, v53, v55
	v_mul_hi_u32 v55, v51, v54
	s_delay_alu instid0(VALU_DEP_2)
	v_mul_lo_u32 v56, v51, v53
	v_mul_hi_u32 v59, v51, v53
	v_mul_hi_u32 v60, v52, v54
	v_mul_lo_u32 v54, v52, v54
	v_mul_hi_u32 v87, v52, v53
	v_mul_lo_u32 v53, v52, v53
	v_add_co_u32 v55, vcc_lo, v55, v56
	v_add_co_ci_u32_e32 v56, vcc_lo, 0, v59, vcc_lo
	s_delay_alu instid0(VALU_DEP_2) | instskip(NEXT) | instid1(VALU_DEP_2)
	v_add_co_u32 v54, vcc_lo, v55, v54
	v_add_co_ci_u32_e32 v54, vcc_lo, v56, v60, vcc_lo
	v_add_co_ci_u32_e32 v55, vcc_lo, 0, v87, vcc_lo
	v_ashrrev_i32_e32 v60, 31, v86
	s_delay_alu instid0(VALU_DEP_3) | instskip(NEXT) | instid1(VALU_DEP_3)
	v_add_co_u32 v53, vcc_lo, v54, v53
	v_add_co_ci_u32_e32 v54, vcc_lo, 0, v55, vcc_lo
	s_delay_alu instid0(VALU_DEP_2) | instskip(NEXT) | instid1(VALU_DEP_2)
	v_add_co_u32 v51, vcc_lo, v51, v53
	v_add_co_ci_u32_e32 v52, vcc_lo, v52, v54, vcc_lo
	s_delay_alu instid0(VALU_DEP_2) | instskip(SKIP_1) | instid1(VALU_DEP_3)
	v_mul_hi_u32 v53, s0, v51
	v_mul_lo_u32 v55, s5, v51
	v_mul_lo_u32 v54, s0, v52
	s_delay_alu instid0(VALU_DEP_1) | instskip(SKIP_1) | instid1(VALU_DEP_2)
	v_add_nc_u32_e32 v53, v53, v54
	v_mul_lo_u32 v54, s0, v51
	v_add_nc_u32_e32 v53, v53, v55
	s_delay_alu instid0(VALU_DEP_2) | instskip(NEXT) | instid1(VALU_DEP_2)
	v_mul_hi_u32 v55, v51, v54
	v_mul_lo_u32 v56, v51, v53
	v_mul_hi_u32 v59, v51, v53
	v_mul_hi_u32 v87, v52, v54
	v_mul_lo_u32 v54, v52, v54
	v_mul_hi_u32 v88, v52, v53
	v_mul_lo_u32 v53, v52, v53
	v_add_co_u32 v55, vcc_lo, v55, v56
	v_add_co_ci_u32_e32 v56, vcc_lo, 0, v59, vcc_lo
	s_delay_alu instid0(VALU_DEP_2) | instskip(NEXT) | instid1(VALU_DEP_2)
	v_add_co_u32 v54, vcc_lo, v55, v54
	v_add_co_ci_u32_e32 v54, vcc_lo, v56, v87, vcc_lo
	v_add_co_ci_u32_e32 v55, vcc_lo, 0, v88, vcc_lo
	v_add_co_u32 v56, vcc_lo, v85, v60
	v_add_co_ci_u32_e32 v59, vcc_lo, v86, v60, vcc_lo
	s_delay_alu instid0(VALU_DEP_4) | instskip(NEXT) | instid1(VALU_DEP_4)
	v_add_co_u32 v53, vcc_lo, v54, v53
	v_add_co_ci_u32_e32 v54, vcc_lo, 0, v55, vcc_lo
	s_delay_alu instid0(VALU_DEP_4) | instskip(NEXT) | instid1(VALU_DEP_3)
	v_xor_b32_e32 v87, v56, v60
	v_add_co_u32 v55, vcc_lo, v51, v53
	s_delay_alu instid0(VALU_DEP_3) | instskip(SKIP_1) | instid1(VALU_DEP_3)
	v_add_co_ci_u32_e32 v88, vcc_lo, v52, v54, vcc_lo
	v_xor_b32_e32 v59, v59, v60
	v_mul_hi_u32 v89, v87, v55
	s_delay_alu instid0(VALU_DEP_3) | instskip(NEXT) | instid1(VALU_DEP_3)
	v_mad_u64_u32 v[51:52], null, v87, v88, 0
	v_mad_u64_u32 v[53:54], null, v59, v55, 0
	;; [unrolled: 1-line block ×3, first 2 shown]
	s_delay_alu instid0(VALU_DEP_3) | instskip(NEXT) | instid1(VALU_DEP_4)
	v_add_co_u32 v51, vcc_lo, v89, v51
	v_add_co_ci_u32_e32 v52, vcc_lo, 0, v52, vcc_lo
	s_delay_alu instid0(VALU_DEP_2) | instskip(NEXT) | instid1(VALU_DEP_2)
	v_add_co_u32 v51, vcc_lo, v51, v53
	v_add_co_ci_u32_e32 v51, vcc_lo, v52, v54, vcc_lo
	v_add_co_ci_u32_e32 v52, vcc_lo, 0, v56, vcc_lo
	s_delay_alu instid0(VALU_DEP_2) | instskip(NEXT) | instid1(VALU_DEP_2)
	v_add_co_u32 v53, vcc_lo, v51, v55
	v_add_co_ci_u32_e32 v54, vcc_lo, 0, v52, vcc_lo
	s_delay_alu instid0(VALU_DEP_2) | instskip(SKIP_1) | instid1(VALU_DEP_3)
	v_mul_lo_u32 v55, s7, v53
	v_mad_u64_u32 v[51:52], null, s6, v53, 0
	v_mul_lo_u32 v56, s6, v54
	s_delay_alu instid0(VALU_DEP_2) | instskip(NEXT) | instid1(VALU_DEP_2)
	v_sub_co_u32 v51, vcc_lo, v87, v51
	v_add3_u32 v52, v52, v56, v55
	s_delay_alu instid0(VALU_DEP_1) | instskip(NEXT) | instid1(VALU_DEP_1)
	v_sub_nc_u32_e32 v55, v59, v52
	v_subrev_co_ci_u32_e64 v55, s0, s7, v55, vcc_lo
	v_add_co_u32 v56, s0, v53, 2
	s_delay_alu instid0(VALU_DEP_1) | instskip(SKIP_3) | instid1(VALU_DEP_3)
	v_add_co_ci_u32_e64 v87, s0, 0, v54, s0
	v_sub_co_u32 v88, s0, v51, s6
	v_sub_co_ci_u32_e32 v52, vcc_lo, v59, v52, vcc_lo
	v_subrev_co_ci_u32_e64 v55, s0, 0, v55, s0
	v_cmp_le_u32_e32 vcc_lo, s6, v88
	s_delay_alu instid0(VALU_DEP_3) | instskip(SKIP_1) | instid1(VALU_DEP_4)
	v_cmp_eq_u32_e64 s0, s7, v52
	v_cndmask_b32_e64 v59, 0, -1, vcc_lo
	v_cmp_le_u32_e32 vcc_lo, s7, v55
	v_cndmask_b32_e64 v88, 0, -1, vcc_lo
	v_cmp_le_u32_e32 vcc_lo, s6, v51
	;; [unrolled: 2-line block ×3, first 2 shown]
	v_cndmask_b32_e64 v89, 0, -1, vcc_lo
	v_cmp_eq_u32_e32 vcc_lo, s7, v55
	s_delay_alu instid0(VALU_DEP_2) | instskip(SKIP_3) | instid1(VALU_DEP_3)
	v_cndmask_b32_e64 v51, v89, v51, s0
	v_cndmask_b32_e32 v55, v88, v59, vcc_lo
	v_add_co_u32 v59, vcc_lo, v53, 1
	v_add_co_ci_u32_e32 v88, vcc_lo, 0, v54, vcc_lo
	v_cmp_ne_u32_e32 vcc_lo, 0, v55
	s_delay_alu instid0(VALU_DEP_2) | instskip(SKIP_2) | instid1(VALU_DEP_3)
	v_dual_cndmask_b32 v52, v88, v87 :: v_dual_cndmask_b32 v55, v59, v56
	v_cmp_ne_u32_e32 vcc_lo, 0, v51
	v_xor_b32_e32 v56, s4, v60
	v_dual_cndmask_b32 v51, v54, v52 :: v_dual_cndmask_b32 v52, v53, v55
	s_delay_alu instid0(VALU_DEP_1) | instskip(NEXT) | instid1(VALU_DEP_2)
	v_xor_b32_e32 v53, v51, v56
	v_xor_b32_e32 v52, v52, v56
	s_delay_alu instid0(VALU_DEP_1) | instskip(NEXT) | instid1(VALU_DEP_3)
	v_sub_co_u32 v51, vcc_lo, v52, v56
	v_sub_co_ci_u32_e32 v52, vcc_lo, v53, v56, vcc_lo
.LBB1149_111:
	s_and_not1_saveexec_b32 s0, s1
	s_cbranch_execz .LBB1149_113
; %bb.112:
	v_cvt_f32_u32_e32 v51, s44
	s_sub_i32 s1, 0, s44
	s_delay_alu instid0(VALU_DEP_1) | instskip(SKIP_2) | instid1(VALU_DEP_1)
	v_rcp_iflag_f32_e32 v51, v51
	s_waitcnt_depctr 0xfff
	v_mul_f32_e32 v51, 0x4f7ffffe, v51
	v_cvt_u32_f32_e32 v51, v51
	s_delay_alu instid0(VALU_DEP_1) | instskip(NEXT) | instid1(VALU_DEP_1)
	v_mul_lo_u32 v52, s1, v51
	v_mul_hi_u32 v52, v51, v52
	s_delay_alu instid0(VALU_DEP_1) | instskip(NEXT) | instid1(VALU_DEP_1)
	v_add_nc_u32_e32 v51, v51, v52
	v_mul_hi_u32 v51, v85, v51
	s_delay_alu instid0(VALU_DEP_1) | instskip(SKIP_1) | instid1(VALU_DEP_2)
	v_mul_lo_u32 v52, v51, s44
	v_add_nc_u32_e32 v53, 1, v51
	v_sub_nc_u32_e32 v52, v85, v52
	s_delay_alu instid0(VALU_DEP_1) | instskip(SKIP_1) | instid1(VALU_DEP_2)
	v_subrev_nc_u32_e32 v54, s44, v52
	v_cmp_le_u32_e32 vcc_lo, s44, v52
	v_dual_cndmask_b32 v52, v52, v54 :: v_dual_cndmask_b32 v51, v51, v53
	s_delay_alu instid0(VALU_DEP_1) | instskip(NEXT) | instid1(VALU_DEP_2)
	v_cmp_le_u32_e32 vcc_lo, s44, v52
	v_dual_mov_b32 v52, 0 :: v_dual_add_nc_u32 v53, 1, v51
	s_delay_alu instid0(VALU_DEP_1)
	v_cndmask_b32_e32 v51, v51, v53, vcc_lo
.LBB1149_113:
	s_or_b32 exec_lo, exec_lo, s0
	v_add_co_u32 v87, vcc_lo, 0xc00, v63
	v_add_co_ci_u32_e32 v88, vcc_lo, 0, v64, vcc_lo
	v_mov_b32_e32 v53, 0
	s_delay_alu instid0(VALU_DEP_2) | instskip(NEXT) | instid1(VALU_DEP_1)
	v_or_b32_e32 v54, s45, v88
	v_cmp_ne_u64_e32 vcc_lo, 0, v[53:54]
                                        ; implicit-def: $vgpr53_vgpr54
	s_and_saveexec_b32 s0, vcc_lo
	s_delay_alu instid0(SALU_CYCLE_1)
	s_xor_b32 s1, exec_lo, s0
	s_cbranch_execz .LBB1149_115
; %bb.114:
	s_ashr_i32 s4, s45, 31
	s_delay_alu instid0(SALU_CYCLE_1) | instskip(SKIP_2) | instid1(SALU_CYCLE_1)
	s_add_u32 s6, s44, s4
	s_mov_b32 s5, s4
	s_addc_u32 s7, s45, s4
	s_xor_b64 s[6:7], s[6:7], s[4:5]
	s_delay_alu instid0(SALU_CYCLE_1) | instskip(SKIP_3) | instid1(VALU_DEP_1)
	v_cvt_f32_u32_e32 v53, s6
	v_cvt_f32_u32_e32 v54, s7
	s_sub_u32 s0, 0, s6
	s_subb_u32 s5, 0, s7
	v_fmamk_f32 v53, v54, 0x4f800000, v53
	s_delay_alu instid0(VALU_DEP_1) | instskip(SKIP_2) | instid1(VALU_DEP_1)
	v_rcp_f32_e32 v53, v53
	s_waitcnt_depctr 0xfff
	v_mul_f32_e32 v53, 0x5f7ffffc, v53
	v_mul_f32_e32 v54, 0x2f800000, v53
	s_delay_alu instid0(VALU_DEP_1) | instskip(NEXT) | instid1(VALU_DEP_1)
	v_trunc_f32_e32 v54, v54
	v_fmamk_f32 v53, v54, 0xcf800000, v53
	v_cvt_u32_f32_e32 v54, v54
	s_delay_alu instid0(VALU_DEP_2) | instskip(NEXT) | instid1(VALU_DEP_2)
	v_cvt_u32_f32_e32 v53, v53
	v_mul_lo_u32 v55, s0, v54
	s_delay_alu instid0(VALU_DEP_2) | instskip(SKIP_1) | instid1(VALU_DEP_2)
	v_mul_hi_u32 v56, s0, v53
	v_mul_lo_u32 v59, s5, v53
	v_add_nc_u32_e32 v55, v56, v55
	v_mul_lo_u32 v56, s0, v53
	s_delay_alu instid0(VALU_DEP_2) | instskip(NEXT) | instid1(VALU_DEP_2)
	v_add_nc_u32_e32 v55, v55, v59
	v_mul_hi_u32 v59, v53, v56
	s_delay_alu instid0(VALU_DEP_2)
	v_mul_lo_u32 v60, v53, v55
	v_mul_hi_u32 v89, v53, v55
	v_mul_hi_u32 v90, v54, v56
	v_mul_lo_u32 v56, v54, v56
	v_mul_hi_u32 v91, v54, v55
	v_mul_lo_u32 v55, v54, v55
	v_add_co_u32 v59, vcc_lo, v59, v60
	v_add_co_ci_u32_e32 v60, vcc_lo, 0, v89, vcc_lo
	s_delay_alu instid0(VALU_DEP_2) | instskip(NEXT) | instid1(VALU_DEP_2)
	v_add_co_u32 v56, vcc_lo, v59, v56
	v_add_co_ci_u32_e32 v56, vcc_lo, v60, v90, vcc_lo
	v_add_co_ci_u32_e32 v59, vcc_lo, 0, v91, vcc_lo
	v_ashrrev_i32_e32 v90, 31, v88
	s_delay_alu instid0(VALU_DEP_3) | instskip(NEXT) | instid1(VALU_DEP_3)
	v_add_co_u32 v55, vcc_lo, v56, v55
	v_add_co_ci_u32_e32 v56, vcc_lo, 0, v59, vcc_lo
	s_delay_alu instid0(VALU_DEP_2) | instskip(NEXT) | instid1(VALU_DEP_2)
	v_add_co_u32 v53, vcc_lo, v53, v55
	v_add_co_ci_u32_e32 v54, vcc_lo, v54, v56, vcc_lo
	s_delay_alu instid0(VALU_DEP_2) | instskip(SKIP_1) | instid1(VALU_DEP_3)
	v_mul_hi_u32 v55, s0, v53
	v_mul_lo_u32 v59, s5, v53
	v_mul_lo_u32 v56, s0, v54
	s_delay_alu instid0(VALU_DEP_1) | instskip(SKIP_1) | instid1(VALU_DEP_2)
	v_add_nc_u32_e32 v55, v55, v56
	v_mul_lo_u32 v56, s0, v53
	v_add_nc_u32_e32 v55, v55, v59
	s_delay_alu instid0(VALU_DEP_2) | instskip(NEXT) | instid1(VALU_DEP_2)
	v_mul_hi_u32 v59, v53, v56
	v_mul_lo_u32 v60, v53, v55
	v_mul_hi_u32 v89, v53, v55
	v_mul_hi_u32 v91, v54, v56
	v_mul_lo_u32 v56, v54, v56
	v_mul_hi_u32 v92, v54, v55
	v_mul_lo_u32 v55, v54, v55
	v_add_co_u32 v59, vcc_lo, v59, v60
	v_add_co_ci_u32_e32 v60, vcc_lo, 0, v89, vcc_lo
	s_delay_alu instid0(VALU_DEP_2) | instskip(NEXT) | instid1(VALU_DEP_2)
	v_add_co_u32 v56, vcc_lo, v59, v56
	v_add_co_ci_u32_e32 v56, vcc_lo, v60, v91, vcc_lo
	v_add_co_ci_u32_e32 v59, vcc_lo, 0, v92, vcc_lo
	v_add_co_u32 v60, vcc_lo, v87, v90
	v_add_co_ci_u32_e32 v89, vcc_lo, v88, v90, vcc_lo
	s_delay_alu instid0(VALU_DEP_4) | instskip(NEXT) | instid1(VALU_DEP_4)
	v_add_co_u32 v55, vcc_lo, v56, v55
	v_add_co_ci_u32_e32 v56, vcc_lo, 0, v59, vcc_lo
	s_delay_alu instid0(VALU_DEP_4) | instskip(NEXT) | instid1(VALU_DEP_3)
	v_xor_b32_e32 v91, v60, v90
	v_add_co_u32 v59, vcc_lo, v53, v55
	s_delay_alu instid0(VALU_DEP_3) | instskip(SKIP_1) | instid1(VALU_DEP_3)
	v_add_co_ci_u32_e32 v92, vcc_lo, v54, v56, vcc_lo
	v_xor_b32_e32 v89, v89, v90
	v_mul_hi_u32 v93, v91, v59
	s_delay_alu instid0(VALU_DEP_3) | instskip(NEXT) | instid1(VALU_DEP_3)
	v_mad_u64_u32 v[53:54], null, v91, v92, 0
	v_mad_u64_u32 v[55:56], null, v89, v59, 0
	;; [unrolled: 1-line block ×3, first 2 shown]
	s_delay_alu instid0(VALU_DEP_3) | instskip(NEXT) | instid1(VALU_DEP_4)
	v_add_co_u32 v53, vcc_lo, v93, v53
	v_add_co_ci_u32_e32 v54, vcc_lo, 0, v54, vcc_lo
	s_delay_alu instid0(VALU_DEP_2) | instskip(NEXT) | instid1(VALU_DEP_2)
	v_add_co_u32 v53, vcc_lo, v53, v55
	v_add_co_ci_u32_e32 v53, vcc_lo, v54, v56, vcc_lo
	v_add_co_ci_u32_e32 v54, vcc_lo, 0, v60, vcc_lo
	s_delay_alu instid0(VALU_DEP_2) | instskip(NEXT) | instid1(VALU_DEP_2)
	v_add_co_u32 v55, vcc_lo, v53, v59
	v_add_co_ci_u32_e32 v56, vcc_lo, 0, v54, vcc_lo
	s_delay_alu instid0(VALU_DEP_2) | instskip(SKIP_1) | instid1(VALU_DEP_3)
	v_mul_lo_u32 v59, s7, v55
	v_mad_u64_u32 v[53:54], null, s6, v55, 0
	v_mul_lo_u32 v60, s6, v56
	s_delay_alu instid0(VALU_DEP_2) | instskip(NEXT) | instid1(VALU_DEP_2)
	v_sub_co_u32 v53, vcc_lo, v91, v53
	v_add3_u32 v54, v54, v60, v59
	s_delay_alu instid0(VALU_DEP_1) | instskip(NEXT) | instid1(VALU_DEP_1)
	v_sub_nc_u32_e32 v59, v89, v54
	v_subrev_co_ci_u32_e64 v59, s0, s7, v59, vcc_lo
	v_add_co_u32 v60, s0, v55, 2
	s_delay_alu instid0(VALU_DEP_1) | instskip(SKIP_3) | instid1(VALU_DEP_3)
	v_add_co_ci_u32_e64 v91, s0, 0, v56, s0
	v_sub_co_u32 v92, s0, v53, s6
	v_sub_co_ci_u32_e32 v54, vcc_lo, v89, v54, vcc_lo
	v_subrev_co_ci_u32_e64 v59, s0, 0, v59, s0
	v_cmp_le_u32_e32 vcc_lo, s6, v92
	s_delay_alu instid0(VALU_DEP_3) | instskip(SKIP_1) | instid1(VALU_DEP_4)
	v_cmp_eq_u32_e64 s0, s7, v54
	v_cndmask_b32_e64 v89, 0, -1, vcc_lo
	v_cmp_le_u32_e32 vcc_lo, s7, v59
	v_cndmask_b32_e64 v92, 0, -1, vcc_lo
	v_cmp_le_u32_e32 vcc_lo, s6, v53
	;; [unrolled: 2-line block ×3, first 2 shown]
	v_cndmask_b32_e64 v93, 0, -1, vcc_lo
	v_cmp_eq_u32_e32 vcc_lo, s7, v59
	s_delay_alu instid0(VALU_DEP_2) | instskip(SKIP_3) | instid1(VALU_DEP_3)
	v_cndmask_b32_e64 v53, v93, v53, s0
	v_cndmask_b32_e32 v59, v92, v89, vcc_lo
	v_add_co_u32 v89, vcc_lo, v55, 1
	v_add_co_ci_u32_e32 v92, vcc_lo, 0, v56, vcc_lo
	v_cmp_ne_u32_e32 vcc_lo, 0, v59
	s_delay_alu instid0(VALU_DEP_2) | instskip(SKIP_2) | instid1(VALU_DEP_3)
	v_dual_cndmask_b32 v54, v92, v91 :: v_dual_cndmask_b32 v59, v89, v60
	v_cmp_ne_u32_e32 vcc_lo, 0, v53
	v_xor_b32_e32 v60, s4, v90
	v_dual_cndmask_b32 v53, v56, v54 :: v_dual_cndmask_b32 v54, v55, v59
	s_delay_alu instid0(VALU_DEP_1) | instskip(NEXT) | instid1(VALU_DEP_2)
	v_xor_b32_e32 v55, v53, v60
	v_xor_b32_e32 v54, v54, v60
	s_delay_alu instid0(VALU_DEP_1) | instskip(NEXT) | instid1(VALU_DEP_3)
	v_sub_co_u32 v53, vcc_lo, v54, v60
	v_sub_co_ci_u32_e32 v54, vcc_lo, v55, v60, vcc_lo
.LBB1149_115:
	s_and_not1_saveexec_b32 s0, s1
	s_cbranch_execz .LBB1149_117
; %bb.116:
	v_cvt_f32_u32_e32 v53, s44
	s_sub_i32 s1, 0, s44
	s_delay_alu instid0(VALU_DEP_1) | instskip(SKIP_2) | instid1(VALU_DEP_1)
	v_rcp_iflag_f32_e32 v53, v53
	s_waitcnt_depctr 0xfff
	v_mul_f32_e32 v53, 0x4f7ffffe, v53
	v_cvt_u32_f32_e32 v53, v53
	s_delay_alu instid0(VALU_DEP_1) | instskip(NEXT) | instid1(VALU_DEP_1)
	v_mul_lo_u32 v54, s1, v53
	v_mul_hi_u32 v54, v53, v54
	s_delay_alu instid0(VALU_DEP_1) | instskip(NEXT) | instid1(VALU_DEP_1)
	v_add_nc_u32_e32 v53, v53, v54
	v_mul_hi_u32 v53, v87, v53
	s_delay_alu instid0(VALU_DEP_1) | instskip(SKIP_1) | instid1(VALU_DEP_2)
	v_mul_lo_u32 v54, v53, s44
	v_add_nc_u32_e32 v55, 1, v53
	v_sub_nc_u32_e32 v54, v87, v54
	s_delay_alu instid0(VALU_DEP_1) | instskip(SKIP_1) | instid1(VALU_DEP_2)
	v_subrev_nc_u32_e32 v56, s44, v54
	v_cmp_le_u32_e32 vcc_lo, s44, v54
	v_dual_cndmask_b32 v54, v54, v56 :: v_dual_cndmask_b32 v53, v53, v55
	s_delay_alu instid0(VALU_DEP_1) | instskip(NEXT) | instid1(VALU_DEP_2)
	v_cmp_le_u32_e32 vcc_lo, s44, v54
	v_dual_mov_b32 v54, 0 :: v_dual_add_nc_u32 v55, 1, v53
	s_delay_alu instid0(VALU_DEP_1)
	v_cndmask_b32_e32 v53, v53, v55, vcc_lo
.LBB1149_117:
	s_or_b32 exec_lo, exec_lo, s0
	v_add_co_u32 v91, vcc_lo, 0xd00, v63
	v_add_co_ci_u32_e32 v92, vcc_lo, 0, v64, vcc_lo
	v_mov_b32_e32 v55, 0
                                        ; implicit-def: $vgpr59_vgpr60
	s_mov_b32 s0, exec_lo
	s_delay_alu instid0(VALU_DEP_2) | instskip(NEXT) | instid1(VALU_DEP_1)
	v_or_b32_e32 v56, s45, v92
	v_cmpx_ne_u64_e32 0, v[55:56]
	s_xor_b32 s1, exec_lo, s0
	s_cbranch_execz .LBB1149_119
; %bb.118:
	s_ashr_i32 s4, s45, 31
	s_delay_alu instid0(SALU_CYCLE_1) | instskip(SKIP_2) | instid1(SALU_CYCLE_1)
	s_add_u32 s6, s44, s4
	s_mov_b32 s5, s4
	s_addc_u32 s7, s45, s4
	s_xor_b64 s[6:7], s[6:7], s[4:5]
	s_delay_alu instid0(SALU_CYCLE_1) | instskip(SKIP_3) | instid1(VALU_DEP_1)
	v_cvt_f32_u32_e32 v55, s6
	v_cvt_f32_u32_e32 v56, s7
	s_sub_u32 s0, 0, s6
	s_subb_u32 s5, 0, s7
	v_fmamk_f32 v55, v56, 0x4f800000, v55
	s_delay_alu instid0(VALU_DEP_1) | instskip(SKIP_2) | instid1(VALU_DEP_1)
	v_rcp_f32_e32 v55, v55
	s_waitcnt_depctr 0xfff
	v_mul_f32_e32 v55, 0x5f7ffffc, v55
	v_mul_f32_e32 v56, 0x2f800000, v55
	s_delay_alu instid0(VALU_DEP_1) | instskip(NEXT) | instid1(VALU_DEP_1)
	v_trunc_f32_e32 v56, v56
	v_fmamk_f32 v55, v56, 0xcf800000, v55
	v_cvt_u32_f32_e32 v56, v56
	s_delay_alu instid0(VALU_DEP_2) | instskip(NEXT) | instid1(VALU_DEP_2)
	v_cvt_u32_f32_e32 v55, v55
	v_mul_lo_u32 v59, s0, v56
	s_delay_alu instid0(VALU_DEP_2) | instskip(SKIP_1) | instid1(VALU_DEP_2)
	v_mul_hi_u32 v60, s0, v55
	v_mul_lo_u32 v89, s5, v55
	v_add_nc_u32_e32 v59, v60, v59
	v_mul_lo_u32 v60, s0, v55
	s_delay_alu instid0(VALU_DEP_2) | instskip(NEXT) | instid1(VALU_DEP_2)
	v_add_nc_u32_e32 v59, v59, v89
	v_mul_hi_u32 v89, v55, v60
	s_delay_alu instid0(VALU_DEP_2)
	v_mul_lo_u32 v90, v55, v59
	v_mul_hi_u32 v93, v55, v59
	v_mul_hi_u32 v94, v56, v60
	v_mul_lo_u32 v60, v56, v60
	v_mul_hi_u32 v95, v56, v59
	v_mul_lo_u32 v59, v56, v59
	v_add_co_u32 v89, vcc_lo, v89, v90
	v_add_co_ci_u32_e32 v90, vcc_lo, 0, v93, vcc_lo
	s_delay_alu instid0(VALU_DEP_2) | instskip(NEXT) | instid1(VALU_DEP_2)
	v_add_co_u32 v60, vcc_lo, v89, v60
	v_add_co_ci_u32_e32 v60, vcc_lo, v90, v94, vcc_lo
	v_add_co_ci_u32_e32 v89, vcc_lo, 0, v95, vcc_lo
	v_ashrrev_i32_e32 v94, 31, v92
	s_delay_alu instid0(VALU_DEP_3) | instskip(NEXT) | instid1(VALU_DEP_3)
	v_add_co_u32 v59, vcc_lo, v60, v59
	v_add_co_ci_u32_e32 v60, vcc_lo, 0, v89, vcc_lo
	s_delay_alu instid0(VALU_DEP_2) | instskip(NEXT) | instid1(VALU_DEP_2)
	v_add_co_u32 v55, vcc_lo, v55, v59
	v_add_co_ci_u32_e32 v56, vcc_lo, v56, v60, vcc_lo
	s_delay_alu instid0(VALU_DEP_2) | instskip(SKIP_1) | instid1(VALU_DEP_3)
	v_mul_hi_u32 v59, s0, v55
	v_mul_lo_u32 v89, s5, v55
	v_mul_lo_u32 v60, s0, v56
	s_delay_alu instid0(VALU_DEP_1) | instskip(SKIP_1) | instid1(VALU_DEP_2)
	v_add_nc_u32_e32 v59, v59, v60
	v_mul_lo_u32 v60, s0, v55
	v_add_nc_u32_e32 v59, v59, v89
	s_delay_alu instid0(VALU_DEP_2) | instskip(NEXT) | instid1(VALU_DEP_2)
	v_mul_hi_u32 v89, v55, v60
	v_mul_lo_u32 v90, v55, v59
	v_mul_hi_u32 v93, v55, v59
	v_mul_hi_u32 v95, v56, v60
	v_mul_lo_u32 v60, v56, v60
	v_mul_hi_u32 v96, v56, v59
	v_mul_lo_u32 v59, v56, v59
	v_add_co_u32 v89, vcc_lo, v89, v90
	v_add_co_ci_u32_e32 v90, vcc_lo, 0, v93, vcc_lo
	s_delay_alu instid0(VALU_DEP_2) | instskip(NEXT) | instid1(VALU_DEP_2)
	v_add_co_u32 v60, vcc_lo, v89, v60
	v_add_co_ci_u32_e32 v60, vcc_lo, v90, v95, vcc_lo
	v_add_co_ci_u32_e32 v89, vcc_lo, 0, v96, vcc_lo
	v_add_co_u32 v90, vcc_lo, v91, v94
	v_add_co_ci_u32_e32 v93, vcc_lo, v92, v94, vcc_lo
	s_delay_alu instid0(VALU_DEP_4) | instskip(NEXT) | instid1(VALU_DEP_4)
	v_add_co_u32 v59, vcc_lo, v60, v59
	v_add_co_ci_u32_e32 v60, vcc_lo, 0, v89, vcc_lo
	s_delay_alu instid0(VALU_DEP_4) | instskip(NEXT) | instid1(VALU_DEP_3)
	v_xor_b32_e32 v95, v90, v94
	v_add_co_u32 v89, vcc_lo, v55, v59
	s_delay_alu instid0(VALU_DEP_3) | instskip(SKIP_1) | instid1(VALU_DEP_3)
	v_add_co_ci_u32_e32 v96, vcc_lo, v56, v60, vcc_lo
	v_xor_b32_e32 v93, v93, v94
	v_mul_hi_u32 v97, v95, v89
	s_delay_alu instid0(VALU_DEP_3) | instskip(NEXT) | instid1(VALU_DEP_3)
	v_mad_u64_u32 v[55:56], null, v95, v96, 0
	v_mad_u64_u32 v[59:60], null, v93, v89, 0
	v_mad_u64_u32 v[89:90], null, v93, v96, 0
	s_delay_alu instid0(VALU_DEP_3) | instskip(NEXT) | instid1(VALU_DEP_4)
	v_add_co_u32 v55, vcc_lo, v97, v55
	v_add_co_ci_u32_e32 v56, vcc_lo, 0, v56, vcc_lo
	s_delay_alu instid0(VALU_DEP_2) | instskip(NEXT) | instid1(VALU_DEP_2)
	v_add_co_u32 v55, vcc_lo, v55, v59
	v_add_co_ci_u32_e32 v55, vcc_lo, v56, v60, vcc_lo
	v_add_co_ci_u32_e32 v56, vcc_lo, 0, v90, vcc_lo
	s_delay_alu instid0(VALU_DEP_2) | instskip(NEXT) | instid1(VALU_DEP_2)
	v_add_co_u32 v59, vcc_lo, v55, v89
	v_add_co_ci_u32_e32 v60, vcc_lo, 0, v56, vcc_lo
	s_delay_alu instid0(VALU_DEP_2) | instskip(SKIP_1) | instid1(VALU_DEP_3)
	v_mul_lo_u32 v89, s7, v59
	v_mad_u64_u32 v[55:56], null, s6, v59, 0
	v_mul_lo_u32 v90, s6, v60
	s_delay_alu instid0(VALU_DEP_2) | instskip(NEXT) | instid1(VALU_DEP_2)
	v_sub_co_u32 v55, vcc_lo, v95, v55
	v_add3_u32 v56, v56, v90, v89
	s_delay_alu instid0(VALU_DEP_1) | instskip(NEXT) | instid1(VALU_DEP_1)
	v_sub_nc_u32_e32 v89, v93, v56
	v_subrev_co_ci_u32_e64 v89, s0, s7, v89, vcc_lo
	v_add_co_u32 v90, s0, v59, 2
	s_delay_alu instid0(VALU_DEP_1) | instskip(SKIP_3) | instid1(VALU_DEP_3)
	v_add_co_ci_u32_e64 v95, s0, 0, v60, s0
	v_sub_co_u32 v96, s0, v55, s6
	v_sub_co_ci_u32_e32 v56, vcc_lo, v93, v56, vcc_lo
	v_subrev_co_ci_u32_e64 v89, s0, 0, v89, s0
	v_cmp_le_u32_e32 vcc_lo, s6, v96
	s_delay_alu instid0(VALU_DEP_3) | instskip(SKIP_1) | instid1(VALU_DEP_4)
	v_cmp_eq_u32_e64 s0, s7, v56
	v_cndmask_b32_e64 v93, 0, -1, vcc_lo
	v_cmp_le_u32_e32 vcc_lo, s7, v89
	v_cndmask_b32_e64 v96, 0, -1, vcc_lo
	v_cmp_le_u32_e32 vcc_lo, s6, v55
	;; [unrolled: 2-line block ×3, first 2 shown]
	v_cndmask_b32_e64 v97, 0, -1, vcc_lo
	v_cmp_eq_u32_e32 vcc_lo, s7, v89
	s_delay_alu instid0(VALU_DEP_2) | instskip(SKIP_3) | instid1(VALU_DEP_3)
	v_cndmask_b32_e64 v55, v97, v55, s0
	v_cndmask_b32_e32 v89, v96, v93, vcc_lo
	v_add_co_u32 v93, vcc_lo, v59, 1
	v_add_co_ci_u32_e32 v96, vcc_lo, 0, v60, vcc_lo
	v_cmp_ne_u32_e32 vcc_lo, 0, v89
	s_delay_alu instid0(VALU_DEP_2) | instskip(SKIP_2) | instid1(VALU_DEP_3)
	v_dual_cndmask_b32 v56, v96, v95 :: v_dual_cndmask_b32 v89, v93, v90
	v_cmp_ne_u32_e32 vcc_lo, 0, v55
	v_xor_b32_e32 v55, s4, v94
	v_dual_cndmask_b32 v59, v59, v89 :: v_dual_cndmask_b32 v56, v60, v56
	s_delay_alu instid0(VALU_DEP_1) | instskip(NEXT) | instid1(VALU_DEP_2)
	v_xor_b32_e32 v59, v59, v55
	v_xor_b32_e32 v56, v56, v55
	s_delay_alu instid0(VALU_DEP_2) | instskip(NEXT) | instid1(VALU_DEP_2)
	v_sub_co_u32 v59, vcc_lo, v59, v55
	v_sub_co_ci_u32_e32 v60, vcc_lo, v56, v55, vcc_lo
.LBB1149_119:
	s_and_not1_saveexec_b32 s0, s1
	s_cbranch_execz .LBB1149_121
; %bb.120:
	v_cvt_f32_u32_e32 v55, s44
	s_sub_i32 s1, 0, s44
	s_delay_alu instid0(VALU_DEP_1) | instskip(SKIP_2) | instid1(VALU_DEP_1)
	v_rcp_iflag_f32_e32 v55, v55
	s_waitcnt_depctr 0xfff
	v_mul_f32_e32 v55, 0x4f7ffffe, v55
	v_cvt_u32_f32_e32 v55, v55
	s_delay_alu instid0(VALU_DEP_1) | instskip(NEXT) | instid1(VALU_DEP_1)
	v_mul_lo_u32 v56, s1, v55
	v_mul_hi_u32 v56, v55, v56
	s_delay_alu instid0(VALU_DEP_1) | instskip(NEXT) | instid1(VALU_DEP_1)
	v_add_nc_u32_e32 v55, v55, v56
	v_mul_hi_u32 v55, v91, v55
	s_delay_alu instid0(VALU_DEP_1) | instskip(SKIP_1) | instid1(VALU_DEP_2)
	v_mul_lo_u32 v56, v55, s44
	v_add_nc_u32_e32 v59, 1, v55
	v_sub_nc_u32_e32 v56, v91, v56
	s_delay_alu instid0(VALU_DEP_1) | instskip(SKIP_1) | instid1(VALU_DEP_2)
	v_subrev_nc_u32_e32 v60, s44, v56
	v_cmp_le_u32_e32 vcc_lo, s44, v56
	v_cndmask_b32_e32 v56, v56, v60, vcc_lo
	v_dual_mov_b32 v60, 0 :: v_dual_cndmask_b32 v55, v55, v59
	s_delay_alu instid0(VALU_DEP_2) | instskip(NEXT) | instid1(VALU_DEP_2)
	v_cmp_le_u32_e32 vcc_lo, s44, v56
	v_add_nc_u32_e32 v59, 1, v55
	s_delay_alu instid0(VALU_DEP_1)
	v_cndmask_b32_e32 v59, v55, v59, vcc_lo
.LBB1149_121:
	s_or_b32 exec_lo, exec_lo, s0
	v_add_co_u32 v89, vcc_lo, 0xe00, v63
	v_add_co_ci_u32_e32 v90, vcc_lo, 0, v64, vcc_lo
	v_mov_b32_e32 v55, 0
	s_delay_alu instid0(VALU_DEP_2) | instskip(NEXT) | instid1(VALU_DEP_1)
	v_or_b32_e32 v56, s45, v90
	v_cmp_ne_u64_e32 vcc_lo, 0, v[55:56]
                                        ; implicit-def: $vgpr55_vgpr56
	s_and_saveexec_b32 s0, vcc_lo
	s_delay_alu instid0(SALU_CYCLE_1)
	s_xor_b32 s1, exec_lo, s0
	s_cbranch_execz .LBB1149_123
; %bb.122:
	s_ashr_i32 s4, s45, 31
	s_delay_alu instid0(SALU_CYCLE_1) | instskip(SKIP_2) | instid1(SALU_CYCLE_1)
	s_add_u32 s6, s44, s4
	s_mov_b32 s5, s4
	s_addc_u32 s7, s45, s4
	s_xor_b64 s[6:7], s[6:7], s[4:5]
	s_delay_alu instid0(SALU_CYCLE_1) | instskip(SKIP_3) | instid1(VALU_DEP_1)
	v_cvt_f32_u32_e32 v55, s6
	v_cvt_f32_u32_e32 v56, s7
	s_sub_u32 s0, 0, s6
	s_subb_u32 s5, 0, s7
	v_fmamk_f32 v55, v56, 0x4f800000, v55
	s_delay_alu instid0(VALU_DEP_1) | instskip(SKIP_2) | instid1(VALU_DEP_1)
	v_rcp_f32_e32 v55, v55
	s_waitcnt_depctr 0xfff
	v_mul_f32_e32 v55, 0x5f7ffffc, v55
	v_mul_f32_e32 v56, 0x2f800000, v55
	s_delay_alu instid0(VALU_DEP_1) | instskip(NEXT) | instid1(VALU_DEP_1)
	v_trunc_f32_e32 v56, v56
	v_fmamk_f32 v55, v56, 0xcf800000, v55
	v_cvt_u32_f32_e32 v56, v56
	s_delay_alu instid0(VALU_DEP_2) | instskip(NEXT) | instid1(VALU_DEP_2)
	v_cvt_u32_f32_e32 v55, v55
	v_mul_lo_u32 v93, s0, v56
	s_delay_alu instid0(VALU_DEP_2) | instskip(SKIP_1) | instid1(VALU_DEP_2)
	v_mul_hi_u32 v94, s0, v55
	v_mul_lo_u32 v95, s5, v55
	v_add_nc_u32_e32 v93, v94, v93
	v_mul_lo_u32 v94, s0, v55
	s_delay_alu instid0(VALU_DEP_2) | instskip(NEXT) | instid1(VALU_DEP_2)
	v_add_nc_u32_e32 v93, v93, v95
	v_mul_hi_u32 v95, v55, v94
	s_delay_alu instid0(VALU_DEP_2)
	v_mul_lo_u32 v96, v55, v93
	v_mul_hi_u32 v97, v55, v93
	v_mul_hi_u32 v98, v56, v94
	v_mul_lo_u32 v94, v56, v94
	v_mul_hi_u32 v99, v56, v93
	v_mul_lo_u32 v93, v56, v93
	v_add_co_u32 v95, vcc_lo, v95, v96
	v_add_co_ci_u32_e32 v96, vcc_lo, 0, v97, vcc_lo
	s_delay_alu instid0(VALU_DEP_2) | instskip(NEXT) | instid1(VALU_DEP_2)
	v_add_co_u32 v94, vcc_lo, v95, v94
	v_add_co_ci_u32_e32 v94, vcc_lo, v96, v98, vcc_lo
	v_add_co_ci_u32_e32 v95, vcc_lo, 0, v99, vcc_lo
	v_ashrrev_i32_e32 v98, 31, v90
	s_delay_alu instid0(VALU_DEP_3) | instskip(NEXT) | instid1(VALU_DEP_3)
	v_add_co_u32 v93, vcc_lo, v94, v93
	v_add_co_ci_u32_e32 v94, vcc_lo, 0, v95, vcc_lo
	s_delay_alu instid0(VALU_DEP_2) | instskip(NEXT) | instid1(VALU_DEP_2)
	v_add_co_u32 v55, vcc_lo, v55, v93
	v_add_co_ci_u32_e32 v56, vcc_lo, v56, v94, vcc_lo
	s_delay_alu instid0(VALU_DEP_2) | instskip(SKIP_1) | instid1(VALU_DEP_3)
	v_mul_hi_u32 v93, s0, v55
	v_mul_lo_u32 v95, s5, v55
	v_mul_lo_u32 v94, s0, v56
	s_delay_alu instid0(VALU_DEP_1) | instskip(SKIP_1) | instid1(VALU_DEP_2)
	v_add_nc_u32_e32 v93, v93, v94
	v_mul_lo_u32 v94, s0, v55
	v_add_nc_u32_e32 v93, v93, v95
	s_delay_alu instid0(VALU_DEP_2) | instskip(NEXT) | instid1(VALU_DEP_2)
	v_mul_hi_u32 v95, v55, v94
	v_mul_lo_u32 v96, v55, v93
	v_mul_hi_u32 v97, v55, v93
	v_mul_hi_u32 v99, v56, v94
	v_mul_lo_u32 v94, v56, v94
	v_mul_hi_u32 v100, v56, v93
	v_mul_lo_u32 v93, v56, v93
	v_add_co_u32 v95, vcc_lo, v95, v96
	v_add_co_ci_u32_e32 v96, vcc_lo, 0, v97, vcc_lo
	s_delay_alu instid0(VALU_DEP_2) | instskip(NEXT) | instid1(VALU_DEP_2)
	v_add_co_u32 v94, vcc_lo, v95, v94
	v_add_co_ci_u32_e32 v94, vcc_lo, v96, v99, vcc_lo
	v_add_co_ci_u32_e32 v95, vcc_lo, 0, v100, vcc_lo
	v_add_co_u32 v96, vcc_lo, v89, v98
	v_add_co_ci_u32_e32 v97, vcc_lo, v90, v98, vcc_lo
	s_delay_alu instid0(VALU_DEP_4) | instskip(NEXT) | instid1(VALU_DEP_4)
	v_add_co_u32 v93, vcc_lo, v94, v93
	v_add_co_ci_u32_e32 v94, vcc_lo, 0, v95, vcc_lo
	s_delay_alu instid0(VALU_DEP_4) | instskip(NEXT) | instid1(VALU_DEP_3)
	v_xor_b32_e32 v99, v96, v98
	v_add_co_u32 v95, vcc_lo, v55, v93
	s_delay_alu instid0(VALU_DEP_3) | instskip(SKIP_1) | instid1(VALU_DEP_3)
	v_add_co_ci_u32_e32 v100, vcc_lo, v56, v94, vcc_lo
	v_xor_b32_e32 v97, v97, v98
	v_mul_hi_u32 v101, v99, v95
	s_delay_alu instid0(VALU_DEP_3) | instskip(NEXT) | instid1(VALU_DEP_3)
	v_mad_u64_u32 v[55:56], null, v99, v100, 0
	v_mad_u64_u32 v[93:94], null, v97, v95, 0
	;; [unrolled: 1-line block ×3, first 2 shown]
	s_delay_alu instid0(VALU_DEP_3) | instskip(NEXT) | instid1(VALU_DEP_4)
	v_add_co_u32 v55, vcc_lo, v101, v55
	v_add_co_ci_u32_e32 v56, vcc_lo, 0, v56, vcc_lo
	s_delay_alu instid0(VALU_DEP_2) | instskip(NEXT) | instid1(VALU_DEP_2)
	v_add_co_u32 v55, vcc_lo, v55, v93
	v_add_co_ci_u32_e32 v55, vcc_lo, v56, v94, vcc_lo
	v_add_co_ci_u32_e32 v56, vcc_lo, 0, v96, vcc_lo
	s_delay_alu instid0(VALU_DEP_2) | instskip(NEXT) | instid1(VALU_DEP_2)
	v_add_co_u32 v93, vcc_lo, v55, v95
	v_add_co_ci_u32_e32 v94, vcc_lo, 0, v56, vcc_lo
	s_delay_alu instid0(VALU_DEP_2) | instskip(SKIP_1) | instid1(VALU_DEP_3)
	v_mul_lo_u32 v95, s7, v93
	v_mad_u64_u32 v[55:56], null, s6, v93, 0
	v_mul_lo_u32 v96, s6, v94
	s_delay_alu instid0(VALU_DEP_2) | instskip(NEXT) | instid1(VALU_DEP_2)
	v_sub_co_u32 v55, vcc_lo, v99, v55
	v_add3_u32 v56, v56, v96, v95
	s_delay_alu instid0(VALU_DEP_1) | instskip(NEXT) | instid1(VALU_DEP_1)
	v_sub_nc_u32_e32 v95, v97, v56
	v_subrev_co_ci_u32_e64 v95, s0, s7, v95, vcc_lo
	v_add_co_u32 v96, s0, v93, 2
	s_delay_alu instid0(VALU_DEP_1) | instskip(SKIP_3) | instid1(VALU_DEP_3)
	v_add_co_ci_u32_e64 v99, s0, 0, v94, s0
	v_sub_co_u32 v100, s0, v55, s6
	v_sub_co_ci_u32_e32 v56, vcc_lo, v97, v56, vcc_lo
	v_subrev_co_ci_u32_e64 v95, s0, 0, v95, s0
	v_cmp_le_u32_e32 vcc_lo, s6, v100
	s_delay_alu instid0(VALU_DEP_3) | instskip(SKIP_1) | instid1(VALU_DEP_4)
	v_cmp_eq_u32_e64 s0, s7, v56
	v_cndmask_b32_e64 v97, 0, -1, vcc_lo
	v_cmp_le_u32_e32 vcc_lo, s7, v95
	v_cndmask_b32_e64 v100, 0, -1, vcc_lo
	v_cmp_le_u32_e32 vcc_lo, s6, v55
	;; [unrolled: 2-line block ×3, first 2 shown]
	v_cndmask_b32_e64 v101, 0, -1, vcc_lo
	v_cmp_eq_u32_e32 vcc_lo, s7, v95
	s_delay_alu instid0(VALU_DEP_2) | instskip(SKIP_3) | instid1(VALU_DEP_3)
	v_cndmask_b32_e64 v55, v101, v55, s0
	v_cndmask_b32_e32 v95, v100, v97, vcc_lo
	v_add_co_u32 v97, vcc_lo, v93, 1
	v_add_co_ci_u32_e32 v100, vcc_lo, 0, v94, vcc_lo
	v_cmp_ne_u32_e32 vcc_lo, 0, v95
	s_delay_alu instid0(VALU_DEP_2) | instskip(SKIP_2) | instid1(VALU_DEP_3)
	v_dual_cndmask_b32 v56, v100, v99 :: v_dual_cndmask_b32 v95, v97, v96
	v_cmp_ne_u32_e32 vcc_lo, 0, v55
	v_xor_b32_e32 v96, s4, v98
	v_dual_cndmask_b32 v55, v94, v56 :: v_dual_cndmask_b32 v56, v93, v95
	s_delay_alu instid0(VALU_DEP_1) | instskip(NEXT) | instid1(VALU_DEP_2)
	v_xor_b32_e32 v93, v55, v96
	v_xor_b32_e32 v56, v56, v96
	s_delay_alu instid0(VALU_DEP_1) | instskip(NEXT) | instid1(VALU_DEP_3)
	v_sub_co_u32 v55, vcc_lo, v56, v96
	v_sub_co_ci_u32_e32 v56, vcc_lo, v93, v96, vcc_lo
.LBB1149_123:
	s_and_not1_saveexec_b32 s0, s1
	s_cbranch_execz .LBB1149_125
; %bb.124:
	v_cvt_f32_u32_e32 v55, s44
	s_sub_i32 s1, 0, s44
	s_delay_alu instid0(VALU_DEP_1) | instskip(SKIP_2) | instid1(VALU_DEP_1)
	v_rcp_iflag_f32_e32 v55, v55
	s_waitcnt_depctr 0xfff
	v_mul_f32_e32 v55, 0x4f7ffffe, v55
	v_cvt_u32_f32_e32 v55, v55
	s_delay_alu instid0(VALU_DEP_1) | instskip(NEXT) | instid1(VALU_DEP_1)
	v_mul_lo_u32 v56, s1, v55
	v_mul_hi_u32 v56, v55, v56
	s_delay_alu instid0(VALU_DEP_1) | instskip(NEXT) | instid1(VALU_DEP_1)
	v_add_nc_u32_e32 v55, v55, v56
	v_mul_hi_u32 v55, v89, v55
	s_delay_alu instid0(VALU_DEP_1) | instskip(SKIP_1) | instid1(VALU_DEP_2)
	v_mul_lo_u32 v56, v55, s44
	v_add_nc_u32_e32 v93, 1, v55
	v_sub_nc_u32_e32 v56, v89, v56
	s_delay_alu instid0(VALU_DEP_1) | instskip(SKIP_1) | instid1(VALU_DEP_2)
	v_subrev_nc_u32_e32 v94, s44, v56
	v_cmp_le_u32_e32 vcc_lo, s44, v56
	v_dual_cndmask_b32 v56, v56, v94 :: v_dual_cndmask_b32 v55, v55, v93
	s_delay_alu instid0(VALU_DEP_1) | instskip(NEXT) | instid1(VALU_DEP_2)
	v_cmp_le_u32_e32 vcc_lo, s44, v56
	v_dual_mov_b32 v56, 0 :: v_dual_add_nc_u32 v93, 1, v55
	s_delay_alu instid0(VALU_DEP_1)
	v_cndmask_b32_e32 v55, v55, v93, vcc_lo
.LBB1149_125:
	s_or_b32 exec_lo, exec_lo, s0
	v_mul_lo_u32 v97, v60, s44
	v_mul_lo_u32 v98, v59, s45
	v_mad_u64_u32 v[93:94], null, v59, s44, 0
	v_mul_lo_u32 v99, v54, s44
	v_mul_lo_u32 v100, v53, s45
	v_mad_u64_u32 v[95:96], null, v53, s44, 0
	v_mul_lo_u32 v101, v52, s44
	v_mul_lo_u32 v102, v51, s45
	v_add3_u32 v94, v94, v98, v97
	v_mad_u64_u32 v[97:98], null, v51, s44, 0
	v_sub_co_u32 v91, vcc_lo, v91, v93
	s_delay_alu instid0(VALU_DEP_3) | instskip(NEXT) | instid1(VALU_DEP_2)
	v_sub_co_ci_u32_e32 v92, vcc_lo, v92, v94, vcc_lo
	v_add_co_u32 v59, vcc_lo, v59, v91
	v_add3_u32 v91, v96, v100, v99
	s_delay_alu instid0(VALU_DEP_3) | instskip(SKIP_2) | instid1(VALU_DEP_4)
	v_add_co_ci_u32_e32 v60, vcc_lo, v60, v92, vcc_lo
	v_add3_u32 v92, v98, v102, v101
	v_sub_co_u32 v93, vcc_lo, v87, v95
	v_sub_co_ci_u32_e32 v91, vcc_lo, v88, v91, vcc_lo
	v_sub_co_u32 v94, vcc_lo, v85, v97
	s_delay_alu instid0(VALU_DEP_4)
	v_sub_co_ci_u32_e32 v92, vcc_lo, v86, v92, vcc_lo
	v_mul_lo_u32 v95, v50, s44
	v_mul_lo_u32 v96, v49, s45
	v_mad_u64_u32 v[85:86], null, v49, s44, 0
	v_mul_lo_u32 v97, v48, s44
	v_mul_lo_u32 v98, v47, s45
	v_mad_u64_u32 v[87:88], null, v47, s44, 0
	v_add_co_u32 v53, vcc_lo, v53, v93
	v_add_co_ci_u32_e32 v54, vcc_lo, v54, v91, vcc_lo
	v_add_co_u32 v51, vcc_lo, v51, v94
	v_add3_u32 v86, v86, v96, v95
	v_add_co_ci_u32_e32 v52, vcc_lo, v52, v92, vcc_lo
	v_add3_u32 v88, v88, v98, v97
	v_sub_co_u32 v85, vcc_lo, v83, v85
	s_delay_alu instid0(VALU_DEP_4) | instskip(SKIP_1) | instid1(VALU_DEP_4)
	v_sub_co_ci_u32_e32 v86, vcc_lo, v84, v86, vcc_lo
	v_sub_co_u32 v87, vcc_lo, v81, v87
	v_sub_co_ci_u32_e32 v88, vcc_lo, v82, v88, vcc_lo
	v_mul_lo_u32 v91, v46, s44
	v_mul_lo_u32 v92, v45, s45
	v_mad_u64_u32 v[81:82], null, v45, s44, 0
	v_mul_lo_u32 v93, v44, s44
	v_mul_lo_u32 v94, v43, s45
	v_mad_u64_u32 v[83:84], null, v43, s44, 0
	v_add_co_u32 v49, vcc_lo, v49, v85
	v_add_co_ci_u32_e32 v50, vcc_lo, v50, v86, vcc_lo
	v_add_co_u32 v47, vcc_lo, v47, v87
	v_add3_u32 v82, v82, v92, v91
	v_add_co_ci_u32_e32 v48, vcc_lo, v48, v88, vcc_lo
	v_add3_u32 v84, v84, v94, v93
	v_sub_co_u32 v81, vcc_lo, v79, v81
	s_delay_alu instid0(VALU_DEP_4) | instskip(SKIP_1) | instid1(VALU_DEP_4)
	v_sub_co_ci_u32_e32 v82, vcc_lo, v80, v82, vcc_lo
	v_sub_co_u32 v83, vcc_lo, v77, v83
	;; [unrolled: 17-line block ×6, first 2 shown]
	v_sub_co_ci_u32_e32 v66, vcc_lo, v90, v68, vcc_lo
	s_delay_alu instid0(VALU_DEP_4) | instskip(NEXT) | instid1(VALU_DEP_4)
	v_add_co_u32 v29, vcc_lo, v29, v63
	v_add_co_ci_u32_e32 v30, vcc_lo, v30, v64, vcc_lo
	s_delay_alu instid0(VALU_DEP_4) | instskip(NEXT) | instid1(VALU_DEP_4)
	v_add_co_u32 v55, vcc_lo, v55, v65
	v_add_co_ci_u32_e32 v56, vcc_lo, v56, v66, vcc_lo
	ds_store_2addr_stride64_b64 v62, v[29:30], v[31:32] offset1:4
	ds_store_2addr_stride64_b64 v62, v[33:34], v[35:36] offset0:8 offset1:12
	ds_store_2addr_stride64_b64 v62, v[37:38], v[39:40] offset0:16 offset1:20
	ds_store_2addr_stride64_b64 v62, v[41:42], v[43:44] offset0:24 offset1:28
	ds_store_2addr_stride64_b64 v62, v[45:46], v[47:48] offset0:32 offset1:36
	ds_store_2addr_stride64_b64 v62, v[49:50], v[51:52] offset0:40 offset1:44
	ds_store_2addr_stride64_b64 v62, v[53:54], v[59:60] offset0:48 offset1:52
	ds_store_b64 v62, v[55:56] offset:28672
	s_waitcnt lgkmcnt(0)
	s_barrier
	s_add_i32 s34, s34, s64
	s_branch .LBB1149_308
.LBB1149_126:
                                        ; implicit-def: $vgpr61
                                        ; implicit-def: $vgpr25_vgpr26
                                        ; implicit-def: $vgpr21_vgpr22
                                        ; implicit-def: $vgpr17_vgpr18
                                        ; implicit-def: $vgpr13_vgpr14
                                        ; implicit-def: $vgpr9_vgpr10
                                        ; implicit-def: $vgpr5_vgpr6
                                        ; implicit-def: $vgpr1_vgpr2
                                        ; implicit-def: $vgpr57_vgpr58
	s_add_i32 s34, s34, s64
	s_cbranch_execz .LBB1149_308
; %bb.127:
	v_cmp_gt_u32_e64 s16, s34, v0
                                        ; implicit-def: $vgpr1_vgpr2
	s_delay_alu instid0(VALU_DEP_1)
	s_and_saveexec_b32 s1, s16
	s_cbranch_execz .LBB1149_133
; %bb.128:
	v_add_co_u32 v3, s0, s24, v0
	s_delay_alu instid0(VALU_DEP_1) | instskip(SKIP_1) | instid1(VALU_DEP_2)
	v_add_co_ci_u32_e64 v4, null, s25, 0, s0
	v_mov_b32_e32 v1, 0
	v_or_b32_e32 v2, s39, v4
	s_delay_alu instid0(VALU_DEP_1) | instskip(SKIP_1) | instid1(SALU_CYCLE_1)
	v_cmp_ne_u64_e32 vcc_lo, 0, v[1:2]
                                        ; implicit-def: $vgpr1_vgpr2
	s_and_saveexec_b32 s0, vcc_lo
	s_xor_b32 s8, exec_lo, s0
	s_cbranch_execz .LBB1149_130
; %bb.129:
	s_ashr_i32 s4, s39, 31
	s_delay_alu instid0(SALU_CYCLE_1) | instskip(SKIP_2) | instid1(SALU_CYCLE_1)
	s_add_u32 s6, s38, s4
	s_mov_b32 s5, s4
	s_addc_u32 s7, s39, s4
	s_xor_b64 s[6:7], s[6:7], s[4:5]
	s_delay_alu instid0(SALU_CYCLE_1) | instskip(SKIP_3) | instid1(VALU_DEP_1)
	v_cvt_f32_u32_e32 v1, s6
	v_cvt_f32_u32_e32 v2, s7
	s_sub_u32 s0, 0, s6
	s_subb_u32 s5, 0, s7
	v_fmamk_f32 v1, v2, 0x4f800000, v1
	s_delay_alu instid0(VALU_DEP_1) | instskip(SKIP_2) | instid1(VALU_DEP_1)
	v_rcp_f32_e32 v1, v1
	s_waitcnt_depctr 0xfff
	v_mul_f32_e32 v1, 0x5f7ffffc, v1
	v_mul_f32_e32 v2, 0x2f800000, v1
	s_delay_alu instid0(VALU_DEP_1) | instskip(NEXT) | instid1(VALU_DEP_1)
	v_trunc_f32_e32 v2, v2
	v_fmamk_f32 v1, v2, 0xcf800000, v1
	v_cvt_u32_f32_e32 v2, v2
	s_delay_alu instid0(VALU_DEP_2) | instskip(NEXT) | instid1(VALU_DEP_2)
	v_cvt_u32_f32_e32 v1, v1
	v_mul_lo_u32 v5, s0, v2
	s_delay_alu instid0(VALU_DEP_2) | instskip(SKIP_1) | instid1(VALU_DEP_2)
	v_mul_hi_u32 v6, s0, v1
	v_mul_lo_u32 v7, s5, v1
	v_add_nc_u32_e32 v5, v6, v5
	v_mul_lo_u32 v6, s0, v1
	s_delay_alu instid0(VALU_DEP_2) | instskip(NEXT) | instid1(VALU_DEP_2)
	v_add_nc_u32_e32 v5, v5, v7
	v_mul_hi_u32 v7, v1, v6
	s_delay_alu instid0(VALU_DEP_2)
	v_mul_lo_u32 v8, v1, v5
	v_mul_hi_u32 v9, v1, v5
	v_mul_hi_u32 v10, v2, v6
	v_mul_lo_u32 v6, v2, v6
	v_mul_hi_u32 v11, v2, v5
	v_mul_lo_u32 v5, v2, v5
	v_add_co_u32 v7, vcc_lo, v7, v8
	v_add_co_ci_u32_e32 v8, vcc_lo, 0, v9, vcc_lo
	s_delay_alu instid0(VALU_DEP_2) | instskip(NEXT) | instid1(VALU_DEP_2)
	v_add_co_u32 v6, vcc_lo, v7, v6
	v_add_co_ci_u32_e32 v6, vcc_lo, v8, v10, vcc_lo
	v_add_co_ci_u32_e32 v7, vcc_lo, 0, v11, vcc_lo
	v_ashrrev_i32_e32 v10, 31, v4
	s_delay_alu instid0(VALU_DEP_3) | instskip(NEXT) | instid1(VALU_DEP_3)
	v_add_co_u32 v5, vcc_lo, v6, v5
	v_add_co_ci_u32_e32 v6, vcc_lo, 0, v7, vcc_lo
	s_delay_alu instid0(VALU_DEP_2) | instskip(NEXT) | instid1(VALU_DEP_2)
	v_add_co_u32 v1, vcc_lo, v1, v5
	v_add_co_ci_u32_e32 v2, vcc_lo, v2, v6, vcc_lo
	s_delay_alu instid0(VALU_DEP_2) | instskip(SKIP_1) | instid1(VALU_DEP_3)
	v_mul_hi_u32 v5, s0, v1
	v_mul_lo_u32 v7, s5, v1
	v_mul_lo_u32 v6, s0, v2
	s_delay_alu instid0(VALU_DEP_1) | instskip(SKIP_1) | instid1(VALU_DEP_2)
	v_add_nc_u32_e32 v5, v5, v6
	v_mul_lo_u32 v6, s0, v1
	v_add_nc_u32_e32 v5, v5, v7
	s_delay_alu instid0(VALU_DEP_2) | instskip(NEXT) | instid1(VALU_DEP_2)
	v_mul_hi_u32 v7, v1, v6
	v_mul_lo_u32 v8, v1, v5
	v_mul_hi_u32 v9, v1, v5
	v_mul_hi_u32 v11, v2, v6
	v_mul_lo_u32 v6, v2, v6
	v_mul_hi_u32 v12, v2, v5
	v_mul_lo_u32 v5, v2, v5
	v_add_co_u32 v7, vcc_lo, v7, v8
	v_add_co_ci_u32_e32 v8, vcc_lo, 0, v9, vcc_lo
	s_delay_alu instid0(VALU_DEP_2) | instskip(NEXT) | instid1(VALU_DEP_2)
	v_add_co_u32 v6, vcc_lo, v7, v6
	v_add_co_ci_u32_e32 v6, vcc_lo, v8, v11, vcc_lo
	v_add_co_ci_u32_e32 v7, vcc_lo, 0, v12, vcc_lo
	v_add_co_u32 v3, vcc_lo, v3, v10
	v_add_co_ci_u32_e32 v4, vcc_lo, v4, v10, vcc_lo
	s_delay_alu instid0(VALU_DEP_4) | instskip(NEXT) | instid1(VALU_DEP_4)
	v_add_co_u32 v5, vcc_lo, v6, v5
	v_add_co_ci_u32_e32 v6, vcc_lo, 0, v7, vcc_lo
	s_delay_alu instid0(VALU_DEP_4) | instskip(NEXT) | instid1(VALU_DEP_3)
	v_xor_b32_e32 v7, v3, v10
	v_add_co_u32 v5, vcc_lo, v1, v5
	s_delay_alu instid0(VALU_DEP_3) | instskip(SKIP_1) | instid1(VALU_DEP_3)
	v_add_co_ci_u32_e32 v8, vcc_lo, v2, v6, vcc_lo
	v_xor_b32_e32 v9, v4, v10
	v_mul_hi_u32 v11, v7, v5
	s_delay_alu instid0(VALU_DEP_3) | instskip(NEXT) | instid1(VALU_DEP_3)
	v_mad_u64_u32 v[1:2], null, v7, v8, 0
	v_mad_u64_u32 v[3:4], null, v9, v5, 0
	;; [unrolled: 1-line block ×3, first 2 shown]
	s_delay_alu instid0(VALU_DEP_3) | instskip(NEXT) | instid1(VALU_DEP_4)
	v_add_co_u32 v1, vcc_lo, v11, v1
	v_add_co_ci_u32_e32 v2, vcc_lo, 0, v2, vcc_lo
	s_delay_alu instid0(VALU_DEP_2) | instskip(NEXT) | instid1(VALU_DEP_2)
	v_add_co_u32 v1, vcc_lo, v1, v3
	v_add_co_ci_u32_e32 v1, vcc_lo, v2, v4, vcc_lo
	v_add_co_ci_u32_e32 v2, vcc_lo, 0, v6, vcc_lo
	s_delay_alu instid0(VALU_DEP_2) | instskip(NEXT) | instid1(VALU_DEP_2)
	v_add_co_u32 v3, vcc_lo, v1, v5
	v_add_co_ci_u32_e32 v4, vcc_lo, 0, v2, vcc_lo
	s_delay_alu instid0(VALU_DEP_2) | instskip(SKIP_1) | instid1(VALU_DEP_3)
	v_mul_lo_u32 v5, s7, v3
	v_mad_u64_u32 v[1:2], null, s6, v3, 0
	v_mul_lo_u32 v6, s6, v4
	s_delay_alu instid0(VALU_DEP_2) | instskip(NEXT) | instid1(VALU_DEP_2)
	v_sub_co_u32 v1, vcc_lo, v7, v1
	v_add3_u32 v2, v2, v6, v5
	s_delay_alu instid0(VALU_DEP_1) | instskip(NEXT) | instid1(VALU_DEP_1)
	v_sub_nc_u32_e32 v5, v9, v2
	v_subrev_co_ci_u32_e64 v5, s0, s7, v5, vcc_lo
	v_add_co_u32 v6, s0, v3, 2
	s_delay_alu instid0(VALU_DEP_1) | instskip(SKIP_3) | instid1(VALU_DEP_3)
	v_add_co_ci_u32_e64 v7, s0, 0, v4, s0
	v_sub_co_u32 v8, s0, v1, s6
	v_sub_co_ci_u32_e32 v2, vcc_lo, v9, v2, vcc_lo
	v_subrev_co_ci_u32_e64 v5, s0, 0, v5, s0
	v_cmp_le_u32_e32 vcc_lo, s6, v8
	s_delay_alu instid0(VALU_DEP_3) | instskip(SKIP_1) | instid1(VALU_DEP_4)
	v_cmp_eq_u32_e64 s0, s7, v2
	v_cndmask_b32_e64 v8, 0, -1, vcc_lo
	v_cmp_le_u32_e32 vcc_lo, s7, v5
	v_cndmask_b32_e64 v9, 0, -1, vcc_lo
	v_cmp_le_u32_e32 vcc_lo, s6, v1
	;; [unrolled: 2-line block ×3, first 2 shown]
	v_cndmask_b32_e64 v11, 0, -1, vcc_lo
	v_cmp_eq_u32_e32 vcc_lo, s7, v5
	s_delay_alu instid0(VALU_DEP_2) | instskip(SKIP_3) | instid1(VALU_DEP_3)
	v_cndmask_b32_e64 v1, v11, v1, s0
	v_cndmask_b32_e32 v5, v9, v8, vcc_lo
	v_add_co_u32 v8, vcc_lo, v3, 1
	v_add_co_ci_u32_e32 v9, vcc_lo, 0, v4, vcc_lo
	v_cmp_ne_u32_e32 vcc_lo, 0, v5
	s_delay_alu instid0(VALU_DEP_2) | instskip(SKIP_2) | instid1(VALU_DEP_3)
	v_dual_cndmask_b32 v2, v9, v7 :: v_dual_cndmask_b32 v5, v8, v6
	v_cmp_ne_u32_e32 vcc_lo, 0, v1
	v_xor_b32_e32 v6, s4, v10
	v_dual_cndmask_b32 v1, v4, v2 :: v_dual_cndmask_b32 v2, v3, v5
	s_delay_alu instid0(VALU_DEP_1) | instskip(NEXT) | instid1(VALU_DEP_2)
	v_xor_b32_e32 v3, v1, v6
	v_xor_b32_e32 v2, v2, v6
	s_delay_alu instid0(VALU_DEP_1) | instskip(NEXT) | instid1(VALU_DEP_3)
	v_sub_co_u32 v1, vcc_lo, v2, v6
	v_sub_co_ci_u32_e32 v2, vcc_lo, v3, v6, vcc_lo
                                        ; implicit-def: $vgpr3
.LBB1149_130:
	s_and_not1_saveexec_b32 s0, s8
	s_cbranch_execz .LBB1149_132
; %bb.131:
	v_cvt_f32_u32_e32 v1, s38
	s_sub_i32 s4, 0, s38
	s_delay_alu instid0(VALU_DEP_1) | instskip(SKIP_2) | instid1(VALU_DEP_1)
	v_rcp_iflag_f32_e32 v1, v1
	s_waitcnt_depctr 0xfff
	v_mul_f32_e32 v1, 0x4f7ffffe, v1
	v_cvt_u32_f32_e32 v1, v1
	s_delay_alu instid0(VALU_DEP_1) | instskip(NEXT) | instid1(VALU_DEP_1)
	v_mul_lo_u32 v2, s4, v1
	v_mul_hi_u32 v2, v1, v2
	s_delay_alu instid0(VALU_DEP_1) | instskip(NEXT) | instid1(VALU_DEP_1)
	v_add_nc_u32_e32 v1, v1, v2
	v_mul_hi_u32 v1, v3, v1
	s_delay_alu instid0(VALU_DEP_1) | instskip(NEXT) | instid1(VALU_DEP_1)
	v_mul_lo_u32 v2, v1, s38
	v_sub_nc_u32_e32 v2, v3, v2
	v_add_nc_u32_e32 v3, 1, v1
	s_delay_alu instid0(VALU_DEP_2) | instskip(SKIP_1) | instid1(VALU_DEP_2)
	v_subrev_nc_u32_e32 v4, s38, v2
	v_cmp_le_u32_e32 vcc_lo, s38, v2
	v_dual_cndmask_b32 v2, v2, v4 :: v_dual_cndmask_b32 v1, v1, v3
	s_delay_alu instid0(VALU_DEP_1) | instskip(NEXT) | instid1(VALU_DEP_2)
	v_cmp_le_u32_e32 vcc_lo, s38, v2
	v_dual_mov_b32 v2, 0 :: v_dual_add_nc_u32 v3, 1, v1
	s_delay_alu instid0(VALU_DEP_1)
	v_cndmask_b32_e32 v1, v1, v3, vcc_lo
.LBB1149_132:
	s_or_b32 exec_lo, exec_lo, s0
.LBB1149_133:
	s_delay_alu instid0(SALU_CYCLE_1) | instskip(SKIP_1) | instid1(VALU_DEP_1)
	s_or_b32 exec_lo, exec_lo, s1
	v_or_b32_e32 v33, 0x100, v0
                                        ; implicit-def: $vgpr3_vgpr4
	v_cmp_gt_u32_e64 s15, s34, v33
	s_delay_alu instid0(VALU_DEP_1)
	s_and_saveexec_b32 s1, s15
	s_cbranch_execz .LBB1149_139
; %bb.134:
	v_add_co_u32 v5, s0, s24, v33
	s_delay_alu instid0(VALU_DEP_1) | instskip(SKIP_1) | instid1(VALU_DEP_2)
	v_add_co_ci_u32_e64 v6, null, s25, 0, s0
	v_mov_b32_e32 v3, 0
	v_or_b32_e32 v4, s39, v6
	s_delay_alu instid0(VALU_DEP_1) | instskip(SKIP_1) | instid1(SALU_CYCLE_1)
	v_cmp_ne_u64_e32 vcc_lo, 0, v[3:4]
                                        ; implicit-def: $vgpr3_vgpr4
	s_and_saveexec_b32 s0, vcc_lo
	s_xor_b32 s8, exec_lo, s0
	s_cbranch_execz .LBB1149_136
; %bb.135:
	s_ashr_i32 s4, s39, 31
	s_delay_alu instid0(SALU_CYCLE_1) | instskip(SKIP_2) | instid1(SALU_CYCLE_1)
	s_add_u32 s6, s38, s4
	s_mov_b32 s5, s4
	s_addc_u32 s7, s39, s4
	s_xor_b64 s[6:7], s[6:7], s[4:5]
	s_delay_alu instid0(SALU_CYCLE_1) | instskip(SKIP_3) | instid1(VALU_DEP_1)
	v_cvt_f32_u32_e32 v3, s6
	v_cvt_f32_u32_e32 v4, s7
	s_sub_u32 s0, 0, s6
	s_subb_u32 s5, 0, s7
	v_fmamk_f32 v3, v4, 0x4f800000, v3
	s_delay_alu instid0(VALU_DEP_1) | instskip(SKIP_2) | instid1(VALU_DEP_1)
	v_rcp_f32_e32 v3, v3
	s_waitcnt_depctr 0xfff
	v_mul_f32_e32 v3, 0x5f7ffffc, v3
	v_mul_f32_e32 v4, 0x2f800000, v3
	s_delay_alu instid0(VALU_DEP_1) | instskip(NEXT) | instid1(VALU_DEP_1)
	v_trunc_f32_e32 v4, v4
	v_fmamk_f32 v3, v4, 0xcf800000, v3
	v_cvt_u32_f32_e32 v4, v4
	s_delay_alu instid0(VALU_DEP_2) | instskip(NEXT) | instid1(VALU_DEP_2)
	v_cvt_u32_f32_e32 v3, v3
	v_mul_lo_u32 v7, s0, v4
	s_delay_alu instid0(VALU_DEP_2) | instskip(SKIP_1) | instid1(VALU_DEP_2)
	v_mul_hi_u32 v8, s0, v3
	v_mul_lo_u32 v9, s5, v3
	v_add_nc_u32_e32 v7, v8, v7
	v_mul_lo_u32 v8, s0, v3
	s_delay_alu instid0(VALU_DEP_2) | instskip(NEXT) | instid1(VALU_DEP_2)
	v_add_nc_u32_e32 v7, v7, v9
	v_mul_hi_u32 v9, v3, v8
	s_delay_alu instid0(VALU_DEP_2)
	v_mul_lo_u32 v10, v3, v7
	v_mul_hi_u32 v11, v3, v7
	v_mul_hi_u32 v12, v4, v8
	v_mul_lo_u32 v8, v4, v8
	v_mul_hi_u32 v13, v4, v7
	v_mul_lo_u32 v7, v4, v7
	v_add_co_u32 v9, vcc_lo, v9, v10
	v_add_co_ci_u32_e32 v10, vcc_lo, 0, v11, vcc_lo
	s_delay_alu instid0(VALU_DEP_2) | instskip(NEXT) | instid1(VALU_DEP_2)
	v_add_co_u32 v8, vcc_lo, v9, v8
	v_add_co_ci_u32_e32 v8, vcc_lo, v10, v12, vcc_lo
	v_add_co_ci_u32_e32 v9, vcc_lo, 0, v13, vcc_lo
	v_ashrrev_i32_e32 v12, 31, v6
	s_delay_alu instid0(VALU_DEP_3) | instskip(NEXT) | instid1(VALU_DEP_3)
	v_add_co_u32 v7, vcc_lo, v8, v7
	v_add_co_ci_u32_e32 v8, vcc_lo, 0, v9, vcc_lo
	s_delay_alu instid0(VALU_DEP_2) | instskip(NEXT) | instid1(VALU_DEP_2)
	v_add_co_u32 v3, vcc_lo, v3, v7
	v_add_co_ci_u32_e32 v4, vcc_lo, v4, v8, vcc_lo
	s_delay_alu instid0(VALU_DEP_2) | instskip(SKIP_1) | instid1(VALU_DEP_3)
	v_mul_hi_u32 v7, s0, v3
	v_mul_lo_u32 v9, s5, v3
	v_mul_lo_u32 v8, s0, v4
	s_delay_alu instid0(VALU_DEP_1) | instskip(SKIP_1) | instid1(VALU_DEP_2)
	v_add_nc_u32_e32 v7, v7, v8
	v_mul_lo_u32 v8, s0, v3
	v_add_nc_u32_e32 v7, v7, v9
	s_delay_alu instid0(VALU_DEP_2) | instskip(NEXT) | instid1(VALU_DEP_2)
	v_mul_hi_u32 v9, v3, v8
	v_mul_lo_u32 v10, v3, v7
	v_mul_hi_u32 v11, v3, v7
	v_mul_hi_u32 v13, v4, v8
	v_mul_lo_u32 v8, v4, v8
	v_mul_hi_u32 v14, v4, v7
	v_mul_lo_u32 v7, v4, v7
	v_add_co_u32 v9, vcc_lo, v9, v10
	v_add_co_ci_u32_e32 v10, vcc_lo, 0, v11, vcc_lo
	s_delay_alu instid0(VALU_DEP_2) | instskip(NEXT) | instid1(VALU_DEP_2)
	v_add_co_u32 v8, vcc_lo, v9, v8
	v_add_co_ci_u32_e32 v8, vcc_lo, v10, v13, vcc_lo
	v_add_co_ci_u32_e32 v9, vcc_lo, 0, v14, vcc_lo
	v_add_co_u32 v5, vcc_lo, v5, v12
	v_add_co_ci_u32_e32 v6, vcc_lo, v6, v12, vcc_lo
	s_delay_alu instid0(VALU_DEP_4) | instskip(NEXT) | instid1(VALU_DEP_4)
	v_add_co_u32 v7, vcc_lo, v8, v7
	v_add_co_ci_u32_e32 v8, vcc_lo, 0, v9, vcc_lo
	s_delay_alu instid0(VALU_DEP_4) | instskip(NEXT) | instid1(VALU_DEP_3)
	v_xor_b32_e32 v9, v5, v12
	v_add_co_u32 v7, vcc_lo, v3, v7
	s_delay_alu instid0(VALU_DEP_3) | instskip(SKIP_1) | instid1(VALU_DEP_3)
	v_add_co_ci_u32_e32 v10, vcc_lo, v4, v8, vcc_lo
	v_xor_b32_e32 v11, v6, v12
	v_mul_hi_u32 v13, v9, v7
	s_delay_alu instid0(VALU_DEP_3) | instskip(NEXT) | instid1(VALU_DEP_3)
	v_mad_u64_u32 v[3:4], null, v9, v10, 0
	v_mad_u64_u32 v[5:6], null, v11, v7, 0
	;; [unrolled: 1-line block ×3, first 2 shown]
	s_delay_alu instid0(VALU_DEP_3) | instskip(NEXT) | instid1(VALU_DEP_4)
	v_add_co_u32 v3, vcc_lo, v13, v3
	v_add_co_ci_u32_e32 v4, vcc_lo, 0, v4, vcc_lo
	s_delay_alu instid0(VALU_DEP_2) | instskip(NEXT) | instid1(VALU_DEP_2)
	v_add_co_u32 v3, vcc_lo, v3, v5
	v_add_co_ci_u32_e32 v3, vcc_lo, v4, v6, vcc_lo
	v_add_co_ci_u32_e32 v4, vcc_lo, 0, v8, vcc_lo
	s_delay_alu instid0(VALU_DEP_2) | instskip(NEXT) | instid1(VALU_DEP_2)
	v_add_co_u32 v5, vcc_lo, v3, v7
	v_add_co_ci_u32_e32 v6, vcc_lo, 0, v4, vcc_lo
	s_delay_alu instid0(VALU_DEP_2) | instskip(SKIP_1) | instid1(VALU_DEP_3)
	v_mul_lo_u32 v7, s7, v5
	v_mad_u64_u32 v[3:4], null, s6, v5, 0
	v_mul_lo_u32 v8, s6, v6
	s_delay_alu instid0(VALU_DEP_2) | instskip(NEXT) | instid1(VALU_DEP_2)
	v_sub_co_u32 v3, vcc_lo, v9, v3
	v_add3_u32 v4, v4, v8, v7
	s_delay_alu instid0(VALU_DEP_1) | instskip(NEXT) | instid1(VALU_DEP_1)
	v_sub_nc_u32_e32 v7, v11, v4
	v_subrev_co_ci_u32_e64 v7, s0, s7, v7, vcc_lo
	v_add_co_u32 v8, s0, v5, 2
	s_delay_alu instid0(VALU_DEP_1) | instskip(SKIP_3) | instid1(VALU_DEP_3)
	v_add_co_ci_u32_e64 v9, s0, 0, v6, s0
	v_sub_co_u32 v10, s0, v3, s6
	v_sub_co_ci_u32_e32 v4, vcc_lo, v11, v4, vcc_lo
	v_subrev_co_ci_u32_e64 v7, s0, 0, v7, s0
	v_cmp_le_u32_e32 vcc_lo, s6, v10
	s_delay_alu instid0(VALU_DEP_3) | instskip(SKIP_1) | instid1(VALU_DEP_4)
	v_cmp_eq_u32_e64 s0, s7, v4
	v_cndmask_b32_e64 v10, 0, -1, vcc_lo
	v_cmp_le_u32_e32 vcc_lo, s7, v7
	v_cndmask_b32_e64 v11, 0, -1, vcc_lo
	v_cmp_le_u32_e32 vcc_lo, s6, v3
	;; [unrolled: 2-line block ×3, first 2 shown]
	v_cndmask_b32_e64 v13, 0, -1, vcc_lo
	v_cmp_eq_u32_e32 vcc_lo, s7, v7
	s_delay_alu instid0(VALU_DEP_2) | instskip(SKIP_3) | instid1(VALU_DEP_3)
	v_cndmask_b32_e64 v3, v13, v3, s0
	v_cndmask_b32_e32 v7, v11, v10, vcc_lo
	v_add_co_u32 v10, vcc_lo, v5, 1
	v_add_co_ci_u32_e32 v11, vcc_lo, 0, v6, vcc_lo
	v_cmp_ne_u32_e32 vcc_lo, 0, v7
	s_delay_alu instid0(VALU_DEP_2) | instskip(SKIP_2) | instid1(VALU_DEP_3)
	v_dual_cndmask_b32 v4, v11, v9 :: v_dual_cndmask_b32 v7, v10, v8
	v_cmp_ne_u32_e32 vcc_lo, 0, v3
	v_xor_b32_e32 v8, s4, v12
	v_dual_cndmask_b32 v3, v6, v4 :: v_dual_cndmask_b32 v4, v5, v7
	s_delay_alu instid0(VALU_DEP_1) | instskip(NEXT) | instid1(VALU_DEP_2)
	v_xor_b32_e32 v5, v3, v8
	v_xor_b32_e32 v4, v4, v8
	s_delay_alu instid0(VALU_DEP_1) | instskip(NEXT) | instid1(VALU_DEP_3)
	v_sub_co_u32 v3, vcc_lo, v4, v8
	v_sub_co_ci_u32_e32 v4, vcc_lo, v5, v8, vcc_lo
                                        ; implicit-def: $vgpr5
.LBB1149_136:
	s_and_not1_saveexec_b32 s0, s8
	s_cbranch_execz .LBB1149_138
; %bb.137:
	v_cvt_f32_u32_e32 v3, s38
	s_sub_i32 s4, 0, s38
	s_delay_alu instid0(VALU_DEP_1) | instskip(SKIP_2) | instid1(VALU_DEP_1)
	v_rcp_iflag_f32_e32 v3, v3
	s_waitcnt_depctr 0xfff
	v_mul_f32_e32 v3, 0x4f7ffffe, v3
	v_cvt_u32_f32_e32 v3, v3
	s_delay_alu instid0(VALU_DEP_1) | instskip(NEXT) | instid1(VALU_DEP_1)
	v_mul_lo_u32 v4, s4, v3
	v_mul_hi_u32 v4, v3, v4
	s_delay_alu instid0(VALU_DEP_1) | instskip(NEXT) | instid1(VALU_DEP_1)
	v_add_nc_u32_e32 v3, v3, v4
	v_mul_hi_u32 v3, v5, v3
	s_delay_alu instid0(VALU_DEP_1) | instskip(NEXT) | instid1(VALU_DEP_1)
	v_mul_lo_u32 v4, v3, s38
	v_sub_nc_u32_e32 v4, v5, v4
	v_add_nc_u32_e32 v5, 1, v3
	s_delay_alu instid0(VALU_DEP_2) | instskip(SKIP_1) | instid1(VALU_DEP_2)
	v_subrev_nc_u32_e32 v6, s38, v4
	v_cmp_le_u32_e32 vcc_lo, s38, v4
	v_dual_cndmask_b32 v4, v4, v6 :: v_dual_cndmask_b32 v3, v3, v5
	s_delay_alu instid0(VALU_DEP_1) | instskip(NEXT) | instid1(VALU_DEP_2)
	v_cmp_le_u32_e32 vcc_lo, s38, v4
	v_dual_mov_b32 v4, 0 :: v_dual_add_nc_u32 v5, 1, v3
	s_delay_alu instid0(VALU_DEP_1)
	v_cndmask_b32_e32 v3, v3, v5, vcc_lo
.LBB1149_138:
	s_or_b32 exec_lo, exec_lo, s0
.LBB1149_139:
	s_delay_alu instid0(SALU_CYCLE_1) | instskip(SKIP_1) | instid1(VALU_DEP_1)
	s_or_b32 exec_lo, exec_lo, s1
	v_or_b32_e32 v35, 0x200, v0
                                        ; implicit-def: $vgpr5_vgpr6
	v_cmp_gt_u32_e64 s14, s34, v35
	s_delay_alu instid0(VALU_DEP_1)
	s_and_saveexec_b32 s1, s14
	s_cbranch_execz .LBB1149_145
; %bb.140:
	v_add_co_u32 v7, s0, s24, v35
	s_delay_alu instid0(VALU_DEP_1) | instskip(SKIP_1) | instid1(VALU_DEP_2)
	v_add_co_ci_u32_e64 v8, null, s25, 0, s0
	v_mov_b32_e32 v5, 0
	v_or_b32_e32 v6, s39, v8
	s_delay_alu instid0(VALU_DEP_1) | instskip(SKIP_1) | instid1(SALU_CYCLE_1)
	v_cmp_ne_u64_e32 vcc_lo, 0, v[5:6]
                                        ; implicit-def: $vgpr5_vgpr6
	s_and_saveexec_b32 s0, vcc_lo
	s_xor_b32 s8, exec_lo, s0
	s_cbranch_execz .LBB1149_142
; %bb.141:
	s_ashr_i32 s4, s39, 31
	s_delay_alu instid0(SALU_CYCLE_1) | instskip(SKIP_2) | instid1(SALU_CYCLE_1)
	s_add_u32 s6, s38, s4
	s_mov_b32 s5, s4
	s_addc_u32 s7, s39, s4
	s_xor_b64 s[6:7], s[6:7], s[4:5]
	s_delay_alu instid0(SALU_CYCLE_1) | instskip(SKIP_3) | instid1(VALU_DEP_1)
	v_cvt_f32_u32_e32 v5, s6
	v_cvt_f32_u32_e32 v6, s7
	s_sub_u32 s0, 0, s6
	s_subb_u32 s5, 0, s7
	v_fmamk_f32 v5, v6, 0x4f800000, v5
	s_delay_alu instid0(VALU_DEP_1) | instskip(SKIP_2) | instid1(VALU_DEP_1)
	v_rcp_f32_e32 v5, v5
	s_waitcnt_depctr 0xfff
	v_mul_f32_e32 v5, 0x5f7ffffc, v5
	v_mul_f32_e32 v6, 0x2f800000, v5
	s_delay_alu instid0(VALU_DEP_1) | instskip(NEXT) | instid1(VALU_DEP_1)
	v_trunc_f32_e32 v6, v6
	v_fmamk_f32 v5, v6, 0xcf800000, v5
	v_cvt_u32_f32_e32 v6, v6
	s_delay_alu instid0(VALU_DEP_2) | instskip(NEXT) | instid1(VALU_DEP_2)
	v_cvt_u32_f32_e32 v5, v5
	v_mul_lo_u32 v9, s0, v6
	s_delay_alu instid0(VALU_DEP_2) | instskip(SKIP_1) | instid1(VALU_DEP_2)
	v_mul_hi_u32 v10, s0, v5
	v_mul_lo_u32 v11, s5, v5
	v_add_nc_u32_e32 v9, v10, v9
	v_mul_lo_u32 v10, s0, v5
	s_delay_alu instid0(VALU_DEP_2) | instskip(NEXT) | instid1(VALU_DEP_2)
	v_add_nc_u32_e32 v9, v9, v11
	v_mul_hi_u32 v11, v5, v10
	s_delay_alu instid0(VALU_DEP_2)
	v_mul_lo_u32 v12, v5, v9
	v_mul_hi_u32 v13, v5, v9
	v_mul_hi_u32 v14, v6, v10
	v_mul_lo_u32 v10, v6, v10
	v_mul_hi_u32 v15, v6, v9
	v_mul_lo_u32 v9, v6, v9
	v_add_co_u32 v11, vcc_lo, v11, v12
	v_add_co_ci_u32_e32 v12, vcc_lo, 0, v13, vcc_lo
	s_delay_alu instid0(VALU_DEP_2) | instskip(NEXT) | instid1(VALU_DEP_2)
	v_add_co_u32 v10, vcc_lo, v11, v10
	v_add_co_ci_u32_e32 v10, vcc_lo, v12, v14, vcc_lo
	v_add_co_ci_u32_e32 v11, vcc_lo, 0, v15, vcc_lo
	v_ashrrev_i32_e32 v14, 31, v8
	s_delay_alu instid0(VALU_DEP_3) | instskip(NEXT) | instid1(VALU_DEP_3)
	v_add_co_u32 v9, vcc_lo, v10, v9
	v_add_co_ci_u32_e32 v10, vcc_lo, 0, v11, vcc_lo
	s_delay_alu instid0(VALU_DEP_2) | instskip(NEXT) | instid1(VALU_DEP_2)
	v_add_co_u32 v5, vcc_lo, v5, v9
	v_add_co_ci_u32_e32 v6, vcc_lo, v6, v10, vcc_lo
	s_delay_alu instid0(VALU_DEP_2) | instskip(SKIP_1) | instid1(VALU_DEP_3)
	v_mul_hi_u32 v9, s0, v5
	v_mul_lo_u32 v11, s5, v5
	v_mul_lo_u32 v10, s0, v6
	s_delay_alu instid0(VALU_DEP_1) | instskip(SKIP_1) | instid1(VALU_DEP_2)
	v_add_nc_u32_e32 v9, v9, v10
	v_mul_lo_u32 v10, s0, v5
	v_add_nc_u32_e32 v9, v9, v11
	s_delay_alu instid0(VALU_DEP_2) | instskip(NEXT) | instid1(VALU_DEP_2)
	v_mul_hi_u32 v11, v5, v10
	v_mul_lo_u32 v12, v5, v9
	v_mul_hi_u32 v13, v5, v9
	v_mul_hi_u32 v15, v6, v10
	v_mul_lo_u32 v10, v6, v10
	v_mul_hi_u32 v16, v6, v9
	v_mul_lo_u32 v9, v6, v9
	v_add_co_u32 v11, vcc_lo, v11, v12
	v_add_co_ci_u32_e32 v12, vcc_lo, 0, v13, vcc_lo
	s_delay_alu instid0(VALU_DEP_2) | instskip(NEXT) | instid1(VALU_DEP_2)
	v_add_co_u32 v10, vcc_lo, v11, v10
	v_add_co_ci_u32_e32 v10, vcc_lo, v12, v15, vcc_lo
	v_add_co_ci_u32_e32 v11, vcc_lo, 0, v16, vcc_lo
	v_add_co_u32 v7, vcc_lo, v7, v14
	v_add_co_ci_u32_e32 v8, vcc_lo, v8, v14, vcc_lo
	s_delay_alu instid0(VALU_DEP_4) | instskip(NEXT) | instid1(VALU_DEP_4)
	v_add_co_u32 v9, vcc_lo, v10, v9
	v_add_co_ci_u32_e32 v10, vcc_lo, 0, v11, vcc_lo
	s_delay_alu instid0(VALU_DEP_4) | instskip(NEXT) | instid1(VALU_DEP_3)
	v_xor_b32_e32 v11, v7, v14
	v_add_co_u32 v9, vcc_lo, v5, v9
	s_delay_alu instid0(VALU_DEP_3) | instskip(SKIP_1) | instid1(VALU_DEP_3)
	v_add_co_ci_u32_e32 v12, vcc_lo, v6, v10, vcc_lo
	v_xor_b32_e32 v13, v8, v14
	v_mul_hi_u32 v15, v11, v9
	s_delay_alu instid0(VALU_DEP_3) | instskip(NEXT) | instid1(VALU_DEP_3)
	v_mad_u64_u32 v[5:6], null, v11, v12, 0
	v_mad_u64_u32 v[7:8], null, v13, v9, 0
	v_mad_u64_u32 v[9:10], null, v13, v12, 0
	s_delay_alu instid0(VALU_DEP_3) | instskip(NEXT) | instid1(VALU_DEP_4)
	v_add_co_u32 v5, vcc_lo, v15, v5
	v_add_co_ci_u32_e32 v6, vcc_lo, 0, v6, vcc_lo
	s_delay_alu instid0(VALU_DEP_2) | instskip(NEXT) | instid1(VALU_DEP_2)
	v_add_co_u32 v5, vcc_lo, v5, v7
	v_add_co_ci_u32_e32 v5, vcc_lo, v6, v8, vcc_lo
	v_add_co_ci_u32_e32 v6, vcc_lo, 0, v10, vcc_lo
	s_delay_alu instid0(VALU_DEP_2) | instskip(NEXT) | instid1(VALU_DEP_2)
	v_add_co_u32 v7, vcc_lo, v5, v9
	v_add_co_ci_u32_e32 v8, vcc_lo, 0, v6, vcc_lo
	s_delay_alu instid0(VALU_DEP_2) | instskip(SKIP_1) | instid1(VALU_DEP_3)
	v_mul_lo_u32 v9, s7, v7
	v_mad_u64_u32 v[5:6], null, s6, v7, 0
	v_mul_lo_u32 v10, s6, v8
	s_delay_alu instid0(VALU_DEP_2) | instskip(NEXT) | instid1(VALU_DEP_2)
	v_sub_co_u32 v5, vcc_lo, v11, v5
	v_add3_u32 v6, v6, v10, v9
	s_delay_alu instid0(VALU_DEP_1) | instskip(NEXT) | instid1(VALU_DEP_1)
	v_sub_nc_u32_e32 v9, v13, v6
	v_subrev_co_ci_u32_e64 v9, s0, s7, v9, vcc_lo
	v_add_co_u32 v10, s0, v7, 2
	s_delay_alu instid0(VALU_DEP_1) | instskip(SKIP_3) | instid1(VALU_DEP_3)
	v_add_co_ci_u32_e64 v11, s0, 0, v8, s0
	v_sub_co_u32 v12, s0, v5, s6
	v_sub_co_ci_u32_e32 v6, vcc_lo, v13, v6, vcc_lo
	v_subrev_co_ci_u32_e64 v9, s0, 0, v9, s0
	v_cmp_le_u32_e32 vcc_lo, s6, v12
	s_delay_alu instid0(VALU_DEP_3) | instskip(SKIP_1) | instid1(VALU_DEP_4)
	v_cmp_eq_u32_e64 s0, s7, v6
	v_cndmask_b32_e64 v12, 0, -1, vcc_lo
	v_cmp_le_u32_e32 vcc_lo, s7, v9
	v_cndmask_b32_e64 v13, 0, -1, vcc_lo
	v_cmp_le_u32_e32 vcc_lo, s6, v5
	;; [unrolled: 2-line block ×3, first 2 shown]
	v_cndmask_b32_e64 v15, 0, -1, vcc_lo
	v_cmp_eq_u32_e32 vcc_lo, s7, v9
	s_delay_alu instid0(VALU_DEP_2) | instskip(SKIP_3) | instid1(VALU_DEP_3)
	v_cndmask_b32_e64 v5, v15, v5, s0
	v_cndmask_b32_e32 v9, v13, v12, vcc_lo
	v_add_co_u32 v12, vcc_lo, v7, 1
	v_add_co_ci_u32_e32 v13, vcc_lo, 0, v8, vcc_lo
	v_cmp_ne_u32_e32 vcc_lo, 0, v9
	s_delay_alu instid0(VALU_DEP_2) | instskip(SKIP_2) | instid1(VALU_DEP_3)
	v_dual_cndmask_b32 v6, v13, v11 :: v_dual_cndmask_b32 v9, v12, v10
	v_cmp_ne_u32_e32 vcc_lo, 0, v5
	v_xor_b32_e32 v10, s4, v14
	v_dual_cndmask_b32 v5, v8, v6 :: v_dual_cndmask_b32 v6, v7, v9
	s_delay_alu instid0(VALU_DEP_1) | instskip(NEXT) | instid1(VALU_DEP_2)
	v_xor_b32_e32 v7, v5, v10
	v_xor_b32_e32 v6, v6, v10
	s_delay_alu instid0(VALU_DEP_1) | instskip(NEXT) | instid1(VALU_DEP_3)
	v_sub_co_u32 v5, vcc_lo, v6, v10
	v_sub_co_ci_u32_e32 v6, vcc_lo, v7, v10, vcc_lo
                                        ; implicit-def: $vgpr7
.LBB1149_142:
	s_and_not1_saveexec_b32 s0, s8
	s_cbranch_execz .LBB1149_144
; %bb.143:
	v_cvt_f32_u32_e32 v5, s38
	s_sub_i32 s4, 0, s38
	s_delay_alu instid0(VALU_DEP_1) | instskip(SKIP_2) | instid1(VALU_DEP_1)
	v_rcp_iflag_f32_e32 v5, v5
	s_waitcnt_depctr 0xfff
	v_mul_f32_e32 v5, 0x4f7ffffe, v5
	v_cvt_u32_f32_e32 v5, v5
	s_delay_alu instid0(VALU_DEP_1) | instskip(NEXT) | instid1(VALU_DEP_1)
	v_mul_lo_u32 v6, s4, v5
	v_mul_hi_u32 v6, v5, v6
	s_delay_alu instid0(VALU_DEP_1) | instskip(NEXT) | instid1(VALU_DEP_1)
	v_add_nc_u32_e32 v5, v5, v6
	v_mul_hi_u32 v5, v7, v5
	s_delay_alu instid0(VALU_DEP_1) | instskip(NEXT) | instid1(VALU_DEP_1)
	v_mul_lo_u32 v6, v5, s38
	v_sub_nc_u32_e32 v6, v7, v6
	v_add_nc_u32_e32 v7, 1, v5
	s_delay_alu instid0(VALU_DEP_2) | instskip(SKIP_1) | instid1(VALU_DEP_2)
	v_subrev_nc_u32_e32 v8, s38, v6
	v_cmp_le_u32_e32 vcc_lo, s38, v6
	v_dual_cndmask_b32 v6, v6, v8 :: v_dual_cndmask_b32 v5, v5, v7
	s_delay_alu instid0(VALU_DEP_1) | instskip(NEXT) | instid1(VALU_DEP_2)
	v_cmp_le_u32_e32 vcc_lo, s38, v6
	v_dual_mov_b32 v6, 0 :: v_dual_add_nc_u32 v7, 1, v5
	s_delay_alu instid0(VALU_DEP_1)
	v_cndmask_b32_e32 v5, v5, v7, vcc_lo
.LBB1149_144:
	s_or_b32 exec_lo, exec_lo, s0
.LBB1149_145:
	s_delay_alu instid0(SALU_CYCLE_1) | instskip(SKIP_1) | instid1(VALU_DEP_1)
	s_or_b32 exec_lo, exec_lo, s1
	v_or_b32_e32 v37, 0x300, v0
                                        ; implicit-def: $vgpr7_vgpr8
	v_cmp_gt_u32_e64 s13, s34, v37
	s_delay_alu instid0(VALU_DEP_1)
	s_and_saveexec_b32 s1, s13
	s_cbranch_execz .LBB1149_151
; %bb.146:
	v_add_co_u32 v9, s0, s24, v37
	s_delay_alu instid0(VALU_DEP_1) | instskip(SKIP_1) | instid1(VALU_DEP_2)
	v_add_co_ci_u32_e64 v10, null, s25, 0, s0
	v_mov_b32_e32 v7, 0
	v_or_b32_e32 v8, s39, v10
	s_delay_alu instid0(VALU_DEP_1) | instskip(SKIP_1) | instid1(SALU_CYCLE_1)
	v_cmp_ne_u64_e32 vcc_lo, 0, v[7:8]
                                        ; implicit-def: $vgpr7_vgpr8
	s_and_saveexec_b32 s0, vcc_lo
	s_xor_b32 s8, exec_lo, s0
	s_cbranch_execz .LBB1149_148
; %bb.147:
	s_ashr_i32 s4, s39, 31
	s_delay_alu instid0(SALU_CYCLE_1) | instskip(SKIP_2) | instid1(SALU_CYCLE_1)
	s_add_u32 s6, s38, s4
	s_mov_b32 s5, s4
	s_addc_u32 s7, s39, s4
	s_xor_b64 s[6:7], s[6:7], s[4:5]
	s_delay_alu instid0(SALU_CYCLE_1) | instskip(SKIP_3) | instid1(VALU_DEP_1)
	v_cvt_f32_u32_e32 v7, s6
	v_cvt_f32_u32_e32 v8, s7
	s_sub_u32 s0, 0, s6
	s_subb_u32 s5, 0, s7
	v_fmamk_f32 v7, v8, 0x4f800000, v7
	s_delay_alu instid0(VALU_DEP_1) | instskip(SKIP_2) | instid1(VALU_DEP_1)
	v_rcp_f32_e32 v7, v7
	s_waitcnt_depctr 0xfff
	v_mul_f32_e32 v7, 0x5f7ffffc, v7
	v_mul_f32_e32 v8, 0x2f800000, v7
	s_delay_alu instid0(VALU_DEP_1) | instskip(NEXT) | instid1(VALU_DEP_1)
	v_trunc_f32_e32 v8, v8
	v_fmamk_f32 v7, v8, 0xcf800000, v7
	v_cvt_u32_f32_e32 v8, v8
	s_delay_alu instid0(VALU_DEP_2) | instskip(NEXT) | instid1(VALU_DEP_2)
	v_cvt_u32_f32_e32 v7, v7
	v_mul_lo_u32 v11, s0, v8
	s_delay_alu instid0(VALU_DEP_2) | instskip(SKIP_1) | instid1(VALU_DEP_2)
	v_mul_hi_u32 v12, s0, v7
	v_mul_lo_u32 v13, s5, v7
	v_add_nc_u32_e32 v11, v12, v11
	v_mul_lo_u32 v12, s0, v7
	s_delay_alu instid0(VALU_DEP_2) | instskip(NEXT) | instid1(VALU_DEP_2)
	v_add_nc_u32_e32 v11, v11, v13
	v_mul_hi_u32 v13, v7, v12
	s_delay_alu instid0(VALU_DEP_2)
	v_mul_lo_u32 v14, v7, v11
	v_mul_hi_u32 v15, v7, v11
	v_mul_hi_u32 v16, v8, v12
	v_mul_lo_u32 v12, v8, v12
	v_mul_hi_u32 v17, v8, v11
	v_mul_lo_u32 v11, v8, v11
	v_add_co_u32 v13, vcc_lo, v13, v14
	v_add_co_ci_u32_e32 v14, vcc_lo, 0, v15, vcc_lo
	s_delay_alu instid0(VALU_DEP_2) | instskip(NEXT) | instid1(VALU_DEP_2)
	v_add_co_u32 v12, vcc_lo, v13, v12
	v_add_co_ci_u32_e32 v12, vcc_lo, v14, v16, vcc_lo
	v_add_co_ci_u32_e32 v13, vcc_lo, 0, v17, vcc_lo
	v_ashrrev_i32_e32 v16, 31, v10
	s_delay_alu instid0(VALU_DEP_3) | instskip(NEXT) | instid1(VALU_DEP_3)
	v_add_co_u32 v11, vcc_lo, v12, v11
	v_add_co_ci_u32_e32 v12, vcc_lo, 0, v13, vcc_lo
	s_delay_alu instid0(VALU_DEP_2) | instskip(NEXT) | instid1(VALU_DEP_2)
	v_add_co_u32 v7, vcc_lo, v7, v11
	v_add_co_ci_u32_e32 v8, vcc_lo, v8, v12, vcc_lo
	s_delay_alu instid0(VALU_DEP_2) | instskip(SKIP_1) | instid1(VALU_DEP_3)
	v_mul_hi_u32 v11, s0, v7
	v_mul_lo_u32 v13, s5, v7
	v_mul_lo_u32 v12, s0, v8
	s_delay_alu instid0(VALU_DEP_1) | instskip(SKIP_1) | instid1(VALU_DEP_2)
	v_add_nc_u32_e32 v11, v11, v12
	v_mul_lo_u32 v12, s0, v7
	v_add_nc_u32_e32 v11, v11, v13
	s_delay_alu instid0(VALU_DEP_2) | instskip(NEXT) | instid1(VALU_DEP_2)
	v_mul_hi_u32 v13, v7, v12
	v_mul_lo_u32 v14, v7, v11
	v_mul_hi_u32 v15, v7, v11
	v_mul_hi_u32 v17, v8, v12
	v_mul_lo_u32 v12, v8, v12
	v_mul_hi_u32 v18, v8, v11
	v_mul_lo_u32 v11, v8, v11
	v_add_co_u32 v13, vcc_lo, v13, v14
	v_add_co_ci_u32_e32 v14, vcc_lo, 0, v15, vcc_lo
	s_delay_alu instid0(VALU_DEP_2) | instskip(NEXT) | instid1(VALU_DEP_2)
	v_add_co_u32 v12, vcc_lo, v13, v12
	v_add_co_ci_u32_e32 v12, vcc_lo, v14, v17, vcc_lo
	v_add_co_ci_u32_e32 v13, vcc_lo, 0, v18, vcc_lo
	v_add_co_u32 v9, vcc_lo, v9, v16
	v_add_co_ci_u32_e32 v10, vcc_lo, v10, v16, vcc_lo
	s_delay_alu instid0(VALU_DEP_4) | instskip(NEXT) | instid1(VALU_DEP_4)
	v_add_co_u32 v11, vcc_lo, v12, v11
	v_add_co_ci_u32_e32 v12, vcc_lo, 0, v13, vcc_lo
	s_delay_alu instid0(VALU_DEP_4) | instskip(NEXT) | instid1(VALU_DEP_3)
	v_xor_b32_e32 v13, v9, v16
	v_add_co_u32 v11, vcc_lo, v7, v11
	s_delay_alu instid0(VALU_DEP_3) | instskip(SKIP_1) | instid1(VALU_DEP_3)
	v_add_co_ci_u32_e32 v14, vcc_lo, v8, v12, vcc_lo
	v_xor_b32_e32 v15, v10, v16
	v_mul_hi_u32 v17, v13, v11
	s_delay_alu instid0(VALU_DEP_3) | instskip(NEXT) | instid1(VALU_DEP_3)
	v_mad_u64_u32 v[7:8], null, v13, v14, 0
	v_mad_u64_u32 v[9:10], null, v15, v11, 0
	;; [unrolled: 1-line block ×3, first 2 shown]
	s_delay_alu instid0(VALU_DEP_3) | instskip(NEXT) | instid1(VALU_DEP_4)
	v_add_co_u32 v7, vcc_lo, v17, v7
	v_add_co_ci_u32_e32 v8, vcc_lo, 0, v8, vcc_lo
	s_delay_alu instid0(VALU_DEP_2) | instskip(NEXT) | instid1(VALU_DEP_2)
	v_add_co_u32 v7, vcc_lo, v7, v9
	v_add_co_ci_u32_e32 v7, vcc_lo, v8, v10, vcc_lo
	v_add_co_ci_u32_e32 v8, vcc_lo, 0, v12, vcc_lo
	s_delay_alu instid0(VALU_DEP_2) | instskip(NEXT) | instid1(VALU_DEP_2)
	v_add_co_u32 v9, vcc_lo, v7, v11
	v_add_co_ci_u32_e32 v10, vcc_lo, 0, v8, vcc_lo
	s_delay_alu instid0(VALU_DEP_2) | instskip(SKIP_1) | instid1(VALU_DEP_3)
	v_mul_lo_u32 v11, s7, v9
	v_mad_u64_u32 v[7:8], null, s6, v9, 0
	v_mul_lo_u32 v12, s6, v10
	s_delay_alu instid0(VALU_DEP_2) | instskip(NEXT) | instid1(VALU_DEP_2)
	v_sub_co_u32 v7, vcc_lo, v13, v7
	v_add3_u32 v8, v8, v12, v11
	s_delay_alu instid0(VALU_DEP_1) | instskip(NEXT) | instid1(VALU_DEP_1)
	v_sub_nc_u32_e32 v11, v15, v8
	v_subrev_co_ci_u32_e64 v11, s0, s7, v11, vcc_lo
	v_add_co_u32 v12, s0, v9, 2
	s_delay_alu instid0(VALU_DEP_1) | instskip(SKIP_3) | instid1(VALU_DEP_3)
	v_add_co_ci_u32_e64 v13, s0, 0, v10, s0
	v_sub_co_u32 v14, s0, v7, s6
	v_sub_co_ci_u32_e32 v8, vcc_lo, v15, v8, vcc_lo
	v_subrev_co_ci_u32_e64 v11, s0, 0, v11, s0
	v_cmp_le_u32_e32 vcc_lo, s6, v14
	s_delay_alu instid0(VALU_DEP_3) | instskip(SKIP_1) | instid1(VALU_DEP_4)
	v_cmp_eq_u32_e64 s0, s7, v8
	v_cndmask_b32_e64 v14, 0, -1, vcc_lo
	v_cmp_le_u32_e32 vcc_lo, s7, v11
	v_cndmask_b32_e64 v15, 0, -1, vcc_lo
	v_cmp_le_u32_e32 vcc_lo, s6, v7
	;; [unrolled: 2-line block ×3, first 2 shown]
	v_cndmask_b32_e64 v17, 0, -1, vcc_lo
	v_cmp_eq_u32_e32 vcc_lo, s7, v11
	s_delay_alu instid0(VALU_DEP_2) | instskip(SKIP_3) | instid1(VALU_DEP_3)
	v_cndmask_b32_e64 v7, v17, v7, s0
	v_cndmask_b32_e32 v11, v15, v14, vcc_lo
	v_add_co_u32 v14, vcc_lo, v9, 1
	v_add_co_ci_u32_e32 v15, vcc_lo, 0, v10, vcc_lo
	v_cmp_ne_u32_e32 vcc_lo, 0, v11
	s_delay_alu instid0(VALU_DEP_2) | instskip(SKIP_2) | instid1(VALU_DEP_3)
	v_dual_cndmask_b32 v8, v15, v13 :: v_dual_cndmask_b32 v11, v14, v12
	v_cmp_ne_u32_e32 vcc_lo, 0, v7
	v_xor_b32_e32 v12, s4, v16
	v_dual_cndmask_b32 v7, v10, v8 :: v_dual_cndmask_b32 v8, v9, v11
	s_delay_alu instid0(VALU_DEP_1) | instskip(NEXT) | instid1(VALU_DEP_2)
	v_xor_b32_e32 v9, v7, v12
	v_xor_b32_e32 v8, v8, v12
	s_delay_alu instid0(VALU_DEP_1) | instskip(NEXT) | instid1(VALU_DEP_3)
	v_sub_co_u32 v7, vcc_lo, v8, v12
	v_sub_co_ci_u32_e32 v8, vcc_lo, v9, v12, vcc_lo
                                        ; implicit-def: $vgpr9
.LBB1149_148:
	s_and_not1_saveexec_b32 s0, s8
	s_cbranch_execz .LBB1149_150
; %bb.149:
	v_cvt_f32_u32_e32 v7, s38
	s_sub_i32 s4, 0, s38
	s_delay_alu instid0(VALU_DEP_1) | instskip(SKIP_2) | instid1(VALU_DEP_1)
	v_rcp_iflag_f32_e32 v7, v7
	s_waitcnt_depctr 0xfff
	v_mul_f32_e32 v7, 0x4f7ffffe, v7
	v_cvt_u32_f32_e32 v7, v7
	s_delay_alu instid0(VALU_DEP_1) | instskip(NEXT) | instid1(VALU_DEP_1)
	v_mul_lo_u32 v8, s4, v7
	v_mul_hi_u32 v8, v7, v8
	s_delay_alu instid0(VALU_DEP_1) | instskip(NEXT) | instid1(VALU_DEP_1)
	v_add_nc_u32_e32 v7, v7, v8
	v_mul_hi_u32 v7, v9, v7
	s_delay_alu instid0(VALU_DEP_1) | instskip(NEXT) | instid1(VALU_DEP_1)
	v_mul_lo_u32 v8, v7, s38
	v_sub_nc_u32_e32 v8, v9, v8
	v_add_nc_u32_e32 v9, 1, v7
	s_delay_alu instid0(VALU_DEP_2) | instskip(SKIP_1) | instid1(VALU_DEP_2)
	v_subrev_nc_u32_e32 v10, s38, v8
	v_cmp_le_u32_e32 vcc_lo, s38, v8
	v_dual_cndmask_b32 v8, v8, v10 :: v_dual_cndmask_b32 v7, v7, v9
	s_delay_alu instid0(VALU_DEP_1) | instskip(NEXT) | instid1(VALU_DEP_2)
	v_cmp_le_u32_e32 vcc_lo, s38, v8
	v_dual_mov_b32 v8, 0 :: v_dual_add_nc_u32 v9, 1, v7
	s_delay_alu instid0(VALU_DEP_1)
	v_cndmask_b32_e32 v7, v7, v9, vcc_lo
.LBB1149_150:
	s_or_b32 exec_lo, exec_lo, s0
.LBB1149_151:
	s_delay_alu instid0(SALU_CYCLE_1) | instskip(SKIP_1) | instid1(VALU_DEP_1)
	s_or_b32 exec_lo, exec_lo, s1
	v_or_b32_e32 v39, 0x400, v0
                                        ; implicit-def: $vgpr9_vgpr10
	v_cmp_gt_u32_e64 s12, s34, v39
	s_delay_alu instid0(VALU_DEP_1)
	s_and_saveexec_b32 s1, s12
	s_cbranch_execz .LBB1149_157
; %bb.152:
	v_add_co_u32 v11, s0, s24, v39
	s_delay_alu instid0(VALU_DEP_1) | instskip(SKIP_1) | instid1(VALU_DEP_2)
	v_add_co_ci_u32_e64 v12, null, s25, 0, s0
	v_mov_b32_e32 v9, 0
	v_or_b32_e32 v10, s39, v12
	s_delay_alu instid0(VALU_DEP_1) | instskip(SKIP_1) | instid1(SALU_CYCLE_1)
	v_cmp_ne_u64_e32 vcc_lo, 0, v[9:10]
                                        ; implicit-def: $vgpr9_vgpr10
	s_and_saveexec_b32 s0, vcc_lo
	s_xor_b32 s8, exec_lo, s0
	s_cbranch_execz .LBB1149_154
; %bb.153:
	s_ashr_i32 s4, s39, 31
	s_delay_alu instid0(SALU_CYCLE_1) | instskip(SKIP_2) | instid1(SALU_CYCLE_1)
	s_add_u32 s6, s38, s4
	s_mov_b32 s5, s4
	s_addc_u32 s7, s39, s4
	s_xor_b64 s[6:7], s[6:7], s[4:5]
	s_delay_alu instid0(SALU_CYCLE_1) | instskip(SKIP_3) | instid1(VALU_DEP_1)
	v_cvt_f32_u32_e32 v9, s6
	v_cvt_f32_u32_e32 v10, s7
	s_sub_u32 s0, 0, s6
	s_subb_u32 s5, 0, s7
	v_fmamk_f32 v9, v10, 0x4f800000, v9
	s_delay_alu instid0(VALU_DEP_1) | instskip(SKIP_2) | instid1(VALU_DEP_1)
	v_rcp_f32_e32 v9, v9
	s_waitcnt_depctr 0xfff
	v_mul_f32_e32 v9, 0x5f7ffffc, v9
	v_mul_f32_e32 v10, 0x2f800000, v9
	s_delay_alu instid0(VALU_DEP_1) | instskip(NEXT) | instid1(VALU_DEP_1)
	v_trunc_f32_e32 v10, v10
	v_fmamk_f32 v9, v10, 0xcf800000, v9
	v_cvt_u32_f32_e32 v10, v10
	s_delay_alu instid0(VALU_DEP_2) | instskip(NEXT) | instid1(VALU_DEP_2)
	v_cvt_u32_f32_e32 v9, v9
	v_mul_lo_u32 v13, s0, v10
	s_delay_alu instid0(VALU_DEP_2) | instskip(SKIP_1) | instid1(VALU_DEP_2)
	v_mul_hi_u32 v14, s0, v9
	v_mul_lo_u32 v15, s5, v9
	v_add_nc_u32_e32 v13, v14, v13
	v_mul_lo_u32 v14, s0, v9
	s_delay_alu instid0(VALU_DEP_2) | instskip(NEXT) | instid1(VALU_DEP_2)
	v_add_nc_u32_e32 v13, v13, v15
	v_mul_hi_u32 v15, v9, v14
	s_delay_alu instid0(VALU_DEP_2)
	v_mul_lo_u32 v16, v9, v13
	v_mul_hi_u32 v17, v9, v13
	v_mul_hi_u32 v18, v10, v14
	v_mul_lo_u32 v14, v10, v14
	v_mul_hi_u32 v19, v10, v13
	v_mul_lo_u32 v13, v10, v13
	v_add_co_u32 v15, vcc_lo, v15, v16
	v_add_co_ci_u32_e32 v16, vcc_lo, 0, v17, vcc_lo
	s_delay_alu instid0(VALU_DEP_2) | instskip(NEXT) | instid1(VALU_DEP_2)
	v_add_co_u32 v14, vcc_lo, v15, v14
	v_add_co_ci_u32_e32 v14, vcc_lo, v16, v18, vcc_lo
	v_add_co_ci_u32_e32 v15, vcc_lo, 0, v19, vcc_lo
	v_ashrrev_i32_e32 v18, 31, v12
	s_delay_alu instid0(VALU_DEP_3) | instskip(NEXT) | instid1(VALU_DEP_3)
	v_add_co_u32 v13, vcc_lo, v14, v13
	v_add_co_ci_u32_e32 v14, vcc_lo, 0, v15, vcc_lo
	s_delay_alu instid0(VALU_DEP_2) | instskip(NEXT) | instid1(VALU_DEP_2)
	v_add_co_u32 v9, vcc_lo, v9, v13
	v_add_co_ci_u32_e32 v10, vcc_lo, v10, v14, vcc_lo
	s_delay_alu instid0(VALU_DEP_2) | instskip(SKIP_1) | instid1(VALU_DEP_3)
	v_mul_hi_u32 v13, s0, v9
	v_mul_lo_u32 v15, s5, v9
	v_mul_lo_u32 v14, s0, v10
	s_delay_alu instid0(VALU_DEP_1) | instskip(SKIP_1) | instid1(VALU_DEP_2)
	v_add_nc_u32_e32 v13, v13, v14
	v_mul_lo_u32 v14, s0, v9
	v_add_nc_u32_e32 v13, v13, v15
	s_delay_alu instid0(VALU_DEP_2) | instskip(NEXT) | instid1(VALU_DEP_2)
	v_mul_hi_u32 v15, v9, v14
	v_mul_lo_u32 v16, v9, v13
	v_mul_hi_u32 v17, v9, v13
	v_mul_hi_u32 v19, v10, v14
	v_mul_lo_u32 v14, v10, v14
	v_mul_hi_u32 v20, v10, v13
	v_mul_lo_u32 v13, v10, v13
	v_add_co_u32 v15, vcc_lo, v15, v16
	v_add_co_ci_u32_e32 v16, vcc_lo, 0, v17, vcc_lo
	s_delay_alu instid0(VALU_DEP_2) | instskip(NEXT) | instid1(VALU_DEP_2)
	v_add_co_u32 v14, vcc_lo, v15, v14
	v_add_co_ci_u32_e32 v14, vcc_lo, v16, v19, vcc_lo
	v_add_co_ci_u32_e32 v15, vcc_lo, 0, v20, vcc_lo
	v_add_co_u32 v11, vcc_lo, v11, v18
	v_add_co_ci_u32_e32 v12, vcc_lo, v12, v18, vcc_lo
	s_delay_alu instid0(VALU_DEP_4) | instskip(NEXT) | instid1(VALU_DEP_4)
	v_add_co_u32 v13, vcc_lo, v14, v13
	v_add_co_ci_u32_e32 v14, vcc_lo, 0, v15, vcc_lo
	s_delay_alu instid0(VALU_DEP_4) | instskip(NEXT) | instid1(VALU_DEP_3)
	v_xor_b32_e32 v15, v11, v18
	v_add_co_u32 v13, vcc_lo, v9, v13
	s_delay_alu instid0(VALU_DEP_3) | instskip(SKIP_1) | instid1(VALU_DEP_3)
	v_add_co_ci_u32_e32 v16, vcc_lo, v10, v14, vcc_lo
	v_xor_b32_e32 v17, v12, v18
	v_mul_hi_u32 v19, v15, v13
	s_delay_alu instid0(VALU_DEP_3) | instskip(NEXT) | instid1(VALU_DEP_3)
	v_mad_u64_u32 v[9:10], null, v15, v16, 0
	v_mad_u64_u32 v[11:12], null, v17, v13, 0
	;; [unrolled: 1-line block ×3, first 2 shown]
	s_delay_alu instid0(VALU_DEP_3) | instskip(NEXT) | instid1(VALU_DEP_4)
	v_add_co_u32 v9, vcc_lo, v19, v9
	v_add_co_ci_u32_e32 v10, vcc_lo, 0, v10, vcc_lo
	s_delay_alu instid0(VALU_DEP_2) | instskip(NEXT) | instid1(VALU_DEP_2)
	v_add_co_u32 v9, vcc_lo, v9, v11
	v_add_co_ci_u32_e32 v9, vcc_lo, v10, v12, vcc_lo
	v_add_co_ci_u32_e32 v10, vcc_lo, 0, v14, vcc_lo
	s_delay_alu instid0(VALU_DEP_2) | instskip(NEXT) | instid1(VALU_DEP_2)
	v_add_co_u32 v11, vcc_lo, v9, v13
	v_add_co_ci_u32_e32 v12, vcc_lo, 0, v10, vcc_lo
	s_delay_alu instid0(VALU_DEP_2) | instskip(SKIP_1) | instid1(VALU_DEP_3)
	v_mul_lo_u32 v13, s7, v11
	v_mad_u64_u32 v[9:10], null, s6, v11, 0
	v_mul_lo_u32 v14, s6, v12
	s_delay_alu instid0(VALU_DEP_2) | instskip(NEXT) | instid1(VALU_DEP_2)
	v_sub_co_u32 v9, vcc_lo, v15, v9
	v_add3_u32 v10, v10, v14, v13
	s_delay_alu instid0(VALU_DEP_1) | instskip(NEXT) | instid1(VALU_DEP_1)
	v_sub_nc_u32_e32 v13, v17, v10
	v_subrev_co_ci_u32_e64 v13, s0, s7, v13, vcc_lo
	v_add_co_u32 v14, s0, v11, 2
	s_delay_alu instid0(VALU_DEP_1) | instskip(SKIP_3) | instid1(VALU_DEP_3)
	v_add_co_ci_u32_e64 v15, s0, 0, v12, s0
	v_sub_co_u32 v16, s0, v9, s6
	v_sub_co_ci_u32_e32 v10, vcc_lo, v17, v10, vcc_lo
	v_subrev_co_ci_u32_e64 v13, s0, 0, v13, s0
	v_cmp_le_u32_e32 vcc_lo, s6, v16
	s_delay_alu instid0(VALU_DEP_3) | instskip(SKIP_1) | instid1(VALU_DEP_4)
	v_cmp_eq_u32_e64 s0, s7, v10
	v_cndmask_b32_e64 v16, 0, -1, vcc_lo
	v_cmp_le_u32_e32 vcc_lo, s7, v13
	v_cndmask_b32_e64 v17, 0, -1, vcc_lo
	v_cmp_le_u32_e32 vcc_lo, s6, v9
	;; [unrolled: 2-line block ×3, first 2 shown]
	v_cndmask_b32_e64 v19, 0, -1, vcc_lo
	v_cmp_eq_u32_e32 vcc_lo, s7, v13
	s_delay_alu instid0(VALU_DEP_2) | instskip(SKIP_3) | instid1(VALU_DEP_3)
	v_cndmask_b32_e64 v9, v19, v9, s0
	v_cndmask_b32_e32 v13, v17, v16, vcc_lo
	v_add_co_u32 v16, vcc_lo, v11, 1
	v_add_co_ci_u32_e32 v17, vcc_lo, 0, v12, vcc_lo
	v_cmp_ne_u32_e32 vcc_lo, 0, v13
	s_delay_alu instid0(VALU_DEP_2) | instskip(SKIP_2) | instid1(VALU_DEP_3)
	v_dual_cndmask_b32 v10, v17, v15 :: v_dual_cndmask_b32 v13, v16, v14
	v_cmp_ne_u32_e32 vcc_lo, 0, v9
	v_xor_b32_e32 v14, s4, v18
	v_dual_cndmask_b32 v9, v12, v10 :: v_dual_cndmask_b32 v10, v11, v13
	s_delay_alu instid0(VALU_DEP_1) | instskip(NEXT) | instid1(VALU_DEP_2)
	v_xor_b32_e32 v11, v9, v14
	v_xor_b32_e32 v10, v10, v14
	s_delay_alu instid0(VALU_DEP_1) | instskip(NEXT) | instid1(VALU_DEP_3)
	v_sub_co_u32 v9, vcc_lo, v10, v14
	v_sub_co_ci_u32_e32 v10, vcc_lo, v11, v14, vcc_lo
                                        ; implicit-def: $vgpr11
.LBB1149_154:
	s_and_not1_saveexec_b32 s0, s8
	s_cbranch_execz .LBB1149_156
; %bb.155:
	v_cvt_f32_u32_e32 v9, s38
	s_sub_i32 s4, 0, s38
	s_delay_alu instid0(VALU_DEP_1) | instskip(SKIP_2) | instid1(VALU_DEP_1)
	v_rcp_iflag_f32_e32 v9, v9
	s_waitcnt_depctr 0xfff
	v_mul_f32_e32 v9, 0x4f7ffffe, v9
	v_cvt_u32_f32_e32 v9, v9
	s_delay_alu instid0(VALU_DEP_1) | instskip(NEXT) | instid1(VALU_DEP_1)
	v_mul_lo_u32 v10, s4, v9
	v_mul_hi_u32 v10, v9, v10
	s_delay_alu instid0(VALU_DEP_1) | instskip(NEXT) | instid1(VALU_DEP_1)
	v_add_nc_u32_e32 v9, v9, v10
	v_mul_hi_u32 v9, v11, v9
	s_delay_alu instid0(VALU_DEP_1) | instskip(NEXT) | instid1(VALU_DEP_1)
	v_mul_lo_u32 v10, v9, s38
	v_sub_nc_u32_e32 v10, v11, v10
	v_add_nc_u32_e32 v11, 1, v9
	s_delay_alu instid0(VALU_DEP_2) | instskip(SKIP_1) | instid1(VALU_DEP_2)
	v_subrev_nc_u32_e32 v12, s38, v10
	v_cmp_le_u32_e32 vcc_lo, s38, v10
	v_dual_cndmask_b32 v10, v10, v12 :: v_dual_cndmask_b32 v9, v9, v11
	s_delay_alu instid0(VALU_DEP_1) | instskip(NEXT) | instid1(VALU_DEP_2)
	v_cmp_le_u32_e32 vcc_lo, s38, v10
	v_dual_mov_b32 v10, 0 :: v_dual_add_nc_u32 v11, 1, v9
	s_delay_alu instid0(VALU_DEP_1)
	v_cndmask_b32_e32 v9, v9, v11, vcc_lo
.LBB1149_156:
	s_or_b32 exec_lo, exec_lo, s0
.LBB1149_157:
	s_delay_alu instid0(SALU_CYCLE_1) | instskip(SKIP_1) | instid1(VALU_DEP_1)
	s_or_b32 exec_lo, exec_lo, s1
	v_or_b32_e32 v41, 0x500, v0
                                        ; implicit-def: $vgpr11_vgpr12
	v_cmp_gt_u32_e64 s11, s34, v41
	s_delay_alu instid0(VALU_DEP_1)
	s_and_saveexec_b32 s1, s11
	s_cbranch_execz .LBB1149_163
; %bb.158:
	v_add_co_u32 v13, s0, s24, v41
	s_delay_alu instid0(VALU_DEP_1) | instskip(SKIP_1) | instid1(VALU_DEP_2)
	v_add_co_ci_u32_e64 v14, null, s25, 0, s0
	v_mov_b32_e32 v11, 0
	v_or_b32_e32 v12, s39, v14
	s_delay_alu instid0(VALU_DEP_1) | instskip(SKIP_1) | instid1(SALU_CYCLE_1)
	v_cmp_ne_u64_e32 vcc_lo, 0, v[11:12]
                                        ; implicit-def: $vgpr11_vgpr12
	s_and_saveexec_b32 s0, vcc_lo
	s_xor_b32 s8, exec_lo, s0
	s_cbranch_execz .LBB1149_160
; %bb.159:
	s_ashr_i32 s4, s39, 31
	s_delay_alu instid0(SALU_CYCLE_1) | instskip(SKIP_2) | instid1(SALU_CYCLE_1)
	s_add_u32 s6, s38, s4
	s_mov_b32 s5, s4
	s_addc_u32 s7, s39, s4
	s_xor_b64 s[6:7], s[6:7], s[4:5]
	s_delay_alu instid0(SALU_CYCLE_1) | instskip(SKIP_3) | instid1(VALU_DEP_1)
	v_cvt_f32_u32_e32 v11, s6
	v_cvt_f32_u32_e32 v12, s7
	s_sub_u32 s0, 0, s6
	s_subb_u32 s5, 0, s7
	v_fmamk_f32 v11, v12, 0x4f800000, v11
	s_delay_alu instid0(VALU_DEP_1) | instskip(SKIP_2) | instid1(VALU_DEP_1)
	v_rcp_f32_e32 v11, v11
	s_waitcnt_depctr 0xfff
	v_mul_f32_e32 v11, 0x5f7ffffc, v11
	v_mul_f32_e32 v12, 0x2f800000, v11
	s_delay_alu instid0(VALU_DEP_1) | instskip(NEXT) | instid1(VALU_DEP_1)
	v_trunc_f32_e32 v12, v12
	v_fmamk_f32 v11, v12, 0xcf800000, v11
	v_cvt_u32_f32_e32 v12, v12
	s_delay_alu instid0(VALU_DEP_2) | instskip(NEXT) | instid1(VALU_DEP_2)
	v_cvt_u32_f32_e32 v11, v11
	v_mul_lo_u32 v15, s0, v12
	s_delay_alu instid0(VALU_DEP_2) | instskip(SKIP_1) | instid1(VALU_DEP_2)
	v_mul_hi_u32 v16, s0, v11
	v_mul_lo_u32 v17, s5, v11
	v_add_nc_u32_e32 v15, v16, v15
	v_mul_lo_u32 v16, s0, v11
	s_delay_alu instid0(VALU_DEP_2) | instskip(NEXT) | instid1(VALU_DEP_2)
	v_add_nc_u32_e32 v15, v15, v17
	v_mul_hi_u32 v17, v11, v16
	s_delay_alu instid0(VALU_DEP_2)
	v_mul_lo_u32 v18, v11, v15
	v_mul_hi_u32 v19, v11, v15
	v_mul_hi_u32 v20, v12, v16
	v_mul_lo_u32 v16, v12, v16
	v_mul_hi_u32 v21, v12, v15
	v_mul_lo_u32 v15, v12, v15
	v_add_co_u32 v17, vcc_lo, v17, v18
	v_add_co_ci_u32_e32 v18, vcc_lo, 0, v19, vcc_lo
	s_delay_alu instid0(VALU_DEP_2) | instskip(NEXT) | instid1(VALU_DEP_2)
	v_add_co_u32 v16, vcc_lo, v17, v16
	v_add_co_ci_u32_e32 v16, vcc_lo, v18, v20, vcc_lo
	v_add_co_ci_u32_e32 v17, vcc_lo, 0, v21, vcc_lo
	v_ashrrev_i32_e32 v20, 31, v14
	s_delay_alu instid0(VALU_DEP_3) | instskip(NEXT) | instid1(VALU_DEP_3)
	v_add_co_u32 v15, vcc_lo, v16, v15
	v_add_co_ci_u32_e32 v16, vcc_lo, 0, v17, vcc_lo
	s_delay_alu instid0(VALU_DEP_2) | instskip(NEXT) | instid1(VALU_DEP_2)
	v_add_co_u32 v11, vcc_lo, v11, v15
	v_add_co_ci_u32_e32 v12, vcc_lo, v12, v16, vcc_lo
	s_delay_alu instid0(VALU_DEP_2) | instskip(SKIP_1) | instid1(VALU_DEP_3)
	v_mul_hi_u32 v15, s0, v11
	v_mul_lo_u32 v17, s5, v11
	v_mul_lo_u32 v16, s0, v12
	s_delay_alu instid0(VALU_DEP_1) | instskip(SKIP_1) | instid1(VALU_DEP_2)
	v_add_nc_u32_e32 v15, v15, v16
	v_mul_lo_u32 v16, s0, v11
	v_add_nc_u32_e32 v15, v15, v17
	s_delay_alu instid0(VALU_DEP_2) | instskip(NEXT) | instid1(VALU_DEP_2)
	v_mul_hi_u32 v17, v11, v16
	v_mul_lo_u32 v18, v11, v15
	v_mul_hi_u32 v19, v11, v15
	v_mul_hi_u32 v21, v12, v16
	v_mul_lo_u32 v16, v12, v16
	v_mul_hi_u32 v22, v12, v15
	v_mul_lo_u32 v15, v12, v15
	v_add_co_u32 v17, vcc_lo, v17, v18
	v_add_co_ci_u32_e32 v18, vcc_lo, 0, v19, vcc_lo
	s_delay_alu instid0(VALU_DEP_2) | instskip(NEXT) | instid1(VALU_DEP_2)
	v_add_co_u32 v16, vcc_lo, v17, v16
	v_add_co_ci_u32_e32 v16, vcc_lo, v18, v21, vcc_lo
	v_add_co_ci_u32_e32 v17, vcc_lo, 0, v22, vcc_lo
	v_add_co_u32 v13, vcc_lo, v13, v20
	v_add_co_ci_u32_e32 v14, vcc_lo, v14, v20, vcc_lo
	s_delay_alu instid0(VALU_DEP_4) | instskip(NEXT) | instid1(VALU_DEP_4)
	v_add_co_u32 v15, vcc_lo, v16, v15
	v_add_co_ci_u32_e32 v16, vcc_lo, 0, v17, vcc_lo
	s_delay_alu instid0(VALU_DEP_4) | instskip(NEXT) | instid1(VALU_DEP_3)
	v_xor_b32_e32 v17, v13, v20
	v_add_co_u32 v15, vcc_lo, v11, v15
	s_delay_alu instid0(VALU_DEP_3) | instskip(SKIP_1) | instid1(VALU_DEP_3)
	v_add_co_ci_u32_e32 v18, vcc_lo, v12, v16, vcc_lo
	v_xor_b32_e32 v19, v14, v20
	v_mul_hi_u32 v21, v17, v15
	s_delay_alu instid0(VALU_DEP_3) | instskip(NEXT) | instid1(VALU_DEP_3)
	v_mad_u64_u32 v[11:12], null, v17, v18, 0
	v_mad_u64_u32 v[13:14], null, v19, v15, 0
	;; [unrolled: 1-line block ×3, first 2 shown]
	s_delay_alu instid0(VALU_DEP_3) | instskip(NEXT) | instid1(VALU_DEP_4)
	v_add_co_u32 v11, vcc_lo, v21, v11
	v_add_co_ci_u32_e32 v12, vcc_lo, 0, v12, vcc_lo
	s_delay_alu instid0(VALU_DEP_2) | instskip(NEXT) | instid1(VALU_DEP_2)
	v_add_co_u32 v11, vcc_lo, v11, v13
	v_add_co_ci_u32_e32 v11, vcc_lo, v12, v14, vcc_lo
	v_add_co_ci_u32_e32 v12, vcc_lo, 0, v16, vcc_lo
	s_delay_alu instid0(VALU_DEP_2) | instskip(NEXT) | instid1(VALU_DEP_2)
	v_add_co_u32 v13, vcc_lo, v11, v15
	v_add_co_ci_u32_e32 v14, vcc_lo, 0, v12, vcc_lo
	s_delay_alu instid0(VALU_DEP_2) | instskip(SKIP_1) | instid1(VALU_DEP_3)
	v_mul_lo_u32 v15, s7, v13
	v_mad_u64_u32 v[11:12], null, s6, v13, 0
	v_mul_lo_u32 v16, s6, v14
	s_delay_alu instid0(VALU_DEP_2) | instskip(NEXT) | instid1(VALU_DEP_2)
	v_sub_co_u32 v11, vcc_lo, v17, v11
	v_add3_u32 v12, v12, v16, v15
	s_delay_alu instid0(VALU_DEP_1) | instskip(NEXT) | instid1(VALU_DEP_1)
	v_sub_nc_u32_e32 v15, v19, v12
	v_subrev_co_ci_u32_e64 v15, s0, s7, v15, vcc_lo
	v_add_co_u32 v16, s0, v13, 2
	s_delay_alu instid0(VALU_DEP_1) | instskip(SKIP_3) | instid1(VALU_DEP_3)
	v_add_co_ci_u32_e64 v17, s0, 0, v14, s0
	v_sub_co_u32 v18, s0, v11, s6
	v_sub_co_ci_u32_e32 v12, vcc_lo, v19, v12, vcc_lo
	v_subrev_co_ci_u32_e64 v15, s0, 0, v15, s0
	v_cmp_le_u32_e32 vcc_lo, s6, v18
	s_delay_alu instid0(VALU_DEP_3) | instskip(SKIP_1) | instid1(VALU_DEP_4)
	v_cmp_eq_u32_e64 s0, s7, v12
	v_cndmask_b32_e64 v18, 0, -1, vcc_lo
	v_cmp_le_u32_e32 vcc_lo, s7, v15
	v_cndmask_b32_e64 v19, 0, -1, vcc_lo
	v_cmp_le_u32_e32 vcc_lo, s6, v11
	;; [unrolled: 2-line block ×3, first 2 shown]
	v_cndmask_b32_e64 v21, 0, -1, vcc_lo
	v_cmp_eq_u32_e32 vcc_lo, s7, v15
	s_delay_alu instid0(VALU_DEP_2) | instskip(SKIP_3) | instid1(VALU_DEP_3)
	v_cndmask_b32_e64 v11, v21, v11, s0
	v_cndmask_b32_e32 v15, v19, v18, vcc_lo
	v_add_co_u32 v18, vcc_lo, v13, 1
	v_add_co_ci_u32_e32 v19, vcc_lo, 0, v14, vcc_lo
	v_cmp_ne_u32_e32 vcc_lo, 0, v15
	s_delay_alu instid0(VALU_DEP_2) | instskip(SKIP_2) | instid1(VALU_DEP_3)
	v_dual_cndmask_b32 v12, v19, v17 :: v_dual_cndmask_b32 v15, v18, v16
	v_cmp_ne_u32_e32 vcc_lo, 0, v11
	v_xor_b32_e32 v16, s4, v20
	v_dual_cndmask_b32 v11, v14, v12 :: v_dual_cndmask_b32 v12, v13, v15
	s_delay_alu instid0(VALU_DEP_1) | instskip(NEXT) | instid1(VALU_DEP_2)
	v_xor_b32_e32 v13, v11, v16
	v_xor_b32_e32 v12, v12, v16
	s_delay_alu instid0(VALU_DEP_1) | instskip(NEXT) | instid1(VALU_DEP_3)
	v_sub_co_u32 v11, vcc_lo, v12, v16
	v_sub_co_ci_u32_e32 v12, vcc_lo, v13, v16, vcc_lo
                                        ; implicit-def: $vgpr13
.LBB1149_160:
	s_and_not1_saveexec_b32 s0, s8
	s_cbranch_execz .LBB1149_162
; %bb.161:
	v_cvt_f32_u32_e32 v11, s38
	s_sub_i32 s4, 0, s38
	s_delay_alu instid0(VALU_DEP_1) | instskip(SKIP_2) | instid1(VALU_DEP_1)
	v_rcp_iflag_f32_e32 v11, v11
	s_waitcnt_depctr 0xfff
	v_mul_f32_e32 v11, 0x4f7ffffe, v11
	v_cvt_u32_f32_e32 v11, v11
	s_delay_alu instid0(VALU_DEP_1) | instskip(NEXT) | instid1(VALU_DEP_1)
	v_mul_lo_u32 v12, s4, v11
	v_mul_hi_u32 v12, v11, v12
	s_delay_alu instid0(VALU_DEP_1) | instskip(NEXT) | instid1(VALU_DEP_1)
	v_add_nc_u32_e32 v11, v11, v12
	v_mul_hi_u32 v11, v13, v11
	s_delay_alu instid0(VALU_DEP_1) | instskip(NEXT) | instid1(VALU_DEP_1)
	v_mul_lo_u32 v12, v11, s38
	v_sub_nc_u32_e32 v12, v13, v12
	v_add_nc_u32_e32 v13, 1, v11
	s_delay_alu instid0(VALU_DEP_2) | instskip(SKIP_1) | instid1(VALU_DEP_2)
	v_subrev_nc_u32_e32 v14, s38, v12
	v_cmp_le_u32_e32 vcc_lo, s38, v12
	v_dual_cndmask_b32 v12, v12, v14 :: v_dual_cndmask_b32 v11, v11, v13
	s_delay_alu instid0(VALU_DEP_1) | instskip(NEXT) | instid1(VALU_DEP_2)
	v_cmp_le_u32_e32 vcc_lo, s38, v12
	v_dual_mov_b32 v12, 0 :: v_dual_add_nc_u32 v13, 1, v11
	s_delay_alu instid0(VALU_DEP_1)
	v_cndmask_b32_e32 v11, v11, v13, vcc_lo
.LBB1149_162:
	s_or_b32 exec_lo, exec_lo, s0
.LBB1149_163:
	s_delay_alu instid0(SALU_CYCLE_1) | instskip(SKIP_1) | instid1(VALU_DEP_1)
	s_or_b32 exec_lo, exec_lo, s1
	v_or_b32_e32 v43, 0x600, v0
                                        ; implicit-def: $vgpr13_vgpr14
	v_cmp_gt_u32_e64 s10, s34, v43
	s_delay_alu instid0(VALU_DEP_1)
	s_and_saveexec_b32 s1, s10
	s_cbranch_execz .LBB1149_169
; %bb.164:
	v_add_co_u32 v15, s0, s24, v43
	s_delay_alu instid0(VALU_DEP_1) | instskip(SKIP_1) | instid1(VALU_DEP_2)
	v_add_co_ci_u32_e64 v16, null, s25, 0, s0
	v_mov_b32_e32 v13, 0
	v_or_b32_e32 v14, s39, v16
	s_delay_alu instid0(VALU_DEP_1) | instskip(SKIP_1) | instid1(SALU_CYCLE_1)
	v_cmp_ne_u64_e32 vcc_lo, 0, v[13:14]
                                        ; implicit-def: $vgpr13_vgpr14
	s_and_saveexec_b32 s0, vcc_lo
	s_xor_b32 s8, exec_lo, s0
	s_cbranch_execz .LBB1149_166
; %bb.165:
	s_ashr_i32 s4, s39, 31
	s_delay_alu instid0(SALU_CYCLE_1) | instskip(SKIP_2) | instid1(SALU_CYCLE_1)
	s_add_u32 s6, s38, s4
	s_mov_b32 s5, s4
	s_addc_u32 s7, s39, s4
	s_xor_b64 s[6:7], s[6:7], s[4:5]
	s_delay_alu instid0(SALU_CYCLE_1) | instskip(SKIP_3) | instid1(VALU_DEP_1)
	v_cvt_f32_u32_e32 v13, s6
	v_cvt_f32_u32_e32 v14, s7
	s_sub_u32 s0, 0, s6
	s_subb_u32 s5, 0, s7
	v_fmamk_f32 v13, v14, 0x4f800000, v13
	s_delay_alu instid0(VALU_DEP_1) | instskip(SKIP_2) | instid1(VALU_DEP_1)
	v_rcp_f32_e32 v13, v13
	s_waitcnt_depctr 0xfff
	v_mul_f32_e32 v13, 0x5f7ffffc, v13
	v_mul_f32_e32 v14, 0x2f800000, v13
	s_delay_alu instid0(VALU_DEP_1) | instskip(NEXT) | instid1(VALU_DEP_1)
	v_trunc_f32_e32 v14, v14
	v_fmamk_f32 v13, v14, 0xcf800000, v13
	v_cvt_u32_f32_e32 v14, v14
	s_delay_alu instid0(VALU_DEP_2) | instskip(NEXT) | instid1(VALU_DEP_2)
	v_cvt_u32_f32_e32 v13, v13
	v_mul_lo_u32 v17, s0, v14
	s_delay_alu instid0(VALU_DEP_2) | instskip(SKIP_1) | instid1(VALU_DEP_2)
	v_mul_hi_u32 v18, s0, v13
	v_mul_lo_u32 v19, s5, v13
	v_add_nc_u32_e32 v17, v18, v17
	v_mul_lo_u32 v18, s0, v13
	s_delay_alu instid0(VALU_DEP_2) | instskip(NEXT) | instid1(VALU_DEP_2)
	v_add_nc_u32_e32 v17, v17, v19
	v_mul_hi_u32 v19, v13, v18
	s_delay_alu instid0(VALU_DEP_2)
	v_mul_lo_u32 v20, v13, v17
	v_mul_hi_u32 v21, v13, v17
	v_mul_hi_u32 v22, v14, v18
	v_mul_lo_u32 v18, v14, v18
	v_mul_hi_u32 v23, v14, v17
	v_mul_lo_u32 v17, v14, v17
	v_add_co_u32 v19, vcc_lo, v19, v20
	v_add_co_ci_u32_e32 v20, vcc_lo, 0, v21, vcc_lo
	s_delay_alu instid0(VALU_DEP_2) | instskip(NEXT) | instid1(VALU_DEP_2)
	v_add_co_u32 v18, vcc_lo, v19, v18
	v_add_co_ci_u32_e32 v18, vcc_lo, v20, v22, vcc_lo
	v_add_co_ci_u32_e32 v19, vcc_lo, 0, v23, vcc_lo
	v_ashrrev_i32_e32 v22, 31, v16
	s_delay_alu instid0(VALU_DEP_3) | instskip(NEXT) | instid1(VALU_DEP_3)
	v_add_co_u32 v17, vcc_lo, v18, v17
	v_add_co_ci_u32_e32 v18, vcc_lo, 0, v19, vcc_lo
	s_delay_alu instid0(VALU_DEP_2) | instskip(NEXT) | instid1(VALU_DEP_2)
	v_add_co_u32 v13, vcc_lo, v13, v17
	v_add_co_ci_u32_e32 v14, vcc_lo, v14, v18, vcc_lo
	s_delay_alu instid0(VALU_DEP_2) | instskip(SKIP_1) | instid1(VALU_DEP_3)
	v_mul_hi_u32 v17, s0, v13
	v_mul_lo_u32 v19, s5, v13
	v_mul_lo_u32 v18, s0, v14
	s_delay_alu instid0(VALU_DEP_1) | instskip(SKIP_1) | instid1(VALU_DEP_2)
	v_add_nc_u32_e32 v17, v17, v18
	v_mul_lo_u32 v18, s0, v13
	v_add_nc_u32_e32 v17, v17, v19
	s_delay_alu instid0(VALU_DEP_2) | instskip(NEXT) | instid1(VALU_DEP_2)
	v_mul_hi_u32 v19, v13, v18
	v_mul_lo_u32 v20, v13, v17
	v_mul_hi_u32 v21, v13, v17
	v_mul_hi_u32 v23, v14, v18
	v_mul_lo_u32 v18, v14, v18
	v_mul_hi_u32 v24, v14, v17
	v_mul_lo_u32 v17, v14, v17
	v_add_co_u32 v19, vcc_lo, v19, v20
	v_add_co_ci_u32_e32 v20, vcc_lo, 0, v21, vcc_lo
	s_delay_alu instid0(VALU_DEP_2) | instskip(NEXT) | instid1(VALU_DEP_2)
	v_add_co_u32 v18, vcc_lo, v19, v18
	v_add_co_ci_u32_e32 v18, vcc_lo, v20, v23, vcc_lo
	v_add_co_ci_u32_e32 v19, vcc_lo, 0, v24, vcc_lo
	v_add_co_u32 v15, vcc_lo, v15, v22
	v_add_co_ci_u32_e32 v16, vcc_lo, v16, v22, vcc_lo
	s_delay_alu instid0(VALU_DEP_4) | instskip(NEXT) | instid1(VALU_DEP_4)
	v_add_co_u32 v17, vcc_lo, v18, v17
	v_add_co_ci_u32_e32 v18, vcc_lo, 0, v19, vcc_lo
	s_delay_alu instid0(VALU_DEP_4) | instskip(NEXT) | instid1(VALU_DEP_3)
	v_xor_b32_e32 v19, v15, v22
	v_add_co_u32 v17, vcc_lo, v13, v17
	s_delay_alu instid0(VALU_DEP_3) | instskip(SKIP_1) | instid1(VALU_DEP_3)
	v_add_co_ci_u32_e32 v20, vcc_lo, v14, v18, vcc_lo
	v_xor_b32_e32 v21, v16, v22
	v_mul_hi_u32 v23, v19, v17
	s_delay_alu instid0(VALU_DEP_3) | instskip(NEXT) | instid1(VALU_DEP_3)
	v_mad_u64_u32 v[13:14], null, v19, v20, 0
	v_mad_u64_u32 v[15:16], null, v21, v17, 0
	;; [unrolled: 1-line block ×3, first 2 shown]
	s_delay_alu instid0(VALU_DEP_3) | instskip(NEXT) | instid1(VALU_DEP_4)
	v_add_co_u32 v13, vcc_lo, v23, v13
	v_add_co_ci_u32_e32 v14, vcc_lo, 0, v14, vcc_lo
	s_delay_alu instid0(VALU_DEP_2) | instskip(NEXT) | instid1(VALU_DEP_2)
	v_add_co_u32 v13, vcc_lo, v13, v15
	v_add_co_ci_u32_e32 v13, vcc_lo, v14, v16, vcc_lo
	v_add_co_ci_u32_e32 v14, vcc_lo, 0, v18, vcc_lo
	s_delay_alu instid0(VALU_DEP_2) | instskip(NEXT) | instid1(VALU_DEP_2)
	v_add_co_u32 v15, vcc_lo, v13, v17
	v_add_co_ci_u32_e32 v16, vcc_lo, 0, v14, vcc_lo
	s_delay_alu instid0(VALU_DEP_2) | instskip(SKIP_1) | instid1(VALU_DEP_3)
	v_mul_lo_u32 v17, s7, v15
	v_mad_u64_u32 v[13:14], null, s6, v15, 0
	v_mul_lo_u32 v18, s6, v16
	s_delay_alu instid0(VALU_DEP_2) | instskip(NEXT) | instid1(VALU_DEP_2)
	v_sub_co_u32 v13, vcc_lo, v19, v13
	v_add3_u32 v14, v14, v18, v17
	s_delay_alu instid0(VALU_DEP_1) | instskip(NEXT) | instid1(VALU_DEP_1)
	v_sub_nc_u32_e32 v17, v21, v14
	v_subrev_co_ci_u32_e64 v17, s0, s7, v17, vcc_lo
	v_add_co_u32 v18, s0, v15, 2
	s_delay_alu instid0(VALU_DEP_1) | instskip(SKIP_3) | instid1(VALU_DEP_3)
	v_add_co_ci_u32_e64 v19, s0, 0, v16, s0
	v_sub_co_u32 v20, s0, v13, s6
	v_sub_co_ci_u32_e32 v14, vcc_lo, v21, v14, vcc_lo
	v_subrev_co_ci_u32_e64 v17, s0, 0, v17, s0
	v_cmp_le_u32_e32 vcc_lo, s6, v20
	s_delay_alu instid0(VALU_DEP_3) | instskip(SKIP_1) | instid1(VALU_DEP_4)
	v_cmp_eq_u32_e64 s0, s7, v14
	v_cndmask_b32_e64 v20, 0, -1, vcc_lo
	v_cmp_le_u32_e32 vcc_lo, s7, v17
	v_cndmask_b32_e64 v21, 0, -1, vcc_lo
	v_cmp_le_u32_e32 vcc_lo, s6, v13
	;; [unrolled: 2-line block ×3, first 2 shown]
	v_cndmask_b32_e64 v23, 0, -1, vcc_lo
	v_cmp_eq_u32_e32 vcc_lo, s7, v17
	s_delay_alu instid0(VALU_DEP_2) | instskip(SKIP_3) | instid1(VALU_DEP_3)
	v_cndmask_b32_e64 v13, v23, v13, s0
	v_cndmask_b32_e32 v17, v21, v20, vcc_lo
	v_add_co_u32 v20, vcc_lo, v15, 1
	v_add_co_ci_u32_e32 v21, vcc_lo, 0, v16, vcc_lo
	v_cmp_ne_u32_e32 vcc_lo, 0, v17
	s_delay_alu instid0(VALU_DEP_2) | instskip(SKIP_2) | instid1(VALU_DEP_3)
	v_dual_cndmask_b32 v14, v21, v19 :: v_dual_cndmask_b32 v17, v20, v18
	v_cmp_ne_u32_e32 vcc_lo, 0, v13
	v_xor_b32_e32 v18, s4, v22
	v_dual_cndmask_b32 v13, v16, v14 :: v_dual_cndmask_b32 v14, v15, v17
	s_delay_alu instid0(VALU_DEP_1) | instskip(NEXT) | instid1(VALU_DEP_2)
	v_xor_b32_e32 v15, v13, v18
	v_xor_b32_e32 v14, v14, v18
	s_delay_alu instid0(VALU_DEP_1) | instskip(NEXT) | instid1(VALU_DEP_3)
	v_sub_co_u32 v13, vcc_lo, v14, v18
	v_sub_co_ci_u32_e32 v14, vcc_lo, v15, v18, vcc_lo
                                        ; implicit-def: $vgpr15
.LBB1149_166:
	s_and_not1_saveexec_b32 s0, s8
	s_cbranch_execz .LBB1149_168
; %bb.167:
	v_cvt_f32_u32_e32 v13, s38
	s_sub_i32 s4, 0, s38
	s_delay_alu instid0(VALU_DEP_1) | instskip(SKIP_2) | instid1(VALU_DEP_1)
	v_rcp_iflag_f32_e32 v13, v13
	s_waitcnt_depctr 0xfff
	v_mul_f32_e32 v13, 0x4f7ffffe, v13
	v_cvt_u32_f32_e32 v13, v13
	s_delay_alu instid0(VALU_DEP_1) | instskip(NEXT) | instid1(VALU_DEP_1)
	v_mul_lo_u32 v14, s4, v13
	v_mul_hi_u32 v14, v13, v14
	s_delay_alu instid0(VALU_DEP_1) | instskip(NEXT) | instid1(VALU_DEP_1)
	v_add_nc_u32_e32 v13, v13, v14
	v_mul_hi_u32 v13, v15, v13
	s_delay_alu instid0(VALU_DEP_1) | instskip(NEXT) | instid1(VALU_DEP_1)
	v_mul_lo_u32 v14, v13, s38
	v_sub_nc_u32_e32 v14, v15, v14
	v_add_nc_u32_e32 v15, 1, v13
	s_delay_alu instid0(VALU_DEP_2) | instskip(SKIP_1) | instid1(VALU_DEP_2)
	v_subrev_nc_u32_e32 v16, s38, v14
	v_cmp_le_u32_e32 vcc_lo, s38, v14
	v_dual_cndmask_b32 v14, v14, v16 :: v_dual_cndmask_b32 v13, v13, v15
	s_delay_alu instid0(VALU_DEP_1) | instskip(NEXT) | instid1(VALU_DEP_2)
	v_cmp_le_u32_e32 vcc_lo, s38, v14
	v_dual_mov_b32 v14, 0 :: v_dual_add_nc_u32 v15, 1, v13
	s_delay_alu instid0(VALU_DEP_1)
	v_cndmask_b32_e32 v13, v13, v15, vcc_lo
.LBB1149_168:
	s_or_b32 exec_lo, exec_lo, s0
.LBB1149_169:
	s_delay_alu instid0(SALU_CYCLE_1) | instskip(SKIP_1) | instid1(VALU_DEP_1)
	s_or_b32 exec_lo, exec_lo, s1
	v_or_b32_e32 v45, 0x700, v0
                                        ; implicit-def: $vgpr15_vgpr16
	v_cmp_gt_u32_e64 s9, s34, v45
	s_delay_alu instid0(VALU_DEP_1)
	s_and_saveexec_b32 s1, s9
	s_cbranch_execz .LBB1149_175
; %bb.170:
	v_add_co_u32 v17, s0, s24, v45
	s_delay_alu instid0(VALU_DEP_1) | instskip(SKIP_1) | instid1(VALU_DEP_2)
	v_add_co_ci_u32_e64 v18, null, s25, 0, s0
	v_mov_b32_e32 v15, 0
	v_or_b32_e32 v16, s39, v18
	s_delay_alu instid0(VALU_DEP_1) | instskip(SKIP_1) | instid1(SALU_CYCLE_1)
	v_cmp_ne_u64_e32 vcc_lo, 0, v[15:16]
                                        ; implicit-def: $vgpr15_vgpr16
	s_and_saveexec_b32 s0, vcc_lo
	s_xor_b32 s8, exec_lo, s0
	s_cbranch_execz .LBB1149_172
; %bb.171:
	s_ashr_i32 s4, s39, 31
	s_delay_alu instid0(SALU_CYCLE_1) | instskip(SKIP_2) | instid1(SALU_CYCLE_1)
	s_add_u32 s6, s38, s4
	s_mov_b32 s5, s4
	s_addc_u32 s7, s39, s4
	s_xor_b64 s[6:7], s[6:7], s[4:5]
	s_delay_alu instid0(SALU_CYCLE_1) | instskip(SKIP_3) | instid1(VALU_DEP_1)
	v_cvt_f32_u32_e32 v15, s6
	v_cvt_f32_u32_e32 v16, s7
	s_sub_u32 s0, 0, s6
	s_subb_u32 s5, 0, s7
	v_fmamk_f32 v15, v16, 0x4f800000, v15
	s_delay_alu instid0(VALU_DEP_1) | instskip(SKIP_2) | instid1(VALU_DEP_1)
	v_rcp_f32_e32 v15, v15
	s_waitcnt_depctr 0xfff
	v_mul_f32_e32 v15, 0x5f7ffffc, v15
	v_mul_f32_e32 v16, 0x2f800000, v15
	s_delay_alu instid0(VALU_DEP_1) | instskip(NEXT) | instid1(VALU_DEP_1)
	v_trunc_f32_e32 v16, v16
	v_fmamk_f32 v15, v16, 0xcf800000, v15
	v_cvt_u32_f32_e32 v16, v16
	s_delay_alu instid0(VALU_DEP_2) | instskip(NEXT) | instid1(VALU_DEP_2)
	v_cvt_u32_f32_e32 v15, v15
	v_mul_lo_u32 v19, s0, v16
	s_delay_alu instid0(VALU_DEP_2) | instskip(SKIP_1) | instid1(VALU_DEP_2)
	v_mul_hi_u32 v20, s0, v15
	v_mul_lo_u32 v21, s5, v15
	v_add_nc_u32_e32 v19, v20, v19
	v_mul_lo_u32 v20, s0, v15
	s_delay_alu instid0(VALU_DEP_2) | instskip(NEXT) | instid1(VALU_DEP_2)
	v_add_nc_u32_e32 v19, v19, v21
	v_mul_hi_u32 v21, v15, v20
	s_delay_alu instid0(VALU_DEP_2)
	v_mul_lo_u32 v22, v15, v19
	v_mul_hi_u32 v23, v15, v19
	v_mul_hi_u32 v24, v16, v20
	v_mul_lo_u32 v20, v16, v20
	v_mul_hi_u32 v25, v16, v19
	v_mul_lo_u32 v19, v16, v19
	v_add_co_u32 v21, vcc_lo, v21, v22
	v_add_co_ci_u32_e32 v22, vcc_lo, 0, v23, vcc_lo
	s_delay_alu instid0(VALU_DEP_2) | instskip(NEXT) | instid1(VALU_DEP_2)
	v_add_co_u32 v20, vcc_lo, v21, v20
	v_add_co_ci_u32_e32 v20, vcc_lo, v22, v24, vcc_lo
	v_add_co_ci_u32_e32 v21, vcc_lo, 0, v25, vcc_lo
	v_ashrrev_i32_e32 v24, 31, v18
	s_delay_alu instid0(VALU_DEP_3) | instskip(NEXT) | instid1(VALU_DEP_3)
	v_add_co_u32 v19, vcc_lo, v20, v19
	v_add_co_ci_u32_e32 v20, vcc_lo, 0, v21, vcc_lo
	s_delay_alu instid0(VALU_DEP_2) | instskip(NEXT) | instid1(VALU_DEP_2)
	v_add_co_u32 v15, vcc_lo, v15, v19
	v_add_co_ci_u32_e32 v16, vcc_lo, v16, v20, vcc_lo
	s_delay_alu instid0(VALU_DEP_2) | instskip(SKIP_1) | instid1(VALU_DEP_3)
	v_mul_hi_u32 v19, s0, v15
	v_mul_lo_u32 v21, s5, v15
	v_mul_lo_u32 v20, s0, v16
	s_delay_alu instid0(VALU_DEP_1) | instskip(SKIP_1) | instid1(VALU_DEP_2)
	v_add_nc_u32_e32 v19, v19, v20
	v_mul_lo_u32 v20, s0, v15
	v_add_nc_u32_e32 v19, v19, v21
	s_delay_alu instid0(VALU_DEP_2) | instskip(NEXT) | instid1(VALU_DEP_2)
	v_mul_hi_u32 v21, v15, v20
	v_mul_lo_u32 v22, v15, v19
	v_mul_hi_u32 v23, v15, v19
	v_mul_hi_u32 v25, v16, v20
	v_mul_lo_u32 v20, v16, v20
	v_mul_hi_u32 v26, v16, v19
	v_mul_lo_u32 v19, v16, v19
	v_add_co_u32 v21, vcc_lo, v21, v22
	v_add_co_ci_u32_e32 v22, vcc_lo, 0, v23, vcc_lo
	s_delay_alu instid0(VALU_DEP_2) | instskip(NEXT) | instid1(VALU_DEP_2)
	v_add_co_u32 v20, vcc_lo, v21, v20
	v_add_co_ci_u32_e32 v20, vcc_lo, v22, v25, vcc_lo
	v_add_co_ci_u32_e32 v21, vcc_lo, 0, v26, vcc_lo
	v_add_co_u32 v17, vcc_lo, v17, v24
	v_add_co_ci_u32_e32 v18, vcc_lo, v18, v24, vcc_lo
	s_delay_alu instid0(VALU_DEP_4) | instskip(NEXT) | instid1(VALU_DEP_4)
	v_add_co_u32 v19, vcc_lo, v20, v19
	v_add_co_ci_u32_e32 v20, vcc_lo, 0, v21, vcc_lo
	s_delay_alu instid0(VALU_DEP_4) | instskip(NEXT) | instid1(VALU_DEP_3)
	v_xor_b32_e32 v21, v17, v24
	v_add_co_u32 v19, vcc_lo, v15, v19
	s_delay_alu instid0(VALU_DEP_3) | instskip(SKIP_1) | instid1(VALU_DEP_3)
	v_add_co_ci_u32_e32 v22, vcc_lo, v16, v20, vcc_lo
	v_xor_b32_e32 v23, v18, v24
	v_mul_hi_u32 v25, v21, v19
	s_delay_alu instid0(VALU_DEP_3) | instskip(NEXT) | instid1(VALU_DEP_3)
	v_mad_u64_u32 v[15:16], null, v21, v22, 0
	v_mad_u64_u32 v[17:18], null, v23, v19, 0
	;; [unrolled: 1-line block ×3, first 2 shown]
	s_delay_alu instid0(VALU_DEP_3) | instskip(NEXT) | instid1(VALU_DEP_4)
	v_add_co_u32 v15, vcc_lo, v25, v15
	v_add_co_ci_u32_e32 v16, vcc_lo, 0, v16, vcc_lo
	s_delay_alu instid0(VALU_DEP_2) | instskip(NEXT) | instid1(VALU_DEP_2)
	v_add_co_u32 v15, vcc_lo, v15, v17
	v_add_co_ci_u32_e32 v15, vcc_lo, v16, v18, vcc_lo
	v_add_co_ci_u32_e32 v16, vcc_lo, 0, v20, vcc_lo
	s_delay_alu instid0(VALU_DEP_2) | instskip(NEXT) | instid1(VALU_DEP_2)
	v_add_co_u32 v17, vcc_lo, v15, v19
	v_add_co_ci_u32_e32 v18, vcc_lo, 0, v16, vcc_lo
	s_delay_alu instid0(VALU_DEP_2) | instskip(SKIP_1) | instid1(VALU_DEP_3)
	v_mul_lo_u32 v19, s7, v17
	v_mad_u64_u32 v[15:16], null, s6, v17, 0
	v_mul_lo_u32 v20, s6, v18
	s_delay_alu instid0(VALU_DEP_2) | instskip(NEXT) | instid1(VALU_DEP_2)
	v_sub_co_u32 v15, vcc_lo, v21, v15
	v_add3_u32 v16, v16, v20, v19
	s_delay_alu instid0(VALU_DEP_1) | instskip(NEXT) | instid1(VALU_DEP_1)
	v_sub_nc_u32_e32 v19, v23, v16
	v_subrev_co_ci_u32_e64 v19, s0, s7, v19, vcc_lo
	v_add_co_u32 v20, s0, v17, 2
	s_delay_alu instid0(VALU_DEP_1) | instskip(SKIP_3) | instid1(VALU_DEP_3)
	v_add_co_ci_u32_e64 v21, s0, 0, v18, s0
	v_sub_co_u32 v22, s0, v15, s6
	v_sub_co_ci_u32_e32 v16, vcc_lo, v23, v16, vcc_lo
	v_subrev_co_ci_u32_e64 v19, s0, 0, v19, s0
	v_cmp_le_u32_e32 vcc_lo, s6, v22
	s_delay_alu instid0(VALU_DEP_3) | instskip(SKIP_1) | instid1(VALU_DEP_4)
	v_cmp_eq_u32_e64 s0, s7, v16
	v_cndmask_b32_e64 v22, 0, -1, vcc_lo
	v_cmp_le_u32_e32 vcc_lo, s7, v19
	v_cndmask_b32_e64 v23, 0, -1, vcc_lo
	v_cmp_le_u32_e32 vcc_lo, s6, v15
	v_cndmask_b32_e64 v15, 0, -1, vcc_lo
	v_cmp_le_u32_e32 vcc_lo, s7, v16
	v_cndmask_b32_e64 v25, 0, -1, vcc_lo
	v_cmp_eq_u32_e32 vcc_lo, s7, v19
	s_delay_alu instid0(VALU_DEP_2) | instskip(SKIP_3) | instid1(VALU_DEP_3)
	v_cndmask_b32_e64 v15, v25, v15, s0
	v_cndmask_b32_e32 v19, v23, v22, vcc_lo
	v_add_co_u32 v22, vcc_lo, v17, 1
	v_add_co_ci_u32_e32 v23, vcc_lo, 0, v18, vcc_lo
	v_cmp_ne_u32_e32 vcc_lo, 0, v19
	s_delay_alu instid0(VALU_DEP_2) | instskip(SKIP_2) | instid1(VALU_DEP_3)
	v_dual_cndmask_b32 v16, v23, v21 :: v_dual_cndmask_b32 v19, v22, v20
	v_cmp_ne_u32_e32 vcc_lo, 0, v15
	v_xor_b32_e32 v20, s4, v24
	v_dual_cndmask_b32 v15, v18, v16 :: v_dual_cndmask_b32 v16, v17, v19
	s_delay_alu instid0(VALU_DEP_1) | instskip(NEXT) | instid1(VALU_DEP_2)
	v_xor_b32_e32 v17, v15, v20
	v_xor_b32_e32 v16, v16, v20
	s_delay_alu instid0(VALU_DEP_1) | instskip(NEXT) | instid1(VALU_DEP_3)
	v_sub_co_u32 v15, vcc_lo, v16, v20
	v_sub_co_ci_u32_e32 v16, vcc_lo, v17, v20, vcc_lo
                                        ; implicit-def: $vgpr17
.LBB1149_172:
	s_and_not1_saveexec_b32 s0, s8
	s_cbranch_execz .LBB1149_174
; %bb.173:
	v_cvt_f32_u32_e32 v15, s38
	s_sub_i32 s4, 0, s38
	s_delay_alu instid0(VALU_DEP_1) | instskip(SKIP_2) | instid1(VALU_DEP_1)
	v_rcp_iflag_f32_e32 v15, v15
	s_waitcnt_depctr 0xfff
	v_mul_f32_e32 v15, 0x4f7ffffe, v15
	v_cvt_u32_f32_e32 v15, v15
	s_delay_alu instid0(VALU_DEP_1) | instskip(NEXT) | instid1(VALU_DEP_1)
	v_mul_lo_u32 v16, s4, v15
	v_mul_hi_u32 v16, v15, v16
	s_delay_alu instid0(VALU_DEP_1) | instskip(NEXT) | instid1(VALU_DEP_1)
	v_add_nc_u32_e32 v15, v15, v16
	v_mul_hi_u32 v15, v17, v15
	s_delay_alu instid0(VALU_DEP_1) | instskip(NEXT) | instid1(VALU_DEP_1)
	v_mul_lo_u32 v16, v15, s38
	v_sub_nc_u32_e32 v16, v17, v16
	v_add_nc_u32_e32 v17, 1, v15
	s_delay_alu instid0(VALU_DEP_2) | instskip(SKIP_1) | instid1(VALU_DEP_2)
	v_subrev_nc_u32_e32 v18, s38, v16
	v_cmp_le_u32_e32 vcc_lo, s38, v16
	v_dual_cndmask_b32 v16, v16, v18 :: v_dual_cndmask_b32 v15, v15, v17
	s_delay_alu instid0(VALU_DEP_1) | instskip(NEXT) | instid1(VALU_DEP_2)
	v_cmp_le_u32_e32 vcc_lo, s38, v16
	v_dual_mov_b32 v16, 0 :: v_dual_add_nc_u32 v17, 1, v15
	s_delay_alu instid0(VALU_DEP_1)
	v_cndmask_b32_e32 v15, v15, v17, vcc_lo
.LBB1149_174:
	s_or_b32 exec_lo, exec_lo, s0
.LBB1149_175:
	s_delay_alu instid0(SALU_CYCLE_1) | instskip(SKIP_1) | instid1(VALU_DEP_1)
	s_or_b32 exec_lo, exec_lo, s1
	v_or_b32_e32 v47, 0x800, v0
                                        ; implicit-def: $vgpr17_vgpr18
	v_cmp_gt_u32_e64 s8, s34, v47
	s_delay_alu instid0(VALU_DEP_1)
	s_and_saveexec_b32 s1, s8
	s_cbranch_execz .LBB1149_181
; %bb.176:
	v_add_co_u32 v19, s0, s24, v47
	s_delay_alu instid0(VALU_DEP_1) | instskip(SKIP_1) | instid1(VALU_DEP_2)
	v_add_co_ci_u32_e64 v20, null, s25, 0, s0
	v_mov_b32_e32 v17, 0
	v_or_b32_e32 v18, s39, v20
	s_delay_alu instid0(VALU_DEP_1) | instskip(SKIP_1) | instid1(SALU_CYCLE_1)
	v_cmp_ne_u64_e32 vcc_lo, 0, v[17:18]
                                        ; implicit-def: $vgpr17_vgpr18
	s_and_saveexec_b32 s0, vcc_lo
	s_xor_b32 s17, exec_lo, s0
	s_cbranch_execz .LBB1149_178
; %bb.177:
	s_ashr_i32 s4, s39, 31
	s_delay_alu instid0(SALU_CYCLE_1) | instskip(SKIP_2) | instid1(SALU_CYCLE_1)
	s_add_u32 s6, s38, s4
	s_mov_b32 s5, s4
	s_addc_u32 s7, s39, s4
	s_xor_b64 s[6:7], s[6:7], s[4:5]
	s_delay_alu instid0(SALU_CYCLE_1) | instskip(SKIP_3) | instid1(VALU_DEP_1)
	v_cvt_f32_u32_e32 v17, s6
	v_cvt_f32_u32_e32 v18, s7
	s_sub_u32 s0, 0, s6
	s_subb_u32 s5, 0, s7
	v_fmamk_f32 v17, v18, 0x4f800000, v17
	s_delay_alu instid0(VALU_DEP_1) | instskip(SKIP_2) | instid1(VALU_DEP_1)
	v_rcp_f32_e32 v17, v17
	s_waitcnt_depctr 0xfff
	v_mul_f32_e32 v17, 0x5f7ffffc, v17
	v_mul_f32_e32 v18, 0x2f800000, v17
	s_delay_alu instid0(VALU_DEP_1) | instskip(NEXT) | instid1(VALU_DEP_1)
	v_trunc_f32_e32 v18, v18
	v_fmamk_f32 v17, v18, 0xcf800000, v17
	v_cvt_u32_f32_e32 v18, v18
	s_delay_alu instid0(VALU_DEP_2) | instskip(NEXT) | instid1(VALU_DEP_2)
	v_cvt_u32_f32_e32 v17, v17
	v_mul_lo_u32 v21, s0, v18
	s_delay_alu instid0(VALU_DEP_2) | instskip(SKIP_1) | instid1(VALU_DEP_2)
	v_mul_hi_u32 v22, s0, v17
	v_mul_lo_u32 v23, s5, v17
	v_add_nc_u32_e32 v21, v22, v21
	v_mul_lo_u32 v22, s0, v17
	s_delay_alu instid0(VALU_DEP_2) | instskip(NEXT) | instid1(VALU_DEP_2)
	v_add_nc_u32_e32 v21, v21, v23
	v_mul_hi_u32 v23, v17, v22
	s_delay_alu instid0(VALU_DEP_2)
	v_mul_lo_u32 v24, v17, v21
	v_mul_hi_u32 v25, v17, v21
	v_mul_hi_u32 v26, v18, v22
	v_mul_lo_u32 v22, v18, v22
	v_mul_hi_u32 v27, v18, v21
	v_mul_lo_u32 v21, v18, v21
	v_add_co_u32 v23, vcc_lo, v23, v24
	v_add_co_ci_u32_e32 v24, vcc_lo, 0, v25, vcc_lo
	s_delay_alu instid0(VALU_DEP_2) | instskip(NEXT) | instid1(VALU_DEP_2)
	v_add_co_u32 v22, vcc_lo, v23, v22
	v_add_co_ci_u32_e32 v22, vcc_lo, v24, v26, vcc_lo
	v_add_co_ci_u32_e32 v23, vcc_lo, 0, v27, vcc_lo
	v_ashrrev_i32_e32 v26, 31, v20
	s_delay_alu instid0(VALU_DEP_3) | instskip(NEXT) | instid1(VALU_DEP_3)
	v_add_co_u32 v21, vcc_lo, v22, v21
	v_add_co_ci_u32_e32 v22, vcc_lo, 0, v23, vcc_lo
	s_delay_alu instid0(VALU_DEP_2) | instskip(NEXT) | instid1(VALU_DEP_2)
	v_add_co_u32 v17, vcc_lo, v17, v21
	v_add_co_ci_u32_e32 v18, vcc_lo, v18, v22, vcc_lo
	s_delay_alu instid0(VALU_DEP_2) | instskip(SKIP_1) | instid1(VALU_DEP_3)
	v_mul_hi_u32 v21, s0, v17
	v_mul_lo_u32 v23, s5, v17
	v_mul_lo_u32 v22, s0, v18
	s_delay_alu instid0(VALU_DEP_1) | instskip(SKIP_1) | instid1(VALU_DEP_2)
	v_add_nc_u32_e32 v21, v21, v22
	v_mul_lo_u32 v22, s0, v17
	v_add_nc_u32_e32 v21, v21, v23
	s_delay_alu instid0(VALU_DEP_2) | instskip(NEXT) | instid1(VALU_DEP_2)
	v_mul_hi_u32 v23, v17, v22
	v_mul_lo_u32 v24, v17, v21
	v_mul_hi_u32 v25, v17, v21
	v_mul_hi_u32 v27, v18, v22
	v_mul_lo_u32 v22, v18, v22
	v_mul_hi_u32 v28, v18, v21
	v_mul_lo_u32 v21, v18, v21
	v_add_co_u32 v23, vcc_lo, v23, v24
	v_add_co_ci_u32_e32 v24, vcc_lo, 0, v25, vcc_lo
	s_delay_alu instid0(VALU_DEP_2) | instskip(NEXT) | instid1(VALU_DEP_2)
	v_add_co_u32 v22, vcc_lo, v23, v22
	v_add_co_ci_u32_e32 v22, vcc_lo, v24, v27, vcc_lo
	v_add_co_ci_u32_e32 v23, vcc_lo, 0, v28, vcc_lo
	v_add_co_u32 v19, vcc_lo, v19, v26
	v_add_co_ci_u32_e32 v20, vcc_lo, v20, v26, vcc_lo
	s_delay_alu instid0(VALU_DEP_4) | instskip(NEXT) | instid1(VALU_DEP_4)
	v_add_co_u32 v21, vcc_lo, v22, v21
	v_add_co_ci_u32_e32 v22, vcc_lo, 0, v23, vcc_lo
	s_delay_alu instid0(VALU_DEP_4) | instskip(NEXT) | instid1(VALU_DEP_3)
	v_xor_b32_e32 v23, v19, v26
	v_add_co_u32 v21, vcc_lo, v17, v21
	s_delay_alu instid0(VALU_DEP_3) | instskip(SKIP_1) | instid1(VALU_DEP_3)
	v_add_co_ci_u32_e32 v24, vcc_lo, v18, v22, vcc_lo
	v_xor_b32_e32 v25, v20, v26
	v_mul_hi_u32 v27, v23, v21
	s_delay_alu instid0(VALU_DEP_3) | instskip(NEXT) | instid1(VALU_DEP_3)
	v_mad_u64_u32 v[17:18], null, v23, v24, 0
	v_mad_u64_u32 v[19:20], null, v25, v21, 0
	;; [unrolled: 1-line block ×3, first 2 shown]
	s_delay_alu instid0(VALU_DEP_3) | instskip(NEXT) | instid1(VALU_DEP_4)
	v_add_co_u32 v17, vcc_lo, v27, v17
	v_add_co_ci_u32_e32 v18, vcc_lo, 0, v18, vcc_lo
	s_delay_alu instid0(VALU_DEP_2) | instskip(NEXT) | instid1(VALU_DEP_2)
	v_add_co_u32 v17, vcc_lo, v17, v19
	v_add_co_ci_u32_e32 v17, vcc_lo, v18, v20, vcc_lo
	v_add_co_ci_u32_e32 v18, vcc_lo, 0, v22, vcc_lo
	s_delay_alu instid0(VALU_DEP_2) | instskip(NEXT) | instid1(VALU_DEP_2)
	v_add_co_u32 v19, vcc_lo, v17, v21
	v_add_co_ci_u32_e32 v20, vcc_lo, 0, v18, vcc_lo
	s_delay_alu instid0(VALU_DEP_2) | instskip(SKIP_1) | instid1(VALU_DEP_3)
	v_mul_lo_u32 v21, s7, v19
	v_mad_u64_u32 v[17:18], null, s6, v19, 0
	v_mul_lo_u32 v22, s6, v20
	s_delay_alu instid0(VALU_DEP_2) | instskip(NEXT) | instid1(VALU_DEP_2)
	v_sub_co_u32 v17, vcc_lo, v23, v17
	v_add3_u32 v18, v18, v22, v21
	s_delay_alu instid0(VALU_DEP_1) | instskip(NEXT) | instid1(VALU_DEP_1)
	v_sub_nc_u32_e32 v21, v25, v18
	v_subrev_co_ci_u32_e64 v21, s0, s7, v21, vcc_lo
	v_add_co_u32 v22, s0, v19, 2
	s_delay_alu instid0(VALU_DEP_1) | instskip(SKIP_3) | instid1(VALU_DEP_3)
	v_add_co_ci_u32_e64 v23, s0, 0, v20, s0
	v_sub_co_u32 v24, s0, v17, s6
	v_sub_co_ci_u32_e32 v18, vcc_lo, v25, v18, vcc_lo
	v_subrev_co_ci_u32_e64 v21, s0, 0, v21, s0
	v_cmp_le_u32_e32 vcc_lo, s6, v24
	s_delay_alu instid0(VALU_DEP_3) | instskip(SKIP_1) | instid1(VALU_DEP_4)
	v_cmp_eq_u32_e64 s0, s7, v18
	v_cndmask_b32_e64 v24, 0, -1, vcc_lo
	v_cmp_le_u32_e32 vcc_lo, s7, v21
	v_cndmask_b32_e64 v25, 0, -1, vcc_lo
	v_cmp_le_u32_e32 vcc_lo, s6, v17
	;; [unrolled: 2-line block ×3, first 2 shown]
	v_cndmask_b32_e64 v27, 0, -1, vcc_lo
	v_cmp_eq_u32_e32 vcc_lo, s7, v21
	s_delay_alu instid0(VALU_DEP_2) | instskip(SKIP_3) | instid1(VALU_DEP_3)
	v_cndmask_b32_e64 v17, v27, v17, s0
	v_cndmask_b32_e32 v21, v25, v24, vcc_lo
	v_add_co_u32 v24, vcc_lo, v19, 1
	v_add_co_ci_u32_e32 v25, vcc_lo, 0, v20, vcc_lo
	v_cmp_ne_u32_e32 vcc_lo, 0, v21
	s_delay_alu instid0(VALU_DEP_2) | instskip(SKIP_2) | instid1(VALU_DEP_3)
	v_dual_cndmask_b32 v18, v25, v23 :: v_dual_cndmask_b32 v21, v24, v22
	v_cmp_ne_u32_e32 vcc_lo, 0, v17
	v_xor_b32_e32 v22, s4, v26
	v_dual_cndmask_b32 v17, v20, v18 :: v_dual_cndmask_b32 v18, v19, v21
	s_delay_alu instid0(VALU_DEP_1) | instskip(NEXT) | instid1(VALU_DEP_2)
	v_xor_b32_e32 v19, v17, v22
	v_xor_b32_e32 v18, v18, v22
	s_delay_alu instid0(VALU_DEP_1) | instskip(NEXT) | instid1(VALU_DEP_3)
	v_sub_co_u32 v17, vcc_lo, v18, v22
	v_sub_co_ci_u32_e32 v18, vcc_lo, v19, v22, vcc_lo
                                        ; implicit-def: $vgpr19
.LBB1149_178:
	s_and_not1_saveexec_b32 s0, s17
	s_cbranch_execz .LBB1149_180
; %bb.179:
	v_cvt_f32_u32_e32 v17, s38
	s_sub_i32 s4, 0, s38
	s_delay_alu instid0(VALU_DEP_1) | instskip(SKIP_2) | instid1(VALU_DEP_1)
	v_rcp_iflag_f32_e32 v17, v17
	s_waitcnt_depctr 0xfff
	v_mul_f32_e32 v17, 0x4f7ffffe, v17
	v_cvt_u32_f32_e32 v17, v17
	s_delay_alu instid0(VALU_DEP_1) | instskip(NEXT) | instid1(VALU_DEP_1)
	v_mul_lo_u32 v18, s4, v17
	v_mul_hi_u32 v18, v17, v18
	s_delay_alu instid0(VALU_DEP_1) | instskip(NEXT) | instid1(VALU_DEP_1)
	v_add_nc_u32_e32 v17, v17, v18
	v_mul_hi_u32 v17, v19, v17
	s_delay_alu instid0(VALU_DEP_1) | instskip(NEXT) | instid1(VALU_DEP_1)
	v_mul_lo_u32 v18, v17, s38
	v_sub_nc_u32_e32 v18, v19, v18
	v_add_nc_u32_e32 v19, 1, v17
	s_delay_alu instid0(VALU_DEP_2) | instskip(SKIP_1) | instid1(VALU_DEP_2)
	v_subrev_nc_u32_e32 v20, s38, v18
	v_cmp_le_u32_e32 vcc_lo, s38, v18
	v_dual_cndmask_b32 v18, v18, v20 :: v_dual_cndmask_b32 v17, v17, v19
	s_delay_alu instid0(VALU_DEP_1) | instskip(NEXT) | instid1(VALU_DEP_2)
	v_cmp_le_u32_e32 vcc_lo, s38, v18
	v_dual_mov_b32 v18, 0 :: v_dual_add_nc_u32 v19, 1, v17
	s_delay_alu instid0(VALU_DEP_1)
	v_cndmask_b32_e32 v17, v17, v19, vcc_lo
.LBB1149_180:
	s_or_b32 exec_lo, exec_lo, s0
.LBB1149_181:
	s_delay_alu instid0(SALU_CYCLE_1) | instskip(SKIP_1) | instid1(VALU_DEP_1)
	s_or_b32 exec_lo, exec_lo, s1
	v_or_b32_e32 v49, 0x900, v0
                                        ; implicit-def: $vgpr19_vgpr20
	v_cmp_gt_u32_e64 s7, s34, v49
	s_delay_alu instid0(VALU_DEP_1)
	s_and_saveexec_b32 s1, s7
	s_cbranch_execz .LBB1149_187
; %bb.182:
	v_add_co_u32 v21, s0, s24, v49
	s_delay_alu instid0(VALU_DEP_1) | instskip(SKIP_1) | instid1(VALU_DEP_2)
	v_add_co_ci_u32_e64 v22, null, s25, 0, s0
	v_mov_b32_e32 v19, 0
	v_or_b32_e32 v20, s39, v22
	s_delay_alu instid0(VALU_DEP_1) | instskip(SKIP_1) | instid1(SALU_CYCLE_1)
	v_cmp_ne_u64_e32 vcc_lo, 0, v[19:20]
                                        ; implicit-def: $vgpr19_vgpr20
	s_and_saveexec_b32 s0, vcc_lo
	s_xor_b32 s6, exec_lo, s0
	s_cbranch_execz .LBB1149_184
; %bb.183:
	s_ashr_i32 s4, s39, 31
	s_delay_alu instid0(SALU_CYCLE_1) | instskip(SKIP_2) | instid1(SALU_CYCLE_1)
	s_add_u32 s20, s38, s4
	s_mov_b32 s5, s4
	s_addc_u32 s21, s39, s4
	s_xor_b64 s[20:21], s[20:21], s[4:5]
	s_delay_alu instid0(SALU_CYCLE_1) | instskip(SKIP_3) | instid1(VALU_DEP_1)
	v_cvt_f32_u32_e32 v19, s20
	v_cvt_f32_u32_e32 v20, s21
	s_sub_u32 s0, 0, s20
	s_subb_u32 s5, 0, s21
	v_fmamk_f32 v19, v20, 0x4f800000, v19
	s_delay_alu instid0(VALU_DEP_1) | instskip(SKIP_2) | instid1(VALU_DEP_1)
	v_rcp_f32_e32 v19, v19
	s_waitcnt_depctr 0xfff
	v_mul_f32_e32 v19, 0x5f7ffffc, v19
	v_mul_f32_e32 v20, 0x2f800000, v19
	s_delay_alu instid0(VALU_DEP_1) | instskip(NEXT) | instid1(VALU_DEP_1)
	v_trunc_f32_e32 v20, v20
	v_fmamk_f32 v19, v20, 0xcf800000, v19
	v_cvt_u32_f32_e32 v20, v20
	s_delay_alu instid0(VALU_DEP_2) | instskip(NEXT) | instid1(VALU_DEP_2)
	v_cvt_u32_f32_e32 v19, v19
	v_mul_lo_u32 v23, s0, v20
	s_delay_alu instid0(VALU_DEP_2) | instskip(SKIP_1) | instid1(VALU_DEP_2)
	v_mul_hi_u32 v24, s0, v19
	v_mul_lo_u32 v25, s5, v19
	v_add_nc_u32_e32 v23, v24, v23
	v_mul_lo_u32 v24, s0, v19
	s_delay_alu instid0(VALU_DEP_2) | instskip(NEXT) | instid1(VALU_DEP_2)
	v_add_nc_u32_e32 v23, v23, v25
	v_mul_hi_u32 v25, v19, v24
	s_delay_alu instid0(VALU_DEP_2)
	v_mul_lo_u32 v26, v19, v23
	v_mul_hi_u32 v27, v19, v23
	v_mul_hi_u32 v28, v20, v24
	v_mul_lo_u32 v24, v20, v24
	v_mul_hi_u32 v29, v20, v23
	v_mul_lo_u32 v23, v20, v23
	v_add_co_u32 v25, vcc_lo, v25, v26
	v_add_co_ci_u32_e32 v26, vcc_lo, 0, v27, vcc_lo
	s_delay_alu instid0(VALU_DEP_2) | instskip(NEXT) | instid1(VALU_DEP_2)
	v_add_co_u32 v24, vcc_lo, v25, v24
	v_add_co_ci_u32_e32 v24, vcc_lo, v26, v28, vcc_lo
	v_add_co_ci_u32_e32 v25, vcc_lo, 0, v29, vcc_lo
	v_ashrrev_i32_e32 v28, 31, v22
	s_delay_alu instid0(VALU_DEP_3) | instskip(NEXT) | instid1(VALU_DEP_3)
	v_add_co_u32 v23, vcc_lo, v24, v23
	v_add_co_ci_u32_e32 v24, vcc_lo, 0, v25, vcc_lo
	s_delay_alu instid0(VALU_DEP_2) | instskip(NEXT) | instid1(VALU_DEP_2)
	v_add_co_u32 v19, vcc_lo, v19, v23
	v_add_co_ci_u32_e32 v20, vcc_lo, v20, v24, vcc_lo
	s_delay_alu instid0(VALU_DEP_2) | instskip(SKIP_1) | instid1(VALU_DEP_3)
	v_mul_hi_u32 v23, s0, v19
	v_mul_lo_u32 v25, s5, v19
	v_mul_lo_u32 v24, s0, v20
	s_delay_alu instid0(VALU_DEP_1) | instskip(SKIP_1) | instid1(VALU_DEP_2)
	v_add_nc_u32_e32 v23, v23, v24
	v_mul_lo_u32 v24, s0, v19
	v_add_nc_u32_e32 v23, v23, v25
	s_delay_alu instid0(VALU_DEP_2) | instskip(NEXT) | instid1(VALU_DEP_2)
	v_mul_hi_u32 v25, v19, v24
	v_mul_lo_u32 v26, v19, v23
	v_mul_hi_u32 v27, v19, v23
	v_mul_hi_u32 v29, v20, v24
	v_mul_lo_u32 v24, v20, v24
	v_mul_hi_u32 v30, v20, v23
	v_mul_lo_u32 v23, v20, v23
	v_add_co_u32 v25, vcc_lo, v25, v26
	v_add_co_ci_u32_e32 v26, vcc_lo, 0, v27, vcc_lo
	s_delay_alu instid0(VALU_DEP_2) | instskip(NEXT) | instid1(VALU_DEP_2)
	v_add_co_u32 v24, vcc_lo, v25, v24
	v_add_co_ci_u32_e32 v24, vcc_lo, v26, v29, vcc_lo
	v_add_co_ci_u32_e32 v25, vcc_lo, 0, v30, vcc_lo
	v_add_co_u32 v21, vcc_lo, v21, v28
	v_add_co_ci_u32_e32 v22, vcc_lo, v22, v28, vcc_lo
	s_delay_alu instid0(VALU_DEP_4) | instskip(NEXT) | instid1(VALU_DEP_4)
	v_add_co_u32 v23, vcc_lo, v24, v23
	v_add_co_ci_u32_e32 v24, vcc_lo, 0, v25, vcc_lo
	s_delay_alu instid0(VALU_DEP_4) | instskip(NEXT) | instid1(VALU_DEP_3)
	v_xor_b32_e32 v25, v21, v28
	v_add_co_u32 v23, vcc_lo, v19, v23
	s_delay_alu instid0(VALU_DEP_3) | instskip(SKIP_1) | instid1(VALU_DEP_3)
	v_add_co_ci_u32_e32 v26, vcc_lo, v20, v24, vcc_lo
	v_xor_b32_e32 v27, v22, v28
	v_mul_hi_u32 v29, v25, v23
	s_delay_alu instid0(VALU_DEP_3) | instskip(NEXT) | instid1(VALU_DEP_3)
	v_mad_u64_u32 v[19:20], null, v25, v26, 0
	v_mad_u64_u32 v[21:22], null, v27, v23, 0
	;; [unrolled: 1-line block ×3, first 2 shown]
	s_delay_alu instid0(VALU_DEP_3) | instskip(NEXT) | instid1(VALU_DEP_4)
	v_add_co_u32 v19, vcc_lo, v29, v19
	v_add_co_ci_u32_e32 v20, vcc_lo, 0, v20, vcc_lo
	s_delay_alu instid0(VALU_DEP_2) | instskip(NEXT) | instid1(VALU_DEP_2)
	v_add_co_u32 v19, vcc_lo, v19, v21
	v_add_co_ci_u32_e32 v19, vcc_lo, v20, v22, vcc_lo
	v_add_co_ci_u32_e32 v20, vcc_lo, 0, v24, vcc_lo
	s_delay_alu instid0(VALU_DEP_2) | instskip(NEXT) | instid1(VALU_DEP_2)
	v_add_co_u32 v21, vcc_lo, v19, v23
	v_add_co_ci_u32_e32 v22, vcc_lo, 0, v20, vcc_lo
	s_delay_alu instid0(VALU_DEP_2) | instskip(SKIP_1) | instid1(VALU_DEP_3)
	v_mul_lo_u32 v23, s21, v21
	v_mad_u64_u32 v[19:20], null, s20, v21, 0
	v_mul_lo_u32 v24, s20, v22
	s_delay_alu instid0(VALU_DEP_2) | instskip(NEXT) | instid1(VALU_DEP_2)
	v_sub_co_u32 v19, vcc_lo, v25, v19
	v_add3_u32 v20, v20, v24, v23
	s_delay_alu instid0(VALU_DEP_1) | instskip(NEXT) | instid1(VALU_DEP_1)
	v_sub_nc_u32_e32 v23, v27, v20
	v_subrev_co_ci_u32_e64 v23, s0, s21, v23, vcc_lo
	v_add_co_u32 v24, s0, v21, 2
	s_delay_alu instid0(VALU_DEP_1) | instskip(SKIP_3) | instid1(VALU_DEP_3)
	v_add_co_ci_u32_e64 v25, s0, 0, v22, s0
	v_sub_co_u32 v26, s0, v19, s20
	v_sub_co_ci_u32_e32 v20, vcc_lo, v27, v20, vcc_lo
	v_subrev_co_ci_u32_e64 v23, s0, 0, v23, s0
	v_cmp_le_u32_e32 vcc_lo, s20, v26
	s_delay_alu instid0(VALU_DEP_3) | instskip(SKIP_1) | instid1(VALU_DEP_4)
	v_cmp_eq_u32_e64 s0, s21, v20
	v_cndmask_b32_e64 v26, 0, -1, vcc_lo
	v_cmp_le_u32_e32 vcc_lo, s21, v23
	v_cndmask_b32_e64 v27, 0, -1, vcc_lo
	v_cmp_le_u32_e32 vcc_lo, s20, v19
	v_cndmask_b32_e64 v19, 0, -1, vcc_lo
	v_cmp_le_u32_e32 vcc_lo, s21, v20
	v_cndmask_b32_e64 v29, 0, -1, vcc_lo
	v_cmp_eq_u32_e32 vcc_lo, s21, v23
	s_delay_alu instid0(VALU_DEP_2) | instskip(SKIP_3) | instid1(VALU_DEP_3)
	v_cndmask_b32_e64 v19, v29, v19, s0
	v_cndmask_b32_e32 v23, v27, v26, vcc_lo
	v_add_co_u32 v26, vcc_lo, v21, 1
	v_add_co_ci_u32_e32 v27, vcc_lo, 0, v22, vcc_lo
	v_cmp_ne_u32_e32 vcc_lo, 0, v23
	s_delay_alu instid0(VALU_DEP_2) | instskip(SKIP_2) | instid1(VALU_DEP_3)
	v_dual_cndmask_b32 v20, v27, v25 :: v_dual_cndmask_b32 v23, v26, v24
	v_cmp_ne_u32_e32 vcc_lo, 0, v19
	v_xor_b32_e32 v24, s4, v28
	v_dual_cndmask_b32 v19, v22, v20 :: v_dual_cndmask_b32 v20, v21, v23
	s_delay_alu instid0(VALU_DEP_1) | instskip(NEXT) | instid1(VALU_DEP_2)
	v_xor_b32_e32 v21, v19, v24
	v_xor_b32_e32 v20, v20, v24
	s_delay_alu instid0(VALU_DEP_1) | instskip(NEXT) | instid1(VALU_DEP_3)
	v_sub_co_u32 v19, vcc_lo, v20, v24
	v_sub_co_ci_u32_e32 v20, vcc_lo, v21, v24, vcc_lo
                                        ; implicit-def: $vgpr21
.LBB1149_184:
	s_and_not1_saveexec_b32 s0, s6
	s_cbranch_execz .LBB1149_186
; %bb.185:
	v_cvt_f32_u32_e32 v19, s38
	s_sub_i32 s4, 0, s38
	s_delay_alu instid0(VALU_DEP_1) | instskip(SKIP_2) | instid1(VALU_DEP_1)
	v_rcp_iflag_f32_e32 v19, v19
	s_waitcnt_depctr 0xfff
	v_mul_f32_e32 v19, 0x4f7ffffe, v19
	v_cvt_u32_f32_e32 v19, v19
	s_delay_alu instid0(VALU_DEP_1) | instskip(NEXT) | instid1(VALU_DEP_1)
	v_mul_lo_u32 v20, s4, v19
	v_mul_hi_u32 v20, v19, v20
	s_delay_alu instid0(VALU_DEP_1) | instskip(NEXT) | instid1(VALU_DEP_1)
	v_add_nc_u32_e32 v19, v19, v20
	v_mul_hi_u32 v19, v21, v19
	s_delay_alu instid0(VALU_DEP_1) | instskip(NEXT) | instid1(VALU_DEP_1)
	v_mul_lo_u32 v20, v19, s38
	v_sub_nc_u32_e32 v20, v21, v20
	v_add_nc_u32_e32 v21, 1, v19
	s_delay_alu instid0(VALU_DEP_2) | instskip(SKIP_1) | instid1(VALU_DEP_2)
	v_subrev_nc_u32_e32 v22, s38, v20
	v_cmp_le_u32_e32 vcc_lo, s38, v20
	v_dual_cndmask_b32 v20, v20, v22 :: v_dual_cndmask_b32 v19, v19, v21
	s_delay_alu instid0(VALU_DEP_1) | instskip(NEXT) | instid1(VALU_DEP_2)
	v_cmp_le_u32_e32 vcc_lo, s38, v20
	v_dual_mov_b32 v20, 0 :: v_dual_add_nc_u32 v21, 1, v19
	s_delay_alu instid0(VALU_DEP_1)
	v_cndmask_b32_e32 v19, v19, v21, vcc_lo
.LBB1149_186:
	s_or_b32 exec_lo, exec_lo, s0
.LBB1149_187:
	s_delay_alu instid0(SALU_CYCLE_1) | instskip(SKIP_1) | instid1(VALU_DEP_1)
	s_or_b32 exec_lo, exec_lo, s1
	v_or_b32_e32 v51, 0xa00, v0
                                        ; implicit-def: $vgpr21_vgpr22
	v_cmp_gt_u32_e64 s6, s34, v51
	s_delay_alu instid0(VALU_DEP_1)
	s_and_saveexec_b32 s1, s6
	s_cbranch_execz .LBB1149_193
; %bb.188:
	v_add_co_u32 v23, s0, s24, v51
	s_delay_alu instid0(VALU_DEP_1) | instskip(SKIP_1) | instid1(VALU_DEP_2)
	v_add_co_ci_u32_e64 v24, null, s25, 0, s0
	v_mov_b32_e32 v21, 0
	v_or_b32_e32 v22, s39, v24
	s_delay_alu instid0(VALU_DEP_1) | instskip(SKIP_1) | instid1(SALU_CYCLE_1)
	v_cmp_ne_u64_e32 vcc_lo, 0, v[21:22]
                                        ; implicit-def: $vgpr21_vgpr22
	s_and_saveexec_b32 s0, vcc_lo
	s_xor_b32 s17, exec_lo, s0
	s_cbranch_execz .LBB1149_190
; %bb.189:
	s_ashr_i32 s4, s39, 31
	s_delay_alu instid0(SALU_CYCLE_1) | instskip(SKIP_2) | instid1(SALU_CYCLE_1)
	s_add_u32 s20, s38, s4
	s_mov_b32 s5, s4
	s_addc_u32 s21, s39, s4
	s_xor_b64 s[20:21], s[20:21], s[4:5]
	s_delay_alu instid0(SALU_CYCLE_1) | instskip(SKIP_3) | instid1(VALU_DEP_1)
	v_cvt_f32_u32_e32 v21, s20
	v_cvt_f32_u32_e32 v22, s21
	s_sub_u32 s0, 0, s20
	s_subb_u32 s5, 0, s21
	v_fmamk_f32 v21, v22, 0x4f800000, v21
	s_delay_alu instid0(VALU_DEP_1) | instskip(SKIP_2) | instid1(VALU_DEP_1)
	v_rcp_f32_e32 v21, v21
	s_waitcnt_depctr 0xfff
	v_mul_f32_e32 v21, 0x5f7ffffc, v21
	v_mul_f32_e32 v22, 0x2f800000, v21
	s_delay_alu instid0(VALU_DEP_1) | instskip(NEXT) | instid1(VALU_DEP_1)
	v_trunc_f32_e32 v22, v22
	v_fmamk_f32 v21, v22, 0xcf800000, v21
	v_cvt_u32_f32_e32 v22, v22
	s_delay_alu instid0(VALU_DEP_2) | instskip(NEXT) | instid1(VALU_DEP_2)
	v_cvt_u32_f32_e32 v21, v21
	v_mul_lo_u32 v25, s0, v22
	s_delay_alu instid0(VALU_DEP_2) | instskip(SKIP_1) | instid1(VALU_DEP_2)
	v_mul_hi_u32 v26, s0, v21
	v_mul_lo_u32 v27, s5, v21
	v_add_nc_u32_e32 v25, v26, v25
	v_mul_lo_u32 v26, s0, v21
	s_delay_alu instid0(VALU_DEP_2) | instskip(NEXT) | instid1(VALU_DEP_2)
	v_add_nc_u32_e32 v25, v25, v27
	v_mul_hi_u32 v27, v21, v26
	s_delay_alu instid0(VALU_DEP_2)
	v_mul_lo_u32 v28, v21, v25
	v_mul_hi_u32 v29, v21, v25
	v_mul_hi_u32 v30, v22, v26
	v_mul_lo_u32 v26, v22, v26
	v_mul_hi_u32 v31, v22, v25
	v_mul_lo_u32 v25, v22, v25
	v_add_co_u32 v27, vcc_lo, v27, v28
	v_add_co_ci_u32_e32 v28, vcc_lo, 0, v29, vcc_lo
	s_delay_alu instid0(VALU_DEP_2) | instskip(NEXT) | instid1(VALU_DEP_2)
	v_add_co_u32 v26, vcc_lo, v27, v26
	v_add_co_ci_u32_e32 v26, vcc_lo, v28, v30, vcc_lo
	v_add_co_ci_u32_e32 v27, vcc_lo, 0, v31, vcc_lo
	v_ashrrev_i32_e32 v30, 31, v24
	s_delay_alu instid0(VALU_DEP_3) | instskip(NEXT) | instid1(VALU_DEP_3)
	v_add_co_u32 v25, vcc_lo, v26, v25
	v_add_co_ci_u32_e32 v26, vcc_lo, 0, v27, vcc_lo
	s_delay_alu instid0(VALU_DEP_2) | instskip(NEXT) | instid1(VALU_DEP_2)
	v_add_co_u32 v21, vcc_lo, v21, v25
	v_add_co_ci_u32_e32 v22, vcc_lo, v22, v26, vcc_lo
	s_delay_alu instid0(VALU_DEP_2) | instskip(SKIP_1) | instid1(VALU_DEP_3)
	v_mul_hi_u32 v25, s0, v21
	v_mul_lo_u32 v27, s5, v21
	v_mul_lo_u32 v26, s0, v22
	s_delay_alu instid0(VALU_DEP_1) | instskip(SKIP_1) | instid1(VALU_DEP_2)
	v_add_nc_u32_e32 v25, v25, v26
	v_mul_lo_u32 v26, s0, v21
	v_add_nc_u32_e32 v25, v25, v27
	s_delay_alu instid0(VALU_DEP_2) | instskip(NEXT) | instid1(VALU_DEP_2)
	v_mul_hi_u32 v27, v21, v26
	v_mul_lo_u32 v28, v21, v25
	v_mul_hi_u32 v29, v21, v25
	v_mul_hi_u32 v31, v22, v26
	v_mul_lo_u32 v26, v22, v26
	v_mul_hi_u32 v32, v22, v25
	v_mul_lo_u32 v25, v22, v25
	v_add_co_u32 v27, vcc_lo, v27, v28
	v_add_co_ci_u32_e32 v28, vcc_lo, 0, v29, vcc_lo
	s_delay_alu instid0(VALU_DEP_2) | instskip(NEXT) | instid1(VALU_DEP_2)
	v_add_co_u32 v26, vcc_lo, v27, v26
	v_add_co_ci_u32_e32 v26, vcc_lo, v28, v31, vcc_lo
	v_add_co_ci_u32_e32 v27, vcc_lo, 0, v32, vcc_lo
	v_add_co_u32 v23, vcc_lo, v23, v30
	v_add_co_ci_u32_e32 v24, vcc_lo, v24, v30, vcc_lo
	s_delay_alu instid0(VALU_DEP_4) | instskip(NEXT) | instid1(VALU_DEP_4)
	v_add_co_u32 v25, vcc_lo, v26, v25
	v_add_co_ci_u32_e32 v26, vcc_lo, 0, v27, vcc_lo
	s_delay_alu instid0(VALU_DEP_4) | instskip(NEXT) | instid1(VALU_DEP_3)
	v_xor_b32_e32 v27, v23, v30
	v_add_co_u32 v25, vcc_lo, v21, v25
	s_delay_alu instid0(VALU_DEP_3) | instskip(SKIP_1) | instid1(VALU_DEP_3)
	v_add_co_ci_u32_e32 v28, vcc_lo, v22, v26, vcc_lo
	v_xor_b32_e32 v29, v24, v30
	v_mul_hi_u32 v31, v27, v25
	s_delay_alu instid0(VALU_DEP_3) | instskip(NEXT) | instid1(VALU_DEP_3)
	v_mad_u64_u32 v[21:22], null, v27, v28, 0
	v_mad_u64_u32 v[23:24], null, v29, v25, 0
	v_mad_u64_u32 v[25:26], null, v29, v28, 0
	s_delay_alu instid0(VALU_DEP_3) | instskip(NEXT) | instid1(VALU_DEP_4)
	v_add_co_u32 v21, vcc_lo, v31, v21
	v_add_co_ci_u32_e32 v22, vcc_lo, 0, v22, vcc_lo
	s_delay_alu instid0(VALU_DEP_2) | instskip(NEXT) | instid1(VALU_DEP_2)
	v_add_co_u32 v21, vcc_lo, v21, v23
	v_add_co_ci_u32_e32 v21, vcc_lo, v22, v24, vcc_lo
	v_add_co_ci_u32_e32 v22, vcc_lo, 0, v26, vcc_lo
	s_delay_alu instid0(VALU_DEP_2) | instskip(NEXT) | instid1(VALU_DEP_2)
	v_add_co_u32 v23, vcc_lo, v21, v25
	v_add_co_ci_u32_e32 v24, vcc_lo, 0, v22, vcc_lo
	s_delay_alu instid0(VALU_DEP_2) | instskip(SKIP_1) | instid1(VALU_DEP_3)
	v_mul_lo_u32 v25, s21, v23
	v_mad_u64_u32 v[21:22], null, s20, v23, 0
	v_mul_lo_u32 v26, s20, v24
	s_delay_alu instid0(VALU_DEP_2) | instskip(NEXT) | instid1(VALU_DEP_2)
	v_sub_co_u32 v21, vcc_lo, v27, v21
	v_add3_u32 v22, v22, v26, v25
	s_delay_alu instid0(VALU_DEP_1) | instskip(NEXT) | instid1(VALU_DEP_1)
	v_sub_nc_u32_e32 v25, v29, v22
	v_subrev_co_ci_u32_e64 v25, s0, s21, v25, vcc_lo
	v_add_co_u32 v26, s0, v23, 2
	s_delay_alu instid0(VALU_DEP_1) | instskip(SKIP_3) | instid1(VALU_DEP_3)
	v_add_co_ci_u32_e64 v27, s0, 0, v24, s0
	v_sub_co_u32 v28, s0, v21, s20
	v_sub_co_ci_u32_e32 v22, vcc_lo, v29, v22, vcc_lo
	v_subrev_co_ci_u32_e64 v25, s0, 0, v25, s0
	v_cmp_le_u32_e32 vcc_lo, s20, v28
	s_delay_alu instid0(VALU_DEP_3) | instskip(SKIP_1) | instid1(VALU_DEP_4)
	v_cmp_eq_u32_e64 s0, s21, v22
	v_cndmask_b32_e64 v28, 0, -1, vcc_lo
	v_cmp_le_u32_e32 vcc_lo, s21, v25
	v_cndmask_b32_e64 v29, 0, -1, vcc_lo
	v_cmp_le_u32_e32 vcc_lo, s20, v21
	;; [unrolled: 2-line block ×3, first 2 shown]
	v_cndmask_b32_e64 v31, 0, -1, vcc_lo
	v_cmp_eq_u32_e32 vcc_lo, s21, v25
	s_delay_alu instid0(VALU_DEP_2) | instskip(SKIP_3) | instid1(VALU_DEP_3)
	v_cndmask_b32_e64 v21, v31, v21, s0
	v_cndmask_b32_e32 v25, v29, v28, vcc_lo
	v_add_co_u32 v28, vcc_lo, v23, 1
	v_add_co_ci_u32_e32 v29, vcc_lo, 0, v24, vcc_lo
	v_cmp_ne_u32_e32 vcc_lo, 0, v25
	s_delay_alu instid0(VALU_DEP_2) | instskip(SKIP_2) | instid1(VALU_DEP_3)
	v_dual_cndmask_b32 v22, v29, v27 :: v_dual_cndmask_b32 v25, v28, v26
	v_cmp_ne_u32_e32 vcc_lo, 0, v21
	v_xor_b32_e32 v26, s4, v30
	v_dual_cndmask_b32 v21, v24, v22 :: v_dual_cndmask_b32 v22, v23, v25
	s_delay_alu instid0(VALU_DEP_1) | instskip(NEXT) | instid1(VALU_DEP_2)
	v_xor_b32_e32 v23, v21, v26
	v_xor_b32_e32 v22, v22, v26
	s_delay_alu instid0(VALU_DEP_1) | instskip(NEXT) | instid1(VALU_DEP_3)
	v_sub_co_u32 v21, vcc_lo, v22, v26
	v_sub_co_ci_u32_e32 v22, vcc_lo, v23, v26, vcc_lo
                                        ; implicit-def: $vgpr23
.LBB1149_190:
	s_and_not1_saveexec_b32 s0, s17
	s_cbranch_execz .LBB1149_192
; %bb.191:
	v_cvt_f32_u32_e32 v21, s38
	s_sub_i32 s4, 0, s38
	s_delay_alu instid0(VALU_DEP_1) | instskip(SKIP_2) | instid1(VALU_DEP_1)
	v_rcp_iflag_f32_e32 v21, v21
	s_waitcnt_depctr 0xfff
	v_mul_f32_e32 v21, 0x4f7ffffe, v21
	v_cvt_u32_f32_e32 v21, v21
	s_delay_alu instid0(VALU_DEP_1) | instskip(NEXT) | instid1(VALU_DEP_1)
	v_mul_lo_u32 v22, s4, v21
	v_mul_hi_u32 v22, v21, v22
	s_delay_alu instid0(VALU_DEP_1) | instskip(NEXT) | instid1(VALU_DEP_1)
	v_add_nc_u32_e32 v21, v21, v22
	v_mul_hi_u32 v21, v23, v21
	s_delay_alu instid0(VALU_DEP_1) | instskip(NEXT) | instid1(VALU_DEP_1)
	v_mul_lo_u32 v22, v21, s38
	v_sub_nc_u32_e32 v22, v23, v22
	v_add_nc_u32_e32 v23, 1, v21
	s_delay_alu instid0(VALU_DEP_2) | instskip(SKIP_1) | instid1(VALU_DEP_2)
	v_subrev_nc_u32_e32 v24, s38, v22
	v_cmp_le_u32_e32 vcc_lo, s38, v22
	v_dual_cndmask_b32 v22, v22, v24 :: v_dual_cndmask_b32 v21, v21, v23
	s_delay_alu instid0(VALU_DEP_1) | instskip(NEXT) | instid1(VALU_DEP_2)
	v_cmp_le_u32_e32 vcc_lo, s38, v22
	v_dual_mov_b32 v22, 0 :: v_dual_add_nc_u32 v23, 1, v21
	s_delay_alu instid0(VALU_DEP_1)
	v_cndmask_b32_e32 v21, v21, v23, vcc_lo
.LBB1149_192:
	s_or_b32 exec_lo, exec_lo, s0
.LBB1149_193:
	s_delay_alu instid0(SALU_CYCLE_1) | instskip(SKIP_1) | instid1(VALU_DEP_1)
	s_or_b32 exec_lo, exec_lo, s1
	v_or_b32_e32 v53, 0xb00, v0
                                        ; implicit-def: $vgpr23_vgpr24
	v_cmp_gt_u32_e64 s5, s34, v53
	s_delay_alu instid0(VALU_DEP_1)
	s_and_saveexec_b32 s1, s5
	s_cbranch_execz .LBB1149_199
; %bb.194:
	v_add_co_u32 v25, s0, s24, v53
	s_delay_alu instid0(VALU_DEP_1) | instskip(SKIP_1) | instid1(VALU_DEP_2)
	v_add_co_ci_u32_e64 v26, null, s25, 0, s0
	v_mov_b32_e32 v23, 0
	v_or_b32_e32 v24, s39, v26
	s_delay_alu instid0(VALU_DEP_1) | instskip(SKIP_1) | instid1(SALU_CYCLE_1)
	v_cmp_ne_u64_e32 vcc_lo, 0, v[23:24]
                                        ; implicit-def: $vgpr23_vgpr24
	s_and_saveexec_b32 s0, vcc_lo
	s_xor_b32 s4, exec_lo, s0
	s_cbranch_execz .LBB1149_196
; %bb.195:
	s_ashr_i32 s20, s39, 31
	s_delay_alu instid0(SALU_CYCLE_1) | instskip(SKIP_2) | instid1(SALU_CYCLE_1)
	s_add_u32 s22, s38, s20
	s_mov_b32 s21, s20
	s_addc_u32 s23, s39, s20
	s_xor_b64 s[22:23], s[22:23], s[20:21]
	s_delay_alu instid0(SALU_CYCLE_1) | instskip(SKIP_3) | instid1(VALU_DEP_1)
	v_cvt_f32_u32_e32 v23, s22
	v_cvt_f32_u32_e32 v24, s23
	s_sub_u32 s0, 0, s22
	s_subb_u32 s17, 0, s23
	v_fmamk_f32 v23, v24, 0x4f800000, v23
	s_delay_alu instid0(VALU_DEP_1) | instskip(SKIP_2) | instid1(VALU_DEP_1)
	v_rcp_f32_e32 v23, v23
	s_waitcnt_depctr 0xfff
	v_mul_f32_e32 v23, 0x5f7ffffc, v23
	v_mul_f32_e32 v24, 0x2f800000, v23
	s_delay_alu instid0(VALU_DEP_1) | instskip(NEXT) | instid1(VALU_DEP_1)
	v_trunc_f32_e32 v24, v24
	v_fmamk_f32 v23, v24, 0xcf800000, v23
	v_cvt_u32_f32_e32 v24, v24
	s_delay_alu instid0(VALU_DEP_2) | instskip(NEXT) | instid1(VALU_DEP_2)
	v_cvt_u32_f32_e32 v23, v23
	v_mul_lo_u32 v27, s0, v24
	s_delay_alu instid0(VALU_DEP_2) | instskip(SKIP_1) | instid1(VALU_DEP_2)
	v_mul_hi_u32 v28, s0, v23
	v_mul_lo_u32 v29, s17, v23
	v_add_nc_u32_e32 v27, v28, v27
	v_mul_lo_u32 v28, s0, v23
	s_delay_alu instid0(VALU_DEP_2) | instskip(NEXT) | instid1(VALU_DEP_2)
	v_add_nc_u32_e32 v27, v27, v29
	v_mul_hi_u32 v29, v23, v28
	s_delay_alu instid0(VALU_DEP_2)
	v_mul_lo_u32 v30, v23, v27
	v_mul_hi_u32 v31, v23, v27
	v_mul_hi_u32 v32, v24, v28
	v_mul_lo_u32 v28, v24, v28
	v_mul_hi_u32 v34, v24, v27
	v_mul_lo_u32 v27, v24, v27
	v_add_co_u32 v29, vcc_lo, v29, v30
	v_add_co_ci_u32_e32 v30, vcc_lo, 0, v31, vcc_lo
	s_delay_alu instid0(VALU_DEP_2) | instskip(NEXT) | instid1(VALU_DEP_2)
	v_add_co_u32 v28, vcc_lo, v29, v28
	v_add_co_ci_u32_e32 v28, vcc_lo, v30, v32, vcc_lo
	v_add_co_ci_u32_e32 v29, vcc_lo, 0, v34, vcc_lo
	v_ashrrev_i32_e32 v32, 31, v26
	s_delay_alu instid0(VALU_DEP_3) | instskip(NEXT) | instid1(VALU_DEP_3)
	v_add_co_u32 v27, vcc_lo, v28, v27
	v_add_co_ci_u32_e32 v28, vcc_lo, 0, v29, vcc_lo
	s_delay_alu instid0(VALU_DEP_2) | instskip(NEXT) | instid1(VALU_DEP_2)
	v_add_co_u32 v23, vcc_lo, v23, v27
	v_add_co_ci_u32_e32 v24, vcc_lo, v24, v28, vcc_lo
	s_delay_alu instid0(VALU_DEP_2) | instskip(SKIP_1) | instid1(VALU_DEP_3)
	v_mul_hi_u32 v27, s0, v23
	v_mul_lo_u32 v29, s17, v23
	v_mul_lo_u32 v28, s0, v24
	s_delay_alu instid0(VALU_DEP_1) | instskip(SKIP_1) | instid1(VALU_DEP_2)
	v_add_nc_u32_e32 v27, v27, v28
	v_mul_lo_u32 v28, s0, v23
	v_add_nc_u32_e32 v27, v27, v29
	s_delay_alu instid0(VALU_DEP_2) | instskip(NEXT) | instid1(VALU_DEP_2)
	v_mul_hi_u32 v29, v23, v28
	v_mul_lo_u32 v30, v23, v27
	v_mul_hi_u32 v31, v23, v27
	v_mul_hi_u32 v34, v24, v28
	v_mul_lo_u32 v28, v24, v28
	v_mul_hi_u32 v36, v24, v27
	v_mul_lo_u32 v27, v24, v27
	v_add_co_u32 v29, vcc_lo, v29, v30
	v_add_co_ci_u32_e32 v30, vcc_lo, 0, v31, vcc_lo
	s_delay_alu instid0(VALU_DEP_2) | instskip(NEXT) | instid1(VALU_DEP_2)
	v_add_co_u32 v28, vcc_lo, v29, v28
	v_add_co_ci_u32_e32 v28, vcc_lo, v30, v34, vcc_lo
	v_add_co_ci_u32_e32 v29, vcc_lo, 0, v36, vcc_lo
	v_add_co_u32 v25, vcc_lo, v25, v32
	v_add_co_ci_u32_e32 v26, vcc_lo, v26, v32, vcc_lo
	s_delay_alu instid0(VALU_DEP_4) | instskip(NEXT) | instid1(VALU_DEP_4)
	v_add_co_u32 v27, vcc_lo, v28, v27
	v_add_co_ci_u32_e32 v28, vcc_lo, 0, v29, vcc_lo
	s_delay_alu instid0(VALU_DEP_4) | instskip(NEXT) | instid1(VALU_DEP_3)
	v_xor_b32_e32 v29, v25, v32
	v_add_co_u32 v27, vcc_lo, v23, v27
	s_delay_alu instid0(VALU_DEP_3) | instskip(SKIP_1) | instid1(VALU_DEP_3)
	v_add_co_ci_u32_e32 v30, vcc_lo, v24, v28, vcc_lo
	v_xor_b32_e32 v31, v26, v32
	v_mul_hi_u32 v34, v29, v27
	s_delay_alu instid0(VALU_DEP_3) | instskip(NEXT) | instid1(VALU_DEP_3)
	v_mad_u64_u32 v[23:24], null, v29, v30, 0
	v_mad_u64_u32 v[25:26], null, v31, v27, 0
	;; [unrolled: 1-line block ×3, first 2 shown]
	s_delay_alu instid0(VALU_DEP_3) | instskip(NEXT) | instid1(VALU_DEP_4)
	v_add_co_u32 v23, vcc_lo, v34, v23
	v_add_co_ci_u32_e32 v24, vcc_lo, 0, v24, vcc_lo
	s_delay_alu instid0(VALU_DEP_2) | instskip(NEXT) | instid1(VALU_DEP_2)
	v_add_co_u32 v23, vcc_lo, v23, v25
	v_add_co_ci_u32_e32 v23, vcc_lo, v24, v26, vcc_lo
	v_add_co_ci_u32_e32 v24, vcc_lo, 0, v28, vcc_lo
	s_delay_alu instid0(VALU_DEP_2) | instskip(NEXT) | instid1(VALU_DEP_2)
	v_add_co_u32 v25, vcc_lo, v23, v27
	v_add_co_ci_u32_e32 v26, vcc_lo, 0, v24, vcc_lo
	s_delay_alu instid0(VALU_DEP_2) | instskip(SKIP_1) | instid1(VALU_DEP_3)
	v_mul_lo_u32 v27, s23, v25
	v_mad_u64_u32 v[23:24], null, s22, v25, 0
	v_mul_lo_u32 v28, s22, v26
	s_delay_alu instid0(VALU_DEP_2) | instskip(NEXT) | instid1(VALU_DEP_2)
	v_sub_co_u32 v23, vcc_lo, v29, v23
	v_add3_u32 v24, v24, v28, v27
	s_delay_alu instid0(VALU_DEP_1) | instskip(NEXT) | instid1(VALU_DEP_1)
	v_sub_nc_u32_e32 v27, v31, v24
	v_subrev_co_ci_u32_e64 v27, s0, s23, v27, vcc_lo
	v_add_co_u32 v28, s0, v25, 2
	s_delay_alu instid0(VALU_DEP_1) | instskip(SKIP_3) | instid1(VALU_DEP_3)
	v_add_co_ci_u32_e64 v29, s0, 0, v26, s0
	v_sub_co_u32 v30, s0, v23, s22
	v_sub_co_ci_u32_e32 v24, vcc_lo, v31, v24, vcc_lo
	v_subrev_co_ci_u32_e64 v27, s0, 0, v27, s0
	v_cmp_le_u32_e32 vcc_lo, s22, v30
	s_delay_alu instid0(VALU_DEP_3) | instskip(SKIP_1) | instid1(VALU_DEP_4)
	v_cmp_eq_u32_e64 s0, s23, v24
	v_cndmask_b32_e64 v30, 0, -1, vcc_lo
	v_cmp_le_u32_e32 vcc_lo, s23, v27
	v_cndmask_b32_e64 v31, 0, -1, vcc_lo
	v_cmp_le_u32_e32 vcc_lo, s22, v23
	;; [unrolled: 2-line block ×3, first 2 shown]
	v_cndmask_b32_e64 v34, 0, -1, vcc_lo
	v_cmp_eq_u32_e32 vcc_lo, s23, v27
	s_delay_alu instid0(VALU_DEP_2) | instskip(SKIP_3) | instid1(VALU_DEP_3)
	v_cndmask_b32_e64 v23, v34, v23, s0
	v_cndmask_b32_e32 v27, v31, v30, vcc_lo
	v_add_co_u32 v30, vcc_lo, v25, 1
	v_add_co_ci_u32_e32 v31, vcc_lo, 0, v26, vcc_lo
	v_cmp_ne_u32_e32 vcc_lo, 0, v27
	s_delay_alu instid0(VALU_DEP_2) | instskip(SKIP_2) | instid1(VALU_DEP_3)
	v_dual_cndmask_b32 v24, v31, v29 :: v_dual_cndmask_b32 v27, v30, v28
	v_cmp_ne_u32_e32 vcc_lo, 0, v23
	v_xor_b32_e32 v28, s20, v32
	v_dual_cndmask_b32 v23, v26, v24 :: v_dual_cndmask_b32 v24, v25, v27
	s_delay_alu instid0(VALU_DEP_1) | instskip(NEXT) | instid1(VALU_DEP_2)
	v_xor_b32_e32 v25, v23, v28
	v_xor_b32_e32 v24, v24, v28
	s_delay_alu instid0(VALU_DEP_1) | instskip(NEXT) | instid1(VALU_DEP_3)
	v_sub_co_u32 v23, vcc_lo, v24, v28
	v_sub_co_ci_u32_e32 v24, vcc_lo, v25, v28, vcc_lo
                                        ; implicit-def: $vgpr25
.LBB1149_196:
	s_and_not1_saveexec_b32 s0, s4
	s_cbranch_execz .LBB1149_198
; %bb.197:
	v_cvt_f32_u32_e32 v23, s38
	s_sub_i32 s4, 0, s38
	s_delay_alu instid0(VALU_DEP_1) | instskip(SKIP_2) | instid1(VALU_DEP_1)
	v_rcp_iflag_f32_e32 v23, v23
	s_waitcnt_depctr 0xfff
	v_mul_f32_e32 v23, 0x4f7ffffe, v23
	v_cvt_u32_f32_e32 v23, v23
	s_delay_alu instid0(VALU_DEP_1) | instskip(NEXT) | instid1(VALU_DEP_1)
	v_mul_lo_u32 v24, s4, v23
	v_mul_hi_u32 v24, v23, v24
	s_delay_alu instid0(VALU_DEP_1) | instskip(NEXT) | instid1(VALU_DEP_1)
	v_add_nc_u32_e32 v23, v23, v24
	v_mul_hi_u32 v23, v25, v23
	s_delay_alu instid0(VALU_DEP_1) | instskip(NEXT) | instid1(VALU_DEP_1)
	v_mul_lo_u32 v24, v23, s38
	v_sub_nc_u32_e32 v24, v25, v24
	v_add_nc_u32_e32 v25, 1, v23
	s_delay_alu instid0(VALU_DEP_2) | instskip(SKIP_1) | instid1(VALU_DEP_2)
	v_subrev_nc_u32_e32 v26, s38, v24
	v_cmp_le_u32_e32 vcc_lo, s38, v24
	v_dual_cndmask_b32 v24, v24, v26 :: v_dual_cndmask_b32 v23, v23, v25
	s_delay_alu instid0(VALU_DEP_1) | instskip(NEXT) | instid1(VALU_DEP_2)
	v_cmp_le_u32_e32 vcc_lo, s38, v24
	v_dual_mov_b32 v24, 0 :: v_dual_add_nc_u32 v25, 1, v23
	s_delay_alu instid0(VALU_DEP_1)
	v_cndmask_b32_e32 v23, v23, v25, vcc_lo
.LBB1149_198:
	s_or_b32 exec_lo, exec_lo, s0
.LBB1149_199:
	s_delay_alu instid0(SALU_CYCLE_1) | instskip(SKIP_1) | instid1(VALU_DEP_1)
	s_or_b32 exec_lo, exec_lo, s1
	v_or_b32_e32 v55, 0xc00, v0
                                        ; implicit-def: $vgpr25_vgpr26
	v_cmp_gt_u32_e64 s4, s34, v55
	s_delay_alu instid0(VALU_DEP_1)
	s_and_saveexec_b32 s1, s4
	s_cbranch_execz .LBB1149_205
; %bb.200:
	v_add_co_u32 v27, s0, s24, v55
	s_delay_alu instid0(VALU_DEP_1) | instskip(SKIP_1) | instid1(VALU_DEP_2)
	v_add_co_ci_u32_e64 v28, null, s25, 0, s0
	v_mov_b32_e32 v25, 0
	v_or_b32_e32 v26, s39, v28
	s_delay_alu instid0(VALU_DEP_1) | instskip(SKIP_1) | instid1(SALU_CYCLE_1)
	v_cmp_ne_u64_e32 vcc_lo, 0, v[25:26]
                                        ; implicit-def: $vgpr25_vgpr26
	s_and_saveexec_b32 s0, vcc_lo
	s_xor_b32 s17, exec_lo, s0
	s_cbranch_execz .LBB1149_202
; %bb.201:
	s_ashr_i32 s20, s39, 31
	s_delay_alu instid0(SALU_CYCLE_1) | instskip(SKIP_2) | instid1(SALU_CYCLE_1)
	s_add_u32 s22, s38, s20
	s_mov_b32 s21, s20
	s_addc_u32 s23, s39, s20
	s_xor_b64 s[22:23], s[22:23], s[20:21]
	s_delay_alu instid0(SALU_CYCLE_1) | instskip(SKIP_3) | instid1(VALU_DEP_1)
	v_cvt_f32_u32_e32 v25, s22
	v_cvt_f32_u32_e32 v26, s23
	s_sub_u32 s0, 0, s22
	s_subb_u32 s21, 0, s23
	v_fmamk_f32 v25, v26, 0x4f800000, v25
	s_delay_alu instid0(VALU_DEP_1) | instskip(SKIP_2) | instid1(VALU_DEP_1)
	v_rcp_f32_e32 v25, v25
	s_waitcnt_depctr 0xfff
	v_mul_f32_e32 v25, 0x5f7ffffc, v25
	v_mul_f32_e32 v26, 0x2f800000, v25
	s_delay_alu instid0(VALU_DEP_1) | instskip(NEXT) | instid1(VALU_DEP_1)
	v_trunc_f32_e32 v26, v26
	v_fmamk_f32 v25, v26, 0xcf800000, v25
	v_cvt_u32_f32_e32 v26, v26
	s_delay_alu instid0(VALU_DEP_2) | instskip(NEXT) | instid1(VALU_DEP_2)
	v_cvt_u32_f32_e32 v25, v25
	v_mul_lo_u32 v29, s0, v26
	s_delay_alu instid0(VALU_DEP_2) | instskip(SKIP_1) | instid1(VALU_DEP_2)
	v_mul_hi_u32 v30, s0, v25
	v_mul_lo_u32 v31, s21, v25
	v_add_nc_u32_e32 v29, v30, v29
	v_mul_lo_u32 v30, s0, v25
	s_delay_alu instid0(VALU_DEP_2) | instskip(NEXT) | instid1(VALU_DEP_2)
	v_add_nc_u32_e32 v29, v29, v31
	v_mul_hi_u32 v31, v25, v30
	s_delay_alu instid0(VALU_DEP_2)
	v_mul_lo_u32 v32, v25, v29
	v_mul_hi_u32 v34, v25, v29
	v_mul_hi_u32 v36, v26, v30
	v_mul_lo_u32 v30, v26, v30
	v_mul_hi_u32 v38, v26, v29
	v_mul_lo_u32 v29, v26, v29
	v_add_co_u32 v31, vcc_lo, v31, v32
	v_add_co_ci_u32_e32 v32, vcc_lo, 0, v34, vcc_lo
	s_delay_alu instid0(VALU_DEP_2) | instskip(NEXT) | instid1(VALU_DEP_2)
	v_add_co_u32 v30, vcc_lo, v31, v30
	v_add_co_ci_u32_e32 v30, vcc_lo, v32, v36, vcc_lo
	v_add_co_ci_u32_e32 v31, vcc_lo, 0, v38, vcc_lo
	v_ashrrev_i32_e32 v36, 31, v28
	s_delay_alu instid0(VALU_DEP_3) | instskip(NEXT) | instid1(VALU_DEP_3)
	v_add_co_u32 v29, vcc_lo, v30, v29
	v_add_co_ci_u32_e32 v30, vcc_lo, 0, v31, vcc_lo
	s_delay_alu instid0(VALU_DEP_2) | instskip(NEXT) | instid1(VALU_DEP_2)
	v_add_co_u32 v25, vcc_lo, v25, v29
	v_add_co_ci_u32_e32 v26, vcc_lo, v26, v30, vcc_lo
	s_delay_alu instid0(VALU_DEP_2) | instskip(SKIP_1) | instid1(VALU_DEP_3)
	v_mul_hi_u32 v29, s0, v25
	v_mul_lo_u32 v31, s21, v25
	v_mul_lo_u32 v30, s0, v26
	s_delay_alu instid0(VALU_DEP_1) | instskip(SKIP_1) | instid1(VALU_DEP_2)
	v_add_nc_u32_e32 v29, v29, v30
	v_mul_lo_u32 v30, s0, v25
	v_add_nc_u32_e32 v29, v29, v31
	s_delay_alu instid0(VALU_DEP_2) | instskip(NEXT) | instid1(VALU_DEP_2)
	v_mul_hi_u32 v31, v25, v30
	v_mul_lo_u32 v32, v25, v29
	v_mul_hi_u32 v34, v25, v29
	v_mul_hi_u32 v38, v26, v30
	v_mul_lo_u32 v30, v26, v30
	v_mul_hi_u32 v40, v26, v29
	v_mul_lo_u32 v29, v26, v29
	v_add_co_u32 v31, vcc_lo, v31, v32
	v_add_co_ci_u32_e32 v32, vcc_lo, 0, v34, vcc_lo
	s_delay_alu instid0(VALU_DEP_2) | instskip(NEXT) | instid1(VALU_DEP_2)
	v_add_co_u32 v30, vcc_lo, v31, v30
	v_add_co_ci_u32_e32 v30, vcc_lo, v32, v38, vcc_lo
	v_add_co_ci_u32_e32 v31, vcc_lo, 0, v40, vcc_lo
	v_add_co_u32 v27, vcc_lo, v27, v36
	v_add_co_ci_u32_e32 v28, vcc_lo, v28, v36, vcc_lo
	s_delay_alu instid0(VALU_DEP_4) | instskip(NEXT) | instid1(VALU_DEP_4)
	v_add_co_u32 v29, vcc_lo, v30, v29
	v_add_co_ci_u32_e32 v30, vcc_lo, 0, v31, vcc_lo
	s_delay_alu instid0(VALU_DEP_4) | instskip(NEXT) | instid1(VALU_DEP_3)
	v_xor_b32_e32 v31, v27, v36
	v_add_co_u32 v29, vcc_lo, v25, v29
	s_delay_alu instid0(VALU_DEP_3) | instskip(SKIP_1) | instid1(VALU_DEP_3)
	v_add_co_ci_u32_e32 v32, vcc_lo, v26, v30, vcc_lo
	v_xor_b32_e32 v34, v28, v36
	v_mul_hi_u32 v38, v31, v29
	s_delay_alu instid0(VALU_DEP_3) | instskip(NEXT) | instid1(VALU_DEP_3)
	v_mad_u64_u32 v[25:26], null, v31, v32, 0
	v_mad_u64_u32 v[27:28], null, v34, v29, 0
	;; [unrolled: 1-line block ×3, first 2 shown]
	s_delay_alu instid0(VALU_DEP_3) | instskip(NEXT) | instid1(VALU_DEP_4)
	v_add_co_u32 v25, vcc_lo, v38, v25
	v_add_co_ci_u32_e32 v26, vcc_lo, 0, v26, vcc_lo
	s_delay_alu instid0(VALU_DEP_2) | instskip(NEXT) | instid1(VALU_DEP_2)
	v_add_co_u32 v25, vcc_lo, v25, v27
	v_add_co_ci_u32_e32 v25, vcc_lo, v26, v28, vcc_lo
	v_add_co_ci_u32_e32 v26, vcc_lo, 0, v30, vcc_lo
	s_delay_alu instid0(VALU_DEP_2) | instskip(NEXT) | instid1(VALU_DEP_2)
	v_add_co_u32 v27, vcc_lo, v25, v29
	v_add_co_ci_u32_e32 v28, vcc_lo, 0, v26, vcc_lo
	s_delay_alu instid0(VALU_DEP_2) | instskip(SKIP_1) | instid1(VALU_DEP_3)
	v_mul_lo_u32 v29, s23, v27
	v_mad_u64_u32 v[25:26], null, s22, v27, 0
	v_mul_lo_u32 v30, s22, v28
	s_delay_alu instid0(VALU_DEP_2) | instskip(NEXT) | instid1(VALU_DEP_2)
	v_sub_co_u32 v25, vcc_lo, v31, v25
	v_add3_u32 v26, v26, v30, v29
	s_delay_alu instid0(VALU_DEP_1) | instskip(NEXT) | instid1(VALU_DEP_1)
	v_sub_nc_u32_e32 v29, v34, v26
	v_subrev_co_ci_u32_e64 v29, s0, s23, v29, vcc_lo
	v_add_co_u32 v30, s0, v27, 2
	s_delay_alu instid0(VALU_DEP_1) | instskip(SKIP_3) | instid1(VALU_DEP_3)
	v_add_co_ci_u32_e64 v31, s0, 0, v28, s0
	v_sub_co_u32 v32, s0, v25, s22
	v_sub_co_ci_u32_e32 v26, vcc_lo, v34, v26, vcc_lo
	v_subrev_co_ci_u32_e64 v29, s0, 0, v29, s0
	v_cmp_le_u32_e32 vcc_lo, s22, v32
	s_delay_alu instid0(VALU_DEP_3) | instskip(SKIP_1) | instid1(VALU_DEP_4)
	v_cmp_eq_u32_e64 s0, s23, v26
	v_cndmask_b32_e64 v32, 0, -1, vcc_lo
	v_cmp_le_u32_e32 vcc_lo, s23, v29
	v_cndmask_b32_e64 v34, 0, -1, vcc_lo
	v_cmp_le_u32_e32 vcc_lo, s22, v25
	;; [unrolled: 2-line block ×3, first 2 shown]
	v_cndmask_b32_e64 v38, 0, -1, vcc_lo
	v_cmp_eq_u32_e32 vcc_lo, s23, v29
	s_delay_alu instid0(VALU_DEP_2) | instskip(SKIP_3) | instid1(VALU_DEP_3)
	v_cndmask_b32_e64 v25, v38, v25, s0
	v_cndmask_b32_e32 v29, v34, v32, vcc_lo
	v_add_co_u32 v32, vcc_lo, v27, 1
	v_add_co_ci_u32_e32 v34, vcc_lo, 0, v28, vcc_lo
	v_cmp_ne_u32_e32 vcc_lo, 0, v29
	s_delay_alu instid0(VALU_DEP_2) | instskip(SKIP_2) | instid1(VALU_DEP_3)
	v_dual_cndmask_b32 v26, v34, v31 :: v_dual_cndmask_b32 v29, v32, v30
	v_cmp_ne_u32_e32 vcc_lo, 0, v25
	v_xor_b32_e32 v30, s20, v36
	v_dual_cndmask_b32 v25, v28, v26 :: v_dual_cndmask_b32 v26, v27, v29
	s_delay_alu instid0(VALU_DEP_1) | instskip(NEXT) | instid1(VALU_DEP_2)
	v_xor_b32_e32 v27, v25, v30
	v_xor_b32_e32 v26, v26, v30
	s_delay_alu instid0(VALU_DEP_1) | instskip(NEXT) | instid1(VALU_DEP_3)
	v_sub_co_u32 v25, vcc_lo, v26, v30
	v_sub_co_ci_u32_e32 v26, vcc_lo, v27, v30, vcc_lo
                                        ; implicit-def: $vgpr27
.LBB1149_202:
	s_and_not1_saveexec_b32 s0, s17
	s_cbranch_execz .LBB1149_204
; %bb.203:
	v_cvt_f32_u32_e32 v25, s38
	s_sub_i32 s17, 0, s38
	s_delay_alu instid0(VALU_DEP_1) | instskip(SKIP_2) | instid1(VALU_DEP_1)
	v_rcp_iflag_f32_e32 v25, v25
	s_waitcnt_depctr 0xfff
	v_mul_f32_e32 v25, 0x4f7ffffe, v25
	v_cvt_u32_f32_e32 v25, v25
	s_delay_alu instid0(VALU_DEP_1) | instskip(NEXT) | instid1(VALU_DEP_1)
	v_mul_lo_u32 v26, s17, v25
	v_mul_hi_u32 v26, v25, v26
	s_delay_alu instid0(VALU_DEP_1) | instskip(NEXT) | instid1(VALU_DEP_1)
	v_add_nc_u32_e32 v25, v25, v26
	v_mul_hi_u32 v25, v27, v25
	s_delay_alu instid0(VALU_DEP_1) | instskip(NEXT) | instid1(VALU_DEP_1)
	v_mul_lo_u32 v26, v25, s38
	v_sub_nc_u32_e32 v26, v27, v26
	v_add_nc_u32_e32 v27, 1, v25
	s_delay_alu instid0(VALU_DEP_2) | instskip(SKIP_1) | instid1(VALU_DEP_2)
	v_subrev_nc_u32_e32 v28, s38, v26
	v_cmp_le_u32_e32 vcc_lo, s38, v26
	v_dual_cndmask_b32 v26, v26, v28 :: v_dual_cndmask_b32 v25, v25, v27
	s_delay_alu instid0(VALU_DEP_1) | instskip(NEXT) | instid1(VALU_DEP_2)
	v_cmp_le_u32_e32 vcc_lo, s38, v26
	v_dual_mov_b32 v26, 0 :: v_dual_add_nc_u32 v27, 1, v25
	s_delay_alu instid0(VALU_DEP_1)
	v_cndmask_b32_e32 v25, v25, v27, vcc_lo
.LBB1149_204:
	s_or_b32 exec_lo, exec_lo, s0
.LBB1149_205:
	s_delay_alu instid0(SALU_CYCLE_1) | instskip(SKIP_1) | instid1(VALU_DEP_1)
	s_or_b32 exec_lo, exec_lo, s1
	v_or_b32_e32 v59, 0xd00, v0
                                        ; implicit-def: $vgpr27_vgpr28
	v_cmp_gt_u32_e64 s1, s34, v59
	s_delay_alu instid0(VALU_DEP_1)
	s_and_saveexec_b32 s17, s1
	s_cbranch_execz .LBB1149_211
; %bb.206:
	v_add_co_u32 v29, s0, s24, v59
	s_delay_alu instid0(VALU_DEP_1) | instskip(SKIP_1) | instid1(VALU_DEP_2)
	v_add_co_ci_u32_e64 v30, null, s25, 0, s0
	v_mov_b32_e32 v27, 0
	v_or_b32_e32 v28, s39, v30
	s_delay_alu instid0(VALU_DEP_1) | instskip(SKIP_1) | instid1(SALU_CYCLE_1)
	v_cmp_ne_u64_e32 vcc_lo, 0, v[27:28]
                                        ; implicit-def: $vgpr27_vgpr28
	s_and_saveexec_b32 s0, vcc_lo
	s_xor_b32 s35, exec_lo, s0
	s_cbranch_execz .LBB1149_208
; %bb.207:
	s_ashr_i32 s20, s39, 31
	s_delay_alu instid0(SALU_CYCLE_1) | instskip(SKIP_2) | instid1(SALU_CYCLE_1)
	s_add_u32 s22, s38, s20
	s_mov_b32 s21, s20
	s_addc_u32 s23, s39, s20
	s_xor_b64 s[22:23], s[22:23], s[20:21]
	s_delay_alu instid0(SALU_CYCLE_1) | instskip(SKIP_3) | instid1(VALU_DEP_1)
	v_cvt_f32_u32_e32 v27, s22
	v_cvt_f32_u32_e32 v28, s23
	s_sub_u32 s0, 0, s22
	s_subb_u32 s21, 0, s23
	v_fmamk_f32 v27, v28, 0x4f800000, v27
	s_delay_alu instid0(VALU_DEP_1) | instskip(SKIP_2) | instid1(VALU_DEP_1)
	v_rcp_f32_e32 v27, v27
	s_waitcnt_depctr 0xfff
	v_mul_f32_e32 v27, 0x5f7ffffc, v27
	v_mul_f32_e32 v28, 0x2f800000, v27
	s_delay_alu instid0(VALU_DEP_1) | instskip(NEXT) | instid1(VALU_DEP_1)
	v_trunc_f32_e32 v28, v28
	v_fmamk_f32 v27, v28, 0xcf800000, v27
	v_cvt_u32_f32_e32 v28, v28
	s_delay_alu instid0(VALU_DEP_2) | instskip(NEXT) | instid1(VALU_DEP_2)
	v_cvt_u32_f32_e32 v27, v27
	v_mul_lo_u32 v31, s0, v28
	s_delay_alu instid0(VALU_DEP_2) | instskip(SKIP_1) | instid1(VALU_DEP_2)
	v_mul_hi_u32 v32, s0, v27
	v_mul_lo_u32 v34, s21, v27
	v_add_nc_u32_e32 v31, v32, v31
	v_mul_lo_u32 v32, s0, v27
	s_delay_alu instid0(VALU_DEP_2) | instskip(NEXT) | instid1(VALU_DEP_2)
	v_add_nc_u32_e32 v31, v31, v34
	v_mul_hi_u32 v34, v27, v32
	s_delay_alu instid0(VALU_DEP_2)
	v_mul_lo_u32 v36, v27, v31
	v_mul_hi_u32 v38, v27, v31
	v_mul_hi_u32 v40, v28, v32
	v_mul_lo_u32 v32, v28, v32
	v_mul_hi_u32 v42, v28, v31
	v_mul_lo_u32 v31, v28, v31
	v_add_co_u32 v34, vcc_lo, v34, v36
	v_add_co_ci_u32_e32 v36, vcc_lo, 0, v38, vcc_lo
	s_delay_alu instid0(VALU_DEP_2) | instskip(NEXT) | instid1(VALU_DEP_2)
	v_add_co_u32 v32, vcc_lo, v34, v32
	v_add_co_ci_u32_e32 v32, vcc_lo, v36, v40, vcc_lo
	v_add_co_ci_u32_e32 v34, vcc_lo, 0, v42, vcc_lo
	v_ashrrev_i32_e32 v40, 31, v30
	s_delay_alu instid0(VALU_DEP_3) | instskip(NEXT) | instid1(VALU_DEP_3)
	v_add_co_u32 v31, vcc_lo, v32, v31
	v_add_co_ci_u32_e32 v32, vcc_lo, 0, v34, vcc_lo
	s_delay_alu instid0(VALU_DEP_2) | instskip(NEXT) | instid1(VALU_DEP_2)
	v_add_co_u32 v27, vcc_lo, v27, v31
	v_add_co_ci_u32_e32 v28, vcc_lo, v28, v32, vcc_lo
	s_delay_alu instid0(VALU_DEP_2) | instskip(SKIP_1) | instid1(VALU_DEP_3)
	v_mul_hi_u32 v31, s0, v27
	v_mul_lo_u32 v34, s21, v27
	v_mul_lo_u32 v32, s0, v28
	s_delay_alu instid0(VALU_DEP_1) | instskip(SKIP_1) | instid1(VALU_DEP_2)
	v_add_nc_u32_e32 v31, v31, v32
	v_mul_lo_u32 v32, s0, v27
	v_add_nc_u32_e32 v31, v31, v34
	s_delay_alu instid0(VALU_DEP_2) | instskip(NEXT) | instid1(VALU_DEP_2)
	v_mul_hi_u32 v34, v27, v32
	v_mul_lo_u32 v36, v27, v31
	v_mul_hi_u32 v38, v27, v31
	v_mul_hi_u32 v42, v28, v32
	v_mul_lo_u32 v32, v28, v32
	v_mul_hi_u32 v44, v28, v31
	v_mul_lo_u32 v31, v28, v31
	v_add_co_u32 v34, vcc_lo, v34, v36
	v_add_co_ci_u32_e32 v36, vcc_lo, 0, v38, vcc_lo
	s_delay_alu instid0(VALU_DEP_2) | instskip(NEXT) | instid1(VALU_DEP_2)
	v_add_co_u32 v32, vcc_lo, v34, v32
	v_add_co_ci_u32_e32 v32, vcc_lo, v36, v42, vcc_lo
	v_add_co_ci_u32_e32 v34, vcc_lo, 0, v44, vcc_lo
	v_add_co_u32 v29, vcc_lo, v29, v40
	v_add_co_ci_u32_e32 v30, vcc_lo, v30, v40, vcc_lo
	s_delay_alu instid0(VALU_DEP_4) | instskip(NEXT) | instid1(VALU_DEP_4)
	v_add_co_u32 v31, vcc_lo, v32, v31
	v_add_co_ci_u32_e32 v32, vcc_lo, 0, v34, vcc_lo
	s_delay_alu instid0(VALU_DEP_4) | instskip(NEXT) | instid1(VALU_DEP_3)
	v_xor_b32_e32 v34, v29, v40
	v_add_co_u32 v31, vcc_lo, v27, v31
	s_delay_alu instid0(VALU_DEP_3) | instskip(SKIP_1) | instid1(VALU_DEP_3)
	v_add_co_ci_u32_e32 v36, vcc_lo, v28, v32, vcc_lo
	v_xor_b32_e32 v38, v30, v40
	v_mul_hi_u32 v42, v34, v31
	s_delay_alu instid0(VALU_DEP_3) | instskip(NEXT) | instid1(VALU_DEP_3)
	v_mad_u64_u32 v[27:28], null, v34, v36, 0
	v_mad_u64_u32 v[29:30], null, v38, v31, 0
	;; [unrolled: 1-line block ×3, first 2 shown]
	s_delay_alu instid0(VALU_DEP_3) | instskip(NEXT) | instid1(VALU_DEP_4)
	v_add_co_u32 v27, vcc_lo, v42, v27
	v_add_co_ci_u32_e32 v28, vcc_lo, 0, v28, vcc_lo
	s_delay_alu instid0(VALU_DEP_2) | instskip(NEXT) | instid1(VALU_DEP_2)
	v_add_co_u32 v27, vcc_lo, v27, v29
	v_add_co_ci_u32_e32 v27, vcc_lo, v28, v30, vcc_lo
	v_add_co_ci_u32_e32 v28, vcc_lo, 0, v32, vcc_lo
	s_delay_alu instid0(VALU_DEP_2) | instskip(NEXT) | instid1(VALU_DEP_2)
	v_add_co_u32 v29, vcc_lo, v27, v31
	v_add_co_ci_u32_e32 v30, vcc_lo, 0, v28, vcc_lo
	s_delay_alu instid0(VALU_DEP_2) | instskip(SKIP_1) | instid1(VALU_DEP_3)
	v_mul_lo_u32 v31, s23, v29
	v_mad_u64_u32 v[27:28], null, s22, v29, 0
	v_mul_lo_u32 v32, s22, v30
	s_delay_alu instid0(VALU_DEP_2) | instskip(NEXT) | instid1(VALU_DEP_2)
	v_sub_co_u32 v27, vcc_lo, v34, v27
	v_add3_u32 v28, v28, v32, v31
	s_delay_alu instid0(VALU_DEP_1) | instskip(NEXT) | instid1(VALU_DEP_1)
	v_sub_nc_u32_e32 v31, v38, v28
	v_subrev_co_ci_u32_e64 v31, s0, s23, v31, vcc_lo
	v_add_co_u32 v32, s0, v29, 2
	s_delay_alu instid0(VALU_DEP_1) | instskip(SKIP_3) | instid1(VALU_DEP_3)
	v_add_co_ci_u32_e64 v34, s0, 0, v30, s0
	v_sub_co_u32 v36, s0, v27, s22
	v_sub_co_ci_u32_e32 v28, vcc_lo, v38, v28, vcc_lo
	v_subrev_co_ci_u32_e64 v31, s0, 0, v31, s0
	v_cmp_le_u32_e32 vcc_lo, s22, v36
	s_delay_alu instid0(VALU_DEP_3) | instskip(SKIP_1) | instid1(VALU_DEP_4)
	v_cmp_eq_u32_e64 s0, s23, v28
	v_cndmask_b32_e64 v36, 0, -1, vcc_lo
	v_cmp_le_u32_e32 vcc_lo, s23, v31
	v_cndmask_b32_e64 v38, 0, -1, vcc_lo
	v_cmp_le_u32_e32 vcc_lo, s22, v27
	;; [unrolled: 2-line block ×3, first 2 shown]
	v_cndmask_b32_e64 v42, 0, -1, vcc_lo
	v_cmp_eq_u32_e32 vcc_lo, s23, v31
	s_delay_alu instid0(VALU_DEP_2) | instskip(SKIP_3) | instid1(VALU_DEP_3)
	v_cndmask_b32_e64 v27, v42, v27, s0
	v_cndmask_b32_e32 v31, v38, v36, vcc_lo
	v_add_co_u32 v36, vcc_lo, v29, 1
	v_add_co_ci_u32_e32 v38, vcc_lo, 0, v30, vcc_lo
	v_cmp_ne_u32_e32 vcc_lo, 0, v31
	s_delay_alu instid0(VALU_DEP_2) | instskip(SKIP_2) | instid1(VALU_DEP_3)
	v_dual_cndmask_b32 v28, v38, v34 :: v_dual_cndmask_b32 v31, v36, v32
	v_cmp_ne_u32_e32 vcc_lo, 0, v27
	v_xor_b32_e32 v32, s20, v40
	v_dual_cndmask_b32 v27, v30, v28 :: v_dual_cndmask_b32 v28, v29, v31
	s_delay_alu instid0(VALU_DEP_1) | instskip(NEXT) | instid1(VALU_DEP_2)
	v_xor_b32_e32 v29, v27, v32
	v_xor_b32_e32 v28, v28, v32
	s_delay_alu instid0(VALU_DEP_1) | instskip(NEXT) | instid1(VALU_DEP_3)
	v_sub_co_u32 v27, vcc_lo, v28, v32
	v_sub_co_ci_u32_e32 v28, vcc_lo, v29, v32, vcc_lo
                                        ; implicit-def: $vgpr29
.LBB1149_208:
	s_and_not1_saveexec_b32 s0, s35
	s_cbranch_execz .LBB1149_210
; %bb.209:
	v_cvt_f32_u32_e32 v27, s38
	s_sub_i32 s20, 0, s38
	s_delay_alu instid0(VALU_DEP_1) | instskip(SKIP_2) | instid1(VALU_DEP_1)
	v_rcp_iflag_f32_e32 v27, v27
	s_waitcnt_depctr 0xfff
	v_mul_f32_e32 v27, 0x4f7ffffe, v27
	v_cvt_u32_f32_e32 v27, v27
	s_delay_alu instid0(VALU_DEP_1) | instskip(NEXT) | instid1(VALU_DEP_1)
	v_mul_lo_u32 v28, s20, v27
	v_mul_hi_u32 v28, v27, v28
	s_delay_alu instid0(VALU_DEP_1) | instskip(NEXT) | instid1(VALU_DEP_1)
	v_add_nc_u32_e32 v27, v27, v28
	v_mul_hi_u32 v27, v29, v27
	s_delay_alu instid0(VALU_DEP_1) | instskip(NEXT) | instid1(VALU_DEP_1)
	v_mul_lo_u32 v28, v27, s38
	v_sub_nc_u32_e32 v28, v29, v28
	v_add_nc_u32_e32 v29, 1, v27
	s_delay_alu instid0(VALU_DEP_2) | instskip(SKIP_1) | instid1(VALU_DEP_2)
	v_subrev_nc_u32_e32 v30, s38, v28
	v_cmp_le_u32_e32 vcc_lo, s38, v28
	v_dual_cndmask_b32 v28, v28, v30 :: v_dual_cndmask_b32 v27, v27, v29
	s_delay_alu instid0(VALU_DEP_1) | instskip(NEXT) | instid1(VALU_DEP_2)
	v_cmp_le_u32_e32 vcc_lo, s38, v28
	v_dual_mov_b32 v28, 0 :: v_dual_add_nc_u32 v29, 1, v27
	s_delay_alu instid0(VALU_DEP_1)
	v_cndmask_b32_e32 v27, v27, v29, vcc_lo
.LBB1149_210:
	s_or_b32 exec_lo, exec_lo, s0
.LBB1149_211:
	s_delay_alu instid0(SALU_CYCLE_1) | instskip(SKIP_1) | instid1(VALU_DEP_1)
	s_or_b32 exec_lo, exec_lo, s17
	v_or_b32_e32 v63, 0xe00, v0
                                        ; implicit-def: $vgpr29_vgpr30
	v_cmp_gt_u32_e64 s0, s34, v63
	s_delay_alu instid0(VALU_DEP_1)
	s_and_saveexec_b32 s35, s0
	s_cbranch_execz .LBB1149_217
; %bb.212:
	v_add_co_u32 v31, s17, s24, v63
	s_delay_alu instid0(VALU_DEP_1) | instskip(SKIP_1) | instid1(VALU_DEP_2)
	v_add_co_ci_u32_e64 v32, null, s25, 0, s17
	v_mov_b32_e32 v29, 0
	v_or_b32_e32 v30, s39, v32
	s_delay_alu instid0(VALU_DEP_1) | instskip(SKIP_1) | instid1(SALU_CYCLE_1)
	v_cmp_ne_u64_e32 vcc_lo, 0, v[29:30]
                                        ; implicit-def: $vgpr29_vgpr30
	s_and_saveexec_b32 s17, vcc_lo
	s_xor_b32 s36, exec_lo, s17
	s_cbranch_execz .LBB1149_214
; %bb.213:
	s_ashr_i32 s20, s39, 31
	s_delay_alu instid0(SALU_CYCLE_1) | instskip(SKIP_2) | instid1(SALU_CYCLE_1)
	s_add_u32 s22, s38, s20
	s_mov_b32 s21, s20
	s_addc_u32 s23, s39, s20
	s_xor_b64 s[22:23], s[22:23], s[20:21]
	s_delay_alu instid0(SALU_CYCLE_1) | instskip(SKIP_3) | instid1(VALU_DEP_1)
	v_cvt_f32_u32_e32 v29, s22
	v_cvt_f32_u32_e32 v30, s23
	s_sub_u32 s17, 0, s22
	s_subb_u32 s21, 0, s23
	v_fmamk_f32 v29, v30, 0x4f800000, v29
	s_delay_alu instid0(VALU_DEP_1) | instskip(SKIP_2) | instid1(VALU_DEP_1)
	v_rcp_f32_e32 v29, v29
	s_waitcnt_depctr 0xfff
	v_mul_f32_e32 v29, 0x5f7ffffc, v29
	v_mul_f32_e32 v30, 0x2f800000, v29
	s_delay_alu instid0(VALU_DEP_1) | instskip(NEXT) | instid1(VALU_DEP_1)
	v_trunc_f32_e32 v30, v30
	v_fmamk_f32 v29, v30, 0xcf800000, v29
	v_cvt_u32_f32_e32 v30, v30
	s_delay_alu instid0(VALU_DEP_2) | instskip(NEXT) | instid1(VALU_DEP_2)
	v_cvt_u32_f32_e32 v29, v29
	v_mul_lo_u32 v34, s17, v30
	s_delay_alu instid0(VALU_DEP_2) | instskip(SKIP_1) | instid1(VALU_DEP_2)
	v_mul_hi_u32 v36, s17, v29
	v_mul_lo_u32 v38, s21, v29
	v_add_nc_u32_e32 v34, v36, v34
	v_mul_lo_u32 v36, s17, v29
	s_delay_alu instid0(VALU_DEP_2) | instskip(NEXT) | instid1(VALU_DEP_2)
	v_add_nc_u32_e32 v34, v34, v38
	v_mul_hi_u32 v38, v29, v36
	s_delay_alu instid0(VALU_DEP_2)
	v_mul_lo_u32 v40, v29, v34
	v_mul_hi_u32 v42, v29, v34
	v_mul_hi_u32 v44, v30, v36
	v_mul_lo_u32 v36, v30, v36
	v_mul_hi_u32 v46, v30, v34
	v_mul_lo_u32 v34, v30, v34
	v_add_co_u32 v38, vcc_lo, v38, v40
	v_add_co_ci_u32_e32 v40, vcc_lo, 0, v42, vcc_lo
	s_delay_alu instid0(VALU_DEP_2) | instskip(NEXT) | instid1(VALU_DEP_2)
	v_add_co_u32 v36, vcc_lo, v38, v36
	v_add_co_ci_u32_e32 v36, vcc_lo, v40, v44, vcc_lo
	v_add_co_ci_u32_e32 v38, vcc_lo, 0, v46, vcc_lo
	v_ashrrev_i32_e32 v44, 31, v32
	s_delay_alu instid0(VALU_DEP_3) | instskip(NEXT) | instid1(VALU_DEP_3)
	v_add_co_u32 v34, vcc_lo, v36, v34
	v_add_co_ci_u32_e32 v36, vcc_lo, 0, v38, vcc_lo
	s_delay_alu instid0(VALU_DEP_2) | instskip(NEXT) | instid1(VALU_DEP_2)
	v_add_co_u32 v29, vcc_lo, v29, v34
	v_add_co_ci_u32_e32 v30, vcc_lo, v30, v36, vcc_lo
	s_delay_alu instid0(VALU_DEP_2) | instskip(SKIP_1) | instid1(VALU_DEP_3)
	v_mul_hi_u32 v34, s17, v29
	v_mul_lo_u32 v38, s21, v29
	v_mul_lo_u32 v36, s17, v30
	s_delay_alu instid0(VALU_DEP_1) | instskip(SKIP_1) | instid1(VALU_DEP_2)
	v_add_nc_u32_e32 v34, v34, v36
	v_mul_lo_u32 v36, s17, v29
	v_add_nc_u32_e32 v34, v34, v38
	s_delay_alu instid0(VALU_DEP_2) | instskip(NEXT) | instid1(VALU_DEP_2)
	v_mul_hi_u32 v38, v29, v36
	v_mul_lo_u32 v40, v29, v34
	v_mul_hi_u32 v42, v29, v34
	v_mul_hi_u32 v46, v30, v36
	v_mul_lo_u32 v36, v30, v36
	v_mul_hi_u32 v48, v30, v34
	v_mul_lo_u32 v34, v30, v34
	v_add_co_u32 v38, vcc_lo, v38, v40
	v_add_co_ci_u32_e32 v40, vcc_lo, 0, v42, vcc_lo
	s_delay_alu instid0(VALU_DEP_2) | instskip(NEXT) | instid1(VALU_DEP_2)
	v_add_co_u32 v36, vcc_lo, v38, v36
	v_add_co_ci_u32_e32 v36, vcc_lo, v40, v46, vcc_lo
	v_add_co_ci_u32_e32 v38, vcc_lo, 0, v48, vcc_lo
	v_add_co_u32 v31, vcc_lo, v31, v44
	v_add_co_ci_u32_e32 v32, vcc_lo, v32, v44, vcc_lo
	s_delay_alu instid0(VALU_DEP_4) | instskip(NEXT) | instid1(VALU_DEP_4)
	v_add_co_u32 v34, vcc_lo, v36, v34
	v_add_co_ci_u32_e32 v36, vcc_lo, 0, v38, vcc_lo
	s_delay_alu instid0(VALU_DEP_4) | instskip(NEXT) | instid1(VALU_DEP_3)
	v_xor_b32_e32 v38, v31, v44
	v_add_co_u32 v34, vcc_lo, v29, v34
	s_delay_alu instid0(VALU_DEP_3) | instskip(SKIP_1) | instid1(VALU_DEP_3)
	v_add_co_ci_u32_e32 v36, vcc_lo, v30, v36, vcc_lo
	v_xor_b32_e32 v40, v32, v44
	v_mul_hi_u32 v42, v38, v34
	s_delay_alu instid0(VALU_DEP_3) | instskip(NEXT) | instid1(VALU_DEP_3)
	v_mad_u64_u32 v[29:30], null, v38, v36, 0
	v_mad_u64_u32 v[31:32], null, v40, v34, 0
	;; [unrolled: 1-line block ×3, first 2 shown]
	s_delay_alu instid0(VALU_DEP_3) | instskip(NEXT) | instid1(VALU_DEP_4)
	v_add_co_u32 v29, vcc_lo, v42, v29
	v_add_co_ci_u32_e32 v30, vcc_lo, 0, v30, vcc_lo
	s_delay_alu instid0(VALU_DEP_2) | instskip(NEXT) | instid1(VALU_DEP_2)
	v_add_co_u32 v29, vcc_lo, v29, v31
	v_add_co_ci_u32_e32 v29, vcc_lo, v30, v32, vcc_lo
	v_add_co_ci_u32_e32 v30, vcc_lo, 0, v57, vcc_lo
	s_delay_alu instid0(VALU_DEP_2) | instskip(NEXT) | instid1(VALU_DEP_2)
	v_add_co_u32 v31, vcc_lo, v29, v56
	v_add_co_ci_u32_e32 v32, vcc_lo, 0, v30, vcc_lo
	s_delay_alu instid0(VALU_DEP_2) | instskip(SKIP_1) | instid1(VALU_DEP_3)
	v_mul_lo_u32 v34, s23, v31
	v_mad_u64_u32 v[29:30], null, s22, v31, 0
	v_mul_lo_u32 v36, s22, v32
	s_delay_alu instid0(VALU_DEP_2) | instskip(NEXT) | instid1(VALU_DEP_2)
	v_sub_co_u32 v29, vcc_lo, v38, v29
	v_add3_u32 v30, v30, v36, v34
	s_delay_alu instid0(VALU_DEP_1) | instskip(NEXT) | instid1(VALU_DEP_1)
	v_sub_nc_u32_e32 v34, v40, v30
	v_subrev_co_ci_u32_e64 v34, s17, s23, v34, vcc_lo
	v_add_co_u32 v36, s17, v31, 2
	s_delay_alu instid0(VALU_DEP_1) | instskip(SKIP_3) | instid1(VALU_DEP_3)
	v_add_co_ci_u32_e64 v38, s17, 0, v32, s17
	v_sub_co_u32 v42, s17, v29, s22
	v_sub_co_ci_u32_e32 v30, vcc_lo, v40, v30, vcc_lo
	v_subrev_co_ci_u32_e64 v34, s17, 0, v34, s17
	v_cmp_le_u32_e32 vcc_lo, s22, v42
	s_delay_alu instid0(VALU_DEP_3) | instskip(SKIP_1) | instid1(VALU_DEP_4)
	v_cmp_eq_u32_e64 s17, s23, v30
	v_cndmask_b32_e64 v40, 0, -1, vcc_lo
	v_cmp_le_u32_e32 vcc_lo, s23, v34
	v_cndmask_b32_e64 v42, 0, -1, vcc_lo
	v_cmp_le_u32_e32 vcc_lo, s22, v29
	;; [unrolled: 2-line block ×3, first 2 shown]
	v_cndmask_b32_e64 v46, 0, -1, vcc_lo
	v_cmp_eq_u32_e32 vcc_lo, s23, v34
	s_delay_alu instid0(VALU_DEP_2) | instskip(SKIP_3) | instid1(VALU_DEP_3)
	v_cndmask_b32_e64 v29, v46, v29, s17
	v_cndmask_b32_e32 v34, v42, v40, vcc_lo
	v_add_co_u32 v40, vcc_lo, v31, 1
	v_add_co_ci_u32_e32 v42, vcc_lo, 0, v32, vcc_lo
	v_cmp_ne_u32_e32 vcc_lo, 0, v34
	s_delay_alu instid0(VALU_DEP_2) | instskip(NEXT) | instid1(VALU_DEP_4)
	v_cndmask_b32_e32 v30, v42, v38, vcc_lo
	v_cndmask_b32_e32 v34, v40, v36, vcc_lo
	v_cmp_ne_u32_e32 vcc_lo, 0, v29
	v_xor_b32_e32 v36, s20, v44
	s_delay_alu instid0(VALU_DEP_4) | instskip(NEXT) | instid1(VALU_DEP_4)
	v_cndmask_b32_e32 v29, v32, v30, vcc_lo
	v_cndmask_b32_e32 v30, v31, v34, vcc_lo
	s_delay_alu instid0(VALU_DEP_2) | instskip(NEXT) | instid1(VALU_DEP_2)
	v_xor_b32_e32 v31, v29, v36
	v_xor_b32_e32 v30, v30, v36
	s_delay_alu instid0(VALU_DEP_1) | instskip(NEXT) | instid1(VALU_DEP_3)
	v_sub_co_u32 v29, vcc_lo, v30, v36
	v_sub_co_ci_u32_e32 v30, vcc_lo, v31, v36, vcc_lo
                                        ; implicit-def: $vgpr31
.LBB1149_214:
	s_and_not1_saveexec_b32 s17, s36
	s_cbranch_execz .LBB1149_216
; %bb.215:
	v_cvt_f32_u32_e32 v29, s38
	s_sub_i32 s20, 0, s38
	s_delay_alu instid0(VALU_DEP_1) | instskip(SKIP_2) | instid1(VALU_DEP_1)
	v_rcp_iflag_f32_e32 v29, v29
	s_waitcnt_depctr 0xfff
	v_mul_f32_e32 v29, 0x4f7ffffe, v29
	v_cvt_u32_f32_e32 v29, v29
	s_delay_alu instid0(VALU_DEP_1) | instskip(NEXT) | instid1(VALU_DEP_1)
	v_mul_lo_u32 v30, s20, v29
	v_mul_hi_u32 v30, v29, v30
	s_delay_alu instid0(VALU_DEP_1) | instskip(NEXT) | instid1(VALU_DEP_1)
	v_add_nc_u32_e32 v29, v29, v30
	v_mul_hi_u32 v29, v31, v29
	s_delay_alu instid0(VALU_DEP_1) | instskip(NEXT) | instid1(VALU_DEP_1)
	v_mul_lo_u32 v30, v29, s38
	v_sub_nc_u32_e32 v30, v31, v30
	v_add_nc_u32_e32 v31, 1, v29
	s_delay_alu instid0(VALU_DEP_2) | instskip(SKIP_1) | instid1(VALU_DEP_2)
	v_subrev_nc_u32_e32 v32, s38, v30
	v_cmp_le_u32_e32 vcc_lo, s38, v30
	v_dual_cndmask_b32 v30, v30, v32 :: v_dual_cndmask_b32 v29, v29, v31
	s_delay_alu instid0(VALU_DEP_1) | instskip(NEXT) | instid1(VALU_DEP_2)
	v_cmp_le_u32_e32 vcc_lo, s38, v30
	v_dual_mov_b32 v30, 0 :: v_dual_add_nc_u32 v31, 1, v29
	s_delay_alu instid0(VALU_DEP_1)
	v_cndmask_b32_e32 v29, v29, v31, vcc_lo
.LBB1149_216:
	s_or_b32 exec_lo, exec_lo, s17
.LBB1149_217:
	s_delay_alu instid0(SALU_CYCLE_1)
	s_or_b32 exec_lo, exec_lo, s35
	v_lshlrev_b32_e32 v62, 3, v0
	ds_store_2addr_stride64_b64 v62, v[1:2], v[3:4] offset1:4
	ds_store_2addr_stride64_b64 v62, v[5:6], v[7:8] offset0:8 offset1:12
	ds_store_2addr_stride64_b64 v62, v[9:10], v[11:12] offset0:16 offset1:20
	ds_store_2addr_stride64_b64 v62, v[13:14], v[15:16] offset0:24 offset1:28
	ds_store_2addr_stride64_b64 v62, v[17:18], v[19:20] offset0:32 offset1:36
	ds_store_2addr_stride64_b64 v62, v[21:22], v[23:24] offset0:40 offset1:44
	ds_store_2addr_stride64_b64 v62, v[25:26], v[27:28] offset0:48 offset1:52
	v_mad_u32_u24 v61, 0x70, v0, v62
	ds_store_b64 v62, v[29:30] offset:28672
	s_waitcnt lgkmcnt(0)
	s_barrier
	buffer_gl0_inv
	ds_load_2addr_b64 v[25:28], v61 offset1:1
	ds_load_2addr_b64 v[21:24], v61 offset0:2 offset1:3
	ds_load_2addr_b64 v[17:20], v61 offset0:4 offset1:5
	;; [unrolled: 1-line block ×6, first 2 shown]
	ds_load_b64 v[57:58], v61 offset:112
	s_waitcnt lgkmcnt(0)
	s_barrier
	buffer_gl0_inv
                                        ; implicit-def: $vgpr29_vgpr30
	s_and_saveexec_b32 s17, s16
	s_cbranch_execnz .LBB1149_232
; %bb.218:
	s_or_b32 exec_lo, exec_lo, s17
                                        ; implicit-def: $vgpr31_vgpr32
	s_and_saveexec_b32 s22, s15
	s_cbranch_execnz .LBB1149_237
.LBB1149_219:
	s_or_b32 exec_lo, exec_lo, s22
                                        ; implicit-def: $vgpr33_vgpr34
	s_and_saveexec_b32 s15, s14
	s_cbranch_execnz .LBB1149_242
.LBB1149_220:
	s_or_b32 exec_lo, exec_lo, s15
                                        ; implicit-def: $vgpr35_vgpr36
	s_and_saveexec_b32 s20, s13
	s_cbranch_execnz .LBB1149_247
.LBB1149_221:
	s_or_b32 exec_lo, exec_lo, s20
                                        ; implicit-def: $vgpr37_vgpr38
	s_and_saveexec_b32 s13, s12
	s_cbranch_execnz .LBB1149_252
.LBB1149_222:
	s_or_b32 exec_lo, exec_lo, s13
                                        ; implicit-def: $vgpr39_vgpr40
	s_and_saveexec_b32 s16, s11
	s_cbranch_execnz .LBB1149_257
.LBB1149_223:
	s_or_b32 exec_lo, exec_lo, s16
                                        ; implicit-def: $vgpr41_vgpr42
	s_and_saveexec_b32 s11, s10
	s_cbranch_execnz .LBB1149_262
.LBB1149_224:
	s_or_b32 exec_lo, exec_lo, s11
                                        ; implicit-def: $vgpr43_vgpr44
	s_and_saveexec_b32 s14, s9
	s_cbranch_execnz .LBB1149_267
.LBB1149_225:
	s_or_b32 exec_lo, exec_lo, s14
                                        ; implicit-def: $vgpr45_vgpr46
	s_and_saveexec_b32 s9, s8
	s_cbranch_execnz .LBB1149_272
.LBB1149_226:
	s_or_b32 exec_lo, exec_lo, s9
                                        ; implicit-def: $vgpr47_vgpr48
	s_and_saveexec_b32 s12, s7
	s_cbranch_execnz .LBB1149_277
.LBB1149_227:
	s_or_b32 exec_lo, exec_lo, s12
                                        ; implicit-def: $vgpr49_vgpr50
	s_and_saveexec_b32 s7, s6
	s_cbranch_execnz .LBB1149_282
.LBB1149_228:
	s_or_b32 exec_lo, exec_lo, s7
                                        ; implicit-def: $vgpr51_vgpr52
	s_and_saveexec_b32 s10, s5
	s_cbranch_execnz .LBB1149_287
.LBB1149_229:
	s_or_b32 exec_lo, exec_lo, s10
                                        ; implicit-def: $vgpr53_vgpr54
	s_and_saveexec_b32 s5, s4
	s_cbranch_execnz .LBB1149_292
.LBB1149_230:
	s_or_b32 exec_lo, exec_lo, s5
                                        ; implicit-def: $vgpr55_vgpr56
	s_and_saveexec_b32 s8, s1
	s_cbranch_execnz .LBB1149_297
.LBB1149_231:
	s_or_b32 exec_lo, exec_lo, s8
                                        ; implicit-def: $vgpr59_vgpr60
	s_and_saveexec_b32 s1, s0
	s_cbranch_execnz .LBB1149_302
	s_branch .LBB1149_307
.LBB1149_232:
	v_add_co_u32 v31, s16, s30, v0
	s_delay_alu instid0(VALU_DEP_1) | instskip(SKIP_1) | instid1(VALU_DEP_2)
	v_add_co_ci_u32_e64 v32, null, s31, 0, s16
	v_mov_b32_e32 v29, 0
	v_or_b32_e32 v30, s45, v32
	s_delay_alu instid0(VALU_DEP_1) | instskip(SKIP_1) | instid1(SALU_CYCLE_1)
	v_cmp_ne_u64_e32 vcc_lo, 0, v[29:30]
                                        ; implicit-def: $vgpr29_vgpr30
	s_and_saveexec_b32 s16, vcc_lo
	s_xor_b32 s35, exec_lo, s16
	s_cbranch_execz .LBB1149_234
; %bb.233:
	s_ashr_i32 s20, s45, 31
	s_delay_alu instid0(SALU_CYCLE_1) | instskip(SKIP_2) | instid1(SALU_CYCLE_1)
	s_add_u32 s22, s44, s20
	s_mov_b32 s21, s20
	s_addc_u32 s23, s45, s20
	s_xor_b64 s[22:23], s[22:23], s[20:21]
	s_delay_alu instid0(SALU_CYCLE_1) | instskip(SKIP_3) | instid1(VALU_DEP_1)
	v_cvt_f32_u32_e32 v29, s22
	v_cvt_f32_u32_e32 v30, s23
	s_sub_u32 s16, 0, s22
	s_subb_u32 s21, 0, s23
	v_fmamk_f32 v29, v30, 0x4f800000, v29
	s_delay_alu instid0(VALU_DEP_1) | instskip(SKIP_2) | instid1(VALU_DEP_1)
	v_rcp_f32_e32 v29, v29
	s_waitcnt_depctr 0xfff
	v_mul_f32_e32 v29, 0x5f7ffffc, v29
	v_mul_f32_e32 v30, 0x2f800000, v29
	s_delay_alu instid0(VALU_DEP_1) | instskip(NEXT) | instid1(VALU_DEP_1)
	v_trunc_f32_e32 v30, v30
	v_fmamk_f32 v29, v30, 0xcf800000, v29
	v_cvt_u32_f32_e32 v30, v30
	s_delay_alu instid0(VALU_DEP_2) | instskip(NEXT) | instid1(VALU_DEP_2)
	v_cvt_u32_f32_e32 v29, v29
	v_mul_lo_u32 v34, s16, v30
	s_delay_alu instid0(VALU_DEP_2) | instskip(SKIP_1) | instid1(VALU_DEP_2)
	v_mul_hi_u32 v36, s16, v29
	v_mul_lo_u32 v38, s21, v29
	v_add_nc_u32_e32 v34, v36, v34
	v_mul_lo_u32 v36, s16, v29
	s_delay_alu instid0(VALU_DEP_2) | instskip(NEXT) | instid1(VALU_DEP_2)
	v_add_nc_u32_e32 v34, v34, v38
	v_mul_hi_u32 v38, v29, v36
	s_delay_alu instid0(VALU_DEP_2)
	v_mul_lo_u32 v40, v29, v34
	v_mul_hi_u32 v42, v29, v34
	v_mul_hi_u32 v44, v30, v36
	v_mul_lo_u32 v36, v30, v36
	v_mul_hi_u32 v46, v30, v34
	v_mul_lo_u32 v34, v30, v34
	v_add_co_u32 v38, vcc_lo, v38, v40
	v_add_co_ci_u32_e32 v40, vcc_lo, 0, v42, vcc_lo
	s_delay_alu instid0(VALU_DEP_2) | instskip(NEXT) | instid1(VALU_DEP_2)
	v_add_co_u32 v36, vcc_lo, v38, v36
	v_add_co_ci_u32_e32 v36, vcc_lo, v40, v44, vcc_lo
	v_add_co_ci_u32_e32 v38, vcc_lo, 0, v46, vcc_lo
	v_ashrrev_i32_e32 v44, 31, v32
	s_delay_alu instid0(VALU_DEP_3) | instskip(NEXT) | instid1(VALU_DEP_3)
	v_add_co_u32 v34, vcc_lo, v36, v34
	v_add_co_ci_u32_e32 v36, vcc_lo, 0, v38, vcc_lo
	s_delay_alu instid0(VALU_DEP_2) | instskip(NEXT) | instid1(VALU_DEP_2)
	v_add_co_u32 v29, vcc_lo, v29, v34
	v_add_co_ci_u32_e32 v30, vcc_lo, v30, v36, vcc_lo
	s_delay_alu instid0(VALU_DEP_2) | instskip(SKIP_1) | instid1(VALU_DEP_3)
	v_mul_hi_u32 v34, s16, v29
	v_mul_lo_u32 v38, s21, v29
	v_mul_lo_u32 v36, s16, v30
	s_delay_alu instid0(VALU_DEP_1) | instskip(SKIP_1) | instid1(VALU_DEP_2)
	v_add_nc_u32_e32 v34, v34, v36
	v_mul_lo_u32 v36, s16, v29
	v_add_nc_u32_e32 v34, v34, v38
	s_delay_alu instid0(VALU_DEP_2) | instskip(NEXT) | instid1(VALU_DEP_2)
	v_mul_hi_u32 v38, v29, v36
	v_mul_lo_u32 v40, v29, v34
	v_mul_hi_u32 v42, v29, v34
	v_mul_hi_u32 v46, v30, v36
	v_mul_lo_u32 v36, v30, v36
	v_mul_hi_u32 v48, v30, v34
	v_mul_lo_u32 v34, v30, v34
	v_add_co_u32 v38, vcc_lo, v38, v40
	v_add_co_ci_u32_e32 v40, vcc_lo, 0, v42, vcc_lo
	s_delay_alu instid0(VALU_DEP_2) | instskip(NEXT) | instid1(VALU_DEP_2)
	v_add_co_u32 v36, vcc_lo, v38, v36
	v_add_co_ci_u32_e32 v36, vcc_lo, v40, v46, vcc_lo
	v_add_co_ci_u32_e32 v38, vcc_lo, 0, v48, vcc_lo
	v_add_co_u32 v40, vcc_lo, v31, v44
	v_add_co_ci_u32_e32 v42, vcc_lo, v32, v44, vcc_lo
	s_delay_alu instid0(VALU_DEP_4) | instskip(NEXT) | instid1(VALU_DEP_4)
	v_add_co_u32 v34, vcc_lo, v36, v34
	v_add_co_ci_u32_e32 v36, vcc_lo, 0, v38, vcc_lo
	s_delay_alu instid0(VALU_DEP_4) | instskip(NEXT) | instid1(VALU_DEP_3)
	v_xor_b32_e32 v38, v40, v44
	v_add_co_u32 v34, vcc_lo, v29, v34
	s_delay_alu instid0(VALU_DEP_3) | instskip(SKIP_1) | instid1(VALU_DEP_3)
	v_add_co_ci_u32_e32 v36, vcc_lo, v30, v36, vcc_lo
	v_xor_b32_e32 v40, v42, v44
	v_mul_hi_u32 v42, v38, v34
	s_delay_alu instid0(VALU_DEP_3) | instskip(NEXT) | instid1(VALU_DEP_3)
	v_mad_u64_u32 v[29:30], null, v38, v36, 0
	v_mad_u64_u32 v[64:65], null, v40, v34, 0
	;; [unrolled: 1-line block ×3, first 2 shown]
	s_delay_alu instid0(VALU_DEP_3) | instskip(NEXT) | instid1(VALU_DEP_4)
	v_add_co_u32 v29, vcc_lo, v42, v29
	v_add_co_ci_u32_e32 v30, vcc_lo, 0, v30, vcc_lo
	s_delay_alu instid0(VALU_DEP_2) | instskip(NEXT) | instid1(VALU_DEP_2)
	v_add_co_u32 v29, vcc_lo, v29, v64
	v_add_co_ci_u32_e32 v29, vcc_lo, v30, v65, vcc_lo
	v_add_co_ci_u32_e32 v30, vcc_lo, 0, v67, vcc_lo
	s_delay_alu instid0(VALU_DEP_2) | instskip(NEXT) | instid1(VALU_DEP_2)
	v_add_co_u32 v34, vcc_lo, v29, v66
	v_add_co_ci_u32_e32 v36, vcc_lo, 0, v30, vcc_lo
	s_delay_alu instid0(VALU_DEP_2) | instskip(SKIP_1) | instid1(VALU_DEP_3)
	v_mul_lo_u32 v42, s23, v34
	v_mad_u64_u32 v[29:30], null, s22, v34, 0
	v_mul_lo_u32 v46, s22, v36
	s_delay_alu instid0(VALU_DEP_2) | instskip(NEXT) | instid1(VALU_DEP_2)
	v_sub_co_u32 v29, vcc_lo, v38, v29
	v_add3_u32 v30, v30, v46, v42
	s_delay_alu instid0(VALU_DEP_1) | instskip(NEXT) | instid1(VALU_DEP_1)
	v_sub_nc_u32_e32 v42, v40, v30
	v_subrev_co_ci_u32_e64 v38, s16, s23, v42, vcc_lo
	v_add_co_u32 v42, s16, v34, 2
	s_delay_alu instid0(VALU_DEP_1) | instskip(SKIP_3) | instid1(VALU_DEP_3)
	v_add_co_ci_u32_e64 v46, s16, 0, v36, s16
	v_sub_co_u32 v48, s16, v29, s22
	v_sub_co_ci_u32_e32 v30, vcc_lo, v40, v30, vcc_lo
	v_subrev_co_ci_u32_e64 v38, s16, 0, v38, s16
	v_cmp_le_u32_e32 vcc_lo, s22, v48
	s_delay_alu instid0(VALU_DEP_3) | instskip(SKIP_1) | instid1(VALU_DEP_4)
	v_cmp_eq_u32_e64 s16, s23, v30
	v_cndmask_b32_e64 v40, 0, -1, vcc_lo
	v_cmp_le_u32_e32 vcc_lo, s23, v38
	v_cndmask_b32_e64 v48, 0, -1, vcc_lo
	v_cmp_le_u32_e32 vcc_lo, s22, v29
	;; [unrolled: 2-line block ×3, first 2 shown]
	v_cndmask_b32_e64 v50, 0, -1, vcc_lo
	v_cmp_eq_u32_e32 vcc_lo, s23, v38
	s_delay_alu instid0(VALU_DEP_2) | instskip(SKIP_3) | instid1(VALU_DEP_3)
	v_cndmask_b32_e64 v29, v50, v29, s16
	v_cndmask_b32_e32 v38, v48, v40, vcc_lo
	v_add_co_u32 v40, vcc_lo, v34, 1
	v_add_co_ci_u32_e32 v48, vcc_lo, 0, v36, vcc_lo
	v_cmp_ne_u32_e32 vcc_lo, 0, v38
	s_delay_alu instid0(VALU_DEP_2) | instskip(NEXT) | instid1(VALU_DEP_4)
	v_cndmask_b32_e32 v30, v48, v46, vcc_lo
	v_cndmask_b32_e32 v38, v40, v42, vcc_lo
	v_cmp_ne_u32_e32 vcc_lo, 0, v29
	v_xor_b32_e32 v40, s20, v44
	s_delay_alu instid0(VALU_DEP_4) | instskip(NEXT) | instid1(VALU_DEP_4)
	v_cndmask_b32_e32 v29, v36, v30, vcc_lo
	v_cndmask_b32_e32 v30, v34, v38, vcc_lo
	s_delay_alu instid0(VALU_DEP_2) | instskip(NEXT) | instid1(VALU_DEP_2)
	v_xor_b32_e32 v34, v29, v40
	v_xor_b32_e32 v30, v30, v40
	s_delay_alu instid0(VALU_DEP_1) | instskip(NEXT) | instid1(VALU_DEP_3)
	v_sub_co_u32 v29, vcc_lo, v30, v40
	v_sub_co_ci_u32_e32 v30, vcc_lo, v34, v40, vcc_lo
.LBB1149_234:
	s_and_not1_saveexec_b32 s16, s35
	s_cbranch_execz .LBB1149_236
; %bb.235:
	v_cvt_f32_u32_e32 v29, s44
	s_sub_i32 s20, 0, s44
	s_delay_alu instid0(VALU_DEP_1) | instskip(SKIP_2) | instid1(VALU_DEP_1)
	v_rcp_iflag_f32_e32 v29, v29
	s_waitcnt_depctr 0xfff
	v_mul_f32_e32 v29, 0x4f7ffffe, v29
	v_cvt_u32_f32_e32 v29, v29
	s_delay_alu instid0(VALU_DEP_1) | instskip(NEXT) | instid1(VALU_DEP_1)
	v_mul_lo_u32 v30, s20, v29
	v_mul_hi_u32 v30, v29, v30
	s_delay_alu instid0(VALU_DEP_1) | instskip(NEXT) | instid1(VALU_DEP_1)
	v_add_nc_u32_e32 v29, v29, v30
	v_mul_hi_u32 v29, v31, v29
	s_delay_alu instid0(VALU_DEP_1) | instskip(SKIP_1) | instid1(VALU_DEP_2)
	v_mul_lo_u32 v30, v29, s44
	v_add_nc_u32_e32 v34, 1, v29
	v_sub_nc_u32_e32 v30, v31, v30
	s_delay_alu instid0(VALU_DEP_1) | instskip(SKIP_1) | instid1(VALU_DEP_2)
	v_subrev_nc_u32_e32 v36, s44, v30
	v_cmp_le_u32_e32 vcc_lo, s44, v30
	v_dual_cndmask_b32 v30, v30, v36 :: v_dual_cndmask_b32 v29, v29, v34
	s_delay_alu instid0(VALU_DEP_1) | instskip(SKIP_1) | instid1(VALU_DEP_3)
	v_cmp_le_u32_e32 vcc_lo, s44, v30
	v_mov_b32_e32 v30, 0
	v_add_nc_u32_e32 v34, 1, v29
	s_delay_alu instid0(VALU_DEP_1)
	v_cndmask_b32_e32 v29, v29, v34, vcc_lo
.LBB1149_236:
	s_or_b32 exec_lo, exec_lo, s16
	s_delay_alu instid0(VALU_DEP_1) | instskip(NEXT) | instid1(VALU_DEP_2)
	v_mul_lo_u32 v34, v30, s44
	v_mul_lo_u32 v36, v29, s45
	v_mad_u64_u32 v[64:65], null, v29, s44, 0
	s_delay_alu instid0(VALU_DEP_1) | instskip(NEXT) | instid1(VALU_DEP_2)
	v_add3_u32 v34, v65, v36, v34
	v_sub_co_u32 v31, vcc_lo, v31, v64
	s_delay_alu instid0(VALU_DEP_2) | instskip(NEXT) | instid1(VALU_DEP_2)
	v_sub_co_ci_u32_e32 v32, vcc_lo, v32, v34, vcc_lo
	v_add_co_u32 v29, vcc_lo, v29, v31
	s_delay_alu instid0(VALU_DEP_2)
	v_add_co_ci_u32_e32 v30, vcc_lo, v30, v32, vcc_lo
	s_or_b32 exec_lo, exec_lo, s17
                                        ; implicit-def: $vgpr31_vgpr32
	s_and_saveexec_b32 s22, s15
	s_cbranch_execz .LBB1149_219
.LBB1149_237:
	v_add_co_u32 v33, s15, s30, v33
	s_delay_alu instid0(VALU_DEP_1) | instskip(SKIP_1) | instid1(VALU_DEP_2)
	v_add_co_ci_u32_e64 v34, null, s31, 0, s15
	v_mov_b32_e32 v31, 0
	v_or_b32_e32 v32, s45, v34
	s_delay_alu instid0(VALU_DEP_1) | instskip(SKIP_1) | instid1(SALU_CYCLE_1)
	v_cmp_ne_u64_e32 vcc_lo, 0, v[31:32]
                                        ; implicit-def: $vgpr31_vgpr32
	s_and_saveexec_b32 s15, vcc_lo
	s_xor_b32 s23, exec_lo, s15
	s_cbranch_execz .LBB1149_239
; %bb.238:
	s_ashr_i32 s16, s45, 31
	s_delay_alu instid0(SALU_CYCLE_1) | instskip(SKIP_2) | instid1(SALU_CYCLE_1)
	s_add_u32 s20, s44, s16
	s_mov_b32 s17, s16
	s_addc_u32 s21, s45, s16
	s_xor_b64 s[20:21], s[20:21], s[16:17]
	s_delay_alu instid0(SALU_CYCLE_1) | instskip(SKIP_3) | instid1(VALU_DEP_1)
	v_cvt_f32_u32_e32 v31, s20
	v_cvt_f32_u32_e32 v32, s21
	s_sub_u32 s15, 0, s20
	s_subb_u32 s17, 0, s21
	v_fmamk_f32 v31, v32, 0x4f800000, v31
	s_delay_alu instid0(VALU_DEP_1) | instskip(SKIP_2) | instid1(VALU_DEP_1)
	v_rcp_f32_e32 v31, v31
	s_waitcnt_depctr 0xfff
	v_mul_f32_e32 v31, 0x5f7ffffc, v31
	v_mul_f32_e32 v32, 0x2f800000, v31
	s_delay_alu instid0(VALU_DEP_1) | instskip(NEXT) | instid1(VALU_DEP_1)
	v_trunc_f32_e32 v32, v32
	v_fmamk_f32 v31, v32, 0xcf800000, v31
	v_cvt_u32_f32_e32 v32, v32
	s_delay_alu instid0(VALU_DEP_2) | instskip(NEXT) | instid1(VALU_DEP_2)
	v_cvt_u32_f32_e32 v31, v31
	v_mul_lo_u32 v36, s15, v32
	s_delay_alu instid0(VALU_DEP_2) | instskip(SKIP_1) | instid1(VALU_DEP_2)
	v_mul_hi_u32 v38, s15, v31
	v_mul_lo_u32 v40, s17, v31
	v_add_nc_u32_e32 v36, v38, v36
	v_mul_lo_u32 v38, s15, v31
	s_delay_alu instid0(VALU_DEP_2) | instskip(NEXT) | instid1(VALU_DEP_2)
	v_add_nc_u32_e32 v36, v36, v40
	v_mul_hi_u32 v40, v31, v38
	s_delay_alu instid0(VALU_DEP_2)
	v_mul_lo_u32 v42, v31, v36
	v_mul_hi_u32 v44, v31, v36
	v_mul_hi_u32 v46, v32, v38
	v_mul_lo_u32 v38, v32, v38
	v_mul_hi_u32 v48, v32, v36
	v_mul_lo_u32 v36, v32, v36
	v_add_co_u32 v40, vcc_lo, v40, v42
	v_add_co_ci_u32_e32 v42, vcc_lo, 0, v44, vcc_lo
	s_delay_alu instid0(VALU_DEP_2) | instskip(NEXT) | instid1(VALU_DEP_2)
	v_add_co_u32 v38, vcc_lo, v40, v38
	v_add_co_ci_u32_e32 v38, vcc_lo, v42, v46, vcc_lo
	v_add_co_ci_u32_e32 v40, vcc_lo, 0, v48, vcc_lo
	v_ashrrev_i32_e32 v46, 31, v34
	s_delay_alu instid0(VALU_DEP_3) | instskip(NEXT) | instid1(VALU_DEP_3)
	v_add_co_u32 v36, vcc_lo, v38, v36
	v_add_co_ci_u32_e32 v38, vcc_lo, 0, v40, vcc_lo
	s_delay_alu instid0(VALU_DEP_2) | instskip(NEXT) | instid1(VALU_DEP_2)
	v_add_co_u32 v31, vcc_lo, v31, v36
	v_add_co_ci_u32_e32 v32, vcc_lo, v32, v38, vcc_lo
	s_delay_alu instid0(VALU_DEP_2) | instskip(SKIP_1) | instid1(VALU_DEP_3)
	v_mul_hi_u32 v36, s15, v31
	v_mul_lo_u32 v40, s17, v31
	v_mul_lo_u32 v38, s15, v32
	s_delay_alu instid0(VALU_DEP_1) | instskip(SKIP_1) | instid1(VALU_DEP_2)
	v_add_nc_u32_e32 v36, v36, v38
	v_mul_lo_u32 v38, s15, v31
	v_add_nc_u32_e32 v36, v36, v40
	s_delay_alu instid0(VALU_DEP_2) | instskip(NEXT) | instid1(VALU_DEP_2)
	v_mul_hi_u32 v40, v31, v38
	v_mul_lo_u32 v42, v31, v36
	v_mul_hi_u32 v44, v31, v36
	v_mul_hi_u32 v48, v32, v38
	v_mul_lo_u32 v38, v32, v38
	v_mul_hi_u32 v50, v32, v36
	v_mul_lo_u32 v36, v32, v36
	v_add_co_u32 v40, vcc_lo, v40, v42
	v_add_co_ci_u32_e32 v42, vcc_lo, 0, v44, vcc_lo
	s_delay_alu instid0(VALU_DEP_2) | instskip(NEXT) | instid1(VALU_DEP_2)
	v_add_co_u32 v38, vcc_lo, v40, v38
	v_add_co_ci_u32_e32 v38, vcc_lo, v42, v48, vcc_lo
	v_add_co_ci_u32_e32 v40, vcc_lo, 0, v50, vcc_lo
	v_add_co_u32 v42, vcc_lo, v33, v46
	v_add_co_ci_u32_e32 v44, vcc_lo, v34, v46, vcc_lo
	s_delay_alu instid0(VALU_DEP_4) | instskip(NEXT) | instid1(VALU_DEP_4)
	v_add_co_u32 v36, vcc_lo, v38, v36
	v_add_co_ci_u32_e32 v38, vcc_lo, 0, v40, vcc_lo
	s_delay_alu instid0(VALU_DEP_4) | instskip(NEXT) | instid1(VALU_DEP_3)
	v_xor_b32_e32 v40, v42, v46
	v_add_co_u32 v36, vcc_lo, v31, v36
	s_delay_alu instid0(VALU_DEP_3) | instskip(SKIP_1) | instid1(VALU_DEP_3)
	v_add_co_ci_u32_e32 v38, vcc_lo, v32, v38, vcc_lo
	v_xor_b32_e32 v42, v44, v46
	v_mul_hi_u32 v44, v40, v36
	s_delay_alu instid0(VALU_DEP_3) | instskip(NEXT) | instid1(VALU_DEP_3)
	v_mad_u64_u32 v[31:32], null, v40, v38, 0
	v_mad_u64_u32 v[64:65], null, v42, v36, 0
	;; [unrolled: 1-line block ×3, first 2 shown]
	s_delay_alu instid0(VALU_DEP_3) | instskip(NEXT) | instid1(VALU_DEP_4)
	v_add_co_u32 v31, vcc_lo, v44, v31
	v_add_co_ci_u32_e32 v32, vcc_lo, 0, v32, vcc_lo
	s_delay_alu instid0(VALU_DEP_2) | instskip(NEXT) | instid1(VALU_DEP_2)
	v_add_co_u32 v31, vcc_lo, v31, v64
	v_add_co_ci_u32_e32 v31, vcc_lo, v32, v65, vcc_lo
	v_add_co_ci_u32_e32 v32, vcc_lo, 0, v67, vcc_lo
	s_delay_alu instid0(VALU_DEP_2) | instskip(NEXT) | instid1(VALU_DEP_2)
	v_add_co_u32 v36, vcc_lo, v31, v66
	v_add_co_ci_u32_e32 v38, vcc_lo, 0, v32, vcc_lo
	s_delay_alu instid0(VALU_DEP_2) | instskip(SKIP_1) | instid1(VALU_DEP_3)
	v_mul_lo_u32 v44, s21, v36
	v_mad_u64_u32 v[31:32], null, s20, v36, 0
	v_mul_lo_u32 v48, s20, v38
	s_delay_alu instid0(VALU_DEP_2) | instskip(NEXT) | instid1(VALU_DEP_2)
	v_sub_co_u32 v31, vcc_lo, v40, v31
	v_add3_u32 v32, v32, v48, v44
	s_delay_alu instid0(VALU_DEP_1) | instskip(NEXT) | instid1(VALU_DEP_1)
	v_sub_nc_u32_e32 v44, v42, v32
	v_subrev_co_ci_u32_e64 v40, s15, s21, v44, vcc_lo
	v_add_co_u32 v44, s15, v36, 2
	s_delay_alu instid0(VALU_DEP_1) | instskip(SKIP_3) | instid1(VALU_DEP_3)
	v_add_co_ci_u32_e64 v48, s15, 0, v38, s15
	v_sub_co_u32 v50, s15, v31, s20
	v_sub_co_ci_u32_e32 v32, vcc_lo, v42, v32, vcc_lo
	v_subrev_co_ci_u32_e64 v40, s15, 0, v40, s15
	v_cmp_le_u32_e32 vcc_lo, s20, v50
	s_delay_alu instid0(VALU_DEP_3) | instskip(SKIP_1) | instid1(VALU_DEP_4)
	v_cmp_eq_u32_e64 s15, s21, v32
	v_cndmask_b32_e64 v42, 0, -1, vcc_lo
	v_cmp_le_u32_e32 vcc_lo, s21, v40
	v_cndmask_b32_e64 v50, 0, -1, vcc_lo
	v_cmp_le_u32_e32 vcc_lo, s20, v31
	;; [unrolled: 2-line block ×3, first 2 shown]
	v_cndmask_b32_e64 v52, 0, -1, vcc_lo
	v_cmp_eq_u32_e32 vcc_lo, s21, v40
	s_delay_alu instid0(VALU_DEP_2) | instskip(SKIP_3) | instid1(VALU_DEP_3)
	v_cndmask_b32_e64 v31, v52, v31, s15
	v_cndmask_b32_e32 v40, v50, v42, vcc_lo
	v_add_co_u32 v42, vcc_lo, v36, 1
	v_add_co_ci_u32_e32 v50, vcc_lo, 0, v38, vcc_lo
	v_cmp_ne_u32_e32 vcc_lo, 0, v40
	s_delay_alu instid0(VALU_DEP_2) | instskip(NEXT) | instid1(VALU_DEP_4)
	v_cndmask_b32_e32 v32, v50, v48, vcc_lo
	v_cndmask_b32_e32 v40, v42, v44, vcc_lo
	v_cmp_ne_u32_e32 vcc_lo, 0, v31
	v_xor_b32_e32 v42, s16, v46
	s_delay_alu instid0(VALU_DEP_4) | instskip(NEXT) | instid1(VALU_DEP_4)
	v_cndmask_b32_e32 v31, v38, v32, vcc_lo
	v_cndmask_b32_e32 v32, v36, v40, vcc_lo
	s_delay_alu instid0(VALU_DEP_2) | instskip(NEXT) | instid1(VALU_DEP_2)
	v_xor_b32_e32 v36, v31, v42
	v_xor_b32_e32 v32, v32, v42
	s_delay_alu instid0(VALU_DEP_1) | instskip(NEXT) | instid1(VALU_DEP_3)
	v_sub_co_u32 v31, vcc_lo, v32, v42
	v_sub_co_ci_u32_e32 v32, vcc_lo, v36, v42, vcc_lo
.LBB1149_239:
	s_and_not1_saveexec_b32 s15, s23
	s_cbranch_execz .LBB1149_241
; %bb.240:
	v_cvt_f32_u32_e32 v31, s44
	s_sub_i32 s16, 0, s44
	s_delay_alu instid0(VALU_DEP_1) | instskip(SKIP_2) | instid1(VALU_DEP_1)
	v_rcp_iflag_f32_e32 v31, v31
	s_waitcnt_depctr 0xfff
	v_mul_f32_e32 v31, 0x4f7ffffe, v31
	v_cvt_u32_f32_e32 v31, v31
	s_delay_alu instid0(VALU_DEP_1) | instskip(NEXT) | instid1(VALU_DEP_1)
	v_mul_lo_u32 v32, s16, v31
	v_mul_hi_u32 v32, v31, v32
	s_delay_alu instid0(VALU_DEP_1) | instskip(NEXT) | instid1(VALU_DEP_1)
	v_add_nc_u32_e32 v31, v31, v32
	v_mul_hi_u32 v31, v33, v31
	s_delay_alu instid0(VALU_DEP_1) | instskip(SKIP_1) | instid1(VALU_DEP_2)
	v_mul_lo_u32 v32, v31, s44
	v_add_nc_u32_e32 v36, 1, v31
	v_sub_nc_u32_e32 v32, v33, v32
	s_delay_alu instid0(VALU_DEP_1) | instskip(SKIP_1) | instid1(VALU_DEP_2)
	v_subrev_nc_u32_e32 v38, s44, v32
	v_cmp_le_u32_e32 vcc_lo, s44, v32
	v_dual_cndmask_b32 v32, v32, v38 :: v_dual_cndmask_b32 v31, v31, v36
	s_delay_alu instid0(VALU_DEP_1) | instskip(SKIP_1) | instid1(VALU_DEP_3)
	v_cmp_le_u32_e32 vcc_lo, s44, v32
	v_mov_b32_e32 v32, 0
	v_add_nc_u32_e32 v36, 1, v31
	s_delay_alu instid0(VALU_DEP_1)
	v_cndmask_b32_e32 v31, v31, v36, vcc_lo
.LBB1149_241:
	s_or_b32 exec_lo, exec_lo, s15
	s_delay_alu instid0(VALU_DEP_1) | instskip(NEXT) | instid1(VALU_DEP_2)
	v_mul_lo_u32 v36, v32, s44
	v_mul_lo_u32 v38, v31, s45
	v_mad_u64_u32 v[64:65], null, v31, s44, 0
	s_delay_alu instid0(VALU_DEP_1) | instskip(NEXT) | instid1(VALU_DEP_2)
	v_add3_u32 v36, v65, v38, v36
	v_sub_co_u32 v33, vcc_lo, v33, v64
	s_delay_alu instid0(VALU_DEP_2) | instskip(NEXT) | instid1(VALU_DEP_2)
	v_sub_co_ci_u32_e32 v34, vcc_lo, v34, v36, vcc_lo
	v_add_co_u32 v31, vcc_lo, v31, v33
	s_delay_alu instid0(VALU_DEP_2)
	v_add_co_ci_u32_e32 v32, vcc_lo, v32, v34, vcc_lo
	s_or_b32 exec_lo, exec_lo, s22
                                        ; implicit-def: $vgpr33_vgpr34
	s_and_saveexec_b32 s15, s14
	s_cbranch_execz .LBB1149_220
.LBB1149_242:
	v_add_co_u32 v35, s14, s30, v35
	s_delay_alu instid0(VALU_DEP_1) | instskip(SKIP_1) | instid1(VALU_DEP_2)
	v_add_co_ci_u32_e64 v36, null, s31, 0, s14
	v_mov_b32_e32 v33, 0
	v_or_b32_e32 v34, s45, v36
	s_delay_alu instid0(VALU_DEP_1) | instskip(SKIP_1) | instid1(SALU_CYCLE_1)
	v_cmp_ne_u64_e32 vcc_lo, 0, v[33:34]
                                        ; implicit-def: $vgpr33_vgpr34
	s_and_saveexec_b32 s14, vcc_lo
	s_xor_b32 s22, exec_lo, s14
	s_cbranch_execz .LBB1149_244
; %bb.243:
	s_ashr_i32 s16, s45, 31
	s_delay_alu instid0(SALU_CYCLE_1) | instskip(SKIP_2) | instid1(SALU_CYCLE_1)
	s_add_u32 s20, s44, s16
	s_mov_b32 s17, s16
	s_addc_u32 s21, s45, s16
	s_xor_b64 s[20:21], s[20:21], s[16:17]
	s_delay_alu instid0(SALU_CYCLE_1) | instskip(SKIP_3) | instid1(VALU_DEP_1)
	v_cvt_f32_u32_e32 v33, s20
	v_cvt_f32_u32_e32 v34, s21
	s_sub_u32 s14, 0, s20
	s_subb_u32 s17, 0, s21
	v_fmamk_f32 v33, v34, 0x4f800000, v33
	s_delay_alu instid0(VALU_DEP_1) | instskip(SKIP_2) | instid1(VALU_DEP_1)
	v_rcp_f32_e32 v33, v33
	s_waitcnt_depctr 0xfff
	v_mul_f32_e32 v33, 0x5f7ffffc, v33
	v_mul_f32_e32 v34, 0x2f800000, v33
	s_delay_alu instid0(VALU_DEP_1) | instskip(NEXT) | instid1(VALU_DEP_1)
	v_trunc_f32_e32 v34, v34
	v_fmamk_f32 v33, v34, 0xcf800000, v33
	v_cvt_u32_f32_e32 v34, v34
	s_delay_alu instid0(VALU_DEP_2) | instskip(NEXT) | instid1(VALU_DEP_2)
	v_cvt_u32_f32_e32 v33, v33
	v_mul_lo_u32 v38, s14, v34
	s_delay_alu instid0(VALU_DEP_2) | instskip(SKIP_1) | instid1(VALU_DEP_2)
	v_mul_hi_u32 v40, s14, v33
	v_mul_lo_u32 v42, s17, v33
	v_add_nc_u32_e32 v38, v40, v38
	v_mul_lo_u32 v40, s14, v33
	s_delay_alu instid0(VALU_DEP_2) | instskip(NEXT) | instid1(VALU_DEP_2)
	v_add_nc_u32_e32 v38, v38, v42
	v_mul_hi_u32 v42, v33, v40
	s_delay_alu instid0(VALU_DEP_2)
	v_mul_lo_u32 v44, v33, v38
	v_mul_hi_u32 v46, v33, v38
	v_mul_hi_u32 v48, v34, v40
	v_mul_lo_u32 v40, v34, v40
	v_mul_hi_u32 v50, v34, v38
	v_mul_lo_u32 v38, v34, v38
	v_add_co_u32 v42, vcc_lo, v42, v44
	v_add_co_ci_u32_e32 v44, vcc_lo, 0, v46, vcc_lo
	s_delay_alu instid0(VALU_DEP_2) | instskip(NEXT) | instid1(VALU_DEP_2)
	v_add_co_u32 v40, vcc_lo, v42, v40
	v_add_co_ci_u32_e32 v40, vcc_lo, v44, v48, vcc_lo
	v_add_co_ci_u32_e32 v42, vcc_lo, 0, v50, vcc_lo
	v_ashrrev_i32_e32 v48, 31, v36
	s_delay_alu instid0(VALU_DEP_3) | instskip(NEXT) | instid1(VALU_DEP_3)
	v_add_co_u32 v38, vcc_lo, v40, v38
	v_add_co_ci_u32_e32 v40, vcc_lo, 0, v42, vcc_lo
	s_delay_alu instid0(VALU_DEP_2) | instskip(NEXT) | instid1(VALU_DEP_2)
	v_add_co_u32 v33, vcc_lo, v33, v38
	v_add_co_ci_u32_e32 v34, vcc_lo, v34, v40, vcc_lo
	s_delay_alu instid0(VALU_DEP_2) | instskip(SKIP_1) | instid1(VALU_DEP_3)
	v_mul_hi_u32 v38, s14, v33
	v_mul_lo_u32 v42, s17, v33
	v_mul_lo_u32 v40, s14, v34
	s_delay_alu instid0(VALU_DEP_1) | instskip(SKIP_1) | instid1(VALU_DEP_2)
	v_add_nc_u32_e32 v38, v38, v40
	v_mul_lo_u32 v40, s14, v33
	v_add_nc_u32_e32 v38, v38, v42
	s_delay_alu instid0(VALU_DEP_2) | instskip(NEXT) | instid1(VALU_DEP_2)
	v_mul_hi_u32 v42, v33, v40
	v_mul_lo_u32 v44, v33, v38
	v_mul_hi_u32 v46, v33, v38
	v_mul_hi_u32 v50, v34, v40
	v_mul_lo_u32 v40, v34, v40
	v_mul_hi_u32 v52, v34, v38
	v_mul_lo_u32 v38, v34, v38
	v_add_co_u32 v42, vcc_lo, v42, v44
	v_add_co_ci_u32_e32 v44, vcc_lo, 0, v46, vcc_lo
	s_delay_alu instid0(VALU_DEP_2) | instskip(NEXT) | instid1(VALU_DEP_2)
	v_add_co_u32 v40, vcc_lo, v42, v40
	v_add_co_ci_u32_e32 v40, vcc_lo, v44, v50, vcc_lo
	v_add_co_ci_u32_e32 v42, vcc_lo, 0, v52, vcc_lo
	v_add_co_u32 v44, vcc_lo, v35, v48
	v_add_co_ci_u32_e32 v46, vcc_lo, v36, v48, vcc_lo
	s_delay_alu instid0(VALU_DEP_4) | instskip(NEXT) | instid1(VALU_DEP_4)
	v_add_co_u32 v38, vcc_lo, v40, v38
	v_add_co_ci_u32_e32 v40, vcc_lo, 0, v42, vcc_lo
	s_delay_alu instid0(VALU_DEP_4) | instskip(NEXT) | instid1(VALU_DEP_3)
	v_xor_b32_e32 v42, v44, v48
	v_add_co_u32 v38, vcc_lo, v33, v38
	s_delay_alu instid0(VALU_DEP_3) | instskip(SKIP_1) | instid1(VALU_DEP_3)
	v_add_co_ci_u32_e32 v40, vcc_lo, v34, v40, vcc_lo
	v_xor_b32_e32 v44, v46, v48
	v_mul_hi_u32 v46, v42, v38
	s_delay_alu instid0(VALU_DEP_3) | instskip(NEXT) | instid1(VALU_DEP_3)
	v_mad_u64_u32 v[33:34], null, v42, v40, 0
	v_mad_u64_u32 v[64:65], null, v44, v38, 0
	v_mad_u64_u32 v[66:67], null, v44, v40, 0
	s_delay_alu instid0(VALU_DEP_3) | instskip(NEXT) | instid1(VALU_DEP_4)
	v_add_co_u32 v33, vcc_lo, v46, v33
	v_add_co_ci_u32_e32 v34, vcc_lo, 0, v34, vcc_lo
	s_delay_alu instid0(VALU_DEP_2) | instskip(NEXT) | instid1(VALU_DEP_2)
	v_add_co_u32 v33, vcc_lo, v33, v64
	v_add_co_ci_u32_e32 v33, vcc_lo, v34, v65, vcc_lo
	v_add_co_ci_u32_e32 v34, vcc_lo, 0, v67, vcc_lo
	s_delay_alu instid0(VALU_DEP_2) | instskip(NEXT) | instid1(VALU_DEP_2)
	v_add_co_u32 v38, vcc_lo, v33, v66
	v_add_co_ci_u32_e32 v40, vcc_lo, 0, v34, vcc_lo
	s_delay_alu instid0(VALU_DEP_2) | instskip(SKIP_1) | instid1(VALU_DEP_3)
	v_mul_lo_u32 v46, s21, v38
	v_mad_u64_u32 v[33:34], null, s20, v38, 0
	v_mul_lo_u32 v50, s20, v40
	s_delay_alu instid0(VALU_DEP_2) | instskip(NEXT) | instid1(VALU_DEP_2)
	v_sub_co_u32 v33, vcc_lo, v42, v33
	v_add3_u32 v34, v34, v50, v46
	s_delay_alu instid0(VALU_DEP_1) | instskip(NEXT) | instid1(VALU_DEP_1)
	v_sub_nc_u32_e32 v46, v44, v34
	v_subrev_co_ci_u32_e64 v42, s14, s21, v46, vcc_lo
	v_add_co_u32 v46, s14, v38, 2
	s_delay_alu instid0(VALU_DEP_1) | instskip(SKIP_3) | instid1(VALU_DEP_3)
	v_add_co_ci_u32_e64 v50, s14, 0, v40, s14
	v_sub_co_u32 v52, s14, v33, s20
	v_sub_co_ci_u32_e32 v34, vcc_lo, v44, v34, vcc_lo
	v_subrev_co_ci_u32_e64 v42, s14, 0, v42, s14
	v_cmp_le_u32_e32 vcc_lo, s20, v52
	s_delay_alu instid0(VALU_DEP_3) | instskip(SKIP_1) | instid1(VALU_DEP_4)
	v_cmp_eq_u32_e64 s14, s21, v34
	v_cndmask_b32_e64 v44, 0, -1, vcc_lo
	v_cmp_le_u32_e32 vcc_lo, s21, v42
	v_cndmask_b32_e64 v52, 0, -1, vcc_lo
	v_cmp_le_u32_e32 vcc_lo, s20, v33
	;; [unrolled: 2-line block ×3, first 2 shown]
	v_cndmask_b32_e64 v54, 0, -1, vcc_lo
	v_cmp_eq_u32_e32 vcc_lo, s21, v42
	s_delay_alu instid0(VALU_DEP_2) | instskip(SKIP_3) | instid1(VALU_DEP_3)
	v_cndmask_b32_e64 v33, v54, v33, s14
	v_cndmask_b32_e32 v42, v52, v44, vcc_lo
	v_add_co_u32 v44, vcc_lo, v38, 1
	v_add_co_ci_u32_e32 v52, vcc_lo, 0, v40, vcc_lo
	v_cmp_ne_u32_e32 vcc_lo, 0, v42
	s_delay_alu instid0(VALU_DEP_2) | instskip(NEXT) | instid1(VALU_DEP_4)
	v_cndmask_b32_e32 v34, v52, v50, vcc_lo
	v_cndmask_b32_e32 v42, v44, v46, vcc_lo
	v_cmp_ne_u32_e32 vcc_lo, 0, v33
	v_xor_b32_e32 v44, s16, v48
	s_delay_alu instid0(VALU_DEP_4) | instskip(NEXT) | instid1(VALU_DEP_4)
	v_cndmask_b32_e32 v33, v40, v34, vcc_lo
	v_cndmask_b32_e32 v34, v38, v42, vcc_lo
	s_delay_alu instid0(VALU_DEP_2) | instskip(NEXT) | instid1(VALU_DEP_2)
	v_xor_b32_e32 v38, v33, v44
	v_xor_b32_e32 v34, v34, v44
	s_delay_alu instid0(VALU_DEP_1) | instskip(NEXT) | instid1(VALU_DEP_3)
	v_sub_co_u32 v33, vcc_lo, v34, v44
	v_sub_co_ci_u32_e32 v34, vcc_lo, v38, v44, vcc_lo
.LBB1149_244:
	s_and_not1_saveexec_b32 s14, s22
	s_cbranch_execz .LBB1149_246
; %bb.245:
	v_cvt_f32_u32_e32 v33, s44
	s_sub_i32 s16, 0, s44
	s_delay_alu instid0(VALU_DEP_1) | instskip(SKIP_2) | instid1(VALU_DEP_1)
	v_rcp_iflag_f32_e32 v33, v33
	s_waitcnt_depctr 0xfff
	v_mul_f32_e32 v33, 0x4f7ffffe, v33
	v_cvt_u32_f32_e32 v33, v33
	s_delay_alu instid0(VALU_DEP_1) | instskip(NEXT) | instid1(VALU_DEP_1)
	v_mul_lo_u32 v34, s16, v33
	v_mul_hi_u32 v34, v33, v34
	s_delay_alu instid0(VALU_DEP_1) | instskip(NEXT) | instid1(VALU_DEP_1)
	v_add_nc_u32_e32 v33, v33, v34
	v_mul_hi_u32 v33, v35, v33
	s_delay_alu instid0(VALU_DEP_1) | instskip(SKIP_1) | instid1(VALU_DEP_2)
	v_mul_lo_u32 v34, v33, s44
	v_add_nc_u32_e32 v38, 1, v33
	v_sub_nc_u32_e32 v34, v35, v34
	s_delay_alu instid0(VALU_DEP_1) | instskip(SKIP_1) | instid1(VALU_DEP_2)
	v_subrev_nc_u32_e32 v40, s44, v34
	v_cmp_le_u32_e32 vcc_lo, s44, v34
	v_dual_cndmask_b32 v34, v34, v40 :: v_dual_cndmask_b32 v33, v33, v38
	s_delay_alu instid0(VALU_DEP_1) | instskip(SKIP_1) | instid1(VALU_DEP_3)
	v_cmp_le_u32_e32 vcc_lo, s44, v34
	v_mov_b32_e32 v34, 0
	v_add_nc_u32_e32 v38, 1, v33
	s_delay_alu instid0(VALU_DEP_1)
	v_cndmask_b32_e32 v33, v33, v38, vcc_lo
.LBB1149_246:
	s_or_b32 exec_lo, exec_lo, s14
	s_delay_alu instid0(VALU_DEP_1) | instskip(NEXT) | instid1(VALU_DEP_2)
	v_mul_lo_u32 v38, v34, s44
	v_mul_lo_u32 v40, v33, s45
	v_mad_u64_u32 v[64:65], null, v33, s44, 0
	s_delay_alu instid0(VALU_DEP_1) | instskip(NEXT) | instid1(VALU_DEP_2)
	v_add3_u32 v38, v65, v40, v38
	v_sub_co_u32 v35, vcc_lo, v35, v64
	s_delay_alu instid0(VALU_DEP_2) | instskip(NEXT) | instid1(VALU_DEP_2)
	v_sub_co_ci_u32_e32 v36, vcc_lo, v36, v38, vcc_lo
	v_add_co_u32 v33, vcc_lo, v33, v35
	s_delay_alu instid0(VALU_DEP_2)
	v_add_co_ci_u32_e32 v34, vcc_lo, v34, v36, vcc_lo
	s_or_b32 exec_lo, exec_lo, s15
                                        ; implicit-def: $vgpr35_vgpr36
	s_and_saveexec_b32 s20, s13
	s_cbranch_execz .LBB1149_221
.LBB1149_247:
	v_add_co_u32 v37, s13, s30, v37
	s_delay_alu instid0(VALU_DEP_1) | instskip(SKIP_1) | instid1(VALU_DEP_2)
	v_add_co_ci_u32_e64 v38, null, s31, 0, s13
	v_mov_b32_e32 v35, 0
	v_or_b32_e32 v36, s45, v38
	s_delay_alu instid0(VALU_DEP_1) | instskip(SKIP_1) | instid1(SALU_CYCLE_1)
	v_cmp_ne_u64_e32 vcc_lo, 0, v[35:36]
                                        ; implicit-def: $vgpr35_vgpr36
	s_and_saveexec_b32 s13, vcc_lo
	s_xor_b32 s21, exec_lo, s13
	s_cbranch_execz .LBB1149_249
; %bb.248:
	s_ashr_i32 s14, s45, 31
	s_delay_alu instid0(SALU_CYCLE_1) | instskip(SKIP_2) | instid1(SALU_CYCLE_1)
	s_add_u32 s16, s44, s14
	s_mov_b32 s15, s14
	s_addc_u32 s17, s45, s14
	s_xor_b64 s[16:17], s[16:17], s[14:15]
	s_delay_alu instid0(SALU_CYCLE_1) | instskip(SKIP_3) | instid1(VALU_DEP_1)
	v_cvt_f32_u32_e32 v35, s16
	v_cvt_f32_u32_e32 v36, s17
	s_sub_u32 s13, 0, s16
	s_subb_u32 s15, 0, s17
	v_fmamk_f32 v35, v36, 0x4f800000, v35
	s_delay_alu instid0(VALU_DEP_1) | instskip(SKIP_2) | instid1(VALU_DEP_1)
	v_rcp_f32_e32 v35, v35
	s_waitcnt_depctr 0xfff
	v_mul_f32_e32 v35, 0x5f7ffffc, v35
	v_mul_f32_e32 v36, 0x2f800000, v35
	s_delay_alu instid0(VALU_DEP_1) | instskip(NEXT) | instid1(VALU_DEP_1)
	v_trunc_f32_e32 v36, v36
	v_fmamk_f32 v35, v36, 0xcf800000, v35
	v_cvt_u32_f32_e32 v36, v36
	s_delay_alu instid0(VALU_DEP_2) | instskip(NEXT) | instid1(VALU_DEP_2)
	v_cvt_u32_f32_e32 v35, v35
	v_mul_lo_u32 v40, s13, v36
	s_delay_alu instid0(VALU_DEP_2) | instskip(SKIP_1) | instid1(VALU_DEP_2)
	v_mul_hi_u32 v42, s13, v35
	v_mul_lo_u32 v44, s15, v35
	v_add_nc_u32_e32 v40, v42, v40
	v_mul_lo_u32 v42, s13, v35
	s_delay_alu instid0(VALU_DEP_2) | instskip(NEXT) | instid1(VALU_DEP_2)
	v_add_nc_u32_e32 v40, v40, v44
	v_mul_hi_u32 v44, v35, v42
	s_delay_alu instid0(VALU_DEP_2)
	v_mul_lo_u32 v46, v35, v40
	v_mul_hi_u32 v48, v35, v40
	v_mul_hi_u32 v50, v36, v42
	v_mul_lo_u32 v42, v36, v42
	v_mul_hi_u32 v52, v36, v40
	v_mul_lo_u32 v40, v36, v40
	v_add_co_u32 v44, vcc_lo, v44, v46
	v_add_co_ci_u32_e32 v46, vcc_lo, 0, v48, vcc_lo
	s_delay_alu instid0(VALU_DEP_2) | instskip(NEXT) | instid1(VALU_DEP_2)
	v_add_co_u32 v42, vcc_lo, v44, v42
	v_add_co_ci_u32_e32 v42, vcc_lo, v46, v50, vcc_lo
	v_add_co_ci_u32_e32 v44, vcc_lo, 0, v52, vcc_lo
	v_ashrrev_i32_e32 v50, 31, v38
	s_delay_alu instid0(VALU_DEP_3) | instskip(NEXT) | instid1(VALU_DEP_3)
	v_add_co_u32 v40, vcc_lo, v42, v40
	v_add_co_ci_u32_e32 v42, vcc_lo, 0, v44, vcc_lo
	s_delay_alu instid0(VALU_DEP_2) | instskip(NEXT) | instid1(VALU_DEP_2)
	v_add_co_u32 v35, vcc_lo, v35, v40
	v_add_co_ci_u32_e32 v36, vcc_lo, v36, v42, vcc_lo
	s_delay_alu instid0(VALU_DEP_2) | instskip(SKIP_1) | instid1(VALU_DEP_3)
	v_mul_hi_u32 v40, s13, v35
	v_mul_lo_u32 v44, s15, v35
	v_mul_lo_u32 v42, s13, v36
	s_delay_alu instid0(VALU_DEP_1) | instskip(SKIP_1) | instid1(VALU_DEP_2)
	v_add_nc_u32_e32 v40, v40, v42
	v_mul_lo_u32 v42, s13, v35
	v_add_nc_u32_e32 v40, v40, v44
	s_delay_alu instid0(VALU_DEP_2) | instskip(NEXT) | instid1(VALU_DEP_2)
	v_mul_hi_u32 v44, v35, v42
	v_mul_lo_u32 v46, v35, v40
	v_mul_hi_u32 v48, v35, v40
	v_mul_hi_u32 v52, v36, v42
	v_mul_lo_u32 v42, v36, v42
	v_mul_hi_u32 v54, v36, v40
	v_mul_lo_u32 v40, v36, v40
	v_add_co_u32 v44, vcc_lo, v44, v46
	v_add_co_ci_u32_e32 v46, vcc_lo, 0, v48, vcc_lo
	s_delay_alu instid0(VALU_DEP_2) | instskip(NEXT) | instid1(VALU_DEP_2)
	v_add_co_u32 v42, vcc_lo, v44, v42
	v_add_co_ci_u32_e32 v42, vcc_lo, v46, v52, vcc_lo
	v_add_co_ci_u32_e32 v44, vcc_lo, 0, v54, vcc_lo
	v_add_co_u32 v46, vcc_lo, v37, v50
	v_add_co_ci_u32_e32 v48, vcc_lo, v38, v50, vcc_lo
	s_delay_alu instid0(VALU_DEP_4) | instskip(NEXT) | instid1(VALU_DEP_4)
	v_add_co_u32 v40, vcc_lo, v42, v40
	v_add_co_ci_u32_e32 v42, vcc_lo, 0, v44, vcc_lo
	s_delay_alu instid0(VALU_DEP_4) | instskip(NEXT) | instid1(VALU_DEP_3)
	v_xor_b32_e32 v44, v46, v50
	v_add_co_u32 v40, vcc_lo, v35, v40
	s_delay_alu instid0(VALU_DEP_3) | instskip(SKIP_1) | instid1(VALU_DEP_3)
	v_add_co_ci_u32_e32 v42, vcc_lo, v36, v42, vcc_lo
	v_xor_b32_e32 v46, v48, v50
	v_mul_hi_u32 v48, v44, v40
	s_delay_alu instid0(VALU_DEP_3) | instskip(NEXT) | instid1(VALU_DEP_3)
	v_mad_u64_u32 v[35:36], null, v44, v42, 0
	v_mad_u64_u32 v[64:65], null, v46, v40, 0
	;; [unrolled: 1-line block ×3, first 2 shown]
	s_delay_alu instid0(VALU_DEP_3) | instskip(NEXT) | instid1(VALU_DEP_4)
	v_add_co_u32 v35, vcc_lo, v48, v35
	v_add_co_ci_u32_e32 v36, vcc_lo, 0, v36, vcc_lo
	s_delay_alu instid0(VALU_DEP_2) | instskip(NEXT) | instid1(VALU_DEP_2)
	v_add_co_u32 v35, vcc_lo, v35, v64
	v_add_co_ci_u32_e32 v35, vcc_lo, v36, v65, vcc_lo
	v_add_co_ci_u32_e32 v36, vcc_lo, 0, v67, vcc_lo
	s_delay_alu instid0(VALU_DEP_2) | instskip(NEXT) | instid1(VALU_DEP_2)
	v_add_co_u32 v40, vcc_lo, v35, v66
	v_add_co_ci_u32_e32 v42, vcc_lo, 0, v36, vcc_lo
	s_delay_alu instid0(VALU_DEP_2) | instskip(SKIP_1) | instid1(VALU_DEP_3)
	v_mul_lo_u32 v48, s17, v40
	v_mad_u64_u32 v[35:36], null, s16, v40, 0
	v_mul_lo_u32 v52, s16, v42
	s_delay_alu instid0(VALU_DEP_2) | instskip(NEXT) | instid1(VALU_DEP_2)
	v_sub_co_u32 v35, vcc_lo, v44, v35
	v_add3_u32 v36, v36, v52, v48
	s_delay_alu instid0(VALU_DEP_1) | instskip(NEXT) | instid1(VALU_DEP_1)
	v_sub_nc_u32_e32 v48, v46, v36
	v_subrev_co_ci_u32_e64 v44, s13, s17, v48, vcc_lo
	v_add_co_u32 v48, s13, v40, 2
	s_delay_alu instid0(VALU_DEP_1) | instskip(SKIP_3) | instid1(VALU_DEP_3)
	v_add_co_ci_u32_e64 v52, s13, 0, v42, s13
	v_sub_co_u32 v54, s13, v35, s16
	v_sub_co_ci_u32_e32 v36, vcc_lo, v46, v36, vcc_lo
	v_subrev_co_ci_u32_e64 v44, s13, 0, v44, s13
	v_cmp_le_u32_e32 vcc_lo, s16, v54
	s_delay_alu instid0(VALU_DEP_3) | instskip(SKIP_1) | instid1(VALU_DEP_4)
	v_cmp_eq_u32_e64 s13, s17, v36
	v_cndmask_b32_e64 v46, 0, -1, vcc_lo
	v_cmp_le_u32_e32 vcc_lo, s17, v44
	v_cndmask_b32_e64 v54, 0, -1, vcc_lo
	v_cmp_le_u32_e32 vcc_lo, s16, v35
	v_cndmask_b32_e64 v35, 0, -1, vcc_lo
	v_cmp_le_u32_e32 vcc_lo, s17, v36
	v_cndmask_b32_e64 v56, 0, -1, vcc_lo
	v_cmp_eq_u32_e32 vcc_lo, s17, v44
	s_delay_alu instid0(VALU_DEP_2) | instskip(SKIP_3) | instid1(VALU_DEP_3)
	v_cndmask_b32_e64 v35, v56, v35, s13
	v_cndmask_b32_e32 v44, v54, v46, vcc_lo
	v_add_co_u32 v46, vcc_lo, v40, 1
	v_add_co_ci_u32_e32 v54, vcc_lo, 0, v42, vcc_lo
	v_cmp_ne_u32_e32 vcc_lo, 0, v44
	s_delay_alu instid0(VALU_DEP_2) | instskip(NEXT) | instid1(VALU_DEP_4)
	v_cndmask_b32_e32 v36, v54, v52, vcc_lo
	v_cndmask_b32_e32 v44, v46, v48, vcc_lo
	v_cmp_ne_u32_e32 vcc_lo, 0, v35
	v_xor_b32_e32 v46, s14, v50
	s_delay_alu instid0(VALU_DEP_4) | instskip(NEXT) | instid1(VALU_DEP_4)
	v_cndmask_b32_e32 v35, v42, v36, vcc_lo
	v_cndmask_b32_e32 v36, v40, v44, vcc_lo
	s_delay_alu instid0(VALU_DEP_2) | instskip(NEXT) | instid1(VALU_DEP_2)
	v_xor_b32_e32 v40, v35, v46
	v_xor_b32_e32 v36, v36, v46
	s_delay_alu instid0(VALU_DEP_1) | instskip(NEXT) | instid1(VALU_DEP_3)
	v_sub_co_u32 v35, vcc_lo, v36, v46
	v_sub_co_ci_u32_e32 v36, vcc_lo, v40, v46, vcc_lo
.LBB1149_249:
	s_and_not1_saveexec_b32 s13, s21
	s_cbranch_execz .LBB1149_251
; %bb.250:
	v_cvt_f32_u32_e32 v35, s44
	s_sub_i32 s14, 0, s44
	s_delay_alu instid0(VALU_DEP_1) | instskip(SKIP_2) | instid1(VALU_DEP_1)
	v_rcp_iflag_f32_e32 v35, v35
	s_waitcnt_depctr 0xfff
	v_mul_f32_e32 v35, 0x4f7ffffe, v35
	v_cvt_u32_f32_e32 v35, v35
	s_delay_alu instid0(VALU_DEP_1) | instskip(NEXT) | instid1(VALU_DEP_1)
	v_mul_lo_u32 v36, s14, v35
	v_mul_hi_u32 v36, v35, v36
	s_delay_alu instid0(VALU_DEP_1) | instskip(NEXT) | instid1(VALU_DEP_1)
	v_add_nc_u32_e32 v35, v35, v36
	v_mul_hi_u32 v35, v37, v35
	s_delay_alu instid0(VALU_DEP_1) | instskip(SKIP_1) | instid1(VALU_DEP_2)
	v_mul_lo_u32 v36, v35, s44
	v_add_nc_u32_e32 v40, 1, v35
	v_sub_nc_u32_e32 v36, v37, v36
	s_delay_alu instid0(VALU_DEP_1) | instskip(SKIP_1) | instid1(VALU_DEP_2)
	v_subrev_nc_u32_e32 v42, s44, v36
	v_cmp_le_u32_e32 vcc_lo, s44, v36
	v_dual_cndmask_b32 v36, v36, v42 :: v_dual_cndmask_b32 v35, v35, v40
	s_delay_alu instid0(VALU_DEP_1) | instskip(SKIP_1) | instid1(VALU_DEP_3)
	v_cmp_le_u32_e32 vcc_lo, s44, v36
	v_mov_b32_e32 v36, 0
	v_add_nc_u32_e32 v40, 1, v35
	s_delay_alu instid0(VALU_DEP_1)
	v_cndmask_b32_e32 v35, v35, v40, vcc_lo
.LBB1149_251:
	s_or_b32 exec_lo, exec_lo, s13
	s_delay_alu instid0(VALU_DEP_1) | instskip(NEXT) | instid1(VALU_DEP_2)
	v_mul_lo_u32 v40, v36, s44
	v_mul_lo_u32 v42, v35, s45
	v_mad_u64_u32 v[64:65], null, v35, s44, 0
	s_delay_alu instid0(VALU_DEP_1) | instskip(NEXT) | instid1(VALU_DEP_2)
	v_add3_u32 v40, v65, v42, v40
	v_sub_co_u32 v37, vcc_lo, v37, v64
	s_delay_alu instid0(VALU_DEP_2) | instskip(NEXT) | instid1(VALU_DEP_2)
	v_sub_co_ci_u32_e32 v38, vcc_lo, v38, v40, vcc_lo
	v_add_co_u32 v35, vcc_lo, v35, v37
	s_delay_alu instid0(VALU_DEP_2)
	v_add_co_ci_u32_e32 v36, vcc_lo, v36, v38, vcc_lo
	s_or_b32 exec_lo, exec_lo, s20
                                        ; implicit-def: $vgpr37_vgpr38
	s_and_saveexec_b32 s13, s12
	s_cbranch_execz .LBB1149_222
.LBB1149_252:
	v_add_co_u32 v39, s12, s30, v39
	s_delay_alu instid0(VALU_DEP_1) | instskip(SKIP_1) | instid1(VALU_DEP_2)
	v_add_co_ci_u32_e64 v40, null, s31, 0, s12
	v_mov_b32_e32 v37, 0
	v_or_b32_e32 v38, s45, v40
	s_delay_alu instid0(VALU_DEP_1) | instskip(SKIP_1) | instid1(SALU_CYCLE_1)
	v_cmp_ne_u64_e32 vcc_lo, 0, v[37:38]
                                        ; implicit-def: $vgpr37_vgpr38
	s_and_saveexec_b32 s12, vcc_lo
	s_xor_b32 s20, exec_lo, s12
	s_cbranch_execz .LBB1149_254
; %bb.253:
	s_ashr_i32 s14, s45, 31
	s_delay_alu instid0(SALU_CYCLE_1) | instskip(SKIP_2) | instid1(SALU_CYCLE_1)
	s_add_u32 s16, s44, s14
	s_mov_b32 s15, s14
	s_addc_u32 s17, s45, s14
	s_xor_b64 s[16:17], s[16:17], s[14:15]
	s_delay_alu instid0(SALU_CYCLE_1) | instskip(SKIP_3) | instid1(VALU_DEP_1)
	v_cvt_f32_u32_e32 v37, s16
	v_cvt_f32_u32_e32 v38, s17
	s_sub_u32 s12, 0, s16
	s_subb_u32 s15, 0, s17
	v_fmamk_f32 v37, v38, 0x4f800000, v37
	s_delay_alu instid0(VALU_DEP_1) | instskip(SKIP_2) | instid1(VALU_DEP_1)
	v_rcp_f32_e32 v37, v37
	s_waitcnt_depctr 0xfff
	v_mul_f32_e32 v37, 0x5f7ffffc, v37
	v_mul_f32_e32 v38, 0x2f800000, v37
	s_delay_alu instid0(VALU_DEP_1) | instskip(NEXT) | instid1(VALU_DEP_1)
	v_trunc_f32_e32 v38, v38
	v_fmamk_f32 v37, v38, 0xcf800000, v37
	v_cvt_u32_f32_e32 v38, v38
	s_delay_alu instid0(VALU_DEP_2) | instskip(NEXT) | instid1(VALU_DEP_2)
	v_cvt_u32_f32_e32 v37, v37
	v_mul_lo_u32 v42, s12, v38
	s_delay_alu instid0(VALU_DEP_2) | instskip(SKIP_1) | instid1(VALU_DEP_2)
	v_mul_hi_u32 v44, s12, v37
	v_mul_lo_u32 v46, s15, v37
	v_add_nc_u32_e32 v42, v44, v42
	v_mul_lo_u32 v44, s12, v37
	s_delay_alu instid0(VALU_DEP_2) | instskip(NEXT) | instid1(VALU_DEP_2)
	v_add_nc_u32_e32 v42, v42, v46
	v_mul_hi_u32 v46, v37, v44
	s_delay_alu instid0(VALU_DEP_2)
	v_mul_lo_u32 v48, v37, v42
	v_mul_hi_u32 v50, v37, v42
	v_mul_hi_u32 v52, v38, v44
	v_mul_lo_u32 v44, v38, v44
	v_mul_hi_u32 v54, v38, v42
	v_mul_lo_u32 v42, v38, v42
	v_add_co_u32 v46, vcc_lo, v46, v48
	v_add_co_ci_u32_e32 v48, vcc_lo, 0, v50, vcc_lo
	s_delay_alu instid0(VALU_DEP_2) | instskip(NEXT) | instid1(VALU_DEP_2)
	v_add_co_u32 v44, vcc_lo, v46, v44
	v_add_co_ci_u32_e32 v44, vcc_lo, v48, v52, vcc_lo
	v_add_co_ci_u32_e32 v46, vcc_lo, 0, v54, vcc_lo
	v_ashrrev_i32_e32 v52, 31, v40
	s_delay_alu instid0(VALU_DEP_3) | instskip(NEXT) | instid1(VALU_DEP_3)
	v_add_co_u32 v42, vcc_lo, v44, v42
	v_add_co_ci_u32_e32 v44, vcc_lo, 0, v46, vcc_lo
	s_delay_alu instid0(VALU_DEP_2) | instskip(NEXT) | instid1(VALU_DEP_2)
	v_add_co_u32 v37, vcc_lo, v37, v42
	v_add_co_ci_u32_e32 v38, vcc_lo, v38, v44, vcc_lo
	s_delay_alu instid0(VALU_DEP_2) | instskip(SKIP_1) | instid1(VALU_DEP_3)
	v_mul_hi_u32 v42, s12, v37
	v_mul_lo_u32 v46, s15, v37
	v_mul_lo_u32 v44, s12, v38
	s_delay_alu instid0(VALU_DEP_1) | instskip(SKIP_1) | instid1(VALU_DEP_2)
	v_add_nc_u32_e32 v42, v42, v44
	v_mul_lo_u32 v44, s12, v37
	v_add_nc_u32_e32 v42, v42, v46
	s_delay_alu instid0(VALU_DEP_2) | instskip(NEXT) | instid1(VALU_DEP_2)
	v_mul_hi_u32 v46, v37, v44
	v_mul_lo_u32 v48, v37, v42
	v_mul_hi_u32 v50, v37, v42
	v_mul_hi_u32 v54, v38, v44
	v_mul_lo_u32 v44, v38, v44
	v_mul_hi_u32 v56, v38, v42
	v_mul_lo_u32 v42, v38, v42
	v_add_co_u32 v46, vcc_lo, v46, v48
	v_add_co_ci_u32_e32 v48, vcc_lo, 0, v50, vcc_lo
	s_delay_alu instid0(VALU_DEP_2) | instskip(NEXT) | instid1(VALU_DEP_2)
	v_add_co_u32 v44, vcc_lo, v46, v44
	v_add_co_ci_u32_e32 v44, vcc_lo, v48, v54, vcc_lo
	v_add_co_ci_u32_e32 v46, vcc_lo, 0, v56, vcc_lo
	v_add_co_u32 v48, vcc_lo, v39, v52
	v_add_co_ci_u32_e32 v50, vcc_lo, v40, v52, vcc_lo
	s_delay_alu instid0(VALU_DEP_4) | instskip(NEXT) | instid1(VALU_DEP_4)
	v_add_co_u32 v42, vcc_lo, v44, v42
	v_add_co_ci_u32_e32 v44, vcc_lo, 0, v46, vcc_lo
	s_delay_alu instid0(VALU_DEP_4) | instskip(NEXT) | instid1(VALU_DEP_3)
	v_xor_b32_e32 v46, v48, v52
	v_add_co_u32 v42, vcc_lo, v37, v42
	s_delay_alu instid0(VALU_DEP_3) | instskip(SKIP_1) | instid1(VALU_DEP_3)
	v_add_co_ci_u32_e32 v44, vcc_lo, v38, v44, vcc_lo
	v_xor_b32_e32 v48, v50, v52
	v_mul_hi_u32 v50, v46, v42
	s_delay_alu instid0(VALU_DEP_3) | instskip(NEXT) | instid1(VALU_DEP_3)
	v_mad_u64_u32 v[37:38], null, v46, v44, 0
	v_mad_u64_u32 v[64:65], null, v48, v42, 0
	;; [unrolled: 1-line block ×3, first 2 shown]
	s_delay_alu instid0(VALU_DEP_3) | instskip(NEXT) | instid1(VALU_DEP_4)
	v_add_co_u32 v37, vcc_lo, v50, v37
	v_add_co_ci_u32_e32 v38, vcc_lo, 0, v38, vcc_lo
	s_delay_alu instid0(VALU_DEP_2) | instskip(NEXT) | instid1(VALU_DEP_2)
	v_add_co_u32 v37, vcc_lo, v37, v64
	v_add_co_ci_u32_e32 v37, vcc_lo, v38, v65, vcc_lo
	v_add_co_ci_u32_e32 v38, vcc_lo, 0, v67, vcc_lo
	s_delay_alu instid0(VALU_DEP_2) | instskip(NEXT) | instid1(VALU_DEP_2)
	v_add_co_u32 v42, vcc_lo, v37, v66
	v_add_co_ci_u32_e32 v44, vcc_lo, 0, v38, vcc_lo
	s_delay_alu instid0(VALU_DEP_2) | instskip(SKIP_1) | instid1(VALU_DEP_3)
	v_mul_lo_u32 v50, s17, v42
	v_mad_u64_u32 v[37:38], null, s16, v42, 0
	v_mul_lo_u32 v54, s16, v44
	s_delay_alu instid0(VALU_DEP_2) | instskip(NEXT) | instid1(VALU_DEP_2)
	v_sub_co_u32 v37, vcc_lo, v46, v37
	v_add3_u32 v38, v38, v54, v50
	s_delay_alu instid0(VALU_DEP_1) | instskip(NEXT) | instid1(VALU_DEP_1)
	v_sub_nc_u32_e32 v50, v48, v38
	v_subrev_co_ci_u32_e64 v46, s12, s17, v50, vcc_lo
	v_add_co_u32 v50, s12, v42, 2
	s_delay_alu instid0(VALU_DEP_1) | instskip(SKIP_3) | instid1(VALU_DEP_3)
	v_add_co_ci_u32_e64 v54, s12, 0, v44, s12
	v_sub_co_u32 v56, s12, v37, s16
	v_sub_co_ci_u32_e32 v38, vcc_lo, v48, v38, vcc_lo
	v_subrev_co_ci_u32_e64 v46, s12, 0, v46, s12
	v_cmp_le_u32_e32 vcc_lo, s16, v56
	s_delay_alu instid0(VALU_DEP_3) | instskip(SKIP_1) | instid1(VALU_DEP_4)
	v_cmp_eq_u32_e64 s12, s17, v38
	v_cndmask_b32_e64 v48, 0, -1, vcc_lo
	v_cmp_le_u32_e32 vcc_lo, s17, v46
	v_cndmask_b32_e64 v56, 0, -1, vcc_lo
	v_cmp_le_u32_e32 vcc_lo, s16, v37
	;; [unrolled: 2-line block ×3, first 2 shown]
	v_cndmask_b32_e64 v60, 0, -1, vcc_lo
	v_cmp_eq_u32_e32 vcc_lo, s17, v46
	s_delay_alu instid0(VALU_DEP_2) | instskip(SKIP_3) | instid1(VALU_DEP_3)
	v_cndmask_b32_e64 v37, v60, v37, s12
	v_cndmask_b32_e32 v46, v56, v48, vcc_lo
	v_add_co_u32 v48, vcc_lo, v42, 1
	v_add_co_ci_u32_e32 v56, vcc_lo, 0, v44, vcc_lo
	v_cmp_ne_u32_e32 vcc_lo, 0, v46
	s_delay_alu instid0(VALU_DEP_2) | instskip(NEXT) | instid1(VALU_DEP_4)
	v_cndmask_b32_e32 v38, v56, v54, vcc_lo
	v_cndmask_b32_e32 v46, v48, v50, vcc_lo
	v_cmp_ne_u32_e32 vcc_lo, 0, v37
	v_xor_b32_e32 v48, s14, v52
	s_delay_alu instid0(VALU_DEP_4) | instskip(NEXT) | instid1(VALU_DEP_4)
	v_cndmask_b32_e32 v37, v44, v38, vcc_lo
	v_cndmask_b32_e32 v38, v42, v46, vcc_lo
	s_delay_alu instid0(VALU_DEP_2) | instskip(NEXT) | instid1(VALU_DEP_2)
	v_xor_b32_e32 v42, v37, v48
	v_xor_b32_e32 v38, v38, v48
	s_delay_alu instid0(VALU_DEP_1) | instskip(NEXT) | instid1(VALU_DEP_3)
	v_sub_co_u32 v37, vcc_lo, v38, v48
	v_sub_co_ci_u32_e32 v38, vcc_lo, v42, v48, vcc_lo
.LBB1149_254:
	s_and_not1_saveexec_b32 s12, s20
	s_cbranch_execz .LBB1149_256
; %bb.255:
	v_cvt_f32_u32_e32 v37, s44
	s_sub_i32 s14, 0, s44
	s_delay_alu instid0(VALU_DEP_1) | instskip(SKIP_2) | instid1(VALU_DEP_1)
	v_rcp_iflag_f32_e32 v37, v37
	s_waitcnt_depctr 0xfff
	v_mul_f32_e32 v37, 0x4f7ffffe, v37
	v_cvt_u32_f32_e32 v37, v37
	s_delay_alu instid0(VALU_DEP_1) | instskip(NEXT) | instid1(VALU_DEP_1)
	v_mul_lo_u32 v38, s14, v37
	v_mul_hi_u32 v38, v37, v38
	s_delay_alu instid0(VALU_DEP_1) | instskip(NEXT) | instid1(VALU_DEP_1)
	v_add_nc_u32_e32 v37, v37, v38
	v_mul_hi_u32 v37, v39, v37
	s_delay_alu instid0(VALU_DEP_1) | instskip(SKIP_1) | instid1(VALU_DEP_2)
	v_mul_lo_u32 v38, v37, s44
	v_add_nc_u32_e32 v42, 1, v37
	v_sub_nc_u32_e32 v38, v39, v38
	s_delay_alu instid0(VALU_DEP_1) | instskip(SKIP_1) | instid1(VALU_DEP_2)
	v_subrev_nc_u32_e32 v44, s44, v38
	v_cmp_le_u32_e32 vcc_lo, s44, v38
	v_dual_cndmask_b32 v38, v38, v44 :: v_dual_cndmask_b32 v37, v37, v42
	s_delay_alu instid0(VALU_DEP_1) | instskip(SKIP_1) | instid1(VALU_DEP_3)
	v_cmp_le_u32_e32 vcc_lo, s44, v38
	v_mov_b32_e32 v38, 0
	v_add_nc_u32_e32 v42, 1, v37
	s_delay_alu instid0(VALU_DEP_1)
	v_cndmask_b32_e32 v37, v37, v42, vcc_lo
.LBB1149_256:
	s_or_b32 exec_lo, exec_lo, s12
	s_delay_alu instid0(VALU_DEP_1) | instskip(NEXT) | instid1(VALU_DEP_2)
	v_mul_lo_u32 v42, v38, s44
	v_mul_lo_u32 v44, v37, s45
	v_mad_u64_u32 v[64:65], null, v37, s44, 0
	s_delay_alu instid0(VALU_DEP_1) | instskip(NEXT) | instid1(VALU_DEP_2)
	v_add3_u32 v42, v65, v44, v42
	v_sub_co_u32 v39, vcc_lo, v39, v64
	s_delay_alu instid0(VALU_DEP_2) | instskip(NEXT) | instid1(VALU_DEP_2)
	v_sub_co_ci_u32_e32 v40, vcc_lo, v40, v42, vcc_lo
	v_add_co_u32 v37, vcc_lo, v37, v39
	s_delay_alu instid0(VALU_DEP_2)
	v_add_co_ci_u32_e32 v38, vcc_lo, v38, v40, vcc_lo
	s_or_b32 exec_lo, exec_lo, s13
                                        ; implicit-def: $vgpr39_vgpr40
	s_and_saveexec_b32 s16, s11
	s_cbranch_execz .LBB1149_223
.LBB1149_257:
	v_add_co_u32 v41, s11, s30, v41
	s_delay_alu instid0(VALU_DEP_1) | instskip(SKIP_1) | instid1(VALU_DEP_2)
	v_add_co_ci_u32_e64 v42, null, s31, 0, s11
	v_mov_b32_e32 v39, 0
	v_or_b32_e32 v40, s45, v42
	s_delay_alu instid0(VALU_DEP_1) | instskip(SKIP_1) | instid1(SALU_CYCLE_1)
	v_cmp_ne_u64_e32 vcc_lo, 0, v[39:40]
                                        ; implicit-def: $vgpr39_vgpr40
	s_and_saveexec_b32 s11, vcc_lo
	s_xor_b32 s17, exec_lo, s11
	s_cbranch_execz .LBB1149_259
; %bb.258:
	s_ashr_i32 s12, s45, 31
	s_delay_alu instid0(SALU_CYCLE_1) | instskip(SKIP_2) | instid1(SALU_CYCLE_1)
	s_add_u32 s14, s44, s12
	s_mov_b32 s13, s12
	s_addc_u32 s15, s45, s12
	s_xor_b64 s[14:15], s[14:15], s[12:13]
	s_delay_alu instid0(SALU_CYCLE_1) | instskip(SKIP_3) | instid1(VALU_DEP_1)
	v_cvt_f32_u32_e32 v39, s14
	v_cvt_f32_u32_e32 v40, s15
	s_sub_u32 s11, 0, s14
	s_subb_u32 s13, 0, s15
	v_fmamk_f32 v39, v40, 0x4f800000, v39
	s_delay_alu instid0(VALU_DEP_1) | instskip(SKIP_2) | instid1(VALU_DEP_1)
	v_rcp_f32_e32 v39, v39
	s_waitcnt_depctr 0xfff
	v_mul_f32_e32 v39, 0x5f7ffffc, v39
	v_mul_f32_e32 v40, 0x2f800000, v39
	s_delay_alu instid0(VALU_DEP_1) | instskip(NEXT) | instid1(VALU_DEP_1)
	v_trunc_f32_e32 v40, v40
	v_fmamk_f32 v39, v40, 0xcf800000, v39
	v_cvt_u32_f32_e32 v40, v40
	s_delay_alu instid0(VALU_DEP_2) | instskip(NEXT) | instid1(VALU_DEP_2)
	v_cvt_u32_f32_e32 v39, v39
	v_mul_lo_u32 v44, s11, v40
	s_delay_alu instid0(VALU_DEP_2) | instskip(SKIP_1) | instid1(VALU_DEP_2)
	v_mul_hi_u32 v46, s11, v39
	v_mul_lo_u32 v48, s13, v39
	v_add_nc_u32_e32 v44, v46, v44
	v_mul_lo_u32 v46, s11, v39
	s_delay_alu instid0(VALU_DEP_2) | instskip(NEXT) | instid1(VALU_DEP_2)
	v_add_nc_u32_e32 v44, v44, v48
	v_mul_hi_u32 v48, v39, v46
	s_delay_alu instid0(VALU_DEP_2)
	v_mul_lo_u32 v50, v39, v44
	v_mul_hi_u32 v52, v39, v44
	v_mul_hi_u32 v54, v40, v46
	v_mul_lo_u32 v46, v40, v46
	v_mul_hi_u32 v56, v40, v44
	v_mul_lo_u32 v44, v40, v44
	v_add_co_u32 v48, vcc_lo, v48, v50
	v_add_co_ci_u32_e32 v50, vcc_lo, 0, v52, vcc_lo
	s_delay_alu instid0(VALU_DEP_2) | instskip(NEXT) | instid1(VALU_DEP_2)
	v_add_co_u32 v46, vcc_lo, v48, v46
	v_add_co_ci_u32_e32 v46, vcc_lo, v50, v54, vcc_lo
	v_add_co_ci_u32_e32 v48, vcc_lo, 0, v56, vcc_lo
	v_ashrrev_i32_e32 v54, 31, v42
	s_delay_alu instid0(VALU_DEP_3) | instskip(NEXT) | instid1(VALU_DEP_3)
	v_add_co_u32 v44, vcc_lo, v46, v44
	v_add_co_ci_u32_e32 v46, vcc_lo, 0, v48, vcc_lo
	s_delay_alu instid0(VALU_DEP_2) | instskip(NEXT) | instid1(VALU_DEP_2)
	v_add_co_u32 v39, vcc_lo, v39, v44
	v_add_co_ci_u32_e32 v40, vcc_lo, v40, v46, vcc_lo
	s_delay_alu instid0(VALU_DEP_2) | instskip(SKIP_1) | instid1(VALU_DEP_3)
	v_mul_hi_u32 v44, s11, v39
	v_mul_lo_u32 v48, s13, v39
	v_mul_lo_u32 v46, s11, v40
	s_delay_alu instid0(VALU_DEP_1) | instskip(SKIP_1) | instid1(VALU_DEP_2)
	v_add_nc_u32_e32 v44, v44, v46
	v_mul_lo_u32 v46, s11, v39
	v_add_nc_u32_e32 v44, v44, v48
	s_delay_alu instid0(VALU_DEP_2) | instskip(NEXT) | instid1(VALU_DEP_2)
	v_mul_hi_u32 v48, v39, v46
	v_mul_lo_u32 v50, v39, v44
	v_mul_hi_u32 v52, v39, v44
	v_mul_hi_u32 v56, v40, v46
	v_mul_lo_u32 v46, v40, v46
	v_mul_hi_u32 v60, v40, v44
	v_mul_lo_u32 v44, v40, v44
	v_add_co_u32 v48, vcc_lo, v48, v50
	v_add_co_ci_u32_e32 v50, vcc_lo, 0, v52, vcc_lo
	s_delay_alu instid0(VALU_DEP_2) | instskip(NEXT) | instid1(VALU_DEP_2)
	v_add_co_u32 v46, vcc_lo, v48, v46
	v_add_co_ci_u32_e32 v46, vcc_lo, v50, v56, vcc_lo
	v_add_co_ci_u32_e32 v48, vcc_lo, 0, v60, vcc_lo
	v_add_co_u32 v50, vcc_lo, v41, v54
	v_add_co_ci_u32_e32 v52, vcc_lo, v42, v54, vcc_lo
	s_delay_alu instid0(VALU_DEP_4) | instskip(NEXT) | instid1(VALU_DEP_4)
	v_add_co_u32 v44, vcc_lo, v46, v44
	v_add_co_ci_u32_e32 v46, vcc_lo, 0, v48, vcc_lo
	s_delay_alu instid0(VALU_DEP_4) | instskip(NEXT) | instid1(VALU_DEP_3)
	v_xor_b32_e32 v48, v50, v54
	v_add_co_u32 v44, vcc_lo, v39, v44
	s_delay_alu instid0(VALU_DEP_3) | instskip(SKIP_1) | instid1(VALU_DEP_3)
	v_add_co_ci_u32_e32 v46, vcc_lo, v40, v46, vcc_lo
	v_xor_b32_e32 v50, v52, v54
	v_mul_hi_u32 v52, v48, v44
	s_delay_alu instid0(VALU_DEP_3) | instskip(NEXT) | instid1(VALU_DEP_3)
	v_mad_u64_u32 v[39:40], null, v48, v46, 0
	v_mad_u64_u32 v[64:65], null, v50, v44, 0
	;; [unrolled: 1-line block ×3, first 2 shown]
	s_delay_alu instid0(VALU_DEP_3) | instskip(NEXT) | instid1(VALU_DEP_4)
	v_add_co_u32 v39, vcc_lo, v52, v39
	v_add_co_ci_u32_e32 v40, vcc_lo, 0, v40, vcc_lo
	s_delay_alu instid0(VALU_DEP_2) | instskip(NEXT) | instid1(VALU_DEP_2)
	v_add_co_u32 v39, vcc_lo, v39, v64
	v_add_co_ci_u32_e32 v39, vcc_lo, v40, v65, vcc_lo
	v_add_co_ci_u32_e32 v40, vcc_lo, 0, v67, vcc_lo
	s_delay_alu instid0(VALU_DEP_2) | instskip(NEXT) | instid1(VALU_DEP_2)
	v_add_co_u32 v44, vcc_lo, v39, v66
	v_add_co_ci_u32_e32 v46, vcc_lo, 0, v40, vcc_lo
	s_delay_alu instid0(VALU_DEP_2) | instskip(SKIP_1) | instid1(VALU_DEP_3)
	v_mul_lo_u32 v52, s15, v44
	v_mad_u64_u32 v[39:40], null, s14, v44, 0
	v_mul_lo_u32 v56, s14, v46
	s_delay_alu instid0(VALU_DEP_2) | instskip(NEXT) | instid1(VALU_DEP_2)
	v_sub_co_u32 v39, vcc_lo, v48, v39
	v_add3_u32 v40, v40, v56, v52
	s_delay_alu instid0(VALU_DEP_1) | instskip(NEXT) | instid1(VALU_DEP_1)
	v_sub_nc_u32_e32 v52, v50, v40
	v_subrev_co_ci_u32_e64 v48, s11, s15, v52, vcc_lo
	v_add_co_u32 v52, s11, v44, 2
	s_delay_alu instid0(VALU_DEP_1) | instskip(SKIP_3) | instid1(VALU_DEP_3)
	v_add_co_ci_u32_e64 v56, s11, 0, v46, s11
	v_sub_co_u32 v60, s11, v39, s14
	v_sub_co_ci_u32_e32 v40, vcc_lo, v50, v40, vcc_lo
	v_subrev_co_ci_u32_e64 v48, s11, 0, v48, s11
	v_cmp_le_u32_e32 vcc_lo, s14, v60
	s_delay_alu instid0(VALU_DEP_3) | instskip(SKIP_1) | instid1(VALU_DEP_4)
	v_cmp_eq_u32_e64 s11, s15, v40
	v_cndmask_b32_e64 v50, 0, -1, vcc_lo
	v_cmp_le_u32_e32 vcc_lo, s15, v48
	v_cndmask_b32_e64 v60, 0, -1, vcc_lo
	v_cmp_le_u32_e32 vcc_lo, s14, v39
	;; [unrolled: 2-line block ×3, first 2 shown]
	v_cndmask_b32_e64 v64, 0, -1, vcc_lo
	v_cmp_eq_u32_e32 vcc_lo, s15, v48
	s_delay_alu instid0(VALU_DEP_2) | instskip(SKIP_3) | instid1(VALU_DEP_3)
	v_cndmask_b32_e64 v39, v64, v39, s11
	v_cndmask_b32_e32 v48, v60, v50, vcc_lo
	v_add_co_u32 v50, vcc_lo, v44, 1
	v_add_co_ci_u32_e32 v60, vcc_lo, 0, v46, vcc_lo
	v_cmp_ne_u32_e32 vcc_lo, 0, v48
	s_delay_alu instid0(VALU_DEP_2) | instskip(NEXT) | instid1(VALU_DEP_4)
	v_cndmask_b32_e32 v40, v60, v56, vcc_lo
	v_cndmask_b32_e32 v48, v50, v52, vcc_lo
	v_cmp_ne_u32_e32 vcc_lo, 0, v39
	v_xor_b32_e32 v50, s12, v54
	s_delay_alu instid0(VALU_DEP_4) | instskip(NEXT) | instid1(VALU_DEP_4)
	v_cndmask_b32_e32 v39, v46, v40, vcc_lo
	v_cndmask_b32_e32 v40, v44, v48, vcc_lo
	s_delay_alu instid0(VALU_DEP_2) | instskip(NEXT) | instid1(VALU_DEP_2)
	v_xor_b32_e32 v44, v39, v50
	v_xor_b32_e32 v40, v40, v50
	s_delay_alu instid0(VALU_DEP_1) | instskip(NEXT) | instid1(VALU_DEP_3)
	v_sub_co_u32 v39, vcc_lo, v40, v50
	v_sub_co_ci_u32_e32 v40, vcc_lo, v44, v50, vcc_lo
.LBB1149_259:
	s_and_not1_saveexec_b32 s11, s17
	s_cbranch_execz .LBB1149_261
; %bb.260:
	v_cvt_f32_u32_e32 v39, s44
	s_sub_i32 s12, 0, s44
	s_delay_alu instid0(VALU_DEP_1) | instskip(SKIP_2) | instid1(VALU_DEP_1)
	v_rcp_iflag_f32_e32 v39, v39
	s_waitcnt_depctr 0xfff
	v_mul_f32_e32 v39, 0x4f7ffffe, v39
	v_cvt_u32_f32_e32 v39, v39
	s_delay_alu instid0(VALU_DEP_1) | instskip(NEXT) | instid1(VALU_DEP_1)
	v_mul_lo_u32 v40, s12, v39
	v_mul_hi_u32 v40, v39, v40
	s_delay_alu instid0(VALU_DEP_1) | instskip(NEXT) | instid1(VALU_DEP_1)
	v_add_nc_u32_e32 v39, v39, v40
	v_mul_hi_u32 v39, v41, v39
	s_delay_alu instid0(VALU_DEP_1) | instskip(SKIP_1) | instid1(VALU_DEP_2)
	v_mul_lo_u32 v40, v39, s44
	v_add_nc_u32_e32 v44, 1, v39
	v_sub_nc_u32_e32 v40, v41, v40
	s_delay_alu instid0(VALU_DEP_1) | instskip(SKIP_1) | instid1(VALU_DEP_2)
	v_subrev_nc_u32_e32 v46, s44, v40
	v_cmp_le_u32_e32 vcc_lo, s44, v40
	v_dual_cndmask_b32 v40, v40, v46 :: v_dual_cndmask_b32 v39, v39, v44
	s_delay_alu instid0(VALU_DEP_1) | instskip(SKIP_1) | instid1(VALU_DEP_3)
	v_cmp_le_u32_e32 vcc_lo, s44, v40
	v_mov_b32_e32 v40, 0
	v_add_nc_u32_e32 v44, 1, v39
	s_delay_alu instid0(VALU_DEP_1)
	v_cndmask_b32_e32 v39, v39, v44, vcc_lo
.LBB1149_261:
	s_or_b32 exec_lo, exec_lo, s11
	s_delay_alu instid0(VALU_DEP_1) | instskip(NEXT) | instid1(VALU_DEP_2)
	v_mul_lo_u32 v44, v40, s44
	v_mul_lo_u32 v46, v39, s45
	v_mad_u64_u32 v[64:65], null, v39, s44, 0
	s_delay_alu instid0(VALU_DEP_1) | instskip(NEXT) | instid1(VALU_DEP_2)
	v_add3_u32 v44, v65, v46, v44
	v_sub_co_u32 v41, vcc_lo, v41, v64
	s_delay_alu instid0(VALU_DEP_2) | instskip(NEXT) | instid1(VALU_DEP_2)
	v_sub_co_ci_u32_e32 v42, vcc_lo, v42, v44, vcc_lo
	v_add_co_u32 v39, vcc_lo, v39, v41
	s_delay_alu instid0(VALU_DEP_2)
	v_add_co_ci_u32_e32 v40, vcc_lo, v40, v42, vcc_lo
	s_or_b32 exec_lo, exec_lo, s16
                                        ; implicit-def: $vgpr41_vgpr42
	s_and_saveexec_b32 s11, s10
	s_cbranch_execz .LBB1149_224
.LBB1149_262:
	v_add_co_u32 v43, s10, s30, v43
	s_delay_alu instid0(VALU_DEP_1) | instskip(SKIP_1) | instid1(VALU_DEP_2)
	v_add_co_ci_u32_e64 v44, null, s31, 0, s10
	v_mov_b32_e32 v41, 0
	v_or_b32_e32 v42, s45, v44
	s_delay_alu instid0(VALU_DEP_1) | instskip(SKIP_1) | instid1(SALU_CYCLE_1)
	v_cmp_ne_u64_e32 vcc_lo, 0, v[41:42]
                                        ; implicit-def: $vgpr41_vgpr42
	s_and_saveexec_b32 s10, vcc_lo
	s_xor_b32 s16, exec_lo, s10
	s_cbranch_execz .LBB1149_264
; %bb.263:
	s_ashr_i32 s12, s45, 31
	s_delay_alu instid0(SALU_CYCLE_1) | instskip(SKIP_2) | instid1(SALU_CYCLE_1)
	s_add_u32 s14, s44, s12
	s_mov_b32 s13, s12
	s_addc_u32 s15, s45, s12
	s_xor_b64 s[14:15], s[14:15], s[12:13]
	s_delay_alu instid0(SALU_CYCLE_1) | instskip(SKIP_3) | instid1(VALU_DEP_1)
	v_cvt_f32_u32_e32 v41, s14
	v_cvt_f32_u32_e32 v42, s15
	s_sub_u32 s10, 0, s14
	s_subb_u32 s13, 0, s15
	v_fmamk_f32 v41, v42, 0x4f800000, v41
	s_delay_alu instid0(VALU_DEP_1) | instskip(SKIP_2) | instid1(VALU_DEP_1)
	v_rcp_f32_e32 v41, v41
	s_waitcnt_depctr 0xfff
	v_mul_f32_e32 v41, 0x5f7ffffc, v41
	v_mul_f32_e32 v42, 0x2f800000, v41
	s_delay_alu instid0(VALU_DEP_1) | instskip(NEXT) | instid1(VALU_DEP_1)
	v_trunc_f32_e32 v42, v42
	v_fmamk_f32 v41, v42, 0xcf800000, v41
	v_cvt_u32_f32_e32 v42, v42
	s_delay_alu instid0(VALU_DEP_2) | instskip(NEXT) | instid1(VALU_DEP_2)
	v_cvt_u32_f32_e32 v41, v41
	v_mul_lo_u32 v46, s10, v42
	s_delay_alu instid0(VALU_DEP_2) | instskip(SKIP_1) | instid1(VALU_DEP_2)
	v_mul_hi_u32 v48, s10, v41
	v_mul_lo_u32 v50, s13, v41
	v_add_nc_u32_e32 v46, v48, v46
	v_mul_lo_u32 v48, s10, v41
	s_delay_alu instid0(VALU_DEP_2) | instskip(NEXT) | instid1(VALU_DEP_2)
	v_add_nc_u32_e32 v46, v46, v50
	v_mul_hi_u32 v50, v41, v48
	s_delay_alu instid0(VALU_DEP_2)
	v_mul_lo_u32 v52, v41, v46
	v_mul_hi_u32 v54, v41, v46
	v_mul_hi_u32 v56, v42, v48
	v_mul_lo_u32 v48, v42, v48
	v_mul_hi_u32 v60, v42, v46
	v_mul_lo_u32 v46, v42, v46
	v_add_co_u32 v50, vcc_lo, v50, v52
	v_add_co_ci_u32_e32 v52, vcc_lo, 0, v54, vcc_lo
	s_delay_alu instid0(VALU_DEP_2) | instskip(NEXT) | instid1(VALU_DEP_2)
	v_add_co_u32 v48, vcc_lo, v50, v48
	v_add_co_ci_u32_e32 v48, vcc_lo, v52, v56, vcc_lo
	v_add_co_ci_u32_e32 v50, vcc_lo, 0, v60, vcc_lo
	v_ashrrev_i32_e32 v56, 31, v44
	s_delay_alu instid0(VALU_DEP_3) | instskip(NEXT) | instid1(VALU_DEP_3)
	v_add_co_u32 v46, vcc_lo, v48, v46
	v_add_co_ci_u32_e32 v48, vcc_lo, 0, v50, vcc_lo
	s_delay_alu instid0(VALU_DEP_2) | instskip(NEXT) | instid1(VALU_DEP_2)
	v_add_co_u32 v41, vcc_lo, v41, v46
	v_add_co_ci_u32_e32 v42, vcc_lo, v42, v48, vcc_lo
	s_delay_alu instid0(VALU_DEP_2) | instskip(SKIP_1) | instid1(VALU_DEP_3)
	v_mul_hi_u32 v46, s10, v41
	v_mul_lo_u32 v50, s13, v41
	v_mul_lo_u32 v48, s10, v42
	s_delay_alu instid0(VALU_DEP_1) | instskip(SKIP_1) | instid1(VALU_DEP_2)
	v_add_nc_u32_e32 v46, v46, v48
	v_mul_lo_u32 v48, s10, v41
	v_add_nc_u32_e32 v46, v46, v50
	s_delay_alu instid0(VALU_DEP_2) | instskip(NEXT) | instid1(VALU_DEP_2)
	v_mul_hi_u32 v50, v41, v48
	v_mul_lo_u32 v52, v41, v46
	v_mul_hi_u32 v54, v41, v46
	v_mul_hi_u32 v60, v42, v48
	v_mul_lo_u32 v48, v42, v48
	v_mul_hi_u32 v64, v42, v46
	v_mul_lo_u32 v46, v42, v46
	v_add_co_u32 v50, vcc_lo, v50, v52
	v_add_co_ci_u32_e32 v52, vcc_lo, 0, v54, vcc_lo
	s_delay_alu instid0(VALU_DEP_2) | instskip(NEXT) | instid1(VALU_DEP_2)
	v_add_co_u32 v48, vcc_lo, v50, v48
	v_add_co_ci_u32_e32 v48, vcc_lo, v52, v60, vcc_lo
	v_add_co_ci_u32_e32 v50, vcc_lo, 0, v64, vcc_lo
	v_add_co_u32 v52, vcc_lo, v43, v56
	v_add_co_ci_u32_e32 v54, vcc_lo, v44, v56, vcc_lo
	s_delay_alu instid0(VALU_DEP_4) | instskip(NEXT) | instid1(VALU_DEP_4)
	v_add_co_u32 v46, vcc_lo, v48, v46
	v_add_co_ci_u32_e32 v48, vcc_lo, 0, v50, vcc_lo
	s_delay_alu instid0(VALU_DEP_4) | instskip(NEXT) | instid1(VALU_DEP_3)
	v_xor_b32_e32 v50, v52, v56
	v_add_co_u32 v46, vcc_lo, v41, v46
	s_delay_alu instid0(VALU_DEP_3) | instskip(SKIP_1) | instid1(VALU_DEP_3)
	v_add_co_ci_u32_e32 v48, vcc_lo, v42, v48, vcc_lo
	v_xor_b32_e32 v52, v54, v56
	v_mul_hi_u32 v54, v50, v46
	s_delay_alu instid0(VALU_DEP_3) | instskip(NEXT) | instid1(VALU_DEP_3)
	v_mad_u64_u32 v[41:42], null, v50, v48, 0
	v_mad_u64_u32 v[64:65], null, v52, v46, 0
	;; [unrolled: 1-line block ×3, first 2 shown]
	s_delay_alu instid0(VALU_DEP_3) | instskip(NEXT) | instid1(VALU_DEP_4)
	v_add_co_u32 v41, vcc_lo, v54, v41
	v_add_co_ci_u32_e32 v42, vcc_lo, 0, v42, vcc_lo
	s_delay_alu instid0(VALU_DEP_2) | instskip(NEXT) | instid1(VALU_DEP_2)
	v_add_co_u32 v41, vcc_lo, v41, v64
	v_add_co_ci_u32_e32 v41, vcc_lo, v42, v65, vcc_lo
	v_add_co_ci_u32_e32 v42, vcc_lo, 0, v67, vcc_lo
	s_delay_alu instid0(VALU_DEP_2) | instskip(NEXT) | instid1(VALU_DEP_2)
	v_add_co_u32 v46, vcc_lo, v41, v66
	v_add_co_ci_u32_e32 v48, vcc_lo, 0, v42, vcc_lo
	s_delay_alu instid0(VALU_DEP_2) | instskip(SKIP_1) | instid1(VALU_DEP_3)
	v_mul_lo_u32 v54, s15, v46
	v_mad_u64_u32 v[41:42], null, s14, v46, 0
	v_mul_lo_u32 v60, s14, v48
	s_delay_alu instid0(VALU_DEP_2) | instskip(NEXT) | instid1(VALU_DEP_2)
	v_sub_co_u32 v41, vcc_lo, v50, v41
	v_add3_u32 v42, v42, v60, v54
	s_delay_alu instid0(VALU_DEP_1) | instskip(NEXT) | instid1(VALU_DEP_1)
	v_sub_nc_u32_e32 v54, v52, v42
	v_subrev_co_ci_u32_e64 v50, s10, s15, v54, vcc_lo
	v_add_co_u32 v54, s10, v46, 2
	s_delay_alu instid0(VALU_DEP_1) | instskip(SKIP_3) | instid1(VALU_DEP_3)
	v_add_co_ci_u32_e64 v60, s10, 0, v48, s10
	v_sub_co_u32 v64, s10, v41, s14
	v_sub_co_ci_u32_e32 v42, vcc_lo, v52, v42, vcc_lo
	v_subrev_co_ci_u32_e64 v50, s10, 0, v50, s10
	v_cmp_le_u32_e32 vcc_lo, s14, v64
	s_delay_alu instid0(VALU_DEP_3) | instskip(SKIP_1) | instid1(VALU_DEP_4)
	v_cmp_eq_u32_e64 s10, s15, v42
	v_cndmask_b32_e64 v52, 0, -1, vcc_lo
	v_cmp_le_u32_e32 vcc_lo, s15, v50
	v_cndmask_b32_e64 v64, 0, -1, vcc_lo
	v_cmp_le_u32_e32 vcc_lo, s14, v41
	;; [unrolled: 2-line block ×3, first 2 shown]
	v_cndmask_b32_e64 v65, 0, -1, vcc_lo
	v_cmp_eq_u32_e32 vcc_lo, s15, v50
	s_delay_alu instid0(VALU_DEP_2) | instskip(SKIP_3) | instid1(VALU_DEP_3)
	v_cndmask_b32_e64 v41, v65, v41, s10
	v_cndmask_b32_e32 v50, v64, v52, vcc_lo
	v_add_co_u32 v52, vcc_lo, v46, 1
	v_add_co_ci_u32_e32 v64, vcc_lo, 0, v48, vcc_lo
	v_cmp_ne_u32_e32 vcc_lo, 0, v50
	s_delay_alu instid0(VALU_DEP_2) | instskip(NEXT) | instid1(VALU_DEP_4)
	v_cndmask_b32_e32 v42, v64, v60, vcc_lo
	v_cndmask_b32_e32 v50, v52, v54, vcc_lo
	v_cmp_ne_u32_e32 vcc_lo, 0, v41
	v_xor_b32_e32 v52, s12, v56
	s_delay_alu instid0(VALU_DEP_4) | instskip(NEXT) | instid1(VALU_DEP_4)
	v_cndmask_b32_e32 v41, v48, v42, vcc_lo
	v_cndmask_b32_e32 v42, v46, v50, vcc_lo
	s_delay_alu instid0(VALU_DEP_2) | instskip(NEXT) | instid1(VALU_DEP_2)
	v_xor_b32_e32 v46, v41, v52
	v_xor_b32_e32 v42, v42, v52
	s_delay_alu instid0(VALU_DEP_1) | instskip(NEXT) | instid1(VALU_DEP_3)
	v_sub_co_u32 v41, vcc_lo, v42, v52
	v_sub_co_ci_u32_e32 v42, vcc_lo, v46, v52, vcc_lo
.LBB1149_264:
	s_and_not1_saveexec_b32 s10, s16
	s_cbranch_execz .LBB1149_266
; %bb.265:
	v_cvt_f32_u32_e32 v41, s44
	s_sub_i32 s12, 0, s44
	s_delay_alu instid0(VALU_DEP_1) | instskip(SKIP_2) | instid1(VALU_DEP_1)
	v_rcp_iflag_f32_e32 v41, v41
	s_waitcnt_depctr 0xfff
	v_mul_f32_e32 v41, 0x4f7ffffe, v41
	v_cvt_u32_f32_e32 v41, v41
	s_delay_alu instid0(VALU_DEP_1) | instskip(NEXT) | instid1(VALU_DEP_1)
	v_mul_lo_u32 v42, s12, v41
	v_mul_hi_u32 v42, v41, v42
	s_delay_alu instid0(VALU_DEP_1) | instskip(NEXT) | instid1(VALU_DEP_1)
	v_add_nc_u32_e32 v41, v41, v42
	v_mul_hi_u32 v41, v43, v41
	s_delay_alu instid0(VALU_DEP_1) | instskip(SKIP_1) | instid1(VALU_DEP_2)
	v_mul_lo_u32 v42, v41, s44
	v_add_nc_u32_e32 v46, 1, v41
	v_sub_nc_u32_e32 v42, v43, v42
	s_delay_alu instid0(VALU_DEP_1) | instskip(SKIP_1) | instid1(VALU_DEP_2)
	v_subrev_nc_u32_e32 v48, s44, v42
	v_cmp_le_u32_e32 vcc_lo, s44, v42
	v_dual_cndmask_b32 v42, v42, v48 :: v_dual_cndmask_b32 v41, v41, v46
	s_delay_alu instid0(VALU_DEP_1) | instskip(SKIP_1) | instid1(VALU_DEP_3)
	v_cmp_le_u32_e32 vcc_lo, s44, v42
	v_mov_b32_e32 v42, 0
	v_add_nc_u32_e32 v46, 1, v41
	s_delay_alu instid0(VALU_DEP_1)
	v_cndmask_b32_e32 v41, v41, v46, vcc_lo
.LBB1149_266:
	s_or_b32 exec_lo, exec_lo, s10
	s_delay_alu instid0(VALU_DEP_1) | instskip(NEXT) | instid1(VALU_DEP_2)
	v_mul_lo_u32 v46, v42, s44
	v_mul_lo_u32 v48, v41, s45
	v_mad_u64_u32 v[64:65], null, v41, s44, 0
	s_delay_alu instid0(VALU_DEP_1) | instskip(NEXT) | instid1(VALU_DEP_2)
	v_add3_u32 v46, v65, v48, v46
	v_sub_co_u32 v43, vcc_lo, v43, v64
	s_delay_alu instid0(VALU_DEP_2) | instskip(NEXT) | instid1(VALU_DEP_2)
	v_sub_co_ci_u32_e32 v44, vcc_lo, v44, v46, vcc_lo
	v_add_co_u32 v41, vcc_lo, v41, v43
	s_delay_alu instid0(VALU_DEP_2)
	v_add_co_ci_u32_e32 v42, vcc_lo, v42, v44, vcc_lo
	s_or_b32 exec_lo, exec_lo, s11
                                        ; implicit-def: $vgpr43_vgpr44
	s_and_saveexec_b32 s14, s9
	s_cbranch_execz .LBB1149_225
.LBB1149_267:
	v_add_co_u32 v45, s9, s30, v45
	s_delay_alu instid0(VALU_DEP_1) | instskip(SKIP_1) | instid1(VALU_DEP_2)
	v_add_co_ci_u32_e64 v46, null, s31, 0, s9
	v_mov_b32_e32 v43, 0
	v_or_b32_e32 v44, s45, v46
	s_delay_alu instid0(VALU_DEP_1) | instskip(SKIP_1) | instid1(SALU_CYCLE_1)
	v_cmp_ne_u64_e32 vcc_lo, 0, v[43:44]
                                        ; implicit-def: $vgpr43_vgpr44
	s_and_saveexec_b32 s9, vcc_lo
	s_xor_b32 s15, exec_lo, s9
	s_cbranch_execz .LBB1149_269
; %bb.268:
	s_ashr_i32 s10, s45, 31
	s_delay_alu instid0(SALU_CYCLE_1) | instskip(SKIP_2) | instid1(SALU_CYCLE_1)
	s_add_u32 s12, s44, s10
	s_mov_b32 s11, s10
	s_addc_u32 s13, s45, s10
	s_xor_b64 s[12:13], s[12:13], s[10:11]
	s_delay_alu instid0(SALU_CYCLE_1) | instskip(SKIP_3) | instid1(VALU_DEP_1)
	v_cvt_f32_u32_e32 v43, s12
	v_cvt_f32_u32_e32 v44, s13
	s_sub_u32 s9, 0, s12
	s_subb_u32 s11, 0, s13
	v_fmamk_f32 v43, v44, 0x4f800000, v43
	s_delay_alu instid0(VALU_DEP_1) | instskip(SKIP_2) | instid1(VALU_DEP_1)
	v_rcp_f32_e32 v43, v43
	s_waitcnt_depctr 0xfff
	v_mul_f32_e32 v43, 0x5f7ffffc, v43
	v_mul_f32_e32 v44, 0x2f800000, v43
	s_delay_alu instid0(VALU_DEP_1) | instskip(NEXT) | instid1(VALU_DEP_1)
	v_trunc_f32_e32 v44, v44
	v_fmamk_f32 v43, v44, 0xcf800000, v43
	v_cvt_u32_f32_e32 v44, v44
	s_delay_alu instid0(VALU_DEP_2) | instskip(NEXT) | instid1(VALU_DEP_2)
	v_cvt_u32_f32_e32 v43, v43
	v_mul_lo_u32 v48, s9, v44
	s_delay_alu instid0(VALU_DEP_2) | instskip(SKIP_1) | instid1(VALU_DEP_2)
	v_mul_hi_u32 v50, s9, v43
	v_mul_lo_u32 v52, s11, v43
	v_add_nc_u32_e32 v48, v50, v48
	v_mul_lo_u32 v50, s9, v43
	s_delay_alu instid0(VALU_DEP_2) | instskip(NEXT) | instid1(VALU_DEP_2)
	v_add_nc_u32_e32 v48, v48, v52
	v_mul_hi_u32 v52, v43, v50
	s_delay_alu instid0(VALU_DEP_2)
	v_mul_lo_u32 v54, v43, v48
	v_mul_hi_u32 v56, v43, v48
	v_mul_hi_u32 v60, v44, v50
	v_mul_lo_u32 v50, v44, v50
	v_mul_hi_u32 v64, v44, v48
	v_mul_lo_u32 v48, v44, v48
	v_add_co_u32 v52, vcc_lo, v52, v54
	v_add_co_ci_u32_e32 v54, vcc_lo, 0, v56, vcc_lo
	s_delay_alu instid0(VALU_DEP_2) | instskip(NEXT) | instid1(VALU_DEP_2)
	v_add_co_u32 v50, vcc_lo, v52, v50
	v_add_co_ci_u32_e32 v50, vcc_lo, v54, v60, vcc_lo
	v_add_co_ci_u32_e32 v52, vcc_lo, 0, v64, vcc_lo
	v_ashrrev_i32_e32 v60, 31, v46
	s_delay_alu instid0(VALU_DEP_3) | instskip(NEXT) | instid1(VALU_DEP_3)
	v_add_co_u32 v48, vcc_lo, v50, v48
	v_add_co_ci_u32_e32 v50, vcc_lo, 0, v52, vcc_lo
	s_delay_alu instid0(VALU_DEP_2) | instskip(NEXT) | instid1(VALU_DEP_2)
	v_add_co_u32 v43, vcc_lo, v43, v48
	v_add_co_ci_u32_e32 v44, vcc_lo, v44, v50, vcc_lo
	s_delay_alu instid0(VALU_DEP_2) | instskip(SKIP_1) | instid1(VALU_DEP_3)
	v_mul_hi_u32 v48, s9, v43
	v_mul_lo_u32 v52, s11, v43
	v_mul_lo_u32 v50, s9, v44
	s_delay_alu instid0(VALU_DEP_1) | instskip(SKIP_1) | instid1(VALU_DEP_2)
	v_add_nc_u32_e32 v48, v48, v50
	v_mul_lo_u32 v50, s9, v43
	v_add_nc_u32_e32 v48, v48, v52
	s_delay_alu instid0(VALU_DEP_2) | instskip(NEXT) | instid1(VALU_DEP_2)
	v_mul_hi_u32 v52, v43, v50
	v_mul_lo_u32 v54, v43, v48
	v_mul_hi_u32 v56, v43, v48
	v_mul_hi_u32 v64, v44, v50
	v_mul_lo_u32 v50, v44, v50
	v_mul_hi_u32 v65, v44, v48
	v_mul_lo_u32 v48, v44, v48
	v_add_co_u32 v52, vcc_lo, v52, v54
	v_add_co_ci_u32_e32 v54, vcc_lo, 0, v56, vcc_lo
	s_delay_alu instid0(VALU_DEP_2) | instskip(NEXT) | instid1(VALU_DEP_2)
	v_add_co_u32 v50, vcc_lo, v52, v50
	v_add_co_ci_u32_e32 v50, vcc_lo, v54, v64, vcc_lo
	v_add_co_ci_u32_e32 v52, vcc_lo, 0, v65, vcc_lo
	v_add_co_u32 v54, vcc_lo, v45, v60
	v_add_co_ci_u32_e32 v56, vcc_lo, v46, v60, vcc_lo
	s_delay_alu instid0(VALU_DEP_4) | instskip(NEXT) | instid1(VALU_DEP_4)
	v_add_co_u32 v48, vcc_lo, v50, v48
	v_add_co_ci_u32_e32 v50, vcc_lo, 0, v52, vcc_lo
	s_delay_alu instid0(VALU_DEP_4) | instskip(NEXT) | instid1(VALU_DEP_3)
	v_xor_b32_e32 v52, v54, v60
	v_add_co_u32 v48, vcc_lo, v43, v48
	s_delay_alu instid0(VALU_DEP_3) | instskip(SKIP_1) | instid1(VALU_DEP_3)
	v_add_co_ci_u32_e32 v50, vcc_lo, v44, v50, vcc_lo
	v_xor_b32_e32 v54, v56, v60
	v_mul_hi_u32 v56, v52, v48
	s_delay_alu instid0(VALU_DEP_3) | instskip(NEXT) | instid1(VALU_DEP_3)
	v_mad_u64_u32 v[43:44], null, v52, v50, 0
	v_mad_u64_u32 v[64:65], null, v54, v48, 0
	;; [unrolled: 1-line block ×3, first 2 shown]
	s_delay_alu instid0(VALU_DEP_3) | instskip(NEXT) | instid1(VALU_DEP_4)
	v_add_co_u32 v43, vcc_lo, v56, v43
	v_add_co_ci_u32_e32 v44, vcc_lo, 0, v44, vcc_lo
	s_delay_alu instid0(VALU_DEP_2) | instskip(NEXT) | instid1(VALU_DEP_2)
	v_add_co_u32 v43, vcc_lo, v43, v64
	v_add_co_ci_u32_e32 v43, vcc_lo, v44, v65, vcc_lo
	v_add_co_ci_u32_e32 v44, vcc_lo, 0, v67, vcc_lo
	s_delay_alu instid0(VALU_DEP_2) | instskip(NEXT) | instid1(VALU_DEP_2)
	v_add_co_u32 v48, vcc_lo, v43, v66
	v_add_co_ci_u32_e32 v50, vcc_lo, 0, v44, vcc_lo
	s_delay_alu instid0(VALU_DEP_2) | instskip(SKIP_1) | instid1(VALU_DEP_3)
	v_mul_lo_u32 v56, s13, v48
	v_mad_u64_u32 v[43:44], null, s12, v48, 0
	v_mul_lo_u32 v64, s12, v50
	s_delay_alu instid0(VALU_DEP_2) | instskip(NEXT) | instid1(VALU_DEP_2)
	v_sub_co_u32 v43, vcc_lo, v52, v43
	v_add3_u32 v44, v44, v64, v56
	s_delay_alu instid0(VALU_DEP_1) | instskip(NEXT) | instid1(VALU_DEP_1)
	v_sub_nc_u32_e32 v56, v54, v44
	v_subrev_co_ci_u32_e64 v52, s9, s13, v56, vcc_lo
	v_add_co_u32 v56, s9, v48, 2
	s_delay_alu instid0(VALU_DEP_1) | instskip(SKIP_3) | instid1(VALU_DEP_3)
	v_add_co_ci_u32_e64 v64, s9, 0, v50, s9
	v_sub_co_u32 v65, s9, v43, s12
	v_sub_co_ci_u32_e32 v44, vcc_lo, v54, v44, vcc_lo
	v_subrev_co_ci_u32_e64 v52, s9, 0, v52, s9
	v_cmp_le_u32_e32 vcc_lo, s12, v65
	s_delay_alu instid0(VALU_DEP_3) | instskip(SKIP_1) | instid1(VALU_DEP_4)
	v_cmp_eq_u32_e64 s9, s13, v44
	v_cndmask_b32_e64 v54, 0, -1, vcc_lo
	v_cmp_le_u32_e32 vcc_lo, s13, v52
	v_cndmask_b32_e64 v65, 0, -1, vcc_lo
	v_cmp_le_u32_e32 vcc_lo, s12, v43
	;; [unrolled: 2-line block ×3, first 2 shown]
	v_cndmask_b32_e64 v66, 0, -1, vcc_lo
	v_cmp_eq_u32_e32 vcc_lo, s13, v52
	s_delay_alu instid0(VALU_DEP_2) | instskip(SKIP_3) | instid1(VALU_DEP_3)
	v_cndmask_b32_e64 v43, v66, v43, s9
	v_cndmask_b32_e32 v52, v65, v54, vcc_lo
	v_add_co_u32 v54, vcc_lo, v48, 1
	v_add_co_ci_u32_e32 v65, vcc_lo, 0, v50, vcc_lo
	v_cmp_ne_u32_e32 vcc_lo, 0, v52
	s_delay_alu instid0(VALU_DEP_2) | instskip(NEXT) | instid1(VALU_DEP_4)
	v_cndmask_b32_e32 v44, v65, v64, vcc_lo
	v_cndmask_b32_e32 v52, v54, v56, vcc_lo
	v_cmp_ne_u32_e32 vcc_lo, 0, v43
	v_xor_b32_e32 v54, s10, v60
	s_delay_alu instid0(VALU_DEP_4) | instskip(NEXT) | instid1(VALU_DEP_4)
	v_cndmask_b32_e32 v43, v50, v44, vcc_lo
	v_cndmask_b32_e32 v44, v48, v52, vcc_lo
	s_delay_alu instid0(VALU_DEP_2) | instskip(NEXT) | instid1(VALU_DEP_2)
	v_xor_b32_e32 v48, v43, v54
	v_xor_b32_e32 v44, v44, v54
	s_delay_alu instid0(VALU_DEP_1) | instskip(NEXT) | instid1(VALU_DEP_3)
	v_sub_co_u32 v43, vcc_lo, v44, v54
	v_sub_co_ci_u32_e32 v44, vcc_lo, v48, v54, vcc_lo
.LBB1149_269:
	s_and_not1_saveexec_b32 s9, s15
	s_cbranch_execz .LBB1149_271
; %bb.270:
	v_cvt_f32_u32_e32 v43, s44
	s_sub_i32 s10, 0, s44
	s_delay_alu instid0(VALU_DEP_1) | instskip(SKIP_2) | instid1(VALU_DEP_1)
	v_rcp_iflag_f32_e32 v43, v43
	s_waitcnt_depctr 0xfff
	v_mul_f32_e32 v43, 0x4f7ffffe, v43
	v_cvt_u32_f32_e32 v43, v43
	s_delay_alu instid0(VALU_DEP_1) | instskip(NEXT) | instid1(VALU_DEP_1)
	v_mul_lo_u32 v44, s10, v43
	v_mul_hi_u32 v44, v43, v44
	s_delay_alu instid0(VALU_DEP_1) | instskip(NEXT) | instid1(VALU_DEP_1)
	v_add_nc_u32_e32 v43, v43, v44
	v_mul_hi_u32 v43, v45, v43
	s_delay_alu instid0(VALU_DEP_1) | instskip(SKIP_1) | instid1(VALU_DEP_2)
	v_mul_lo_u32 v44, v43, s44
	v_add_nc_u32_e32 v48, 1, v43
	v_sub_nc_u32_e32 v44, v45, v44
	s_delay_alu instid0(VALU_DEP_1) | instskip(SKIP_1) | instid1(VALU_DEP_2)
	v_subrev_nc_u32_e32 v50, s44, v44
	v_cmp_le_u32_e32 vcc_lo, s44, v44
	v_dual_cndmask_b32 v44, v44, v50 :: v_dual_cndmask_b32 v43, v43, v48
	s_delay_alu instid0(VALU_DEP_1) | instskip(SKIP_1) | instid1(VALU_DEP_3)
	v_cmp_le_u32_e32 vcc_lo, s44, v44
	v_mov_b32_e32 v44, 0
	v_add_nc_u32_e32 v48, 1, v43
	s_delay_alu instid0(VALU_DEP_1)
	v_cndmask_b32_e32 v43, v43, v48, vcc_lo
.LBB1149_271:
	s_or_b32 exec_lo, exec_lo, s9
	s_delay_alu instid0(VALU_DEP_1) | instskip(NEXT) | instid1(VALU_DEP_2)
	v_mul_lo_u32 v48, v44, s44
	v_mul_lo_u32 v50, v43, s45
	v_mad_u64_u32 v[64:65], null, v43, s44, 0
	s_delay_alu instid0(VALU_DEP_1) | instskip(NEXT) | instid1(VALU_DEP_2)
	v_add3_u32 v48, v65, v50, v48
	v_sub_co_u32 v45, vcc_lo, v45, v64
	s_delay_alu instid0(VALU_DEP_2) | instskip(NEXT) | instid1(VALU_DEP_2)
	v_sub_co_ci_u32_e32 v46, vcc_lo, v46, v48, vcc_lo
	v_add_co_u32 v43, vcc_lo, v43, v45
	s_delay_alu instid0(VALU_DEP_2)
	v_add_co_ci_u32_e32 v44, vcc_lo, v44, v46, vcc_lo
	s_or_b32 exec_lo, exec_lo, s14
                                        ; implicit-def: $vgpr45_vgpr46
	s_and_saveexec_b32 s9, s8
	s_cbranch_execz .LBB1149_226
.LBB1149_272:
	v_add_co_u32 v47, s8, s30, v47
	s_delay_alu instid0(VALU_DEP_1) | instskip(SKIP_1) | instid1(VALU_DEP_2)
	v_add_co_ci_u32_e64 v48, null, s31, 0, s8
	v_mov_b32_e32 v45, 0
	v_or_b32_e32 v46, s45, v48
	s_delay_alu instid0(VALU_DEP_1) | instskip(SKIP_1) | instid1(SALU_CYCLE_1)
	v_cmp_ne_u64_e32 vcc_lo, 0, v[45:46]
                                        ; implicit-def: $vgpr45_vgpr46
	s_and_saveexec_b32 s8, vcc_lo
	s_xor_b32 s14, exec_lo, s8
	s_cbranch_execz .LBB1149_274
; %bb.273:
	s_ashr_i32 s10, s45, 31
	v_ashrrev_i32_e32 v68, 31, v48
	s_add_u32 s12, s44, s10
	s_mov_b32 s11, s10
	s_addc_u32 s13, s45, s10
	s_delay_alu instid0(SALU_CYCLE_1) | instskip(NEXT) | instid1(SALU_CYCLE_1)
	s_xor_b64 s[12:13], s[12:13], s[10:11]
	v_cvt_f32_u32_e32 v45, s12
	v_cvt_f32_u32_e32 v46, s13
	s_sub_u32 s8, 0, s12
	s_subb_u32 s11, 0, s13
	s_delay_alu instid0(VALU_DEP_1) | instskip(NEXT) | instid1(VALU_DEP_1)
	v_fmamk_f32 v45, v46, 0x4f800000, v45
	v_rcp_f32_e32 v45, v45
	s_waitcnt_depctr 0xfff
	v_mul_f32_e32 v45, 0x5f7ffffc, v45
	s_delay_alu instid0(VALU_DEP_1) | instskip(NEXT) | instid1(VALU_DEP_1)
	v_mul_f32_e32 v46, 0x2f800000, v45
	v_trunc_f32_e32 v46, v46
	s_delay_alu instid0(VALU_DEP_1) | instskip(SKIP_1) | instid1(VALU_DEP_2)
	v_fmamk_f32 v45, v46, 0xcf800000, v45
	v_cvt_u32_f32_e32 v46, v46
	v_cvt_u32_f32_e32 v45, v45
	s_delay_alu instid0(VALU_DEP_2) | instskip(NEXT) | instid1(VALU_DEP_2)
	v_mul_lo_u32 v50, s8, v46
	v_mul_hi_u32 v52, s8, v45
	v_mul_lo_u32 v54, s11, v45
	s_delay_alu instid0(VALU_DEP_2) | instskip(SKIP_1) | instid1(VALU_DEP_2)
	v_add_nc_u32_e32 v50, v52, v50
	v_mul_lo_u32 v52, s8, v45
	v_add_nc_u32_e32 v50, v50, v54
	s_delay_alu instid0(VALU_DEP_2) | instskip(NEXT) | instid1(VALU_DEP_2)
	v_mul_hi_u32 v54, v45, v52
	v_mul_lo_u32 v56, v45, v50
	v_mul_hi_u32 v60, v45, v50
	v_mul_hi_u32 v64, v46, v52
	v_mul_lo_u32 v52, v46, v52
	v_mul_hi_u32 v65, v46, v50
	v_mul_lo_u32 v50, v46, v50
	v_add_co_u32 v54, vcc_lo, v54, v56
	v_add_co_ci_u32_e32 v56, vcc_lo, 0, v60, vcc_lo
	s_delay_alu instid0(VALU_DEP_2) | instskip(NEXT) | instid1(VALU_DEP_2)
	v_add_co_u32 v52, vcc_lo, v54, v52
	v_add_co_ci_u32_e32 v52, vcc_lo, v56, v64, vcc_lo
	v_add_co_ci_u32_e32 v54, vcc_lo, 0, v65, vcc_lo
	s_delay_alu instid0(VALU_DEP_2) | instskip(NEXT) | instid1(VALU_DEP_2)
	v_add_co_u32 v50, vcc_lo, v52, v50
	v_add_co_ci_u32_e32 v52, vcc_lo, 0, v54, vcc_lo
	s_delay_alu instid0(VALU_DEP_2) | instskip(NEXT) | instid1(VALU_DEP_2)
	v_add_co_u32 v45, vcc_lo, v45, v50
	v_add_co_ci_u32_e32 v46, vcc_lo, v46, v52, vcc_lo
	s_delay_alu instid0(VALU_DEP_2) | instskip(SKIP_1) | instid1(VALU_DEP_3)
	v_mul_hi_u32 v50, s8, v45
	v_mul_lo_u32 v54, s11, v45
	v_mul_lo_u32 v52, s8, v46
	s_delay_alu instid0(VALU_DEP_1) | instskip(SKIP_1) | instid1(VALU_DEP_2)
	v_add_nc_u32_e32 v50, v50, v52
	v_mul_lo_u32 v52, s8, v45
	v_add_nc_u32_e32 v50, v50, v54
	s_delay_alu instid0(VALU_DEP_2) | instskip(NEXT) | instid1(VALU_DEP_2)
	v_mul_hi_u32 v54, v45, v52
	v_mul_lo_u32 v56, v45, v50
	v_mul_hi_u32 v60, v45, v50
	v_mul_hi_u32 v64, v46, v52
	v_mul_lo_u32 v52, v46, v52
	v_mul_hi_u32 v65, v46, v50
	v_mul_lo_u32 v50, v46, v50
	v_add_co_u32 v54, vcc_lo, v54, v56
	v_add_co_ci_u32_e32 v56, vcc_lo, 0, v60, vcc_lo
	s_delay_alu instid0(VALU_DEP_2) | instskip(NEXT) | instid1(VALU_DEP_2)
	v_add_co_u32 v52, vcc_lo, v54, v52
	v_add_co_ci_u32_e32 v52, vcc_lo, v56, v64, vcc_lo
	v_add_co_ci_u32_e32 v54, vcc_lo, 0, v65, vcc_lo
	v_add_co_u32 v56, vcc_lo, v47, v68
	v_add_co_ci_u32_e32 v60, vcc_lo, v48, v68, vcc_lo
	s_delay_alu instid0(VALU_DEP_4) | instskip(NEXT) | instid1(VALU_DEP_4)
	v_add_co_u32 v50, vcc_lo, v52, v50
	v_add_co_ci_u32_e32 v52, vcc_lo, 0, v54, vcc_lo
	s_delay_alu instid0(VALU_DEP_4) | instskip(NEXT) | instid1(VALU_DEP_3)
	v_xor_b32_e32 v54, v56, v68
	v_add_co_u32 v50, vcc_lo, v45, v50
	s_delay_alu instid0(VALU_DEP_3) | instskip(SKIP_1) | instid1(VALU_DEP_3)
	v_add_co_ci_u32_e32 v52, vcc_lo, v46, v52, vcc_lo
	v_xor_b32_e32 v56, v60, v68
	v_mul_hi_u32 v60, v54, v50
	s_delay_alu instid0(VALU_DEP_3) | instskip(NEXT) | instid1(VALU_DEP_3)
	v_mad_u64_u32 v[45:46], null, v54, v52, 0
	v_mad_u64_u32 v[64:65], null, v56, v50, 0
	;; [unrolled: 1-line block ×3, first 2 shown]
	s_delay_alu instid0(VALU_DEP_3) | instskip(NEXT) | instid1(VALU_DEP_4)
	v_add_co_u32 v45, vcc_lo, v60, v45
	v_add_co_ci_u32_e32 v46, vcc_lo, 0, v46, vcc_lo
	s_delay_alu instid0(VALU_DEP_2) | instskip(NEXT) | instid1(VALU_DEP_2)
	v_add_co_u32 v45, vcc_lo, v45, v64
	v_add_co_ci_u32_e32 v45, vcc_lo, v46, v65, vcc_lo
	v_add_co_ci_u32_e32 v46, vcc_lo, 0, v67, vcc_lo
	s_delay_alu instid0(VALU_DEP_2) | instskip(NEXT) | instid1(VALU_DEP_2)
	v_add_co_u32 v50, vcc_lo, v45, v66
	v_add_co_ci_u32_e32 v52, vcc_lo, 0, v46, vcc_lo
	s_delay_alu instid0(VALU_DEP_2) | instskip(SKIP_1) | instid1(VALU_DEP_3)
	v_mul_lo_u32 v60, s13, v50
	v_mad_u64_u32 v[45:46], null, s12, v50, 0
	v_mul_lo_u32 v64, s12, v52
	s_delay_alu instid0(VALU_DEP_2) | instskip(NEXT) | instid1(VALU_DEP_2)
	v_sub_co_u32 v45, vcc_lo, v54, v45
	v_add3_u32 v46, v46, v64, v60
	s_delay_alu instid0(VALU_DEP_1) | instskip(NEXT) | instid1(VALU_DEP_1)
	v_sub_nc_u32_e32 v60, v56, v46
	v_subrev_co_ci_u32_e64 v54, s8, s13, v60, vcc_lo
	v_add_co_u32 v60, s8, v50, 2
	s_delay_alu instid0(VALU_DEP_1) | instskip(SKIP_3) | instid1(VALU_DEP_3)
	v_add_co_ci_u32_e64 v64, s8, 0, v52, s8
	v_sub_co_u32 v65, s8, v45, s12
	v_sub_co_ci_u32_e32 v46, vcc_lo, v56, v46, vcc_lo
	v_subrev_co_ci_u32_e64 v54, s8, 0, v54, s8
	v_cmp_le_u32_e32 vcc_lo, s12, v65
	s_delay_alu instid0(VALU_DEP_3) | instskip(SKIP_1) | instid1(VALU_DEP_4)
	v_cmp_eq_u32_e64 s8, s13, v46
	v_cndmask_b32_e64 v56, 0, -1, vcc_lo
	v_cmp_le_u32_e32 vcc_lo, s13, v54
	v_cndmask_b32_e64 v65, 0, -1, vcc_lo
	v_cmp_le_u32_e32 vcc_lo, s12, v45
	;; [unrolled: 2-line block ×3, first 2 shown]
	v_cndmask_b32_e64 v66, 0, -1, vcc_lo
	v_cmp_eq_u32_e32 vcc_lo, s13, v54
	s_delay_alu instid0(VALU_DEP_2) | instskip(SKIP_3) | instid1(VALU_DEP_3)
	v_cndmask_b32_e64 v45, v66, v45, s8
	v_cndmask_b32_e32 v54, v65, v56, vcc_lo
	v_add_co_u32 v56, vcc_lo, v50, 1
	v_add_co_ci_u32_e32 v65, vcc_lo, 0, v52, vcc_lo
	v_cmp_ne_u32_e32 vcc_lo, 0, v54
	s_delay_alu instid0(VALU_DEP_2) | instskip(NEXT) | instid1(VALU_DEP_4)
	v_cndmask_b32_e32 v46, v65, v64, vcc_lo
	v_cndmask_b32_e32 v54, v56, v60, vcc_lo
	v_cmp_ne_u32_e32 vcc_lo, 0, v45
	v_xor_b32_e32 v56, s10, v68
	s_delay_alu instid0(VALU_DEP_4) | instskip(NEXT) | instid1(VALU_DEP_4)
	v_cndmask_b32_e32 v45, v52, v46, vcc_lo
	v_cndmask_b32_e32 v46, v50, v54, vcc_lo
	s_delay_alu instid0(VALU_DEP_2) | instskip(NEXT) | instid1(VALU_DEP_2)
	v_xor_b32_e32 v50, v45, v56
	v_xor_b32_e32 v46, v46, v56
	s_delay_alu instid0(VALU_DEP_1) | instskip(NEXT) | instid1(VALU_DEP_3)
	v_sub_co_u32 v45, vcc_lo, v46, v56
	v_sub_co_ci_u32_e32 v46, vcc_lo, v50, v56, vcc_lo
.LBB1149_274:
	s_and_not1_saveexec_b32 s8, s14
	s_cbranch_execz .LBB1149_276
; %bb.275:
	v_cvt_f32_u32_e32 v45, s44
	s_sub_i32 s10, 0, s44
	s_delay_alu instid0(VALU_DEP_1) | instskip(SKIP_2) | instid1(VALU_DEP_1)
	v_rcp_iflag_f32_e32 v45, v45
	s_waitcnt_depctr 0xfff
	v_mul_f32_e32 v45, 0x4f7ffffe, v45
	v_cvt_u32_f32_e32 v45, v45
	s_delay_alu instid0(VALU_DEP_1) | instskip(NEXT) | instid1(VALU_DEP_1)
	v_mul_lo_u32 v46, s10, v45
	v_mul_hi_u32 v46, v45, v46
	s_delay_alu instid0(VALU_DEP_1) | instskip(NEXT) | instid1(VALU_DEP_1)
	v_add_nc_u32_e32 v45, v45, v46
	v_mul_hi_u32 v45, v47, v45
	s_delay_alu instid0(VALU_DEP_1) | instskip(SKIP_1) | instid1(VALU_DEP_2)
	v_mul_lo_u32 v46, v45, s44
	v_add_nc_u32_e32 v50, 1, v45
	v_sub_nc_u32_e32 v46, v47, v46
	s_delay_alu instid0(VALU_DEP_1) | instskip(SKIP_1) | instid1(VALU_DEP_2)
	v_subrev_nc_u32_e32 v52, s44, v46
	v_cmp_le_u32_e32 vcc_lo, s44, v46
	v_dual_cndmask_b32 v46, v46, v52 :: v_dual_cndmask_b32 v45, v45, v50
	s_delay_alu instid0(VALU_DEP_1) | instskip(SKIP_1) | instid1(VALU_DEP_3)
	v_cmp_le_u32_e32 vcc_lo, s44, v46
	v_mov_b32_e32 v46, 0
	v_add_nc_u32_e32 v50, 1, v45
	s_delay_alu instid0(VALU_DEP_1)
	v_cndmask_b32_e32 v45, v45, v50, vcc_lo
.LBB1149_276:
	s_or_b32 exec_lo, exec_lo, s8
	s_delay_alu instid0(VALU_DEP_1) | instskip(NEXT) | instid1(VALU_DEP_2)
	v_mul_lo_u32 v50, v46, s44
	v_mul_lo_u32 v52, v45, s45
	v_mad_u64_u32 v[64:65], null, v45, s44, 0
	s_delay_alu instid0(VALU_DEP_1) | instskip(NEXT) | instid1(VALU_DEP_2)
	v_add3_u32 v50, v65, v52, v50
	v_sub_co_u32 v47, vcc_lo, v47, v64
	s_delay_alu instid0(VALU_DEP_2) | instskip(NEXT) | instid1(VALU_DEP_2)
	v_sub_co_ci_u32_e32 v48, vcc_lo, v48, v50, vcc_lo
	v_add_co_u32 v45, vcc_lo, v45, v47
	s_delay_alu instid0(VALU_DEP_2)
	v_add_co_ci_u32_e32 v46, vcc_lo, v46, v48, vcc_lo
	s_or_b32 exec_lo, exec_lo, s9
                                        ; implicit-def: $vgpr47_vgpr48
	s_and_saveexec_b32 s12, s7
	s_cbranch_execz .LBB1149_227
.LBB1149_277:
	v_add_co_u32 v49, s7, s30, v49
	s_delay_alu instid0(VALU_DEP_1) | instskip(SKIP_1) | instid1(VALU_DEP_2)
	v_add_co_ci_u32_e64 v50, null, s31, 0, s7
	v_mov_b32_e32 v47, 0
	v_or_b32_e32 v48, s45, v50
	s_delay_alu instid0(VALU_DEP_1) | instskip(SKIP_1) | instid1(SALU_CYCLE_1)
	v_cmp_ne_u64_e32 vcc_lo, 0, v[47:48]
                                        ; implicit-def: $vgpr47_vgpr48
	s_and_saveexec_b32 s7, vcc_lo
	s_xor_b32 s13, exec_lo, s7
	s_cbranch_execz .LBB1149_279
; %bb.278:
	s_ashr_i32 s8, s45, 31
	v_ashrrev_i32_e32 v68, 31, v50
	s_add_u32 s10, s44, s8
	s_mov_b32 s9, s8
	s_addc_u32 s11, s45, s8
	s_delay_alu instid0(SALU_CYCLE_1) | instskip(NEXT) | instid1(SALU_CYCLE_1)
	s_xor_b64 s[10:11], s[10:11], s[8:9]
	v_cvt_f32_u32_e32 v47, s10
	v_cvt_f32_u32_e32 v48, s11
	s_sub_u32 s7, 0, s10
	s_subb_u32 s9, 0, s11
	s_delay_alu instid0(VALU_DEP_1) | instskip(NEXT) | instid1(VALU_DEP_1)
	v_fmamk_f32 v47, v48, 0x4f800000, v47
	v_rcp_f32_e32 v47, v47
	s_waitcnt_depctr 0xfff
	v_mul_f32_e32 v47, 0x5f7ffffc, v47
	s_delay_alu instid0(VALU_DEP_1) | instskip(NEXT) | instid1(VALU_DEP_1)
	v_mul_f32_e32 v48, 0x2f800000, v47
	v_trunc_f32_e32 v48, v48
	s_delay_alu instid0(VALU_DEP_1) | instskip(SKIP_1) | instid1(VALU_DEP_2)
	v_fmamk_f32 v47, v48, 0xcf800000, v47
	v_cvt_u32_f32_e32 v48, v48
	v_cvt_u32_f32_e32 v47, v47
	s_delay_alu instid0(VALU_DEP_2) | instskip(NEXT) | instid1(VALU_DEP_2)
	v_mul_lo_u32 v52, s7, v48
	v_mul_hi_u32 v54, s7, v47
	v_mul_lo_u32 v56, s9, v47
	s_delay_alu instid0(VALU_DEP_2) | instskip(SKIP_1) | instid1(VALU_DEP_2)
	v_add_nc_u32_e32 v52, v54, v52
	v_mul_lo_u32 v54, s7, v47
	v_add_nc_u32_e32 v52, v52, v56
	s_delay_alu instid0(VALU_DEP_2) | instskip(NEXT) | instid1(VALU_DEP_2)
	v_mul_hi_u32 v56, v47, v54
	v_mul_lo_u32 v60, v47, v52
	v_mul_hi_u32 v64, v47, v52
	v_mul_hi_u32 v65, v48, v54
	v_mul_lo_u32 v54, v48, v54
	v_mul_hi_u32 v66, v48, v52
	v_mul_lo_u32 v52, v48, v52
	v_add_co_u32 v56, vcc_lo, v56, v60
	v_add_co_ci_u32_e32 v60, vcc_lo, 0, v64, vcc_lo
	s_delay_alu instid0(VALU_DEP_2) | instskip(NEXT) | instid1(VALU_DEP_2)
	v_add_co_u32 v54, vcc_lo, v56, v54
	v_add_co_ci_u32_e32 v54, vcc_lo, v60, v65, vcc_lo
	v_add_co_ci_u32_e32 v56, vcc_lo, 0, v66, vcc_lo
	s_delay_alu instid0(VALU_DEP_2) | instskip(NEXT) | instid1(VALU_DEP_2)
	v_add_co_u32 v52, vcc_lo, v54, v52
	v_add_co_ci_u32_e32 v54, vcc_lo, 0, v56, vcc_lo
	s_delay_alu instid0(VALU_DEP_2) | instskip(NEXT) | instid1(VALU_DEP_2)
	v_add_co_u32 v47, vcc_lo, v47, v52
	v_add_co_ci_u32_e32 v48, vcc_lo, v48, v54, vcc_lo
	s_delay_alu instid0(VALU_DEP_2) | instskip(SKIP_1) | instid1(VALU_DEP_3)
	v_mul_hi_u32 v52, s7, v47
	v_mul_lo_u32 v56, s9, v47
	v_mul_lo_u32 v54, s7, v48
	s_delay_alu instid0(VALU_DEP_1) | instskip(SKIP_1) | instid1(VALU_DEP_2)
	v_add_nc_u32_e32 v52, v52, v54
	v_mul_lo_u32 v54, s7, v47
	v_add_nc_u32_e32 v52, v52, v56
	s_delay_alu instid0(VALU_DEP_2) | instskip(NEXT) | instid1(VALU_DEP_2)
	v_mul_hi_u32 v56, v47, v54
	v_mul_lo_u32 v60, v47, v52
	v_mul_hi_u32 v64, v47, v52
	v_mul_hi_u32 v65, v48, v54
	v_mul_lo_u32 v54, v48, v54
	v_mul_hi_u32 v66, v48, v52
	v_mul_lo_u32 v52, v48, v52
	v_add_co_u32 v56, vcc_lo, v56, v60
	v_add_co_ci_u32_e32 v60, vcc_lo, 0, v64, vcc_lo
	s_delay_alu instid0(VALU_DEP_2) | instskip(NEXT) | instid1(VALU_DEP_2)
	v_add_co_u32 v54, vcc_lo, v56, v54
	v_add_co_ci_u32_e32 v54, vcc_lo, v60, v65, vcc_lo
	v_add_co_ci_u32_e32 v56, vcc_lo, 0, v66, vcc_lo
	v_add_co_u32 v60, vcc_lo, v49, v68
	v_add_co_ci_u32_e32 v64, vcc_lo, v50, v68, vcc_lo
	s_delay_alu instid0(VALU_DEP_4) | instskip(NEXT) | instid1(VALU_DEP_4)
	v_add_co_u32 v52, vcc_lo, v54, v52
	v_add_co_ci_u32_e32 v54, vcc_lo, 0, v56, vcc_lo
	s_delay_alu instid0(VALU_DEP_4) | instskip(NEXT) | instid1(VALU_DEP_3)
	v_xor_b32_e32 v56, v60, v68
	v_add_co_u32 v52, vcc_lo, v47, v52
	s_delay_alu instid0(VALU_DEP_3) | instskip(SKIP_1) | instid1(VALU_DEP_3)
	v_add_co_ci_u32_e32 v54, vcc_lo, v48, v54, vcc_lo
	v_xor_b32_e32 v60, v64, v68
	v_mul_hi_u32 v69, v56, v52
	s_delay_alu instid0(VALU_DEP_3) | instskip(NEXT) | instid1(VALU_DEP_3)
	v_mad_u64_u32 v[47:48], null, v56, v54, 0
	v_mad_u64_u32 v[64:65], null, v60, v52, 0
	;; [unrolled: 1-line block ×3, first 2 shown]
	s_delay_alu instid0(VALU_DEP_3) | instskip(NEXT) | instid1(VALU_DEP_4)
	v_add_co_u32 v47, vcc_lo, v69, v47
	v_add_co_ci_u32_e32 v48, vcc_lo, 0, v48, vcc_lo
	s_delay_alu instid0(VALU_DEP_2) | instskip(NEXT) | instid1(VALU_DEP_2)
	v_add_co_u32 v47, vcc_lo, v47, v64
	v_add_co_ci_u32_e32 v47, vcc_lo, v48, v65, vcc_lo
	v_add_co_ci_u32_e32 v48, vcc_lo, 0, v67, vcc_lo
	s_delay_alu instid0(VALU_DEP_2) | instskip(NEXT) | instid1(VALU_DEP_2)
	v_add_co_u32 v52, vcc_lo, v47, v66
	v_add_co_ci_u32_e32 v54, vcc_lo, 0, v48, vcc_lo
	s_delay_alu instid0(VALU_DEP_2) | instskip(SKIP_1) | instid1(VALU_DEP_3)
	v_mul_lo_u32 v64, s11, v52
	v_mad_u64_u32 v[47:48], null, s10, v52, 0
	v_mul_lo_u32 v65, s10, v54
	s_delay_alu instid0(VALU_DEP_2) | instskip(NEXT) | instid1(VALU_DEP_2)
	v_sub_co_u32 v47, vcc_lo, v56, v47
	v_add3_u32 v48, v48, v65, v64
	s_delay_alu instid0(VALU_DEP_1) | instskip(NEXT) | instid1(VALU_DEP_1)
	v_sub_nc_u32_e32 v64, v60, v48
	v_subrev_co_ci_u32_e64 v56, s7, s11, v64, vcc_lo
	v_add_co_u32 v64, s7, v52, 2
	s_delay_alu instid0(VALU_DEP_1) | instskip(SKIP_3) | instid1(VALU_DEP_3)
	v_add_co_ci_u32_e64 v65, s7, 0, v54, s7
	v_sub_co_u32 v66, s7, v47, s10
	v_sub_co_ci_u32_e32 v48, vcc_lo, v60, v48, vcc_lo
	v_subrev_co_ci_u32_e64 v56, s7, 0, v56, s7
	v_cmp_le_u32_e32 vcc_lo, s10, v66
	s_delay_alu instid0(VALU_DEP_3) | instskip(SKIP_1) | instid1(VALU_DEP_4)
	v_cmp_eq_u32_e64 s7, s11, v48
	v_cndmask_b32_e64 v60, 0, -1, vcc_lo
	v_cmp_le_u32_e32 vcc_lo, s11, v56
	v_cndmask_b32_e64 v66, 0, -1, vcc_lo
	v_cmp_le_u32_e32 vcc_lo, s10, v47
	;; [unrolled: 2-line block ×3, first 2 shown]
	v_cndmask_b32_e64 v67, 0, -1, vcc_lo
	v_cmp_eq_u32_e32 vcc_lo, s11, v56
	s_delay_alu instid0(VALU_DEP_2) | instskip(SKIP_3) | instid1(VALU_DEP_3)
	v_cndmask_b32_e64 v47, v67, v47, s7
	v_cndmask_b32_e32 v56, v66, v60, vcc_lo
	v_add_co_u32 v60, vcc_lo, v52, 1
	v_add_co_ci_u32_e32 v66, vcc_lo, 0, v54, vcc_lo
	v_cmp_ne_u32_e32 vcc_lo, 0, v56
	s_delay_alu instid0(VALU_DEP_2) | instskip(NEXT) | instid1(VALU_DEP_4)
	v_cndmask_b32_e32 v48, v66, v65, vcc_lo
	v_cndmask_b32_e32 v56, v60, v64, vcc_lo
	v_cmp_ne_u32_e32 vcc_lo, 0, v47
	v_xor_b32_e32 v60, s8, v68
	s_delay_alu instid0(VALU_DEP_4) | instskip(NEXT) | instid1(VALU_DEP_4)
	v_cndmask_b32_e32 v47, v54, v48, vcc_lo
	v_cndmask_b32_e32 v48, v52, v56, vcc_lo
	s_delay_alu instid0(VALU_DEP_2) | instskip(NEXT) | instid1(VALU_DEP_2)
	v_xor_b32_e32 v52, v47, v60
	v_xor_b32_e32 v48, v48, v60
	s_delay_alu instid0(VALU_DEP_1) | instskip(NEXT) | instid1(VALU_DEP_3)
	v_sub_co_u32 v47, vcc_lo, v48, v60
	v_sub_co_ci_u32_e32 v48, vcc_lo, v52, v60, vcc_lo
.LBB1149_279:
	s_and_not1_saveexec_b32 s7, s13
	s_cbranch_execz .LBB1149_281
; %bb.280:
	v_cvt_f32_u32_e32 v47, s44
	s_sub_i32 s8, 0, s44
	s_delay_alu instid0(VALU_DEP_1) | instskip(SKIP_2) | instid1(VALU_DEP_1)
	v_rcp_iflag_f32_e32 v47, v47
	s_waitcnt_depctr 0xfff
	v_mul_f32_e32 v47, 0x4f7ffffe, v47
	v_cvt_u32_f32_e32 v47, v47
	s_delay_alu instid0(VALU_DEP_1) | instskip(NEXT) | instid1(VALU_DEP_1)
	v_mul_lo_u32 v48, s8, v47
	v_mul_hi_u32 v48, v47, v48
	s_delay_alu instid0(VALU_DEP_1) | instskip(NEXT) | instid1(VALU_DEP_1)
	v_add_nc_u32_e32 v47, v47, v48
	v_mul_hi_u32 v47, v49, v47
	s_delay_alu instid0(VALU_DEP_1) | instskip(SKIP_1) | instid1(VALU_DEP_2)
	v_mul_lo_u32 v48, v47, s44
	v_add_nc_u32_e32 v52, 1, v47
	v_sub_nc_u32_e32 v48, v49, v48
	s_delay_alu instid0(VALU_DEP_1) | instskip(SKIP_1) | instid1(VALU_DEP_2)
	v_subrev_nc_u32_e32 v54, s44, v48
	v_cmp_le_u32_e32 vcc_lo, s44, v48
	v_dual_cndmask_b32 v48, v48, v54 :: v_dual_cndmask_b32 v47, v47, v52
	s_delay_alu instid0(VALU_DEP_1) | instskip(SKIP_1) | instid1(VALU_DEP_3)
	v_cmp_le_u32_e32 vcc_lo, s44, v48
	v_mov_b32_e32 v48, 0
	v_add_nc_u32_e32 v52, 1, v47
	s_delay_alu instid0(VALU_DEP_1)
	v_cndmask_b32_e32 v47, v47, v52, vcc_lo
.LBB1149_281:
	s_or_b32 exec_lo, exec_lo, s7
	s_delay_alu instid0(VALU_DEP_1) | instskip(NEXT) | instid1(VALU_DEP_2)
	v_mul_lo_u32 v52, v48, s44
	v_mul_lo_u32 v54, v47, s45
	v_mad_u64_u32 v[64:65], null, v47, s44, 0
	s_delay_alu instid0(VALU_DEP_1) | instskip(NEXT) | instid1(VALU_DEP_2)
	v_add3_u32 v52, v65, v54, v52
	v_sub_co_u32 v49, vcc_lo, v49, v64
	s_delay_alu instid0(VALU_DEP_2) | instskip(NEXT) | instid1(VALU_DEP_2)
	v_sub_co_ci_u32_e32 v50, vcc_lo, v50, v52, vcc_lo
	v_add_co_u32 v47, vcc_lo, v47, v49
	s_delay_alu instid0(VALU_DEP_2)
	v_add_co_ci_u32_e32 v48, vcc_lo, v48, v50, vcc_lo
	s_or_b32 exec_lo, exec_lo, s12
                                        ; implicit-def: $vgpr49_vgpr50
	s_and_saveexec_b32 s7, s6
	s_cbranch_execz .LBB1149_228
.LBB1149_282:
	v_add_co_u32 v51, s6, s30, v51
	s_delay_alu instid0(VALU_DEP_1) | instskip(SKIP_1) | instid1(VALU_DEP_2)
	v_add_co_ci_u32_e64 v52, null, s31, 0, s6
	v_mov_b32_e32 v49, 0
	v_or_b32_e32 v50, s45, v52
	s_delay_alu instid0(VALU_DEP_1) | instskip(SKIP_1) | instid1(SALU_CYCLE_1)
	v_cmp_ne_u64_e32 vcc_lo, 0, v[49:50]
                                        ; implicit-def: $vgpr49_vgpr50
	s_and_saveexec_b32 s6, vcc_lo
	s_xor_b32 s12, exec_lo, s6
	s_cbranch_execz .LBB1149_284
; %bb.283:
	s_ashr_i32 s8, s45, 31
	v_ashrrev_i32_e32 v68, 31, v52
	s_add_u32 s10, s44, s8
	s_mov_b32 s9, s8
	s_addc_u32 s11, s45, s8
	s_delay_alu instid0(SALU_CYCLE_1) | instskip(NEXT) | instid1(SALU_CYCLE_1)
	s_xor_b64 s[10:11], s[10:11], s[8:9]
	v_cvt_f32_u32_e32 v49, s10
	v_cvt_f32_u32_e32 v50, s11
	s_sub_u32 s6, 0, s10
	s_subb_u32 s9, 0, s11
	s_delay_alu instid0(VALU_DEP_1) | instskip(NEXT) | instid1(VALU_DEP_1)
	v_fmamk_f32 v49, v50, 0x4f800000, v49
	v_rcp_f32_e32 v49, v49
	s_waitcnt_depctr 0xfff
	v_mul_f32_e32 v49, 0x5f7ffffc, v49
	s_delay_alu instid0(VALU_DEP_1) | instskip(NEXT) | instid1(VALU_DEP_1)
	v_mul_f32_e32 v50, 0x2f800000, v49
	v_trunc_f32_e32 v50, v50
	s_delay_alu instid0(VALU_DEP_1) | instskip(SKIP_1) | instid1(VALU_DEP_2)
	v_fmamk_f32 v49, v50, 0xcf800000, v49
	v_cvt_u32_f32_e32 v50, v50
	v_cvt_u32_f32_e32 v49, v49
	s_delay_alu instid0(VALU_DEP_2) | instskip(NEXT) | instid1(VALU_DEP_2)
	v_mul_lo_u32 v54, s6, v50
	v_mul_hi_u32 v56, s6, v49
	v_mul_lo_u32 v60, s9, v49
	s_delay_alu instid0(VALU_DEP_2) | instskip(SKIP_1) | instid1(VALU_DEP_2)
	v_add_nc_u32_e32 v54, v56, v54
	v_mul_lo_u32 v56, s6, v49
	v_add_nc_u32_e32 v54, v54, v60
	s_delay_alu instid0(VALU_DEP_2) | instskip(NEXT) | instid1(VALU_DEP_2)
	v_mul_hi_u32 v60, v49, v56
	v_mul_lo_u32 v64, v49, v54
	v_mul_hi_u32 v65, v49, v54
	v_mul_hi_u32 v66, v50, v56
	v_mul_lo_u32 v56, v50, v56
	v_mul_hi_u32 v67, v50, v54
	v_mul_lo_u32 v54, v50, v54
	v_add_co_u32 v60, vcc_lo, v60, v64
	v_add_co_ci_u32_e32 v64, vcc_lo, 0, v65, vcc_lo
	s_delay_alu instid0(VALU_DEP_2) | instskip(NEXT) | instid1(VALU_DEP_2)
	v_add_co_u32 v56, vcc_lo, v60, v56
	v_add_co_ci_u32_e32 v56, vcc_lo, v64, v66, vcc_lo
	v_add_co_ci_u32_e32 v60, vcc_lo, 0, v67, vcc_lo
	s_delay_alu instid0(VALU_DEP_2) | instskip(NEXT) | instid1(VALU_DEP_2)
	v_add_co_u32 v54, vcc_lo, v56, v54
	v_add_co_ci_u32_e32 v56, vcc_lo, 0, v60, vcc_lo
	s_delay_alu instid0(VALU_DEP_2) | instskip(NEXT) | instid1(VALU_DEP_2)
	v_add_co_u32 v49, vcc_lo, v49, v54
	v_add_co_ci_u32_e32 v50, vcc_lo, v50, v56, vcc_lo
	s_delay_alu instid0(VALU_DEP_2) | instskip(SKIP_1) | instid1(VALU_DEP_3)
	v_mul_hi_u32 v54, s6, v49
	v_mul_lo_u32 v60, s9, v49
	v_mul_lo_u32 v56, s6, v50
	s_delay_alu instid0(VALU_DEP_1) | instskip(SKIP_1) | instid1(VALU_DEP_2)
	v_add_nc_u32_e32 v54, v54, v56
	v_mul_lo_u32 v56, s6, v49
	v_add_nc_u32_e32 v54, v54, v60
	s_delay_alu instid0(VALU_DEP_2) | instskip(NEXT) | instid1(VALU_DEP_2)
	v_mul_hi_u32 v60, v49, v56
	v_mul_lo_u32 v64, v49, v54
	v_mul_hi_u32 v65, v49, v54
	v_mul_hi_u32 v66, v50, v56
	v_mul_lo_u32 v56, v50, v56
	v_mul_hi_u32 v67, v50, v54
	v_mul_lo_u32 v54, v50, v54
	v_add_co_u32 v60, vcc_lo, v60, v64
	v_add_co_ci_u32_e32 v64, vcc_lo, 0, v65, vcc_lo
	s_delay_alu instid0(VALU_DEP_2) | instskip(NEXT) | instid1(VALU_DEP_2)
	v_add_co_u32 v56, vcc_lo, v60, v56
	v_add_co_ci_u32_e32 v56, vcc_lo, v64, v66, vcc_lo
	v_add_co_ci_u32_e32 v60, vcc_lo, 0, v67, vcc_lo
	v_add_co_u32 v64, vcc_lo, v51, v68
	v_add_co_ci_u32_e32 v65, vcc_lo, v52, v68, vcc_lo
	s_delay_alu instid0(VALU_DEP_4) | instskip(NEXT) | instid1(VALU_DEP_4)
	v_add_co_u32 v54, vcc_lo, v56, v54
	v_add_co_ci_u32_e32 v56, vcc_lo, 0, v60, vcc_lo
	s_delay_alu instid0(VALU_DEP_4) | instskip(NEXT) | instid1(VALU_DEP_3)
	v_xor_b32_e32 v60, v64, v68
	v_add_co_u32 v54, vcc_lo, v49, v54
	s_delay_alu instid0(VALU_DEP_3) | instskip(SKIP_1) | instid1(VALU_DEP_3)
	v_add_co_ci_u32_e32 v56, vcc_lo, v50, v56, vcc_lo
	v_xor_b32_e32 v69, v65, v68
	v_mul_hi_u32 v70, v60, v54
	s_delay_alu instid0(VALU_DEP_3) | instskip(NEXT) | instid1(VALU_DEP_3)
	v_mad_u64_u32 v[49:50], null, v60, v56, 0
	v_mad_u64_u32 v[64:65], null, v69, v54, 0
	;; [unrolled: 1-line block ×3, first 2 shown]
	s_delay_alu instid0(VALU_DEP_3) | instskip(NEXT) | instid1(VALU_DEP_4)
	v_add_co_u32 v49, vcc_lo, v70, v49
	v_add_co_ci_u32_e32 v50, vcc_lo, 0, v50, vcc_lo
	s_delay_alu instid0(VALU_DEP_2) | instskip(NEXT) | instid1(VALU_DEP_2)
	v_add_co_u32 v49, vcc_lo, v49, v64
	v_add_co_ci_u32_e32 v49, vcc_lo, v50, v65, vcc_lo
	v_add_co_ci_u32_e32 v50, vcc_lo, 0, v67, vcc_lo
	s_delay_alu instid0(VALU_DEP_2) | instskip(NEXT) | instid1(VALU_DEP_2)
	v_add_co_u32 v54, vcc_lo, v49, v66
	v_add_co_ci_u32_e32 v56, vcc_lo, 0, v50, vcc_lo
	s_delay_alu instid0(VALU_DEP_2) | instskip(SKIP_1) | instid1(VALU_DEP_3)
	v_mul_lo_u32 v64, s11, v54
	v_mad_u64_u32 v[49:50], null, s10, v54, 0
	v_mul_lo_u32 v65, s10, v56
	s_delay_alu instid0(VALU_DEP_2) | instskip(NEXT) | instid1(VALU_DEP_2)
	v_sub_co_u32 v49, vcc_lo, v60, v49
	v_add3_u32 v50, v50, v65, v64
	s_delay_alu instid0(VALU_DEP_1) | instskip(NEXT) | instid1(VALU_DEP_1)
	v_sub_nc_u32_e32 v64, v69, v50
	v_subrev_co_ci_u32_e64 v60, s6, s11, v64, vcc_lo
	v_add_co_u32 v64, s6, v54, 2
	s_delay_alu instid0(VALU_DEP_1) | instskip(SKIP_3) | instid1(VALU_DEP_3)
	v_add_co_ci_u32_e64 v65, s6, 0, v56, s6
	v_sub_co_u32 v66, s6, v49, s10
	v_sub_co_ci_u32_e32 v50, vcc_lo, v69, v50, vcc_lo
	v_subrev_co_ci_u32_e64 v60, s6, 0, v60, s6
	v_cmp_le_u32_e32 vcc_lo, s10, v66
	s_delay_alu instid0(VALU_DEP_3) | instskip(SKIP_1) | instid1(VALU_DEP_4)
	v_cmp_eq_u32_e64 s6, s11, v50
	v_cndmask_b32_e64 v66, 0, -1, vcc_lo
	v_cmp_le_u32_e32 vcc_lo, s11, v60
	v_cndmask_b32_e64 v67, 0, -1, vcc_lo
	v_cmp_le_u32_e32 vcc_lo, s10, v49
	;; [unrolled: 2-line block ×3, first 2 shown]
	v_cndmask_b32_e64 v69, 0, -1, vcc_lo
	v_cmp_eq_u32_e32 vcc_lo, s11, v60
	s_delay_alu instid0(VALU_DEP_2) | instskip(SKIP_3) | instid1(VALU_DEP_3)
	v_cndmask_b32_e64 v49, v69, v49, s6
	v_cndmask_b32_e32 v60, v67, v66, vcc_lo
	v_add_co_u32 v66, vcc_lo, v54, 1
	v_add_co_ci_u32_e32 v67, vcc_lo, 0, v56, vcc_lo
	v_cmp_ne_u32_e32 vcc_lo, 0, v60
	s_delay_alu instid0(VALU_DEP_2) | instskip(NEXT) | instid1(VALU_DEP_4)
	v_cndmask_b32_e32 v50, v67, v65, vcc_lo
	v_cndmask_b32_e32 v60, v66, v64, vcc_lo
	v_cmp_ne_u32_e32 vcc_lo, 0, v49
	v_xor_b32_e32 v64, s8, v68
	s_delay_alu instid0(VALU_DEP_3) | instskip(NEXT) | instid1(VALU_DEP_1)
	v_dual_cndmask_b32 v49, v56, v50 :: v_dual_cndmask_b32 v50, v54, v60
	v_xor_b32_e32 v54, v49, v64
	s_delay_alu instid0(VALU_DEP_2) | instskip(NEXT) | instid1(VALU_DEP_1)
	v_xor_b32_e32 v50, v50, v64
	v_sub_co_u32 v49, vcc_lo, v50, v64
	s_delay_alu instid0(VALU_DEP_3)
	v_sub_co_ci_u32_e32 v50, vcc_lo, v54, v64, vcc_lo
.LBB1149_284:
	s_and_not1_saveexec_b32 s6, s12
	s_cbranch_execz .LBB1149_286
; %bb.285:
	v_cvt_f32_u32_e32 v49, s44
	s_sub_i32 s8, 0, s44
	s_delay_alu instid0(VALU_DEP_1) | instskip(SKIP_2) | instid1(VALU_DEP_1)
	v_rcp_iflag_f32_e32 v49, v49
	s_waitcnt_depctr 0xfff
	v_mul_f32_e32 v49, 0x4f7ffffe, v49
	v_cvt_u32_f32_e32 v49, v49
	s_delay_alu instid0(VALU_DEP_1) | instskip(NEXT) | instid1(VALU_DEP_1)
	v_mul_lo_u32 v50, s8, v49
	v_mul_hi_u32 v50, v49, v50
	s_delay_alu instid0(VALU_DEP_1) | instskip(NEXT) | instid1(VALU_DEP_1)
	v_add_nc_u32_e32 v49, v49, v50
	v_mul_hi_u32 v49, v51, v49
	s_delay_alu instid0(VALU_DEP_1) | instskip(SKIP_1) | instid1(VALU_DEP_2)
	v_mul_lo_u32 v50, v49, s44
	v_add_nc_u32_e32 v54, 1, v49
	v_sub_nc_u32_e32 v50, v51, v50
	s_delay_alu instid0(VALU_DEP_1) | instskip(SKIP_1) | instid1(VALU_DEP_2)
	v_subrev_nc_u32_e32 v56, s44, v50
	v_cmp_le_u32_e32 vcc_lo, s44, v50
	v_dual_cndmask_b32 v50, v50, v56 :: v_dual_cndmask_b32 v49, v49, v54
	s_delay_alu instid0(VALU_DEP_1) | instskip(SKIP_1) | instid1(VALU_DEP_3)
	v_cmp_le_u32_e32 vcc_lo, s44, v50
	v_mov_b32_e32 v50, 0
	v_add_nc_u32_e32 v54, 1, v49
	s_delay_alu instid0(VALU_DEP_1)
	v_cndmask_b32_e32 v49, v49, v54, vcc_lo
.LBB1149_286:
	s_or_b32 exec_lo, exec_lo, s6
	s_delay_alu instid0(VALU_DEP_1) | instskip(NEXT) | instid1(VALU_DEP_2)
	v_mul_lo_u32 v54, v50, s44
	v_mul_lo_u32 v56, v49, s45
	v_mad_u64_u32 v[64:65], null, v49, s44, 0
	s_delay_alu instid0(VALU_DEP_1) | instskip(NEXT) | instid1(VALU_DEP_2)
	v_add3_u32 v54, v65, v56, v54
	v_sub_co_u32 v51, vcc_lo, v51, v64
	s_delay_alu instid0(VALU_DEP_2) | instskip(NEXT) | instid1(VALU_DEP_2)
	v_sub_co_ci_u32_e32 v52, vcc_lo, v52, v54, vcc_lo
	v_add_co_u32 v49, vcc_lo, v49, v51
	s_delay_alu instid0(VALU_DEP_2)
	v_add_co_ci_u32_e32 v50, vcc_lo, v50, v52, vcc_lo
	s_or_b32 exec_lo, exec_lo, s7
                                        ; implicit-def: $vgpr51_vgpr52
	s_and_saveexec_b32 s10, s5
	s_cbranch_execz .LBB1149_229
.LBB1149_287:
	v_add_co_u32 v53, s5, s30, v53
	s_delay_alu instid0(VALU_DEP_1) | instskip(SKIP_1) | instid1(VALU_DEP_2)
	v_add_co_ci_u32_e64 v54, null, s31, 0, s5
	v_mov_b32_e32 v51, 0
	v_or_b32_e32 v52, s45, v54
	s_delay_alu instid0(VALU_DEP_1) | instskip(SKIP_1) | instid1(SALU_CYCLE_1)
	v_cmp_ne_u64_e32 vcc_lo, 0, v[51:52]
                                        ; implicit-def: $vgpr51_vgpr52
	s_and_saveexec_b32 s5, vcc_lo
	s_xor_b32 s11, exec_lo, s5
	s_cbranch_execz .LBB1149_289
; %bb.288:
	s_ashr_i32 s6, s45, 31
	s_delay_alu instid0(SALU_CYCLE_1) | instskip(SKIP_2) | instid1(SALU_CYCLE_1)
	s_add_u32 s8, s44, s6
	s_mov_b32 s7, s6
	s_addc_u32 s9, s45, s6
	s_xor_b64 s[8:9], s[8:9], s[6:7]
	s_delay_alu instid0(SALU_CYCLE_1) | instskip(SKIP_3) | instid1(VALU_DEP_1)
	v_cvt_f32_u32_e32 v51, s8
	v_cvt_f32_u32_e32 v52, s9
	s_sub_u32 s5, 0, s8
	s_subb_u32 s7, 0, s9
	v_fmamk_f32 v51, v52, 0x4f800000, v51
	s_delay_alu instid0(VALU_DEP_1) | instskip(SKIP_2) | instid1(VALU_DEP_1)
	v_rcp_f32_e32 v51, v51
	s_waitcnt_depctr 0xfff
	v_mul_f32_e32 v51, 0x5f7ffffc, v51
	v_mul_f32_e32 v52, 0x2f800000, v51
	s_delay_alu instid0(VALU_DEP_1) | instskip(NEXT) | instid1(VALU_DEP_1)
	v_trunc_f32_e32 v52, v52
	v_fmamk_f32 v51, v52, 0xcf800000, v51
	v_cvt_u32_f32_e32 v52, v52
	s_delay_alu instid0(VALU_DEP_2) | instskip(NEXT) | instid1(VALU_DEP_2)
	v_cvt_u32_f32_e32 v51, v51
	v_mul_lo_u32 v56, s5, v52
	s_delay_alu instid0(VALU_DEP_2) | instskip(SKIP_1) | instid1(VALU_DEP_2)
	v_mul_hi_u32 v60, s5, v51
	v_mul_lo_u32 v64, s7, v51
	v_add_nc_u32_e32 v56, v60, v56
	v_mul_lo_u32 v60, s5, v51
	s_delay_alu instid0(VALU_DEP_2) | instskip(NEXT) | instid1(VALU_DEP_2)
	v_add_nc_u32_e32 v56, v56, v64
	v_mul_hi_u32 v64, v51, v60
	s_delay_alu instid0(VALU_DEP_2)
	v_mul_lo_u32 v65, v51, v56
	v_mul_hi_u32 v66, v51, v56
	v_mul_hi_u32 v67, v52, v60
	v_mul_lo_u32 v60, v52, v60
	v_mul_hi_u32 v68, v52, v56
	v_mul_lo_u32 v56, v52, v56
	v_add_co_u32 v64, vcc_lo, v64, v65
	v_add_co_ci_u32_e32 v65, vcc_lo, 0, v66, vcc_lo
	s_delay_alu instid0(VALU_DEP_2) | instskip(NEXT) | instid1(VALU_DEP_2)
	v_add_co_u32 v60, vcc_lo, v64, v60
	v_add_co_ci_u32_e32 v60, vcc_lo, v65, v67, vcc_lo
	v_add_co_ci_u32_e32 v64, vcc_lo, 0, v68, vcc_lo
	v_ashrrev_i32_e32 v68, 31, v54
	s_delay_alu instid0(VALU_DEP_3) | instskip(NEXT) | instid1(VALU_DEP_3)
	v_add_co_u32 v56, vcc_lo, v60, v56
	v_add_co_ci_u32_e32 v60, vcc_lo, 0, v64, vcc_lo
	s_delay_alu instid0(VALU_DEP_2) | instskip(NEXT) | instid1(VALU_DEP_2)
	v_add_co_u32 v51, vcc_lo, v51, v56
	v_add_co_ci_u32_e32 v52, vcc_lo, v52, v60, vcc_lo
	s_delay_alu instid0(VALU_DEP_2) | instskip(SKIP_1) | instid1(VALU_DEP_3)
	v_mul_hi_u32 v56, s5, v51
	v_mul_lo_u32 v64, s7, v51
	v_mul_lo_u32 v60, s5, v52
	s_delay_alu instid0(VALU_DEP_1) | instskip(SKIP_1) | instid1(VALU_DEP_2)
	v_add_nc_u32_e32 v56, v56, v60
	v_mul_lo_u32 v60, s5, v51
	v_add_nc_u32_e32 v56, v56, v64
	s_delay_alu instid0(VALU_DEP_2) | instskip(NEXT) | instid1(VALU_DEP_2)
	v_mul_hi_u32 v64, v51, v60
	v_mul_lo_u32 v65, v51, v56
	v_mul_hi_u32 v66, v51, v56
	v_mul_hi_u32 v67, v52, v60
	v_mul_lo_u32 v60, v52, v60
	v_mul_hi_u32 v69, v52, v56
	v_mul_lo_u32 v56, v52, v56
	v_add_co_u32 v64, vcc_lo, v64, v65
	v_add_co_ci_u32_e32 v65, vcc_lo, 0, v66, vcc_lo
	s_delay_alu instid0(VALU_DEP_2) | instskip(NEXT) | instid1(VALU_DEP_2)
	v_add_co_u32 v60, vcc_lo, v64, v60
	v_add_co_ci_u32_e32 v60, vcc_lo, v65, v67, vcc_lo
	v_add_co_ci_u32_e32 v64, vcc_lo, 0, v69, vcc_lo
	v_add_co_u32 v65, vcc_lo, v53, v68
	v_add_co_ci_u32_e32 v66, vcc_lo, v54, v68, vcc_lo
	s_delay_alu instid0(VALU_DEP_4) | instskip(NEXT) | instid1(VALU_DEP_4)
	v_add_co_u32 v56, vcc_lo, v60, v56
	v_add_co_ci_u32_e32 v60, vcc_lo, 0, v64, vcc_lo
	s_delay_alu instid0(VALU_DEP_4) | instskip(NEXT) | instid1(VALU_DEP_3)
	v_xor_b32_e32 v69, v65, v68
	v_add_co_u32 v56, vcc_lo, v51, v56
	s_delay_alu instid0(VALU_DEP_3) | instskip(SKIP_1) | instid1(VALU_DEP_3)
	v_add_co_ci_u32_e32 v60, vcc_lo, v52, v60, vcc_lo
	v_xor_b32_e32 v70, v66, v68
	v_mul_hi_u32 v71, v69, v56
	s_delay_alu instid0(VALU_DEP_3) | instskip(NEXT) | instid1(VALU_DEP_3)
	v_mad_u64_u32 v[51:52], null, v69, v60, 0
	v_mad_u64_u32 v[64:65], null, v70, v56, 0
	;; [unrolled: 1-line block ×3, first 2 shown]
	s_delay_alu instid0(VALU_DEP_3) | instskip(NEXT) | instid1(VALU_DEP_4)
	v_add_co_u32 v51, vcc_lo, v71, v51
	v_add_co_ci_u32_e32 v52, vcc_lo, 0, v52, vcc_lo
	s_delay_alu instid0(VALU_DEP_2) | instskip(NEXT) | instid1(VALU_DEP_2)
	v_add_co_u32 v51, vcc_lo, v51, v64
	v_add_co_ci_u32_e32 v51, vcc_lo, v52, v65, vcc_lo
	v_add_co_ci_u32_e32 v52, vcc_lo, 0, v67, vcc_lo
	s_delay_alu instid0(VALU_DEP_2) | instskip(NEXT) | instid1(VALU_DEP_2)
	v_add_co_u32 v56, vcc_lo, v51, v66
	v_add_co_ci_u32_e32 v60, vcc_lo, 0, v52, vcc_lo
	s_delay_alu instid0(VALU_DEP_2) | instskip(SKIP_1) | instid1(VALU_DEP_3)
	v_mul_lo_u32 v64, s9, v56
	v_mad_u64_u32 v[51:52], null, s8, v56, 0
	v_mul_lo_u32 v65, s8, v60
	s_delay_alu instid0(VALU_DEP_2) | instskip(NEXT) | instid1(VALU_DEP_2)
	v_sub_co_u32 v51, vcc_lo, v69, v51
	v_add3_u32 v52, v52, v65, v64
	s_delay_alu instid0(VALU_DEP_1) | instskip(NEXT) | instid1(VALU_DEP_1)
	v_sub_nc_u32_e32 v64, v70, v52
	v_subrev_co_ci_u32_e64 v64, s5, s9, v64, vcc_lo
	v_add_co_u32 v65, s5, v56, 2
	s_delay_alu instid0(VALU_DEP_1) | instskip(SKIP_3) | instid1(VALU_DEP_3)
	v_add_co_ci_u32_e64 v66, s5, 0, v60, s5
	v_sub_co_u32 v67, s5, v51, s8
	v_sub_co_ci_u32_e32 v52, vcc_lo, v70, v52, vcc_lo
	v_subrev_co_ci_u32_e64 v64, s5, 0, v64, s5
	v_cmp_le_u32_e32 vcc_lo, s8, v67
	s_delay_alu instid0(VALU_DEP_3) | instskip(SKIP_1) | instid1(VALU_DEP_4)
	v_cmp_eq_u32_e64 s5, s9, v52
	v_cndmask_b32_e64 v67, 0, -1, vcc_lo
	v_cmp_le_u32_e32 vcc_lo, s9, v64
	v_cndmask_b32_e64 v69, 0, -1, vcc_lo
	v_cmp_le_u32_e32 vcc_lo, s8, v51
	;; [unrolled: 2-line block ×3, first 2 shown]
	v_cndmask_b32_e64 v70, 0, -1, vcc_lo
	v_cmp_eq_u32_e32 vcc_lo, s9, v64
	s_delay_alu instid0(VALU_DEP_2) | instskip(SKIP_3) | instid1(VALU_DEP_3)
	v_cndmask_b32_e64 v51, v70, v51, s5
	v_cndmask_b32_e32 v64, v69, v67, vcc_lo
	v_add_co_u32 v67, vcc_lo, v56, 1
	v_add_co_ci_u32_e32 v69, vcc_lo, 0, v60, vcc_lo
	v_cmp_ne_u32_e32 vcc_lo, 0, v64
	s_delay_alu instid0(VALU_DEP_2) | instskip(NEXT) | instid1(VALU_DEP_4)
	v_cndmask_b32_e32 v52, v69, v66, vcc_lo
	v_cndmask_b32_e32 v64, v67, v65, vcc_lo
	v_cmp_ne_u32_e32 vcc_lo, 0, v51
	v_xor_b32_e32 v65, s6, v68
	s_delay_alu instid0(VALU_DEP_4) | instskip(NEXT) | instid1(VALU_DEP_4)
	v_cndmask_b32_e32 v51, v60, v52, vcc_lo
	v_cndmask_b32_e32 v52, v56, v64, vcc_lo
	s_delay_alu instid0(VALU_DEP_2) | instskip(NEXT) | instid1(VALU_DEP_2)
	v_xor_b32_e32 v56, v51, v65
	v_xor_b32_e32 v52, v52, v65
	s_delay_alu instid0(VALU_DEP_1) | instskip(NEXT) | instid1(VALU_DEP_3)
	v_sub_co_u32 v51, vcc_lo, v52, v65
	v_sub_co_ci_u32_e32 v52, vcc_lo, v56, v65, vcc_lo
.LBB1149_289:
	s_and_not1_saveexec_b32 s5, s11
	s_cbranch_execz .LBB1149_291
; %bb.290:
	v_cvt_f32_u32_e32 v51, s44
	s_sub_i32 s6, 0, s44
	s_delay_alu instid0(VALU_DEP_1) | instskip(SKIP_2) | instid1(VALU_DEP_1)
	v_rcp_iflag_f32_e32 v51, v51
	s_waitcnt_depctr 0xfff
	v_mul_f32_e32 v51, 0x4f7ffffe, v51
	v_cvt_u32_f32_e32 v51, v51
	s_delay_alu instid0(VALU_DEP_1) | instskip(NEXT) | instid1(VALU_DEP_1)
	v_mul_lo_u32 v52, s6, v51
	v_mul_hi_u32 v52, v51, v52
	s_delay_alu instid0(VALU_DEP_1) | instskip(NEXT) | instid1(VALU_DEP_1)
	v_add_nc_u32_e32 v51, v51, v52
	v_mul_hi_u32 v51, v53, v51
	s_delay_alu instid0(VALU_DEP_1) | instskip(SKIP_1) | instid1(VALU_DEP_2)
	v_mul_lo_u32 v52, v51, s44
	v_add_nc_u32_e32 v56, 1, v51
	v_sub_nc_u32_e32 v52, v53, v52
	s_delay_alu instid0(VALU_DEP_1) | instskip(SKIP_1) | instid1(VALU_DEP_2)
	v_subrev_nc_u32_e32 v60, s44, v52
	v_cmp_le_u32_e32 vcc_lo, s44, v52
	v_cndmask_b32_e32 v52, v52, v60, vcc_lo
	v_cndmask_b32_e32 v51, v51, v56, vcc_lo
	s_delay_alu instid0(VALU_DEP_2) | instskip(SKIP_1) | instid1(VALU_DEP_3)
	v_cmp_le_u32_e32 vcc_lo, s44, v52
	v_mov_b32_e32 v52, 0
	v_add_nc_u32_e32 v56, 1, v51
	s_delay_alu instid0(VALU_DEP_1)
	v_cndmask_b32_e32 v51, v51, v56, vcc_lo
.LBB1149_291:
	s_or_b32 exec_lo, exec_lo, s5
	s_delay_alu instid0(VALU_DEP_1) | instskip(NEXT) | instid1(VALU_DEP_2)
	v_mul_lo_u32 v56, v52, s44
	v_mul_lo_u32 v60, v51, s45
	v_mad_u64_u32 v[64:65], null, v51, s44, 0
	s_delay_alu instid0(VALU_DEP_1) | instskip(NEXT) | instid1(VALU_DEP_2)
	v_add3_u32 v56, v65, v60, v56
	v_sub_co_u32 v53, vcc_lo, v53, v64
	s_delay_alu instid0(VALU_DEP_2) | instskip(NEXT) | instid1(VALU_DEP_2)
	v_sub_co_ci_u32_e32 v54, vcc_lo, v54, v56, vcc_lo
	v_add_co_u32 v51, vcc_lo, v51, v53
	s_delay_alu instid0(VALU_DEP_2)
	v_add_co_ci_u32_e32 v52, vcc_lo, v52, v54, vcc_lo
	s_or_b32 exec_lo, exec_lo, s10
                                        ; implicit-def: $vgpr53_vgpr54
	s_and_saveexec_b32 s5, s4
	s_cbranch_execz .LBB1149_230
.LBB1149_292:
	v_add_co_u32 v55, s4, s30, v55
	s_delay_alu instid0(VALU_DEP_1) | instskip(SKIP_1) | instid1(VALU_DEP_2)
	v_add_co_ci_u32_e64 v56, null, s31, 0, s4
	v_mov_b32_e32 v53, 0
	v_or_b32_e32 v54, s45, v56
	s_delay_alu instid0(VALU_DEP_1) | instskip(SKIP_1) | instid1(SALU_CYCLE_1)
	v_cmp_ne_u64_e32 vcc_lo, 0, v[53:54]
                                        ; implicit-def: $vgpr53_vgpr54
	s_and_saveexec_b32 s4, vcc_lo
	s_xor_b32 s10, exec_lo, s4
	s_cbranch_execz .LBB1149_294
; %bb.293:
	s_ashr_i32 s6, s45, 31
	s_delay_alu instid0(SALU_CYCLE_1) | instskip(SKIP_2) | instid1(SALU_CYCLE_1)
	s_add_u32 s8, s44, s6
	s_mov_b32 s7, s6
	s_addc_u32 s9, s45, s6
	s_xor_b64 s[8:9], s[8:9], s[6:7]
	s_delay_alu instid0(SALU_CYCLE_1) | instskip(SKIP_3) | instid1(VALU_DEP_1)
	v_cvt_f32_u32_e32 v53, s8
	v_cvt_f32_u32_e32 v54, s9
	s_sub_u32 s4, 0, s8
	s_subb_u32 s7, 0, s9
	v_fmamk_f32 v53, v54, 0x4f800000, v53
	s_delay_alu instid0(VALU_DEP_1) | instskip(SKIP_2) | instid1(VALU_DEP_1)
	v_rcp_f32_e32 v53, v53
	s_waitcnt_depctr 0xfff
	v_mul_f32_e32 v53, 0x5f7ffffc, v53
	v_mul_f32_e32 v54, 0x2f800000, v53
	s_delay_alu instid0(VALU_DEP_1) | instskip(NEXT) | instid1(VALU_DEP_1)
	v_trunc_f32_e32 v54, v54
	v_fmamk_f32 v53, v54, 0xcf800000, v53
	v_cvt_u32_f32_e32 v54, v54
	s_delay_alu instid0(VALU_DEP_2) | instskip(NEXT) | instid1(VALU_DEP_2)
	v_cvt_u32_f32_e32 v53, v53
	v_mul_lo_u32 v60, s4, v54
	s_delay_alu instid0(VALU_DEP_2) | instskip(SKIP_1) | instid1(VALU_DEP_2)
	v_mul_hi_u32 v64, s4, v53
	v_mul_lo_u32 v65, s7, v53
	v_add_nc_u32_e32 v60, v64, v60
	v_mul_lo_u32 v64, s4, v53
	s_delay_alu instid0(VALU_DEP_2) | instskip(NEXT) | instid1(VALU_DEP_2)
	v_add_nc_u32_e32 v60, v60, v65
	v_mul_hi_u32 v65, v53, v64
	s_delay_alu instid0(VALU_DEP_2)
	v_mul_lo_u32 v66, v53, v60
	v_mul_hi_u32 v67, v53, v60
	v_mul_hi_u32 v68, v54, v64
	v_mul_lo_u32 v64, v54, v64
	v_mul_hi_u32 v69, v54, v60
	v_mul_lo_u32 v60, v54, v60
	v_add_co_u32 v65, vcc_lo, v65, v66
	v_add_co_ci_u32_e32 v66, vcc_lo, 0, v67, vcc_lo
	s_delay_alu instid0(VALU_DEP_2) | instskip(NEXT) | instid1(VALU_DEP_2)
	v_add_co_u32 v64, vcc_lo, v65, v64
	v_add_co_ci_u32_e32 v64, vcc_lo, v66, v68, vcc_lo
	v_add_co_ci_u32_e32 v65, vcc_lo, 0, v69, vcc_lo
	v_ashrrev_i32_e32 v68, 31, v56
	s_delay_alu instid0(VALU_DEP_3) | instskip(NEXT) | instid1(VALU_DEP_3)
	v_add_co_u32 v60, vcc_lo, v64, v60
	v_add_co_ci_u32_e32 v64, vcc_lo, 0, v65, vcc_lo
	s_delay_alu instid0(VALU_DEP_2) | instskip(NEXT) | instid1(VALU_DEP_2)
	v_add_co_u32 v53, vcc_lo, v53, v60
	v_add_co_ci_u32_e32 v54, vcc_lo, v54, v64, vcc_lo
	s_delay_alu instid0(VALU_DEP_2) | instskip(SKIP_1) | instid1(VALU_DEP_3)
	v_mul_hi_u32 v60, s4, v53
	v_mul_lo_u32 v65, s7, v53
	v_mul_lo_u32 v64, s4, v54
	s_delay_alu instid0(VALU_DEP_1) | instskip(SKIP_1) | instid1(VALU_DEP_2)
	v_add_nc_u32_e32 v60, v60, v64
	v_mul_lo_u32 v64, s4, v53
	v_add_nc_u32_e32 v60, v60, v65
	s_delay_alu instid0(VALU_DEP_2) | instskip(NEXT) | instid1(VALU_DEP_2)
	v_mul_hi_u32 v65, v53, v64
	v_mul_lo_u32 v66, v53, v60
	v_mul_hi_u32 v67, v53, v60
	v_mul_hi_u32 v69, v54, v64
	v_mul_lo_u32 v64, v54, v64
	v_mul_hi_u32 v70, v54, v60
	v_mul_lo_u32 v60, v54, v60
	v_add_co_u32 v65, vcc_lo, v65, v66
	v_add_co_ci_u32_e32 v66, vcc_lo, 0, v67, vcc_lo
	s_delay_alu instid0(VALU_DEP_2) | instskip(NEXT) | instid1(VALU_DEP_2)
	v_add_co_u32 v64, vcc_lo, v65, v64
	v_add_co_ci_u32_e32 v64, vcc_lo, v66, v69, vcc_lo
	v_add_co_ci_u32_e32 v65, vcc_lo, 0, v70, vcc_lo
	v_add_co_u32 v66, vcc_lo, v55, v68
	v_add_co_ci_u32_e32 v67, vcc_lo, v56, v68, vcc_lo
	s_delay_alu instid0(VALU_DEP_4) | instskip(NEXT) | instid1(VALU_DEP_4)
	v_add_co_u32 v60, vcc_lo, v64, v60
	v_add_co_ci_u32_e32 v64, vcc_lo, 0, v65, vcc_lo
	s_delay_alu instid0(VALU_DEP_4) | instskip(NEXT) | instid1(VALU_DEP_3)
	v_xor_b32_e32 v69, v66, v68
	v_add_co_u32 v60, vcc_lo, v53, v60
	s_delay_alu instid0(VALU_DEP_3) | instskip(SKIP_1) | instid1(VALU_DEP_3)
	v_add_co_ci_u32_e32 v70, vcc_lo, v54, v64, vcc_lo
	v_xor_b32_e32 v71, v67, v68
	v_mul_hi_u32 v72, v69, v60
	s_delay_alu instid0(VALU_DEP_3) | instskip(NEXT) | instid1(VALU_DEP_3)
	v_mad_u64_u32 v[53:54], null, v69, v70, 0
	v_mad_u64_u32 v[64:65], null, v71, v60, 0
	;; [unrolled: 1-line block ×3, first 2 shown]
	s_delay_alu instid0(VALU_DEP_3) | instskip(NEXT) | instid1(VALU_DEP_4)
	v_add_co_u32 v53, vcc_lo, v72, v53
	v_add_co_ci_u32_e32 v54, vcc_lo, 0, v54, vcc_lo
	s_delay_alu instid0(VALU_DEP_2) | instskip(NEXT) | instid1(VALU_DEP_2)
	v_add_co_u32 v53, vcc_lo, v53, v64
	v_add_co_ci_u32_e32 v53, vcc_lo, v54, v65, vcc_lo
	v_add_co_ci_u32_e32 v54, vcc_lo, 0, v67, vcc_lo
	s_delay_alu instid0(VALU_DEP_2) | instskip(NEXT) | instid1(VALU_DEP_2)
	v_add_co_u32 v60, vcc_lo, v53, v66
	v_add_co_ci_u32_e32 v64, vcc_lo, 0, v54, vcc_lo
	s_delay_alu instid0(VALU_DEP_2) | instskip(SKIP_1) | instid1(VALU_DEP_3)
	v_mul_lo_u32 v65, s9, v60
	v_mad_u64_u32 v[53:54], null, s8, v60, 0
	v_mul_lo_u32 v66, s8, v64
	s_delay_alu instid0(VALU_DEP_2) | instskip(NEXT) | instid1(VALU_DEP_2)
	v_sub_co_u32 v53, vcc_lo, v69, v53
	v_add3_u32 v54, v54, v66, v65
	s_delay_alu instid0(VALU_DEP_1) | instskip(NEXT) | instid1(VALU_DEP_1)
	v_sub_nc_u32_e32 v65, v71, v54
	v_subrev_co_ci_u32_e64 v65, s4, s9, v65, vcc_lo
	v_add_co_u32 v66, s4, v60, 2
	s_delay_alu instid0(VALU_DEP_1) | instskip(SKIP_3) | instid1(VALU_DEP_3)
	v_add_co_ci_u32_e64 v67, s4, 0, v64, s4
	v_sub_co_u32 v69, s4, v53, s8
	v_sub_co_ci_u32_e32 v54, vcc_lo, v71, v54, vcc_lo
	v_subrev_co_ci_u32_e64 v65, s4, 0, v65, s4
	v_cmp_le_u32_e32 vcc_lo, s8, v69
	s_delay_alu instid0(VALU_DEP_3) | instskip(SKIP_1) | instid1(VALU_DEP_4)
	v_cmp_eq_u32_e64 s4, s9, v54
	v_cndmask_b32_e64 v69, 0, -1, vcc_lo
	v_cmp_le_u32_e32 vcc_lo, s9, v65
	v_cndmask_b32_e64 v70, 0, -1, vcc_lo
	v_cmp_le_u32_e32 vcc_lo, s8, v53
	;; [unrolled: 2-line block ×3, first 2 shown]
	v_cndmask_b32_e64 v71, 0, -1, vcc_lo
	v_cmp_eq_u32_e32 vcc_lo, s9, v65
	s_delay_alu instid0(VALU_DEP_2) | instskip(SKIP_3) | instid1(VALU_DEP_3)
	v_cndmask_b32_e64 v53, v71, v53, s4
	v_cndmask_b32_e32 v65, v70, v69, vcc_lo
	v_add_co_u32 v69, vcc_lo, v60, 1
	v_add_co_ci_u32_e32 v70, vcc_lo, 0, v64, vcc_lo
	v_cmp_ne_u32_e32 vcc_lo, 0, v65
	s_delay_alu instid0(VALU_DEP_2) | instskip(SKIP_2) | instid1(VALU_DEP_3)
	v_dual_cndmask_b32 v54, v70, v67 :: v_dual_cndmask_b32 v65, v69, v66
	v_cmp_ne_u32_e32 vcc_lo, 0, v53
	v_xor_b32_e32 v66, s6, v68
	v_cndmask_b32_e32 v53, v64, v54, vcc_lo
	s_delay_alu instid0(VALU_DEP_4) | instskip(NEXT) | instid1(VALU_DEP_2)
	v_cndmask_b32_e32 v54, v60, v65, vcc_lo
	v_xor_b32_e32 v60, v53, v66
	s_delay_alu instid0(VALU_DEP_2) | instskip(NEXT) | instid1(VALU_DEP_1)
	v_xor_b32_e32 v54, v54, v66
	v_sub_co_u32 v53, vcc_lo, v54, v66
	s_delay_alu instid0(VALU_DEP_3)
	v_sub_co_ci_u32_e32 v54, vcc_lo, v60, v66, vcc_lo
.LBB1149_294:
	s_and_not1_saveexec_b32 s4, s10
	s_cbranch_execz .LBB1149_296
; %bb.295:
	v_cvt_f32_u32_e32 v53, s44
	s_sub_i32 s6, 0, s44
	s_delay_alu instid0(VALU_DEP_1) | instskip(SKIP_2) | instid1(VALU_DEP_1)
	v_rcp_iflag_f32_e32 v53, v53
	s_waitcnt_depctr 0xfff
	v_mul_f32_e32 v53, 0x4f7ffffe, v53
	v_cvt_u32_f32_e32 v53, v53
	s_delay_alu instid0(VALU_DEP_1) | instskip(NEXT) | instid1(VALU_DEP_1)
	v_mul_lo_u32 v54, s6, v53
	v_mul_hi_u32 v54, v53, v54
	s_delay_alu instid0(VALU_DEP_1) | instskip(NEXT) | instid1(VALU_DEP_1)
	v_add_nc_u32_e32 v53, v53, v54
	v_mul_hi_u32 v53, v55, v53
	s_delay_alu instid0(VALU_DEP_1) | instskip(SKIP_1) | instid1(VALU_DEP_2)
	v_mul_lo_u32 v54, v53, s44
	v_add_nc_u32_e32 v60, 1, v53
	v_sub_nc_u32_e32 v54, v55, v54
	s_delay_alu instid0(VALU_DEP_1) | instskip(SKIP_1) | instid1(VALU_DEP_2)
	v_subrev_nc_u32_e32 v64, s44, v54
	v_cmp_le_u32_e32 vcc_lo, s44, v54
	v_cndmask_b32_e32 v54, v54, v64, vcc_lo
	v_cndmask_b32_e32 v53, v53, v60, vcc_lo
	s_delay_alu instid0(VALU_DEP_2) | instskip(SKIP_1) | instid1(VALU_DEP_3)
	v_cmp_le_u32_e32 vcc_lo, s44, v54
	v_mov_b32_e32 v54, 0
	v_add_nc_u32_e32 v60, 1, v53
	s_delay_alu instid0(VALU_DEP_1)
	v_cndmask_b32_e32 v53, v53, v60, vcc_lo
.LBB1149_296:
	s_or_b32 exec_lo, exec_lo, s4
	s_delay_alu instid0(VALU_DEP_1) | instskip(NEXT) | instid1(VALU_DEP_2)
	v_mul_lo_u32 v60, v54, s44
	v_mul_lo_u32 v66, v53, s45
	v_mad_u64_u32 v[64:65], null, v53, s44, 0
	s_delay_alu instid0(VALU_DEP_1) | instskip(NEXT) | instid1(VALU_DEP_2)
	v_add3_u32 v60, v65, v66, v60
	v_sub_co_u32 v55, vcc_lo, v55, v64
	s_delay_alu instid0(VALU_DEP_2) | instskip(NEXT) | instid1(VALU_DEP_2)
	v_sub_co_ci_u32_e32 v56, vcc_lo, v56, v60, vcc_lo
	v_add_co_u32 v53, vcc_lo, v53, v55
	s_delay_alu instid0(VALU_DEP_2)
	v_add_co_ci_u32_e32 v54, vcc_lo, v54, v56, vcc_lo
	s_or_b32 exec_lo, exec_lo, s5
                                        ; implicit-def: $vgpr55_vgpr56
	s_and_saveexec_b32 s8, s1
	s_cbranch_execz .LBB1149_231
.LBB1149_297:
	v_add_co_u32 v59, s1, s30, v59
	s_delay_alu instid0(VALU_DEP_1) | instskip(SKIP_1) | instid1(VALU_DEP_2)
	v_add_co_ci_u32_e64 v60, null, s31, 0, s1
	v_mov_b32_e32 v55, 0
	v_or_b32_e32 v56, s45, v60
	s_delay_alu instid0(VALU_DEP_1) | instskip(SKIP_1) | instid1(SALU_CYCLE_1)
	v_cmp_ne_u64_e32 vcc_lo, 0, v[55:56]
                                        ; implicit-def: $vgpr55_vgpr56
	s_and_saveexec_b32 s1, vcc_lo
	s_xor_b32 s9, exec_lo, s1
	s_cbranch_execz .LBB1149_299
; %bb.298:
	s_ashr_i32 s4, s45, 31
	s_delay_alu instid0(SALU_CYCLE_1) | instskip(SKIP_2) | instid1(SALU_CYCLE_1)
	s_add_u32 s6, s44, s4
	s_mov_b32 s5, s4
	s_addc_u32 s7, s45, s4
	s_xor_b64 s[6:7], s[6:7], s[4:5]
	s_delay_alu instid0(SALU_CYCLE_1) | instskip(SKIP_3) | instid1(VALU_DEP_1)
	v_cvt_f32_u32_e32 v55, s6
	v_cvt_f32_u32_e32 v56, s7
	s_sub_u32 s1, 0, s6
	s_subb_u32 s5, 0, s7
	v_fmamk_f32 v55, v56, 0x4f800000, v55
	s_delay_alu instid0(VALU_DEP_1) | instskip(SKIP_2) | instid1(VALU_DEP_1)
	v_rcp_f32_e32 v55, v55
	s_waitcnt_depctr 0xfff
	v_mul_f32_e32 v55, 0x5f7ffffc, v55
	v_mul_f32_e32 v56, 0x2f800000, v55
	s_delay_alu instid0(VALU_DEP_1) | instskip(NEXT) | instid1(VALU_DEP_1)
	v_trunc_f32_e32 v56, v56
	v_fmamk_f32 v55, v56, 0xcf800000, v55
	v_cvt_u32_f32_e32 v56, v56
	s_delay_alu instid0(VALU_DEP_2) | instskip(NEXT) | instid1(VALU_DEP_2)
	v_cvt_u32_f32_e32 v55, v55
	v_mul_lo_u32 v64, s1, v56
	s_delay_alu instid0(VALU_DEP_2) | instskip(SKIP_1) | instid1(VALU_DEP_2)
	v_mul_hi_u32 v65, s1, v55
	v_mul_lo_u32 v66, s5, v55
	v_add_nc_u32_e32 v64, v65, v64
	v_mul_lo_u32 v65, s1, v55
	s_delay_alu instid0(VALU_DEP_2) | instskip(NEXT) | instid1(VALU_DEP_2)
	v_add_nc_u32_e32 v64, v64, v66
	v_mul_hi_u32 v66, v55, v65
	s_delay_alu instid0(VALU_DEP_2)
	v_mul_lo_u32 v67, v55, v64
	v_mul_hi_u32 v68, v55, v64
	v_mul_hi_u32 v69, v56, v65
	v_mul_lo_u32 v65, v56, v65
	v_mul_hi_u32 v70, v56, v64
	v_mul_lo_u32 v64, v56, v64
	v_add_co_u32 v66, vcc_lo, v66, v67
	v_add_co_ci_u32_e32 v67, vcc_lo, 0, v68, vcc_lo
	s_delay_alu instid0(VALU_DEP_2) | instskip(NEXT) | instid1(VALU_DEP_2)
	v_add_co_u32 v65, vcc_lo, v66, v65
	v_add_co_ci_u32_e32 v65, vcc_lo, v67, v69, vcc_lo
	v_add_co_ci_u32_e32 v66, vcc_lo, 0, v70, vcc_lo
	v_ashrrev_i32_e32 v69, 31, v60
	s_delay_alu instid0(VALU_DEP_3) | instskip(NEXT) | instid1(VALU_DEP_3)
	v_add_co_u32 v64, vcc_lo, v65, v64
	v_add_co_ci_u32_e32 v65, vcc_lo, 0, v66, vcc_lo
	s_delay_alu instid0(VALU_DEP_2) | instskip(NEXT) | instid1(VALU_DEP_2)
	v_add_co_u32 v55, vcc_lo, v55, v64
	v_add_co_ci_u32_e32 v56, vcc_lo, v56, v65, vcc_lo
	s_delay_alu instid0(VALU_DEP_2) | instskip(SKIP_1) | instid1(VALU_DEP_3)
	v_mul_hi_u32 v64, s1, v55
	v_mul_lo_u32 v66, s5, v55
	v_mul_lo_u32 v65, s1, v56
	s_delay_alu instid0(VALU_DEP_1) | instskip(SKIP_1) | instid1(VALU_DEP_2)
	v_add_nc_u32_e32 v64, v64, v65
	v_mul_lo_u32 v65, s1, v55
	v_add_nc_u32_e32 v64, v64, v66
	s_delay_alu instid0(VALU_DEP_2) | instskip(NEXT) | instid1(VALU_DEP_2)
	v_mul_hi_u32 v66, v55, v65
	v_mul_lo_u32 v67, v55, v64
	v_mul_hi_u32 v68, v55, v64
	v_mul_hi_u32 v70, v56, v65
	v_mul_lo_u32 v65, v56, v65
	v_mul_hi_u32 v71, v56, v64
	v_mul_lo_u32 v64, v56, v64
	v_add_co_u32 v66, vcc_lo, v66, v67
	v_add_co_ci_u32_e32 v67, vcc_lo, 0, v68, vcc_lo
	s_delay_alu instid0(VALU_DEP_2) | instskip(NEXT) | instid1(VALU_DEP_2)
	v_add_co_u32 v65, vcc_lo, v66, v65
	v_add_co_ci_u32_e32 v65, vcc_lo, v67, v70, vcc_lo
	v_add_co_ci_u32_e32 v66, vcc_lo, 0, v71, vcc_lo
	v_add_co_u32 v67, vcc_lo, v59, v69
	v_add_co_ci_u32_e32 v68, vcc_lo, v60, v69, vcc_lo
	s_delay_alu instid0(VALU_DEP_4) | instskip(NEXT) | instid1(VALU_DEP_4)
	v_add_co_u32 v64, vcc_lo, v65, v64
	v_add_co_ci_u32_e32 v65, vcc_lo, 0, v66, vcc_lo
	s_delay_alu instid0(VALU_DEP_4) | instskip(NEXT) | instid1(VALU_DEP_3)
	v_xor_b32_e32 v70, v67, v69
	v_add_co_u32 v66, vcc_lo, v55, v64
	s_delay_alu instid0(VALU_DEP_3) | instskip(SKIP_1) | instid1(VALU_DEP_3)
	v_add_co_ci_u32_e32 v71, vcc_lo, v56, v65, vcc_lo
	v_xor_b32_e32 v68, v68, v69
	v_mul_hi_u32 v72, v70, v66
	s_delay_alu instid0(VALU_DEP_3) | instskip(NEXT) | instid1(VALU_DEP_3)
	v_mad_u64_u32 v[55:56], null, v70, v71, 0
	v_mad_u64_u32 v[64:65], null, v68, v66, 0
	;; [unrolled: 1-line block ×3, first 2 shown]
	s_delay_alu instid0(VALU_DEP_3) | instskip(NEXT) | instid1(VALU_DEP_4)
	v_add_co_u32 v55, vcc_lo, v72, v55
	v_add_co_ci_u32_e32 v56, vcc_lo, 0, v56, vcc_lo
	s_delay_alu instid0(VALU_DEP_2) | instskip(NEXT) | instid1(VALU_DEP_2)
	v_add_co_u32 v55, vcc_lo, v55, v64
	v_add_co_ci_u32_e32 v55, vcc_lo, v56, v65, vcc_lo
	v_add_co_ci_u32_e32 v56, vcc_lo, 0, v67, vcc_lo
	s_delay_alu instid0(VALU_DEP_2) | instskip(NEXT) | instid1(VALU_DEP_2)
	v_add_co_u32 v64, vcc_lo, v55, v66
	v_add_co_ci_u32_e32 v65, vcc_lo, 0, v56, vcc_lo
	s_delay_alu instid0(VALU_DEP_2) | instskip(SKIP_1) | instid1(VALU_DEP_3)
	v_mul_lo_u32 v66, s7, v64
	v_mad_u64_u32 v[55:56], null, s6, v64, 0
	v_mul_lo_u32 v67, s6, v65
	s_delay_alu instid0(VALU_DEP_2) | instskip(NEXT) | instid1(VALU_DEP_2)
	v_sub_co_u32 v55, vcc_lo, v70, v55
	v_add3_u32 v56, v56, v67, v66
	s_delay_alu instid0(VALU_DEP_1) | instskip(NEXT) | instid1(VALU_DEP_1)
	v_sub_nc_u32_e32 v66, v68, v56
	v_subrev_co_ci_u32_e64 v66, s1, s7, v66, vcc_lo
	v_add_co_u32 v67, s1, v64, 2
	s_delay_alu instid0(VALU_DEP_1) | instskip(SKIP_3) | instid1(VALU_DEP_3)
	v_add_co_ci_u32_e64 v70, s1, 0, v65, s1
	v_sub_co_u32 v71, s1, v55, s6
	v_sub_co_ci_u32_e32 v56, vcc_lo, v68, v56, vcc_lo
	v_subrev_co_ci_u32_e64 v66, s1, 0, v66, s1
	v_cmp_le_u32_e32 vcc_lo, s6, v71
	s_delay_alu instid0(VALU_DEP_3) | instskip(SKIP_1) | instid1(VALU_DEP_4)
	v_cmp_eq_u32_e64 s1, s7, v56
	v_cndmask_b32_e64 v68, 0, -1, vcc_lo
	v_cmp_le_u32_e32 vcc_lo, s7, v66
	v_cndmask_b32_e64 v71, 0, -1, vcc_lo
	v_cmp_le_u32_e32 vcc_lo, s6, v55
	;; [unrolled: 2-line block ×3, first 2 shown]
	v_cndmask_b32_e64 v72, 0, -1, vcc_lo
	v_cmp_eq_u32_e32 vcc_lo, s7, v66
	s_delay_alu instid0(VALU_DEP_2) | instskip(SKIP_3) | instid1(VALU_DEP_3)
	v_cndmask_b32_e64 v55, v72, v55, s1
	v_cndmask_b32_e32 v66, v71, v68, vcc_lo
	v_add_co_u32 v68, vcc_lo, v64, 1
	v_add_co_ci_u32_e32 v71, vcc_lo, 0, v65, vcc_lo
	v_cmp_ne_u32_e32 vcc_lo, 0, v66
	s_delay_alu instid0(VALU_DEP_2) | instskip(NEXT) | instid1(VALU_DEP_4)
	v_cndmask_b32_e32 v56, v71, v70, vcc_lo
	v_cndmask_b32_e32 v66, v68, v67, vcc_lo
	v_cmp_ne_u32_e32 vcc_lo, 0, v55
	v_xor_b32_e32 v67, s4, v69
	s_delay_alu instid0(VALU_DEP_3) | instskip(NEXT) | instid1(VALU_DEP_1)
	v_dual_cndmask_b32 v55, v65, v56 :: v_dual_cndmask_b32 v56, v64, v66
	v_xor_b32_e32 v64, v55, v67
	s_delay_alu instid0(VALU_DEP_2) | instskip(NEXT) | instid1(VALU_DEP_1)
	v_xor_b32_e32 v56, v56, v67
	v_sub_co_u32 v55, vcc_lo, v56, v67
	s_delay_alu instid0(VALU_DEP_3)
	v_sub_co_ci_u32_e32 v56, vcc_lo, v64, v67, vcc_lo
.LBB1149_299:
	s_and_not1_saveexec_b32 s1, s9
	s_cbranch_execz .LBB1149_301
; %bb.300:
	v_cvt_f32_u32_e32 v55, s44
	s_sub_i32 s4, 0, s44
	s_delay_alu instid0(VALU_DEP_1) | instskip(SKIP_2) | instid1(VALU_DEP_1)
	v_rcp_iflag_f32_e32 v55, v55
	s_waitcnt_depctr 0xfff
	v_mul_f32_e32 v55, 0x4f7ffffe, v55
	v_cvt_u32_f32_e32 v55, v55
	s_delay_alu instid0(VALU_DEP_1) | instskip(NEXT) | instid1(VALU_DEP_1)
	v_mul_lo_u32 v56, s4, v55
	v_mul_hi_u32 v56, v55, v56
	s_delay_alu instid0(VALU_DEP_1) | instskip(NEXT) | instid1(VALU_DEP_1)
	v_add_nc_u32_e32 v55, v55, v56
	v_mul_hi_u32 v55, v59, v55
	s_delay_alu instid0(VALU_DEP_1) | instskip(SKIP_1) | instid1(VALU_DEP_2)
	v_mul_lo_u32 v56, v55, s44
	v_add_nc_u32_e32 v64, 1, v55
	v_sub_nc_u32_e32 v56, v59, v56
	s_delay_alu instid0(VALU_DEP_1) | instskip(SKIP_1) | instid1(VALU_DEP_2)
	v_subrev_nc_u32_e32 v65, s44, v56
	v_cmp_le_u32_e32 vcc_lo, s44, v56
	v_dual_cndmask_b32 v56, v56, v65 :: v_dual_cndmask_b32 v55, v55, v64
	s_delay_alu instid0(VALU_DEP_1) | instskip(SKIP_1) | instid1(VALU_DEP_3)
	v_cmp_le_u32_e32 vcc_lo, s44, v56
	v_mov_b32_e32 v56, 0
	v_add_nc_u32_e32 v64, 1, v55
	s_delay_alu instid0(VALU_DEP_1)
	v_cndmask_b32_e32 v55, v55, v64, vcc_lo
.LBB1149_301:
	s_or_b32 exec_lo, exec_lo, s1
	s_delay_alu instid0(VALU_DEP_1) | instskip(NEXT) | instid1(VALU_DEP_2)
	v_mul_lo_u32 v66, v56, s44
	v_mul_lo_u32 v67, v55, s45
	v_mad_u64_u32 v[64:65], null, v55, s44, 0
	s_delay_alu instid0(VALU_DEP_1) | instskip(NEXT) | instid1(VALU_DEP_2)
	v_add3_u32 v65, v65, v67, v66
	v_sub_co_u32 v59, vcc_lo, v59, v64
	s_delay_alu instid0(VALU_DEP_2) | instskip(NEXT) | instid1(VALU_DEP_2)
	v_sub_co_ci_u32_e32 v60, vcc_lo, v60, v65, vcc_lo
	v_add_co_u32 v55, vcc_lo, v55, v59
	s_delay_alu instid0(VALU_DEP_2)
	v_add_co_ci_u32_e32 v56, vcc_lo, v56, v60, vcc_lo
	s_or_b32 exec_lo, exec_lo, s8
                                        ; implicit-def: $vgpr59_vgpr60
	s_and_saveexec_b32 s1, s0
	s_cbranch_execz .LBB1149_307
.LBB1149_302:
	v_add_co_u32 v63, s0, s30, v63
	s_delay_alu instid0(VALU_DEP_1) | instskip(SKIP_1) | instid1(VALU_DEP_2)
	v_add_co_ci_u32_e64 v64, null, s31, 0, s0
	v_mov_b32_e32 v59, 0
	v_or_b32_e32 v60, s45, v64
	s_delay_alu instid0(VALU_DEP_1) | instskip(SKIP_1) | instid1(SALU_CYCLE_1)
	v_cmp_ne_u64_e32 vcc_lo, 0, v[59:60]
                                        ; implicit-def: $vgpr59_vgpr60
	s_and_saveexec_b32 s0, vcc_lo
	s_xor_b32 s8, exec_lo, s0
	s_cbranch_execz .LBB1149_304
; %bb.303:
	s_ashr_i32 s4, s45, 31
	s_delay_alu instid0(SALU_CYCLE_1) | instskip(SKIP_2) | instid1(SALU_CYCLE_1)
	s_add_u32 s6, s44, s4
	s_mov_b32 s5, s4
	s_addc_u32 s7, s45, s4
	s_xor_b64 s[6:7], s[6:7], s[4:5]
	s_delay_alu instid0(SALU_CYCLE_1) | instskip(SKIP_3) | instid1(VALU_DEP_1)
	v_cvt_f32_u32_e32 v59, s6
	v_cvt_f32_u32_e32 v60, s7
	s_sub_u32 s0, 0, s6
	s_subb_u32 s5, 0, s7
	v_fmamk_f32 v59, v60, 0x4f800000, v59
	s_delay_alu instid0(VALU_DEP_1) | instskip(SKIP_2) | instid1(VALU_DEP_1)
	v_rcp_f32_e32 v59, v59
	s_waitcnt_depctr 0xfff
	v_mul_f32_e32 v59, 0x5f7ffffc, v59
	v_mul_f32_e32 v60, 0x2f800000, v59
	s_delay_alu instid0(VALU_DEP_1) | instskip(NEXT) | instid1(VALU_DEP_1)
	v_trunc_f32_e32 v60, v60
	v_fmamk_f32 v59, v60, 0xcf800000, v59
	v_cvt_u32_f32_e32 v60, v60
	s_delay_alu instid0(VALU_DEP_2) | instskip(NEXT) | instid1(VALU_DEP_2)
	v_cvt_u32_f32_e32 v59, v59
	v_mul_lo_u32 v65, s0, v60
	s_delay_alu instid0(VALU_DEP_2) | instskip(SKIP_1) | instid1(VALU_DEP_2)
	v_mul_hi_u32 v66, s0, v59
	v_mul_lo_u32 v67, s5, v59
	v_add_nc_u32_e32 v65, v66, v65
	v_mul_lo_u32 v66, s0, v59
	s_delay_alu instid0(VALU_DEP_2) | instskip(NEXT) | instid1(VALU_DEP_2)
	v_add_nc_u32_e32 v65, v65, v67
	v_mul_hi_u32 v67, v59, v66
	s_delay_alu instid0(VALU_DEP_2)
	v_mul_lo_u32 v68, v59, v65
	v_mul_hi_u32 v69, v59, v65
	v_mul_hi_u32 v70, v60, v66
	v_mul_lo_u32 v66, v60, v66
	v_mul_hi_u32 v71, v60, v65
	v_mul_lo_u32 v65, v60, v65
	v_add_co_u32 v67, vcc_lo, v67, v68
	v_add_co_ci_u32_e32 v68, vcc_lo, 0, v69, vcc_lo
	s_delay_alu instid0(VALU_DEP_2) | instskip(NEXT) | instid1(VALU_DEP_2)
	v_add_co_u32 v66, vcc_lo, v67, v66
	v_add_co_ci_u32_e32 v66, vcc_lo, v68, v70, vcc_lo
	v_add_co_ci_u32_e32 v67, vcc_lo, 0, v71, vcc_lo
	v_ashrrev_i32_e32 v70, 31, v64
	s_delay_alu instid0(VALU_DEP_3) | instskip(NEXT) | instid1(VALU_DEP_3)
	v_add_co_u32 v65, vcc_lo, v66, v65
	v_add_co_ci_u32_e32 v66, vcc_lo, 0, v67, vcc_lo
	s_delay_alu instid0(VALU_DEP_2) | instskip(NEXT) | instid1(VALU_DEP_2)
	v_add_co_u32 v59, vcc_lo, v59, v65
	v_add_co_ci_u32_e32 v60, vcc_lo, v60, v66, vcc_lo
	s_delay_alu instid0(VALU_DEP_2) | instskip(SKIP_1) | instid1(VALU_DEP_3)
	v_mul_hi_u32 v65, s0, v59
	v_mul_lo_u32 v67, s5, v59
	v_mul_lo_u32 v66, s0, v60
	s_delay_alu instid0(VALU_DEP_1) | instskip(SKIP_1) | instid1(VALU_DEP_2)
	v_add_nc_u32_e32 v65, v65, v66
	v_mul_lo_u32 v66, s0, v59
	v_add_nc_u32_e32 v65, v65, v67
	s_delay_alu instid0(VALU_DEP_2) | instskip(NEXT) | instid1(VALU_DEP_2)
	v_mul_hi_u32 v67, v59, v66
	v_mul_lo_u32 v68, v59, v65
	v_mul_hi_u32 v69, v59, v65
	v_mul_hi_u32 v71, v60, v66
	v_mul_lo_u32 v66, v60, v66
	v_mul_hi_u32 v72, v60, v65
	v_mul_lo_u32 v65, v60, v65
	v_add_co_u32 v67, vcc_lo, v67, v68
	v_add_co_ci_u32_e32 v68, vcc_lo, 0, v69, vcc_lo
	s_delay_alu instid0(VALU_DEP_2) | instskip(NEXT) | instid1(VALU_DEP_2)
	v_add_co_u32 v66, vcc_lo, v67, v66
	v_add_co_ci_u32_e32 v66, vcc_lo, v68, v71, vcc_lo
	v_add_co_ci_u32_e32 v67, vcc_lo, 0, v72, vcc_lo
	v_add_co_u32 v68, vcc_lo, v63, v70
	v_add_co_ci_u32_e32 v69, vcc_lo, v64, v70, vcc_lo
	s_delay_alu instid0(VALU_DEP_4) | instskip(NEXT) | instid1(VALU_DEP_4)
	v_add_co_u32 v65, vcc_lo, v66, v65
	v_add_co_ci_u32_e32 v66, vcc_lo, 0, v67, vcc_lo
	s_delay_alu instid0(VALU_DEP_4) | instskip(NEXT) | instid1(VALU_DEP_3)
	v_xor_b32_e32 v71, v68, v70
	v_add_co_u32 v67, vcc_lo, v59, v65
	s_delay_alu instid0(VALU_DEP_3) | instskip(SKIP_1) | instid1(VALU_DEP_3)
	v_add_co_ci_u32_e32 v72, vcc_lo, v60, v66, vcc_lo
	v_xor_b32_e32 v69, v69, v70
	v_mul_hi_u32 v73, v71, v67
	s_delay_alu instid0(VALU_DEP_3) | instskip(NEXT) | instid1(VALU_DEP_3)
	v_mad_u64_u32 v[59:60], null, v71, v72, 0
	v_mad_u64_u32 v[65:66], null, v69, v67, 0
	;; [unrolled: 1-line block ×3, first 2 shown]
	s_delay_alu instid0(VALU_DEP_3) | instskip(NEXT) | instid1(VALU_DEP_4)
	v_add_co_u32 v59, vcc_lo, v73, v59
	v_add_co_ci_u32_e32 v60, vcc_lo, 0, v60, vcc_lo
	s_delay_alu instid0(VALU_DEP_2) | instskip(NEXT) | instid1(VALU_DEP_2)
	v_add_co_u32 v59, vcc_lo, v59, v65
	v_add_co_ci_u32_e32 v59, vcc_lo, v60, v66, vcc_lo
	v_add_co_ci_u32_e32 v60, vcc_lo, 0, v68, vcc_lo
	s_delay_alu instid0(VALU_DEP_2) | instskip(NEXT) | instid1(VALU_DEP_2)
	v_add_co_u32 v65, vcc_lo, v59, v67
	v_add_co_ci_u32_e32 v66, vcc_lo, 0, v60, vcc_lo
	s_delay_alu instid0(VALU_DEP_2) | instskip(SKIP_1) | instid1(VALU_DEP_3)
	v_mul_lo_u32 v67, s7, v65
	v_mad_u64_u32 v[59:60], null, s6, v65, 0
	v_mul_lo_u32 v68, s6, v66
	s_delay_alu instid0(VALU_DEP_2) | instskip(NEXT) | instid1(VALU_DEP_2)
	v_sub_co_u32 v59, vcc_lo, v71, v59
	v_add3_u32 v60, v60, v68, v67
	s_delay_alu instid0(VALU_DEP_1) | instskip(NEXT) | instid1(VALU_DEP_1)
	v_sub_nc_u32_e32 v67, v69, v60
	v_subrev_co_ci_u32_e64 v67, s0, s7, v67, vcc_lo
	v_add_co_u32 v68, s0, v65, 2
	s_delay_alu instid0(VALU_DEP_1) | instskip(SKIP_3) | instid1(VALU_DEP_3)
	v_add_co_ci_u32_e64 v71, s0, 0, v66, s0
	v_sub_co_u32 v72, s0, v59, s6
	v_sub_co_ci_u32_e32 v60, vcc_lo, v69, v60, vcc_lo
	v_subrev_co_ci_u32_e64 v67, s0, 0, v67, s0
	v_cmp_le_u32_e32 vcc_lo, s6, v72
	s_delay_alu instid0(VALU_DEP_3) | instskip(SKIP_1) | instid1(VALU_DEP_4)
	v_cmp_eq_u32_e64 s0, s7, v60
	v_cndmask_b32_e64 v69, 0, -1, vcc_lo
	v_cmp_le_u32_e32 vcc_lo, s7, v67
	v_cndmask_b32_e64 v72, 0, -1, vcc_lo
	v_cmp_le_u32_e32 vcc_lo, s6, v59
	;; [unrolled: 2-line block ×3, first 2 shown]
	v_cndmask_b32_e64 v73, 0, -1, vcc_lo
	v_cmp_eq_u32_e32 vcc_lo, s7, v67
	s_delay_alu instid0(VALU_DEP_2) | instskip(SKIP_3) | instid1(VALU_DEP_3)
	v_cndmask_b32_e64 v59, v73, v59, s0
	v_cndmask_b32_e32 v67, v72, v69, vcc_lo
	v_add_co_u32 v69, vcc_lo, v65, 1
	v_add_co_ci_u32_e32 v72, vcc_lo, 0, v66, vcc_lo
	v_cmp_ne_u32_e32 vcc_lo, 0, v67
	s_delay_alu instid0(VALU_DEP_2) | instskip(SKIP_2) | instid1(VALU_DEP_3)
	v_dual_cndmask_b32 v60, v72, v71 :: v_dual_cndmask_b32 v67, v69, v68
	v_cmp_ne_u32_e32 vcc_lo, 0, v59
	v_xor_b32_e32 v68, s4, v70
	v_dual_cndmask_b32 v59, v66, v60 :: v_dual_cndmask_b32 v60, v65, v67
	s_delay_alu instid0(VALU_DEP_1) | instskip(NEXT) | instid1(VALU_DEP_2)
	v_xor_b32_e32 v65, v59, v68
	v_xor_b32_e32 v60, v60, v68
	s_delay_alu instid0(VALU_DEP_1) | instskip(NEXT) | instid1(VALU_DEP_3)
	v_sub_co_u32 v59, vcc_lo, v60, v68
	v_sub_co_ci_u32_e32 v60, vcc_lo, v65, v68, vcc_lo
.LBB1149_304:
	s_and_not1_saveexec_b32 s0, s8
	s_cbranch_execz .LBB1149_306
; %bb.305:
	v_cvt_f32_u32_e32 v59, s44
	s_sub_i32 s4, 0, s44
	s_delay_alu instid0(VALU_DEP_1) | instskip(SKIP_2) | instid1(VALU_DEP_1)
	v_rcp_iflag_f32_e32 v59, v59
	s_waitcnt_depctr 0xfff
	v_mul_f32_e32 v59, 0x4f7ffffe, v59
	v_cvt_u32_f32_e32 v59, v59
	s_delay_alu instid0(VALU_DEP_1) | instskip(NEXT) | instid1(VALU_DEP_1)
	v_mul_lo_u32 v60, s4, v59
	v_mul_hi_u32 v60, v59, v60
	s_delay_alu instid0(VALU_DEP_1) | instskip(NEXT) | instid1(VALU_DEP_1)
	v_add_nc_u32_e32 v59, v59, v60
	v_mul_hi_u32 v59, v63, v59
	s_delay_alu instid0(VALU_DEP_1) | instskip(SKIP_1) | instid1(VALU_DEP_2)
	v_mul_lo_u32 v60, v59, s44
	v_add_nc_u32_e32 v65, 1, v59
	v_sub_nc_u32_e32 v60, v63, v60
	s_delay_alu instid0(VALU_DEP_1) | instskip(SKIP_1) | instid1(VALU_DEP_2)
	v_subrev_nc_u32_e32 v66, s44, v60
	v_cmp_le_u32_e32 vcc_lo, s44, v60
	v_dual_cndmask_b32 v60, v60, v66 :: v_dual_cndmask_b32 v59, v59, v65
	s_delay_alu instid0(VALU_DEP_1) | instskip(NEXT) | instid1(VALU_DEP_2)
	v_cmp_le_u32_e32 vcc_lo, s44, v60
	v_dual_mov_b32 v60, 0 :: v_dual_add_nc_u32 v65, 1, v59
	s_delay_alu instid0(VALU_DEP_1)
	v_cndmask_b32_e32 v59, v59, v65, vcc_lo
.LBB1149_306:
	s_or_b32 exec_lo, exec_lo, s0
	s_delay_alu instid0(VALU_DEP_1) | instskip(NEXT) | instid1(VALU_DEP_2)
	v_mul_lo_u32 v67, v60, s44
	v_mul_lo_u32 v68, v59, s45
	v_mad_u64_u32 v[65:66], null, v59, s44, 0
	s_delay_alu instid0(VALU_DEP_1) | instskip(NEXT) | instid1(VALU_DEP_2)
	v_add3_u32 v66, v66, v68, v67
	v_sub_co_u32 v63, vcc_lo, v63, v65
	s_delay_alu instid0(VALU_DEP_2) | instskip(NEXT) | instid1(VALU_DEP_2)
	v_sub_co_ci_u32_e32 v64, vcc_lo, v64, v66, vcc_lo
	v_add_co_u32 v59, vcc_lo, v59, v63
	s_delay_alu instid0(VALU_DEP_2)
	v_add_co_ci_u32_e32 v60, vcc_lo, v60, v64, vcc_lo
.LBB1149_307:
	s_or_b32 exec_lo, exec_lo, s1
	ds_store_2addr_stride64_b64 v62, v[29:30], v[31:32] offset1:4
	ds_store_2addr_stride64_b64 v62, v[33:34], v[35:36] offset0:8 offset1:12
	ds_store_2addr_stride64_b64 v62, v[37:38], v[39:40] offset0:16 offset1:20
	;; [unrolled: 1-line block ×6, first 2 shown]
	ds_store_b64 v62, v[59:60] offset:28672
	s_waitcnt lgkmcnt(0)
	s_barrier
.LBB1149_308:
	buffer_gl0_inv
	ds_load_2addr_b64 v[53:56], v61 offset1:1
	ds_load_2addr_b64 v[49:52], v61 offset0:2 offset1:3
	ds_load_2addr_b64 v[45:48], v61 offset0:4 offset1:5
	;; [unrolled: 1-line block ×6, first 2 shown]
	ds_load_b64 v[59:60], v61 offset:112
	s_cmp_eq_u64 s[18:19], 0
	s_waitcnt lgkmcnt(0)
	s_cselect_b32 s35, -1, 0
	s_cmp_lg_u64 s[18:19], 0
	s_barrier
	s_cselect_b32 s15, -1, 0
	s_and_b32 vcc_lo, exec_lo, s26
	buffer_gl0_inv
	s_cbranch_vccz .LBB1149_317
; %bb.309:
	s_and_b32 vcc_lo, exec_lo, s15
	s_cbranch_vccz .LBB1149_318
; %bb.310:
	s_add_u32 s4, s24, -1
	s_addc_u32 s5, s25, -1
	s_delay_alu instid0(SALU_CYCLE_1) | instskip(SKIP_1) | instid1(SALU_CYCLE_1)
	s_or_b64 s[6:7], s[4:5], s[38:39]
	s_mov_b32 s6, 0
	s_cmp_lg_u64 s[6:7], 0
	s_cbranch_scc0 .LBB1149_539
; %bb.311:
	s_ashr_i32 s8, s39, 31
	s_delay_alu instid0(SALU_CYCLE_1) | instskip(SKIP_2) | instid1(SALU_CYCLE_1)
	s_add_u32 s0, s38, s8
	s_mov_b32 s9, s8
	s_addc_u32 s1, s39, s8
	s_xor_b64 s[0:1], s[0:1], s[8:9]
	s_delay_alu instid0(SALU_CYCLE_1) | instskip(SKIP_3) | instid1(VALU_DEP_1)
	v_cvt_f32_u32_e32 v61, s0
	v_cvt_f32_u32_e32 v62, s1
	s_sub_u32 s11, 0, s0
	s_subb_u32 s12, 0, s1
	v_fmamk_f32 v61, v62, 0x4f800000, v61
	s_delay_alu instid0(VALU_DEP_1) | instskip(SKIP_2) | instid1(VALU_DEP_1)
	v_rcp_f32_e32 v61, v61
	s_waitcnt_depctr 0xfff
	v_mul_f32_e32 v61, 0x5f7ffffc, v61
	v_mul_f32_e32 v62, 0x2f800000, v61
	s_delay_alu instid0(VALU_DEP_1) | instskip(NEXT) | instid1(VALU_DEP_1)
	v_trunc_f32_e32 v62, v62
	v_fmamk_f32 v61, v62, 0xcf800000, v61
	v_cvt_u32_f32_e32 v62, v62
	s_delay_alu instid0(VALU_DEP_2) | instskip(NEXT) | instid1(VALU_DEP_2)
	v_cvt_u32_f32_e32 v61, v61
	v_readfirstlane_b32 s7, v62
	s_delay_alu instid0(VALU_DEP_2) | instskip(NEXT) | instid1(VALU_DEP_2)
	v_readfirstlane_b32 s10, v61
	s_mul_i32 s13, s11, s7
	s_delay_alu instid0(VALU_DEP_1)
	s_mul_hi_u32 s16, s11, s10
	s_mul_i32 s14, s12, s10
	s_add_i32 s13, s16, s13
	s_mul_i32 s17, s11, s10
	s_add_i32 s13, s13, s14
	s_mul_hi_u32 s16, s10, s17
	s_mul_hi_u32 s20, s7, s17
	s_mul_i32 s14, s7, s17
	s_mul_hi_u32 s17, s10, s13
	s_mul_i32 s10, s10, s13
	s_mul_hi_u32 s21, s7, s13
	s_add_u32 s10, s16, s10
	s_addc_u32 s16, 0, s17
	s_add_u32 s10, s10, s14
	s_mul_i32 s13, s7, s13
	s_addc_u32 s10, s16, s20
	s_addc_u32 s14, s21, 0
	s_add_u32 s10, s10, s13
	s_addc_u32 s13, 0, s14
	v_add_co_u32 v61, s10, v61, s10
	s_delay_alu instid0(VALU_DEP_1) | instskip(SKIP_1) | instid1(VALU_DEP_1)
	s_cmp_lg_u32 s10, 0
	s_addc_u32 s7, s7, s13
	v_readfirstlane_b32 s10, v61
	s_mul_i32 s13, s11, s7
	s_delay_alu instid0(VALU_DEP_1)
	s_mul_hi_u32 s14, s11, s10
	s_mul_i32 s12, s12, s10
	s_add_i32 s13, s14, s13
	s_mul_i32 s11, s11, s10
	s_add_i32 s13, s13, s12
	s_mul_hi_u32 s14, s7, s11
	s_mul_i32 s16, s7, s11
	s_mul_hi_u32 s11, s10, s11
	s_mul_hi_u32 s17, s10, s13
	s_mul_i32 s10, s10, s13
	s_mul_hi_u32 s12, s7, s13
	s_add_u32 s10, s11, s10
	s_addc_u32 s11, 0, s17
	s_add_u32 s10, s10, s16
	s_mul_i32 s13, s7, s13
	s_addc_u32 s10, s11, s14
	s_addc_u32 s11, s12, 0
	s_add_u32 s10, s10, s13
	s_addc_u32 s11, 0, s11
	v_add_co_u32 v61, s10, v61, s10
	s_delay_alu instid0(VALU_DEP_1) | instskip(SKIP_2) | instid1(SALU_CYCLE_1)
	s_cmp_lg_u32 s10, 0
	s_addc_u32 s7, s7, s11
	s_ashr_i32 s10, s5, 31
	s_add_u32 s12, s4, s10
	s_addc_u32 s13, s5, s10
	v_readfirstlane_b32 s5, v61
	s_mov_b32 s11, s10
	s_delay_alu instid0(SALU_CYCLE_1) | instskip(NEXT) | instid1(SALU_CYCLE_1)
	s_xor_b64 s[12:13], s[12:13], s[10:11]
	s_mul_i32 s16, s12, s7
	s_delay_alu instid0(VALU_DEP_1)
	s_mul_hi_u32 s17, s12, s5
	s_mul_hi_u32 s14, s12, s7
	;; [unrolled: 1-line block ×3, first 2 shown]
	s_mul_i32 s5, s13, s5
	s_add_u32 s16, s17, s16
	s_addc_u32 s14, 0, s14
	s_mul_hi_u32 s20, s13, s7
	s_add_u32 s5, s16, s5
	s_mul_i32 s7, s13, s7
	s_addc_u32 s5, s14, s21
	s_addc_u32 s14, s20, 0
	s_add_u32 s5, s5, s7
	s_addc_u32 s7, 0, s14
	s_mul_i32 s20, s0, s5
	s_mul_hi_u32 s14, s0, s5
	s_mul_i32 s17, s0, s7
	v_sub_co_u32 v61, s12, s12, s20
	s_mul_i32 s16, s1, s5
	s_add_i32 s14, s14, s17
	s_delay_alu instid0(SALU_CYCLE_1) | instskip(NEXT) | instid1(VALU_DEP_1)
	s_add_i32 s14, s14, s16
	v_sub_co_u32 v62, s17, v61, s0
	s_sub_i32 s16, s13, s14
	s_cmp_lg_u32 s12, 0
	s_subb_u32 s16, s16, s1
	s_cmp_lg_u32 s17, 0
	v_cmp_le_u32_e32 vcc_lo, s0, v62
	s_subb_u32 s16, s16, 0
	s_delay_alu instid0(SALU_CYCLE_1)
	s_cmp_ge_u32 s16, s1
	v_cndmask_b32_e64 v62, 0, -1, vcc_lo
	s_cselect_b32 s17, -1, 0
	s_cmp_eq_u32 s16, s1
	s_cselect_b32 vcc_lo, -1, 0
	s_add_u32 s16, s5, 1
	v_cndmask_b32_e32 v62, s17, v62, vcc_lo
	s_addc_u32 s17, s7, 0
	s_add_u32 s20, s5, 2
	s_addc_u32 s21, s7, 0
	v_mov_b32_e32 v63, s20
	s_cmp_lg_u32 s12, 0
	v_cmp_le_u32_e32 vcc_lo, s0, v61
	s_subb_u32 s0, s13, s14
	s_delay_alu instid0(SALU_CYCLE_1)
	s_cmp_ge_u32 s0, s1
	v_cndmask_b32_e64 v61, 0, -1, vcc_lo
	s_cselect_b32 s12, -1, 0
	s_cmp_eq_u32 s0, s1
	v_cmp_ne_u32_e32 vcc_lo, 0, v62
	s_cselect_b32 s0, -1, 0
	v_mov_b32_e32 v62, s21
	v_cndmask_b32_e64 v61, s12, v61, s0
	s_xor_b64 s[0:1], s[10:11], s[8:9]
	v_cndmask_b32_e32 v63, s16, v63, vcc_lo
	s_delay_alu instid0(VALU_DEP_3) | instskip(NEXT) | instid1(VALU_DEP_3)
	v_cndmask_b32_e32 v62, s17, v62, vcc_lo
	v_cmp_ne_u32_e32 vcc_lo, 0, v61
	s_delay_alu instid0(VALU_DEP_2) | instskip(NEXT) | instid1(VALU_DEP_4)
	v_cndmask_b32_e32 v61, s7, v62, vcc_lo
	v_cndmask_b32_e32 v62, s5, v63, vcc_lo
	s_delay_alu instid0(VALU_DEP_2) | instskip(NEXT) | instid1(VALU_DEP_2)
	v_xor_b32_e32 v63, s1, v61
	v_xor_b32_e32 v62, s0, v62
	s_delay_alu instid0(VALU_DEP_1) | instskip(NEXT) | instid1(VALU_DEP_3)
	v_sub_co_u32 v61, vcc_lo, v62, s0
	v_subrev_co_ci_u32_e32 v62, vcc_lo, s1, v63, vcc_lo
	s_and_not1_b32 vcc_lo, exec_lo, s6
	s_cbranch_vccnz .LBB1149_313
.LBB1149_312:
	v_cvt_f32_u32_e32 v61, s38
	s_sub_i32 s1, 0, s38
	s_delay_alu instid0(VALU_DEP_1) | instskip(SKIP_2) | instid1(VALU_DEP_1)
	v_rcp_iflag_f32_e32 v61, v61
	s_waitcnt_depctr 0xfff
	v_mul_f32_e32 v61, 0x4f7ffffe, v61
	v_cvt_u32_f32_e32 v61, v61
	s_delay_alu instid0(VALU_DEP_1) | instskip(NEXT) | instid1(VALU_DEP_1)
	v_readfirstlane_b32 s0, v61
	s_mul_i32 s1, s1, s0
	s_delay_alu instid0(SALU_CYCLE_1) | instskip(NEXT) | instid1(SALU_CYCLE_1)
	s_mul_hi_u32 s1, s0, s1
	s_add_i32 s0, s0, s1
	s_delay_alu instid0(SALU_CYCLE_1) | instskip(NEXT) | instid1(SALU_CYCLE_1)
	s_mul_hi_u32 s0, s4, s0
	s_mul_i32 s1, s0, s38
	s_delay_alu instid0(SALU_CYCLE_1)
	s_sub_i32 s1, s4, s1
	s_add_i32 s4, s0, 1
	s_sub_i32 s5, s1, s38
	s_cmp_ge_u32 s1, s38
	s_cselect_b32 s0, s4, s0
	s_cselect_b32 s1, s5, s1
	s_add_i32 s4, s0, 1
	s_cmp_ge_u32 s1, s38
	s_mov_b32 s1, 0
	s_cselect_b32 s0, s4, s0
	s_delay_alu instid0(SALU_CYCLE_1)
	v_dual_mov_b32 v62, s1 :: v_dual_mov_b32 v61, s0
.LBB1149_313:
	v_cmp_ne_u64_e64 s0, v[3:4], v[57:58]
	v_cmp_ne_u64_e64 s1, v[1:2], v[3:4]
	;; [unrolled: 1-line block ×13, first 2 shown]
	v_cmp_ne_u64_e32 vcc_lo, v[25:26], v[27:28]
	v_lshlrev_b32_e32 v63, 3, v0
	ds_store_b64 v63, v[57:58]
	s_waitcnt lgkmcnt(0)
	s_barrier
	buffer_gl0_inv
	s_and_saveexec_b32 s16, s3
	s_cbranch_execz .LBB1149_315
; %bb.314:
	v_add_nc_u32_e32 v61, -8, v63
	ds_load_b64 v[61:62], v61
.LBB1149_315:
	s_or_b32 exec_lo, exec_lo, s16
	v_cndmask_b32_e64 v105, 0, 1, s0
	v_cndmask_b32_e64 v99, 0, 1, s1
	;; [unrolled: 1-line block ×13, first 2 shown]
	s_waitcnt lgkmcnt(0)
	v_cmp_ne_u64_e64 s0, v[61:62], v[25:26]
	v_cndmask_b32_e64 v112, 0, 1, vcc_lo
	s_mov_b32 s26, -1
.LBB1149_316:
                                        ; implicit-def: $sgpr1
	s_branch .LBB1149_333
.LBB1149_317:
	s_mov_b32 s26, 0
                                        ; implicit-def: $sgpr0
                                        ; implicit-def: $vgpr105
                                        ; implicit-def: $vgpr99
                                        ; implicit-def: $vgpr100
                                        ; implicit-def: $vgpr101
                                        ; implicit-def: $vgpr102
                                        ; implicit-def: $vgpr103
                                        ; implicit-def: $vgpr104
                                        ; implicit-def: $vgpr106
                                        ; implicit-def: $vgpr107
                                        ; implicit-def: $vgpr108
                                        ; implicit-def: $vgpr109
                                        ; implicit-def: $vgpr110
                                        ; implicit-def: $vgpr111
                                        ; implicit-def: $vgpr112
                                        ; implicit-def: $sgpr1
	s_cbranch_execnz .LBB1149_322
	s_branch .LBB1149_333
.LBB1149_318:
	s_mov_b32 s26, 0
                                        ; implicit-def: $sgpr0
                                        ; implicit-def: $vgpr105
                                        ; implicit-def: $vgpr99
                                        ; implicit-def: $vgpr100
                                        ; implicit-def: $vgpr101
                                        ; implicit-def: $vgpr102
                                        ; implicit-def: $vgpr103
                                        ; implicit-def: $vgpr104
                                        ; implicit-def: $vgpr106
                                        ; implicit-def: $vgpr107
                                        ; implicit-def: $vgpr108
                                        ; implicit-def: $vgpr109
                                        ; implicit-def: $vgpr110
                                        ; implicit-def: $vgpr111
                                        ; implicit-def: $vgpr112
	s_cbranch_execz .LBB1149_316
; %bb.319:
	v_cmp_ne_u64_e32 vcc_lo, v[3:4], v[57:58]
	v_lshlrev_b32_e32 v61, 3, v0
                                        ; implicit-def: $sgpr0
	ds_store_b64 v61, v[57:58]
	v_cndmask_b32_e64 v105, 0, 1, vcc_lo
	v_cmp_ne_u64_e32 vcc_lo, v[1:2], v[3:4]
	s_waitcnt lgkmcnt(0)
	s_barrier
	buffer_gl0_inv
	v_cndmask_b32_e64 v99, 0, 1, vcc_lo
	v_cmp_ne_u64_e32 vcc_lo, v[7:8], v[1:2]
	v_cndmask_b32_e64 v100, 0, 1, vcc_lo
	v_cmp_ne_u64_e32 vcc_lo, v[5:6], v[7:8]
	;; [unrolled: 2-line block ×12, first 2 shown]
	v_cndmask_b32_e64 v112, 0, 1, vcc_lo
	s_and_saveexec_b32 s1, s3
	s_delay_alu instid0(SALU_CYCLE_1)
	s_xor_b32 s1, exec_lo, s1
	s_cbranch_execz .LBB1149_321
; %bb.320:
	v_add_nc_u32_e32 v61, -8, v61
	s_or_b32 s26, s26, exec_lo
	ds_load_b64 v[61:62], v61
	s_waitcnt lgkmcnt(0)
	v_cmp_ne_u64_e32 vcc_lo, v[61:62], v[25:26]
	s_and_b32 s0, vcc_lo, exec_lo
.LBB1149_321:
	s_or_b32 exec_lo, exec_lo, s1
	s_mov_b32 s1, 1
	s_branch .LBB1149_333
.LBB1149_322:
	s_mul_hi_u32 s0, s18, 0xfffff100
	s_mul_i32 s1, s19, 0xfffff100
	s_sub_i32 s0, s0, s18
	s_mul_i32 s4, s18, 0xfffff100
	s_add_i32 s0, s0, s1
	s_add_u32 s30, s4, s64
	s_addc_u32 s31, s0, s65
	s_and_b32 vcc_lo, exec_lo, s15
	s_cbranch_vccz .LBB1149_330
; %bb.323:
	s_add_u32 s4, s24, -1
	s_addc_u32 s5, s25, -1
	s_delay_alu instid0(SALU_CYCLE_1) | instskip(SKIP_1) | instid1(SALU_CYCLE_1)
	s_or_b64 s[6:7], s[4:5], s[38:39]
	s_mov_b32 s6, 0
	s_cmp_lg_u64 s[6:7], 0
	s_cbranch_scc0 .LBB1149_540
; %bb.324:
	s_ashr_i32 s8, s39, 31
	s_delay_alu instid0(SALU_CYCLE_1) | instskip(SKIP_2) | instid1(SALU_CYCLE_1)
	s_add_u32 s0, s38, s8
	s_mov_b32 s9, s8
	s_addc_u32 s1, s39, s8
	s_xor_b64 s[0:1], s[0:1], s[8:9]
	s_delay_alu instid0(SALU_CYCLE_1) | instskip(SKIP_3) | instid1(VALU_DEP_1)
	v_cvt_f32_u32_e32 v61, s0
	v_cvt_f32_u32_e32 v62, s1
	s_sub_u32 s11, 0, s0
	s_subb_u32 s12, 0, s1
	v_fmamk_f32 v61, v62, 0x4f800000, v61
	s_delay_alu instid0(VALU_DEP_1) | instskip(SKIP_2) | instid1(VALU_DEP_1)
	v_rcp_f32_e32 v61, v61
	s_waitcnt_depctr 0xfff
	v_mul_f32_e32 v61, 0x5f7ffffc, v61
	v_mul_f32_e32 v62, 0x2f800000, v61
	s_delay_alu instid0(VALU_DEP_1) | instskip(NEXT) | instid1(VALU_DEP_1)
	v_trunc_f32_e32 v62, v62
	v_fmamk_f32 v61, v62, 0xcf800000, v61
	v_cvt_u32_f32_e32 v62, v62
	s_delay_alu instid0(VALU_DEP_2) | instskip(NEXT) | instid1(VALU_DEP_2)
	v_cvt_u32_f32_e32 v61, v61
	v_readfirstlane_b32 s7, v62
	s_delay_alu instid0(VALU_DEP_2) | instskip(NEXT) | instid1(VALU_DEP_2)
	v_readfirstlane_b32 s10, v61
	s_mul_i32 s13, s11, s7
	s_delay_alu instid0(VALU_DEP_1)
	s_mul_hi_u32 s15, s11, s10
	s_mul_i32 s14, s12, s10
	s_add_i32 s13, s15, s13
	s_mul_i32 s16, s11, s10
	s_add_i32 s13, s13, s14
	s_mul_hi_u32 s15, s10, s16
	s_mul_hi_u32 s17, s7, s16
	s_mul_i32 s14, s7, s16
	s_mul_hi_u32 s16, s10, s13
	s_mul_i32 s10, s10, s13
	s_mul_hi_u32 s18, s7, s13
	s_add_u32 s10, s15, s10
	s_addc_u32 s15, 0, s16
	s_add_u32 s10, s10, s14
	s_mul_i32 s13, s7, s13
	s_addc_u32 s10, s15, s17
	s_addc_u32 s14, s18, 0
	s_add_u32 s10, s10, s13
	s_addc_u32 s13, 0, s14
	v_add_co_u32 v61, s10, v61, s10
	s_delay_alu instid0(VALU_DEP_1) | instskip(SKIP_1) | instid1(VALU_DEP_1)
	s_cmp_lg_u32 s10, 0
	s_addc_u32 s7, s7, s13
	v_readfirstlane_b32 s10, v61
	s_mul_i32 s13, s11, s7
	s_delay_alu instid0(VALU_DEP_1)
	s_mul_hi_u32 s14, s11, s10
	s_mul_i32 s12, s12, s10
	s_add_i32 s13, s14, s13
	s_mul_i32 s11, s11, s10
	s_add_i32 s13, s13, s12
	s_mul_hi_u32 s14, s7, s11
	s_mul_i32 s15, s7, s11
	s_mul_hi_u32 s11, s10, s11
	s_mul_hi_u32 s16, s10, s13
	s_mul_i32 s10, s10, s13
	s_mul_hi_u32 s12, s7, s13
	s_add_u32 s10, s11, s10
	s_addc_u32 s11, 0, s16
	s_add_u32 s10, s10, s15
	s_mul_i32 s13, s7, s13
	s_addc_u32 s10, s11, s14
	s_addc_u32 s11, s12, 0
	s_add_u32 s10, s10, s13
	s_addc_u32 s11, 0, s11
	v_add_co_u32 v61, s10, v61, s10
	s_delay_alu instid0(VALU_DEP_1) | instskip(SKIP_2) | instid1(SALU_CYCLE_1)
	s_cmp_lg_u32 s10, 0
	s_addc_u32 s7, s7, s11
	s_ashr_i32 s10, s5, 31
	s_add_u32 s12, s4, s10
	s_addc_u32 s13, s5, s10
	v_readfirstlane_b32 s5, v61
	s_mov_b32 s11, s10
	s_delay_alu instid0(SALU_CYCLE_1) | instskip(NEXT) | instid1(SALU_CYCLE_1)
	s_xor_b64 s[12:13], s[12:13], s[10:11]
	s_mul_i32 s15, s12, s7
	s_delay_alu instid0(VALU_DEP_1)
	s_mul_hi_u32 s16, s12, s5
	s_mul_hi_u32 s14, s12, s7
	;; [unrolled: 1-line block ×3, first 2 shown]
	s_mul_i32 s5, s13, s5
	s_add_u32 s15, s16, s15
	s_addc_u32 s14, 0, s14
	s_mul_hi_u32 s17, s13, s7
	s_add_u32 s5, s15, s5
	s_mul_i32 s7, s13, s7
	s_addc_u32 s5, s14, s18
	s_addc_u32 s14, s17, 0
	s_add_u32 s5, s5, s7
	s_addc_u32 s7, 0, s14
	s_mul_i32 s17, s0, s5
	s_mul_hi_u32 s14, s0, s5
	s_mul_i32 s16, s0, s7
	v_sub_co_u32 v61, s12, s12, s17
	s_mul_i32 s15, s1, s5
	s_add_i32 s14, s14, s16
	s_delay_alu instid0(SALU_CYCLE_1) | instskip(NEXT) | instid1(VALU_DEP_1)
	s_add_i32 s14, s14, s15
	v_sub_co_u32 v62, s16, v61, s0
	s_sub_i32 s15, s13, s14
	s_cmp_lg_u32 s12, 0
	s_subb_u32 s15, s15, s1
	s_cmp_lg_u32 s16, 0
	v_cmp_le_u32_e32 vcc_lo, s0, v62
	s_subb_u32 s15, s15, 0
	s_delay_alu instid0(SALU_CYCLE_1)
	s_cmp_ge_u32 s15, s1
	v_cndmask_b32_e64 v62, 0, -1, vcc_lo
	s_cselect_b32 s16, -1, 0
	s_cmp_eq_u32 s15, s1
	s_cselect_b32 vcc_lo, -1, 0
	s_add_u32 s15, s5, 1
	v_cndmask_b32_e32 v62, s16, v62, vcc_lo
	s_addc_u32 s16, s7, 0
	s_add_u32 s17, s5, 2
	s_addc_u32 s18, s7, 0
	v_mov_b32_e32 v63, s17
	s_cmp_lg_u32 s12, 0
	v_cmp_le_u32_e32 vcc_lo, s0, v61
	s_subb_u32 s0, s13, s14
	s_delay_alu instid0(SALU_CYCLE_1)
	s_cmp_ge_u32 s0, s1
	v_cndmask_b32_e64 v61, 0, -1, vcc_lo
	s_cselect_b32 s12, -1, 0
	s_cmp_eq_u32 s0, s1
	v_cmp_ne_u32_e32 vcc_lo, 0, v62
	s_cselect_b32 s0, -1, 0
	v_mov_b32_e32 v62, s18
	v_cndmask_b32_e64 v61, s12, v61, s0
	s_xor_b64 s[0:1], s[10:11], s[8:9]
	v_cndmask_b32_e32 v63, s15, v63, vcc_lo
	s_delay_alu instid0(VALU_DEP_3) | instskip(NEXT) | instid1(VALU_DEP_3)
	v_cndmask_b32_e32 v62, s16, v62, vcc_lo
	v_cmp_ne_u32_e32 vcc_lo, 0, v61
	s_delay_alu instid0(VALU_DEP_2) | instskip(NEXT) | instid1(VALU_DEP_4)
	v_cndmask_b32_e32 v61, s7, v62, vcc_lo
	v_cndmask_b32_e32 v62, s5, v63, vcc_lo
	s_delay_alu instid0(VALU_DEP_2) | instskip(NEXT) | instid1(VALU_DEP_2)
	v_xor_b32_e32 v63, s1, v61
	v_xor_b32_e32 v62, s0, v62
	s_delay_alu instid0(VALU_DEP_1) | instskip(NEXT) | instid1(VALU_DEP_3)
	v_sub_co_u32 v61, vcc_lo, v62, s0
	v_subrev_co_ci_u32_e32 v62, vcc_lo, s1, v63, vcc_lo
	s_and_not1_b32 vcc_lo, exec_lo, s6
	s_cbranch_vccnz .LBB1149_326
.LBB1149_325:
	v_cvt_f32_u32_e32 v61, s38
	s_sub_i32 s1, 0, s38
	s_delay_alu instid0(VALU_DEP_1) | instskip(SKIP_2) | instid1(VALU_DEP_1)
	v_rcp_iflag_f32_e32 v61, v61
	s_waitcnt_depctr 0xfff
	v_mul_f32_e32 v61, 0x4f7ffffe, v61
	v_cvt_u32_f32_e32 v61, v61
	s_delay_alu instid0(VALU_DEP_1) | instskip(NEXT) | instid1(VALU_DEP_1)
	v_readfirstlane_b32 s0, v61
	s_mul_i32 s1, s1, s0
	s_delay_alu instid0(SALU_CYCLE_1) | instskip(NEXT) | instid1(SALU_CYCLE_1)
	s_mul_hi_u32 s1, s0, s1
	s_add_i32 s0, s0, s1
	s_delay_alu instid0(SALU_CYCLE_1) | instskip(NEXT) | instid1(SALU_CYCLE_1)
	s_mul_hi_u32 s0, s4, s0
	s_mul_i32 s1, s0, s38
	s_delay_alu instid0(SALU_CYCLE_1)
	s_sub_i32 s1, s4, s1
	s_add_i32 s4, s0, 1
	s_sub_i32 s5, s1, s38
	s_cmp_ge_u32 s1, s38
	s_cselect_b32 s0, s4, s0
	s_cselect_b32 s1, s5, s1
	s_add_i32 s4, s0, 1
	s_cmp_ge_u32 s1, s38
	s_mov_b32 s1, 0
	s_cselect_b32 s0, s4, s0
	s_delay_alu instid0(SALU_CYCLE_1)
	v_dual_mov_b32 v62, s1 :: v_dual_mov_b32 v61, s0
.LBB1149_326:
	v_mad_u32_u24 v63, v0, 15, 14
	v_mov_b32_e32 v64, 0
	v_cmp_ne_u64_e64 s9, v[3:4], v[57:58]
	v_cmp_ne_u64_e64 s10, v[1:2], v[3:4]
	;; [unrolled: 1-line block ×4, first 2 shown]
	v_cmp_gt_u64_e32 vcc_lo, s[30:31], v[63:64]
	v_mad_u32_u24 v63, v0, 15, 13
	v_cmp_ne_u64_e64 s14, v[11:12], v[5:6]
	v_cmp_ne_u64_e64 s15, v[9:10], v[11:12]
	;; [unrolled: 1-line block ×4, first 2 shown]
	v_cmp_gt_u64_e64 s0, s[30:31], v[63:64]
	v_mad_u32_u24 v63, v0, 15, 12
	s_and_b32 s37, vcc_lo, s9
	v_cmp_ne_u64_e64 s19, v[19:20], v[13:14]
	v_cmp_ne_u64_e64 s20, v[17:18], v[19:20]
	;; [unrolled: 1-line block ×3, first 2 shown]
	v_cmp_gt_u64_e64 s1, s[30:31], v[63:64]
	v_mad_u32_u24 v63, v0, 15, 11
	v_cmp_ne_u64_e64 s22, v[21:22], v[23:24]
	v_cmp_ne_u64_e64 s24, v[27:28], v[21:22]
	;; [unrolled: 1-line block ×3, first 2 shown]
	s_and_b32 s38, s0, s10
	v_cmp_gt_u64_e64 s4, s[30:31], v[63:64]
	v_mad_u32_u24 v63, v0, 15, 10
	v_lshlrev_b32_e32 v66, 3, v0
	v_mul_u32_u24_e32 v65, 15, v0
	s_mov_b32 s36, 0
	s_and_b32 s11, s1, s11
	v_cmp_gt_u64_e64 s5, s[30:31], v[63:64]
	v_mad_u32_u24 v63, v0, 15, 9
	s_and_b32 s12, s4, s12
	ds_store_b64 v66, v[57:58]
	s_waitcnt lgkmcnt(0)
	s_barrier
	v_cmp_gt_u64_e64 s6, s[30:31], v[63:64]
	v_mad_u32_u24 v63, v0, 15, 8
	s_and_b32 s14, s5, s14
	buffer_gl0_inv
	v_cmp_gt_u64_e64 s7, s[30:31], v[63:64]
	v_mad_u32_u24 v63, v0, 15, 7
	s_and_b32 s15, s6, s15
	s_delay_alu instid0(VALU_DEP_1) | instskip(SKIP_1) | instid1(VALU_DEP_4)
	v_cmp_gt_u64_e64 s8, s[30:31], v[63:64]
	v_mad_u32_u24 v63, v0, 15, 6
	s_and_b32 s7, s7, s16
	s_delay_alu instid0(VALU_DEP_1) | instskip(SKIP_1) | instid1(VALU_DEP_4)
	;; [unrolled: 4-line block ×6, first 2 shown]
	v_cmp_gt_u64_e32 vcc_lo, s[30:31], v[63:64]
	v_mad_u32_u24 v63, v0, 15, 1
	s_and_b32 s4, s26, s22
	s_delay_alu instid0(VALU_DEP_1) | instskip(SKIP_1) | instid1(VALU_DEP_1)
	v_cmp_gt_u64_e64 s0, s[30:31], v[63:64]
	s_and_b32 s5, vcc_lo, s24
	s_and_b32 s6, s0, s25
	s_and_saveexec_b32 s0, s3
	s_cbranch_execz .LBB1149_328
; %bb.327:
	v_add_nc_u32_e32 v61, -8, v66
	ds_load_b64 v[61:62], v61
.LBB1149_328:
	s_or_b32 exec_lo, exec_lo, s0
	v_mov_b32_e32 v66, v64
	s_waitcnt lgkmcnt(0)
	v_cmp_ne_u64_e64 s0, v[61:62], v[25:26]
	v_cndmask_b32_e64 v105, 0, 1, s37
	v_cndmask_b32_e64 v99, 0, 1, s38
	;; [unrolled: 1-line block ×3, first 2 shown]
	v_cmp_gt_u64_e32 vcc_lo, s[30:31], v[65:66]
	v_cndmask_b32_e64 v101, 0, 1, s12
	v_cndmask_b32_e64 v102, 0, 1, s14
	;; [unrolled: 1-line block ×11, first 2 shown]
	s_and_b32 s0, vcc_lo, s0
	s_mov_b32 s26, -1
	s_and_b32 vcc_lo, exec_lo, s36
	s_cbranch_vccnz .LBB1149_331
.LBB1149_329:
                                        ; implicit-def: $sgpr1
	v_mov_b32_e32 v113, s1
	s_and_saveexec_b32 s1, s26
	s_cbranch_execnz .LBB1149_334
	s_branch .LBB1149_335
.LBB1149_330:
                                        ; implicit-def: $sgpr0
                                        ; implicit-def: $vgpr105
                                        ; implicit-def: $vgpr99
                                        ; implicit-def: $vgpr100
                                        ; implicit-def: $vgpr101
                                        ; implicit-def: $vgpr102
                                        ; implicit-def: $vgpr103
                                        ; implicit-def: $vgpr104
                                        ; implicit-def: $vgpr106
                                        ; implicit-def: $vgpr107
                                        ; implicit-def: $vgpr108
                                        ; implicit-def: $vgpr109
                                        ; implicit-def: $vgpr110
                                        ; implicit-def: $vgpr111
                                        ; implicit-def: $vgpr112
	s_cbranch_execz .LBB1149_329
.LBB1149_331:
	v_mad_u32_u24 v61, v0, 15, 14
	v_dual_mov_b32 v62, 0 :: v_dual_lshlrev_b32 v63, 3, v0
	v_cmp_ne_u64_e64 s7, v[1:2], v[3:4]
	v_cmp_ne_u64_e64 s6, v[3:4], v[57:58]
	;; [unrolled: 1-line block ×3, first 2 shown]
	s_delay_alu instid0(VALU_DEP_4)
	v_cmp_gt_u64_e32 vcc_lo, s[30:31], v[61:62]
	v_mad_u32_u24 v61, v0, 15, 13
	v_cmp_ne_u64_e64 s10, v[5:6], v[7:8]
	v_cmp_ne_u64_e64 s11, v[11:12], v[5:6]
	;; [unrolled: 1-line block ×4, first 2 shown]
	v_cmp_gt_u64_e64 s0, s[30:31], v[61:62]
	v_mad_u32_u24 v61, v0, 15, 12
	s_and_b32 s6, vcc_lo, s6
	v_cmp_ne_u64_e64 s15, v[13:14], v[15:16]
	v_cmp_ne_u64_e64 s16, v[19:20], v[13:14]
	;; [unrolled: 1-line block ×3, first 2 shown]
	v_cmp_gt_u64_e64 s1, s[30:31], v[61:62]
	v_mad_u32_u24 v61, v0, 15, 11
	s_and_b32 s0, s0, s7
	v_cmp_ne_u64_e64 s18, v[23:24], v[17:18]
	v_cndmask_b32_e64 v99, 0, 1, s0
	v_cmp_ne_u64_e64 s20, v[21:22], v[23:24]
	v_cmp_gt_u64_e64 s4, s[30:31], v[61:62]
	v_mad_u32_u24 v61, v0, 15, 10
	s_and_b32 s0, s1, s8
	v_cmp_ne_u64_e64 s21, v[27:28], v[21:22]
	v_cndmask_b32_e64 v100, 0, 1, s0
	v_cmp_ne_u64_e64 s22, v[25:26], v[27:28]
	v_cmp_gt_u64_e64 s5, s[30:31], v[61:62]
	v_mad_u32_u24 v61, v0, 15, 9
	s_and_b32 s0, s4, s10
	v_cndmask_b32_e64 v105, 0, 1, s6
	v_cndmask_b32_e64 v101, 0, 1, s0
	ds_store_b64 v63, v[57:58]
	v_cmp_gt_u64_e64 s9, s[30:31], v[61:62]
	v_mad_u32_u24 v61, v0, 15, 8
	s_and_b32 s1, s5, s11
	s_waitcnt lgkmcnt(0)
	v_cndmask_b32_e64 v102, 0, 1, s1
	s_barrier
	v_cmp_gt_u64_e64 s14, s[30:31], v[61:62]
	v_mad_u32_u24 v61, v0, 15, 7
	s_and_b32 s1, s9, s12
	buffer_gl0_inv
	v_cndmask_b32_e64 v103, 0, 1, s1
	v_cmp_gt_u64_e64 s19, s[30:31], v[61:62]
	v_mad_u32_u24 v61, v0, 15, 6
	s_and_b32 s4, s14, s13
	s_delay_alu instid0(SALU_CYCLE_1) | instskip(NEXT) | instid1(VALU_DEP_2)
	v_cndmask_b32_e64 v104, 0, 1, s4
	v_cmp_gt_u64_e64 s23, s[30:31], v[61:62]
	v_mad_u32_u24 v61, v0, 15, 5
	s_and_b32 s4, s19, s15
	s_delay_alu instid0(SALU_CYCLE_1) | instskip(NEXT) | instid1(VALU_DEP_2)
	v_cndmask_b32_e64 v106, 0, 1, s4
	v_cmp_gt_u64_e32 vcc_lo, s[30:31], v[61:62]
	v_mad_u32_u24 v61, v0, 15, 4
	s_and_b32 s5, s23, s16
	s_delay_alu instid0(SALU_CYCLE_1) | instskip(NEXT) | instid1(VALU_DEP_2)
	v_cndmask_b32_e64 v107, 0, 1, s5
	v_cmp_gt_u64_e64 s0, s[30:31], v[61:62]
	v_mad_u32_u24 v61, v0, 15, 3
	s_and_b32 s5, vcc_lo, s17
	s_delay_alu instid0(SALU_CYCLE_1) | instskip(NEXT) | instid1(VALU_DEP_2)
	v_cndmask_b32_e64 v108, 0, 1, s5
	v_cmp_gt_u64_e64 s1, s[30:31], v[61:62]
	v_mad_u32_u24 v61, v0, 15, 2
	s_and_b32 s0, s0, s18
	s_delay_alu instid0(SALU_CYCLE_1) | instskip(NEXT) | instid1(VALU_DEP_2)
	v_cndmask_b32_e64 v109, 0, 1, s0
	v_cmp_gt_u64_e64 s4, s[30:31], v[61:62]
	v_mad_u32_u24 v61, v0, 15, 1
	s_and_b32 s0, s1, s20
	s_mov_b32 s1, 1
	v_cndmask_b32_e64 v110, 0, 1, s0
	s_delay_alu instid0(VALU_DEP_2) | instskip(SKIP_1) | instid1(SALU_CYCLE_1)
	v_cmp_gt_u64_e32 vcc_lo, s[30:31], v[61:62]
	s_and_b32 s0, s4, s21
	v_cndmask_b32_e64 v111, 0, 1, s0
	s_and_b32 s0, vcc_lo, s22
	s_delay_alu instid0(SALU_CYCLE_1)
	v_cndmask_b32_e64 v112, 0, 1, s0
                                        ; implicit-def: $sgpr0
	s_and_saveexec_b32 s4, s3
	s_cbranch_execz .LBB1149_470
; %bb.332:
	v_add_nc_u32_e32 v61, -8, v63
	s_or_b32 s26, s26, exec_lo
	ds_load_b64 v[63:64], v61
	v_mul_u32_u24_e32 v61, 15, v0
	s_delay_alu instid0(VALU_DEP_1) | instskip(SKIP_2) | instid1(VALU_DEP_1)
	v_cmp_gt_u64_e32 vcc_lo, s[30:31], v[61:62]
	s_waitcnt lgkmcnt(0)
	v_cmp_ne_u64_e64 s0, v[63:64], v[25:26]
	s_and_b32 s0, vcc_lo, s0
	s_delay_alu instid0(SALU_CYCLE_1)
	s_and_b32 s0, s0, exec_lo
	s_or_b32 exec_lo, exec_lo, s4
.LBB1149_333:
	v_mov_b32_e32 v113, s1
	s_and_saveexec_b32 s1, s26
.LBB1149_334:
	v_cndmask_b32_e64 v113, 0, 1, s0
.LBB1149_335:
	s_or_b32 exec_lo, exec_lo, s1
	s_delay_alu instid0(VALU_DEP_1)
	v_add3_u32 v61, v112, v113, v111
	v_dual_mov_b32 v95, v53 :: v_dual_mov_b32 v96, v54
	v_cmp_eq_u32_e64 s13, 0, v112
	v_cmp_eq_u32_e64 s12, 0, v111
	;; [unrolled: 1-line block ×3, first 2 shown]
	v_add3_u32 v116, v61, v110, v109
	v_cmp_eq_u32_e64 s10, 0, v109
	v_cmp_eq_u32_e64 s9, 0, v108
	;; [unrolled: 1-line block ×10, first 2 shown]
	v_cmp_eq_u32_e32 vcc_lo, 0, v105
	v_mbcnt_lo_u32_b32 v115, -1, 0
	s_cmp_eq_u64 s[58:59], 0
	s_cselect_b32 s15, -1, 0
	s_cmp_lg_u32 s33, 0
	s_cbranch_scc0 .LBB1149_402
; %bb.336:
	v_cndmask_b32_e64 v61, 0, v53, s13
	v_cndmask_b32_e64 v62, 0, v54, s13
	v_add3_u32 v63, v116, v108, v107
	s_delay_alu instid0(VALU_DEP_3) | instskip(NEXT) | instid1(VALU_DEP_1)
	v_add_co_u32 v61, s14, v61, v55
	v_add_co_ci_u32_e64 v62, s14, v62, v56, s14
	s_delay_alu instid0(VALU_DEP_3) | instskip(NEXT) | instid1(VALU_DEP_3)
	v_add3_u32 v63, v63, v106, v104
	v_cndmask_b32_e64 v61, 0, v61, s12
	s_delay_alu instid0(VALU_DEP_3) | instskip(NEXT) | instid1(VALU_DEP_3)
	v_cndmask_b32_e64 v62, 0, v62, s12
	v_add3_u32 v63, v63, v103, v102
	s_delay_alu instid0(VALU_DEP_3) | instskip(NEXT) | instid1(VALU_DEP_1)
	v_add_co_u32 v61, s14, v61, v49
	v_add_co_ci_u32_e64 v62, s14, v62, v50, s14
	s_delay_alu instid0(VALU_DEP_3) | instskip(NEXT) | instid1(VALU_DEP_3)
	v_add3_u32 v63, v63, v101, v100
	v_cndmask_b32_e64 v61, 0, v61, s11
	s_delay_alu instid0(VALU_DEP_3) | instskip(NEXT) | instid1(VALU_DEP_3)
	v_cndmask_b32_e64 v62, 0, v62, s11
	v_add3_u32 v65, v63, v99, v105
	s_delay_alu instid0(VALU_DEP_3) | instskip(NEXT) | instid1(VALU_DEP_1)
	v_add_co_u32 v61, s14, v61, v51
	v_add_co_ci_u32_e64 v62, s14, v62, v52, s14
	s_delay_alu instid0(VALU_DEP_2) | instskip(NEXT) | instid1(VALU_DEP_2)
	v_cndmask_b32_e64 v61, 0, v61, s10
	v_cndmask_b32_e64 v62, 0, v62, s10
	s_delay_alu instid0(VALU_DEP_2) | instskip(NEXT) | instid1(VALU_DEP_1)
	v_add_co_u32 v61, s14, v61, v45
	v_add_co_ci_u32_e64 v62, s14, v62, v46, s14
	s_delay_alu instid0(VALU_DEP_2) | instskip(NEXT) | instid1(VALU_DEP_2)
	v_cndmask_b32_e64 v61, 0, v61, s9
	v_cndmask_b32_e64 v62, 0, v62, s9
	s_delay_alu instid0(VALU_DEP_2) | instskip(NEXT) | instid1(VALU_DEP_1)
	;; [unrolled: 6-line block ×10, first 2 shown]
	v_add_co_u32 v61, s14, v61, v31
	v_add_co_ci_u32_e64 v62, s14, v62, v32, s14
	s_mov_b32 s14, exec_lo
	s_delay_alu instid0(VALU_DEP_1) | instskip(NEXT) | instid1(VALU_DEP_1)
	v_dual_cndmask_b32 v61, 0, v61 :: v_dual_cndmask_b32 v62, 0, v62
	v_add_co_u32 v63, vcc_lo, v61, v59
	s_delay_alu instid0(VALU_DEP_2) | instskip(SKIP_2) | instid1(VALU_DEP_4)
	v_add_co_ci_u32_e32 v64, vcc_lo, v62, v60, vcc_lo
	v_and_b32_e32 v61, 15, v115
	v_mov_b32_dpp v62, v65 row_shr:1 row_mask:0xf bank_mask:0xf
	v_mov_b32_dpp v66, v63 row_shr:1 row_mask:0xf bank_mask:0xf
	s_delay_alu instid0(VALU_DEP_4) | instskip(NEXT) | instid1(VALU_DEP_4)
	v_mov_b32_dpp v67, v64 row_shr:1 row_mask:0xf bank_mask:0xf
	v_cmpx_ne_u32_e32 0, v61
; %bb.337:
	v_cmp_eq_u32_e32 vcc_lo, 0, v65
	v_add_nc_u32_e32 v65, v62, v65
	s_delay_alu instid0(VALU_DEP_4) | instskip(NEXT) | instid1(VALU_DEP_1)
	v_dual_cndmask_b32 v67, 0, v67 :: v_dual_cndmask_b32 v66, 0, v66
	v_add_co_u32 v63, vcc_lo, v66, v63
	s_delay_alu instid0(VALU_DEP_2)
	v_add_co_ci_u32_e32 v64, vcc_lo, v67, v64, vcc_lo
; %bb.338:
	s_or_b32 exec_lo, exec_lo, s14
	v_mov_b32_dpp v62, v65 row_shr:2 row_mask:0xf bank_mask:0xf
	s_delay_alu instid0(VALU_DEP_3) | instskip(NEXT) | instid1(VALU_DEP_3)
	v_mov_b32_dpp v66, v63 row_shr:2 row_mask:0xf bank_mask:0xf
	v_mov_b32_dpp v67, v64 row_shr:2 row_mask:0xf bank_mask:0xf
	s_mov_b32 s14, exec_lo
	v_cmpx_lt_u32_e32 1, v61
; %bb.339:
	v_cmp_eq_u32_e32 vcc_lo, 0, v65
	v_add_nc_u32_e32 v65, v62, v65
	v_dual_cndmask_b32 v67, 0, v67 :: v_dual_cndmask_b32 v66, 0, v66
	s_delay_alu instid0(VALU_DEP_1) | instskip(NEXT) | instid1(VALU_DEP_2)
	v_add_co_u32 v63, vcc_lo, v66, v63
	v_add_co_ci_u32_e32 v64, vcc_lo, v67, v64, vcc_lo
; %bb.340:
	s_or_b32 exec_lo, exec_lo, s14
	v_mov_b32_dpp v62, v65 row_shr:4 row_mask:0xf bank_mask:0xf
	s_delay_alu instid0(VALU_DEP_3) | instskip(NEXT) | instid1(VALU_DEP_3)
	v_mov_b32_dpp v66, v63 row_shr:4 row_mask:0xf bank_mask:0xf
	v_mov_b32_dpp v67, v64 row_shr:4 row_mask:0xf bank_mask:0xf
	s_mov_b32 s14, exec_lo
	v_cmpx_lt_u32_e32 3, v61
; %bb.341:
	v_cmp_eq_u32_e32 vcc_lo, 0, v65
	v_add_nc_u32_e32 v65, v62, v65
	v_dual_cndmask_b32 v67, 0, v67 :: v_dual_cndmask_b32 v66, 0, v66
	s_delay_alu instid0(VALU_DEP_1) | instskip(NEXT) | instid1(VALU_DEP_2)
	v_add_co_u32 v63, vcc_lo, v66, v63
	;; [unrolled: 15-line block ×3, first 2 shown]
	v_add_co_ci_u32_e32 v64, vcc_lo, v61, v64, vcc_lo
; %bb.344:
	s_or_b32 exec_lo, exec_lo, s14
	ds_swizzle_b32 v61, v65 offset:swizzle(BROADCAST,32,15)
	ds_swizzle_b32 v62, v63 offset:swizzle(BROADCAST,32,15)
	;; [unrolled: 1-line block ×3, first 2 shown]
	v_and_b32_e32 v67, 16, v115
	s_mov_b32 s14, exec_lo
	s_delay_alu instid0(VALU_DEP_1)
	v_cmpx_ne_u32_e32 0, v67
	s_cbranch_execz .LBB1149_346
; %bb.345:
	v_cmp_eq_u32_e32 vcc_lo, 0, v65
	s_waitcnt lgkmcnt(1)
	v_dual_cndmask_b32 v62, 0, v62 :: v_dual_add_nc_u32 v65, v61, v65
	s_waitcnt lgkmcnt(0)
	v_cndmask_b32_e32 v66, 0, v66, vcc_lo
	s_delay_alu instid0(VALU_DEP_2) | instskip(NEXT) | instid1(VALU_DEP_2)
	v_add_co_u32 v63, vcc_lo, v62, v63
	v_add_co_ci_u32_e32 v64, vcc_lo, v66, v64, vcc_lo
.LBB1149_346:
	s_or_b32 exec_lo, exec_lo, s14
	s_waitcnt lgkmcnt(1)
	v_lshrrev_b32_e32 v62, 5, v0
	v_or_b32_e32 v61, 31, v0
	s_mov_b32 s14, exec_lo
	s_waitcnt lgkmcnt(0)
	s_delay_alu instid0(VALU_DEP_2) | instskip(NEXT) | instid1(VALU_DEP_2)
	v_lshlrev_b32_e32 v66, 4, v62
	v_cmpx_eq_u32_e64 v61, v0
	s_cbranch_execz .LBB1149_348
; %bb.347:
	ds_store_b32 v66, v65 offset:4128
	ds_store_b64 v66, v[63:64] offset:4136
.LBB1149_348:
	s_or_b32 exec_lo, exec_lo, s14
	s_delay_alu instid0(SALU_CYCLE_1)
	s_mov_b32 s14, exec_lo
	s_waitcnt lgkmcnt(0)
	s_barrier
	buffer_gl0_inv
	v_cmpx_gt_u32_e32 8, v0
	s_cbranch_execz .LBB1149_356
; %bb.349:
	v_lshlrev_b32_e32 v67, 4, v0
	v_and_b32_e32 v69, 7, v115
	s_mov_b32 s16, exec_lo
	ds_load_b32 v68, v67 offset:4128
	ds_load_b64 v[61:62], v67 offset:4136
	s_waitcnt lgkmcnt(1)
	v_mov_b32_dpp v70, v68 row_shr:1 row_mask:0xf bank_mask:0xf
	s_waitcnt lgkmcnt(0)
	v_mov_b32_dpp v71, v61 row_shr:1 row_mask:0xf bank_mask:0xf
	v_mov_b32_dpp v72, v62 row_shr:1 row_mask:0xf bank_mask:0xf
	v_cmpx_ne_u32_e32 0, v69
; %bb.350:
	v_cmp_eq_u32_e32 vcc_lo, 0, v68
	v_add_nc_u32_e32 v68, v70, v68
	s_delay_alu instid0(VALU_DEP_4) | instskip(NEXT) | instid1(VALU_DEP_1)
	v_dual_cndmask_b32 v72, 0, v72 :: v_dual_cndmask_b32 v71, 0, v71
	v_add_co_u32 v61, vcc_lo, v71, v61
	s_delay_alu instid0(VALU_DEP_2)
	v_add_co_ci_u32_e32 v62, vcc_lo, v72, v62, vcc_lo
; %bb.351:
	s_or_b32 exec_lo, exec_lo, s16
	v_mov_b32_dpp v70, v68 row_shr:2 row_mask:0xf bank_mask:0xf
	s_delay_alu instid0(VALU_DEP_3) | instskip(NEXT) | instid1(VALU_DEP_3)
	v_mov_b32_dpp v71, v61 row_shr:2 row_mask:0xf bank_mask:0xf
	v_mov_b32_dpp v72, v62 row_shr:2 row_mask:0xf bank_mask:0xf
	s_mov_b32 s16, exec_lo
	v_cmpx_lt_u32_e32 1, v69
; %bb.352:
	v_cmp_eq_u32_e32 vcc_lo, 0, v68
	v_add_nc_u32_e32 v68, v70, v68
	v_dual_cndmask_b32 v72, 0, v72 :: v_dual_cndmask_b32 v71, 0, v71
	s_delay_alu instid0(VALU_DEP_1) | instskip(NEXT) | instid1(VALU_DEP_2)
	v_add_co_u32 v61, vcc_lo, v71, v61
	v_add_co_ci_u32_e32 v62, vcc_lo, v72, v62, vcc_lo
; %bb.353:
	s_or_b32 exec_lo, exec_lo, s16
	v_mov_b32_dpp v70, v68 row_shr:4 row_mask:0xf bank_mask:0xf
	s_delay_alu instid0(VALU_DEP_3) | instskip(NEXT) | instid1(VALU_DEP_3)
	v_mov_b32_dpp v71, v61 row_shr:4 row_mask:0xf bank_mask:0xf
	v_mov_b32_dpp v72, v62 row_shr:4 row_mask:0xf bank_mask:0xf
	s_mov_b32 s16, exec_lo
	v_cmpx_lt_u32_e32 3, v69
; %bb.354:
	v_cmp_eq_u32_e32 vcc_lo, 0, v68
	v_dual_cndmask_b32 v71, 0, v71 :: v_dual_add_nc_u32 v68, v70, v68
	v_cndmask_b32_e32 v69, 0, v72, vcc_lo
	s_delay_alu instid0(VALU_DEP_2) | instskip(NEXT) | instid1(VALU_DEP_2)
	v_add_co_u32 v61, vcc_lo, v71, v61
	v_add_co_ci_u32_e32 v62, vcc_lo, v69, v62, vcc_lo
; %bb.355:
	s_or_b32 exec_lo, exec_lo, s16
	ds_store_b32 v67, v68 offset:4128
	ds_store_b64 v67, v[61:62] offset:4136
.LBB1149_356:
	s_or_b32 exec_lo, exec_lo, s14
	v_mov_b32_e32 v61, 0
	v_cmp_gt_u32_e32 vcc_lo, 32, v0
	v_dual_mov_b32 v62, 0 :: v_dual_mov_b32 v71, 0
	s_mov_b32 s16, exec_lo
	s_waitcnt lgkmcnt(0)
	s_barrier
	buffer_gl0_inv
	v_cmpx_lt_u32_e32 31, v0
	s_cbranch_execz .LBB1149_358
; %bb.357:
	ds_load_b64 v[61:62], v66 offset:4120
	ds_load_b32 v71, v66 offset:4112
	v_cmp_eq_u32_e64 s14, 0, v65
	s_waitcnt lgkmcnt(1)
	s_delay_alu instid0(VALU_DEP_1) | instskip(SKIP_3) | instid1(VALU_DEP_3)
	v_cndmask_b32_e64 v67, 0, v61, s14
	v_cndmask_b32_e64 v66, 0, v62, s14
	s_waitcnt lgkmcnt(0)
	v_add_nc_u32_e32 v65, v71, v65
	v_add_co_u32 v63, s14, v67, v63
	s_delay_alu instid0(VALU_DEP_1)
	v_add_co_ci_u32_e64 v64, s14, v66, v64, s14
.LBB1149_358:
	s_or_b32 exec_lo, exec_lo, s16
	v_add_nc_u32_e32 v66, -1, v115
	s_delay_alu instid0(VALU_DEP_1) | instskip(NEXT) | instid1(VALU_DEP_1)
	v_cmp_gt_i32_e64 s14, 0, v66
	v_cndmask_b32_e64 v66, v66, v115, s14
	v_cmp_eq_u32_e64 s14, 0, v115
	s_delay_alu instid0(VALU_DEP_2)
	v_lshlrev_b32_e32 v66, 2, v66
	ds_bpermute_b32 v74, v66, v65
	ds_bpermute_b32 v73, v66, v63
	;; [unrolled: 1-line block ×3, first 2 shown]
	s_and_saveexec_b32 s16, vcc_lo
	s_cbranch_execz .LBB1149_401
; %bb.359:
	v_mov_b32_e32 v67, 0
	ds_load_b32 v75, v67 offset:4240
	ds_load_b64 v[63:64], v67 offset:4248
	s_and_saveexec_b32 s17, s14
	s_cbranch_execz .LBB1149_361
; %bb.360:
	s_add_i32 s18, s33, 32
	s_mov_b32 s19, 0
	v_dual_mov_b32 v65, s18 :: v_dual_mov_b32 v66, 1
	s_lshl_b64 s[20:21], s[18:19], 4
	s_delay_alu instid0(SALU_CYCLE_1)
	s_add_u32 s18, s52, s20
	s_addc_u32 s19, s53, s21
	s_waitcnt lgkmcnt(1)
	global_store_b32 v67, v75, s[18:19]
	s_waitcnt lgkmcnt(0)
	global_store_b64 v67, v[63:64], s[18:19] offset:8
	s_waitcnt_vscnt null, 0x0
	buffer_gl1_inv
	buffer_gl0_inv
	global_store_b8 v65, v66, s[56:57]
.LBB1149_361:
	s_or_b32 exec_lo, exec_lo, s17
	v_xad_u32 v65, v115, -1, s33
	s_mov_b32 s18, 0
	s_mov_b32 s17, exec_lo
	s_delay_alu instid0(VALU_DEP_1)
	v_add_nc_u32_e32 v66, 32, v65
	global_load_u8 v76, v66, s[56:57] glc
	s_waitcnt vmcnt(0)
	v_cmpx_eq_u16_e32 0, v76
	s_cbranch_execz .LBB1149_367
; %bb.362:
	v_add_co_u32 v68, s19, s56, v66
	s_delay_alu instid0(VALU_DEP_1)
	v_add_co_ci_u32_e64 v69, null, s57, 0, s19
	s_mov_b32 s19, 1
.LBB1149_363:                           ; =>This Loop Header: Depth=1
                                        ;     Child Loop BB1149_364 Depth 2
	s_delay_alu instid0(SALU_CYCLE_1)
	s_max_u32 s20, s19, 1
.LBB1149_364:                           ;   Parent Loop BB1149_363 Depth=1
                                        ; =>  This Inner Loop Header: Depth=2
	s_delay_alu instid0(SALU_CYCLE_1)
	s_add_i32 s20, s20, -1
	s_sleep 1
	s_cmp_eq_u32 s20, 0
	s_cbranch_scc0 .LBB1149_364
; %bb.365:                              ;   in Loop: Header=BB1149_363 Depth=1
	global_load_u8 v76, v[68:69], off glc
	s_cmp_lt_u32 s19, 32
	s_cselect_b32 s20, -1, 0
	s_delay_alu instid0(SALU_CYCLE_1) | instskip(SKIP_4) | instid1(SALU_CYCLE_1)
	s_cmp_lg_u32 s20, 0
	s_addc_u32 s19, s19, 0
	s_waitcnt vmcnt(0)
	v_cmp_ne_u16_e32 vcc_lo, 0, v76
	s_or_b32 s18, vcc_lo, s18
	s_and_not1_b32 exec_lo, exec_lo, s18
	s_cbranch_execnz .LBB1149_363
; %bb.366:
	s_or_b32 exec_lo, exec_lo, s18
.LBB1149_367:
	s_delay_alu instid0(SALU_CYCLE_1)
	s_or_b32 exec_lo, exec_lo, s17
	v_dual_mov_b32 v68, s53 :: v_dual_mov_b32 v69, s52
	v_cmp_eq_u16_e32 vcc_lo, 1, v76
	v_lshlrev_b64 v[66:67], 4, v[66:67]
	s_waitcnt lgkmcnt(0)
	s_waitcnt_vscnt null, 0x0
	buffer_gl1_inv
	buffer_gl0_inv
	v_lshlrev_b32_e64 v78, v115, -1
	s_mov_b32 s17, exec_lo
	v_cndmask_b32_e32 v69, s54, v69, vcc_lo
	v_cndmask_b32_e32 v68, s55, v68, vcc_lo
	s_delay_alu instid0(VALU_DEP_2) | instskip(NEXT) | instid1(VALU_DEP_2)
	v_add_co_u32 v66, vcc_lo, v69, v66
	v_add_co_ci_u32_e32 v67, vcc_lo, v68, v67, vcc_lo
	v_cmp_ne_u32_e32 vcc_lo, 31, v115
	s_clause 0x1
	global_load_b32 v88, v[66:67], off
	global_load_b64 v[69:70], v[66:67], off offset:8
	v_add_co_ci_u32_e32 v66, vcc_lo, 0, v115, vcc_lo
	v_cmp_eq_u16_e32 vcc_lo, 2, v76
	s_delay_alu instid0(VALU_DEP_2) | instskip(SKIP_1) | instid1(VALU_DEP_1)
	v_lshlrev_b32_e32 v77, 2, v66
	v_and_or_b32 v66, vcc_lo, v78, 0x80000000
	v_ctz_i32_b32_e32 v66, v66
	s_waitcnt vmcnt(1)
	ds_bpermute_b32 v67, v77, v88
	s_waitcnt vmcnt(0)
	ds_bpermute_b32 v68, v77, v69
	ds_bpermute_b32 v79, v77, v70
	v_cmpx_lt_u32_e64 v115, v66
	s_cbranch_execz .LBB1149_369
; %bb.368:
	v_cmp_eq_u32_e32 vcc_lo, 0, v88
	s_waitcnt lgkmcnt(0)
	v_dual_cndmask_b32 v79, 0, v79 :: v_dual_add_nc_u32 v88, v67, v88
	v_cndmask_b32_e32 v68, 0, v68, vcc_lo
	s_delay_alu instid0(VALU_DEP_1) | instskip(NEXT) | instid1(VALU_DEP_3)
	v_add_co_u32 v69, vcc_lo, v68, v69
	v_add_co_ci_u32_e32 v70, vcc_lo, v79, v70, vcc_lo
.LBB1149_369:
	s_or_b32 exec_lo, exec_lo, s17
	v_cmp_gt_u32_e32 vcc_lo, 30, v115
	v_add_nc_u32_e32 v80, 2, v115
	s_mov_b32 s17, exec_lo
	s_waitcnt lgkmcnt(2)
	v_cndmask_b32_e64 v67, 0, 1, vcc_lo
	s_delay_alu instid0(VALU_DEP_1) | instskip(SKIP_1) | instid1(VALU_DEP_1)
	v_lshlrev_b32_e32 v67, 1, v67
	s_waitcnt lgkmcnt(0)
	v_add_lshl_u32 v79, v67, v115, 2
	ds_bpermute_b32 v67, v79, v88
	ds_bpermute_b32 v68, v79, v69
	ds_bpermute_b32 v81, v79, v70
	v_cmpx_le_u32_e64 v80, v66
	s_cbranch_execz .LBB1149_371
; %bb.370:
	v_cmp_eq_u32_e32 vcc_lo, 0, v88
	s_waitcnt lgkmcnt(0)
	v_dual_cndmask_b32 v81, 0, v81 :: v_dual_add_nc_u32 v88, v67, v88
	v_cndmask_b32_e32 v68, 0, v68, vcc_lo
	s_delay_alu instid0(VALU_DEP_1) | instskip(NEXT) | instid1(VALU_DEP_3)
	v_add_co_u32 v69, vcc_lo, v68, v69
	v_add_co_ci_u32_e32 v70, vcc_lo, v81, v70, vcc_lo
.LBB1149_371:
	s_or_b32 exec_lo, exec_lo, s17
	v_cmp_gt_u32_e32 vcc_lo, 28, v115
	v_add_nc_u32_e32 v82, 4, v115
	s_mov_b32 s17, exec_lo
	s_waitcnt lgkmcnt(2)
	v_cndmask_b32_e64 v67, 0, 1, vcc_lo
	s_delay_alu instid0(VALU_DEP_1) | instskip(SKIP_1) | instid1(VALU_DEP_1)
	v_lshlrev_b32_e32 v67, 2, v67
	s_waitcnt lgkmcnt(0)
	v_add_lshl_u32 v81, v67, v115, 2
	ds_bpermute_b32 v67, v81, v88
	ds_bpermute_b32 v68, v81, v69
	ds_bpermute_b32 v83, v81, v70
	v_cmpx_le_u32_e64 v82, v66
	;; [unrolled: 24-line block ×3, first 2 shown]
	s_cbranch_execz .LBB1149_375
; %bb.374:
	v_cmp_eq_u32_e32 vcc_lo, 0, v88
	s_waitcnt lgkmcnt(0)
	v_dual_cndmask_b32 v85, 0, v85 :: v_dual_add_nc_u32 v88, v67, v88
	v_cndmask_b32_e32 v68, 0, v68, vcc_lo
	s_delay_alu instid0(VALU_DEP_1) | instskip(NEXT) | instid1(VALU_DEP_3)
	v_add_co_u32 v69, vcc_lo, v68, v69
	v_add_co_ci_u32_e32 v70, vcc_lo, v85, v70, vcc_lo
.LBB1149_375:
	s_or_b32 exec_lo, exec_lo, s17
	v_cmp_gt_u32_e32 vcc_lo, 16, v115
	v_add_nc_u32_e32 v87, 16, v115
	s_mov_b32 s17, exec_lo
	s_waitcnt lgkmcnt(2)
	v_cndmask_b32_e64 v67, 0, 1, vcc_lo
	s_delay_alu instid0(VALU_DEP_1) | instskip(NEXT) | instid1(VALU_DEP_1)
	v_lshlrev_b32_e32 v67, 4, v67
	v_add_lshl_u32 v86, v67, v115, 2
	ds_bpermute_b32 v67, v86, v88
	s_waitcnt lgkmcnt(2)
	ds_bpermute_b32 v68, v86, v69
	s_waitcnt lgkmcnt(2)
	ds_bpermute_b32 v85, v86, v70
	v_cmpx_le_u32_e64 v87, v66
	s_cbranch_execz .LBB1149_377
; %bb.376:
	v_cmp_eq_u32_e32 vcc_lo, 0, v88
	s_waitcnt lgkmcnt(2)
	v_add_nc_u32_e32 v88, v67, v88
	s_waitcnt lgkmcnt(1)
	v_cndmask_b32_e32 v68, 0, v68, vcc_lo
	s_waitcnt lgkmcnt(0)
	v_cndmask_b32_e32 v66, 0, v85, vcc_lo
	s_delay_alu instid0(VALU_DEP_2) | instskip(NEXT) | instid1(VALU_DEP_2)
	v_add_co_u32 v69, vcc_lo, v68, v69
	v_add_co_ci_u32_e32 v70, vcc_lo, v66, v70, vcc_lo
.LBB1149_377:
	s_or_b32 exec_lo, exec_lo, s17
	v_mov_b32_e32 v66, 0
	s_branch .LBB1149_379
.LBB1149_378:                           ;   in Loop: Header=BB1149_379 Depth=1
	s_or_b32 exec_lo, exec_lo, s17
	v_cmp_eq_u32_e32 vcc_lo, 0, v85
	v_subrev_nc_u32_e32 v65, 32, v65
	v_add_nc_u32_e32 v88, v88, v85
	v_dual_cndmask_b32 v70, 0, v70 :: v_dual_cndmask_b32 v69, 0, v69
	s_delay_alu instid0(VALU_DEP_1) | instskip(NEXT) | instid1(VALU_DEP_2)
	v_add_co_u32 v69, vcc_lo, v69, v67
	v_add_co_ci_u32_e32 v70, vcc_lo, v70, v68, vcc_lo
.LBB1149_379:                           ; =>This Loop Header: Depth=1
                                        ;     Child Loop BB1149_382 Depth 2
                                        ;       Child Loop BB1149_383 Depth 3
	s_waitcnt lgkmcnt(2)
	v_and_b32_e32 v67, 0xff, v76
	s_waitcnt lgkmcnt(0)
	v_mov_b32_e32 v85, v88
	s_delay_alu instid0(VALU_DEP_2) | instskip(SKIP_2) | instid1(VALU_DEP_1)
	v_cmp_ne_u16_e32 vcc_lo, 2, v67
	v_cndmask_b32_e64 v67, 0, 1, vcc_lo
	;;#ASMSTART
	;;#ASMEND
	v_cmp_ne_u32_e32 vcc_lo, 0, v67
	v_dual_mov_b32 v67, v69 :: v_dual_mov_b32 v68, v70
	s_cmp_lg_u32 vcc_lo, exec_lo
	s_cbranch_scc1 .LBB1149_396
; %bb.380:                              ;   in Loop: Header=BB1149_379 Depth=1
	global_load_u8 v76, v65, s[56:57] glc
	s_mov_b32 s17, exec_lo
	s_waitcnt vmcnt(0)
	v_cmpx_eq_u16_e32 0, v76
	s_cbranch_execz .LBB1149_386
; %bb.381:                              ;   in Loop: Header=BB1149_379 Depth=1
	v_add_co_u32 v69, s18, s56, v65
	s_delay_alu instid0(VALU_DEP_1)
	v_add_co_ci_u32_e64 v70, null, s57, 0, s18
	s_mov_b32 s19, 1
	s_mov_b32 s18, 0
.LBB1149_382:                           ;   Parent Loop BB1149_379 Depth=1
                                        ; =>  This Loop Header: Depth=2
                                        ;       Child Loop BB1149_383 Depth 3
	s_max_u32 s20, s19, 1
.LBB1149_383:                           ;   Parent Loop BB1149_379 Depth=1
                                        ;     Parent Loop BB1149_382 Depth=2
                                        ; =>    This Inner Loop Header: Depth=3
	s_delay_alu instid0(SALU_CYCLE_1)
	s_add_i32 s20, s20, -1
	s_sleep 1
	s_cmp_eq_u32 s20, 0
	s_cbranch_scc0 .LBB1149_383
; %bb.384:                              ;   in Loop: Header=BB1149_382 Depth=2
	global_load_u8 v76, v[69:70], off glc
	s_cmp_lt_u32 s19, 32
	s_cselect_b32 s20, -1, 0
	s_delay_alu instid0(SALU_CYCLE_1) | instskip(SKIP_4) | instid1(SALU_CYCLE_1)
	s_cmp_lg_u32 s20, 0
	s_addc_u32 s19, s19, 0
	s_waitcnt vmcnt(0)
	v_cmp_ne_u16_e32 vcc_lo, 0, v76
	s_or_b32 s18, vcc_lo, s18
	s_and_not1_b32 exec_lo, exec_lo, s18
	s_cbranch_execnz .LBB1149_382
; %bb.385:                              ;   in Loop: Header=BB1149_379 Depth=1
	s_or_b32 exec_lo, exec_lo, s18
.LBB1149_386:                           ;   in Loop: Header=BB1149_379 Depth=1
	s_delay_alu instid0(SALU_CYCLE_1)
	s_or_b32 exec_lo, exec_lo, s17
	v_dual_mov_b32 v88, s53 :: v_dual_mov_b32 v89, s52
	v_cmp_eq_u16_e32 vcc_lo, 1, v76
	v_lshlrev_b64 v[69:70], 4, v[65:66]
	buffer_gl1_inv
	buffer_gl0_inv
	s_mov_b32 s17, exec_lo
	v_cndmask_b32_e32 v89, s54, v89, vcc_lo
	v_cndmask_b32_e32 v88, s55, v88, vcc_lo
	s_delay_alu instid0(VALU_DEP_2) | instskip(NEXT) | instid1(VALU_DEP_2)
	v_add_co_u32 v69, vcc_lo, v89, v69
	v_add_co_ci_u32_e32 v70, vcc_lo, v88, v70, vcc_lo
	v_cmp_eq_u16_e32 vcc_lo, 2, v76
	s_clause 0x1
	global_load_b32 v88, v[69:70], off
	global_load_b64 v[69:70], v[69:70], off offset:8
	v_and_or_b32 v89, vcc_lo, v78, 0x80000000
	s_delay_alu instid0(VALU_DEP_1)
	v_ctz_i32_b32_e32 v89, v89
	s_waitcnt vmcnt(1)
	ds_bpermute_b32 v90, v77, v88
	s_waitcnt vmcnt(0)
	ds_bpermute_b32 v91, v77, v69
	ds_bpermute_b32 v92, v77, v70
	v_cmpx_lt_u32_e64 v115, v89
	s_cbranch_execz .LBB1149_388
; %bb.387:                              ;   in Loop: Header=BB1149_379 Depth=1
	v_cmp_eq_u32_e32 vcc_lo, 0, v88
	s_waitcnt lgkmcnt(2)
	v_add_nc_u32_e32 v88, v90, v88
	s_waitcnt lgkmcnt(0)
	v_dual_cndmask_b32 v92, 0, v92 :: v_dual_cndmask_b32 v91, 0, v91
	s_delay_alu instid0(VALU_DEP_1) | instskip(NEXT) | instid1(VALU_DEP_2)
	v_add_co_u32 v69, vcc_lo, v91, v69
	v_add_co_ci_u32_e32 v70, vcc_lo, v92, v70, vcc_lo
.LBB1149_388:                           ;   in Loop: Header=BB1149_379 Depth=1
	s_or_b32 exec_lo, exec_lo, s17
	s_waitcnt lgkmcnt(2)
	ds_bpermute_b32 v90, v79, v88
	s_waitcnt lgkmcnt(2)
	ds_bpermute_b32 v91, v79, v69
	s_waitcnt lgkmcnt(2)
	ds_bpermute_b32 v92, v79, v70
	s_mov_b32 s17, exec_lo
	v_cmpx_le_u32_e64 v80, v89
	s_cbranch_execz .LBB1149_390
; %bb.389:                              ;   in Loop: Header=BB1149_379 Depth=1
	v_cmp_eq_u32_e32 vcc_lo, 0, v88
	s_waitcnt lgkmcnt(2)
	v_add_nc_u32_e32 v88, v90, v88
	s_waitcnt lgkmcnt(0)
	v_dual_cndmask_b32 v92, 0, v92 :: v_dual_cndmask_b32 v91, 0, v91
	s_delay_alu instid0(VALU_DEP_1) | instskip(NEXT) | instid1(VALU_DEP_2)
	v_add_co_u32 v69, vcc_lo, v91, v69
	v_add_co_ci_u32_e32 v70, vcc_lo, v92, v70, vcc_lo
.LBB1149_390:                           ;   in Loop: Header=BB1149_379 Depth=1
	s_or_b32 exec_lo, exec_lo, s17
	s_waitcnt lgkmcnt(2)
	ds_bpermute_b32 v90, v81, v88
	s_waitcnt lgkmcnt(2)
	ds_bpermute_b32 v91, v81, v69
	s_waitcnt lgkmcnt(2)
	ds_bpermute_b32 v92, v81, v70
	s_mov_b32 s17, exec_lo
	v_cmpx_le_u32_e64 v82, v89
	;; [unrolled: 20-line block ×4, first 2 shown]
	s_cbranch_execz .LBB1149_378
; %bb.395:                              ;   in Loop: Header=BB1149_379 Depth=1
	v_cmp_eq_u32_e32 vcc_lo, 0, v88
	s_waitcnt lgkmcnt(1)
	v_dual_cndmask_b32 v91, 0, v91 :: v_dual_add_nc_u32 v88, v90, v88
	s_waitcnt lgkmcnt(0)
	v_cndmask_b32_e32 v89, 0, v92, vcc_lo
	s_delay_alu instid0(VALU_DEP_2) | instskip(NEXT) | instid1(VALU_DEP_2)
	v_add_co_u32 v69, vcc_lo, v91, v69
	v_add_co_ci_u32_e32 v70, vcc_lo, v89, v70, vcc_lo
	s_branch .LBB1149_378
.LBB1149_396:                           ;   in Loop: Header=BB1149_379 Depth=1
                                        ; implicit-def: $vgpr69_vgpr70
                                        ; implicit-def: $vgpr88
                                        ; implicit-def: $vgpr76
	s_cbranch_execz .LBB1149_379
; %bb.397:
	s_and_saveexec_b32 s17, s14
	s_cbranch_execz .LBB1149_399
; %bb.398:
	v_cmp_eq_u32_e32 vcc_lo, 0, v75
	s_mov_b32 s19, 0
	s_add_i32 s18, s33, 32
	v_dual_mov_b32 v70, 0 :: v_dual_add_nc_u32 v69, v85, v75
	v_dual_cndmask_b32 v66, 0, v68 :: v_dual_cndmask_b32 v65, 0, v67
	s_lshl_b64 s[20:21], s[18:19], 4
	v_dual_mov_b32 v76, s18 :: v_dual_mov_b32 v77, 2
	s_add_u32 s20, s54, s20
	s_delay_alu instid0(VALU_DEP_2)
	v_add_co_u32 v65, vcc_lo, v65, v63
	v_add_co_ci_u32_e32 v66, vcc_lo, v66, v64, vcc_lo
	s_addc_u32 s21, s55, s21
	s_clause 0x1
	global_store_b32 v70, v69, s[20:21]
	global_store_b64 v70, v[65:66], s[20:21] offset:8
	s_waitcnt lgkmcnt(0)
	s_waitcnt_vscnt null, 0x0
	buffer_gl1_inv
	buffer_gl0_inv
	global_store_b8 v76, v77, s[56:57]
	ds_store_b32 v70, v75 offset:4096
	ds_store_b64 v70, v[63:64] offset:4104
	ds_store_b32 v70, v85 offset:4112
	ds_store_b64 v70, v[67:68] offset:4120
.LBB1149_399:
	s_or_b32 exec_lo, exec_lo, s17
	s_delay_alu instid0(SALU_CYCLE_1)
	s_and_b32 exec_lo, exec_lo, s2
	s_cbranch_execz .LBB1149_401
; %bb.400:
	v_mov_b32_e32 v63, 0
	ds_store_b32 v63, v85 offset:4240
	ds_store_b64 v63, v[67:68] offset:4248
.LBB1149_401:
	s_or_b32 exec_lo, exec_lo, s16
	s_waitcnt lgkmcnt(2)
	v_cndmask_b32_e64 v66, v74, v71, s14
	s_waitcnt lgkmcnt(0)
	s_waitcnt_vscnt null, 0x0
	s_barrier
	buffer_gl0_inv
	v_cndmask_b32_e64 v61, v73, v61, s14
	v_cmp_eq_u32_e32 vcc_lo, 0, v66
	v_mov_b32_e32 v65, 0
	v_cndmask_b32_e64 v62, v72, v62, s14
	v_cndmask_b32_e64 v66, v66, 0, s2
	ds_load_b64 v[63:64], v65 offset:4248
	s_waitcnt lgkmcnt(0)
	v_dual_cndmask_b32 v68, 0, v63 :: v_dual_cndmask_b32 v67, 0, v64
	s_delay_alu instid0(VALU_DEP_1) | instskip(NEXT) | instid1(VALU_DEP_2)
	v_add_co_u32 v61, vcc_lo, v68, v61
	v_add_co_ci_u32_e32 v62, vcc_lo, v67, v62, vcc_lo
	v_cmp_eq_u32_e32 vcc_lo, 0, v113
	s_delay_alu instid0(VALU_DEP_3) | instskip(NEXT) | instid1(VALU_DEP_3)
	v_cndmask_b32_e64 v79, v61, v63, s2
	v_cndmask_b32_e64 v80, v62, v64, s2
	ds_load_b32 v64, v65 offset:4240
	s_waitcnt lgkmcnt(0)
	v_cndmask_b32_e32 v62, 0, v79, vcc_lo
	s_barrier
	v_cndmask_b32_e32 v61, 0, v80, vcc_lo
	buffer_gl0_inv
	ds_load_b64 v[117:118], v65 offset:4104
	v_add_co_u32 v75, vcc_lo, v62, v53
	v_add_co_ci_u32_e32 v76, vcc_lo, v61, v54, vcc_lo
	s_delay_alu instid0(VALU_DEP_2) | instskip(NEXT) | instid1(VALU_DEP_2)
	v_cndmask_b32_e64 v61, 0, v75, s13
	v_cndmask_b32_e64 v62, 0, v76, s13
	s_delay_alu instid0(VALU_DEP_2) | instskip(NEXT) | instid1(VALU_DEP_2)
	v_add_co_u32 v81, vcc_lo, v61, v55
	v_add_co_ci_u32_e32 v82, vcc_lo, v62, v56, vcc_lo
	v_add_nc_u32_e32 v114, v64, v66
	s_delay_alu instid0(VALU_DEP_3) | instskip(NEXT) | instid1(VALU_DEP_3)
	v_cndmask_b32_e64 v61, 0, v81, s12
	v_cndmask_b32_e64 v62, 0, v82, s12
	s_delay_alu instid0(VALU_DEP_2) | instskip(NEXT) | instid1(VALU_DEP_2)
	v_add_co_u32 v85, vcc_lo, v61, v49
	v_add_co_ci_u32_e32 v86, vcc_lo, v62, v50, vcc_lo
	s_delay_alu instid0(VALU_DEP_2) | instskip(NEXT) | instid1(VALU_DEP_2)
	v_cndmask_b32_e64 v61, 0, v85, s11
	v_cndmask_b32_e64 v62, 0, v86, s11
	s_delay_alu instid0(VALU_DEP_2) | instskip(NEXT) | instid1(VALU_DEP_2)
	v_add_co_u32 v67, vcc_lo, v61, v51
	v_add_co_ci_u32_e32 v68, vcc_lo, v62, v52, vcc_lo
	s_delay_alu instid0(VALU_DEP_2) | instskip(NEXT) | instid1(VALU_DEP_2)
	;; [unrolled: 6-line block ×7, first 2 shown]
	v_cndmask_b32_e64 v61, 0, v69, s5
	v_cndmask_b32_e64 v62, 0, v70, s5
	s_delay_alu instid0(VALU_DEP_2) | instskip(NEXT) | instid1(VALU_DEP_2)
	v_add_co_u32 v73, vcc_lo, v61, v39
	v_add_co_ci_u32_e32 v74, vcc_lo, v62, v40, vcc_lo
	ds_load_b32 v61, v65 offset:4096
	v_cndmask_b32_e64 v62, 0, v73, s4
	v_cndmask_b32_e64 v63, 0, v74, s4
	s_delay_alu instid0(VALU_DEP_2) | instskip(NEXT) | instid1(VALU_DEP_2)
	v_add_co_u32 v89, vcc_lo, v62, v33
	v_add_co_ci_u32_e32 v90, vcc_lo, v63, v34, vcc_lo
	ds_load_b64 v[62:63], v65 offset:4120
	v_cndmask_b32_e64 v91, 0, v89, s3
	ds_load_b32 v65, v65 offset:4112
	v_cndmask_b32_e64 v92, 0, v90, s3
	v_add_co_u32 v91, vcc_lo, v91, v35
	s_delay_alu instid0(VALU_DEP_2) | instskip(SKIP_2) | instid1(VALU_DEP_3)
	v_add_co_ci_u32_e32 v92, vcc_lo, v92, v36, vcc_lo
	s_waitcnt lgkmcnt(2)
	v_cmp_eq_u32_e32 vcc_lo, 0, v61
	v_cndmask_b32_e64 v93, 0, v91, s1
	s_delay_alu instid0(VALU_DEP_3) | instskip(NEXT) | instid1(VALU_DEP_2)
	v_cndmask_b32_e64 v94, 0, v92, s1
	v_add_co_u32 v93, s1, v93, v29
	s_delay_alu instid0(VALU_DEP_1) | instskip(SKIP_2) | instid1(VALU_DEP_3)
	v_add_co_ci_u32_e64 v94, s1, v94, v30, s1
	s_waitcnt lgkmcnt(1)
	v_dual_cndmask_b32 v62, 0, v62 :: v_dual_cndmask_b32 v119, 0, v63
	v_cndmask_b32_e64 v97, 0, v93, s0
	s_delay_alu instid0(VALU_DEP_3) | instskip(NEXT) | instid1(VALU_DEP_3)
	v_cndmask_b32_e64 v98, 0, v94, s0
	v_add_co_u32 v63, vcc_lo, v62, v117
	s_delay_alu instid0(VALU_DEP_4)
	v_add_co_ci_u32_e32 v64, vcc_lo, v119, v118, vcc_lo
	s_branch .LBB1149_430
.LBB1149_402:
                                        ; implicit-def: $vgpr61
                                        ; implicit-def: $vgpr63_vgpr64
                                        ; implicit-def: $vgpr65
                                        ; implicit-def: $vgpr79_vgpr80
                                        ; implicit-def: $vgpr75_vgpr76
                                        ; implicit-def: $vgpr81_vgpr82
                                        ; implicit-def: $vgpr85_vgpr86
                                        ; implicit-def: $vgpr67_vgpr68
                                        ; implicit-def: $vgpr71_vgpr72
                                        ; implicit-def: $vgpr77_vgpr78
                                        ; implicit-def: $vgpr83_vgpr84
                                        ; implicit-def: $vgpr87_vgpr88
                                        ; implicit-def: $vgpr69_vgpr70
                                        ; implicit-def: $vgpr73_vgpr74
                                        ; implicit-def: $vgpr89_vgpr90
                                        ; implicit-def: $vgpr91_vgpr92
                                        ; implicit-def: $vgpr93_vgpr94
                                        ; implicit-def: $vgpr97_vgpr98
                                        ; implicit-def: $vgpr114
	s_cbranch_execz .LBB1149_430
; %bb.403:
	s_and_b32 s0, s15, exec_lo
	s_cselect_b32 s1, 0, s29
	s_cselect_b32 s0, 0, s28
	s_delay_alu instid0(SALU_CYCLE_1)
	s_cmp_eq_u64 s[0:1], 0
	s_cbranch_scc1 .LBB1149_405
; %bb.404:
	v_mov_b32_e32 v61, 0
	global_load_b64 v[95:96], v61, s[0:1]
.LBB1149_405:
	v_cmp_eq_u32_e64 s12, 0, v112
	v_cmp_eq_u32_e64 s11, 0, v111
	;; [unrolled: 1-line block ×5, first 2 shown]
	v_cndmask_b32_e64 v62, 0, v53, s12
	v_cndmask_b32_e64 v61, 0, v54, s12
	v_cmp_eq_u32_e64 s7, 0, v107
	v_cmp_eq_u32_e64 s6, 0, v106
	;; [unrolled: 1-line block ×3, first 2 shown]
	v_add_co_u32 v62, vcc_lo, v62, v55
	v_add_co_ci_u32_e32 v61, vcc_lo, v61, v56, vcc_lo
	v_cmp_eq_u32_e64 s4, 0, v103
	s_delay_alu instid0(VALU_DEP_3) | instskip(SKIP_1) | instid1(VALU_DEP_4)
	v_cndmask_b32_e64 v62, 0, v62, s11
	v_cmp_eq_u32_e64 s3, 0, v102
	v_cndmask_b32_e64 v61, 0, v61, s11
	v_cmp_eq_u32_e64 s1, 0, v100
	v_add3_u32 v63, v116, v108, v107
	v_add_co_u32 v62, vcc_lo, v62, v49
	s_delay_alu instid0(VALU_DEP_4) | instskip(NEXT) | instid1(VALU_DEP_3)
	v_add_co_ci_u32_e32 v61, vcc_lo, v61, v50, vcc_lo
	v_add3_u32 v63, v63, v106, v104
	s_delay_alu instid0(VALU_DEP_3) | instskip(SKIP_1) | instid1(VALU_DEP_3)
	v_cndmask_b32_e64 v62, 0, v62, s10
	s_mov_b32 s14, exec_lo
	v_cndmask_b32_e64 v61, 0, v61, s10
	s_delay_alu instid0(VALU_DEP_3) | instskip(NEXT) | instid1(VALU_DEP_3)
	v_add3_u32 v63, v63, v103, v102
	v_add_co_u32 v62, vcc_lo, v62, v51
	s_delay_alu instid0(VALU_DEP_3) | instskip(NEXT) | instid1(VALU_DEP_3)
	v_add_co_ci_u32_e32 v61, vcc_lo, v61, v52, vcc_lo
	v_add3_u32 v63, v63, v101, v100
	s_delay_alu instid0(VALU_DEP_3) | instskip(NEXT) | instid1(VALU_DEP_3)
	v_cndmask_b32_e64 v62, 0, v62, s9
	v_cndmask_b32_e64 v61, 0, v61, s9
	s_delay_alu instid0(VALU_DEP_3) | instskip(NEXT) | instid1(VALU_DEP_3)
	v_add3_u32 v63, v63, v99, v105
	v_add_co_u32 v62, vcc_lo, v62, v45
	s_delay_alu instid0(VALU_DEP_3) | instskip(NEXT) | instid1(VALU_DEP_2)
	v_add_co_ci_u32_e32 v61, vcc_lo, v61, v46, vcc_lo
	v_cndmask_b32_e64 v62, 0, v62, s8
	s_delay_alu instid0(VALU_DEP_2) | instskip(NEXT) | instid1(VALU_DEP_2)
	v_cndmask_b32_e64 v61, 0, v61, s8
	v_add_co_u32 v62, vcc_lo, v62, v47
	s_delay_alu instid0(VALU_DEP_2) | instskip(NEXT) | instid1(VALU_DEP_2)
	v_add_co_ci_u32_e32 v61, vcc_lo, v61, v48, vcc_lo
	v_cndmask_b32_e64 v62, 0, v62, s7
	s_delay_alu instid0(VALU_DEP_2) | instskip(NEXT) | instid1(VALU_DEP_2)
	v_cndmask_b32_e64 v61, 0, v61, s7
	v_add_co_u32 v62, vcc_lo, v62, v41
	s_delay_alu instid0(VALU_DEP_2) | instskip(NEXT) | instid1(VALU_DEP_2)
	;; [unrolled: 6-line block ×5, first 2 shown]
	v_add_co_ci_u32_e32 v61, vcc_lo, v61, v40, vcc_lo
	v_cndmask_b32_e64 v62, 0, v62, s3
	s_delay_alu instid0(VALU_DEP_2) | instskip(NEXT) | instid1(VALU_DEP_2)
	v_cndmask_b32_e64 v61, 0, v61, s3
	v_add_co_u32 v62, vcc_lo, v62, v33
	s_delay_alu instid0(VALU_DEP_2) | instskip(SKIP_1) | instid1(VALU_DEP_2)
	v_add_co_ci_u32_e32 v61, vcc_lo, v61, v34, vcc_lo
	v_cmp_eq_u32_e32 vcc_lo, 0, v101
	v_dual_cndmask_b32 v61, 0, v61 :: v_dual_cndmask_b32 v62, 0, v62
	s_delay_alu instid0(VALU_DEP_1) | instskip(NEXT) | instid1(VALU_DEP_1)
	v_add_co_u32 v62, s0, v62, v35
	v_add_co_ci_u32_e64 v61, s0, v61, v36, s0
	s_delay_alu instid0(VALU_DEP_2) | instskip(NEXT) | instid1(VALU_DEP_2)
	v_cndmask_b32_e64 v62, 0, v62, s1
	v_cndmask_b32_e64 v61, 0, v61, s1
	s_delay_alu instid0(VALU_DEP_2) | instskip(NEXT) | instid1(VALU_DEP_1)
	v_add_co_u32 v62, s0, v62, v29
	v_add_co_ci_u32_e64 v61, s0, v61, v30, s0
	v_cmp_eq_u32_e64 s0, 0, v99
	s_delay_alu instid0(VALU_DEP_1) | instskip(NEXT) | instid1(VALU_DEP_3)
	v_cndmask_b32_e64 v62, 0, v62, s0
	v_cndmask_b32_e64 v61, 0, v61, s0
	s_delay_alu instid0(VALU_DEP_2) | instskip(NEXT) | instid1(VALU_DEP_1)
	v_add_co_u32 v62, s13, v62, v31
	v_add_co_ci_u32_e64 v61, s13, v61, v32, s13
	v_cmp_eq_u32_e64 s13, 0, v105
	s_delay_alu instid0(VALU_DEP_1) | instskip(NEXT) | instid1(VALU_DEP_3)
	v_cndmask_b32_e64 v62, 0, v62, s13
	v_cndmask_b32_e64 v61, 0, v61, s13
	s_delay_alu instid0(VALU_DEP_2) | instskip(NEXT) | instid1(VALU_DEP_1)
	v_add_co_u32 v59, s13, v62, v59
	v_add_co_ci_u32_e64 v60, s13, v61, v60, s13
	v_and_b32_e32 v61, 15, v115
	v_mov_b32_dpp v62, v63 row_shr:1 row_mask:0xf bank_mask:0xf
	s_delay_alu instid0(VALU_DEP_4)
	v_mov_b32_dpp v64, v59 row_shr:1 row_mask:0xf bank_mask:0xf
	s_waitcnt lgkmcnt(0)
	v_mov_b32_dpp v65, v60 row_shr:1 row_mask:0xf bank_mask:0xf
	v_cmpx_ne_u32_e32 0, v61
; %bb.406:
	v_cmp_eq_u32_e64 s13, 0, v63
	v_add_nc_u32_e32 v63, v62, v63
	s_delay_alu instid0(VALU_DEP_2) | instskip(SKIP_1) | instid1(VALU_DEP_2)
	v_cndmask_b32_e64 v64, 0, v64, s13
	v_cndmask_b32_e64 v65, 0, v65, s13
	v_add_co_u32 v59, s13, v64, v59
	s_delay_alu instid0(VALU_DEP_1)
	v_add_co_ci_u32_e64 v60, s13, v65, v60, s13
; %bb.407:
	s_or_b32 exec_lo, exec_lo, s14
	v_mov_b32_dpp v62, v63 row_shr:2 row_mask:0xf bank_mask:0xf
	s_delay_alu instid0(VALU_DEP_3) | instskip(NEXT) | instid1(VALU_DEP_3)
	v_mov_b32_dpp v64, v59 row_shr:2 row_mask:0xf bank_mask:0xf
	v_mov_b32_dpp v65, v60 row_shr:2 row_mask:0xf bank_mask:0xf
	s_mov_b32 s14, exec_lo
	v_cmpx_lt_u32_e32 1, v61
; %bb.408:
	v_cmp_eq_u32_e64 s13, 0, v63
	v_add_nc_u32_e32 v63, v62, v63
	s_delay_alu instid0(VALU_DEP_2) | instskip(SKIP_1) | instid1(VALU_DEP_2)
	v_cndmask_b32_e64 v64, 0, v64, s13
	v_cndmask_b32_e64 v65, 0, v65, s13
	v_add_co_u32 v59, s13, v64, v59
	s_delay_alu instid0(VALU_DEP_1)
	v_add_co_ci_u32_e64 v60, s13, v65, v60, s13
; %bb.409:
	s_or_b32 exec_lo, exec_lo, s14
	v_mov_b32_dpp v62, v63 row_shr:4 row_mask:0xf bank_mask:0xf
	s_delay_alu instid0(VALU_DEP_3) | instskip(NEXT) | instid1(VALU_DEP_3)
	v_mov_b32_dpp v64, v59 row_shr:4 row_mask:0xf bank_mask:0xf
	v_mov_b32_dpp v65, v60 row_shr:4 row_mask:0xf bank_mask:0xf
	s_mov_b32 s14, exec_lo
	v_cmpx_lt_u32_e32 3, v61
	;; [unrolled: 17-line block ×3, first 2 shown]
; %bb.412:
	v_cmp_eq_u32_e64 s13, 0, v63
	v_add_nc_u32_e32 v63, v62, v63
	s_delay_alu instid0(VALU_DEP_2) | instskip(SKIP_1) | instid1(VALU_DEP_2)
	v_cndmask_b32_e64 v64, 0, v64, s13
	v_cndmask_b32_e64 v61, 0, v65, s13
	v_add_co_u32 v59, s13, v64, v59
	s_delay_alu instid0(VALU_DEP_1)
	v_add_co_ci_u32_e64 v60, s13, v61, v60, s13
; %bb.413:
	s_or_b32 exec_lo, exec_lo, s14
	ds_swizzle_b32 v61, v63 offset:swizzle(BROADCAST,32,15)
	ds_swizzle_b32 v62, v59 offset:swizzle(BROADCAST,32,15)
	;; [unrolled: 1-line block ×3, first 2 shown]
	v_and_b32_e32 v65, 16, v115
	s_mov_b32 s14, exec_lo
	s_delay_alu instid0(VALU_DEP_1)
	v_cmpx_ne_u32_e32 0, v65
	s_cbranch_execz .LBB1149_415
; %bb.414:
	v_cmp_eq_u32_e64 s13, 0, v63
	s_waitcnt lgkmcnt(2)
	v_add_nc_u32_e32 v63, v61, v63
	s_waitcnt lgkmcnt(1)
	s_delay_alu instid0(VALU_DEP_2) | instskip(SKIP_2) | instid1(VALU_DEP_2)
	v_cndmask_b32_e64 v62, 0, v62, s13
	s_waitcnt lgkmcnt(0)
	v_cndmask_b32_e64 v64, 0, v64, s13
	v_add_co_u32 v59, s13, v62, v59
	s_delay_alu instid0(VALU_DEP_1)
	v_add_co_ci_u32_e64 v60, s13, v64, v60, s13
.LBB1149_415:
	s_or_b32 exec_lo, exec_lo, s14
	s_waitcnt lgkmcnt(2)
	v_or_b32_e32 v61, 31, v0
	s_waitcnt lgkmcnt(0)
	v_lshrrev_b32_e32 v64, 5, v0
	s_mov_b32 s14, exec_lo
	s_delay_alu instid0(VALU_DEP_2)
	v_cmpx_eq_u32_e64 v61, v0
	s_cbranch_execz .LBB1149_417
; %bb.416:
	s_delay_alu instid0(VALU_DEP_2)
	v_lshlrev_b32_e32 v61, 4, v64
	ds_store_b32 v61, v63 offset:4128
	ds_store_b64 v61, v[59:60] offset:4136
.LBB1149_417:
	s_or_b32 exec_lo, exec_lo, s14
	s_delay_alu instid0(SALU_CYCLE_1)
	s_mov_b32 s14, exec_lo
	s_waitcnt vmcnt(0) lgkmcnt(0)
	s_barrier
	buffer_gl0_inv
	v_cmpx_gt_u32_e32 8, v0
	s_cbranch_execz .LBB1149_425
; %bb.418:
	v_lshlrev_b32_e32 v65, 4, v0
	v_and_b32_e32 v67, 7, v115
	s_mov_b32 s16, exec_lo
	ds_load_b32 v66, v65 offset:4128
	ds_load_b64 v[61:62], v65 offset:4136
	s_waitcnt lgkmcnt(1)
	v_mov_b32_dpp v68, v66 row_shr:1 row_mask:0xf bank_mask:0xf
	s_waitcnt lgkmcnt(0)
	v_mov_b32_dpp v69, v61 row_shr:1 row_mask:0xf bank_mask:0xf
	v_mov_b32_dpp v70, v62 row_shr:1 row_mask:0xf bank_mask:0xf
	v_cmpx_ne_u32_e32 0, v67
; %bb.419:
	v_cmp_eq_u32_e64 s13, 0, v66
	v_add_nc_u32_e32 v66, v68, v66
	s_delay_alu instid0(VALU_DEP_2) | instskip(SKIP_1) | instid1(VALU_DEP_2)
	v_cndmask_b32_e64 v69, 0, v69, s13
	v_cndmask_b32_e64 v70, 0, v70, s13
	v_add_co_u32 v61, s13, v69, v61
	s_delay_alu instid0(VALU_DEP_1)
	v_add_co_ci_u32_e64 v62, s13, v70, v62, s13
; %bb.420:
	s_or_b32 exec_lo, exec_lo, s16
	v_mov_b32_dpp v68, v66 row_shr:2 row_mask:0xf bank_mask:0xf
	s_delay_alu instid0(VALU_DEP_3) | instskip(NEXT) | instid1(VALU_DEP_3)
	v_mov_b32_dpp v69, v61 row_shr:2 row_mask:0xf bank_mask:0xf
	v_mov_b32_dpp v70, v62 row_shr:2 row_mask:0xf bank_mask:0xf
	s_mov_b32 s16, exec_lo
	v_cmpx_lt_u32_e32 1, v67
; %bb.421:
	v_cmp_eq_u32_e64 s13, 0, v66
	v_add_nc_u32_e32 v66, v68, v66
	s_delay_alu instid0(VALU_DEP_2) | instskip(SKIP_1) | instid1(VALU_DEP_2)
	v_cndmask_b32_e64 v69, 0, v69, s13
	v_cndmask_b32_e64 v70, 0, v70, s13
	v_add_co_u32 v61, s13, v69, v61
	s_delay_alu instid0(VALU_DEP_1)
	v_add_co_ci_u32_e64 v62, s13, v70, v62, s13
; %bb.422:
	s_or_b32 exec_lo, exec_lo, s16
	v_mov_b32_dpp v68, v66 row_shr:4 row_mask:0xf bank_mask:0xf
	s_delay_alu instid0(VALU_DEP_3) | instskip(NEXT) | instid1(VALU_DEP_3)
	v_mov_b32_dpp v69, v61 row_shr:4 row_mask:0xf bank_mask:0xf
	v_mov_b32_dpp v70, v62 row_shr:4 row_mask:0xf bank_mask:0xf
	s_mov_b32 s16, exec_lo
	v_cmpx_lt_u32_e32 3, v67
; %bb.423:
	v_cmp_eq_u32_e64 s13, 0, v66
	v_add_nc_u32_e32 v66, v68, v66
	s_delay_alu instid0(VALU_DEP_2) | instskip(SKIP_1) | instid1(VALU_DEP_2)
	v_cndmask_b32_e64 v69, 0, v69, s13
	v_cndmask_b32_e64 v67, 0, v70, s13
	v_add_co_u32 v61, s13, v69, v61
	s_delay_alu instid0(VALU_DEP_1)
	v_add_co_ci_u32_e64 v62, s13, v67, v62, s13
; %bb.424:
	s_or_b32 exec_lo, exec_lo, s16
	ds_store_b32 v65, v66 offset:4128
	ds_store_b64 v65, v[61:62] offset:4136
.LBB1149_425:
	s_or_b32 exec_lo, exec_lo, s14
	v_dual_mov_b32 v65, 0 :: v_dual_mov_b32 v66, 0
	v_dual_mov_b32 v61, v95 :: v_dual_mov_b32 v62, v96
	s_mov_b32 s14, exec_lo
	s_waitcnt lgkmcnt(0)
	s_barrier
	buffer_gl0_inv
	v_cmpx_lt_u32_e32 31, v0
	s_cbranch_execz .LBB1149_427
; %bb.426:
	v_lshlrev_b32_e32 v61, 4, v64
	ds_load_b32 v66, v61 offset:4112
	ds_load_b64 v[61:62], v61 offset:4120
	s_waitcnt lgkmcnt(1)
	v_cmp_eq_u32_e64 s13, 0, v66
	s_delay_alu instid0(VALU_DEP_1) | instskip(SKIP_2) | instid1(VALU_DEP_2)
	v_cndmask_b32_e64 v67, 0, v95, s13
	v_cndmask_b32_e64 v64, 0, v96, s13
	s_waitcnt lgkmcnt(0)
	v_add_co_u32 v61, s13, v67, v61
	s_delay_alu instid0(VALU_DEP_1)
	v_add_co_ci_u32_e64 v62, s13, v64, v62, s13
.LBB1149_427:
	s_or_b32 exec_lo, exec_lo, s14
	v_add_nc_u32_e32 v64, -1, v115
	v_cmp_eq_u32_e64 s13, 0, v63
	v_add_nc_u32_e32 v63, v66, v63
	s_delay_alu instid0(VALU_DEP_3) | instskip(NEXT) | instid1(VALU_DEP_3)
	v_cmp_gt_i32_e64 s14, 0, v64
	v_cndmask_b32_e64 v68, 0, v61, s13
	v_cndmask_b32_e64 v67, 0, v62, s13
	s_delay_alu instid0(VALU_DEP_3) | instskip(NEXT) | instid1(VALU_DEP_3)
	v_cndmask_b32_e64 v64, v64, v115, s14
	v_add_co_u32 v59, s13, v68, v59
	s_delay_alu instid0(VALU_DEP_1) | instskip(NEXT) | instid1(VALU_DEP_3)
	v_add_co_ci_u32_e64 v60, s13, v67, v60, s13
	v_lshlrev_b32_e32 v64, 2, v64
	v_cmp_eq_u32_e64 s13, 0, v115
	ds_bpermute_b32 v59, v64, v59
	ds_bpermute_b32 v60, v64, v60
	;; [unrolled: 1-line block ×3, first 2 shown]
	s_waitcnt lgkmcnt(2)
	v_cndmask_b32_e64 v79, v59, v61, s13
	s_waitcnt lgkmcnt(1)
	v_cndmask_b32_e64 v80, v60, v62, s13
	;; [unrolled: 2-line block ×3, first 2 shown]
	v_cmp_eq_u32_e64 s13, 0, v113
	ds_load_b32 v61, v65 offset:4240
	v_cndmask_b32_e64 v59, v79, v95, s2
	v_cndmask_b32_e64 v60, v80, v96, s2
	s_delay_alu instid0(VALU_DEP_2) | instskip(NEXT) | instid1(VALU_DEP_2)
	v_cndmask_b32_e64 v59, 0, v59, s13
	v_cndmask_b32_e64 v60, 0, v60, s13
	s_delay_alu instid0(VALU_DEP_2) | instskip(NEXT) | instid1(VALU_DEP_1)
	v_add_co_u32 v75, s13, v59, v53
	v_add_co_ci_u32_e64 v76, s13, v60, v54, s13
	s_delay_alu instid0(VALU_DEP_2) | instskip(NEXT) | instid1(VALU_DEP_2)
	v_cndmask_b32_e64 v53, 0, v75, s12
	v_cndmask_b32_e64 v54, 0, v76, s12
	s_delay_alu instid0(VALU_DEP_2) | instskip(NEXT) | instid1(VALU_DEP_1)
	v_add_co_u32 v81, s12, v53, v55
	v_add_co_ci_u32_e64 v82, s12, v54, v56, s12
	;; [unrolled: 6-line block ×11, first 2 shown]
	ds_load_b64 v[33:34], v65 offset:4248
	v_dual_cndmask_b32 v37, 0, v89 :: v_dual_cndmask_b32 v38, 0, v90
	s_delay_alu instid0(VALU_DEP_1) | instskip(NEXT) | instid1(VALU_DEP_2)
	v_add_co_u32 v91, vcc_lo, v37, v35
	v_add_co_ci_u32_e32 v92, vcc_lo, v38, v36, vcc_lo
	s_waitcnt lgkmcnt(1)
	v_cmp_eq_u32_e32 vcc_lo, 0, v61
	s_delay_alu instid0(VALU_DEP_3) | instskip(NEXT) | instid1(VALU_DEP_3)
	v_cndmask_b32_e64 v35, 0, v91, s1
	v_cndmask_b32_e64 v36, 0, v92, s1
	s_delay_alu instid0(VALU_DEP_2) | instskip(NEXT) | instid1(VALU_DEP_1)
	v_add_co_u32 v93, s1, v35, v29
	v_add_co_ci_u32_e64 v94, s1, v36, v30, s1
	v_dual_cndmask_b32 v29, 0, v96 :: v_dual_cndmask_b32 v30, 0, v95
	s_delay_alu instid0(VALU_DEP_3) | instskip(NEXT) | instid1(VALU_DEP_3)
	v_cndmask_b32_e64 v97, 0, v93, s0
	v_cndmask_b32_e64 v98, 0, v94, s0
	s_waitcnt lgkmcnt(0)
	s_delay_alu instid0(VALU_DEP_3)
	v_add_co_u32 v63, vcc_lo, v30, v33
	v_add_co_ci_u32_e32 v64, vcc_lo, v29, v34, vcc_lo
	s_and_saveexec_b32 s0, s2
	s_cbranch_execz .LBB1149_429
; %bb.428:
	v_dual_mov_b32 v114, 0 :: v_dual_mov_b32 v29, 2
	v_dual_mov_b32 v79, v95 :: v_dual_mov_b32 v80, v96
	s_clause 0x1
	global_store_b32 v114, v61, s[54:55] offset:512
	global_store_b64 v114, v[63:64], s[54:55] offset:520
	s_waitcnt_vscnt null, 0x0
	buffer_gl1_inv
	buffer_gl0_inv
	global_store_b8 v114, v29, s[56:57] offset:32
.LBB1149_429:
	s_or_b32 exec_lo, exec_lo, s0
	v_mov_b32_e32 v65, 0
.LBB1149_430:
	v_mov_b32_e32 v29, 0
	s_and_b32 s0, s15, exec_lo
	v_mov_b32_e32 v30, 0
	s_cselect_b32 s1, 0, s67
	s_cselect_b32 s0, 0, s66
	s_waitcnt lgkmcnt(0)
	s_waitcnt_vscnt null, 0x0
	s_cmp_eq_u64 s[0:1], 0
	s_barrier
	buffer_gl0_inv
	s_cbranch_scc1 .LBB1149_432
; %bb.431:
	v_mov_b32_e32 v29, 0
	global_load_b64 v[29:30], v29, s[0:1]
.LBB1149_432:
	v_cmp_eq_u32_e32 vcc_lo, 0, v113
	v_add_nc_u32_e32 v48, v114, v113
	v_cmp_ne_u32_e64 s13, 0, v113
	v_cmp_ne_u32_e64 s12, 0, v112
	;; [unrolled: 1-line block ×3, first 2 shown]
	v_cndmask_b32_e64 v33, 1, 2, vcc_lo
	v_cmp_eq_u32_e32 vcc_lo, 0, v112
	v_add_nc_u32_e32 v50, v48, v112
	v_cmp_ne_u32_e64 s9, 0, v110
	v_cmp_ne_u32_e64 s15, 0, v109
	;; [unrolled: 1-line block ×3, first 2 shown]
	v_cndmask_b32_e64 v34, 1, 2, vcc_lo
	v_cmp_eq_u32_e32 vcc_lo, 0, v111
	v_add_nc_u32_e32 v49, v50, v111
	v_cmp_ne_u32_e64 s11, 0, v107
	s_delay_alu instid0(VALU_DEP_4)
	v_dual_mov_b32 v66, 0 :: v_dual_and_b32 v33, v34, v33
	v_cndmask_b32_e64 v35, 1, 2, vcc_lo
	v_cmp_eq_u32_e32 vcc_lo, 0, v110
	v_add_nc_u32_e32 v47, v49, v110
	v_cmp_ne_u32_e64 s8, 0, v106
	v_cmp_ne_u32_e64 s7, 0, v104
	v_and_b32_e32 v35, v33, v35
	v_cndmask_b32_e64 v36, 1, 2, vcc_lo
	v_cmp_eq_u32_e32 vcc_lo, 0, v109
	v_add_nc_u32_e32 v46, v47, v109
	s_waitcnt vmcnt(0)
	v_lshlrev_b64 v[33:34], 3, v[29:30]
	v_cmp_ne_u32_e64 s6, 0, v103
	v_and_b32_e32 v35, v35, v36
	v_cndmask_b32_e64 v37, 1, 2, vcc_lo
	v_cmp_eq_u32_e32 vcc_lo, 0, v108
	v_add_nc_u32_e32 v45, v46, v108
	v_cmp_ne_u32_e64 s5, 0, v102
	v_cmp_ne_u32_e64 s4, 0, v101
	v_and_b32_e32 v35, v35, v37
	v_cndmask_b32_e64 v36, 1, 2, vcc_lo
	v_cmp_eq_u32_e32 vcc_lo, 0, v107
	v_add_nc_u32_e32 v44, v45, v107
	v_cmp_ne_u32_e64 s3, 0, v100
	;; [unrolled: 6-line block ×3, first 2 shown]
	s_mov_b32 s17, -1
	v_and_b32_e32 v35, v35, v37
	v_cndmask_b32_e64 v36, 1, 2, vcc_lo
	v_cmp_eq_u32_e32 vcc_lo, 0, v104
	v_add_nc_u32_e32 v42, v43, v104
	s_delay_alu instid0(VALU_DEP_3) | instskip(SKIP_2) | instid1(VALU_DEP_4)
	v_and_b32_e32 v35, v35, v36
	v_cndmask_b32_e64 v37, 1, 2, vcc_lo
	v_cmp_eq_u32_e32 vcc_lo, 0, v103
	v_add_nc_u32_e32 v41, v42, v103
	s_delay_alu instid0(VALU_DEP_3) | instskip(SKIP_2) | instid1(VALU_DEP_4)
	v_and_b32_e32 v35, v35, v37
	v_cndmask_b32_e64 v36, 1, 2, vcc_lo
	v_cmp_eq_u32_e32 vcc_lo, 0, v102
	v_add_nc_u32_e32 v40, v41, v102
	s_delay_alu instid0(VALU_DEP_3) | instskip(SKIP_3) | instid1(VALU_DEP_3)
	v_and_b32_e32 v39, v35, v36
	v_cndmask_b32_e64 v37, 1, 2, vcc_lo
	v_cmp_eq_u32_e32 vcc_lo, 0, v101
	v_lshlrev_b64 v[35:36], 3, v[65:66]
	v_and_b32_e32 v37, v39, v37
	v_cndmask_b32_e64 v38, 1, 2, vcc_lo
	v_cmp_eq_u32_e32 vcc_lo, 0, v100
	v_add_nc_u32_e32 v39, v40, v101
	s_delay_alu instid0(VALU_DEP_3) | instskip(SKIP_3) | instid1(VALU_DEP_3)
	v_and_b32_e32 v54, v37, v38
	v_cndmask_b32_e64 v53, 1, 2, vcc_lo
	v_add_co_u32 v51, vcc_lo, s46, v33
	v_add_co_ci_u32_e32 v52, vcc_lo, s47, v34, vcc_lo
	v_and_b32_e32 v53, v54, v53
	s_delay_alu instid0(VALU_DEP_3) | instskip(NEXT) | instid1(VALU_DEP_3)
	v_add_co_u32 v51, vcc_lo, v51, v35
	v_add_co_ci_u32_e32 v52, vcc_lo, v52, v36, vcc_lo
	v_cmp_eq_u32_e32 vcc_lo, 0, v99
	v_add_nc_u32_e32 v38, v39, v100
	v_cndmask_b32_e64 v54, 1, 2, vcc_lo
	v_cmp_eq_u32_e32 vcc_lo, 0, v105
	s_delay_alu instid0(VALU_DEP_3) | instskip(NEXT) | instid1(VALU_DEP_3)
	v_add_nc_u32_e32 v37, v38, v99
	v_and_b32_e32 v53, v53, v54
	v_cndmask_b32_e64 v54, 1, 2, vcc_lo
	v_cmp_gt_u32_e32 vcc_lo, 0x100, v61
	s_delay_alu instid0(VALU_DEP_2) | instskip(NEXT) | instid1(VALU_DEP_1)
	v_and_b32_e32 v53, v53, v54
	v_cmp_gt_i16_e64 s16, 2, v53
	s_cbranch_vccz .LBB1149_439
; %bb.433:
	s_delay_alu instid0(VALU_DEP_1)
	s_and_saveexec_b32 s17, s16
	s_cbranch_execz .LBB1149_438
; %bb.434:
	s_mov_b32 s18, 0
	s_mov_b32 s16, exec_lo
	v_cmpx_ne_u16_e32 1, v53
	s_xor_b32 s16, exec_lo, s16
	s_cbranch_execnz .LBB1149_471
; %bb.435:
	s_and_not1_saveexec_b32 s16, s16
	s_cbranch_execnz .LBB1149_487
.LBB1149_436:
	s_or_b32 exec_lo, exec_lo, s16
	s_delay_alu instid0(SALU_CYCLE_1)
	s_and_b32 exec_lo, exec_lo, s18
	s_cbranch_execz .LBB1149_438
.LBB1149_437:
	v_sub_nc_u32_e32 v54, v37, v65
	v_mov_b32_e32 v55, 0
	s_delay_alu instid0(VALU_DEP_1) | instskip(NEXT) | instid1(VALU_DEP_1)
	v_lshlrev_b64 v[54:55], 3, v[54:55]
	v_add_co_u32 v54, vcc_lo, v51, v54
	s_delay_alu instid0(VALU_DEP_2)
	v_add_co_ci_u32_e32 v55, vcc_lo, v52, v55, vcc_lo
	global_store_b64 v[54:55], v[57:58], off
.LBB1149_438:
	s_or_b32 exec_lo, exec_lo, s17
	s_mov_b32 s17, 0
.LBB1149_439:
	s_delay_alu instid0(SALU_CYCLE_1)
	s_and_b32 vcc_lo, exec_lo, s17
	s_cbranch_vccz .LBB1149_449
; %bb.440:
	s_mov_b32 s16, exec_lo
	v_cmpx_gt_i16_e32 2, v53
	s_cbranch_execz .LBB1149_445
; %bb.441:
	s_mov_b32 s18, 0
	s_mov_b32 s17, exec_lo
	v_cmpx_ne_u16_e32 1, v53
	s_xor_b32 s17, exec_lo, s17
	s_cbranch_execnz .LBB1149_488
; %bb.442:
	s_and_not1_saveexec_b32 s0, s17
	s_cbranch_execnz .LBB1149_504
.LBB1149_443:
	s_or_b32 exec_lo, exec_lo, s0
	s_delay_alu instid0(SALU_CYCLE_1)
	s_and_b32 exec_lo, exec_lo, s18
	s_cbranch_execz .LBB1149_445
.LBB1149_444:
	v_sub_nc_u32_e32 v1, v37, v65
	s_delay_alu instid0(VALU_DEP_1)
	v_lshlrev_b32_e32 v1, 3, v1
	ds_store_b64 v1, v[57:58]
.LBB1149_445:
	s_or_b32 exec_lo, exec_lo, s16
	s_delay_alu instid0(SALU_CYCLE_1)
	s_mov_b32 s1, exec_lo
	s_waitcnt lgkmcnt(0)
	s_waitcnt_vscnt null, 0x0
	s_barrier
	buffer_gl0_inv
	v_cmpx_lt_u32_e64 v0, v61
	s_cbranch_execz .LBB1149_448
; %bb.446:
	v_dual_mov_b32 v2, 0 :: v_dual_lshlrev_b32 v3, 3, v0
	v_mov_b32_e32 v1, v0
	s_mov_b32 s3, 0
	.p2align	6
.LBB1149_447:                           ; =>This Inner Loop Header: Depth=1
	ds_load_b64 v[4:5], v3
	v_lshlrev_b64 v[6:7], 3, v[1:2]
	v_add_nc_u32_e32 v1, 0x100, v1
	v_add_nc_u32_e32 v3, 0x800, v3
	s_delay_alu instid0(VALU_DEP_2) | instskip(NEXT) | instid1(VALU_DEP_4)
	v_cmp_ge_u32_e32 vcc_lo, v1, v61
	v_add_co_u32 v6, s0, v51, v6
	s_delay_alu instid0(VALU_DEP_1)
	v_add_co_ci_u32_e64 v7, s0, v52, v7, s0
	s_or_b32 s3, vcc_lo, s3
	s_waitcnt lgkmcnt(0)
	global_store_b64 v[6:7], v[4:5], off
	s_and_not1_b32 exec_lo, exec_lo, s3
	s_cbranch_execnz .LBB1149_447
.LBB1149_448:
	s_or_b32 exec_lo, exec_lo, s1
.LBB1149_449:
	s_cmpk_lg_i32 s34, 0xf00
	v_cndmask_b32_e64 v8, 0, 1, s35
	s_cselect_b32 s0, -1, 0
	v_mad_i32_i24 v5, v0, -15, s34
	s_and_b32 s0, s0, s27
	v_add_co_u32 v1, vcc_lo, v97, v31
	v_cndmask_b32_e64 v4, 0, 1, s0
	s_mul_hi_u32 s0, s34, 0x88888889
	s_and_b32 s1, s2, s35
	s_lshr_b32 s0, s0, 3
	v_add_co_ci_u32_e32 v2, vcc_lo, v98, v32, vcc_lo
	v_sub_nc_u32_e32 v3, v61, v8
	v_cndmask_b32_e64 v6, v113, 0, s1
	v_cmp_eq_u32_e32 vcc_lo, s0, v0
	v_cmp_ne_u32_e64 s0, 0, v5
	s_mov_b32 s16, -1
	s_waitcnt_vscnt null, 0x0
	s_barrier
	s_and_b32 vcc_lo, vcc_lo, s27
	v_add_nc_u32_e32 v3, v3, v4
	v_cndmask_b32_e64 v4, 1, v6, s0
	v_cmp_ne_u32_e64 s0, 1, v5
	buffer_gl0_inv
	v_cndmask_b32_e64 v7, 1, v112, s0
	v_cmp_ne_u32_e64 s0, 14, v5
	s_delay_alu instid0(VALU_DEP_1) | instskip(SKIP_1) | instid1(VALU_DEP_2)
	v_cndmask_b32_e64 v9, 1, v105, s0
	v_cmp_ne_u32_e64 s0, 2, v5
	v_cndmask_b32_e32 v12, v105, v9, vcc_lo
	s_delay_alu instid0(VALU_DEP_2) | instskip(SKIP_1) | instid1(VALU_DEP_2)
	v_cndmask_b32_e64 v10, 1, v111, s0
	v_cmp_ne_u32_e64 s0, 3, v5
	v_dual_cndmask_b32 v9, v6, v4 :: v_dual_cndmask_b32 v10, v111, v10
	s_delay_alu instid0(VALU_DEP_2) | instskip(SKIP_1) | instid1(VALU_DEP_3)
	v_cndmask_b32_e64 v11, 1, v110, s0
	v_cmp_ne_u32_e64 s0, 4, v5
	v_cmp_ne_u32_e64 s14, 0, v9
	s_delay_alu instid0(VALU_DEP_4) | instskip(NEXT) | instid1(VALU_DEP_3)
	v_cmp_ne_u32_e64 s12, 0, v10
	v_cndmask_b32_e64 v4, 1, v109, s0
	v_cmp_ne_u32_e64 s0, 5, v5
	s_delay_alu instid0(VALU_DEP_2) | instskip(NEXT) | instid1(VALU_DEP_2)
	v_dual_cndmask_b32 v13, v112, v7 :: v_dual_cndmask_b32 v18, v109, v4
	v_cndmask_b32_e64 v6, 1, v108, s0
	v_cmp_eq_u32_e64 s0, 0, v9
	s_delay_alu instid0(VALU_DEP_3) | instskip(NEXT) | instid1(VALU_DEP_4)
	v_cmp_ne_u32_e64 s13, 0, v13
	v_cmp_ne_u32_e64 s10, 0, v18
	s_delay_alu instid0(VALU_DEP_4) | instskip(NEXT) | instid1(VALU_DEP_4)
	v_cndmask_b32_e32 v19, v108, v6, vcc_lo
	v_cndmask_b32_e64 v7, 1, 2, s0
	v_cmp_eq_u32_e64 s0, 0, v13
	s_delay_alu instid0(VALU_DEP_1) | instskip(SKIP_1) | instid1(VALU_DEP_2)
	v_cndmask_b32_e64 v14, 1, 2, s0
	v_cmp_ne_u32_e64 s0, 6, v5
	v_and_b32_e32 v7, v14, v7
	s_delay_alu instid0(VALU_DEP_2) | instskip(SKIP_1) | instid1(VALU_DEP_2)
	v_cndmask_b32_e64 v15, 1, v107, s0
	v_cmp_eq_u32_e64 s0, 0, v10
	v_cndmask_b32_e32 v15, v107, v15, vcc_lo
	s_delay_alu instid0(VALU_DEP_2) | instskip(SKIP_1) | instid1(VALU_DEP_1)
	v_cndmask_b32_e64 v14, 1, 2, s0
	v_cmp_ne_u32_e64 s0, 7, v5
	v_cndmask_b32_e64 v16, 1, v106, s0
	v_cmp_ne_u32_e64 s0, 8, v5
	s_delay_alu instid0(VALU_DEP_2) | instskip(SKIP_1) | instid1(VALU_DEP_3)
	v_dual_cndmask_b32 v16, v106, v16 :: v_dual_and_b32 v7, v7, v14
	v_cndmask_b32_e32 v11, v110, v11, vcc_lo
	v_cndmask_b32_e64 v17, 1, v104, s0
	s_delay_alu instid0(VALU_DEP_3) | instskip(NEXT) | instid1(VALU_DEP_3)
	v_cmp_ne_u32_e64 s7, 0, v16
	v_cmp_eq_u32_e64 s0, 0, v11
	s_delay_alu instid0(VALU_DEP_3) | instskip(NEXT) | instid1(VALU_DEP_2)
	v_cndmask_b32_e32 v17, v104, v17, vcc_lo
	v_cndmask_b32_e64 v14, 1, 2, s0
	v_cmp_ne_u32_e64 s0, 9, v5
	s_delay_alu instid0(VALU_DEP_3) | instskip(NEXT) | instid1(VALU_DEP_3)
	v_cmp_ne_u32_e64 s6, 0, v17
	v_and_b32_e32 v6, v7, v14
	s_delay_alu instid0(VALU_DEP_3) | instskip(SKIP_2) | instid1(VALU_DEP_3)
	v_cndmask_b32_e64 v4, 1, v103, s0
	v_cmp_eq_u32_e64 s0, 0, v18
	v_cmp_ne_u32_e64 s11, 0, v11
	v_cndmask_b32_e32 v23, v103, v4, vcc_lo
	s_delay_alu instid0(VALU_DEP_3) | instskip(SKIP_1) | instid1(VALU_DEP_3)
	v_cndmask_b32_e64 v7, 1, 2, s0
	v_cmp_ne_u32_e64 s0, 10, v5
	v_cmp_ne_u32_e64 s5, 0, v23
	s_delay_alu instid0(VALU_DEP_3) | instskip(NEXT) | instid1(VALU_DEP_3)
	v_and_b32_e32 v6, v6, v7
	v_cndmask_b32_e64 v14, 1, v102, s0
	v_cmp_ne_u32_e64 s0, 12, v5
	v_cmp_ne_u32_e64 s9, 0, v19
	s_delay_alu instid0(VALU_DEP_3) | instskip(NEXT) | instid1(VALU_DEP_3)
	v_cndmask_b32_e32 v14, v102, v14, vcc_lo
	v_cndmask_b32_e64 v20, 1, v100, s0
	v_cmp_eq_u32_e64 s0, 0, v19
	s_delay_alu instid0(VALU_DEP_3) | instskip(NEXT) | instid1(VALU_DEP_3)
	v_cmp_ne_u32_e64 s4, 0, v14
	v_cndmask_b32_e32 v20, v100, v20, vcc_lo
	s_delay_alu instid0(VALU_DEP_3) | instskip(SKIP_1) | instid1(VALU_DEP_3)
	v_cndmask_b32_e64 v7, 1, 2, s0
	v_cmp_ne_u32_e64 s0, 13, v5
	v_cmp_ne_u32_e64 s2, 0, v20
	s_delay_alu instid0(VALU_DEP_2) | instskip(SKIP_1) | instid1(VALU_DEP_2)
	v_cndmask_b32_e64 v21, 1, v99, s0
	v_cmp_eq_u32_e64 s0, 0, v15
	v_dual_cndmask_b32 v21, v99, v21 :: v_dual_and_b32 v6, v6, v7
	s_delay_alu instid0(VALU_DEP_2) | instskip(SKIP_1) | instid1(VALU_DEP_3)
	v_cndmask_b32_e64 v7, 1, 2, s0
	v_cmp_ne_u32_e64 s0, 11, v5
	v_cmp_ne_u32_e64 s1, 0, v21
	s_delay_alu instid0(VALU_DEP_3) | instskip(NEXT) | instid1(VALU_DEP_3)
	v_and_b32_e32 v6, v6, v7
	v_cndmask_b32_e64 v5, 1, v101, s0
	v_cmp_eq_u32_e64 s0, 0, v16
	s_delay_alu instid0(VALU_DEP_2) | instskip(NEXT) | instid1(VALU_DEP_2)
	v_cndmask_b32_e32 v22, v101, v5, vcc_lo
	v_cndmask_b32_e64 v7, 1, 2, s0
	v_cmp_eq_u32_e32 vcc_lo, 0, v17
	v_cmp_ne_u32_e64 s8, 0, v15
	v_cmp_ne_u32_e64 s0, 0, v12
	;; [unrolled: 1-line block ×3, first 2 shown]
	v_and_b32_e32 v4, v6, v7
	v_cndmask_b32_e64 v5, 1, 2, vcc_lo
	v_add_co_u32 v6, vcc_lo, s48, v33
	v_add_co_ci_u32_e32 v7, vcc_lo, s49, v34, vcc_lo
	v_cmp_eq_u32_e32 vcc_lo, 0, v23
	s_delay_alu instid0(VALU_DEP_4)
	v_and_b32_e32 v24, v4, v5
	v_cndmask_b32_e64 v25, 1, 2, vcc_lo
	v_add_co_u32 v4, vcc_lo, v6, v35
	v_add_co_ci_u32_e32 v5, vcc_lo, v7, v36, vcc_lo
	v_lshlrev_b32_e32 v6, 3, v8
	v_cmp_eq_u32_e32 vcc_lo, 0, v14
	v_and_b32_e32 v7, v24, v25
	v_add_nc_u32_e32 v8, v65, v8
	v_cndmask_b32_e64 v24, 1, 2, vcc_lo
	v_add_co_u32 v6, vcc_lo, v6, v4
	v_add_co_ci_u32_e32 v25, vcc_lo, 0, v5, vcc_lo
	v_cmp_eq_u32_e32 vcc_lo, 0, v22
	s_delay_alu instid0(VALU_DEP_4) | instskip(SKIP_4) | instid1(VALU_DEP_4)
	v_and_b32_e32 v24, v7, v24
	v_cndmask_b32_e64 v26, 1, 2, vcc_lo
	v_add_co_u32 v6, vcc_lo, v6, -8
	v_add_co_ci_u32_e32 v7, vcc_lo, -1, v25, vcc_lo
	v_cmp_eq_u32_e32 vcc_lo, 0, v20
	v_and_b32_e32 v24, v24, v26
	v_cndmask_b32_e64 v25, 1, 2, vcc_lo
	v_cmp_eq_u32_e32 vcc_lo, 0, v21
	s_delay_alu instid0(VALU_DEP_2) | instskip(SKIP_2) | instid1(VALU_DEP_2)
	v_and_b32_e32 v9, v24, v25
	v_cndmask_b32_e64 v10, 1, 2, vcc_lo
	v_cmp_eq_u32_e32 vcc_lo, 0, v12
	v_and_b32_e32 v9, v9, v10
	v_cndmask_b32_e64 v10, 1, 2, vcc_lo
	v_cmp_gt_u32_e32 vcc_lo, 0x100, v3
	s_delay_alu instid0(VALU_DEP_2) | instskip(NEXT) | instid1(VALU_DEP_1)
	v_and_b32_e32 v9, v9, v10
	v_cmp_gt_i16_e64 s15, 2, v9
	s_cbranch_vccnz .LBB1149_453
; %bb.450:
	s_and_b32 vcc_lo, exec_lo, s16
	s_cbranch_vccnz .LBB1149_459
.LBB1149_451:
	v_cmp_eq_u32_e32 vcc_lo, 0xff, v0
	s_and_b32 s0, vcc_lo, s27
	s_delay_alu instid0(SALU_CYCLE_1)
	s_and_saveexec_b32 s1, s0
	s_cbranch_execnz .LBB1149_468
.LBB1149_452:
	s_nop 0
	s_sendmsg sendmsg(MSG_DEALLOC_VGPRS)
	s_endpgm
.LBB1149_453:
	s_delay_alu instid0(VALU_DEP_1)
	s_and_saveexec_b32 s16, s15
	s_cbranch_execz .LBB1149_458
; %bb.454:
	s_mov_b32 s17, 0
	s_mov_b32 s15, exec_lo
	v_cmpx_ne_u16_e32 1, v9
	s_xor_b32 s15, exec_lo, s15
	s_cbranch_execnz .LBB1149_505
; %bb.455:
	s_and_not1_saveexec_b32 s15, s15
	s_cbranch_execnz .LBB1149_521
.LBB1149_456:
	s_or_b32 exec_lo, exec_lo, s15
	s_delay_alu instid0(SALU_CYCLE_1)
	s_and_b32 exec_lo, exec_lo, s17
	s_cbranch_execz .LBB1149_458
.LBB1149_457:
	v_sub_nc_u32_e32 v10, v37, v8
	v_mov_b32_e32 v11, 0
	s_delay_alu instid0(VALU_DEP_1) | instskip(NEXT) | instid1(VALU_DEP_1)
	v_lshlrev_b64 v[10:11], 3, v[10:11]
	v_add_co_u32 v10, vcc_lo, v6, v10
	s_delay_alu instid0(VALU_DEP_2)
	v_add_co_ci_u32_e32 v11, vcc_lo, v7, v11, vcc_lo
	global_store_b64 v[10:11], v[1:2], off
.LBB1149_458:
	s_or_b32 exec_lo, exec_lo, s16
	s_branch .LBB1149_451
.LBB1149_459:
	s_mov_b32 s15, exec_lo
	v_cmpx_gt_i16_e32 2, v9
	s_cbranch_execz .LBB1149_464
; %bb.460:
	s_mov_b32 s17, 0
	s_mov_b32 s16, exec_lo
	v_cmpx_ne_u16_e32 1, v9
	s_xor_b32 s16, exec_lo, s16
	s_cbranch_execnz .LBB1149_522
; %bb.461:
	s_and_not1_saveexec_b32 s0, s16
	s_cbranch_execnz .LBB1149_538
.LBB1149_462:
	s_or_b32 exec_lo, exec_lo, s0
	s_delay_alu instid0(SALU_CYCLE_1)
	s_and_b32 exec_lo, exec_lo, s17
	s_cbranch_execz .LBB1149_464
.LBB1149_463:
	v_sub_nc_u32_e32 v8, v37, v8
	s_delay_alu instid0(VALU_DEP_1)
	v_lshlrev_b32_e32 v8, 3, v8
	ds_store_b64 v8, v[1:2]
.LBB1149_464:
	s_or_b32 exec_lo, exec_lo, s15
	s_delay_alu instid0(SALU_CYCLE_1)
	s_mov_b32 s1, exec_lo
	s_waitcnt lgkmcnt(0)
	s_waitcnt_vscnt null, 0x0
	s_barrier
	buffer_gl0_inv
	v_cmpx_lt_u32_e64 v0, v3
	s_cbranch_execz .LBB1149_467
; %bb.465:
	v_dual_mov_b32 v1, v0 :: v_dual_lshlrev_b32 v8, 3, v0
	v_mov_b32_e32 v2, 0
	s_mov_b32 s2, 0
	.p2align	6
.LBB1149_466:                           ; =>This Inner Loop Header: Depth=1
	ds_load_b64 v[9:10], v8
	v_lshlrev_b64 v[11:12], 3, v[1:2]
	v_add_nc_u32_e32 v1, 0x100, v1
	v_add_nc_u32_e32 v8, 0x800, v8
	s_delay_alu instid0(VALU_DEP_2) | instskip(NEXT) | instid1(VALU_DEP_4)
	v_cmp_ge_u32_e32 vcc_lo, v1, v3
	v_add_co_u32 v11, s0, v6, v11
	s_delay_alu instid0(VALU_DEP_1)
	v_add_co_ci_u32_e64 v12, s0, v7, v12, s0
	s_or_b32 s2, vcc_lo, s2
	s_waitcnt lgkmcnt(0)
	global_store_b64 v[11:12], v[9:10], off
	s_and_not1_b32 exec_lo, exec_lo, s2
	s_cbranch_execnz .LBB1149_466
.LBB1149_467:
	s_or_b32 exec_lo, exec_lo, s1
	v_cmp_eq_u32_e32 vcc_lo, 0xff, v0
	s_and_b32 s0, vcc_lo, s27
	s_delay_alu instid0(SALU_CYCLE_1)
	s_and_saveexec_b32 s1, s0
	s_cbranch_execz .LBB1149_452
.LBB1149_468:
	v_add_co_u32 v0, s0, v61, v65
	s_delay_alu instid0(VALU_DEP_1) | instskip(SKIP_1) | instid1(VALU_DEP_3)
	v_add_co_ci_u32_e64 v1, null, 0, 0, s0
	v_mov_b32_e32 v62, 0
	v_add_co_u32 v0, vcc_lo, v0, v29
	s_delay_alu instid0(VALU_DEP_3)
	v_add_co_ci_u32_e32 v1, vcc_lo, v1, v30, vcc_lo
	s_cmpk_lg_i32 s34, 0xf00
	global_store_b64 v62, v[0:1], s[50:51]
	s_cbranch_scc1 .LBB1149_452
; %bb.469:
	v_lshlrev_b64 v[0:1], 3, v[61:62]
	s_delay_alu instid0(VALU_DEP_1) | instskip(NEXT) | instid1(VALU_DEP_2)
	v_add_co_u32 v0, vcc_lo, v4, v0
	v_add_co_ci_u32_e32 v1, vcc_lo, v5, v1, vcc_lo
	global_store_b64 v[0:1], v[63:64], off offset:-8
	s_nop 0
	s_sendmsg sendmsg(MSG_DEALLOC_VGPRS)
	s_endpgm
.LBB1149_470:
	s_or_b32 exec_lo, exec_lo, s4
	v_mov_b32_e32 v113, s1
	s_and_saveexec_b32 s1, s26
	s_cbranch_execnz .LBB1149_334
	s_branch .LBB1149_335
.LBB1149_471:
	s_and_saveexec_b32 s18, s13
	s_cbranch_execnz .LBB1149_541
; %bb.472:
	s_or_b32 exec_lo, exec_lo, s18
	s_and_saveexec_b32 s18, s12
	s_cbranch_execnz .LBB1149_542
.LBB1149_473:
	s_or_b32 exec_lo, exec_lo, s18
	s_and_saveexec_b32 s18, s10
	s_cbranch_execnz .LBB1149_543
.LBB1149_474:
	s_or_b32 exec_lo, exec_lo, s18
	s_and_saveexec_b32 s18, s9
	s_cbranch_execnz .LBB1149_544
.LBB1149_475:
	s_or_b32 exec_lo, exec_lo, s18
	s_and_saveexec_b32 s18, s15
	s_cbranch_execnz .LBB1149_545
.LBB1149_476:
	s_or_b32 exec_lo, exec_lo, s18
	s_and_saveexec_b32 s18, s14
	s_cbranch_execnz .LBB1149_546
.LBB1149_477:
	s_or_b32 exec_lo, exec_lo, s18
	s_and_saveexec_b32 s18, s11
	s_cbranch_execnz .LBB1149_547
.LBB1149_478:
	s_or_b32 exec_lo, exec_lo, s18
	s_and_saveexec_b32 s18, s8
	s_cbranch_execnz .LBB1149_548
.LBB1149_479:
	s_or_b32 exec_lo, exec_lo, s18
	s_and_saveexec_b32 s18, s7
	s_cbranch_execnz .LBB1149_549
.LBB1149_480:
	s_or_b32 exec_lo, exec_lo, s18
	s_and_saveexec_b32 s18, s6
	s_cbranch_execnz .LBB1149_550
.LBB1149_481:
	s_or_b32 exec_lo, exec_lo, s18
	s_and_saveexec_b32 s18, s5
	s_cbranch_execnz .LBB1149_551
.LBB1149_482:
	s_or_b32 exec_lo, exec_lo, s18
	s_and_saveexec_b32 s18, s4
	s_cbranch_execnz .LBB1149_552
.LBB1149_483:
	s_or_b32 exec_lo, exec_lo, s18
	s_and_saveexec_b32 s18, s3
	s_cbranch_execnz .LBB1149_553
.LBB1149_484:
	s_or_b32 exec_lo, exec_lo, s18
	s_and_saveexec_b32 s18, s1
	s_cbranch_execz .LBB1149_486
.LBB1149_485:
	v_sub_nc_u32_e32 v54, v38, v65
	v_mov_b32_e32 v55, 0
	s_delay_alu instid0(VALU_DEP_1) | instskip(NEXT) | instid1(VALU_DEP_1)
	v_lshlrev_b64 v[54:55], 3, v[54:55]
	v_add_co_u32 v54, vcc_lo, v51, v54
	s_delay_alu instid0(VALU_DEP_2)
	v_add_co_ci_u32_e32 v55, vcc_lo, v52, v55, vcc_lo
	global_store_b64 v[54:55], v[3:4], off
.LBB1149_486:
	s_or_b32 exec_lo, exec_lo, s18
	s_delay_alu instid0(SALU_CYCLE_1)
	s_and_b32 s18, s0, exec_lo
	s_and_not1_saveexec_b32 s16, s16
	s_cbranch_execz .LBB1149_436
.LBB1149_487:
	v_sub_nc_u32_e32 v54, v114, v65
	v_mov_b32_e32 v55, 0
	s_or_b32 s18, s18, exec_lo
	s_delay_alu instid0(VALU_DEP_1) | instskip(SKIP_1) | instid1(VALU_DEP_1)
	v_lshlrev_b64 v[59:60], 3, v[54:55]
	v_sub_nc_u32_e32 v54, v48, v65
	v_lshlrev_b64 v[95:96], 3, v[54:55]
	v_sub_nc_u32_e32 v54, v50, v65
	s_delay_alu instid0(VALU_DEP_4) | instskip(SKIP_1) | instid1(VALU_DEP_3)
	v_add_co_u32 v59, vcc_lo, v51, v59
	v_add_co_ci_u32_e32 v60, vcc_lo, v52, v60, vcc_lo
	v_lshlrev_b64 v[115:116], 3, v[54:55]
	v_sub_nc_u32_e32 v54, v49, v65
	v_add_co_u32 v95, vcc_lo, v51, v95
	v_add_co_ci_u32_e32 v96, vcc_lo, v52, v96, vcc_lo
	global_store_b64 v[59:60], v[25:26], off
	v_lshlrev_b64 v[59:60], 3, v[54:55]
	v_sub_nc_u32_e32 v54, v47, v65
	global_store_b64 v[95:96], v[27:28], off
	v_add_co_u32 v95, vcc_lo, v51, v115
	v_add_co_ci_u32_e32 v96, vcc_lo, v52, v116, vcc_lo
	v_lshlrev_b64 v[115:116], 3, v[54:55]
	v_sub_nc_u32_e32 v54, v46, v65
	v_add_co_u32 v59, vcc_lo, v51, v59
	v_add_co_ci_u32_e32 v60, vcc_lo, v52, v60, vcc_lo
	s_delay_alu instid0(VALU_DEP_3) | instskip(SKIP_3) | instid1(VALU_DEP_3)
	v_lshlrev_b64 v[117:118], 3, v[54:55]
	v_sub_nc_u32_e32 v54, v45, v65
	v_add_co_u32 v115, vcc_lo, v51, v115
	v_add_co_ci_u32_e32 v116, vcc_lo, v52, v116, vcc_lo
	v_lshlrev_b64 v[119:120], 3, v[54:55]
	v_sub_nc_u32_e32 v54, v44, v65
	v_add_co_u32 v117, vcc_lo, v51, v117
	v_add_co_ci_u32_e32 v118, vcc_lo, v52, v118, vcc_lo
	s_clause 0x3
	global_store_b64 v[95:96], v[21:22], off
	global_store_b64 v[59:60], v[23:24], off
	;; [unrolled: 1-line block ×4, first 2 shown]
	v_lshlrev_b64 v[59:60], 3, v[54:55]
	v_sub_nc_u32_e32 v54, v43, v65
	v_add_co_u32 v95, vcc_lo, v51, v119
	v_add_co_ci_u32_e32 v96, vcc_lo, v52, v120, vcc_lo
	s_delay_alu instid0(VALU_DEP_3) | instskip(SKIP_3) | instid1(VALU_DEP_3)
	v_lshlrev_b64 v[115:116], 3, v[54:55]
	v_sub_nc_u32_e32 v54, v42, v65
	v_add_co_u32 v59, vcc_lo, v51, v59
	v_add_co_ci_u32_e32 v60, vcc_lo, v52, v60, vcc_lo
	v_lshlrev_b64 v[117:118], 3, v[54:55]
	v_sub_nc_u32_e32 v54, v41, v65
	v_add_co_u32 v115, vcc_lo, v51, v115
	v_add_co_ci_u32_e32 v116, vcc_lo, v52, v116, vcc_lo
	s_delay_alu instid0(VALU_DEP_3)
	v_lshlrev_b64 v[119:120], 3, v[54:55]
	v_sub_nc_u32_e32 v54, v40, v65
	v_add_co_u32 v117, vcc_lo, v51, v117
	v_add_co_ci_u32_e32 v118, vcc_lo, v52, v118, vcc_lo
	s_clause 0x3
	global_store_b64 v[95:96], v[13:14], off
	global_store_b64 v[59:60], v[15:16], off
	;; [unrolled: 1-line block ×4, first 2 shown]
	v_lshlrev_b64 v[59:60], 3, v[54:55]
	v_sub_nc_u32_e32 v54, v39, v65
	v_add_co_u32 v95, vcc_lo, v51, v119
	v_add_co_ci_u32_e32 v96, vcc_lo, v52, v120, vcc_lo
	s_delay_alu instid0(VALU_DEP_3) | instskip(SKIP_3) | instid1(VALU_DEP_3)
	v_lshlrev_b64 v[115:116], 3, v[54:55]
	v_sub_nc_u32_e32 v54, v38, v65
	v_add_co_u32 v59, vcc_lo, v51, v59
	v_add_co_ci_u32_e32 v60, vcc_lo, v52, v60, vcc_lo
	v_lshlrev_b64 v[54:55], 3, v[54:55]
	v_add_co_u32 v115, vcc_lo, v51, v115
	v_add_co_ci_u32_e32 v116, vcc_lo, v52, v116, vcc_lo
	s_clause 0x2
	global_store_b64 v[95:96], v[5:6], off
	global_store_b64 v[59:60], v[7:8], off
	;; [unrolled: 1-line block ×3, first 2 shown]
	v_add_co_u32 v54, vcc_lo, v51, v54
	v_add_co_ci_u32_e32 v55, vcc_lo, v52, v55, vcc_lo
	global_store_b64 v[54:55], v[3:4], off
	s_or_b32 exec_lo, exec_lo, s16
	s_delay_alu instid0(SALU_CYCLE_1)
	s_and_b32 exec_lo, exec_lo, s18
	s_cbranch_execnz .LBB1149_437
	s_branch .LBB1149_438
.LBB1149_488:
	s_and_saveexec_b32 s18, s13
	s_cbranch_execnz .LBB1149_554
; %bb.489:
	s_or_b32 exec_lo, exec_lo, s18
	s_and_saveexec_b32 s13, s12
	s_cbranch_execnz .LBB1149_555
.LBB1149_490:
	s_or_b32 exec_lo, exec_lo, s13
	s_and_saveexec_b32 s12, s10
	s_cbranch_execnz .LBB1149_556
.LBB1149_491:
	s_or_b32 exec_lo, exec_lo, s12
	s_and_saveexec_b32 s10, s9
	s_cbranch_execnz .LBB1149_557
.LBB1149_492:
	s_or_b32 exec_lo, exec_lo, s10
	s_and_saveexec_b32 s9, s15
	s_cbranch_execnz .LBB1149_558
.LBB1149_493:
	s_or_b32 exec_lo, exec_lo, s9
	s_and_saveexec_b32 s9, s14
	s_cbranch_execnz .LBB1149_559
.LBB1149_494:
	s_or_b32 exec_lo, exec_lo, s9
	s_and_saveexec_b32 s9, s11
	s_cbranch_execnz .LBB1149_560
.LBB1149_495:
	s_or_b32 exec_lo, exec_lo, s9
	s_and_saveexec_b32 s9, s8
	s_cbranch_execnz .LBB1149_561
.LBB1149_496:
	s_or_b32 exec_lo, exec_lo, s9
	s_and_saveexec_b32 s8, s7
	s_cbranch_execnz .LBB1149_562
.LBB1149_497:
	s_or_b32 exec_lo, exec_lo, s8
	s_and_saveexec_b32 s7, s6
	s_cbranch_execnz .LBB1149_563
.LBB1149_498:
	s_or_b32 exec_lo, exec_lo, s7
	s_and_saveexec_b32 s6, s5
	s_cbranch_execnz .LBB1149_564
.LBB1149_499:
	s_or_b32 exec_lo, exec_lo, s6
	s_and_saveexec_b32 s5, s4
	s_cbranch_execnz .LBB1149_565
.LBB1149_500:
	s_or_b32 exec_lo, exec_lo, s5
	s_and_saveexec_b32 s4, s3
	s_cbranch_execnz .LBB1149_566
.LBB1149_501:
	s_or_b32 exec_lo, exec_lo, s4
	s_and_saveexec_b32 s3, s1
	s_cbranch_execz .LBB1149_503
.LBB1149_502:
	v_sub_nc_u32_e32 v1, v38, v65
	s_delay_alu instid0(VALU_DEP_1)
	v_lshlrev_b32_e32 v1, 3, v1
	ds_store_b64 v1, v[3:4]
.LBB1149_503:
	s_or_b32 exec_lo, exec_lo, s3
	s_delay_alu instid0(SALU_CYCLE_1)
	s_and_b32 s18, s0, exec_lo
                                        ; implicit-def: $vgpr25_vgpr26
                                        ; implicit-def: $vgpr21_vgpr22
                                        ; implicit-def: $vgpr17_vgpr18
                                        ; implicit-def: $vgpr13_vgpr14
                                        ; implicit-def: $vgpr9_vgpr10
                                        ; implicit-def: $vgpr5_vgpr6
                                        ; implicit-def: $vgpr1_vgpr2
	s_and_not1_saveexec_b32 s0, s17
	s_cbranch_execz .LBB1149_443
.LBB1149_504:
	v_sub_nc_u32_e32 v53, v114, v65
	v_sub_nc_u32_e32 v54, v48, v65
	;; [unrolled: 1-line block ×4, first 2 shown]
	s_or_b32 s18, s18, exec_lo
	v_lshlrev_b32_e32 v53, 3, v53
	v_lshlrev_b32_e32 v54, 3, v54
	v_lshlrev_b32_e32 v56, 3, v56
	v_lshlrev_b32_e32 v55, 3, v55
	ds_store_b64 v53, v[25:26]
	ds_store_b64 v54, v[27:28]
	;; [unrolled: 1-line block ×3, first 2 shown]
	v_sub_nc_u32_e32 v21, v47, v65
	v_sub_nc_u32_e32 v22, v46, v65
	ds_store_b64 v56, v[23:24]
	v_sub_nc_u32_e32 v23, v45, v65
	v_sub_nc_u32_e32 v24, v44, v65
	v_lshlrev_b32_e32 v21, 3, v21
	v_sub_nc_u32_e32 v25, v43, v65
	v_lshlrev_b32_e32 v22, 3, v22
	v_lshlrev_b32_e32 v23, 3, v23
	;; [unrolled: 1-line block ×3, first 2 shown]
	ds_store_b64 v21, v[17:18]
	v_lshlrev_b32_e32 v17, 3, v25
	ds_store_b64 v22, v[19:20]
	ds_store_b64 v23, v[13:14]
	;; [unrolled: 1-line block ×3, first 2 shown]
	v_sub_nc_u32_e32 v13, v42, v65
	v_sub_nc_u32_e32 v15, v38, v65
	;; [unrolled: 1-line block ×3, first 2 shown]
	ds_store_b64 v17, v[9:10]
	v_sub_nc_u32_e32 v9, v41, v65
	v_lshlrev_b32_e32 v13, 3, v13
	v_sub_nc_u32_e32 v10, v40, v65
	v_lshlrev_b32_e32 v14, 3, v14
	s_delay_alu instid0(VALU_DEP_4)
	v_lshlrev_b32_e32 v9, 3, v9
	ds_store_b64 v13, v[11:12]
	v_lshlrev_b32_e32 v11, 3, v15
	v_lshlrev_b32_e32 v10, 3, v10
	ds_store_b64 v9, v[5:6]
	ds_store_b64 v10, v[7:8]
	;; [unrolled: 1-line block ×4, first 2 shown]
	s_or_b32 exec_lo, exec_lo, s0
	s_delay_alu instid0(SALU_CYCLE_1)
	s_and_b32 exec_lo, exec_lo, s18
	s_cbranch_execnz .LBB1149_444
	s_branch .LBB1149_445
.LBB1149_505:
	s_and_saveexec_b32 s17, s14
	s_cbranch_execnz .LBB1149_567
; %bb.506:
	s_or_b32 exec_lo, exec_lo, s17
	s_and_saveexec_b32 s17, s13
	s_cbranch_execnz .LBB1149_568
.LBB1149_507:
	s_or_b32 exec_lo, exec_lo, s17
	s_and_saveexec_b32 s17, s12
	s_cbranch_execnz .LBB1149_569
.LBB1149_508:
	s_or_b32 exec_lo, exec_lo, s17
	s_and_saveexec_b32 s17, s11
	s_cbranch_execnz .LBB1149_570
.LBB1149_509:
	s_or_b32 exec_lo, exec_lo, s17
	s_and_saveexec_b32 s17, s10
	s_cbranch_execnz .LBB1149_571
.LBB1149_510:
	s_or_b32 exec_lo, exec_lo, s17
	s_and_saveexec_b32 s17, s9
	s_cbranch_execnz .LBB1149_572
.LBB1149_511:
	s_or_b32 exec_lo, exec_lo, s17
	s_and_saveexec_b32 s17, s8
	s_cbranch_execnz .LBB1149_573
.LBB1149_512:
	s_or_b32 exec_lo, exec_lo, s17
	s_and_saveexec_b32 s17, s7
	s_cbranch_execnz .LBB1149_574
.LBB1149_513:
	s_or_b32 exec_lo, exec_lo, s17
	s_and_saveexec_b32 s17, s6
	s_cbranch_execnz .LBB1149_575
.LBB1149_514:
	s_or_b32 exec_lo, exec_lo, s17
	s_and_saveexec_b32 s17, s5
	s_cbranch_execnz .LBB1149_576
.LBB1149_515:
	s_or_b32 exec_lo, exec_lo, s17
	s_and_saveexec_b32 s17, s4
	s_cbranch_execnz .LBB1149_577
.LBB1149_516:
	s_or_b32 exec_lo, exec_lo, s17
	s_and_saveexec_b32 s17, s3
	s_cbranch_execnz .LBB1149_578
.LBB1149_517:
	s_or_b32 exec_lo, exec_lo, s17
	s_and_saveexec_b32 s17, s2
	s_cbranch_execnz .LBB1149_579
.LBB1149_518:
	s_or_b32 exec_lo, exec_lo, s17
	s_and_saveexec_b32 s17, s1
	s_cbranch_execz .LBB1149_520
.LBB1149_519:
	v_sub_nc_u32_e32 v10, v38, v8
	v_mov_b32_e32 v11, 0
	s_delay_alu instid0(VALU_DEP_1) | instskip(NEXT) | instid1(VALU_DEP_1)
	v_lshlrev_b64 v[10:11], 3, v[10:11]
	v_add_co_u32 v10, vcc_lo, v6, v10
	s_delay_alu instid0(VALU_DEP_2)
	v_add_co_ci_u32_e32 v11, vcc_lo, v7, v11, vcc_lo
	global_store_b64 v[10:11], v[93:94], off
.LBB1149_520:
	s_or_b32 exec_lo, exec_lo, s17
	s_delay_alu instid0(SALU_CYCLE_1)
	s_and_b32 s17, s0, exec_lo
	s_and_not1_saveexec_b32 s15, s15
	s_cbranch_execz .LBB1149_456
.LBB1149_521:
	v_sub_nc_u32_e32 v10, v114, v8
	v_mov_b32_e32 v11, 0
	s_or_b32 s17, s17, exec_lo
	s_delay_alu instid0(VALU_DEP_1) | instskip(SKIP_1) | instid1(VALU_DEP_1)
	v_lshlrev_b64 v[12:13], 3, v[10:11]
	v_sub_nc_u32_e32 v10, v48, v8
	v_lshlrev_b64 v[14:15], 3, v[10:11]
	v_sub_nc_u32_e32 v10, v50, v8
	s_delay_alu instid0(VALU_DEP_4) | instskip(SKIP_1) | instid1(VALU_DEP_3)
	v_add_co_u32 v12, vcc_lo, v6, v12
	v_add_co_ci_u32_e32 v13, vcc_lo, v7, v13, vcc_lo
	v_lshlrev_b64 v[16:17], 3, v[10:11]
	v_sub_nc_u32_e32 v10, v49, v8
	v_add_co_u32 v14, vcc_lo, v6, v14
	v_add_co_ci_u32_e32 v15, vcc_lo, v7, v15, vcc_lo
	global_store_b64 v[12:13], v[79:80], off
	v_lshlrev_b64 v[12:13], 3, v[10:11]
	v_sub_nc_u32_e32 v10, v47, v8
	global_store_b64 v[14:15], v[75:76], off
	v_add_co_u32 v14, vcc_lo, v6, v16
	v_add_co_ci_u32_e32 v15, vcc_lo, v7, v17, vcc_lo
	v_lshlrev_b64 v[16:17], 3, v[10:11]
	v_sub_nc_u32_e32 v10, v46, v8
	v_add_co_u32 v12, vcc_lo, v6, v12
	v_add_co_ci_u32_e32 v13, vcc_lo, v7, v13, vcc_lo
	s_delay_alu instid0(VALU_DEP_3) | instskip(SKIP_3) | instid1(VALU_DEP_3)
	v_lshlrev_b64 v[18:19], 3, v[10:11]
	v_sub_nc_u32_e32 v10, v45, v8
	v_add_co_u32 v16, vcc_lo, v6, v16
	v_add_co_ci_u32_e32 v17, vcc_lo, v7, v17, vcc_lo
	v_lshlrev_b64 v[20:21], 3, v[10:11]
	v_sub_nc_u32_e32 v10, v44, v8
	v_add_co_u32 v18, vcc_lo, v6, v18
	v_add_co_ci_u32_e32 v19, vcc_lo, v7, v19, vcc_lo
	s_clause 0x3
	global_store_b64 v[14:15], v[81:82], off
	global_store_b64 v[12:13], v[85:86], off
	;; [unrolled: 1-line block ×4, first 2 shown]
	v_lshlrev_b64 v[12:13], 3, v[10:11]
	v_sub_nc_u32_e32 v10, v43, v8
	v_add_co_u32 v14, vcc_lo, v6, v20
	v_add_co_ci_u32_e32 v15, vcc_lo, v7, v21, vcc_lo
	s_delay_alu instid0(VALU_DEP_3) | instskip(SKIP_3) | instid1(VALU_DEP_3)
	v_lshlrev_b64 v[16:17], 3, v[10:11]
	v_sub_nc_u32_e32 v10, v42, v8
	v_add_co_u32 v12, vcc_lo, v6, v12
	v_add_co_ci_u32_e32 v13, vcc_lo, v7, v13, vcc_lo
	v_lshlrev_b64 v[18:19], 3, v[10:11]
	v_sub_nc_u32_e32 v10, v41, v8
	v_add_co_u32 v16, vcc_lo, v6, v16
	v_add_co_ci_u32_e32 v17, vcc_lo, v7, v17, vcc_lo
	s_delay_alu instid0(VALU_DEP_3)
	v_lshlrev_b64 v[20:21], 3, v[10:11]
	v_sub_nc_u32_e32 v10, v40, v8
	v_add_co_u32 v18, vcc_lo, v6, v18
	v_add_co_ci_u32_e32 v19, vcc_lo, v7, v19, vcc_lo
	s_clause 0x3
	global_store_b64 v[14:15], v[77:78], off
	global_store_b64 v[12:13], v[83:84], off
	;; [unrolled: 1-line block ×4, first 2 shown]
	v_lshlrev_b64 v[12:13], 3, v[10:11]
	v_sub_nc_u32_e32 v10, v39, v8
	v_add_co_u32 v14, vcc_lo, v6, v20
	v_add_co_ci_u32_e32 v15, vcc_lo, v7, v21, vcc_lo
	s_delay_alu instid0(VALU_DEP_3) | instskip(SKIP_3) | instid1(VALU_DEP_3)
	v_lshlrev_b64 v[16:17], 3, v[10:11]
	v_sub_nc_u32_e32 v10, v38, v8
	v_add_co_u32 v12, vcc_lo, v6, v12
	v_add_co_ci_u32_e32 v13, vcc_lo, v7, v13, vcc_lo
	v_lshlrev_b64 v[10:11], 3, v[10:11]
	v_add_co_u32 v16, vcc_lo, v6, v16
	v_add_co_ci_u32_e32 v17, vcc_lo, v7, v17, vcc_lo
	s_clause 0x2
	global_store_b64 v[14:15], v[73:74], off
	global_store_b64 v[12:13], v[89:90], off
	;; [unrolled: 1-line block ×3, first 2 shown]
	v_add_co_u32 v10, vcc_lo, v6, v10
	v_add_co_ci_u32_e32 v11, vcc_lo, v7, v11, vcc_lo
	global_store_b64 v[10:11], v[93:94], off
	s_or_b32 exec_lo, exec_lo, s15
	s_delay_alu instid0(SALU_CYCLE_1)
	s_and_b32 exec_lo, exec_lo, s17
	s_cbranch_execnz .LBB1149_457
	s_branch .LBB1149_458
.LBB1149_522:
	s_and_saveexec_b32 s17, s14
	s_cbranch_execnz .LBB1149_580
; %bb.523:
	s_or_b32 exec_lo, exec_lo, s17
	s_and_saveexec_b32 s14, s13
	s_cbranch_execnz .LBB1149_581
.LBB1149_524:
	s_or_b32 exec_lo, exec_lo, s14
	s_and_saveexec_b32 s13, s12
	s_cbranch_execnz .LBB1149_582
.LBB1149_525:
	s_or_b32 exec_lo, exec_lo, s13
	s_and_saveexec_b32 s12, s11
	s_cbranch_execnz .LBB1149_583
.LBB1149_526:
	s_or_b32 exec_lo, exec_lo, s12
	s_and_saveexec_b32 s11, s10
	s_cbranch_execnz .LBB1149_584
.LBB1149_527:
	s_or_b32 exec_lo, exec_lo, s11
	s_and_saveexec_b32 s10, s9
	s_cbranch_execnz .LBB1149_585
.LBB1149_528:
	s_or_b32 exec_lo, exec_lo, s10
	s_and_saveexec_b32 s9, s8
	s_cbranch_execnz .LBB1149_586
.LBB1149_529:
	s_or_b32 exec_lo, exec_lo, s9
	s_and_saveexec_b32 s8, s7
	s_cbranch_execnz .LBB1149_587
.LBB1149_530:
	s_or_b32 exec_lo, exec_lo, s8
	s_and_saveexec_b32 s7, s6
	s_cbranch_execnz .LBB1149_588
.LBB1149_531:
	s_or_b32 exec_lo, exec_lo, s7
	s_and_saveexec_b32 s6, s5
	s_cbranch_execnz .LBB1149_589
.LBB1149_532:
	s_or_b32 exec_lo, exec_lo, s6
	s_and_saveexec_b32 s5, s4
	s_cbranch_execnz .LBB1149_590
.LBB1149_533:
	s_or_b32 exec_lo, exec_lo, s5
	s_and_saveexec_b32 s4, s3
	s_cbranch_execnz .LBB1149_591
.LBB1149_534:
	s_or_b32 exec_lo, exec_lo, s4
	s_and_saveexec_b32 s3, s2
	s_cbranch_execnz .LBB1149_592
.LBB1149_535:
	s_or_b32 exec_lo, exec_lo, s3
	s_and_saveexec_b32 s2, s1
	s_cbranch_execz .LBB1149_537
.LBB1149_536:
	v_sub_nc_u32_e32 v9, v38, v8
	s_delay_alu instid0(VALU_DEP_1)
	v_lshlrev_b32_e32 v9, 3, v9
	ds_store_b64 v9, v[93:94]
.LBB1149_537:
	s_or_b32 exec_lo, exec_lo, s2
	s_delay_alu instid0(SALU_CYCLE_1)
	s_and_b32 s17, s0, exec_lo
                                        ; implicit-def: $vgpr79_vgpr80
                                        ; implicit-def: $vgpr75_vgpr76
                                        ; implicit-def: $vgpr81_vgpr82
                                        ; implicit-def: $vgpr85_vgpr86
                                        ; implicit-def: $vgpr67_vgpr68
                                        ; implicit-def: $vgpr71_vgpr72
                                        ; implicit-def: $vgpr77_vgpr78
                                        ; implicit-def: $vgpr83_vgpr84
                                        ; implicit-def: $vgpr87_vgpr88
                                        ; implicit-def: $vgpr69_vgpr70
                                        ; implicit-def: $vgpr73_vgpr74
                                        ; implicit-def: $vgpr89_vgpr90
                                        ; implicit-def: $vgpr91_vgpr92
                                        ; implicit-def: $vgpr93_vgpr94
                                        ; implicit-def: $vgpr114
                                        ; implicit-def: $vgpr48
                                        ; implicit-def: $vgpr50
                                        ; implicit-def: $vgpr49
                                        ; implicit-def: $vgpr47
                                        ; implicit-def: $vgpr46
                                        ; implicit-def: $vgpr45
                                        ; implicit-def: $vgpr44
                                        ; implicit-def: $vgpr43
                                        ; implicit-def: $vgpr42
                                        ; implicit-def: $vgpr41
                                        ; implicit-def: $vgpr40
                                        ; implicit-def: $vgpr39
                                        ; implicit-def: $vgpr38
	s_and_not1_saveexec_b32 s0, s16
	s_cbranch_execz .LBB1149_462
.LBB1149_538:
	v_sub_nc_u32_e32 v9, v114, v8
	v_sub_nc_u32_e32 v10, v48, v8
	;; [unrolled: 1-line block ×5, first 2 shown]
	v_lshlrev_b32_e32 v9, 3, v9
	v_lshlrev_b32_e32 v10, 3, v10
	;; [unrolled: 1-line block ×4, first 2 shown]
	s_or_b32 s17, s17, exec_lo
	ds_store_b64 v9, v[79:80]
	ds_store_b64 v10, v[75:76]
	;; [unrolled: 1-line block ×3, first 2 shown]
	v_sub_nc_u32_e32 v9, v47, v8
	v_sub_nc_u32_e32 v10, v46, v8
	;; [unrolled: 1-line block ×3, first 2 shown]
	ds_store_b64 v12, v[85:86]
	v_sub_nc_u32_e32 v12, v44, v8
	v_lshlrev_b32_e32 v9, 3, v9
	v_lshlrev_b32_e32 v10, 3, v10
	;; [unrolled: 1-line block ×3, first 2 shown]
	s_delay_alu instid0(VALU_DEP_4)
	v_lshlrev_b32_e32 v12, 3, v12
	ds_store_b64 v9, v[67:68]
	v_lshlrev_b32_e32 v9, 3, v13
	ds_store_b64 v10, v[71:72]
	ds_store_b64 v11, v[77:78]
	;; [unrolled: 1-line block ×3, first 2 shown]
	v_sub_nc_u32_e32 v10, v42, v8
	v_sub_nc_u32_e32 v13, v38, v8
	;; [unrolled: 1-line block ×3, first 2 shown]
	ds_store_b64 v9, v[87:88]
	v_sub_nc_u32_e32 v9, v41, v8
	v_lshlrev_b32_e32 v10, 3, v10
	v_sub_nc_u32_e32 v12, v39, v8
	v_lshlrev_b32_e32 v11, 3, v11
	s_delay_alu instid0(VALU_DEP_4)
	v_lshlrev_b32_e32 v9, 3, v9
	ds_store_b64 v10, v[69:70]
	v_lshlrev_b32_e32 v10, 3, v13
	v_lshlrev_b32_e32 v12, 3, v12
	ds_store_b64 v9, v[73:74]
	ds_store_b64 v11, v[89:90]
	;; [unrolled: 1-line block ×4, first 2 shown]
	s_or_b32 exec_lo, exec_lo, s0
	s_delay_alu instid0(SALU_CYCLE_1)
	s_and_b32 exec_lo, exec_lo, s17
	s_cbranch_execnz .LBB1149_463
	s_branch .LBB1149_464
.LBB1149_539:
                                        ; implicit-def: $vgpr61_vgpr62
	s_branch .LBB1149_312
.LBB1149_540:
                                        ; implicit-def: $vgpr61_vgpr62
	s_branch .LBB1149_325
.LBB1149_541:
	v_sub_nc_u32_e32 v54, v114, v65
	v_mov_b32_e32 v55, 0
	s_delay_alu instid0(VALU_DEP_1) | instskip(NEXT) | instid1(VALU_DEP_1)
	v_lshlrev_b64 v[54:55], 3, v[54:55]
	v_add_co_u32 v54, vcc_lo, v51, v54
	s_delay_alu instid0(VALU_DEP_2)
	v_add_co_ci_u32_e32 v55, vcc_lo, v52, v55, vcc_lo
	global_store_b64 v[54:55], v[25:26], off
	s_or_b32 exec_lo, exec_lo, s18
	s_and_saveexec_b32 s18, s12
	s_cbranch_execz .LBB1149_473
.LBB1149_542:
	v_sub_nc_u32_e32 v54, v48, v65
	v_mov_b32_e32 v55, 0
	s_delay_alu instid0(VALU_DEP_1) | instskip(NEXT) | instid1(VALU_DEP_1)
	v_lshlrev_b64 v[54:55], 3, v[54:55]
	v_add_co_u32 v54, vcc_lo, v51, v54
	s_delay_alu instid0(VALU_DEP_2)
	v_add_co_ci_u32_e32 v55, vcc_lo, v52, v55, vcc_lo
	global_store_b64 v[54:55], v[27:28], off
	s_or_b32 exec_lo, exec_lo, s18
	s_and_saveexec_b32 s18, s10
	s_cbranch_execz .LBB1149_474
.LBB1149_543:
	v_sub_nc_u32_e32 v54, v50, v65
	v_mov_b32_e32 v55, 0
	s_delay_alu instid0(VALU_DEP_1) | instskip(NEXT) | instid1(VALU_DEP_1)
	v_lshlrev_b64 v[54:55], 3, v[54:55]
	v_add_co_u32 v54, vcc_lo, v51, v54
	s_delay_alu instid0(VALU_DEP_2)
	v_add_co_ci_u32_e32 v55, vcc_lo, v52, v55, vcc_lo
	global_store_b64 v[54:55], v[21:22], off
	s_or_b32 exec_lo, exec_lo, s18
	s_and_saveexec_b32 s18, s9
	s_cbranch_execz .LBB1149_475
.LBB1149_544:
	v_sub_nc_u32_e32 v54, v49, v65
	v_mov_b32_e32 v55, 0
	s_delay_alu instid0(VALU_DEP_1) | instskip(NEXT) | instid1(VALU_DEP_1)
	v_lshlrev_b64 v[54:55], 3, v[54:55]
	v_add_co_u32 v54, vcc_lo, v51, v54
	s_delay_alu instid0(VALU_DEP_2)
	v_add_co_ci_u32_e32 v55, vcc_lo, v52, v55, vcc_lo
	global_store_b64 v[54:55], v[23:24], off
	s_or_b32 exec_lo, exec_lo, s18
	s_and_saveexec_b32 s18, s15
	s_cbranch_execz .LBB1149_476
.LBB1149_545:
	v_sub_nc_u32_e32 v54, v47, v65
	v_mov_b32_e32 v55, 0
	s_delay_alu instid0(VALU_DEP_1) | instskip(NEXT) | instid1(VALU_DEP_1)
	v_lshlrev_b64 v[54:55], 3, v[54:55]
	v_add_co_u32 v54, vcc_lo, v51, v54
	s_delay_alu instid0(VALU_DEP_2)
	v_add_co_ci_u32_e32 v55, vcc_lo, v52, v55, vcc_lo
	global_store_b64 v[54:55], v[17:18], off
	s_or_b32 exec_lo, exec_lo, s18
	s_and_saveexec_b32 s18, s14
	s_cbranch_execz .LBB1149_477
.LBB1149_546:
	v_sub_nc_u32_e32 v54, v46, v65
	v_mov_b32_e32 v55, 0
	s_delay_alu instid0(VALU_DEP_1) | instskip(NEXT) | instid1(VALU_DEP_1)
	v_lshlrev_b64 v[54:55], 3, v[54:55]
	v_add_co_u32 v54, vcc_lo, v51, v54
	s_delay_alu instid0(VALU_DEP_2)
	v_add_co_ci_u32_e32 v55, vcc_lo, v52, v55, vcc_lo
	global_store_b64 v[54:55], v[19:20], off
	s_or_b32 exec_lo, exec_lo, s18
	s_and_saveexec_b32 s18, s11
	s_cbranch_execz .LBB1149_478
.LBB1149_547:
	v_sub_nc_u32_e32 v54, v45, v65
	v_mov_b32_e32 v55, 0
	s_delay_alu instid0(VALU_DEP_1) | instskip(NEXT) | instid1(VALU_DEP_1)
	v_lshlrev_b64 v[54:55], 3, v[54:55]
	v_add_co_u32 v54, vcc_lo, v51, v54
	s_delay_alu instid0(VALU_DEP_2)
	v_add_co_ci_u32_e32 v55, vcc_lo, v52, v55, vcc_lo
	global_store_b64 v[54:55], v[13:14], off
	s_or_b32 exec_lo, exec_lo, s18
	s_and_saveexec_b32 s18, s8
	s_cbranch_execz .LBB1149_479
.LBB1149_548:
	v_sub_nc_u32_e32 v54, v44, v65
	v_mov_b32_e32 v55, 0
	s_delay_alu instid0(VALU_DEP_1) | instskip(NEXT) | instid1(VALU_DEP_1)
	v_lshlrev_b64 v[54:55], 3, v[54:55]
	v_add_co_u32 v54, vcc_lo, v51, v54
	s_delay_alu instid0(VALU_DEP_2)
	v_add_co_ci_u32_e32 v55, vcc_lo, v52, v55, vcc_lo
	global_store_b64 v[54:55], v[15:16], off
	s_or_b32 exec_lo, exec_lo, s18
	s_and_saveexec_b32 s18, s7
	s_cbranch_execz .LBB1149_480
.LBB1149_549:
	v_sub_nc_u32_e32 v54, v43, v65
	v_mov_b32_e32 v55, 0
	s_delay_alu instid0(VALU_DEP_1) | instskip(NEXT) | instid1(VALU_DEP_1)
	v_lshlrev_b64 v[54:55], 3, v[54:55]
	v_add_co_u32 v54, vcc_lo, v51, v54
	s_delay_alu instid0(VALU_DEP_2)
	v_add_co_ci_u32_e32 v55, vcc_lo, v52, v55, vcc_lo
	global_store_b64 v[54:55], v[9:10], off
	s_or_b32 exec_lo, exec_lo, s18
	s_and_saveexec_b32 s18, s6
	s_cbranch_execz .LBB1149_481
.LBB1149_550:
	v_sub_nc_u32_e32 v54, v42, v65
	v_mov_b32_e32 v55, 0
	s_delay_alu instid0(VALU_DEP_1) | instskip(NEXT) | instid1(VALU_DEP_1)
	v_lshlrev_b64 v[54:55], 3, v[54:55]
	v_add_co_u32 v54, vcc_lo, v51, v54
	s_delay_alu instid0(VALU_DEP_2)
	v_add_co_ci_u32_e32 v55, vcc_lo, v52, v55, vcc_lo
	global_store_b64 v[54:55], v[11:12], off
	s_or_b32 exec_lo, exec_lo, s18
	s_and_saveexec_b32 s18, s5
	s_cbranch_execz .LBB1149_482
.LBB1149_551:
	v_sub_nc_u32_e32 v54, v41, v65
	v_mov_b32_e32 v55, 0
	s_delay_alu instid0(VALU_DEP_1) | instskip(NEXT) | instid1(VALU_DEP_1)
	v_lshlrev_b64 v[54:55], 3, v[54:55]
	v_add_co_u32 v54, vcc_lo, v51, v54
	s_delay_alu instid0(VALU_DEP_2)
	v_add_co_ci_u32_e32 v55, vcc_lo, v52, v55, vcc_lo
	global_store_b64 v[54:55], v[5:6], off
	s_or_b32 exec_lo, exec_lo, s18
	s_and_saveexec_b32 s18, s4
	s_cbranch_execz .LBB1149_483
.LBB1149_552:
	v_sub_nc_u32_e32 v54, v40, v65
	v_mov_b32_e32 v55, 0
	s_delay_alu instid0(VALU_DEP_1) | instskip(NEXT) | instid1(VALU_DEP_1)
	v_lshlrev_b64 v[54:55], 3, v[54:55]
	v_add_co_u32 v54, vcc_lo, v51, v54
	s_delay_alu instid0(VALU_DEP_2)
	v_add_co_ci_u32_e32 v55, vcc_lo, v52, v55, vcc_lo
	global_store_b64 v[54:55], v[7:8], off
	s_or_b32 exec_lo, exec_lo, s18
	s_and_saveexec_b32 s18, s3
	s_cbranch_execz .LBB1149_484
.LBB1149_553:
	v_sub_nc_u32_e32 v54, v39, v65
	v_mov_b32_e32 v55, 0
	s_delay_alu instid0(VALU_DEP_1) | instskip(NEXT) | instid1(VALU_DEP_1)
	v_lshlrev_b64 v[54:55], 3, v[54:55]
	v_add_co_u32 v54, vcc_lo, v51, v54
	s_delay_alu instid0(VALU_DEP_2)
	v_add_co_ci_u32_e32 v55, vcc_lo, v52, v55, vcc_lo
	global_store_b64 v[54:55], v[1:2], off
	s_or_b32 exec_lo, exec_lo, s18
	s_and_saveexec_b32 s18, s1
	s_cbranch_execnz .LBB1149_485
	s_branch .LBB1149_486
.LBB1149_554:
	v_sub_nc_u32_e32 v53, v114, v65
	s_delay_alu instid0(VALU_DEP_1)
	v_lshlrev_b32_e32 v53, 3, v53
	ds_store_b64 v53, v[25:26]
	s_or_b32 exec_lo, exec_lo, s18
	s_and_saveexec_b32 s13, s12
	s_cbranch_execz .LBB1149_490
.LBB1149_555:
	v_sub_nc_u32_e32 v25, v48, v65
	s_delay_alu instid0(VALU_DEP_1)
	v_lshlrev_b32_e32 v25, 3, v25
	ds_store_b64 v25, v[27:28]
	s_or_b32 exec_lo, exec_lo, s13
	s_and_saveexec_b32 s12, s10
	s_cbranch_execz .LBB1149_491
.LBB1149_556:
	v_sub_nc_u32_e32 v25, v50, v65
	s_delay_alu instid0(VALU_DEP_1)
	v_lshlrev_b32_e32 v25, 3, v25
	ds_store_b64 v25, v[21:22]
	s_or_b32 exec_lo, exec_lo, s12
	s_and_saveexec_b32 s10, s9
	s_cbranch_execz .LBB1149_492
.LBB1149_557:
	v_sub_nc_u32_e32 v21, v49, v65
	s_delay_alu instid0(VALU_DEP_1)
	v_lshlrev_b32_e32 v21, 3, v21
	ds_store_b64 v21, v[23:24]
	s_or_b32 exec_lo, exec_lo, s10
	s_and_saveexec_b32 s9, s15
	s_cbranch_execz .LBB1149_493
.LBB1149_558:
	v_sub_nc_u32_e32 v21, v47, v65
	s_delay_alu instid0(VALU_DEP_1)
	v_lshlrev_b32_e32 v21, 3, v21
	ds_store_b64 v21, v[17:18]
	s_or_b32 exec_lo, exec_lo, s9
	s_and_saveexec_b32 s9, s14
	s_cbranch_execz .LBB1149_494
.LBB1149_559:
	v_sub_nc_u32_e32 v17, v46, v65
	s_delay_alu instid0(VALU_DEP_1)
	v_lshlrev_b32_e32 v17, 3, v17
	ds_store_b64 v17, v[19:20]
	s_or_b32 exec_lo, exec_lo, s9
	s_and_saveexec_b32 s9, s11
	s_cbranch_execz .LBB1149_495
.LBB1149_560:
	v_sub_nc_u32_e32 v17, v45, v65
	s_delay_alu instid0(VALU_DEP_1)
	v_lshlrev_b32_e32 v17, 3, v17
	ds_store_b64 v17, v[13:14]
	s_or_b32 exec_lo, exec_lo, s9
	s_and_saveexec_b32 s9, s8
	s_cbranch_execz .LBB1149_496
.LBB1149_561:
	v_sub_nc_u32_e32 v13, v44, v65
	s_delay_alu instid0(VALU_DEP_1)
	v_lshlrev_b32_e32 v13, 3, v13
	ds_store_b64 v13, v[15:16]
	s_or_b32 exec_lo, exec_lo, s9
	s_and_saveexec_b32 s8, s7
	s_cbranch_execz .LBB1149_497
.LBB1149_562:
	v_sub_nc_u32_e32 v13, v43, v65
	s_delay_alu instid0(VALU_DEP_1)
	v_lshlrev_b32_e32 v13, 3, v13
	ds_store_b64 v13, v[9:10]
	s_or_b32 exec_lo, exec_lo, s8
	s_and_saveexec_b32 s7, s6
	s_cbranch_execz .LBB1149_498
.LBB1149_563:
	v_sub_nc_u32_e32 v9, v42, v65
	s_delay_alu instid0(VALU_DEP_1)
	v_lshlrev_b32_e32 v9, 3, v9
	ds_store_b64 v9, v[11:12]
	s_or_b32 exec_lo, exec_lo, s7
	s_and_saveexec_b32 s6, s5
	s_cbranch_execz .LBB1149_499
.LBB1149_564:
	v_sub_nc_u32_e32 v9, v41, v65
	s_delay_alu instid0(VALU_DEP_1)
	v_lshlrev_b32_e32 v9, 3, v9
	ds_store_b64 v9, v[5:6]
	s_or_b32 exec_lo, exec_lo, s6
	s_and_saveexec_b32 s5, s4
	s_cbranch_execz .LBB1149_500
.LBB1149_565:
	v_sub_nc_u32_e32 v5, v40, v65
	s_delay_alu instid0(VALU_DEP_1)
	v_lshlrev_b32_e32 v5, 3, v5
	ds_store_b64 v5, v[7:8]
	s_or_b32 exec_lo, exec_lo, s5
	s_and_saveexec_b32 s4, s3
	s_cbranch_execz .LBB1149_501
.LBB1149_566:
	v_sub_nc_u32_e32 v5, v39, v65
	s_delay_alu instid0(VALU_DEP_1)
	v_lshlrev_b32_e32 v5, 3, v5
	ds_store_b64 v5, v[1:2]
	s_or_b32 exec_lo, exec_lo, s4
	s_and_saveexec_b32 s3, s1
	s_cbranch_execnz .LBB1149_502
	s_branch .LBB1149_503
.LBB1149_567:
	v_sub_nc_u32_e32 v10, v114, v8
	v_mov_b32_e32 v11, 0
	s_delay_alu instid0(VALU_DEP_1) | instskip(NEXT) | instid1(VALU_DEP_1)
	v_lshlrev_b64 v[10:11], 3, v[10:11]
	v_add_co_u32 v10, vcc_lo, v6, v10
	s_delay_alu instid0(VALU_DEP_2)
	v_add_co_ci_u32_e32 v11, vcc_lo, v7, v11, vcc_lo
	global_store_b64 v[10:11], v[79:80], off
	s_or_b32 exec_lo, exec_lo, s17
	s_and_saveexec_b32 s17, s13
	s_cbranch_execz .LBB1149_507
.LBB1149_568:
	v_sub_nc_u32_e32 v10, v48, v8
	v_mov_b32_e32 v11, 0
	s_delay_alu instid0(VALU_DEP_1) | instskip(NEXT) | instid1(VALU_DEP_1)
	v_lshlrev_b64 v[10:11], 3, v[10:11]
	v_add_co_u32 v10, vcc_lo, v6, v10
	s_delay_alu instid0(VALU_DEP_2)
	v_add_co_ci_u32_e32 v11, vcc_lo, v7, v11, vcc_lo
	global_store_b64 v[10:11], v[75:76], off
	s_or_b32 exec_lo, exec_lo, s17
	s_and_saveexec_b32 s17, s12
	s_cbranch_execz .LBB1149_508
.LBB1149_569:
	v_sub_nc_u32_e32 v10, v50, v8
	v_mov_b32_e32 v11, 0
	s_delay_alu instid0(VALU_DEP_1) | instskip(NEXT) | instid1(VALU_DEP_1)
	v_lshlrev_b64 v[10:11], 3, v[10:11]
	v_add_co_u32 v10, vcc_lo, v6, v10
	s_delay_alu instid0(VALU_DEP_2)
	v_add_co_ci_u32_e32 v11, vcc_lo, v7, v11, vcc_lo
	global_store_b64 v[10:11], v[81:82], off
	s_or_b32 exec_lo, exec_lo, s17
	s_and_saveexec_b32 s17, s11
	s_cbranch_execz .LBB1149_509
.LBB1149_570:
	v_sub_nc_u32_e32 v10, v49, v8
	v_mov_b32_e32 v11, 0
	s_delay_alu instid0(VALU_DEP_1) | instskip(NEXT) | instid1(VALU_DEP_1)
	v_lshlrev_b64 v[10:11], 3, v[10:11]
	v_add_co_u32 v10, vcc_lo, v6, v10
	s_delay_alu instid0(VALU_DEP_2)
	v_add_co_ci_u32_e32 v11, vcc_lo, v7, v11, vcc_lo
	global_store_b64 v[10:11], v[85:86], off
	s_or_b32 exec_lo, exec_lo, s17
	s_and_saveexec_b32 s17, s10
	s_cbranch_execz .LBB1149_510
.LBB1149_571:
	v_sub_nc_u32_e32 v10, v47, v8
	v_mov_b32_e32 v11, 0
	s_delay_alu instid0(VALU_DEP_1) | instskip(NEXT) | instid1(VALU_DEP_1)
	v_lshlrev_b64 v[10:11], 3, v[10:11]
	v_add_co_u32 v10, vcc_lo, v6, v10
	s_delay_alu instid0(VALU_DEP_2)
	v_add_co_ci_u32_e32 v11, vcc_lo, v7, v11, vcc_lo
	global_store_b64 v[10:11], v[67:68], off
	s_or_b32 exec_lo, exec_lo, s17
	s_and_saveexec_b32 s17, s9
	s_cbranch_execz .LBB1149_511
.LBB1149_572:
	v_sub_nc_u32_e32 v10, v46, v8
	v_mov_b32_e32 v11, 0
	s_delay_alu instid0(VALU_DEP_1) | instskip(NEXT) | instid1(VALU_DEP_1)
	v_lshlrev_b64 v[10:11], 3, v[10:11]
	v_add_co_u32 v10, vcc_lo, v6, v10
	s_delay_alu instid0(VALU_DEP_2)
	v_add_co_ci_u32_e32 v11, vcc_lo, v7, v11, vcc_lo
	global_store_b64 v[10:11], v[71:72], off
	s_or_b32 exec_lo, exec_lo, s17
	s_and_saveexec_b32 s17, s8
	s_cbranch_execz .LBB1149_512
.LBB1149_573:
	v_sub_nc_u32_e32 v10, v45, v8
	v_mov_b32_e32 v11, 0
	s_delay_alu instid0(VALU_DEP_1) | instskip(NEXT) | instid1(VALU_DEP_1)
	v_lshlrev_b64 v[10:11], 3, v[10:11]
	v_add_co_u32 v10, vcc_lo, v6, v10
	s_delay_alu instid0(VALU_DEP_2)
	v_add_co_ci_u32_e32 v11, vcc_lo, v7, v11, vcc_lo
	global_store_b64 v[10:11], v[77:78], off
	s_or_b32 exec_lo, exec_lo, s17
	s_and_saveexec_b32 s17, s7
	s_cbranch_execz .LBB1149_513
.LBB1149_574:
	v_sub_nc_u32_e32 v10, v44, v8
	v_mov_b32_e32 v11, 0
	s_delay_alu instid0(VALU_DEP_1) | instskip(NEXT) | instid1(VALU_DEP_1)
	v_lshlrev_b64 v[10:11], 3, v[10:11]
	v_add_co_u32 v10, vcc_lo, v6, v10
	s_delay_alu instid0(VALU_DEP_2)
	v_add_co_ci_u32_e32 v11, vcc_lo, v7, v11, vcc_lo
	global_store_b64 v[10:11], v[83:84], off
	s_or_b32 exec_lo, exec_lo, s17
	s_and_saveexec_b32 s17, s6
	s_cbranch_execz .LBB1149_514
.LBB1149_575:
	v_sub_nc_u32_e32 v10, v43, v8
	v_mov_b32_e32 v11, 0
	s_delay_alu instid0(VALU_DEP_1) | instskip(NEXT) | instid1(VALU_DEP_1)
	v_lshlrev_b64 v[10:11], 3, v[10:11]
	v_add_co_u32 v10, vcc_lo, v6, v10
	s_delay_alu instid0(VALU_DEP_2)
	v_add_co_ci_u32_e32 v11, vcc_lo, v7, v11, vcc_lo
	global_store_b64 v[10:11], v[87:88], off
	s_or_b32 exec_lo, exec_lo, s17
	s_and_saveexec_b32 s17, s5
	s_cbranch_execz .LBB1149_515
.LBB1149_576:
	v_sub_nc_u32_e32 v10, v42, v8
	v_mov_b32_e32 v11, 0
	s_delay_alu instid0(VALU_DEP_1) | instskip(NEXT) | instid1(VALU_DEP_1)
	v_lshlrev_b64 v[10:11], 3, v[10:11]
	v_add_co_u32 v10, vcc_lo, v6, v10
	s_delay_alu instid0(VALU_DEP_2)
	v_add_co_ci_u32_e32 v11, vcc_lo, v7, v11, vcc_lo
	global_store_b64 v[10:11], v[69:70], off
	s_or_b32 exec_lo, exec_lo, s17
	s_and_saveexec_b32 s17, s4
	s_cbranch_execz .LBB1149_516
.LBB1149_577:
	v_sub_nc_u32_e32 v10, v41, v8
	v_mov_b32_e32 v11, 0
	s_delay_alu instid0(VALU_DEP_1) | instskip(NEXT) | instid1(VALU_DEP_1)
	v_lshlrev_b64 v[10:11], 3, v[10:11]
	v_add_co_u32 v10, vcc_lo, v6, v10
	s_delay_alu instid0(VALU_DEP_2)
	v_add_co_ci_u32_e32 v11, vcc_lo, v7, v11, vcc_lo
	global_store_b64 v[10:11], v[73:74], off
	s_or_b32 exec_lo, exec_lo, s17
	s_and_saveexec_b32 s17, s3
	s_cbranch_execz .LBB1149_517
.LBB1149_578:
	v_sub_nc_u32_e32 v10, v40, v8
	v_mov_b32_e32 v11, 0
	s_delay_alu instid0(VALU_DEP_1) | instskip(NEXT) | instid1(VALU_DEP_1)
	v_lshlrev_b64 v[10:11], 3, v[10:11]
	v_add_co_u32 v10, vcc_lo, v6, v10
	s_delay_alu instid0(VALU_DEP_2)
	v_add_co_ci_u32_e32 v11, vcc_lo, v7, v11, vcc_lo
	global_store_b64 v[10:11], v[89:90], off
	s_or_b32 exec_lo, exec_lo, s17
	s_and_saveexec_b32 s17, s2
	s_cbranch_execz .LBB1149_518
.LBB1149_579:
	v_sub_nc_u32_e32 v10, v39, v8
	v_mov_b32_e32 v11, 0
	s_delay_alu instid0(VALU_DEP_1) | instskip(NEXT) | instid1(VALU_DEP_1)
	v_lshlrev_b64 v[10:11], 3, v[10:11]
	v_add_co_u32 v10, vcc_lo, v6, v10
	s_delay_alu instid0(VALU_DEP_2)
	v_add_co_ci_u32_e32 v11, vcc_lo, v7, v11, vcc_lo
	global_store_b64 v[10:11], v[91:92], off
	s_or_b32 exec_lo, exec_lo, s17
	s_and_saveexec_b32 s17, s1
	s_cbranch_execnz .LBB1149_519
	s_branch .LBB1149_520
.LBB1149_580:
	v_sub_nc_u32_e32 v9, v114, v8
	s_delay_alu instid0(VALU_DEP_1)
	v_lshlrev_b32_e32 v9, 3, v9
	ds_store_b64 v9, v[79:80]
	s_or_b32 exec_lo, exec_lo, s17
	s_and_saveexec_b32 s14, s13
	s_cbranch_execz .LBB1149_524
.LBB1149_581:
	v_sub_nc_u32_e32 v9, v48, v8
	s_delay_alu instid0(VALU_DEP_1)
	v_lshlrev_b32_e32 v9, 3, v9
	ds_store_b64 v9, v[75:76]
	s_or_b32 exec_lo, exec_lo, s14
	s_and_saveexec_b32 s13, s12
	s_cbranch_execz .LBB1149_525
.LBB1149_582:
	v_sub_nc_u32_e32 v9, v50, v8
	s_delay_alu instid0(VALU_DEP_1)
	v_lshlrev_b32_e32 v9, 3, v9
	ds_store_b64 v9, v[81:82]
	s_or_b32 exec_lo, exec_lo, s13
	s_and_saveexec_b32 s12, s11
	s_cbranch_execz .LBB1149_526
.LBB1149_583:
	v_sub_nc_u32_e32 v9, v49, v8
	s_delay_alu instid0(VALU_DEP_1)
	v_lshlrev_b32_e32 v9, 3, v9
	ds_store_b64 v9, v[85:86]
	s_or_b32 exec_lo, exec_lo, s12
	s_and_saveexec_b32 s11, s10
	s_cbranch_execz .LBB1149_527
.LBB1149_584:
	v_sub_nc_u32_e32 v9, v47, v8
	s_delay_alu instid0(VALU_DEP_1)
	v_lshlrev_b32_e32 v9, 3, v9
	ds_store_b64 v9, v[67:68]
	s_or_b32 exec_lo, exec_lo, s11
	s_and_saveexec_b32 s10, s9
	s_cbranch_execz .LBB1149_528
.LBB1149_585:
	v_sub_nc_u32_e32 v9, v46, v8
	s_delay_alu instid0(VALU_DEP_1)
	v_lshlrev_b32_e32 v9, 3, v9
	ds_store_b64 v9, v[71:72]
	s_or_b32 exec_lo, exec_lo, s10
	s_and_saveexec_b32 s9, s8
	s_cbranch_execz .LBB1149_529
.LBB1149_586:
	v_sub_nc_u32_e32 v9, v45, v8
	s_delay_alu instid0(VALU_DEP_1)
	v_lshlrev_b32_e32 v9, 3, v9
	ds_store_b64 v9, v[77:78]
	s_or_b32 exec_lo, exec_lo, s9
	s_and_saveexec_b32 s8, s7
	s_cbranch_execz .LBB1149_530
.LBB1149_587:
	v_sub_nc_u32_e32 v9, v44, v8
	s_delay_alu instid0(VALU_DEP_1)
	v_lshlrev_b32_e32 v9, 3, v9
	ds_store_b64 v9, v[83:84]
	s_or_b32 exec_lo, exec_lo, s8
	s_and_saveexec_b32 s7, s6
	s_cbranch_execz .LBB1149_531
.LBB1149_588:
	v_sub_nc_u32_e32 v9, v43, v8
	s_delay_alu instid0(VALU_DEP_1)
	v_lshlrev_b32_e32 v9, 3, v9
	ds_store_b64 v9, v[87:88]
	s_or_b32 exec_lo, exec_lo, s7
	s_and_saveexec_b32 s6, s5
	s_cbranch_execz .LBB1149_532
.LBB1149_589:
	v_sub_nc_u32_e32 v9, v42, v8
	s_delay_alu instid0(VALU_DEP_1)
	v_lshlrev_b32_e32 v9, 3, v9
	ds_store_b64 v9, v[69:70]
	s_or_b32 exec_lo, exec_lo, s6
	s_and_saveexec_b32 s5, s4
	s_cbranch_execz .LBB1149_533
.LBB1149_590:
	v_sub_nc_u32_e32 v9, v41, v8
	s_delay_alu instid0(VALU_DEP_1)
	v_lshlrev_b32_e32 v9, 3, v9
	ds_store_b64 v9, v[73:74]
	s_or_b32 exec_lo, exec_lo, s5
	s_and_saveexec_b32 s4, s3
	s_cbranch_execz .LBB1149_534
.LBB1149_591:
	v_sub_nc_u32_e32 v9, v40, v8
	s_delay_alu instid0(VALU_DEP_1)
	v_lshlrev_b32_e32 v9, 3, v9
	ds_store_b64 v9, v[89:90]
	s_or_b32 exec_lo, exec_lo, s4
	s_and_saveexec_b32 s3, s2
	s_cbranch_execz .LBB1149_535
.LBB1149_592:
	v_sub_nc_u32_e32 v9, v39, v8
	s_delay_alu instid0(VALU_DEP_1)
	v_lshlrev_b32_e32 v9, 3, v9
	ds_store_b64 v9, v[91:92]
	s_or_b32 exec_lo, exec_lo, s3
	s_and_saveexec_b32 s2, s1
	s_cbranch_execnz .LBB1149_536
	s_branch .LBB1149_537
	.section	.rodata,"a",@progbits
	.p2align	6, 0x0
	.amdhsa_kernel _ZN7rocprim17ROCPRIM_400000_NS6detail17trampoline_kernelINS0_14default_configENS1_29reduce_by_key_config_selectorIllN6thrust23THRUST_200600_302600_NS4plusIlEEEEZZNS1_33reduce_by_key_impl_wrapped_configILNS1_25lookback_scan_determinismE0ES3_S9_NS6_18transform_iteratorI6div_opNS6_17counting_iteratorIlNS6_11use_defaultESF_SF_EESF_SF_EENSC_I6mod_opSG_SF_SF_EENS6_6detail15normal_iteratorINS6_10device_ptrIlEEEESO_PmS8_NS6_8equal_toIlEEEE10hipError_tPvRmT2_T3_mT4_T5_T6_T7_T8_P12ihipStream_tbENKUlT_T0_E_clISt17integral_constantIbLb1EES19_EEDaS14_S15_EUlS14_E_NS1_11comp_targetILNS1_3genE9ELNS1_11target_archE1100ELNS1_3gpuE3ELNS1_3repE0EEENS1_30default_config_static_selectorELNS0_4arch9wavefront6targetE0EEEvT1_
		.amdhsa_group_segment_fixed_size 30720
		.amdhsa_private_segment_fixed_size 0
		.amdhsa_kernarg_size 152
		.amdhsa_user_sgpr_count 15
		.amdhsa_user_sgpr_dispatch_ptr 0
		.amdhsa_user_sgpr_queue_ptr 0
		.amdhsa_user_sgpr_kernarg_segment_ptr 1
		.amdhsa_user_sgpr_dispatch_id 0
		.amdhsa_user_sgpr_private_segment_size 0
		.amdhsa_wavefront_size32 1
		.amdhsa_uses_dynamic_stack 0
		.amdhsa_enable_private_segment 0
		.amdhsa_system_sgpr_workgroup_id_x 1
		.amdhsa_system_sgpr_workgroup_id_y 0
		.amdhsa_system_sgpr_workgroup_id_z 0
		.amdhsa_system_sgpr_workgroup_info 0
		.amdhsa_system_vgpr_workitem_id 0
		.amdhsa_next_free_vgpr 121
		.amdhsa_next_free_sgpr 68
		.amdhsa_reserve_vcc 1
		.amdhsa_float_round_mode_32 0
		.amdhsa_float_round_mode_16_64 0
		.amdhsa_float_denorm_mode_32 3
		.amdhsa_float_denorm_mode_16_64 3
		.amdhsa_dx10_clamp 1
		.amdhsa_ieee_mode 1
		.amdhsa_fp16_overflow 0
		.amdhsa_workgroup_processor_mode 1
		.amdhsa_memory_ordered 1
		.amdhsa_forward_progress 0
		.amdhsa_shared_vgpr_count 0
		.amdhsa_exception_fp_ieee_invalid_op 0
		.amdhsa_exception_fp_denorm_src 0
		.amdhsa_exception_fp_ieee_div_zero 0
		.amdhsa_exception_fp_ieee_overflow 0
		.amdhsa_exception_fp_ieee_underflow 0
		.amdhsa_exception_fp_ieee_inexact 0
		.amdhsa_exception_int_div_zero 0
	.end_amdhsa_kernel
	.section	.text._ZN7rocprim17ROCPRIM_400000_NS6detail17trampoline_kernelINS0_14default_configENS1_29reduce_by_key_config_selectorIllN6thrust23THRUST_200600_302600_NS4plusIlEEEEZZNS1_33reduce_by_key_impl_wrapped_configILNS1_25lookback_scan_determinismE0ES3_S9_NS6_18transform_iteratorI6div_opNS6_17counting_iteratorIlNS6_11use_defaultESF_SF_EESF_SF_EENSC_I6mod_opSG_SF_SF_EENS6_6detail15normal_iteratorINS6_10device_ptrIlEEEESO_PmS8_NS6_8equal_toIlEEEE10hipError_tPvRmT2_T3_mT4_T5_T6_T7_T8_P12ihipStream_tbENKUlT_T0_E_clISt17integral_constantIbLb1EES19_EEDaS14_S15_EUlS14_E_NS1_11comp_targetILNS1_3genE9ELNS1_11target_archE1100ELNS1_3gpuE3ELNS1_3repE0EEENS1_30default_config_static_selectorELNS0_4arch9wavefront6targetE0EEEvT1_,"axG",@progbits,_ZN7rocprim17ROCPRIM_400000_NS6detail17trampoline_kernelINS0_14default_configENS1_29reduce_by_key_config_selectorIllN6thrust23THRUST_200600_302600_NS4plusIlEEEEZZNS1_33reduce_by_key_impl_wrapped_configILNS1_25lookback_scan_determinismE0ES3_S9_NS6_18transform_iteratorI6div_opNS6_17counting_iteratorIlNS6_11use_defaultESF_SF_EESF_SF_EENSC_I6mod_opSG_SF_SF_EENS6_6detail15normal_iteratorINS6_10device_ptrIlEEEESO_PmS8_NS6_8equal_toIlEEEE10hipError_tPvRmT2_T3_mT4_T5_T6_T7_T8_P12ihipStream_tbENKUlT_T0_E_clISt17integral_constantIbLb1EES19_EEDaS14_S15_EUlS14_E_NS1_11comp_targetILNS1_3genE9ELNS1_11target_archE1100ELNS1_3gpuE3ELNS1_3repE0EEENS1_30default_config_static_selectorELNS0_4arch9wavefront6targetE0EEEvT1_,comdat
.Lfunc_end1149:
	.size	_ZN7rocprim17ROCPRIM_400000_NS6detail17trampoline_kernelINS0_14default_configENS1_29reduce_by_key_config_selectorIllN6thrust23THRUST_200600_302600_NS4plusIlEEEEZZNS1_33reduce_by_key_impl_wrapped_configILNS1_25lookback_scan_determinismE0ES3_S9_NS6_18transform_iteratorI6div_opNS6_17counting_iteratorIlNS6_11use_defaultESF_SF_EESF_SF_EENSC_I6mod_opSG_SF_SF_EENS6_6detail15normal_iteratorINS6_10device_ptrIlEEEESO_PmS8_NS6_8equal_toIlEEEE10hipError_tPvRmT2_T3_mT4_T5_T6_T7_T8_P12ihipStream_tbENKUlT_T0_E_clISt17integral_constantIbLb1EES19_EEDaS14_S15_EUlS14_E_NS1_11comp_targetILNS1_3genE9ELNS1_11target_archE1100ELNS1_3gpuE3ELNS1_3repE0EEENS1_30default_config_static_selectorELNS0_4arch9wavefront6targetE0EEEvT1_, .Lfunc_end1149-_ZN7rocprim17ROCPRIM_400000_NS6detail17trampoline_kernelINS0_14default_configENS1_29reduce_by_key_config_selectorIllN6thrust23THRUST_200600_302600_NS4plusIlEEEEZZNS1_33reduce_by_key_impl_wrapped_configILNS1_25lookback_scan_determinismE0ES3_S9_NS6_18transform_iteratorI6div_opNS6_17counting_iteratorIlNS6_11use_defaultESF_SF_EESF_SF_EENSC_I6mod_opSG_SF_SF_EENS6_6detail15normal_iteratorINS6_10device_ptrIlEEEESO_PmS8_NS6_8equal_toIlEEEE10hipError_tPvRmT2_T3_mT4_T5_T6_T7_T8_P12ihipStream_tbENKUlT_T0_E_clISt17integral_constantIbLb1EES19_EEDaS14_S15_EUlS14_E_NS1_11comp_targetILNS1_3genE9ELNS1_11target_archE1100ELNS1_3gpuE3ELNS1_3repE0EEENS1_30default_config_static_selectorELNS0_4arch9wavefront6targetE0EEEvT1_
                                        ; -- End function
	.section	.AMDGPU.csdata,"",@progbits
; Kernel info:
; codeLenInByte = 82404
; NumSgprs: 70
; NumVgprs: 121
; ScratchSize: 0
; MemoryBound: 0
; FloatMode: 240
; IeeeMode: 1
; LDSByteSize: 30720 bytes/workgroup (compile time only)
; SGPRBlocks: 8
; VGPRBlocks: 15
; NumSGPRsForWavesPerEU: 70
; NumVGPRsForWavesPerEU: 121
; Occupancy: 8
; WaveLimiterHint : 1
; COMPUTE_PGM_RSRC2:SCRATCH_EN: 0
; COMPUTE_PGM_RSRC2:USER_SGPR: 15
; COMPUTE_PGM_RSRC2:TRAP_HANDLER: 0
; COMPUTE_PGM_RSRC2:TGID_X_EN: 1
; COMPUTE_PGM_RSRC2:TGID_Y_EN: 0
; COMPUTE_PGM_RSRC2:TGID_Z_EN: 0
; COMPUTE_PGM_RSRC2:TIDIG_COMP_CNT: 0
	.section	.text._ZN7rocprim17ROCPRIM_400000_NS6detail17trampoline_kernelINS0_14default_configENS1_29reduce_by_key_config_selectorIllN6thrust23THRUST_200600_302600_NS4plusIlEEEEZZNS1_33reduce_by_key_impl_wrapped_configILNS1_25lookback_scan_determinismE0ES3_S9_NS6_18transform_iteratorI6div_opNS6_17counting_iteratorIlNS6_11use_defaultESF_SF_EESF_SF_EENSC_I6mod_opSG_SF_SF_EENS6_6detail15normal_iteratorINS6_10device_ptrIlEEEESO_PmS8_NS6_8equal_toIlEEEE10hipError_tPvRmT2_T3_mT4_T5_T6_T7_T8_P12ihipStream_tbENKUlT_T0_E_clISt17integral_constantIbLb1EES19_EEDaS14_S15_EUlS14_E_NS1_11comp_targetILNS1_3genE8ELNS1_11target_archE1030ELNS1_3gpuE2ELNS1_3repE0EEENS1_30default_config_static_selectorELNS0_4arch9wavefront6targetE0EEEvT1_,"axG",@progbits,_ZN7rocprim17ROCPRIM_400000_NS6detail17trampoline_kernelINS0_14default_configENS1_29reduce_by_key_config_selectorIllN6thrust23THRUST_200600_302600_NS4plusIlEEEEZZNS1_33reduce_by_key_impl_wrapped_configILNS1_25lookback_scan_determinismE0ES3_S9_NS6_18transform_iteratorI6div_opNS6_17counting_iteratorIlNS6_11use_defaultESF_SF_EESF_SF_EENSC_I6mod_opSG_SF_SF_EENS6_6detail15normal_iteratorINS6_10device_ptrIlEEEESO_PmS8_NS6_8equal_toIlEEEE10hipError_tPvRmT2_T3_mT4_T5_T6_T7_T8_P12ihipStream_tbENKUlT_T0_E_clISt17integral_constantIbLb1EES19_EEDaS14_S15_EUlS14_E_NS1_11comp_targetILNS1_3genE8ELNS1_11target_archE1030ELNS1_3gpuE2ELNS1_3repE0EEENS1_30default_config_static_selectorELNS0_4arch9wavefront6targetE0EEEvT1_,comdat
	.protected	_ZN7rocprim17ROCPRIM_400000_NS6detail17trampoline_kernelINS0_14default_configENS1_29reduce_by_key_config_selectorIllN6thrust23THRUST_200600_302600_NS4plusIlEEEEZZNS1_33reduce_by_key_impl_wrapped_configILNS1_25lookback_scan_determinismE0ES3_S9_NS6_18transform_iteratorI6div_opNS6_17counting_iteratorIlNS6_11use_defaultESF_SF_EESF_SF_EENSC_I6mod_opSG_SF_SF_EENS6_6detail15normal_iteratorINS6_10device_ptrIlEEEESO_PmS8_NS6_8equal_toIlEEEE10hipError_tPvRmT2_T3_mT4_T5_T6_T7_T8_P12ihipStream_tbENKUlT_T0_E_clISt17integral_constantIbLb1EES19_EEDaS14_S15_EUlS14_E_NS1_11comp_targetILNS1_3genE8ELNS1_11target_archE1030ELNS1_3gpuE2ELNS1_3repE0EEENS1_30default_config_static_selectorELNS0_4arch9wavefront6targetE0EEEvT1_ ; -- Begin function _ZN7rocprim17ROCPRIM_400000_NS6detail17trampoline_kernelINS0_14default_configENS1_29reduce_by_key_config_selectorIllN6thrust23THRUST_200600_302600_NS4plusIlEEEEZZNS1_33reduce_by_key_impl_wrapped_configILNS1_25lookback_scan_determinismE0ES3_S9_NS6_18transform_iteratorI6div_opNS6_17counting_iteratorIlNS6_11use_defaultESF_SF_EESF_SF_EENSC_I6mod_opSG_SF_SF_EENS6_6detail15normal_iteratorINS6_10device_ptrIlEEEESO_PmS8_NS6_8equal_toIlEEEE10hipError_tPvRmT2_T3_mT4_T5_T6_T7_T8_P12ihipStream_tbENKUlT_T0_E_clISt17integral_constantIbLb1EES19_EEDaS14_S15_EUlS14_E_NS1_11comp_targetILNS1_3genE8ELNS1_11target_archE1030ELNS1_3gpuE2ELNS1_3repE0EEENS1_30default_config_static_selectorELNS0_4arch9wavefront6targetE0EEEvT1_
	.globl	_ZN7rocprim17ROCPRIM_400000_NS6detail17trampoline_kernelINS0_14default_configENS1_29reduce_by_key_config_selectorIllN6thrust23THRUST_200600_302600_NS4plusIlEEEEZZNS1_33reduce_by_key_impl_wrapped_configILNS1_25lookback_scan_determinismE0ES3_S9_NS6_18transform_iteratorI6div_opNS6_17counting_iteratorIlNS6_11use_defaultESF_SF_EESF_SF_EENSC_I6mod_opSG_SF_SF_EENS6_6detail15normal_iteratorINS6_10device_ptrIlEEEESO_PmS8_NS6_8equal_toIlEEEE10hipError_tPvRmT2_T3_mT4_T5_T6_T7_T8_P12ihipStream_tbENKUlT_T0_E_clISt17integral_constantIbLb1EES19_EEDaS14_S15_EUlS14_E_NS1_11comp_targetILNS1_3genE8ELNS1_11target_archE1030ELNS1_3gpuE2ELNS1_3repE0EEENS1_30default_config_static_selectorELNS0_4arch9wavefront6targetE0EEEvT1_
	.p2align	8
	.type	_ZN7rocprim17ROCPRIM_400000_NS6detail17trampoline_kernelINS0_14default_configENS1_29reduce_by_key_config_selectorIllN6thrust23THRUST_200600_302600_NS4plusIlEEEEZZNS1_33reduce_by_key_impl_wrapped_configILNS1_25lookback_scan_determinismE0ES3_S9_NS6_18transform_iteratorI6div_opNS6_17counting_iteratorIlNS6_11use_defaultESF_SF_EESF_SF_EENSC_I6mod_opSG_SF_SF_EENS6_6detail15normal_iteratorINS6_10device_ptrIlEEEESO_PmS8_NS6_8equal_toIlEEEE10hipError_tPvRmT2_T3_mT4_T5_T6_T7_T8_P12ihipStream_tbENKUlT_T0_E_clISt17integral_constantIbLb1EES19_EEDaS14_S15_EUlS14_E_NS1_11comp_targetILNS1_3genE8ELNS1_11target_archE1030ELNS1_3gpuE2ELNS1_3repE0EEENS1_30default_config_static_selectorELNS0_4arch9wavefront6targetE0EEEvT1_,@function
_ZN7rocprim17ROCPRIM_400000_NS6detail17trampoline_kernelINS0_14default_configENS1_29reduce_by_key_config_selectorIllN6thrust23THRUST_200600_302600_NS4plusIlEEEEZZNS1_33reduce_by_key_impl_wrapped_configILNS1_25lookback_scan_determinismE0ES3_S9_NS6_18transform_iteratorI6div_opNS6_17counting_iteratorIlNS6_11use_defaultESF_SF_EESF_SF_EENSC_I6mod_opSG_SF_SF_EENS6_6detail15normal_iteratorINS6_10device_ptrIlEEEESO_PmS8_NS6_8equal_toIlEEEE10hipError_tPvRmT2_T3_mT4_T5_T6_T7_T8_P12ihipStream_tbENKUlT_T0_E_clISt17integral_constantIbLb1EES19_EEDaS14_S15_EUlS14_E_NS1_11comp_targetILNS1_3genE8ELNS1_11target_archE1030ELNS1_3gpuE2ELNS1_3repE0EEENS1_30default_config_static_selectorELNS0_4arch9wavefront6targetE0EEEvT1_: ; @_ZN7rocprim17ROCPRIM_400000_NS6detail17trampoline_kernelINS0_14default_configENS1_29reduce_by_key_config_selectorIllN6thrust23THRUST_200600_302600_NS4plusIlEEEEZZNS1_33reduce_by_key_impl_wrapped_configILNS1_25lookback_scan_determinismE0ES3_S9_NS6_18transform_iteratorI6div_opNS6_17counting_iteratorIlNS6_11use_defaultESF_SF_EESF_SF_EENSC_I6mod_opSG_SF_SF_EENS6_6detail15normal_iteratorINS6_10device_ptrIlEEEESO_PmS8_NS6_8equal_toIlEEEE10hipError_tPvRmT2_T3_mT4_T5_T6_T7_T8_P12ihipStream_tbENKUlT_T0_E_clISt17integral_constantIbLb1EES19_EEDaS14_S15_EUlS14_E_NS1_11comp_targetILNS1_3genE8ELNS1_11target_archE1030ELNS1_3gpuE2ELNS1_3repE0EEENS1_30default_config_static_selectorELNS0_4arch9wavefront6targetE0EEEvT1_
; %bb.0:
	.section	.rodata,"a",@progbits
	.p2align	6, 0x0
	.amdhsa_kernel _ZN7rocprim17ROCPRIM_400000_NS6detail17trampoline_kernelINS0_14default_configENS1_29reduce_by_key_config_selectorIllN6thrust23THRUST_200600_302600_NS4plusIlEEEEZZNS1_33reduce_by_key_impl_wrapped_configILNS1_25lookback_scan_determinismE0ES3_S9_NS6_18transform_iteratorI6div_opNS6_17counting_iteratorIlNS6_11use_defaultESF_SF_EESF_SF_EENSC_I6mod_opSG_SF_SF_EENS6_6detail15normal_iteratorINS6_10device_ptrIlEEEESO_PmS8_NS6_8equal_toIlEEEE10hipError_tPvRmT2_T3_mT4_T5_T6_T7_T8_P12ihipStream_tbENKUlT_T0_E_clISt17integral_constantIbLb1EES19_EEDaS14_S15_EUlS14_E_NS1_11comp_targetILNS1_3genE8ELNS1_11target_archE1030ELNS1_3gpuE2ELNS1_3repE0EEENS1_30default_config_static_selectorELNS0_4arch9wavefront6targetE0EEEvT1_
		.amdhsa_group_segment_fixed_size 0
		.amdhsa_private_segment_fixed_size 0
		.amdhsa_kernarg_size 152
		.amdhsa_user_sgpr_count 15
		.amdhsa_user_sgpr_dispatch_ptr 0
		.amdhsa_user_sgpr_queue_ptr 0
		.amdhsa_user_sgpr_kernarg_segment_ptr 1
		.amdhsa_user_sgpr_dispatch_id 0
		.amdhsa_user_sgpr_private_segment_size 0
		.amdhsa_wavefront_size32 1
		.amdhsa_uses_dynamic_stack 0
		.amdhsa_enable_private_segment 0
		.amdhsa_system_sgpr_workgroup_id_x 1
		.amdhsa_system_sgpr_workgroup_id_y 0
		.amdhsa_system_sgpr_workgroup_id_z 0
		.amdhsa_system_sgpr_workgroup_info 0
		.amdhsa_system_vgpr_workitem_id 0
		.amdhsa_next_free_vgpr 1
		.amdhsa_next_free_sgpr 1
		.amdhsa_reserve_vcc 0
		.amdhsa_float_round_mode_32 0
		.amdhsa_float_round_mode_16_64 0
		.amdhsa_float_denorm_mode_32 3
		.amdhsa_float_denorm_mode_16_64 3
		.amdhsa_dx10_clamp 1
		.amdhsa_ieee_mode 1
		.amdhsa_fp16_overflow 0
		.amdhsa_workgroup_processor_mode 1
		.amdhsa_memory_ordered 1
		.amdhsa_forward_progress 0
		.amdhsa_shared_vgpr_count 0
		.amdhsa_exception_fp_ieee_invalid_op 0
		.amdhsa_exception_fp_denorm_src 0
		.amdhsa_exception_fp_ieee_div_zero 0
		.amdhsa_exception_fp_ieee_overflow 0
		.amdhsa_exception_fp_ieee_underflow 0
		.amdhsa_exception_fp_ieee_inexact 0
		.amdhsa_exception_int_div_zero 0
	.end_amdhsa_kernel
	.section	.text._ZN7rocprim17ROCPRIM_400000_NS6detail17trampoline_kernelINS0_14default_configENS1_29reduce_by_key_config_selectorIllN6thrust23THRUST_200600_302600_NS4plusIlEEEEZZNS1_33reduce_by_key_impl_wrapped_configILNS1_25lookback_scan_determinismE0ES3_S9_NS6_18transform_iteratorI6div_opNS6_17counting_iteratorIlNS6_11use_defaultESF_SF_EESF_SF_EENSC_I6mod_opSG_SF_SF_EENS6_6detail15normal_iteratorINS6_10device_ptrIlEEEESO_PmS8_NS6_8equal_toIlEEEE10hipError_tPvRmT2_T3_mT4_T5_T6_T7_T8_P12ihipStream_tbENKUlT_T0_E_clISt17integral_constantIbLb1EES19_EEDaS14_S15_EUlS14_E_NS1_11comp_targetILNS1_3genE8ELNS1_11target_archE1030ELNS1_3gpuE2ELNS1_3repE0EEENS1_30default_config_static_selectorELNS0_4arch9wavefront6targetE0EEEvT1_,"axG",@progbits,_ZN7rocprim17ROCPRIM_400000_NS6detail17trampoline_kernelINS0_14default_configENS1_29reduce_by_key_config_selectorIllN6thrust23THRUST_200600_302600_NS4plusIlEEEEZZNS1_33reduce_by_key_impl_wrapped_configILNS1_25lookback_scan_determinismE0ES3_S9_NS6_18transform_iteratorI6div_opNS6_17counting_iteratorIlNS6_11use_defaultESF_SF_EESF_SF_EENSC_I6mod_opSG_SF_SF_EENS6_6detail15normal_iteratorINS6_10device_ptrIlEEEESO_PmS8_NS6_8equal_toIlEEEE10hipError_tPvRmT2_T3_mT4_T5_T6_T7_T8_P12ihipStream_tbENKUlT_T0_E_clISt17integral_constantIbLb1EES19_EEDaS14_S15_EUlS14_E_NS1_11comp_targetILNS1_3genE8ELNS1_11target_archE1030ELNS1_3gpuE2ELNS1_3repE0EEENS1_30default_config_static_selectorELNS0_4arch9wavefront6targetE0EEEvT1_,comdat
.Lfunc_end1150:
	.size	_ZN7rocprim17ROCPRIM_400000_NS6detail17trampoline_kernelINS0_14default_configENS1_29reduce_by_key_config_selectorIllN6thrust23THRUST_200600_302600_NS4plusIlEEEEZZNS1_33reduce_by_key_impl_wrapped_configILNS1_25lookback_scan_determinismE0ES3_S9_NS6_18transform_iteratorI6div_opNS6_17counting_iteratorIlNS6_11use_defaultESF_SF_EESF_SF_EENSC_I6mod_opSG_SF_SF_EENS6_6detail15normal_iteratorINS6_10device_ptrIlEEEESO_PmS8_NS6_8equal_toIlEEEE10hipError_tPvRmT2_T3_mT4_T5_T6_T7_T8_P12ihipStream_tbENKUlT_T0_E_clISt17integral_constantIbLb1EES19_EEDaS14_S15_EUlS14_E_NS1_11comp_targetILNS1_3genE8ELNS1_11target_archE1030ELNS1_3gpuE2ELNS1_3repE0EEENS1_30default_config_static_selectorELNS0_4arch9wavefront6targetE0EEEvT1_, .Lfunc_end1150-_ZN7rocprim17ROCPRIM_400000_NS6detail17trampoline_kernelINS0_14default_configENS1_29reduce_by_key_config_selectorIllN6thrust23THRUST_200600_302600_NS4plusIlEEEEZZNS1_33reduce_by_key_impl_wrapped_configILNS1_25lookback_scan_determinismE0ES3_S9_NS6_18transform_iteratorI6div_opNS6_17counting_iteratorIlNS6_11use_defaultESF_SF_EESF_SF_EENSC_I6mod_opSG_SF_SF_EENS6_6detail15normal_iteratorINS6_10device_ptrIlEEEESO_PmS8_NS6_8equal_toIlEEEE10hipError_tPvRmT2_T3_mT4_T5_T6_T7_T8_P12ihipStream_tbENKUlT_T0_E_clISt17integral_constantIbLb1EES19_EEDaS14_S15_EUlS14_E_NS1_11comp_targetILNS1_3genE8ELNS1_11target_archE1030ELNS1_3gpuE2ELNS1_3repE0EEENS1_30default_config_static_selectorELNS0_4arch9wavefront6targetE0EEEvT1_
                                        ; -- End function
	.section	.AMDGPU.csdata,"",@progbits
; Kernel info:
; codeLenInByte = 0
; NumSgprs: 0
; NumVgprs: 0
; ScratchSize: 0
; MemoryBound: 0
; FloatMode: 240
; IeeeMode: 1
; LDSByteSize: 0 bytes/workgroup (compile time only)
; SGPRBlocks: 0
; VGPRBlocks: 0
; NumSGPRsForWavesPerEU: 1
; NumVGPRsForWavesPerEU: 1
; Occupancy: 16
; WaveLimiterHint : 0
; COMPUTE_PGM_RSRC2:SCRATCH_EN: 0
; COMPUTE_PGM_RSRC2:USER_SGPR: 15
; COMPUTE_PGM_RSRC2:TRAP_HANDLER: 0
; COMPUTE_PGM_RSRC2:TGID_X_EN: 1
; COMPUTE_PGM_RSRC2:TGID_Y_EN: 0
; COMPUTE_PGM_RSRC2:TGID_Z_EN: 0
; COMPUTE_PGM_RSRC2:TIDIG_COMP_CNT: 0
	.section	.text._ZN7rocprim17ROCPRIM_400000_NS6detail25reduce_by_key_init_kernelINS1_19lookback_scan_stateINS0_5tupleIJjlEEELb1ELb0EEElNS1_16block_id_wrapperIjLb0EEEEEvT_jbjPmPT0_T1_,"axG",@progbits,_ZN7rocprim17ROCPRIM_400000_NS6detail25reduce_by_key_init_kernelINS1_19lookback_scan_stateINS0_5tupleIJjlEEELb1ELb0EEElNS1_16block_id_wrapperIjLb0EEEEEvT_jbjPmPT0_T1_,comdat
	.protected	_ZN7rocprim17ROCPRIM_400000_NS6detail25reduce_by_key_init_kernelINS1_19lookback_scan_stateINS0_5tupleIJjlEEELb1ELb0EEElNS1_16block_id_wrapperIjLb0EEEEEvT_jbjPmPT0_T1_ ; -- Begin function _ZN7rocprim17ROCPRIM_400000_NS6detail25reduce_by_key_init_kernelINS1_19lookback_scan_stateINS0_5tupleIJjlEEELb1ELb0EEElNS1_16block_id_wrapperIjLb0EEEEEvT_jbjPmPT0_T1_
	.globl	_ZN7rocprim17ROCPRIM_400000_NS6detail25reduce_by_key_init_kernelINS1_19lookback_scan_stateINS0_5tupleIJjlEEELb1ELb0EEElNS1_16block_id_wrapperIjLb0EEEEEvT_jbjPmPT0_T1_
	.p2align	8
	.type	_ZN7rocprim17ROCPRIM_400000_NS6detail25reduce_by_key_init_kernelINS1_19lookback_scan_stateINS0_5tupleIJjlEEELb1ELb0EEElNS1_16block_id_wrapperIjLb0EEEEEvT_jbjPmPT0_T1_,@function
_ZN7rocprim17ROCPRIM_400000_NS6detail25reduce_by_key_init_kernelINS1_19lookback_scan_stateINS0_5tupleIJjlEEELb1ELb0EEElNS1_16block_id_wrapperIjLb0EEEEEvT_jbjPmPT0_T1_: ; @_ZN7rocprim17ROCPRIM_400000_NS6detail25reduce_by_key_init_kernelINS1_19lookback_scan_stateINS0_5tupleIJjlEEELb1ELb0EEElNS1_16block_id_wrapperIjLb0EEEEEvT_jbjPmPT0_T1_
; %bb.0:
	s_clause 0x2
	s_load_b32 s2, s[0:1], 0x4c
	s_load_b256 s[4:11], s[0:1], 0x18
	s_load_b64 s[12:13], s[0:1], 0x10
	s_waitcnt lgkmcnt(0)
	s_and_b32 s2, s2, 0xffff
	s_delay_alu instid0(SALU_CYCLE_1) | instskip(SKIP_1) | instid1(SALU_CYCLE_1)
	v_mad_u64_u32 v[1:2], null, s15, s2, v[0:1]
	s_and_b32 s2, s5, 1
	s_cmp_eq_u32 s2, 0
	s_mov_b32 s2, -1
	s_cbranch_scc1 .LBB1151_7
; %bb.1:
	s_and_not1_b32 vcc_lo, exec_lo, s2
	s_cbranch_vccz .LBB1151_17
.LBB1151_2:
	s_mov_b32 s0, exec_lo
	v_cmpx_gt_u32_e64 s4, v1
	s_cbranch_execz .LBB1151_4
.LBB1151_3:
	v_add_nc_u32_e32 v0, 32, v1
	v_mov_b32_e32 v2, 0
	global_store_b8 v0, v2, s[12:13]
.LBB1151_4:
	s_or_b32 exec_lo, exec_lo, s0
	s_delay_alu instid0(SALU_CYCLE_1)
	s_mov_b32 s0, exec_lo
	v_cmpx_gt_u32_e32 32, v1
	s_cbranch_execz .LBB1151_6
; %bb.5:
	v_mov_b32_e32 v0, 0xff
	global_store_b8 v1, v0, s[12:13]
.LBB1151_6:
	s_nop 0
	s_sendmsg sendmsg(MSG_DEALLOC_VGPRS)
	s_endpgm
.LBB1151_7:
	s_cmp_lt_u32 s6, s4
	s_mov_b32 s5, exec_lo
	s_cselect_b32 s2, s6, 0
	s_delay_alu instid0(SALU_CYCLE_1)
	v_cmpx_eq_u32_e64 s2, v1
	s_cbranch_execz .LBB1151_16
; %bb.8:
	s_add_i32 s6, s6, 32
	s_load_b128 s[0:3], s[0:1], 0x0
	v_mov_b32_e32 v0, s6
	s_add_u32 s14, s12, s6
	s_addc_u32 s15, s13, 0
	s_mov_b32 s7, 0
	global_load_u8 v0, v0, s[12:13] glc
	s_waitcnt vmcnt(0)
	v_cmp_ne_u16_e32 vcc_lo, 0, v0
	v_readfirstlane_b32 s16, v0
	s_cbranch_vccz .LBB1151_10
; %bb.9:
	s_delay_alu instid0(VALU_DEP_1)
	s_and_b32 s14, 0xffff, s16
	s_branch .LBB1151_15
.LBB1151_10:
	v_mov_b32_e32 v0, 0
	s_mov_b32 s16, 1
.LBB1151_11:                            ; =>This Loop Header: Depth=1
                                        ;     Child Loop BB1151_12 Depth 2
	s_delay_alu instid0(SALU_CYCLE_1)
	s_max_u32 s17, s16, 1
.LBB1151_12:                            ;   Parent Loop BB1151_11 Depth=1
                                        ; =>  This Inner Loop Header: Depth=2
	s_delay_alu instid0(SALU_CYCLE_1)
	s_add_i32 s17, s17, -1
	s_sleep 1
	s_cmp_eq_u32 s17, 0
	s_cbranch_scc0 .LBB1151_12
; %bb.13:                               ;   in Loop: Header=BB1151_11 Depth=1
	global_load_u8 v2, v0, s[14:15] glc
	s_cmp_lt_u32 s16, 32
	s_cselect_b32 s17, -1, 0
	s_delay_alu instid0(SALU_CYCLE_1)
	s_cmp_lg_u32 s17, 0
	s_addc_u32 s16, s16, 0
	s_waitcnt vmcnt(0)
	v_cmp_ne_u16_e32 vcc_lo, 0, v2
	v_readfirstlane_b32 s17, v2
	s_cbranch_vccz .LBB1151_11
; %bb.14:
	s_delay_alu instid0(VALU_DEP_1)
	s_and_b32 s14, 0xffff, s17
.LBB1151_15:
	s_delay_alu instid0(SALU_CYCLE_1)
	s_cmp_eq_u32 s14, 1
	v_mov_b32_e32 v0, 0
	s_waitcnt lgkmcnt(0)
	s_cselect_b32 s3, s1, s3
	s_cselect_b32 s2, s0, s2
	s_lshl_b64 s[0:1], s[6:7], 4
	buffer_gl1_inv
	buffer_gl0_inv
	s_add_u32 s0, s2, s0
	s_addc_u32 s1, s3, s1
	s_clause 0x2
	global_load_b64 v[2:3], v0, s[8:9]
	global_load_b32 v6, v0, s[0:1]
	global_load_b64 v[4:5], v0, s[0:1] offset:8
	s_waitcnt vmcnt(1)
	v_add_co_u32 v2, vcc_lo, v2, v6
	v_add_co_ci_u32_e32 v3, vcc_lo, 0, v3, vcc_lo
	global_store_b64 v0, v[2:3], s[8:9]
	s_waitcnt vmcnt(0)
	global_store_b64 v0, v[4:5], s[10:11]
.LBB1151_16:
	s_or_b32 exec_lo, exec_lo, s5
	s_cbranch_execnz .LBB1151_2
.LBB1151_17:
	s_delay_alu instid0(VALU_DEP_1) | instskip(SKIP_2) | instid1(SALU_CYCLE_1)
	v_cmp_eq_u32_e32 vcc_lo, 0, v1
	s_cmp_lg_u64 s[8:9], 0
	s_cselect_b32 s0, -1, 0
	s_and_b32 s1, s0, vcc_lo
	s_delay_alu instid0(SALU_CYCLE_1)
	s_and_saveexec_b32 s0, s1
	s_cbranch_execz .LBB1151_19
; %bb.18:
	v_mov_b32_e32 v2, 0
	s_delay_alu instid0(VALU_DEP_1)
	v_mov_b32_e32 v3, v2
	global_store_b64 v2, v[2:3], s[8:9]
.LBB1151_19:
	s_or_b32 exec_lo, exec_lo, s0
	s_delay_alu instid0(SALU_CYCLE_1)
	s_mov_b32 s0, exec_lo
	v_cmpx_gt_u32_e64 s4, v1
	s_cbranch_execnz .LBB1151_3
	s_branch .LBB1151_4
	.section	.rodata,"a",@progbits
	.p2align	6, 0x0
	.amdhsa_kernel _ZN7rocprim17ROCPRIM_400000_NS6detail25reduce_by_key_init_kernelINS1_19lookback_scan_stateINS0_5tupleIJjlEEELb1ELb0EEElNS1_16block_id_wrapperIjLb0EEEEEvT_jbjPmPT0_T1_
		.amdhsa_group_segment_fixed_size 0
		.amdhsa_private_segment_fixed_size 0
		.amdhsa_kernarg_size 320
		.amdhsa_user_sgpr_count 15
		.amdhsa_user_sgpr_dispatch_ptr 0
		.amdhsa_user_sgpr_queue_ptr 0
		.amdhsa_user_sgpr_kernarg_segment_ptr 1
		.amdhsa_user_sgpr_dispatch_id 0
		.amdhsa_user_sgpr_private_segment_size 0
		.amdhsa_wavefront_size32 1
		.amdhsa_uses_dynamic_stack 0
		.amdhsa_enable_private_segment 0
		.amdhsa_system_sgpr_workgroup_id_x 1
		.amdhsa_system_sgpr_workgroup_id_y 0
		.amdhsa_system_sgpr_workgroup_id_z 0
		.amdhsa_system_sgpr_workgroup_info 0
		.amdhsa_system_vgpr_workitem_id 0
		.amdhsa_next_free_vgpr 7
		.amdhsa_next_free_sgpr 18
		.amdhsa_reserve_vcc 1
		.amdhsa_float_round_mode_32 0
		.amdhsa_float_round_mode_16_64 0
		.amdhsa_float_denorm_mode_32 3
		.amdhsa_float_denorm_mode_16_64 3
		.amdhsa_dx10_clamp 1
		.amdhsa_ieee_mode 1
		.amdhsa_fp16_overflow 0
		.amdhsa_workgroup_processor_mode 1
		.amdhsa_memory_ordered 1
		.amdhsa_forward_progress 0
		.amdhsa_shared_vgpr_count 0
		.amdhsa_exception_fp_ieee_invalid_op 0
		.amdhsa_exception_fp_denorm_src 0
		.amdhsa_exception_fp_ieee_div_zero 0
		.amdhsa_exception_fp_ieee_overflow 0
		.amdhsa_exception_fp_ieee_underflow 0
		.amdhsa_exception_fp_ieee_inexact 0
		.amdhsa_exception_int_div_zero 0
	.end_amdhsa_kernel
	.section	.text._ZN7rocprim17ROCPRIM_400000_NS6detail25reduce_by_key_init_kernelINS1_19lookback_scan_stateINS0_5tupleIJjlEEELb1ELb0EEElNS1_16block_id_wrapperIjLb0EEEEEvT_jbjPmPT0_T1_,"axG",@progbits,_ZN7rocprim17ROCPRIM_400000_NS6detail25reduce_by_key_init_kernelINS1_19lookback_scan_stateINS0_5tupleIJjlEEELb1ELb0EEElNS1_16block_id_wrapperIjLb0EEEEEvT_jbjPmPT0_T1_,comdat
.Lfunc_end1151:
	.size	_ZN7rocprim17ROCPRIM_400000_NS6detail25reduce_by_key_init_kernelINS1_19lookback_scan_stateINS0_5tupleIJjlEEELb1ELb0EEElNS1_16block_id_wrapperIjLb0EEEEEvT_jbjPmPT0_T1_, .Lfunc_end1151-_ZN7rocprim17ROCPRIM_400000_NS6detail25reduce_by_key_init_kernelINS1_19lookback_scan_stateINS0_5tupleIJjlEEELb1ELb0EEElNS1_16block_id_wrapperIjLb0EEEEEvT_jbjPmPT0_T1_
                                        ; -- End function
	.section	.AMDGPU.csdata,"",@progbits
; Kernel info:
; codeLenInByte = 548
; NumSgprs: 20
; NumVgprs: 7
; ScratchSize: 0
; MemoryBound: 0
; FloatMode: 240
; IeeeMode: 1
; LDSByteSize: 0 bytes/workgroup (compile time only)
; SGPRBlocks: 2
; VGPRBlocks: 0
; NumSGPRsForWavesPerEU: 20
; NumVGPRsForWavesPerEU: 7
; Occupancy: 16
; WaveLimiterHint : 0
; COMPUTE_PGM_RSRC2:SCRATCH_EN: 0
; COMPUTE_PGM_RSRC2:USER_SGPR: 15
; COMPUTE_PGM_RSRC2:TRAP_HANDLER: 0
; COMPUTE_PGM_RSRC2:TGID_X_EN: 1
; COMPUTE_PGM_RSRC2:TGID_Y_EN: 0
; COMPUTE_PGM_RSRC2:TGID_Z_EN: 0
; COMPUTE_PGM_RSRC2:TIDIG_COMP_CNT: 0
	.section	.text._ZN7rocprim17ROCPRIM_400000_NS6detail17trampoline_kernelINS0_14default_configENS1_29reduce_by_key_config_selectorIllN6thrust23THRUST_200600_302600_NS4plusIlEEEEZZNS1_33reduce_by_key_impl_wrapped_configILNS1_25lookback_scan_determinismE0ES3_S9_NS6_18transform_iteratorI6div_opNS6_17counting_iteratorIlNS6_11use_defaultESF_SF_EESF_SF_EENSC_I6mod_opSG_SF_SF_EENS6_6detail15normal_iteratorINS6_10device_ptrIlEEEESO_PmS8_NS6_8equal_toIlEEEE10hipError_tPvRmT2_T3_mT4_T5_T6_T7_T8_P12ihipStream_tbENKUlT_T0_E_clISt17integral_constantIbLb1EES18_IbLb0EEEEDaS14_S15_EUlS14_E_NS1_11comp_targetILNS1_3genE0ELNS1_11target_archE4294967295ELNS1_3gpuE0ELNS1_3repE0EEENS1_30default_config_static_selectorELNS0_4arch9wavefront6targetE0EEEvT1_,"axG",@progbits,_ZN7rocprim17ROCPRIM_400000_NS6detail17trampoline_kernelINS0_14default_configENS1_29reduce_by_key_config_selectorIllN6thrust23THRUST_200600_302600_NS4plusIlEEEEZZNS1_33reduce_by_key_impl_wrapped_configILNS1_25lookback_scan_determinismE0ES3_S9_NS6_18transform_iteratorI6div_opNS6_17counting_iteratorIlNS6_11use_defaultESF_SF_EESF_SF_EENSC_I6mod_opSG_SF_SF_EENS6_6detail15normal_iteratorINS6_10device_ptrIlEEEESO_PmS8_NS6_8equal_toIlEEEE10hipError_tPvRmT2_T3_mT4_T5_T6_T7_T8_P12ihipStream_tbENKUlT_T0_E_clISt17integral_constantIbLb1EES18_IbLb0EEEEDaS14_S15_EUlS14_E_NS1_11comp_targetILNS1_3genE0ELNS1_11target_archE4294967295ELNS1_3gpuE0ELNS1_3repE0EEENS1_30default_config_static_selectorELNS0_4arch9wavefront6targetE0EEEvT1_,comdat
	.protected	_ZN7rocprim17ROCPRIM_400000_NS6detail17trampoline_kernelINS0_14default_configENS1_29reduce_by_key_config_selectorIllN6thrust23THRUST_200600_302600_NS4plusIlEEEEZZNS1_33reduce_by_key_impl_wrapped_configILNS1_25lookback_scan_determinismE0ES3_S9_NS6_18transform_iteratorI6div_opNS6_17counting_iteratorIlNS6_11use_defaultESF_SF_EESF_SF_EENSC_I6mod_opSG_SF_SF_EENS6_6detail15normal_iteratorINS6_10device_ptrIlEEEESO_PmS8_NS6_8equal_toIlEEEE10hipError_tPvRmT2_T3_mT4_T5_T6_T7_T8_P12ihipStream_tbENKUlT_T0_E_clISt17integral_constantIbLb1EES18_IbLb0EEEEDaS14_S15_EUlS14_E_NS1_11comp_targetILNS1_3genE0ELNS1_11target_archE4294967295ELNS1_3gpuE0ELNS1_3repE0EEENS1_30default_config_static_selectorELNS0_4arch9wavefront6targetE0EEEvT1_ ; -- Begin function _ZN7rocprim17ROCPRIM_400000_NS6detail17trampoline_kernelINS0_14default_configENS1_29reduce_by_key_config_selectorIllN6thrust23THRUST_200600_302600_NS4plusIlEEEEZZNS1_33reduce_by_key_impl_wrapped_configILNS1_25lookback_scan_determinismE0ES3_S9_NS6_18transform_iteratorI6div_opNS6_17counting_iteratorIlNS6_11use_defaultESF_SF_EESF_SF_EENSC_I6mod_opSG_SF_SF_EENS6_6detail15normal_iteratorINS6_10device_ptrIlEEEESO_PmS8_NS6_8equal_toIlEEEE10hipError_tPvRmT2_T3_mT4_T5_T6_T7_T8_P12ihipStream_tbENKUlT_T0_E_clISt17integral_constantIbLb1EES18_IbLb0EEEEDaS14_S15_EUlS14_E_NS1_11comp_targetILNS1_3genE0ELNS1_11target_archE4294967295ELNS1_3gpuE0ELNS1_3repE0EEENS1_30default_config_static_selectorELNS0_4arch9wavefront6targetE0EEEvT1_
	.globl	_ZN7rocprim17ROCPRIM_400000_NS6detail17trampoline_kernelINS0_14default_configENS1_29reduce_by_key_config_selectorIllN6thrust23THRUST_200600_302600_NS4plusIlEEEEZZNS1_33reduce_by_key_impl_wrapped_configILNS1_25lookback_scan_determinismE0ES3_S9_NS6_18transform_iteratorI6div_opNS6_17counting_iteratorIlNS6_11use_defaultESF_SF_EESF_SF_EENSC_I6mod_opSG_SF_SF_EENS6_6detail15normal_iteratorINS6_10device_ptrIlEEEESO_PmS8_NS6_8equal_toIlEEEE10hipError_tPvRmT2_T3_mT4_T5_T6_T7_T8_P12ihipStream_tbENKUlT_T0_E_clISt17integral_constantIbLb1EES18_IbLb0EEEEDaS14_S15_EUlS14_E_NS1_11comp_targetILNS1_3genE0ELNS1_11target_archE4294967295ELNS1_3gpuE0ELNS1_3repE0EEENS1_30default_config_static_selectorELNS0_4arch9wavefront6targetE0EEEvT1_
	.p2align	8
	.type	_ZN7rocprim17ROCPRIM_400000_NS6detail17trampoline_kernelINS0_14default_configENS1_29reduce_by_key_config_selectorIllN6thrust23THRUST_200600_302600_NS4plusIlEEEEZZNS1_33reduce_by_key_impl_wrapped_configILNS1_25lookback_scan_determinismE0ES3_S9_NS6_18transform_iteratorI6div_opNS6_17counting_iteratorIlNS6_11use_defaultESF_SF_EESF_SF_EENSC_I6mod_opSG_SF_SF_EENS6_6detail15normal_iteratorINS6_10device_ptrIlEEEESO_PmS8_NS6_8equal_toIlEEEE10hipError_tPvRmT2_T3_mT4_T5_T6_T7_T8_P12ihipStream_tbENKUlT_T0_E_clISt17integral_constantIbLb1EES18_IbLb0EEEEDaS14_S15_EUlS14_E_NS1_11comp_targetILNS1_3genE0ELNS1_11target_archE4294967295ELNS1_3gpuE0ELNS1_3repE0EEENS1_30default_config_static_selectorELNS0_4arch9wavefront6targetE0EEEvT1_,@function
_ZN7rocprim17ROCPRIM_400000_NS6detail17trampoline_kernelINS0_14default_configENS1_29reduce_by_key_config_selectorIllN6thrust23THRUST_200600_302600_NS4plusIlEEEEZZNS1_33reduce_by_key_impl_wrapped_configILNS1_25lookback_scan_determinismE0ES3_S9_NS6_18transform_iteratorI6div_opNS6_17counting_iteratorIlNS6_11use_defaultESF_SF_EESF_SF_EENSC_I6mod_opSG_SF_SF_EENS6_6detail15normal_iteratorINS6_10device_ptrIlEEEESO_PmS8_NS6_8equal_toIlEEEE10hipError_tPvRmT2_T3_mT4_T5_T6_T7_T8_P12ihipStream_tbENKUlT_T0_E_clISt17integral_constantIbLb1EES18_IbLb0EEEEDaS14_S15_EUlS14_E_NS1_11comp_targetILNS1_3genE0ELNS1_11target_archE4294967295ELNS1_3gpuE0ELNS1_3repE0EEENS1_30default_config_static_selectorELNS0_4arch9wavefront6targetE0EEEvT1_: ; @_ZN7rocprim17ROCPRIM_400000_NS6detail17trampoline_kernelINS0_14default_configENS1_29reduce_by_key_config_selectorIllN6thrust23THRUST_200600_302600_NS4plusIlEEEEZZNS1_33reduce_by_key_impl_wrapped_configILNS1_25lookback_scan_determinismE0ES3_S9_NS6_18transform_iteratorI6div_opNS6_17counting_iteratorIlNS6_11use_defaultESF_SF_EESF_SF_EENSC_I6mod_opSG_SF_SF_EENS6_6detail15normal_iteratorINS6_10device_ptrIlEEEESO_PmS8_NS6_8equal_toIlEEEE10hipError_tPvRmT2_T3_mT4_T5_T6_T7_T8_P12ihipStream_tbENKUlT_T0_E_clISt17integral_constantIbLb1EES18_IbLb0EEEEDaS14_S15_EUlS14_E_NS1_11comp_targetILNS1_3genE0ELNS1_11target_archE4294967295ELNS1_3gpuE0ELNS1_3repE0EEENS1_30default_config_static_selectorELNS0_4arch9wavefront6targetE0EEEvT1_
; %bb.0:
	.section	.rodata,"a",@progbits
	.p2align	6, 0x0
	.amdhsa_kernel _ZN7rocprim17ROCPRIM_400000_NS6detail17trampoline_kernelINS0_14default_configENS1_29reduce_by_key_config_selectorIllN6thrust23THRUST_200600_302600_NS4plusIlEEEEZZNS1_33reduce_by_key_impl_wrapped_configILNS1_25lookback_scan_determinismE0ES3_S9_NS6_18transform_iteratorI6div_opNS6_17counting_iteratorIlNS6_11use_defaultESF_SF_EESF_SF_EENSC_I6mod_opSG_SF_SF_EENS6_6detail15normal_iteratorINS6_10device_ptrIlEEEESO_PmS8_NS6_8equal_toIlEEEE10hipError_tPvRmT2_T3_mT4_T5_T6_T7_T8_P12ihipStream_tbENKUlT_T0_E_clISt17integral_constantIbLb1EES18_IbLb0EEEEDaS14_S15_EUlS14_E_NS1_11comp_targetILNS1_3genE0ELNS1_11target_archE4294967295ELNS1_3gpuE0ELNS1_3repE0EEENS1_30default_config_static_selectorELNS0_4arch9wavefront6targetE0EEEvT1_
		.amdhsa_group_segment_fixed_size 0
		.amdhsa_private_segment_fixed_size 0
		.amdhsa_kernarg_size 152
		.amdhsa_user_sgpr_count 15
		.amdhsa_user_sgpr_dispatch_ptr 0
		.amdhsa_user_sgpr_queue_ptr 0
		.amdhsa_user_sgpr_kernarg_segment_ptr 1
		.amdhsa_user_sgpr_dispatch_id 0
		.amdhsa_user_sgpr_private_segment_size 0
		.amdhsa_wavefront_size32 1
		.amdhsa_uses_dynamic_stack 0
		.amdhsa_enable_private_segment 0
		.amdhsa_system_sgpr_workgroup_id_x 1
		.amdhsa_system_sgpr_workgroup_id_y 0
		.amdhsa_system_sgpr_workgroup_id_z 0
		.amdhsa_system_sgpr_workgroup_info 0
		.amdhsa_system_vgpr_workitem_id 0
		.amdhsa_next_free_vgpr 1
		.amdhsa_next_free_sgpr 1
		.amdhsa_reserve_vcc 0
		.amdhsa_float_round_mode_32 0
		.amdhsa_float_round_mode_16_64 0
		.amdhsa_float_denorm_mode_32 3
		.amdhsa_float_denorm_mode_16_64 3
		.amdhsa_dx10_clamp 1
		.amdhsa_ieee_mode 1
		.amdhsa_fp16_overflow 0
		.amdhsa_workgroup_processor_mode 1
		.amdhsa_memory_ordered 1
		.amdhsa_forward_progress 0
		.amdhsa_shared_vgpr_count 0
		.amdhsa_exception_fp_ieee_invalid_op 0
		.amdhsa_exception_fp_denorm_src 0
		.amdhsa_exception_fp_ieee_div_zero 0
		.amdhsa_exception_fp_ieee_overflow 0
		.amdhsa_exception_fp_ieee_underflow 0
		.amdhsa_exception_fp_ieee_inexact 0
		.amdhsa_exception_int_div_zero 0
	.end_amdhsa_kernel
	.section	.text._ZN7rocprim17ROCPRIM_400000_NS6detail17trampoline_kernelINS0_14default_configENS1_29reduce_by_key_config_selectorIllN6thrust23THRUST_200600_302600_NS4plusIlEEEEZZNS1_33reduce_by_key_impl_wrapped_configILNS1_25lookback_scan_determinismE0ES3_S9_NS6_18transform_iteratorI6div_opNS6_17counting_iteratorIlNS6_11use_defaultESF_SF_EESF_SF_EENSC_I6mod_opSG_SF_SF_EENS6_6detail15normal_iteratorINS6_10device_ptrIlEEEESO_PmS8_NS6_8equal_toIlEEEE10hipError_tPvRmT2_T3_mT4_T5_T6_T7_T8_P12ihipStream_tbENKUlT_T0_E_clISt17integral_constantIbLb1EES18_IbLb0EEEEDaS14_S15_EUlS14_E_NS1_11comp_targetILNS1_3genE0ELNS1_11target_archE4294967295ELNS1_3gpuE0ELNS1_3repE0EEENS1_30default_config_static_selectorELNS0_4arch9wavefront6targetE0EEEvT1_,"axG",@progbits,_ZN7rocprim17ROCPRIM_400000_NS6detail17trampoline_kernelINS0_14default_configENS1_29reduce_by_key_config_selectorIllN6thrust23THRUST_200600_302600_NS4plusIlEEEEZZNS1_33reduce_by_key_impl_wrapped_configILNS1_25lookback_scan_determinismE0ES3_S9_NS6_18transform_iteratorI6div_opNS6_17counting_iteratorIlNS6_11use_defaultESF_SF_EESF_SF_EENSC_I6mod_opSG_SF_SF_EENS6_6detail15normal_iteratorINS6_10device_ptrIlEEEESO_PmS8_NS6_8equal_toIlEEEE10hipError_tPvRmT2_T3_mT4_T5_T6_T7_T8_P12ihipStream_tbENKUlT_T0_E_clISt17integral_constantIbLb1EES18_IbLb0EEEEDaS14_S15_EUlS14_E_NS1_11comp_targetILNS1_3genE0ELNS1_11target_archE4294967295ELNS1_3gpuE0ELNS1_3repE0EEENS1_30default_config_static_selectorELNS0_4arch9wavefront6targetE0EEEvT1_,comdat
.Lfunc_end1152:
	.size	_ZN7rocprim17ROCPRIM_400000_NS6detail17trampoline_kernelINS0_14default_configENS1_29reduce_by_key_config_selectorIllN6thrust23THRUST_200600_302600_NS4plusIlEEEEZZNS1_33reduce_by_key_impl_wrapped_configILNS1_25lookback_scan_determinismE0ES3_S9_NS6_18transform_iteratorI6div_opNS6_17counting_iteratorIlNS6_11use_defaultESF_SF_EESF_SF_EENSC_I6mod_opSG_SF_SF_EENS6_6detail15normal_iteratorINS6_10device_ptrIlEEEESO_PmS8_NS6_8equal_toIlEEEE10hipError_tPvRmT2_T3_mT4_T5_T6_T7_T8_P12ihipStream_tbENKUlT_T0_E_clISt17integral_constantIbLb1EES18_IbLb0EEEEDaS14_S15_EUlS14_E_NS1_11comp_targetILNS1_3genE0ELNS1_11target_archE4294967295ELNS1_3gpuE0ELNS1_3repE0EEENS1_30default_config_static_selectorELNS0_4arch9wavefront6targetE0EEEvT1_, .Lfunc_end1152-_ZN7rocprim17ROCPRIM_400000_NS6detail17trampoline_kernelINS0_14default_configENS1_29reduce_by_key_config_selectorIllN6thrust23THRUST_200600_302600_NS4plusIlEEEEZZNS1_33reduce_by_key_impl_wrapped_configILNS1_25lookback_scan_determinismE0ES3_S9_NS6_18transform_iteratorI6div_opNS6_17counting_iteratorIlNS6_11use_defaultESF_SF_EESF_SF_EENSC_I6mod_opSG_SF_SF_EENS6_6detail15normal_iteratorINS6_10device_ptrIlEEEESO_PmS8_NS6_8equal_toIlEEEE10hipError_tPvRmT2_T3_mT4_T5_T6_T7_T8_P12ihipStream_tbENKUlT_T0_E_clISt17integral_constantIbLb1EES18_IbLb0EEEEDaS14_S15_EUlS14_E_NS1_11comp_targetILNS1_3genE0ELNS1_11target_archE4294967295ELNS1_3gpuE0ELNS1_3repE0EEENS1_30default_config_static_selectorELNS0_4arch9wavefront6targetE0EEEvT1_
                                        ; -- End function
	.section	.AMDGPU.csdata,"",@progbits
; Kernel info:
; codeLenInByte = 0
; NumSgprs: 0
; NumVgprs: 0
; ScratchSize: 0
; MemoryBound: 0
; FloatMode: 240
; IeeeMode: 1
; LDSByteSize: 0 bytes/workgroup (compile time only)
; SGPRBlocks: 0
; VGPRBlocks: 0
; NumSGPRsForWavesPerEU: 1
; NumVGPRsForWavesPerEU: 1
; Occupancy: 16
; WaveLimiterHint : 0
; COMPUTE_PGM_RSRC2:SCRATCH_EN: 0
; COMPUTE_PGM_RSRC2:USER_SGPR: 15
; COMPUTE_PGM_RSRC2:TRAP_HANDLER: 0
; COMPUTE_PGM_RSRC2:TGID_X_EN: 1
; COMPUTE_PGM_RSRC2:TGID_Y_EN: 0
; COMPUTE_PGM_RSRC2:TGID_Z_EN: 0
; COMPUTE_PGM_RSRC2:TIDIG_COMP_CNT: 0
	.section	.text._ZN7rocprim17ROCPRIM_400000_NS6detail17trampoline_kernelINS0_14default_configENS1_29reduce_by_key_config_selectorIllN6thrust23THRUST_200600_302600_NS4plusIlEEEEZZNS1_33reduce_by_key_impl_wrapped_configILNS1_25lookback_scan_determinismE0ES3_S9_NS6_18transform_iteratorI6div_opNS6_17counting_iteratorIlNS6_11use_defaultESF_SF_EESF_SF_EENSC_I6mod_opSG_SF_SF_EENS6_6detail15normal_iteratorINS6_10device_ptrIlEEEESO_PmS8_NS6_8equal_toIlEEEE10hipError_tPvRmT2_T3_mT4_T5_T6_T7_T8_P12ihipStream_tbENKUlT_T0_E_clISt17integral_constantIbLb1EES18_IbLb0EEEEDaS14_S15_EUlS14_E_NS1_11comp_targetILNS1_3genE5ELNS1_11target_archE942ELNS1_3gpuE9ELNS1_3repE0EEENS1_30default_config_static_selectorELNS0_4arch9wavefront6targetE0EEEvT1_,"axG",@progbits,_ZN7rocprim17ROCPRIM_400000_NS6detail17trampoline_kernelINS0_14default_configENS1_29reduce_by_key_config_selectorIllN6thrust23THRUST_200600_302600_NS4plusIlEEEEZZNS1_33reduce_by_key_impl_wrapped_configILNS1_25lookback_scan_determinismE0ES3_S9_NS6_18transform_iteratorI6div_opNS6_17counting_iteratorIlNS6_11use_defaultESF_SF_EESF_SF_EENSC_I6mod_opSG_SF_SF_EENS6_6detail15normal_iteratorINS6_10device_ptrIlEEEESO_PmS8_NS6_8equal_toIlEEEE10hipError_tPvRmT2_T3_mT4_T5_T6_T7_T8_P12ihipStream_tbENKUlT_T0_E_clISt17integral_constantIbLb1EES18_IbLb0EEEEDaS14_S15_EUlS14_E_NS1_11comp_targetILNS1_3genE5ELNS1_11target_archE942ELNS1_3gpuE9ELNS1_3repE0EEENS1_30default_config_static_selectorELNS0_4arch9wavefront6targetE0EEEvT1_,comdat
	.protected	_ZN7rocprim17ROCPRIM_400000_NS6detail17trampoline_kernelINS0_14default_configENS1_29reduce_by_key_config_selectorIllN6thrust23THRUST_200600_302600_NS4plusIlEEEEZZNS1_33reduce_by_key_impl_wrapped_configILNS1_25lookback_scan_determinismE0ES3_S9_NS6_18transform_iteratorI6div_opNS6_17counting_iteratorIlNS6_11use_defaultESF_SF_EESF_SF_EENSC_I6mod_opSG_SF_SF_EENS6_6detail15normal_iteratorINS6_10device_ptrIlEEEESO_PmS8_NS6_8equal_toIlEEEE10hipError_tPvRmT2_T3_mT4_T5_T6_T7_T8_P12ihipStream_tbENKUlT_T0_E_clISt17integral_constantIbLb1EES18_IbLb0EEEEDaS14_S15_EUlS14_E_NS1_11comp_targetILNS1_3genE5ELNS1_11target_archE942ELNS1_3gpuE9ELNS1_3repE0EEENS1_30default_config_static_selectorELNS0_4arch9wavefront6targetE0EEEvT1_ ; -- Begin function _ZN7rocprim17ROCPRIM_400000_NS6detail17trampoline_kernelINS0_14default_configENS1_29reduce_by_key_config_selectorIllN6thrust23THRUST_200600_302600_NS4plusIlEEEEZZNS1_33reduce_by_key_impl_wrapped_configILNS1_25lookback_scan_determinismE0ES3_S9_NS6_18transform_iteratorI6div_opNS6_17counting_iteratorIlNS6_11use_defaultESF_SF_EESF_SF_EENSC_I6mod_opSG_SF_SF_EENS6_6detail15normal_iteratorINS6_10device_ptrIlEEEESO_PmS8_NS6_8equal_toIlEEEE10hipError_tPvRmT2_T3_mT4_T5_T6_T7_T8_P12ihipStream_tbENKUlT_T0_E_clISt17integral_constantIbLb1EES18_IbLb0EEEEDaS14_S15_EUlS14_E_NS1_11comp_targetILNS1_3genE5ELNS1_11target_archE942ELNS1_3gpuE9ELNS1_3repE0EEENS1_30default_config_static_selectorELNS0_4arch9wavefront6targetE0EEEvT1_
	.globl	_ZN7rocprim17ROCPRIM_400000_NS6detail17trampoline_kernelINS0_14default_configENS1_29reduce_by_key_config_selectorIllN6thrust23THRUST_200600_302600_NS4plusIlEEEEZZNS1_33reduce_by_key_impl_wrapped_configILNS1_25lookback_scan_determinismE0ES3_S9_NS6_18transform_iteratorI6div_opNS6_17counting_iteratorIlNS6_11use_defaultESF_SF_EESF_SF_EENSC_I6mod_opSG_SF_SF_EENS6_6detail15normal_iteratorINS6_10device_ptrIlEEEESO_PmS8_NS6_8equal_toIlEEEE10hipError_tPvRmT2_T3_mT4_T5_T6_T7_T8_P12ihipStream_tbENKUlT_T0_E_clISt17integral_constantIbLb1EES18_IbLb0EEEEDaS14_S15_EUlS14_E_NS1_11comp_targetILNS1_3genE5ELNS1_11target_archE942ELNS1_3gpuE9ELNS1_3repE0EEENS1_30default_config_static_selectorELNS0_4arch9wavefront6targetE0EEEvT1_
	.p2align	8
	.type	_ZN7rocprim17ROCPRIM_400000_NS6detail17trampoline_kernelINS0_14default_configENS1_29reduce_by_key_config_selectorIllN6thrust23THRUST_200600_302600_NS4plusIlEEEEZZNS1_33reduce_by_key_impl_wrapped_configILNS1_25lookback_scan_determinismE0ES3_S9_NS6_18transform_iteratorI6div_opNS6_17counting_iteratorIlNS6_11use_defaultESF_SF_EESF_SF_EENSC_I6mod_opSG_SF_SF_EENS6_6detail15normal_iteratorINS6_10device_ptrIlEEEESO_PmS8_NS6_8equal_toIlEEEE10hipError_tPvRmT2_T3_mT4_T5_T6_T7_T8_P12ihipStream_tbENKUlT_T0_E_clISt17integral_constantIbLb1EES18_IbLb0EEEEDaS14_S15_EUlS14_E_NS1_11comp_targetILNS1_3genE5ELNS1_11target_archE942ELNS1_3gpuE9ELNS1_3repE0EEENS1_30default_config_static_selectorELNS0_4arch9wavefront6targetE0EEEvT1_,@function
_ZN7rocprim17ROCPRIM_400000_NS6detail17trampoline_kernelINS0_14default_configENS1_29reduce_by_key_config_selectorIllN6thrust23THRUST_200600_302600_NS4plusIlEEEEZZNS1_33reduce_by_key_impl_wrapped_configILNS1_25lookback_scan_determinismE0ES3_S9_NS6_18transform_iteratorI6div_opNS6_17counting_iteratorIlNS6_11use_defaultESF_SF_EESF_SF_EENSC_I6mod_opSG_SF_SF_EENS6_6detail15normal_iteratorINS6_10device_ptrIlEEEESO_PmS8_NS6_8equal_toIlEEEE10hipError_tPvRmT2_T3_mT4_T5_T6_T7_T8_P12ihipStream_tbENKUlT_T0_E_clISt17integral_constantIbLb1EES18_IbLb0EEEEDaS14_S15_EUlS14_E_NS1_11comp_targetILNS1_3genE5ELNS1_11target_archE942ELNS1_3gpuE9ELNS1_3repE0EEENS1_30default_config_static_selectorELNS0_4arch9wavefront6targetE0EEEvT1_: ; @_ZN7rocprim17ROCPRIM_400000_NS6detail17trampoline_kernelINS0_14default_configENS1_29reduce_by_key_config_selectorIllN6thrust23THRUST_200600_302600_NS4plusIlEEEEZZNS1_33reduce_by_key_impl_wrapped_configILNS1_25lookback_scan_determinismE0ES3_S9_NS6_18transform_iteratorI6div_opNS6_17counting_iteratorIlNS6_11use_defaultESF_SF_EESF_SF_EENSC_I6mod_opSG_SF_SF_EENS6_6detail15normal_iteratorINS6_10device_ptrIlEEEESO_PmS8_NS6_8equal_toIlEEEE10hipError_tPvRmT2_T3_mT4_T5_T6_T7_T8_P12ihipStream_tbENKUlT_T0_E_clISt17integral_constantIbLb1EES18_IbLb0EEEEDaS14_S15_EUlS14_E_NS1_11comp_targetILNS1_3genE5ELNS1_11target_archE942ELNS1_3gpuE9ELNS1_3repE0EEENS1_30default_config_static_selectorELNS0_4arch9wavefront6targetE0EEEvT1_
; %bb.0:
	.section	.rodata,"a",@progbits
	.p2align	6, 0x0
	.amdhsa_kernel _ZN7rocprim17ROCPRIM_400000_NS6detail17trampoline_kernelINS0_14default_configENS1_29reduce_by_key_config_selectorIllN6thrust23THRUST_200600_302600_NS4plusIlEEEEZZNS1_33reduce_by_key_impl_wrapped_configILNS1_25lookback_scan_determinismE0ES3_S9_NS6_18transform_iteratorI6div_opNS6_17counting_iteratorIlNS6_11use_defaultESF_SF_EESF_SF_EENSC_I6mod_opSG_SF_SF_EENS6_6detail15normal_iteratorINS6_10device_ptrIlEEEESO_PmS8_NS6_8equal_toIlEEEE10hipError_tPvRmT2_T3_mT4_T5_T6_T7_T8_P12ihipStream_tbENKUlT_T0_E_clISt17integral_constantIbLb1EES18_IbLb0EEEEDaS14_S15_EUlS14_E_NS1_11comp_targetILNS1_3genE5ELNS1_11target_archE942ELNS1_3gpuE9ELNS1_3repE0EEENS1_30default_config_static_selectorELNS0_4arch9wavefront6targetE0EEEvT1_
		.amdhsa_group_segment_fixed_size 0
		.amdhsa_private_segment_fixed_size 0
		.amdhsa_kernarg_size 152
		.amdhsa_user_sgpr_count 15
		.amdhsa_user_sgpr_dispatch_ptr 0
		.amdhsa_user_sgpr_queue_ptr 0
		.amdhsa_user_sgpr_kernarg_segment_ptr 1
		.amdhsa_user_sgpr_dispatch_id 0
		.amdhsa_user_sgpr_private_segment_size 0
		.amdhsa_wavefront_size32 1
		.amdhsa_uses_dynamic_stack 0
		.amdhsa_enable_private_segment 0
		.amdhsa_system_sgpr_workgroup_id_x 1
		.amdhsa_system_sgpr_workgroup_id_y 0
		.amdhsa_system_sgpr_workgroup_id_z 0
		.amdhsa_system_sgpr_workgroup_info 0
		.amdhsa_system_vgpr_workitem_id 0
		.amdhsa_next_free_vgpr 1
		.amdhsa_next_free_sgpr 1
		.amdhsa_reserve_vcc 0
		.amdhsa_float_round_mode_32 0
		.amdhsa_float_round_mode_16_64 0
		.amdhsa_float_denorm_mode_32 3
		.amdhsa_float_denorm_mode_16_64 3
		.amdhsa_dx10_clamp 1
		.amdhsa_ieee_mode 1
		.amdhsa_fp16_overflow 0
		.amdhsa_workgroup_processor_mode 1
		.amdhsa_memory_ordered 1
		.amdhsa_forward_progress 0
		.amdhsa_shared_vgpr_count 0
		.amdhsa_exception_fp_ieee_invalid_op 0
		.amdhsa_exception_fp_denorm_src 0
		.amdhsa_exception_fp_ieee_div_zero 0
		.amdhsa_exception_fp_ieee_overflow 0
		.amdhsa_exception_fp_ieee_underflow 0
		.amdhsa_exception_fp_ieee_inexact 0
		.amdhsa_exception_int_div_zero 0
	.end_amdhsa_kernel
	.section	.text._ZN7rocprim17ROCPRIM_400000_NS6detail17trampoline_kernelINS0_14default_configENS1_29reduce_by_key_config_selectorIllN6thrust23THRUST_200600_302600_NS4plusIlEEEEZZNS1_33reduce_by_key_impl_wrapped_configILNS1_25lookback_scan_determinismE0ES3_S9_NS6_18transform_iteratorI6div_opNS6_17counting_iteratorIlNS6_11use_defaultESF_SF_EESF_SF_EENSC_I6mod_opSG_SF_SF_EENS6_6detail15normal_iteratorINS6_10device_ptrIlEEEESO_PmS8_NS6_8equal_toIlEEEE10hipError_tPvRmT2_T3_mT4_T5_T6_T7_T8_P12ihipStream_tbENKUlT_T0_E_clISt17integral_constantIbLb1EES18_IbLb0EEEEDaS14_S15_EUlS14_E_NS1_11comp_targetILNS1_3genE5ELNS1_11target_archE942ELNS1_3gpuE9ELNS1_3repE0EEENS1_30default_config_static_selectorELNS0_4arch9wavefront6targetE0EEEvT1_,"axG",@progbits,_ZN7rocprim17ROCPRIM_400000_NS6detail17trampoline_kernelINS0_14default_configENS1_29reduce_by_key_config_selectorIllN6thrust23THRUST_200600_302600_NS4plusIlEEEEZZNS1_33reduce_by_key_impl_wrapped_configILNS1_25lookback_scan_determinismE0ES3_S9_NS6_18transform_iteratorI6div_opNS6_17counting_iteratorIlNS6_11use_defaultESF_SF_EESF_SF_EENSC_I6mod_opSG_SF_SF_EENS6_6detail15normal_iteratorINS6_10device_ptrIlEEEESO_PmS8_NS6_8equal_toIlEEEE10hipError_tPvRmT2_T3_mT4_T5_T6_T7_T8_P12ihipStream_tbENKUlT_T0_E_clISt17integral_constantIbLb1EES18_IbLb0EEEEDaS14_S15_EUlS14_E_NS1_11comp_targetILNS1_3genE5ELNS1_11target_archE942ELNS1_3gpuE9ELNS1_3repE0EEENS1_30default_config_static_selectorELNS0_4arch9wavefront6targetE0EEEvT1_,comdat
.Lfunc_end1153:
	.size	_ZN7rocprim17ROCPRIM_400000_NS6detail17trampoline_kernelINS0_14default_configENS1_29reduce_by_key_config_selectorIllN6thrust23THRUST_200600_302600_NS4plusIlEEEEZZNS1_33reduce_by_key_impl_wrapped_configILNS1_25lookback_scan_determinismE0ES3_S9_NS6_18transform_iteratorI6div_opNS6_17counting_iteratorIlNS6_11use_defaultESF_SF_EESF_SF_EENSC_I6mod_opSG_SF_SF_EENS6_6detail15normal_iteratorINS6_10device_ptrIlEEEESO_PmS8_NS6_8equal_toIlEEEE10hipError_tPvRmT2_T3_mT4_T5_T6_T7_T8_P12ihipStream_tbENKUlT_T0_E_clISt17integral_constantIbLb1EES18_IbLb0EEEEDaS14_S15_EUlS14_E_NS1_11comp_targetILNS1_3genE5ELNS1_11target_archE942ELNS1_3gpuE9ELNS1_3repE0EEENS1_30default_config_static_selectorELNS0_4arch9wavefront6targetE0EEEvT1_, .Lfunc_end1153-_ZN7rocprim17ROCPRIM_400000_NS6detail17trampoline_kernelINS0_14default_configENS1_29reduce_by_key_config_selectorIllN6thrust23THRUST_200600_302600_NS4plusIlEEEEZZNS1_33reduce_by_key_impl_wrapped_configILNS1_25lookback_scan_determinismE0ES3_S9_NS6_18transform_iteratorI6div_opNS6_17counting_iteratorIlNS6_11use_defaultESF_SF_EESF_SF_EENSC_I6mod_opSG_SF_SF_EENS6_6detail15normal_iteratorINS6_10device_ptrIlEEEESO_PmS8_NS6_8equal_toIlEEEE10hipError_tPvRmT2_T3_mT4_T5_T6_T7_T8_P12ihipStream_tbENKUlT_T0_E_clISt17integral_constantIbLb1EES18_IbLb0EEEEDaS14_S15_EUlS14_E_NS1_11comp_targetILNS1_3genE5ELNS1_11target_archE942ELNS1_3gpuE9ELNS1_3repE0EEENS1_30default_config_static_selectorELNS0_4arch9wavefront6targetE0EEEvT1_
                                        ; -- End function
	.section	.AMDGPU.csdata,"",@progbits
; Kernel info:
; codeLenInByte = 0
; NumSgprs: 0
; NumVgprs: 0
; ScratchSize: 0
; MemoryBound: 0
; FloatMode: 240
; IeeeMode: 1
; LDSByteSize: 0 bytes/workgroup (compile time only)
; SGPRBlocks: 0
; VGPRBlocks: 0
; NumSGPRsForWavesPerEU: 1
; NumVGPRsForWavesPerEU: 1
; Occupancy: 16
; WaveLimiterHint : 0
; COMPUTE_PGM_RSRC2:SCRATCH_EN: 0
; COMPUTE_PGM_RSRC2:USER_SGPR: 15
; COMPUTE_PGM_RSRC2:TRAP_HANDLER: 0
; COMPUTE_PGM_RSRC2:TGID_X_EN: 1
; COMPUTE_PGM_RSRC2:TGID_Y_EN: 0
; COMPUTE_PGM_RSRC2:TGID_Z_EN: 0
; COMPUTE_PGM_RSRC2:TIDIG_COMP_CNT: 0
	.section	.text._ZN7rocprim17ROCPRIM_400000_NS6detail17trampoline_kernelINS0_14default_configENS1_29reduce_by_key_config_selectorIllN6thrust23THRUST_200600_302600_NS4plusIlEEEEZZNS1_33reduce_by_key_impl_wrapped_configILNS1_25lookback_scan_determinismE0ES3_S9_NS6_18transform_iteratorI6div_opNS6_17counting_iteratorIlNS6_11use_defaultESF_SF_EESF_SF_EENSC_I6mod_opSG_SF_SF_EENS6_6detail15normal_iteratorINS6_10device_ptrIlEEEESO_PmS8_NS6_8equal_toIlEEEE10hipError_tPvRmT2_T3_mT4_T5_T6_T7_T8_P12ihipStream_tbENKUlT_T0_E_clISt17integral_constantIbLb1EES18_IbLb0EEEEDaS14_S15_EUlS14_E_NS1_11comp_targetILNS1_3genE4ELNS1_11target_archE910ELNS1_3gpuE8ELNS1_3repE0EEENS1_30default_config_static_selectorELNS0_4arch9wavefront6targetE0EEEvT1_,"axG",@progbits,_ZN7rocprim17ROCPRIM_400000_NS6detail17trampoline_kernelINS0_14default_configENS1_29reduce_by_key_config_selectorIllN6thrust23THRUST_200600_302600_NS4plusIlEEEEZZNS1_33reduce_by_key_impl_wrapped_configILNS1_25lookback_scan_determinismE0ES3_S9_NS6_18transform_iteratorI6div_opNS6_17counting_iteratorIlNS6_11use_defaultESF_SF_EESF_SF_EENSC_I6mod_opSG_SF_SF_EENS6_6detail15normal_iteratorINS6_10device_ptrIlEEEESO_PmS8_NS6_8equal_toIlEEEE10hipError_tPvRmT2_T3_mT4_T5_T6_T7_T8_P12ihipStream_tbENKUlT_T0_E_clISt17integral_constantIbLb1EES18_IbLb0EEEEDaS14_S15_EUlS14_E_NS1_11comp_targetILNS1_3genE4ELNS1_11target_archE910ELNS1_3gpuE8ELNS1_3repE0EEENS1_30default_config_static_selectorELNS0_4arch9wavefront6targetE0EEEvT1_,comdat
	.protected	_ZN7rocprim17ROCPRIM_400000_NS6detail17trampoline_kernelINS0_14default_configENS1_29reduce_by_key_config_selectorIllN6thrust23THRUST_200600_302600_NS4plusIlEEEEZZNS1_33reduce_by_key_impl_wrapped_configILNS1_25lookback_scan_determinismE0ES3_S9_NS6_18transform_iteratorI6div_opNS6_17counting_iteratorIlNS6_11use_defaultESF_SF_EESF_SF_EENSC_I6mod_opSG_SF_SF_EENS6_6detail15normal_iteratorINS6_10device_ptrIlEEEESO_PmS8_NS6_8equal_toIlEEEE10hipError_tPvRmT2_T3_mT4_T5_T6_T7_T8_P12ihipStream_tbENKUlT_T0_E_clISt17integral_constantIbLb1EES18_IbLb0EEEEDaS14_S15_EUlS14_E_NS1_11comp_targetILNS1_3genE4ELNS1_11target_archE910ELNS1_3gpuE8ELNS1_3repE0EEENS1_30default_config_static_selectorELNS0_4arch9wavefront6targetE0EEEvT1_ ; -- Begin function _ZN7rocprim17ROCPRIM_400000_NS6detail17trampoline_kernelINS0_14default_configENS1_29reduce_by_key_config_selectorIllN6thrust23THRUST_200600_302600_NS4plusIlEEEEZZNS1_33reduce_by_key_impl_wrapped_configILNS1_25lookback_scan_determinismE0ES3_S9_NS6_18transform_iteratorI6div_opNS6_17counting_iteratorIlNS6_11use_defaultESF_SF_EESF_SF_EENSC_I6mod_opSG_SF_SF_EENS6_6detail15normal_iteratorINS6_10device_ptrIlEEEESO_PmS8_NS6_8equal_toIlEEEE10hipError_tPvRmT2_T3_mT4_T5_T6_T7_T8_P12ihipStream_tbENKUlT_T0_E_clISt17integral_constantIbLb1EES18_IbLb0EEEEDaS14_S15_EUlS14_E_NS1_11comp_targetILNS1_3genE4ELNS1_11target_archE910ELNS1_3gpuE8ELNS1_3repE0EEENS1_30default_config_static_selectorELNS0_4arch9wavefront6targetE0EEEvT1_
	.globl	_ZN7rocprim17ROCPRIM_400000_NS6detail17trampoline_kernelINS0_14default_configENS1_29reduce_by_key_config_selectorIllN6thrust23THRUST_200600_302600_NS4plusIlEEEEZZNS1_33reduce_by_key_impl_wrapped_configILNS1_25lookback_scan_determinismE0ES3_S9_NS6_18transform_iteratorI6div_opNS6_17counting_iteratorIlNS6_11use_defaultESF_SF_EESF_SF_EENSC_I6mod_opSG_SF_SF_EENS6_6detail15normal_iteratorINS6_10device_ptrIlEEEESO_PmS8_NS6_8equal_toIlEEEE10hipError_tPvRmT2_T3_mT4_T5_T6_T7_T8_P12ihipStream_tbENKUlT_T0_E_clISt17integral_constantIbLb1EES18_IbLb0EEEEDaS14_S15_EUlS14_E_NS1_11comp_targetILNS1_3genE4ELNS1_11target_archE910ELNS1_3gpuE8ELNS1_3repE0EEENS1_30default_config_static_selectorELNS0_4arch9wavefront6targetE0EEEvT1_
	.p2align	8
	.type	_ZN7rocprim17ROCPRIM_400000_NS6detail17trampoline_kernelINS0_14default_configENS1_29reduce_by_key_config_selectorIllN6thrust23THRUST_200600_302600_NS4plusIlEEEEZZNS1_33reduce_by_key_impl_wrapped_configILNS1_25lookback_scan_determinismE0ES3_S9_NS6_18transform_iteratorI6div_opNS6_17counting_iteratorIlNS6_11use_defaultESF_SF_EESF_SF_EENSC_I6mod_opSG_SF_SF_EENS6_6detail15normal_iteratorINS6_10device_ptrIlEEEESO_PmS8_NS6_8equal_toIlEEEE10hipError_tPvRmT2_T3_mT4_T5_T6_T7_T8_P12ihipStream_tbENKUlT_T0_E_clISt17integral_constantIbLb1EES18_IbLb0EEEEDaS14_S15_EUlS14_E_NS1_11comp_targetILNS1_3genE4ELNS1_11target_archE910ELNS1_3gpuE8ELNS1_3repE0EEENS1_30default_config_static_selectorELNS0_4arch9wavefront6targetE0EEEvT1_,@function
_ZN7rocprim17ROCPRIM_400000_NS6detail17trampoline_kernelINS0_14default_configENS1_29reduce_by_key_config_selectorIllN6thrust23THRUST_200600_302600_NS4plusIlEEEEZZNS1_33reduce_by_key_impl_wrapped_configILNS1_25lookback_scan_determinismE0ES3_S9_NS6_18transform_iteratorI6div_opNS6_17counting_iteratorIlNS6_11use_defaultESF_SF_EESF_SF_EENSC_I6mod_opSG_SF_SF_EENS6_6detail15normal_iteratorINS6_10device_ptrIlEEEESO_PmS8_NS6_8equal_toIlEEEE10hipError_tPvRmT2_T3_mT4_T5_T6_T7_T8_P12ihipStream_tbENKUlT_T0_E_clISt17integral_constantIbLb1EES18_IbLb0EEEEDaS14_S15_EUlS14_E_NS1_11comp_targetILNS1_3genE4ELNS1_11target_archE910ELNS1_3gpuE8ELNS1_3repE0EEENS1_30default_config_static_selectorELNS0_4arch9wavefront6targetE0EEEvT1_: ; @_ZN7rocprim17ROCPRIM_400000_NS6detail17trampoline_kernelINS0_14default_configENS1_29reduce_by_key_config_selectorIllN6thrust23THRUST_200600_302600_NS4plusIlEEEEZZNS1_33reduce_by_key_impl_wrapped_configILNS1_25lookback_scan_determinismE0ES3_S9_NS6_18transform_iteratorI6div_opNS6_17counting_iteratorIlNS6_11use_defaultESF_SF_EESF_SF_EENSC_I6mod_opSG_SF_SF_EENS6_6detail15normal_iteratorINS6_10device_ptrIlEEEESO_PmS8_NS6_8equal_toIlEEEE10hipError_tPvRmT2_T3_mT4_T5_T6_T7_T8_P12ihipStream_tbENKUlT_T0_E_clISt17integral_constantIbLb1EES18_IbLb0EEEEDaS14_S15_EUlS14_E_NS1_11comp_targetILNS1_3genE4ELNS1_11target_archE910ELNS1_3gpuE8ELNS1_3repE0EEENS1_30default_config_static_selectorELNS0_4arch9wavefront6targetE0EEEvT1_
; %bb.0:
	.section	.rodata,"a",@progbits
	.p2align	6, 0x0
	.amdhsa_kernel _ZN7rocprim17ROCPRIM_400000_NS6detail17trampoline_kernelINS0_14default_configENS1_29reduce_by_key_config_selectorIllN6thrust23THRUST_200600_302600_NS4plusIlEEEEZZNS1_33reduce_by_key_impl_wrapped_configILNS1_25lookback_scan_determinismE0ES3_S9_NS6_18transform_iteratorI6div_opNS6_17counting_iteratorIlNS6_11use_defaultESF_SF_EESF_SF_EENSC_I6mod_opSG_SF_SF_EENS6_6detail15normal_iteratorINS6_10device_ptrIlEEEESO_PmS8_NS6_8equal_toIlEEEE10hipError_tPvRmT2_T3_mT4_T5_T6_T7_T8_P12ihipStream_tbENKUlT_T0_E_clISt17integral_constantIbLb1EES18_IbLb0EEEEDaS14_S15_EUlS14_E_NS1_11comp_targetILNS1_3genE4ELNS1_11target_archE910ELNS1_3gpuE8ELNS1_3repE0EEENS1_30default_config_static_selectorELNS0_4arch9wavefront6targetE0EEEvT1_
		.amdhsa_group_segment_fixed_size 0
		.amdhsa_private_segment_fixed_size 0
		.amdhsa_kernarg_size 152
		.amdhsa_user_sgpr_count 15
		.amdhsa_user_sgpr_dispatch_ptr 0
		.amdhsa_user_sgpr_queue_ptr 0
		.amdhsa_user_sgpr_kernarg_segment_ptr 1
		.amdhsa_user_sgpr_dispatch_id 0
		.amdhsa_user_sgpr_private_segment_size 0
		.amdhsa_wavefront_size32 1
		.amdhsa_uses_dynamic_stack 0
		.amdhsa_enable_private_segment 0
		.amdhsa_system_sgpr_workgroup_id_x 1
		.amdhsa_system_sgpr_workgroup_id_y 0
		.amdhsa_system_sgpr_workgroup_id_z 0
		.amdhsa_system_sgpr_workgroup_info 0
		.amdhsa_system_vgpr_workitem_id 0
		.amdhsa_next_free_vgpr 1
		.amdhsa_next_free_sgpr 1
		.amdhsa_reserve_vcc 0
		.amdhsa_float_round_mode_32 0
		.amdhsa_float_round_mode_16_64 0
		.amdhsa_float_denorm_mode_32 3
		.amdhsa_float_denorm_mode_16_64 3
		.amdhsa_dx10_clamp 1
		.amdhsa_ieee_mode 1
		.amdhsa_fp16_overflow 0
		.amdhsa_workgroup_processor_mode 1
		.amdhsa_memory_ordered 1
		.amdhsa_forward_progress 0
		.amdhsa_shared_vgpr_count 0
		.amdhsa_exception_fp_ieee_invalid_op 0
		.amdhsa_exception_fp_denorm_src 0
		.amdhsa_exception_fp_ieee_div_zero 0
		.amdhsa_exception_fp_ieee_overflow 0
		.amdhsa_exception_fp_ieee_underflow 0
		.amdhsa_exception_fp_ieee_inexact 0
		.amdhsa_exception_int_div_zero 0
	.end_amdhsa_kernel
	.section	.text._ZN7rocprim17ROCPRIM_400000_NS6detail17trampoline_kernelINS0_14default_configENS1_29reduce_by_key_config_selectorIllN6thrust23THRUST_200600_302600_NS4plusIlEEEEZZNS1_33reduce_by_key_impl_wrapped_configILNS1_25lookback_scan_determinismE0ES3_S9_NS6_18transform_iteratorI6div_opNS6_17counting_iteratorIlNS6_11use_defaultESF_SF_EESF_SF_EENSC_I6mod_opSG_SF_SF_EENS6_6detail15normal_iteratorINS6_10device_ptrIlEEEESO_PmS8_NS6_8equal_toIlEEEE10hipError_tPvRmT2_T3_mT4_T5_T6_T7_T8_P12ihipStream_tbENKUlT_T0_E_clISt17integral_constantIbLb1EES18_IbLb0EEEEDaS14_S15_EUlS14_E_NS1_11comp_targetILNS1_3genE4ELNS1_11target_archE910ELNS1_3gpuE8ELNS1_3repE0EEENS1_30default_config_static_selectorELNS0_4arch9wavefront6targetE0EEEvT1_,"axG",@progbits,_ZN7rocprim17ROCPRIM_400000_NS6detail17trampoline_kernelINS0_14default_configENS1_29reduce_by_key_config_selectorIllN6thrust23THRUST_200600_302600_NS4plusIlEEEEZZNS1_33reduce_by_key_impl_wrapped_configILNS1_25lookback_scan_determinismE0ES3_S9_NS6_18transform_iteratorI6div_opNS6_17counting_iteratorIlNS6_11use_defaultESF_SF_EESF_SF_EENSC_I6mod_opSG_SF_SF_EENS6_6detail15normal_iteratorINS6_10device_ptrIlEEEESO_PmS8_NS6_8equal_toIlEEEE10hipError_tPvRmT2_T3_mT4_T5_T6_T7_T8_P12ihipStream_tbENKUlT_T0_E_clISt17integral_constantIbLb1EES18_IbLb0EEEEDaS14_S15_EUlS14_E_NS1_11comp_targetILNS1_3genE4ELNS1_11target_archE910ELNS1_3gpuE8ELNS1_3repE0EEENS1_30default_config_static_selectorELNS0_4arch9wavefront6targetE0EEEvT1_,comdat
.Lfunc_end1154:
	.size	_ZN7rocprim17ROCPRIM_400000_NS6detail17trampoline_kernelINS0_14default_configENS1_29reduce_by_key_config_selectorIllN6thrust23THRUST_200600_302600_NS4plusIlEEEEZZNS1_33reduce_by_key_impl_wrapped_configILNS1_25lookback_scan_determinismE0ES3_S9_NS6_18transform_iteratorI6div_opNS6_17counting_iteratorIlNS6_11use_defaultESF_SF_EESF_SF_EENSC_I6mod_opSG_SF_SF_EENS6_6detail15normal_iteratorINS6_10device_ptrIlEEEESO_PmS8_NS6_8equal_toIlEEEE10hipError_tPvRmT2_T3_mT4_T5_T6_T7_T8_P12ihipStream_tbENKUlT_T0_E_clISt17integral_constantIbLb1EES18_IbLb0EEEEDaS14_S15_EUlS14_E_NS1_11comp_targetILNS1_3genE4ELNS1_11target_archE910ELNS1_3gpuE8ELNS1_3repE0EEENS1_30default_config_static_selectorELNS0_4arch9wavefront6targetE0EEEvT1_, .Lfunc_end1154-_ZN7rocprim17ROCPRIM_400000_NS6detail17trampoline_kernelINS0_14default_configENS1_29reduce_by_key_config_selectorIllN6thrust23THRUST_200600_302600_NS4plusIlEEEEZZNS1_33reduce_by_key_impl_wrapped_configILNS1_25lookback_scan_determinismE0ES3_S9_NS6_18transform_iteratorI6div_opNS6_17counting_iteratorIlNS6_11use_defaultESF_SF_EESF_SF_EENSC_I6mod_opSG_SF_SF_EENS6_6detail15normal_iteratorINS6_10device_ptrIlEEEESO_PmS8_NS6_8equal_toIlEEEE10hipError_tPvRmT2_T3_mT4_T5_T6_T7_T8_P12ihipStream_tbENKUlT_T0_E_clISt17integral_constantIbLb1EES18_IbLb0EEEEDaS14_S15_EUlS14_E_NS1_11comp_targetILNS1_3genE4ELNS1_11target_archE910ELNS1_3gpuE8ELNS1_3repE0EEENS1_30default_config_static_selectorELNS0_4arch9wavefront6targetE0EEEvT1_
                                        ; -- End function
	.section	.AMDGPU.csdata,"",@progbits
; Kernel info:
; codeLenInByte = 0
; NumSgprs: 0
; NumVgprs: 0
; ScratchSize: 0
; MemoryBound: 0
; FloatMode: 240
; IeeeMode: 1
; LDSByteSize: 0 bytes/workgroup (compile time only)
; SGPRBlocks: 0
; VGPRBlocks: 0
; NumSGPRsForWavesPerEU: 1
; NumVGPRsForWavesPerEU: 1
; Occupancy: 16
; WaveLimiterHint : 0
; COMPUTE_PGM_RSRC2:SCRATCH_EN: 0
; COMPUTE_PGM_RSRC2:USER_SGPR: 15
; COMPUTE_PGM_RSRC2:TRAP_HANDLER: 0
; COMPUTE_PGM_RSRC2:TGID_X_EN: 1
; COMPUTE_PGM_RSRC2:TGID_Y_EN: 0
; COMPUTE_PGM_RSRC2:TGID_Z_EN: 0
; COMPUTE_PGM_RSRC2:TIDIG_COMP_CNT: 0
	.section	.text._ZN7rocprim17ROCPRIM_400000_NS6detail17trampoline_kernelINS0_14default_configENS1_29reduce_by_key_config_selectorIllN6thrust23THRUST_200600_302600_NS4plusIlEEEEZZNS1_33reduce_by_key_impl_wrapped_configILNS1_25lookback_scan_determinismE0ES3_S9_NS6_18transform_iteratorI6div_opNS6_17counting_iteratorIlNS6_11use_defaultESF_SF_EESF_SF_EENSC_I6mod_opSG_SF_SF_EENS6_6detail15normal_iteratorINS6_10device_ptrIlEEEESO_PmS8_NS6_8equal_toIlEEEE10hipError_tPvRmT2_T3_mT4_T5_T6_T7_T8_P12ihipStream_tbENKUlT_T0_E_clISt17integral_constantIbLb1EES18_IbLb0EEEEDaS14_S15_EUlS14_E_NS1_11comp_targetILNS1_3genE3ELNS1_11target_archE908ELNS1_3gpuE7ELNS1_3repE0EEENS1_30default_config_static_selectorELNS0_4arch9wavefront6targetE0EEEvT1_,"axG",@progbits,_ZN7rocprim17ROCPRIM_400000_NS6detail17trampoline_kernelINS0_14default_configENS1_29reduce_by_key_config_selectorIllN6thrust23THRUST_200600_302600_NS4plusIlEEEEZZNS1_33reduce_by_key_impl_wrapped_configILNS1_25lookback_scan_determinismE0ES3_S9_NS6_18transform_iteratorI6div_opNS6_17counting_iteratorIlNS6_11use_defaultESF_SF_EESF_SF_EENSC_I6mod_opSG_SF_SF_EENS6_6detail15normal_iteratorINS6_10device_ptrIlEEEESO_PmS8_NS6_8equal_toIlEEEE10hipError_tPvRmT2_T3_mT4_T5_T6_T7_T8_P12ihipStream_tbENKUlT_T0_E_clISt17integral_constantIbLb1EES18_IbLb0EEEEDaS14_S15_EUlS14_E_NS1_11comp_targetILNS1_3genE3ELNS1_11target_archE908ELNS1_3gpuE7ELNS1_3repE0EEENS1_30default_config_static_selectorELNS0_4arch9wavefront6targetE0EEEvT1_,comdat
	.protected	_ZN7rocprim17ROCPRIM_400000_NS6detail17trampoline_kernelINS0_14default_configENS1_29reduce_by_key_config_selectorIllN6thrust23THRUST_200600_302600_NS4plusIlEEEEZZNS1_33reduce_by_key_impl_wrapped_configILNS1_25lookback_scan_determinismE0ES3_S9_NS6_18transform_iteratorI6div_opNS6_17counting_iteratorIlNS6_11use_defaultESF_SF_EESF_SF_EENSC_I6mod_opSG_SF_SF_EENS6_6detail15normal_iteratorINS6_10device_ptrIlEEEESO_PmS8_NS6_8equal_toIlEEEE10hipError_tPvRmT2_T3_mT4_T5_T6_T7_T8_P12ihipStream_tbENKUlT_T0_E_clISt17integral_constantIbLb1EES18_IbLb0EEEEDaS14_S15_EUlS14_E_NS1_11comp_targetILNS1_3genE3ELNS1_11target_archE908ELNS1_3gpuE7ELNS1_3repE0EEENS1_30default_config_static_selectorELNS0_4arch9wavefront6targetE0EEEvT1_ ; -- Begin function _ZN7rocprim17ROCPRIM_400000_NS6detail17trampoline_kernelINS0_14default_configENS1_29reduce_by_key_config_selectorIllN6thrust23THRUST_200600_302600_NS4plusIlEEEEZZNS1_33reduce_by_key_impl_wrapped_configILNS1_25lookback_scan_determinismE0ES3_S9_NS6_18transform_iteratorI6div_opNS6_17counting_iteratorIlNS6_11use_defaultESF_SF_EESF_SF_EENSC_I6mod_opSG_SF_SF_EENS6_6detail15normal_iteratorINS6_10device_ptrIlEEEESO_PmS8_NS6_8equal_toIlEEEE10hipError_tPvRmT2_T3_mT4_T5_T6_T7_T8_P12ihipStream_tbENKUlT_T0_E_clISt17integral_constantIbLb1EES18_IbLb0EEEEDaS14_S15_EUlS14_E_NS1_11comp_targetILNS1_3genE3ELNS1_11target_archE908ELNS1_3gpuE7ELNS1_3repE0EEENS1_30default_config_static_selectorELNS0_4arch9wavefront6targetE0EEEvT1_
	.globl	_ZN7rocprim17ROCPRIM_400000_NS6detail17trampoline_kernelINS0_14default_configENS1_29reduce_by_key_config_selectorIllN6thrust23THRUST_200600_302600_NS4plusIlEEEEZZNS1_33reduce_by_key_impl_wrapped_configILNS1_25lookback_scan_determinismE0ES3_S9_NS6_18transform_iteratorI6div_opNS6_17counting_iteratorIlNS6_11use_defaultESF_SF_EESF_SF_EENSC_I6mod_opSG_SF_SF_EENS6_6detail15normal_iteratorINS6_10device_ptrIlEEEESO_PmS8_NS6_8equal_toIlEEEE10hipError_tPvRmT2_T3_mT4_T5_T6_T7_T8_P12ihipStream_tbENKUlT_T0_E_clISt17integral_constantIbLb1EES18_IbLb0EEEEDaS14_S15_EUlS14_E_NS1_11comp_targetILNS1_3genE3ELNS1_11target_archE908ELNS1_3gpuE7ELNS1_3repE0EEENS1_30default_config_static_selectorELNS0_4arch9wavefront6targetE0EEEvT1_
	.p2align	8
	.type	_ZN7rocprim17ROCPRIM_400000_NS6detail17trampoline_kernelINS0_14default_configENS1_29reduce_by_key_config_selectorIllN6thrust23THRUST_200600_302600_NS4plusIlEEEEZZNS1_33reduce_by_key_impl_wrapped_configILNS1_25lookback_scan_determinismE0ES3_S9_NS6_18transform_iteratorI6div_opNS6_17counting_iteratorIlNS6_11use_defaultESF_SF_EESF_SF_EENSC_I6mod_opSG_SF_SF_EENS6_6detail15normal_iteratorINS6_10device_ptrIlEEEESO_PmS8_NS6_8equal_toIlEEEE10hipError_tPvRmT2_T3_mT4_T5_T6_T7_T8_P12ihipStream_tbENKUlT_T0_E_clISt17integral_constantIbLb1EES18_IbLb0EEEEDaS14_S15_EUlS14_E_NS1_11comp_targetILNS1_3genE3ELNS1_11target_archE908ELNS1_3gpuE7ELNS1_3repE0EEENS1_30default_config_static_selectorELNS0_4arch9wavefront6targetE0EEEvT1_,@function
_ZN7rocprim17ROCPRIM_400000_NS6detail17trampoline_kernelINS0_14default_configENS1_29reduce_by_key_config_selectorIllN6thrust23THRUST_200600_302600_NS4plusIlEEEEZZNS1_33reduce_by_key_impl_wrapped_configILNS1_25lookback_scan_determinismE0ES3_S9_NS6_18transform_iteratorI6div_opNS6_17counting_iteratorIlNS6_11use_defaultESF_SF_EESF_SF_EENSC_I6mod_opSG_SF_SF_EENS6_6detail15normal_iteratorINS6_10device_ptrIlEEEESO_PmS8_NS6_8equal_toIlEEEE10hipError_tPvRmT2_T3_mT4_T5_T6_T7_T8_P12ihipStream_tbENKUlT_T0_E_clISt17integral_constantIbLb1EES18_IbLb0EEEEDaS14_S15_EUlS14_E_NS1_11comp_targetILNS1_3genE3ELNS1_11target_archE908ELNS1_3gpuE7ELNS1_3repE0EEENS1_30default_config_static_selectorELNS0_4arch9wavefront6targetE0EEEvT1_: ; @_ZN7rocprim17ROCPRIM_400000_NS6detail17trampoline_kernelINS0_14default_configENS1_29reduce_by_key_config_selectorIllN6thrust23THRUST_200600_302600_NS4plusIlEEEEZZNS1_33reduce_by_key_impl_wrapped_configILNS1_25lookback_scan_determinismE0ES3_S9_NS6_18transform_iteratorI6div_opNS6_17counting_iteratorIlNS6_11use_defaultESF_SF_EESF_SF_EENSC_I6mod_opSG_SF_SF_EENS6_6detail15normal_iteratorINS6_10device_ptrIlEEEESO_PmS8_NS6_8equal_toIlEEEE10hipError_tPvRmT2_T3_mT4_T5_T6_T7_T8_P12ihipStream_tbENKUlT_T0_E_clISt17integral_constantIbLb1EES18_IbLb0EEEEDaS14_S15_EUlS14_E_NS1_11comp_targetILNS1_3genE3ELNS1_11target_archE908ELNS1_3gpuE7ELNS1_3repE0EEENS1_30default_config_static_selectorELNS0_4arch9wavefront6targetE0EEEvT1_
; %bb.0:
	.section	.rodata,"a",@progbits
	.p2align	6, 0x0
	.amdhsa_kernel _ZN7rocprim17ROCPRIM_400000_NS6detail17trampoline_kernelINS0_14default_configENS1_29reduce_by_key_config_selectorIllN6thrust23THRUST_200600_302600_NS4plusIlEEEEZZNS1_33reduce_by_key_impl_wrapped_configILNS1_25lookback_scan_determinismE0ES3_S9_NS6_18transform_iteratorI6div_opNS6_17counting_iteratorIlNS6_11use_defaultESF_SF_EESF_SF_EENSC_I6mod_opSG_SF_SF_EENS6_6detail15normal_iteratorINS6_10device_ptrIlEEEESO_PmS8_NS6_8equal_toIlEEEE10hipError_tPvRmT2_T3_mT4_T5_T6_T7_T8_P12ihipStream_tbENKUlT_T0_E_clISt17integral_constantIbLb1EES18_IbLb0EEEEDaS14_S15_EUlS14_E_NS1_11comp_targetILNS1_3genE3ELNS1_11target_archE908ELNS1_3gpuE7ELNS1_3repE0EEENS1_30default_config_static_selectorELNS0_4arch9wavefront6targetE0EEEvT1_
		.amdhsa_group_segment_fixed_size 0
		.amdhsa_private_segment_fixed_size 0
		.amdhsa_kernarg_size 152
		.amdhsa_user_sgpr_count 15
		.amdhsa_user_sgpr_dispatch_ptr 0
		.amdhsa_user_sgpr_queue_ptr 0
		.amdhsa_user_sgpr_kernarg_segment_ptr 1
		.amdhsa_user_sgpr_dispatch_id 0
		.amdhsa_user_sgpr_private_segment_size 0
		.amdhsa_wavefront_size32 1
		.amdhsa_uses_dynamic_stack 0
		.amdhsa_enable_private_segment 0
		.amdhsa_system_sgpr_workgroup_id_x 1
		.amdhsa_system_sgpr_workgroup_id_y 0
		.amdhsa_system_sgpr_workgroup_id_z 0
		.amdhsa_system_sgpr_workgroup_info 0
		.amdhsa_system_vgpr_workitem_id 0
		.amdhsa_next_free_vgpr 1
		.amdhsa_next_free_sgpr 1
		.amdhsa_reserve_vcc 0
		.amdhsa_float_round_mode_32 0
		.amdhsa_float_round_mode_16_64 0
		.amdhsa_float_denorm_mode_32 3
		.amdhsa_float_denorm_mode_16_64 3
		.amdhsa_dx10_clamp 1
		.amdhsa_ieee_mode 1
		.amdhsa_fp16_overflow 0
		.amdhsa_workgroup_processor_mode 1
		.amdhsa_memory_ordered 1
		.amdhsa_forward_progress 0
		.amdhsa_shared_vgpr_count 0
		.amdhsa_exception_fp_ieee_invalid_op 0
		.amdhsa_exception_fp_denorm_src 0
		.amdhsa_exception_fp_ieee_div_zero 0
		.amdhsa_exception_fp_ieee_overflow 0
		.amdhsa_exception_fp_ieee_underflow 0
		.amdhsa_exception_fp_ieee_inexact 0
		.amdhsa_exception_int_div_zero 0
	.end_amdhsa_kernel
	.section	.text._ZN7rocprim17ROCPRIM_400000_NS6detail17trampoline_kernelINS0_14default_configENS1_29reduce_by_key_config_selectorIllN6thrust23THRUST_200600_302600_NS4plusIlEEEEZZNS1_33reduce_by_key_impl_wrapped_configILNS1_25lookback_scan_determinismE0ES3_S9_NS6_18transform_iteratorI6div_opNS6_17counting_iteratorIlNS6_11use_defaultESF_SF_EESF_SF_EENSC_I6mod_opSG_SF_SF_EENS6_6detail15normal_iteratorINS6_10device_ptrIlEEEESO_PmS8_NS6_8equal_toIlEEEE10hipError_tPvRmT2_T3_mT4_T5_T6_T7_T8_P12ihipStream_tbENKUlT_T0_E_clISt17integral_constantIbLb1EES18_IbLb0EEEEDaS14_S15_EUlS14_E_NS1_11comp_targetILNS1_3genE3ELNS1_11target_archE908ELNS1_3gpuE7ELNS1_3repE0EEENS1_30default_config_static_selectorELNS0_4arch9wavefront6targetE0EEEvT1_,"axG",@progbits,_ZN7rocprim17ROCPRIM_400000_NS6detail17trampoline_kernelINS0_14default_configENS1_29reduce_by_key_config_selectorIllN6thrust23THRUST_200600_302600_NS4plusIlEEEEZZNS1_33reduce_by_key_impl_wrapped_configILNS1_25lookback_scan_determinismE0ES3_S9_NS6_18transform_iteratorI6div_opNS6_17counting_iteratorIlNS6_11use_defaultESF_SF_EESF_SF_EENSC_I6mod_opSG_SF_SF_EENS6_6detail15normal_iteratorINS6_10device_ptrIlEEEESO_PmS8_NS6_8equal_toIlEEEE10hipError_tPvRmT2_T3_mT4_T5_T6_T7_T8_P12ihipStream_tbENKUlT_T0_E_clISt17integral_constantIbLb1EES18_IbLb0EEEEDaS14_S15_EUlS14_E_NS1_11comp_targetILNS1_3genE3ELNS1_11target_archE908ELNS1_3gpuE7ELNS1_3repE0EEENS1_30default_config_static_selectorELNS0_4arch9wavefront6targetE0EEEvT1_,comdat
.Lfunc_end1155:
	.size	_ZN7rocprim17ROCPRIM_400000_NS6detail17trampoline_kernelINS0_14default_configENS1_29reduce_by_key_config_selectorIllN6thrust23THRUST_200600_302600_NS4plusIlEEEEZZNS1_33reduce_by_key_impl_wrapped_configILNS1_25lookback_scan_determinismE0ES3_S9_NS6_18transform_iteratorI6div_opNS6_17counting_iteratorIlNS6_11use_defaultESF_SF_EESF_SF_EENSC_I6mod_opSG_SF_SF_EENS6_6detail15normal_iteratorINS6_10device_ptrIlEEEESO_PmS8_NS6_8equal_toIlEEEE10hipError_tPvRmT2_T3_mT4_T5_T6_T7_T8_P12ihipStream_tbENKUlT_T0_E_clISt17integral_constantIbLb1EES18_IbLb0EEEEDaS14_S15_EUlS14_E_NS1_11comp_targetILNS1_3genE3ELNS1_11target_archE908ELNS1_3gpuE7ELNS1_3repE0EEENS1_30default_config_static_selectorELNS0_4arch9wavefront6targetE0EEEvT1_, .Lfunc_end1155-_ZN7rocprim17ROCPRIM_400000_NS6detail17trampoline_kernelINS0_14default_configENS1_29reduce_by_key_config_selectorIllN6thrust23THRUST_200600_302600_NS4plusIlEEEEZZNS1_33reduce_by_key_impl_wrapped_configILNS1_25lookback_scan_determinismE0ES3_S9_NS6_18transform_iteratorI6div_opNS6_17counting_iteratorIlNS6_11use_defaultESF_SF_EESF_SF_EENSC_I6mod_opSG_SF_SF_EENS6_6detail15normal_iteratorINS6_10device_ptrIlEEEESO_PmS8_NS6_8equal_toIlEEEE10hipError_tPvRmT2_T3_mT4_T5_T6_T7_T8_P12ihipStream_tbENKUlT_T0_E_clISt17integral_constantIbLb1EES18_IbLb0EEEEDaS14_S15_EUlS14_E_NS1_11comp_targetILNS1_3genE3ELNS1_11target_archE908ELNS1_3gpuE7ELNS1_3repE0EEENS1_30default_config_static_selectorELNS0_4arch9wavefront6targetE0EEEvT1_
                                        ; -- End function
	.section	.AMDGPU.csdata,"",@progbits
; Kernel info:
; codeLenInByte = 0
; NumSgprs: 0
; NumVgprs: 0
; ScratchSize: 0
; MemoryBound: 0
; FloatMode: 240
; IeeeMode: 1
; LDSByteSize: 0 bytes/workgroup (compile time only)
; SGPRBlocks: 0
; VGPRBlocks: 0
; NumSGPRsForWavesPerEU: 1
; NumVGPRsForWavesPerEU: 1
; Occupancy: 16
; WaveLimiterHint : 0
; COMPUTE_PGM_RSRC2:SCRATCH_EN: 0
; COMPUTE_PGM_RSRC2:USER_SGPR: 15
; COMPUTE_PGM_RSRC2:TRAP_HANDLER: 0
; COMPUTE_PGM_RSRC2:TGID_X_EN: 1
; COMPUTE_PGM_RSRC2:TGID_Y_EN: 0
; COMPUTE_PGM_RSRC2:TGID_Z_EN: 0
; COMPUTE_PGM_RSRC2:TIDIG_COMP_CNT: 0
	.section	.text._ZN7rocprim17ROCPRIM_400000_NS6detail17trampoline_kernelINS0_14default_configENS1_29reduce_by_key_config_selectorIllN6thrust23THRUST_200600_302600_NS4plusIlEEEEZZNS1_33reduce_by_key_impl_wrapped_configILNS1_25lookback_scan_determinismE0ES3_S9_NS6_18transform_iteratorI6div_opNS6_17counting_iteratorIlNS6_11use_defaultESF_SF_EESF_SF_EENSC_I6mod_opSG_SF_SF_EENS6_6detail15normal_iteratorINS6_10device_ptrIlEEEESO_PmS8_NS6_8equal_toIlEEEE10hipError_tPvRmT2_T3_mT4_T5_T6_T7_T8_P12ihipStream_tbENKUlT_T0_E_clISt17integral_constantIbLb1EES18_IbLb0EEEEDaS14_S15_EUlS14_E_NS1_11comp_targetILNS1_3genE2ELNS1_11target_archE906ELNS1_3gpuE6ELNS1_3repE0EEENS1_30default_config_static_selectorELNS0_4arch9wavefront6targetE0EEEvT1_,"axG",@progbits,_ZN7rocprim17ROCPRIM_400000_NS6detail17trampoline_kernelINS0_14default_configENS1_29reduce_by_key_config_selectorIllN6thrust23THRUST_200600_302600_NS4plusIlEEEEZZNS1_33reduce_by_key_impl_wrapped_configILNS1_25lookback_scan_determinismE0ES3_S9_NS6_18transform_iteratorI6div_opNS6_17counting_iteratorIlNS6_11use_defaultESF_SF_EESF_SF_EENSC_I6mod_opSG_SF_SF_EENS6_6detail15normal_iteratorINS6_10device_ptrIlEEEESO_PmS8_NS6_8equal_toIlEEEE10hipError_tPvRmT2_T3_mT4_T5_T6_T7_T8_P12ihipStream_tbENKUlT_T0_E_clISt17integral_constantIbLb1EES18_IbLb0EEEEDaS14_S15_EUlS14_E_NS1_11comp_targetILNS1_3genE2ELNS1_11target_archE906ELNS1_3gpuE6ELNS1_3repE0EEENS1_30default_config_static_selectorELNS0_4arch9wavefront6targetE0EEEvT1_,comdat
	.protected	_ZN7rocprim17ROCPRIM_400000_NS6detail17trampoline_kernelINS0_14default_configENS1_29reduce_by_key_config_selectorIllN6thrust23THRUST_200600_302600_NS4plusIlEEEEZZNS1_33reduce_by_key_impl_wrapped_configILNS1_25lookback_scan_determinismE0ES3_S9_NS6_18transform_iteratorI6div_opNS6_17counting_iteratorIlNS6_11use_defaultESF_SF_EESF_SF_EENSC_I6mod_opSG_SF_SF_EENS6_6detail15normal_iteratorINS6_10device_ptrIlEEEESO_PmS8_NS6_8equal_toIlEEEE10hipError_tPvRmT2_T3_mT4_T5_T6_T7_T8_P12ihipStream_tbENKUlT_T0_E_clISt17integral_constantIbLb1EES18_IbLb0EEEEDaS14_S15_EUlS14_E_NS1_11comp_targetILNS1_3genE2ELNS1_11target_archE906ELNS1_3gpuE6ELNS1_3repE0EEENS1_30default_config_static_selectorELNS0_4arch9wavefront6targetE0EEEvT1_ ; -- Begin function _ZN7rocprim17ROCPRIM_400000_NS6detail17trampoline_kernelINS0_14default_configENS1_29reduce_by_key_config_selectorIllN6thrust23THRUST_200600_302600_NS4plusIlEEEEZZNS1_33reduce_by_key_impl_wrapped_configILNS1_25lookback_scan_determinismE0ES3_S9_NS6_18transform_iteratorI6div_opNS6_17counting_iteratorIlNS6_11use_defaultESF_SF_EESF_SF_EENSC_I6mod_opSG_SF_SF_EENS6_6detail15normal_iteratorINS6_10device_ptrIlEEEESO_PmS8_NS6_8equal_toIlEEEE10hipError_tPvRmT2_T3_mT4_T5_T6_T7_T8_P12ihipStream_tbENKUlT_T0_E_clISt17integral_constantIbLb1EES18_IbLb0EEEEDaS14_S15_EUlS14_E_NS1_11comp_targetILNS1_3genE2ELNS1_11target_archE906ELNS1_3gpuE6ELNS1_3repE0EEENS1_30default_config_static_selectorELNS0_4arch9wavefront6targetE0EEEvT1_
	.globl	_ZN7rocprim17ROCPRIM_400000_NS6detail17trampoline_kernelINS0_14default_configENS1_29reduce_by_key_config_selectorIllN6thrust23THRUST_200600_302600_NS4plusIlEEEEZZNS1_33reduce_by_key_impl_wrapped_configILNS1_25lookback_scan_determinismE0ES3_S9_NS6_18transform_iteratorI6div_opNS6_17counting_iteratorIlNS6_11use_defaultESF_SF_EESF_SF_EENSC_I6mod_opSG_SF_SF_EENS6_6detail15normal_iteratorINS6_10device_ptrIlEEEESO_PmS8_NS6_8equal_toIlEEEE10hipError_tPvRmT2_T3_mT4_T5_T6_T7_T8_P12ihipStream_tbENKUlT_T0_E_clISt17integral_constantIbLb1EES18_IbLb0EEEEDaS14_S15_EUlS14_E_NS1_11comp_targetILNS1_3genE2ELNS1_11target_archE906ELNS1_3gpuE6ELNS1_3repE0EEENS1_30default_config_static_selectorELNS0_4arch9wavefront6targetE0EEEvT1_
	.p2align	8
	.type	_ZN7rocprim17ROCPRIM_400000_NS6detail17trampoline_kernelINS0_14default_configENS1_29reduce_by_key_config_selectorIllN6thrust23THRUST_200600_302600_NS4plusIlEEEEZZNS1_33reduce_by_key_impl_wrapped_configILNS1_25lookback_scan_determinismE0ES3_S9_NS6_18transform_iteratorI6div_opNS6_17counting_iteratorIlNS6_11use_defaultESF_SF_EESF_SF_EENSC_I6mod_opSG_SF_SF_EENS6_6detail15normal_iteratorINS6_10device_ptrIlEEEESO_PmS8_NS6_8equal_toIlEEEE10hipError_tPvRmT2_T3_mT4_T5_T6_T7_T8_P12ihipStream_tbENKUlT_T0_E_clISt17integral_constantIbLb1EES18_IbLb0EEEEDaS14_S15_EUlS14_E_NS1_11comp_targetILNS1_3genE2ELNS1_11target_archE906ELNS1_3gpuE6ELNS1_3repE0EEENS1_30default_config_static_selectorELNS0_4arch9wavefront6targetE0EEEvT1_,@function
_ZN7rocprim17ROCPRIM_400000_NS6detail17trampoline_kernelINS0_14default_configENS1_29reduce_by_key_config_selectorIllN6thrust23THRUST_200600_302600_NS4plusIlEEEEZZNS1_33reduce_by_key_impl_wrapped_configILNS1_25lookback_scan_determinismE0ES3_S9_NS6_18transform_iteratorI6div_opNS6_17counting_iteratorIlNS6_11use_defaultESF_SF_EESF_SF_EENSC_I6mod_opSG_SF_SF_EENS6_6detail15normal_iteratorINS6_10device_ptrIlEEEESO_PmS8_NS6_8equal_toIlEEEE10hipError_tPvRmT2_T3_mT4_T5_T6_T7_T8_P12ihipStream_tbENKUlT_T0_E_clISt17integral_constantIbLb1EES18_IbLb0EEEEDaS14_S15_EUlS14_E_NS1_11comp_targetILNS1_3genE2ELNS1_11target_archE906ELNS1_3gpuE6ELNS1_3repE0EEENS1_30default_config_static_selectorELNS0_4arch9wavefront6targetE0EEEvT1_: ; @_ZN7rocprim17ROCPRIM_400000_NS6detail17trampoline_kernelINS0_14default_configENS1_29reduce_by_key_config_selectorIllN6thrust23THRUST_200600_302600_NS4plusIlEEEEZZNS1_33reduce_by_key_impl_wrapped_configILNS1_25lookback_scan_determinismE0ES3_S9_NS6_18transform_iteratorI6div_opNS6_17counting_iteratorIlNS6_11use_defaultESF_SF_EESF_SF_EENSC_I6mod_opSG_SF_SF_EENS6_6detail15normal_iteratorINS6_10device_ptrIlEEEESO_PmS8_NS6_8equal_toIlEEEE10hipError_tPvRmT2_T3_mT4_T5_T6_T7_T8_P12ihipStream_tbENKUlT_T0_E_clISt17integral_constantIbLb1EES18_IbLb0EEEEDaS14_S15_EUlS14_E_NS1_11comp_targetILNS1_3genE2ELNS1_11target_archE906ELNS1_3gpuE6ELNS1_3repE0EEENS1_30default_config_static_selectorELNS0_4arch9wavefront6targetE0EEEvT1_
; %bb.0:
	.section	.rodata,"a",@progbits
	.p2align	6, 0x0
	.amdhsa_kernel _ZN7rocprim17ROCPRIM_400000_NS6detail17trampoline_kernelINS0_14default_configENS1_29reduce_by_key_config_selectorIllN6thrust23THRUST_200600_302600_NS4plusIlEEEEZZNS1_33reduce_by_key_impl_wrapped_configILNS1_25lookback_scan_determinismE0ES3_S9_NS6_18transform_iteratorI6div_opNS6_17counting_iteratorIlNS6_11use_defaultESF_SF_EESF_SF_EENSC_I6mod_opSG_SF_SF_EENS6_6detail15normal_iteratorINS6_10device_ptrIlEEEESO_PmS8_NS6_8equal_toIlEEEE10hipError_tPvRmT2_T3_mT4_T5_T6_T7_T8_P12ihipStream_tbENKUlT_T0_E_clISt17integral_constantIbLb1EES18_IbLb0EEEEDaS14_S15_EUlS14_E_NS1_11comp_targetILNS1_3genE2ELNS1_11target_archE906ELNS1_3gpuE6ELNS1_3repE0EEENS1_30default_config_static_selectorELNS0_4arch9wavefront6targetE0EEEvT1_
		.amdhsa_group_segment_fixed_size 0
		.amdhsa_private_segment_fixed_size 0
		.amdhsa_kernarg_size 152
		.amdhsa_user_sgpr_count 15
		.amdhsa_user_sgpr_dispatch_ptr 0
		.amdhsa_user_sgpr_queue_ptr 0
		.amdhsa_user_sgpr_kernarg_segment_ptr 1
		.amdhsa_user_sgpr_dispatch_id 0
		.amdhsa_user_sgpr_private_segment_size 0
		.amdhsa_wavefront_size32 1
		.amdhsa_uses_dynamic_stack 0
		.amdhsa_enable_private_segment 0
		.amdhsa_system_sgpr_workgroup_id_x 1
		.amdhsa_system_sgpr_workgroup_id_y 0
		.amdhsa_system_sgpr_workgroup_id_z 0
		.amdhsa_system_sgpr_workgroup_info 0
		.amdhsa_system_vgpr_workitem_id 0
		.amdhsa_next_free_vgpr 1
		.amdhsa_next_free_sgpr 1
		.amdhsa_reserve_vcc 0
		.amdhsa_float_round_mode_32 0
		.amdhsa_float_round_mode_16_64 0
		.amdhsa_float_denorm_mode_32 3
		.amdhsa_float_denorm_mode_16_64 3
		.amdhsa_dx10_clamp 1
		.amdhsa_ieee_mode 1
		.amdhsa_fp16_overflow 0
		.amdhsa_workgroup_processor_mode 1
		.amdhsa_memory_ordered 1
		.amdhsa_forward_progress 0
		.amdhsa_shared_vgpr_count 0
		.amdhsa_exception_fp_ieee_invalid_op 0
		.amdhsa_exception_fp_denorm_src 0
		.amdhsa_exception_fp_ieee_div_zero 0
		.amdhsa_exception_fp_ieee_overflow 0
		.amdhsa_exception_fp_ieee_underflow 0
		.amdhsa_exception_fp_ieee_inexact 0
		.amdhsa_exception_int_div_zero 0
	.end_amdhsa_kernel
	.section	.text._ZN7rocprim17ROCPRIM_400000_NS6detail17trampoline_kernelINS0_14default_configENS1_29reduce_by_key_config_selectorIllN6thrust23THRUST_200600_302600_NS4plusIlEEEEZZNS1_33reduce_by_key_impl_wrapped_configILNS1_25lookback_scan_determinismE0ES3_S9_NS6_18transform_iteratorI6div_opNS6_17counting_iteratorIlNS6_11use_defaultESF_SF_EESF_SF_EENSC_I6mod_opSG_SF_SF_EENS6_6detail15normal_iteratorINS6_10device_ptrIlEEEESO_PmS8_NS6_8equal_toIlEEEE10hipError_tPvRmT2_T3_mT4_T5_T6_T7_T8_P12ihipStream_tbENKUlT_T0_E_clISt17integral_constantIbLb1EES18_IbLb0EEEEDaS14_S15_EUlS14_E_NS1_11comp_targetILNS1_3genE2ELNS1_11target_archE906ELNS1_3gpuE6ELNS1_3repE0EEENS1_30default_config_static_selectorELNS0_4arch9wavefront6targetE0EEEvT1_,"axG",@progbits,_ZN7rocprim17ROCPRIM_400000_NS6detail17trampoline_kernelINS0_14default_configENS1_29reduce_by_key_config_selectorIllN6thrust23THRUST_200600_302600_NS4plusIlEEEEZZNS1_33reduce_by_key_impl_wrapped_configILNS1_25lookback_scan_determinismE0ES3_S9_NS6_18transform_iteratorI6div_opNS6_17counting_iteratorIlNS6_11use_defaultESF_SF_EESF_SF_EENSC_I6mod_opSG_SF_SF_EENS6_6detail15normal_iteratorINS6_10device_ptrIlEEEESO_PmS8_NS6_8equal_toIlEEEE10hipError_tPvRmT2_T3_mT4_T5_T6_T7_T8_P12ihipStream_tbENKUlT_T0_E_clISt17integral_constantIbLb1EES18_IbLb0EEEEDaS14_S15_EUlS14_E_NS1_11comp_targetILNS1_3genE2ELNS1_11target_archE906ELNS1_3gpuE6ELNS1_3repE0EEENS1_30default_config_static_selectorELNS0_4arch9wavefront6targetE0EEEvT1_,comdat
.Lfunc_end1156:
	.size	_ZN7rocprim17ROCPRIM_400000_NS6detail17trampoline_kernelINS0_14default_configENS1_29reduce_by_key_config_selectorIllN6thrust23THRUST_200600_302600_NS4plusIlEEEEZZNS1_33reduce_by_key_impl_wrapped_configILNS1_25lookback_scan_determinismE0ES3_S9_NS6_18transform_iteratorI6div_opNS6_17counting_iteratorIlNS6_11use_defaultESF_SF_EESF_SF_EENSC_I6mod_opSG_SF_SF_EENS6_6detail15normal_iteratorINS6_10device_ptrIlEEEESO_PmS8_NS6_8equal_toIlEEEE10hipError_tPvRmT2_T3_mT4_T5_T6_T7_T8_P12ihipStream_tbENKUlT_T0_E_clISt17integral_constantIbLb1EES18_IbLb0EEEEDaS14_S15_EUlS14_E_NS1_11comp_targetILNS1_3genE2ELNS1_11target_archE906ELNS1_3gpuE6ELNS1_3repE0EEENS1_30default_config_static_selectorELNS0_4arch9wavefront6targetE0EEEvT1_, .Lfunc_end1156-_ZN7rocprim17ROCPRIM_400000_NS6detail17trampoline_kernelINS0_14default_configENS1_29reduce_by_key_config_selectorIllN6thrust23THRUST_200600_302600_NS4plusIlEEEEZZNS1_33reduce_by_key_impl_wrapped_configILNS1_25lookback_scan_determinismE0ES3_S9_NS6_18transform_iteratorI6div_opNS6_17counting_iteratorIlNS6_11use_defaultESF_SF_EESF_SF_EENSC_I6mod_opSG_SF_SF_EENS6_6detail15normal_iteratorINS6_10device_ptrIlEEEESO_PmS8_NS6_8equal_toIlEEEE10hipError_tPvRmT2_T3_mT4_T5_T6_T7_T8_P12ihipStream_tbENKUlT_T0_E_clISt17integral_constantIbLb1EES18_IbLb0EEEEDaS14_S15_EUlS14_E_NS1_11comp_targetILNS1_3genE2ELNS1_11target_archE906ELNS1_3gpuE6ELNS1_3repE0EEENS1_30default_config_static_selectorELNS0_4arch9wavefront6targetE0EEEvT1_
                                        ; -- End function
	.section	.AMDGPU.csdata,"",@progbits
; Kernel info:
; codeLenInByte = 0
; NumSgprs: 0
; NumVgprs: 0
; ScratchSize: 0
; MemoryBound: 0
; FloatMode: 240
; IeeeMode: 1
; LDSByteSize: 0 bytes/workgroup (compile time only)
; SGPRBlocks: 0
; VGPRBlocks: 0
; NumSGPRsForWavesPerEU: 1
; NumVGPRsForWavesPerEU: 1
; Occupancy: 16
; WaveLimiterHint : 0
; COMPUTE_PGM_RSRC2:SCRATCH_EN: 0
; COMPUTE_PGM_RSRC2:USER_SGPR: 15
; COMPUTE_PGM_RSRC2:TRAP_HANDLER: 0
; COMPUTE_PGM_RSRC2:TGID_X_EN: 1
; COMPUTE_PGM_RSRC2:TGID_Y_EN: 0
; COMPUTE_PGM_RSRC2:TGID_Z_EN: 0
; COMPUTE_PGM_RSRC2:TIDIG_COMP_CNT: 0
	.section	.text._ZN7rocprim17ROCPRIM_400000_NS6detail17trampoline_kernelINS0_14default_configENS1_29reduce_by_key_config_selectorIllN6thrust23THRUST_200600_302600_NS4plusIlEEEEZZNS1_33reduce_by_key_impl_wrapped_configILNS1_25lookback_scan_determinismE0ES3_S9_NS6_18transform_iteratorI6div_opNS6_17counting_iteratorIlNS6_11use_defaultESF_SF_EESF_SF_EENSC_I6mod_opSG_SF_SF_EENS6_6detail15normal_iteratorINS6_10device_ptrIlEEEESO_PmS8_NS6_8equal_toIlEEEE10hipError_tPvRmT2_T3_mT4_T5_T6_T7_T8_P12ihipStream_tbENKUlT_T0_E_clISt17integral_constantIbLb1EES18_IbLb0EEEEDaS14_S15_EUlS14_E_NS1_11comp_targetILNS1_3genE10ELNS1_11target_archE1201ELNS1_3gpuE5ELNS1_3repE0EEENS1_30default_config_static_selectorELNS0_4arch9wavefront6targetE0EEEvT1_,"axG",@progbits,_ZN7rocprim17ROCPRIM_400000_NS6detail17trampoline_kernelINS0_14default_configENS1_29reduce_by_key_config_selectorIllN6thrust23THRUST_200600_302600_NS4plusIlEEEEZZNS1_33reduce_by_key_impl_wrapped_configILNS1_25lookback_scan_determinismE0ES3_S9_NS6_18transform_iteratorI6div_opNS6_17counting_iteratorIlNS6_11use_defaultESF_SF_EESF_SF_EENSC_I6mod_opSG_SF_SF_EENS6_6detail15normal_iteratorINS6_10device_ptrIlEEEESO_PmS8_NS6_8equal_toIlEEEE10hipError_tPvRmT2_T3_mT4_T5_T6_T7_T8_P12ihipStream_tbENKUlT_T0_E_clISt17integral_constantIbLb1EES18_IbLb0EEEEDaS14_S15_EUlS14_E_NS1_11comp_targetILNS1_3genE10ELNS1_11target_archE1201ELNS1_3gpuE5ELNS1_3repE0EEENS1_30default_config_static_selectorELNS0_4arch9wavefront6targetE0EEEvT1_,comdat
	.protected	_ZN7rocprim17ROCPRIM_400000_NS6detail17trampoline_kernelINS0_14default_configENS1_29reduce_by_key_config_selectorIllN6thrust23THRUST_200600_302600_NS4plusIlEEEEZZNS1_33reduce_by_key_impl_wrapped_configILNS1_25lookback_scan_determinismE0ES3_S9_NS6_18transform_iteratorI6div_opNS6_17counting_iteratorIlNS6_11use_defaultESF_SF_EESF_SF_EENSC_I6mod_opSG_SF_SF_EENS6_6detail15normal_iteratorINS6_10device_ptrIlEEEESO_PmS8_NS6_8equal_toIlEEEE10hipError_tPvRmT2_T3_mT4_T5_T6_T7_T8_P12ihipStream_tbENKUlT_T0_E_clISt17integral_constantIbLb1EES18_IbLb0EEEEDaS14_S15_EUlS14_E_NS1_11comp_targetILNS1_3genE10ELNS1_11target_archE1201ELNS1_3gpuE5ELNS1_3repE0EEENS1_30default_config_static_selectorELNS0_4arch9wavefront6targetE0EEEvT1_ ; -- Begin function _ZN7rocprim17ROCPRIM_400000_NS6detail17trampoline_kernelINS0_14default_configENS1_29reduce_by_key_config_selectorIllN6thrust23THRUST_200600_302600_NS4plusIlEEEEZZNS1_33reduce_by_key_impl_wrapped_configILNS1_25lookback_scan_determinismE0ES3_S9_NS6_18transform_iteratorI6div_opNS6_17counting_iteratorIlNS6_11use_defaultESF_SF_EESF_SF_EENSC_I6mod_opSG_SF_SF_EENS6_6detail15normal_iteratorINS6_10device_ptrIlEEEESO_PmS8_NS6_8equal_toIlEEEE10hipError_tPvRmT2_T3_mT4_T5_T6_T7_T8_P12ihipStream_tbENKUlT_T0_E_clISt17integral_constantIbLb1EES18_IbLb0EEEEDaS14_S15_EUlS14_E_NS1_11comp_targetILNS1_3genE10ELNS1_11target_archE1201ELNS1_3gpuE5ELNS1_3repE0EEENS1_30default_config_static_selectorELNS0_4arch9wavefront6targetE0EEEvT1_
	.globl	_ZN7rocprim17ROCPRIM_400000_NS6detail17trampoline_kernelINS0_14default_configENS1_29reduce_by_key_config_selectorIllN6thrust23THRUST_200600_302600_NS4plusIlEEEEZZNS1_33reduce_by_key_impl_wrapped_configILNS1_25lookback_scan_determinismE0ES3_S9_NS6_18transform_iteratorI6div_opNS6_17counting_iteratorIlNS6_11use_defaultESF_SF_EESF_SF_EENSC_I6mod_opSG_SF_SF_EENS6_6detail15normal_iteratorINS6_10device_ptrIlEEEESO_PmS8_NS6_8equal_toIlEEEE10hipError_tPvRmT2_T3_mT4_T5_T6_T7_T8_P12ihipStream_tbENKUlT_T0_E_clISt17integral_constantIbLb1EES18_IbLb0EEEEDaS14_S15_EUlS14_E_NS1_11comp_targetILNS1_3genE10ELNS1_11target_archE1201ELNS1_3gpuE5ELNS1_3repE0EEENS1_30default_config_static_selectorELNS0_4arch9wavefront6targetE0EEEvT1_
	.p2align	8
	.type	_ZN7rocprim17ROCPRIM_400000_NS6detail17trampoline_kernelINS0_14default_configENS1_29reduce_by_key_config_selectorIllN6thrust23THRUST_200600_302600_NS4plusIlEEEEZZNS1_33reduce_by_key_impl_wrapped_configILNS1_25lookback_scan_determinismE0ES3_S9_NS6_18transform_iteratorI6div_opNS6_17counting_iteratorIlNS6_11use_defaultESF_SF_EESF_SF_EENSC_I6mod_opSG_SF_SF_EENS6_6detail15normal_iteratorINS6_10device_ptrIlEEEESO_PmS8_NS6_8equal_toIlEEEE10hipError_tPvRmT2_T3_mT4_T5_T6_T7_T8_P12ihipStream_tbENKUlT_T0_E_clISt17integral_constantIbLb1EES18_IbLb0EEEEDaS14_S15_EUlS14_E_NS1_11comp_targetILNS1_3genE10ELNS1_11target_archE1201ELNS1_3gpuE5ELNS1_3repE0EEENS1_30default_config_static_selectorELNS0_4arch9wavefront6targetE0EEEvT1_,@function
_ZN7rocprim17ROCPRIM_400000_NS6detail17trampoline_kernelINS0_14default_configENS1_29reduce_by_key_config_selectorIllN6thrust23THRUST_200600_302600_NS4plusIlEEEEZZNS1_33reduce_by_key_impl_wrapped_configILNS1_25lookback_scan_determinismE0ES3_S9_NS6_18transform_iteratorI6div_opNS6_17counting_iteratorIlNS6_11use_defaultESF_SF_EESF_SF_EENSC_I6mod_opSG_SF_SF_EENS6_6detail15normal_iteratorINS6_10device_ptrIlEEEESO_PmS8_NS6_8equal_toIlEEEE10hipError_tPvRmT2_T3_mT4_T5_T6_T7_T8_P12ihipStream_tbENKUlT_T0_E_clISt17integral_constantIbLb1EES18_IbLb0EEEEDaS14_S15_EUlS14_E_NS1_11comp_targetILNS1_3genE10ELNS1_11target_archE1201ELNS1_3gpuE5ELNS1_3repE0EEENS1_30default_config_static_selectorELNS0_4arch9wavefront6targetE0EEEvT1_: ; @_ZN7rocprim17ROCPRIM_400000_NS6detail17trampoline_kernelINS0_14default_configENS1_29reduce_by_key_config_selectorIllN6thrust23THRUST_200600_302600_NS4plusIlEEEEZZNS1_33reduce_by_key_impl_wrapped_configILNS1_25lookback_scan_determinismE0ES3_S9_NS6_18transform_iteratorI6div_opNS6_17counting_iteratorIlNS6_11use_defaultESF_SF_EESF_SF_EENSC_I6mod_opSG_SF_SF_EENS6_6detail15normal_iteratorINS6_10device_ptrIlEEEESO_PmS8_NS6_8equal_toIlEEEE10hipError_tPvRmT2_T3_mT4_T5_T6_T7_T8_P12ihipStream_tbENKUlT_T0_E_clISt17integral_constantIbLb1EES18_IbLb0EEEEDaS14_S15_EUlS14_E_NS1_11comp_targetILNS1_3genE10ELNS1_11target_archE1201ELNS1_3gpuE5ELNS1_3repE0EEENS1_30default_config_static_selectorELNS0_4arch9wavefront6targetE0EEEvT1_
; %bb.0:
	.section	.rodata,"a",@progbits
	.p2align	6, 0x0
	.amdhsa_kernel _ZN7rocprim17ROCPRIM_400000_NS6detail17trampoline_kernelINS0_14default_configENS1_29reduce_by_key_config_selectorIllN6thrust23THRUST_200600_302600_NS4plusIlEEEEZZNS1_33reduce_by_key_impl_wrapped_configILNS1_25lookback_scan_determinismE0ES3_S9_NS6_18transform_iteratorI6div_opNS6_17counting_iteratorIlNS6_11use_defaultESF_SF_EESF_SF_EENSC_I6mod_opSG_SF_SF_EENS6_6detail15normal_iteratorINS6_10device_ptrIlEEEESO_PmS8_NS6_8equal_toIlEEEE10hipError_tPvRmT2_T3_mT4_T5_T6_T7_T8_P12ihipStream_tbENKUlT_T0_E_clISt17integral_constantIbLb1EES18_IbLb0EEEEDaS14_S15_EUlS14_E_NS1_11comp_targetILNS1_3genE10ELNS1_11target_archE1201ELNS1_3gpuE5ELNS1_3repE0EEENS1_30default_config_static_selectorELNS0_4arch9wavefront6targetE0EEEvT1_
		.amdhsa_group_segment_fixed_size 0
		.amdhsa_private_segment_fixed_size 0
		.amdhsa_kernarg_size 152
		.amdhsa_user_sgpr_count 15
		.amdhsa_user_sgpr_dispatch_ptr 0
		.amdhsa_user_sgpr_queue_ptr 0
		.amdhsa_user_sgpr_kernarg_segment_ptr 1
		.amdhsa_user_sgpr_dispatch_id 0
		.amdhsa_user_sgpr_private_segment_size 0
		.amdhsa_wavefront_size32 1
		.amdhsa_uses_dynamic_stack 0
		.amdhsa_enable_private_segment 0
		.amdhsa_system_sgpr_workgroup_id_x 1
		.amdhsa_system_sgpr_workgroup_id_y 0
		.amdhsa_system_sgpr_workgroup_id_z 0
		.amdhsa_system_sgpr_workgroup_info 0
		.amdhsa_system_vgpr_workitem_id 0
		.amdhsa_next_free_vgpr 1
		.amdhsa_next_free_sgpr 1
		.amdhsa_reserve_vcc 0
		.amdhsa_float_round_mode_32 0
		.amdhsa_float_round_mode_16_64 0
		.amdhsa_float_denorm_mode_32 3
		.amdhsa_float_denorm_mode_16_64 3
		.amdhsa_dx10_clamp 1
		.amdhsa_ieee_mode 1
		.amdhsa_fp16_overflow 0
		.amdhsa_workgroup_processor_mode 1
		.amdhsa_memory_ordered 1
		.amdhsa_forward_progress 0
		.amdhsa_shared_vgpr_count 0
		.amdhsa_exception_fp_ieee_invalid_op 0
		.amdhsa_exception_fp_denorm_src 0
		.amdhsa_exception_fp_ieee_div_zero 0
		.amdhsa_exception_fp_ieee_overflow 0
		.amdhsa_exception_fp_ieee_underflow 0
		.amdhsa_exception_fp_ieee_inexact 0
		.amdhsa_exception_int_div_zero 0
	.end_amdhsa_kernel
	.section	.text._ZN7rocprim17ROCPRIM_400000_NS6detail17trampoline_kernelINS0_14default_configENS1_29reduce_by_key_config_selectorIllN6thrust23THRUST_200600_302600_NS4plusIlEEEEZZNS1_33reduce_by_key_impl_wrapped_configILNS1_25lookback_scan_determinismE0ES3_S9_NS6_18transform_iteratorI6div_opNS6_17counting_iteratorIlNS6_11use_defaultESF_SF_EESF_SF_EENSC_I6mod_opSG_SF_SF_EENS6_6detail15normal_iteratorINS6_10device_ptrIlEEEESO_PmS8_NS6_8equal_toIlEEEE10hipError_tPvRmT2_T3_mT4_T5_T6_T7_T8_P12ihipStream_tbENKUlT_T0_E_clISt17integral_constantIbLb1EES18_IbLb0EEEEDaS14_S15_EUlS14_E_NS1_11comp_targetILNS1_3genE10ELNS1_11target_archE1201ELNS1_3gpuE5ELNS1_3repE0EEENS1_30default_config_static_selectorELNS0_4arch9wavefront6targetE0EEEvT1_,"axG",@progbits,_ZN7rocprim17ROCPRIM_400000_NS6detail17trampoline_kernelINS0_14default_configENS1_29reduce_by_key_config_selectorIllN6thrust23THRUST_200600_302600_NS4plusIlEEEEZZNS1_33reduce_by_key_impl_wrapped_configILNS1_25lookback_scan_determinismE0ES3_S9_NS6_18transform_iteratorI6div_opNS6_17counting_iteratorIlNS6_11use_defaultESF_SF_EESF_SF_EENSC_I6mod_opSG_SF_SF_EENS6_6detail15normal_iteratorINS6_10device_ptrIlEEEESO_PmS8_NS6_8equal_toIlEEEE10hipError_tPvRmT2_T3_mT4_T5_T6_T7_T8_P12ihipStream_tbENKUlT_T0_E_clISt17integral_constantIbLb1EES18_IbLb0EEEEDaS14_S15_EUlS14_E_NS1_11comp_targetILNS1_3genE10ELNS1_11target_archE1201ELNS1_3gpuE5ELNS1_3repE0EEENS1_30default_config_static_selectorELNS0_4arch9wavefront6targetE0EEEvT1_,comdat
.Lfunc_end1157:
	.size	_ZN7rocprim17ROCPRIM_400000_NS6detail17trampoline_kernelINS0_14default_configENS1_29reduce_by_key_config_selectorIllN6thrust23THRUST_200600_302600_NS4plusIlEEEEZZNS1_33reduce_by_key_impl_wrapped_configILNS1_25lookback_scan_determinismE0ES3_S9_NS6_18transform_iteratorI6div_opNS6_17counting_iteratorIlNS6_11use_defaultESF_SF_EESF_SF_EENSC_I6mod_opSG_SF_SF_EENS6_6detail15normal_iteratorINS6_10device_ptrIlEEEESO_PmS8_NS6_8equal_toIlEEEE10hipError_tPvRmT2_T3_mT4_T5_T6_T7_T8_P12ihipStream_tbENKUlT_T0_E_clISt17integral_constantIbLb1EES18_IbLb0EEEEDaS14_S15_EUlS14_E_NS1_11comp_targetILNS1_3genE10ELNS1_11target_archE1201ELNS1_3gpuE5ELNS1_3repE0EEENS1_30default_config_static_selectorELNS0_4arch9wavefront6targetE0EEEvT1_, .Lfunc_end1157-_ZN7rocprim17ROCPRIM_400000_NS6detail17trampoline_kernelINS0_14default_configENS1_29reduce_by_key_config_selectorIllN6thrust23THRUST_200600_302600_NS4plusIlEEEEZZNS1_33reduce_by_key_impl_wrapped_configILNS1_25lookback_scan_determinismE0ES3_S9_NS6_18transform_iteratorI6div_opNS6_17counting_iteratorIlNS6_11use_defaultESF_SF_EESF_SF_EENSC_I6mod_opSG_SF_SF_EENS6_6detail15normal_iteratorINS6_10device_ptrIlEEEESO_PmS8_NS6_8equal_toIlEEEE10hipError_tPvRmT2_T3_mT4_T5_T6_T7_T8_P12ihipStream_tbENKUlT_T0_E_clISt17integral_constantIbLb1EES18_IbLb0EEEEDaS14_S15_EUlS14_E_NS1_11comp_targetILNS1_3genE10ELNS1_11target_archE1201ELNS1_3gpuE5ELNS1_3repE0EEENS1_30default_config_static_selectorELNS0_4arch9wavefront6targetE0EEEvT1_
                                        ; -- End function
	.section	.AMDGPU.csdata,"",@progbits
; Kernel info:
; codeLenInByte = 0
; NumSgprs: 0
; NumVgprs: 0
; ScratchSize: 0
; MemoryBound: 0
; FloatMode: 240
; IeeeMode: 1
; LDSByteSize: 0 bytes/workgroup (compile time only)
; SGPRBlocks: 0
; VGPRBlocks: 0
; NumSGPRsForWavesPerEU: 1
; NumVGPRsForWavesPerEU: 1
; Occupancy: 16
; WaveLimiterHint : 0
; COMPUTE_PGM_RSRC2:SCRATCH_EN: 0
; COMPUTE_PGM_RSRC2:USER_SGPR: 15
; COMPUTE_PGM_RSRC2:TRAP_HANDLER: 0
; COMPUTE_PGM_RSRC2:TGID_X_EN: 1
; COMPUTE_PGM_RSRC2:TGID_Y_EN: 0
; COMPUTE_PGM_RSRC2:TGID_Z_EN: 0
; COMPUTE_PGM_RSRC2:TIDIG_COMP_CNT: 0
	.section	.text._ZN7rocprim17ROCPRIM_400000_NS6detail17trampoline_kernelINS0_14default_configENS1_29reduce_by_key_config_selectorIllN6thrust23THRUST_200600_302600_NS4plusIlEEEEZZNS1_33reduce_by_key_impl_wrapped_configILNS1_25lookback_scan_determinismE0ES3_S9_NS6_18transform_iteratorI6div_opNS6_17counting_iteratorIlNS6_11use_defaultESF_SF_EESF_SF_EENSC_I6mod_opSG_SF_SF_EENS6_6detail15normal_iteratorINS6_10device_ptrIlEEEESO_PmS8_NS6_8equal_toIlEEEE10hipError_tPvRmT2_T3_mT4_T5_T6_T7_T8_P12ihipStream_tbENKUlT_T0_E_clISt17integral_constantIbLb1EES18_IbLb0EEEEDaS14_S15_EUlS14_E_NS1_11comp_targetILNS1_3genE10ELNS1_11target_archE1200ELNS1_3gpuE4ELNS1_3repE0EEENS1_30default_config_static_selectorELNS0_4arch9wavefront6targetE0EEEvT1_,"axG",@progbits,_ZN7rocprim17ROCPRIM_400000_NS6detail17trampoline_kernelINS0_14default_configENS1_29reduce_by_key_config_selectorIllN6thrust23THRUST_200600_302600_NS4plusIlEEEEZZNS1_33reduce_by_key_impl_wrapped_configILNS1_25lookback_scan_determinismE0ES3_S9_NS6_18transform_iteratorI6div_opNS6_17counting_iteratorIlNS6_11use_defaultESF_SF_EESF_SF_EENSC_I6mod_opSG_SF_SF_EENS6_6detail15normal_iteratorINS6_10device_ptrIlEEEESO_PmS8_NS6_8equal_toIlEEEE10hipError_tPvRmT2_T3_mT4_T5_T6_T7_T8_P12ihipStream_tbENKUlT_T0_E_clISt17integral_constantIbLb1EES18_IbLb0EEEEDaS14_S15_EUlS14_E_NS1_11comp_targetILNS1_3genE10ELNS1_11target_archE1200ELNS1_3gpuE4ELNS1_3repE0EEENS1_30default_config_static_selectorELNS0_4arch9wavefront6targetE0EEEvT1_,comdat
	.protected	_ZN7rocprim17ROCPRIM_400000_NS6detail17trampoline_kernelINS0_14default_configENS1_29reduce_by_key_config_selectorIllN6thrust23THRUST_200600_302600_NS4plusIlEEEEZZNS1_33reduce_by_key_impl_wrapped_configILNS1_25lookback_scan_determinismE0ES3_S9_NS6_18transform_iteratorI6div_opNS6_17counting_iteratorIlNS6_11use_defaultESF_SF_EESF_SF_EENSC_I6mod_opSG_SF_SF_EENS6_6detail15normal_iteratorINS6_10device_ptrIlEEEESO_PmS8_NS6_8equal_toIlEEEE10hipError_tPvRmT2_T3_mT4_T5_T6_T7_T8_P12ihipStream_tbENKUlT_T0_E_clISt17integral_constantIbLb1EES18_IbLb0EEEEDaS14_S15_EUlS14_E_NS1_11comp_targetILNS1_3genE10ELNS1_11target_archE1200ELNS1_3gpuE4ELNS1_3repE0EEENS1_30default_config_static_selectorELNS0_4arch9wavefront6targetE0EEEvT1_ ; -- Begin function _ZN7rocprim17ROCPRIM_400000_NS6detail17trampoline_kernelINS0_14default_configENS1_29reduce_by_key_config_selectorIllN6thrust23THRUST_200600_302600_NS4plusIlEEEEZZNS1_33reduce_by_key_impl_wrapped_configILNS1_25lookback_scan_determinismE0ES3_S9_NS6_18transform_iteratorI6div_opNS6_17counting_iteratorIlNS6_11use_defaultESF_SF_EESF_SF_EENSC_I6mod_opSG_SF_SF_EENS6_6detail15normal_iteratorINS6_10device_ptrIlEEEESO_PmS8_NS6_8equal_toIlEEEE10hipError_tPvRmT2_T3_mT4_T5_T6_T7_T8_P12ihipStream_tbENKUlT_T0_E_clISt17integral_constantIbLb1EES18_IbLb0EEEEDaS14_S15_EUlS14_E_NS1_11comp_targetILNS1_3genE10ELNS1_11target_archE1200ELNS1_3gpuE4ELNS1_3repE0EEENS1_30default_config_static_selectorELNS0_4arch9wavefront6targetE0EEEvT1_
	.globl	_ZN7rocprim17ROCPRIM_400000_NS6detail17trampoline_kernelINS0_14default_configENS1_29reduce_by_key_config_selectorIllN6thrust23THRUST_200600_302600_NS4plusIlEEEEZZNS1_33reduce_by_key_impl_wrapped_configILNS1_25lookback_scan_determinismE0ES3_S9_NS6_18transform_iteratorI6div_opNS6_17counting_iteratorIlNS6_11use_defaultESF_SF_EESF_SF_EENSC_I6mod_opSG_SF_SF_EENS6_6detail15normal_iteratorINS6_10device_ptrIlEEEESO_PmS8_NS6_8equal_toIlEEEE10hipError_tPvRmT2_T3_mT4_T5_T6_T7_T8_P12ihipStream_tbENKUlT_T0_E_clISt17integral_constantIbLb1EES18_IbLb0EEEEDaS14_S15_EUlS14_E_NS1_11comp_targetILNS1_3genE10ELNS1_11target_archE1200ELNS1_3gpuE4ELNS1_3repE0EEENS1_30default_config_static_selectorELNS0_4arch9wavefront6targetE0EEEvT1_
	.p2align	8
	.type	_ZN7rocprim17ROCPRIM_400000_NS6detail17trampoline_kernelINS0_14default_configENS1_29reduce_by_key_config_selectorIllN6thrust23THRUST_200600_302600_NS4plusIlEEEEZZNS1_33reduce_by_key_impl_wrapped_configILNS1_25lookback_scan_determinismE0ES3_S9_NS6_18transform_iteratorI6div_opNS6_17counting_iteratorIlNS6_11use_defaultESF_SF_EESF_SF_EENSC_I6mod_opSG_SF_SF_EENS6_6detail15normal_iteratorINS6_10device_ptrIlEEEESO_PmS8_NS6_8equal_toIlEEEE10hipError_tPvRmT2_T3_mT4_T5_T6_T7_T8_P12ihipStream_tbENKUlT_T0_E_clISt17integral_constantIbLb1EES18_IbLb0EEEEDaS14_S15_EUlS14_E_NS1_11comp_targetILNS1_3genE10ELNS1_11target_archE1200ELNS1_3gpuE4ELNS1_3repE0EEENS1_30default_config_static_selectorELNS0_4arch9wavefront6targetE0EEEvT1_,@function
_ZN7rocprim17ROCPRIM_400000_NS6detail17trampoline_kernelINS0_14default_configENS1_29reduce_by_key_config_selectorIllN6thrust23THRUST_200600_302600_NS4plusIlEEEEZZNS1_33reduce_by_key_impl_wrapped_configILNS1_25lookback_scan_determinismE0ES3_S9_NS6_18transform_iteratorI6div_opNS6_17counting_iteratorIlNS6_11use_defaultESF_SF_EESF_SF_EENSC_I6mod_opSG_SF_SF_EENS6_6detail15normal_iteratorINS6_10device_ptrIlEEEESO_PmS8_NS6_8equal_toIlEEEE10hipError_tPvRmT2_T3_mT4_T5_T6_T7_T8_P12ihipStream_tbENKUlT_T0_E_clISt17integral_constantIbLb1EES18_IbLb0EEEEDaS14_S15_EUlS14_E_NS1_11comp_targetILNS1_3genE10ELNS1_11target_archE1200ELNS1_3gpuE4ELNS1_3repE0EEENS1_30default_config_static_selectorELNS0_4arch9wavefront6targetE0EEEvT1_: ; @_ZN7rocprim17ROCPRIM_400000_NS6detail17trampoline_kernelINS0_14default_configENS1_29reduce_by_key_config_selectorIllN6thrust23THRUST_200600_302600_NS4plusIlEEEEZZNS1_33reduce_by_key_impl_wrapped_configILNS1_25lookback_scan_determinismE0ES3_S9_NS6_18transform_iteratorI6div_opNS6_17counting_iteratorIlNS6_11use_defaultESF_SF_EESF_SF_EENSC_I6mod_opSG_SF_SF_EENS6_6detail15normal_iteratorINS6_10device_ptrIlEEEESO_PmS8_NS6_8equal_toIlEEEE10hipError_tPvRmT2_T3_mT4_T5_T6_T7_T8_P12ihipStream_tbENKUlT_T0_E_clISt17integral_constantIbLb1EES18_IbLb0EEEEDaS14_S15_EUlS14_E_NS1_11comp_targetILNS1_3genE10ELNS1_11target_archE1200ELNS1_3gpuE4ELNS1_3repE0EEENS1_30default_config_static_selectorELNS0_4arch9wavefront6targetE0EEEvT1_
; %bb.0:
	.section	.rodata,"a",@progbits
	.p2align	6, 0x0
	.amdhsa_kernel _ZN7rocprim17ROCPRIM_400000_NS6detail17trampoline_kernelINS0_14default_configENS1_29reduce_by_key_config_selectorIllN6thrust23THRUST_200600_302600_NS4plusIlEEEEZZNS1_33reduce_by_key_impl_wrapped_configILNS1_25lookback_scan_determinismE0ES3_S9_NS6_18transform_iteratorI6div_opNS6_17counting_iteratorIlNS6_11use_defaultESF_SF_EESF_SF_EENSC_I6mod_opSG_SF_SF_EENS6_6detail15normal_iteratorINS6_10device_ptrIlEEEESO_PmS8_NS6_8equal_toIlEEEE10hipError_tPvRmT2_T3_mT4_T5_T6_T7_T8_P12ihipStream_tbENKUlT_T0_E_clISt17integral_constantIbLb1EES18_IbLb0EEEEDaS14_S15_EUlS14_E_NS1_11comp_targetILNS1_3genE10ELNS1_11target_archE1200ELNS1_3gpuE4ELNS1_3repE0EEENS1_30default_config_static_selectorELNS0_4arch9wavefront6targetE0EEEvT1_
		.amdhsa_group_segment_fixed_size 0
		.amdhsa_private_segment_fixed_size 0
		.amdhsa_kernarg_size 152
		.amdhsa_user_sgpr_count 15
		.amdhsa_user_sgpr_dispatch_ptr 0
		.amdhsa_user_sgpr_queue_ptr 0
		.amdhsa_user_sgpr_kernarg_segment_ptr 1
		.amdhsa_user_sgpr_dispatch_id 0
		.amdhsa_user_sgpr_private_segment_size 0
		.amdhsa_wavefront_size32 1
		.amdhsa_uses_dynamic_stack 0
		.amdhsa_enable_private_segment 0
		.amdhsa_system_sgpr_workgroup_id_x 1
		.amdhsa_system_sgpr_workgroup_id_y 0
		.amdhsa_system_sgpr_workgroup_id_z 0
		.amdhsa_system_sgpr_workgroup_info 0
		.amdhsa_system_vgpr_workitem_id 0
		.amdhsa_next_free_vgpr 1
		.amdhsa_next_free_sgpr 1
		.amdhsa_reserve_vcc 0
		.amdhsa_float_round_mode_32 0
		.amdhsa_float_round_mode_16_64 0
		.amdhsa_float_denorm_mode_32 3
		.amdhsa_float_denorm_mode_16_64 3
		.amdhsa_dx10_clamp 1
		.amdhsa_ieee_mode 1
		.amdhsa_fp16_overflow 0
		.amdhsa_workgroup_processor_mode 1
		.amdhsa_memory_ordered 1
		.amdhsa_forward_progress 0
		.amdhsa_shared_vgpr_count 0
		.amdhsa_exception_fp_ieee_invalid_op 0
		.amdhsa_exception_fp_denorm_src 0
		.amdhsa_exception_fp_ieee_div_zero 0
		.amdhsa_exception_fp_ieee_overflow 0
		.amdhsa_exception_fp_ieee_underflow 0
		.amdhsa_exception_fp_ieee_inexact 0
		.amdhsa_exception_int_div_zero 0
	.end_amdhsa_kernel
	.section	.text._ZN7rocprim17ROCPRIM_400000_NS6detail17trampoline_kernelINS0_14default_configENS1_29reduce_by_key_config_selectorIllN6thrust23THRUST_200600_302600_NS4plusIlEEEEZZNS1_33reduce_by_key_impl_wrapped_configILNS1_25lookback_scan_determinismE0ES3_S9_NS6_18transform_iteratorI6div_opNS6_17counting_iteratorIlNS6_11use_defaultESF_SF_EESF_SF_EENSC_I6mod_opSG_SF_SF_EENS6_6detail15normal_iteratorINS6_10device_ptrIlEEEESO_PmS8_NS6_8equal_toIlEEEE10hipError_tPvRmT2_T3_mT4_T5_T6_T7_T8_P12ihipStream_tbENKUlT_T0_E_clISt17integral_constantIbLb1EES18_IbLb0EEEEDaS14_S15_EUlS14_E_NS1_11comp_targetILNS1_3genE10ELNS1_11target_archE1200ELNS1_3gpuE4ELNS1_3repE0EEENS1_30default_config_static_selectorELNS0_4arch9wavefront6targetE0EEEvT1_,"axG",@progbits,_ZN7rocprim17ROCPRIM_400000_NS6detail17trampoline_kernelINS0_14default_configENS1_29reduce_by_key_config_selectorIllN6thrust23THRUST_200600_302600_NS4plusIlEEEEZZNS1_33reduce_by_key_impl_wrapped_configILNS1_25lookback_scan_determinismE0ES3_S9_NS6_18transform_iteratorI6div_opNS6_17counting_iteratorIlNS6_11use_defaultESF_SF_EESF_SF_EENSC_I6mod_opSG_SF_SF_EENS6_6detail15normal_iteratorINS6_10device_ptrIlEEEESO_PmS8_NS6_8equal_toIlEEEE10hipError_tPvRmT2_T3_mT4_T5_T6_T7_T8_P12ihipStream_tbENKUlT_T0_E_clISt17integral_constantIbLb1EES18_IbLb0EEEEDaS14_S15_EUlS14_E_NS1_11comp_targetILNS1_3genE10ELNS1_11target_archE1200ELNS1_3gpuE4ELNS1_3repE0EEENS1_30default_config_static_selectorELNS0_4arch9wavefront6targetE0EEEvT1_,comdat
.Lfunc_end1158:
	.size	_ZN7rocprim17ROCPRIM_400000_NS6detail17trampoline_kernelINS0_14default_configENS1_29reduce_by_key_config_selectorIllN6thrust23THRUST_200600_302600_NS4plusIlEEEEZZNS1_33reduce_by_key_impl_wrapped_configILNS1_25lookback_scan_determinismE0ES3_S9_NS6_18transform_iteratorI6div_opNS6_17counting_iteratorIlNS6_11use_defaultESF_SF_EESF_SF_EENSC_I6mod_opSG_SF_SF_EENS6_6detail15normal_iteratorINS6_10device_ptrIlEEEESO_PmS8_NS6_8equal_toIlEEEE10hipError_tPvRmT2_T3_mT4_T5_T6_T7_T8_P12ihipStream_tbENKUlT_T0_E_clISt17integral_constantIbLb1EES18_IbLb0EEEEDaS14_S15_EUlS14_E_NS1_11comp_targetILNS1_3genE10ELNS1_11target_archE1200ELNS1_3gpuE4ELNS1_3repE0EEENS1_30default_config_static_selectorELNS0_4arch9wavefront6targetE0EEEvT1_, .Lfunc_end1158-_ZN7rocprim17ROCPRIM_400000_NS6detail17trampoline_kernelINS0_14default_configENS1_29reduce_by_key_config_selectorIllN6thrust23THRUST_200600_302600_NS4plusIlEEEEZZNS1_33reduce_by_key_impl_wrapped_configILNS1_25lookback_scan_determinismE0ES3_S9_NS6_18transform_iteratorI6div_opNS6_17counting_iteratorIlNS6_11use_defaultESF_SF_EESF_SF_EENSC_I6mod_opSG_SF_SF_EENS6_6detail15normal_iteratorINS6_10device_ptrIlEEEESO_PmS8_NS6_8equal_toIlEEEE10hipError_tPvRmT2_T3_mT4_T5_T6_T7_T8_P12ihipStream_tbENKUlT_T0_E_clISt17integral_constantIbLb1EES18_IbLb0EEEEDaS14_S15_EUlS14_E_NS1_11comp_targetILNS1_3genE10ELNS1_11target_archE1200ELNS1_3gpuE4ELNS1_3repE0EEENS1_30default_config_static_selectorELNS0_4arch9wavefront6targetE0EEEvT1_
                                        ; -- End function
	.section	.AMDGPU.csdata,"",@progbits
; Kernel info:
; codeLenInByte = 0
; NumSgprs: 0
; NumVgprs: 0
; ScratchSize: 0
; MemoryBound: 0
; FloatMode: 240
; IeeeMode: 1
; LDSByteSize: 0 bytes/workgroup (compile time only)
; SGPRBlocks: 0
; VGPRBlocks: 0
; NumSGPRsForWavesPerEU: 1
; NumVGPRsForWavesPerEU: 1
; Occupancy: 16
; WaveLimiterHint : 0
; COMPUTE_PGM_RSRC2:SCRATCH_EN: 0
; COMPUTE_PGM_RSRC2:USER_SGPR: 15
; COMPUTE_PGM_RSRC2:TRAP_HANDLER: 0
; COMPUTE_PGM_RSRC2:TGID_X_EN: 1
; COMPUTE_PGM_RSRC2:TGID_Y_EN: 0
; COMPUTE_PGM_RSRC2:TGID_Z_EN: 0
; COMPUTE_PGM_RSRC2:TIDIG_COMP_CNT: 0
	.section	.text._ZN7rocprim17ROCPRIM_400000_NS6detail17trampoline_kernelINS0_14default_configENS1_29reduce_by_key_config_selectorIllN6thrust23THRUST_200600_302600_NS4plusIlEEEEZZNS1_33reduce_by_key_impl_wrapped_configILNS1_25lookback_scan_determinismE0ES3_S9_NS6_18transform_iteratorI6div_opNS6_17counting_iteratorIlNS6_11use_defaultESF_SF_EESF_SF_EENSC_I6mod_opSG_SF_SF_EENS6_6detail15normal_iteratorINS6_10device_ptrIlEEEESO_PmS8_NS6_8equal_toIlEEEE10hipError_tPvRmT2_T3_mT4_T5_T6_T7_T8_P12ihipStream_tbENKUlT_T0_E_clISt17integral_constantIbLb1EES18_IbLb0EEEEDaS14_S15_EUlS14_E_NS1_11comp_targetILNS1_3genE9ELNS1_11target_archE1100ELNS1_3gpuE3ELNS1_3repE0EEENS1_30default_config_static_selectorELNS0_4arch9wavefront6targetE0EEEvT1_,"axG",@progbits,_ZN7rocprim17ROCPRIM_400000_NS6detail17trampoline_kernelINS0_14default_configENS1_29reduce_by_key_config_selectorIllN6thrust23THRUST_200600_302600_NS4plusIlEEEEZZNS1_33reduce_by_key_impl_wrapped_configILNS1_25lookback_scan_determinismE0ES3_S9_NS6_18transform_iteratorI6div_opNS6_17counting_iteratorIlNS6_11use_defaultESF_SF_EESF_SF_EENSC_I6mod_opSG_SF_SF_EENS6_6detail15normal_iteratorINS6_10device_ptrIlEEEESO_PmS8_NS6_8equal_toIlEEEE10hipError_tPvRmT2_T3_mT4_T5_T6_T7_T8_P12ihipStream_tbENKUlT_T0_E_clISt17integral_constantIbLb1EES18_IbLb0EEEEDaS14_S15_EUlS14_E_NS1_11comp_targetILNS1_3genE9ELNS1_11target_archE1100ELNS1_3gpuE3ELNS1_3repE0EEENS1_30default_config_static_selectorELNS0_4arch9wavefront6targetE0EEEvT1_,comdat
	.protected	_ZN7rocprim17ROCPRIM_400000_NS6detail17trampoline_kernelINS0_14default_configENS1_29reduce_by_key_config_selectorIllN6thrust23THRUST_200600_302600_NS4plusIlEEEEZZNS1_33reduce_by_key_impl_wrapped_configILNS1_25lookback_scan_determinismE0ES3_S9_NS6_18transform_iteratorI6div_opNS6_17counting_iteratorIlNS6_11use_defaultESF_SF_EESF_SF_EENSC_I6mod_opSG_SF_SF_EENS6_6detail15normal_iteratorINS6_10device_ptrIlEEEESO_PmS8_NS6_8equal_toIlEEEE10hipError_tPvRmT2_T3_mT4_T5_T6_T7_T8_P12ihipStream_tbENKUlT_T0_E_clISt17integral_constantIbLb1EES18_IbLb0EEEEDaS14_S15_EUlS14_E_NS1_11comp_targetILNS1_3genE9ELNS1_11target_archE1100ELNS1_3gpuE3ELNS1_3repE0EEENS1_30default_config_static_selectorELNS0_4arch9wavefront6targetE0EEEvT1_ ; -- Begin function _ZN7rocprim17ROCPRIM_400000_NS6detail17trampoline_kernelINS0_14default_configENS1_29reduce_by_key_config_selectorIllN6thrust23THRUST_200600_302600_NS4plusIlEEEEZZNS1_33reduce_by_key_impl_wrapped_configILNS1_25lookback_scan_determinismE0ES3_S9_NS6_18transform_iteratorI6div_opNS6_17counting_iteratorIlNS6_11use_defaultESF_SF_EESF_SF_EENSC_I6mod_opSG_SF_SF_EENS6_6detail15normal_iteratorINS6_10device_ptrIlEEEESO_PmS8_NS6_8equal_toIlEEEE10hipError_tPvRmT2_T3_mT4_T5_T6_T7_T8_P12ihipStream_tbENKUlT_T0_E_clISt17integral_constantIbLb1EES18_IbLb0EEEEDaS14_S15_EUlS14_E_NS1_11comp_targetILNS1_3genE9ELNS1_11target_archE1100ELNS1_3gpuE3ELNS1_3repE0EEENS1_30default_config_static_selectorELNS0_4arch9wavefront6targetE0EEEvT1_
	.globl	_ZN7rocprim17ROCPRIM_400000_NS6detail17trampoline_kernelINS0_14default_configENS1_29reduce_by_key_config_selectorIllN6thrust23THRUST_200600_302600_NS4plusIlEEEEZZNS1_33reduce_by_key_impl_wrapped_configILNS1_25lookback_scan_determinismE0ES3_S9_NS6_18transform_iteratorI6div_opNS6_17counting_iteratorIlNS6_11use_defaultESF_SF_EESF_SF_EENSC_I6mod_opSG_SF_SF_EENS6_6detail15normal_iteratorINS6_10device_ptrIlEEEESO_PmS8_NS6_8equal_toIlEEEE10hipError_tPvRmT2_T3_mT4_T5_T6_T7_T8_P12ihipStream_tbENKUlT_T0_E_clISt17integral_constantIbLb1EES18_IbLb0EEEEDaS14_S15_EUlS14_E_NS1_11comp_targetILNS1_3genE9ELNS1_11target_archE1100ELNS1_3gpuE3ELNS1_3repE0EEENS1_30default_config_static_selectorELNS0_4arch9wavefront6targetE0EEEvT1_
	.p2align	8
	.type	_ZN7rocprim17ROCPRIM_400000_NS6detail17trampoline_kernelINS0_14default_configENS1_29reduce_by_key_config_selectorIllN6thrust23THRUST_200600_302600_NS4plusIlEEEEZZNS1_33reduce_by_key_impl_wrapped_configILNS1_25lookback_scan_determinismE0ES3_S9_NS6_18transform_iteratorI6div_opNS6_17counting_iteratorIlNS6_11use_defaultESF_SF_EESF_SF_EENSC_I6mod_opSG_SF_SF_EENS6_6detail15normal_iteratorINS6_10device_ptrIlEEEESO_PmS8_NS6_8equal_toIlEEEE10hipError_tPvRmT2_T3_mT4_T5_T6_T7_T8_P12ihipStream_tbENKUlT_T0_E_clISt17integral_constantIbLb1EES18_IbLb0EEEEDaS14_S15_EUlS14_E_NS1_11comp_targetILNS1_3genE9ELNS1_11target_archE1100ELNS1_3gpuE3ELNS1_3repE0EEENS1_30default_config_static_selectorELNS0_4arch9wavefront6targetE0EEEvT1_,@function
_ZN7rocprim17ROCPRIM_400000_NS6detail17trampoline_kernelINS0_14default_configENS1_29reduce_by_key_config_selectorIllN6thrust23THRUST_200600_302600_NS4plusIlEEEEZZNS1_33reduce_by_key_impl_wrapped_configILNS1_25lookback_scan_determinismE0ES3_S9_NS6_18transform_iteratorI6div_opNS6_17counting_iteratorIlNS6_11use_defaultESF_SF_EESF_SF_EENSC_I6mod_opSG_SF_SF_EENS6_6detail15normal_iteratorINS6_10device_ptrIlEEEESO_PmS8_NS6_8equal_toIlEEEE10hipError_tPvRmT2_T3_mT4_T5_T6_T7_T8_P12ihipStream_tbENKUlT_T0_E_clISt17integral_constantIbLb1EES18_IbLb0EEEEDaS14_S15_EUlS14_E_NS1_11comp_targetILNS1_3genE9ELNS1_11target_archE1100ELNS1_3gpuE3ELNS1_3repE0EEENS1_30default_config_static_selectorELNS0_4arch9wavefront6targetE0EEEvT1_: ; @_ZN7rocprim17ROCPRIM_400000_NS6detail17trampoline_kernelINS0_14default_configENS1_29reduce_by_key_config_selectorIllN6thrust23THRUST_200600_302600_NS4plusIlEEEEZZNS1_33reduce_by_key_impl_wrapped_configILNS1_25lookback_scan_determinismE0ES3_S9_NS6_18transform_iteratorI6div_opNS6_17counting_iteratorIlNS6_11use_defaultESF_SF_EESF_SF_EENSC_I6mod_opSG_SF_SF_EENS6_6detail15normal_iteratorINS6_10device_ptrIlEEEESO_PmS8_NS6_8equal_toIlEEEE10hipError_tPvRmT2_T3_mT4_T5_T6_T7_T8_P12ihipStream_tbENKUlT_T0_E_clISt17integral_constantIbLb1EES18_IbLb0EEEEDaS14_S15_EUlS14_E_NS1_11comp_targetILNS1_3genE9ELNS1_11target_archE1100ELNS1_3gpuE3ELNS1_3repE0EEENS1_30default_config_static_selectorELNS0_4arch9wavefront6targetE0EEEvT1_
; %bb.0:
	s_clause 0x1
	s_load_b512 s[52:67], s[0:1], 0x48
	s_load_b512 s[36:51], s[0:1], 0x0
	s_mul_i32 s2, s15, 0xf00
	s_waitcnt lgkmcnt(0)
	s_mul_i32 s3, s60, s59
	s_mul_hi_u32 s4, s60, s58
	s_mul_i32 s5, s61, s58
	s_add_i32 s3, s4, s3
	s_mul_i32 s4, s60, s58
	s_add_i32 s3, s3, s5
	s_add_u32 s2, s40, s2
	s_addc_u32 s5, s41, 0
	s_add_u32 s24, s2, s36
	s_addc_u32 s25, s5, s37
	;; [unrolled: 2-line block ×4, first 2 shown]
	s_add_u32 s2, s62, -1
	s_addc_u32 s3, s63, -1
	s_mul_i32 s33, s2, 0xfffff100
	s_cmp_eq_u64 s[18:19], s[2:3]
	s_cselect_b32 s27, -1, 0
	s_cmp_lg_u64 s[18:19], s[2:3]
	s_cselect_b32 s26, -1, 0
	s_and_b32 vcc_lo, exec_lo, s27
	s_cbranch_vccnz .LBB1159_122
; %bb.1:
	v_add_co_u32 v29, s2, s24, v0
	s_delay_alu instid0(VALU_DEP_1) | instskip(SKIP_1) | instid1(VALU_DEP_2)
	v_add_co_ci_u32_e64 v30, null, s25, 0, s2
	v_mov_b32_e32 v1, 0
	v_or_b32_e32 v2, s39, v30
	s_delay_alu instid0(VALU_DEP_1) | instskip(SKIP_1) | instid1(SALU_CYCLE_1)
	v_cmp_ne_u64_e32 vcc_lo, 0, v[1:2]
                                        ; implicit-def: $vgpr1_vgpr2
	s_and_saveexec_b32 s2, vcc_lo
	s_xor_b32 s3, exec_lo, s2
	s_cbranch_execz .LBB1159_3
; %bb.2:
	s_ashr_i32 s4, s39, 31
	s_delay_alu instid0(SALU_CYCLE_1) | instskip(SKIP_2) | instid1(SALU_CYCLE_1)
	s_add_u32 s6, s38, s4
	s_mov_b32 s5, s4
	s_addc_u32 s7, s39, s4
	s_xor_b64 s[6:7], s[6:7], s[4:5]
	s_delay_alu instid0(SALU_CYCLE_1) | instskip(SKIP_3) | instid1(VALU_DEP_1)
	v_cvt_f32_u32_e32 v1, s6
	v_cvt_f32_u32_e32 v2, s7
	s_sub_u32 s2, 0, s6
	s_subb_u32 s5, 0, s7
	v_fmamk_f32 v1, v2, 0x4f800000, v1
	s_delay_alu instid0(VALU_DEP_1) | instskip(SKIP_2) | instid1(VALU_DEP_1)
	v_rcp_f32_e32 v1, v1
	s_waitcnt_depctr 0xfff
	v_mul_f32_e32 v1, 0x5f7ffffc, v1
	v_mul_f32_e32 v2, 0x2f800000, v1
	s_delay_alu instid0(VALU_DEP_1) | instskip(NEXT) | instid1(VALU_DEP_1)
	v_trunc_f32_e32 v2, v2
	v_fmamk_f32 v1, v2, 0xcf800000, v1
	v_cvt_u32_f32_e32 v2, v2
	s_delay_alu instid0(VALU_DEP_2) | instskip(NEXT) | instid1(VALU_DEP_2)
	v_cvt_u32_f32_e32 v1, v1
	v_mul_lo_u32 v3, s2, v2
	s_delay_alu instid0(VALU_DEP_2) | instskip(SKIP_1) | instid1(VALU_DEP_2)
	v_mul_hi_u32 v4, s2, v1
	v_mul_lo_u32 v5, s5, v1
	v_add_nc_u32_e32 v3, v4, v3
	v_mul_lo_u32 v4, s2, v1
	s_delay_alu instid0(VALU_DEP_2) | instskip(NEXT) | instid1(VALU_DEP_2)
	v_add_nc_u32_e32 v3, v3, v5
	v_mul_hi_u32 v5, v1, v4
	s_delay_alu instid0(VALU_DEP_2)
	v_mul_lo_u32 v6, v1, v3
	v_mul_hi_u32 v7, v1, v3
	v_mul_hi_u32 v8, v2, v4
	v_mul_lo_u32 v4, v2, v4
	v_mul_hi_u32 v9, v2, v3
	v_mul_lo_u32 v3, v2, v3
	v_add_co_u32 v5, vcc_lo, v5, v6
	v_add_co_ci_u32_e32 v6, vcc_lo, 0, v7, vcc_lo
	s_delay_alu instid0(VALU_DEP_2) | instskip(NEXT) | instid1(VALU_DEP_2)
	v_add_co_u32 v4, vcc_lo, v5, v4
	v_add_co_ci_u32_e32 v4, vcc_lo, v6, v8, vcc_lo
	v_add_co_ci_u32_e32 v5, vcc_lo, 0, v9, vcc_lo
	v_ashrrev_i32_e32 v8, 31, v30
	s_delay_alu instid0(VALU_DEP_3) | instskip(NEXT) | instid1(VALU_DEP_3)
	v_add_co_u32 v3, vcc_lo, v4, v3
	v_add_co_ci_u32_e32 v4, vcc_lo, 0, v5, vcc_lo
	s_delay_alu instid0(VALU_DEP_2) | instskip(NEXT) | instid1(VALU_DEP_2)
	v_add_co_u32 v1, vcc_lo, v1, v3
	v_add_co_ci_u32_e32 v2, vcc_lo, v2, v4, vcc_lo
	s_delay_alu instid0(VALU_DEP_2) | instskip(SKIP_1) | instid1(VALU_DEP_3)
	v_mul_hi_u32 v3, s2, v1
	v_mul_lo_u32 v5, s5, v1
	v_mul_lo_u32 v4, s2, v2
	s_delay_alu instid0(VALU_DEP_1) | instskip(SKIP_1) | instid1(VALU_DEP_2)
	v_add_nc_u32_e32 v3, v3, v4
	v_mul_lo_u32 v4, s2, v1
	v_add_nc_u32_e32 v3, v3, v5
	s_delay_alu instid0(VALU_DEP_2) | instskip(NEXT) | instid1(VALU_DEP_2)
	v_mul_hi_u32 v5, v1, v4
	v_mul_lo_u32 v6, v1, v3
	v_mul_hi_u32 v7, v1, v3
	v_mul_hi_u32 v9, v2, v4
	v_mul_lo_u32 v4, v2, v4
	v_mul_hi_u32 v10, v2, v3
	v_mul_lo_u32 v3, v2, v3
	v_add_co_u32 v5, vcc_lo, v5, v6
	v_add_co_ci_u32_e32 v6, vcc_lo, 0, v7, vcc_lo
	s_delay_alu instid0(VALU_DEP_2) | instskip(NEXT) | instid1(VALU_DEP_2)
	v_add_co_u32 v4, vcc_lo, v5, v4
	v_add_co_ci_u32_e32 v4, vcc_lo, v6, v9, vcc_lo
	v_add_co_ci_u32_e32 v5, vcc_lo, 0, v10, vcc_lo
	v_add_co_u32 v6, vcc_lo, v29, v8
	v_add_co_ci_u32_e32 v7, vcc_lo, v30, v8, vcc_lo
	s_delay_alu instid0(VALU_DEP_4) | instskip(NEXT) | instid1(VALU_DEP_4)
	v_add_co_u32 v3, vcc_lo, v4, v3
	v_add_co_ci_u32_e32 v4, vcc_lo, 0, v5, vcc_lo
	s_delay_alu instid0(VALU_DEP_4) | instskip(NEXT) | instid1(VALU_DEP_3)
	v_xor_b32_e32 v9, v6, v8
	v_add_co_u32 v5, vcc_lo, v1, v3
	s_delay_alu instid0(VALU_DEP_3) | instskip(SKIP_1) | instid1(VALU_DEP_3)
	v_add_co_ci_u32_e32 v10, vcc_lo, v2, v4, vcc_lo
	v_xor_b32_e32 v7, v7, v8
	v_mul_hi_u32 v11, v9, v5
	s_delay_alu instid0(VALU_DEP_3) | instskip(NEXT) | instid1(VALU_DEP_3)
	v_mad_u64_u32 v[1:2], null, v9, v10, 0
	v_mad_u64_u32 v[3:4], null, v7, v5, 0
	v_mad_u64_u32 v[5:6], null, v7, v10, 0
	s_delay_alu instid0(VALU_DEP_3) | instskip(NEXT) | instid1(VALU_DEP_4)
	v_add_co_u32 v1, vcc_lo, v11, v1
	v_add_co_ci_u32_e32 v2, vcc_lo, 0, v2, vcc_lo
	s_delay_alu instid0(VALU_DEP_2) | instskip(NEXT) | instid1(VALU_DEP_2)
	v_add_co_u32 v1, vcc_lo, v1, v3
	v_add_co_ci_u32_e32 v1, vcc_lo, v2, v4, vcc_lo
	v_add_co_ci_u32_e32 v2, vcc_lo, 0, v6, vcc_lo
	s_delay_alu instid0(VALU_DEP_2) | instskip(NEXT) | instid1(VALU_DEP_2)
	v_add_co_u32 v3, vcc_lo, v1, v5
	v_add_co_ci_u32_e32 v4, vcc_lo, 0, v2, vcc_lo
	s_delay_alu instid0(VALU_DEP_2) | instskip(SKIP_1) | instid1(VALU_DEP_3)
	v_mul_lo_u32 v5, s7, v3
	v_mad_u64_u32 v[1:2], null, s6, v3, 0
	v_mul_lo_u32 v6, s6, v4
	s_delay_alu instid0(VALU_DEP_2) | instskip(NEXT) | instid1(VALU_DEP_2)
	v_sub_co_u32 v1, vcc_lo, v9, v1
	v_add3_u32 v2, v2, v6, v5
	s_delay_alu instid0(VALU_DEP_1) | instskip(NEXT) | instid1(VALU_DEP_1)
	v_sub_nc_u32_e32 v5, v7, v2
	v_subrev_co_ci_u32_e64 v5, s2, s7, v5, vcc_lo
	v_add_co_u32 v6, s2, v3, 2
	s_delay_alu instid0(VALU_DEP_1) | instskip(SKIP_3) | instid1(VALU_DEP_3)
	v_add_co_ci_u32_e64 v9, s2, 0, v4, s2
	v_sub_co_u32 v10, s2, v1, s6
	v_sub_co_ci_u32_e32 v2, vcc_lo, v7, v2, vcc_lo
	v_subrev_co_ci_u32_e64 v5, s2, 0, v5, s2
	v_cmp_le_u32_e32 vcc_lo, s6, v10
	s_delay_alu instid0(VALU_DEP_3) | instskip(SKIP_1) | instid1(VALU_DEP_4)
	v_cmp_eq_u32_e64 s2, s7, v2
	v_cndmask_b32_e64 v7, 0, -1, vcc_lo
	v_cmp_le_u32_e32 vcc_lo, s7, v5
	v_cndmask_b32_e64 v10, 0, -1, vcc_lo
	v_cmp_le_u32_e32 vcc_lo, s6, v1
	;; [unrolled: 2-line block ×3, first 2 shown]
	v_cndmask_b32_e64 v11, 0, -1, vcc_lo
	v_cmp_eq_u32_e32 vcc_lo, s7, v5
	s_delay_alu instid0(VALU_DEP_2) | instskip(SKIP_3) | instid1(VALU_DEP_3)
	v_cndmask_b32_e64 v1, v11, v1, s2
	v_cndmask_b32_e32 v5, v10, v7, vcc_lo
	v_add_co_u32 v7, vcc_lo, v3, 1
	v_add_co_ci_u32_e32 v10, vcc_lo, 0, v4, vcc_lo
	v_cmp_ne_u32_e32 vcc_lo, 0, v5
	s_delay_alu instid0(VALU_DEP_2) | instskip(SKIP_2) | instid1(VALU_DEP_3)
	v_dual_cndmask_b32 v2, v10, v9 :: v_dual_cndmask_b32 v5, v7, v6
	v_cmp_ne_u32_e32 vcc_lo, 0, v1
	v_xor_b32_e32 v6, s4, v8
	v_dual_cndmask_b32 v1, v4, v2 :: v_dual_cndmask_b32 v2, v3, v5
	s_delay_alu instid0(VALU_DEP_1) | instskip(NEXT) | instid1(VALU_DEP_2)
	v_xor_b32_e32 v3, v1, v6
	v_xor_b32_e32 v2, v2, v6
	s_delay_alu instid0(VALU_DEP_1) | instskip(NEXT) | instid1(VALU_DEP_3)
	v_sub_co_u32 v1, vcc_lo, v2, v6
	v_sub_co_ci_u32_e32 v2, vcc_lo, v3, v6, vcc_lo
.LBB1159_3:
	s_and_not1_saveexec_b32 s2, s3
	s_cbranch_execz .LBB1159_5
; %bb.4:
	v_cvt_f32_u32_e32 v1, s38
	s_sub_i32 s3, 0, s38
	s_delay_alu instid0(VALU_DEP_1) | instskip(SKIP_2) | instid1(VALU_DEP_1)
	v_rcp_iflag_f32_e32 v1, v1
	s_waitcnt_depctr 0xfff
	v_mul_f32_e32 v1, 0x4f7ffffe, v1
	v_cvt_u32_f32_e32 v1, v1
	s_delay_alu instid0(VALU_DEP_1) | instskip(NEXT) | instid1(VALU_DEP_1)
	v_mul_lo_u32 v2, s3, v1
	v_mul_hi_u32 v2, v1, v2
	s_delay_alu instid0(VALU_DEP_1) | instskip(NEXT) | instid1(VALU_DEP_1)
	v_add_nc_u32_e32 v1, v1, v2
	v_mul_hi_u32 v1, v29, v1
	s_delay_alu instid0(VALU_DEP_1) | instskip(SKIP_1) | instid1(VALU_DEP_2)
	v_mul_lo_u32 v2, v1, s38
	v_add_nc_u32_e32 v3, 1, v1
	v_sub_nc_u32_e32 v2, v29, v2
	s_delay_alu instid0(VALU_DEP_1) | instskip(SKIP_1) | instid1(VALU_DEP_2)
	v_subrev_nc_u32_e32 v4, s38, v2
	v_cmp_le_u32_e32 vcc_lo, s38, v2
	v_dual_cndmask_b32 v2, v2, v4 :: v_dual_cndmask_b32 v1, v1, v3
	s_delay_alu instid0(VALU_DEP_1) | instskip(NEXT) | instid1(VALU_DEP_2)
	v_cmp_le_u32_e32 vcc_lo, s38, v2
	v_dual_mov_b32 v2, 0 :: v_dual_add_nc_u32 v3, 1, v1
	s_delay_alu instid0(VALU_DEP_1)
	v_cndmask_b32_e32 v1, v1, v3, vcc_lo
.LBB1159_5:
	s_or_b32 exec_lo, exec_lo, s2
	v_add_co_u32 v5, vcc_lo, 0x100, v29
	v_add_co_ci_u32_e32 v6, vcc_lo, 0, v30, vcc_lo
	v_mov_b32_e32 v3, 0
	s_delay_alu instid0(VALU_DEP_2) | instskip(NEXT) | instid1(VALU_DEP_1)
	v_or_b32_e32 v4, s39, v6
	v_cmp_ne_u64_e32 vcc_lo, 0, v[3:4]
                                        ; implicit-def: $vgpr3_vgpr4
	s_and_saveexec_b32 s2, vcc_lo
	s_delay_alu instid0(SALU_CYCLE_1)
	s_xor_b32 s3, exec_lo, s2
	s_cbranch_execz .LBB1159_7
; %bb.6:
	s_ashr_i32 s4, s39, 31
	s_delay_alu instid0(SALU_CYCLE_1) | instskip(SKIP_2) | instid1(SALU_CYCLE_1)
	s_add_u32 s6, s38, s4
	s_mov_b32 s5, s4
	s_addc_u32 s7, s39, s4
	s_xor_b64 s[6:7], s[6:7], s[4:5]
	s_delay_alu instid0(SALU_CYCLE_1) | instskip(SKIP_3) | instid1(VALU_DEP_1)
	v_cvt_f32_u32_e32 v3, s6
	v_cvt_f32_u32_e32 v4, s7
	s_sub_u32 s2, 0, s6
	s_subb_u32 s5, 0, s7
	v_fmamk_f32 v3, v4, 0x4f800000, v3
	s_delay_alu instid0(VALU_DEP_1) | instskip(SKIP_2) | instid1(VALU_DEP_1)
	v_rcp_f32_e32 v3, v3
	s_waitcnt_depctr 0xfff
	v_mul_f32_e32 v3, 0x5f7ffffc, v3
	v_mul_f32_e32 v4, 0x2f800000, v3
	s_delay_alu instid0(VALU_DEP_1) | instskip(NEXT) | instid1(VALU_DEP_1)
	v_trunc_f32_e32 v4, v4
	v_fmamk_f32 v3, v4, 0xcf800000, v3
	v_cvt_u32_f32_e32 v4, v4
	s_delay_alu instid0(VALU_DEP_2) | instskip(NEXT) | instid1(VALU_DEP_2)
	v_cvt_u32_f32_e32 v3, v3
	v_mul_lo_u32 v7, s2, v4
	s_delay_alu instid0(VALU_DEP_2) | instskip(SKIP_1) | instid1(VALU_DEP_2)
	v_mul_hi_u32 v8, s2, v3
	v_mul_lo_u32 v9, s5, v3
	v_add_nc_u32_e32 v7, v8, v7
	v_mul_lo_u32 v8, s2, v3
	s_delay_alu instid0(VALU_DEP_2) | instskip(NEXT) | instid1(VALU_DEP_2)
	v_add_nc_u32_e32 v7, v7, v9
	v_mul_hi_u32 v9, v3, v8
	s_delay_alu instid0(VALU_DEP_2)
	v_mul_lo_u32 v10, v3, v7
	v_mul_hi_u32 v11, v3, v7
	v_mul_hi_u32 v12, v4, v8
	v_mul_lo_u32 v8, v4, v8
	v_mul_hi_u32 v13, v4, v7
	v_mul_lo_u32 v7, v4, v7
	v_add_co_u32 v9, vcc_lo, v9, v10
	v_add_co_ci_u32_e32 v10, vcc_lo, 0, v11, vcc_lo
	s_delay_alu instid0(VALU_DEP_2) | instskip(NEXT) | instid1(VALU_DEP_2)
	v_add_co_u32 v8, vcc_lo, v9, v8
	v_add_co_ci_u32_e32 v8, vcc_lo, v10, v12, vcc_lo
	v_add_co_ci_u32_e32 v9, vcc_lo, 0, v13, vcc_lo
	v_ashrrev_i32_e32 v12, 31, v6
	s_delay_alu instid0(VALU_DEP_3) | instskip(NEXT) | instid1(VALU_DEP_3)
	v_add_co_u32 v7, vcc_lo, v8, v7
	v_add_co_ci_u32_e32 v8, vcc_lo, 0, v9, vcc_lo
	s_delay_alu instid0(VALU_DEP_2) | instskip(NEXT) | instid1(VALU_DEP_2)
	v_add_co_u32 v3, vcc_lo, v3, v7
	v_add_co_ci_u32_e32 v4, vcc_lo, v4, v8, vcc_lo
	s_delay_alu instid0(VALU_DEP_2) | instskip(SKIP_1) | instid1(VALU_DEP_3)
	v_mul_hi_u32 v7, s2, v3
	v_mul_lo_u32 v9, s5, v3
	v_mul_lo_u32 v8, s2, v4
	s_delay_alu instid0(VALU_DEP_1) | instskip(SKIP_1) | instid1(VALU_DEP_2)
	v_add_nc_u32_e32 v7, v7, v8
	v_mul_lo_u32 v8, s2, v3
	v_add_nc_u32_e32 v7, v7, v9
	s_delay_alu instid0(VALU_DEP_2) | instskip(NEXT) | instid1(VALU_DEP_2)
	v_mul_hi_u32 v9, v3, v8
	v_mul_lo_u32 v10, v3, v7
	v_mul_hi_u32 v11, v3, v7
	v_mul_hi_u32 v13, v4, v8
	v_mul_lo_u32 v8, v4, v8
	v_mul_hi_u32 v14, v4, v7
	v_mul_lo_u32 v7, v4, v7
	v_add_co_u32 v9, vcc_lo, v9, v10
	v_add_co_ci_u32_e32 v10, vcc_lo, 0, v11, vcc_lo
	s_delay_alu instid0(VALU_DEP_2) | instskip(NEXT) | instid1(VALU_DEP_2)
	v_add_co_u32 v8, vcc_lo, v9, v8
	v_add_co_ci_u32_e32 v8, vcc_lo, v10, v13, vcc_lo
	v_add_co_ci_u32_e32 v9, vcc_lo, 0, v14, vcc_lo
	v_add_co_u32 v5, vcc_lo, v5, v12
	v_add_co_ci_u32_e32 v6, vcc_lo, v6, v12, vcc_lo
	s_delay_alu instid0(VALU_DEP_4) | instskip(NEXT) | instid1(VALU_DEP_4)
	v_add_co_u32 v7, vcc_lo, v8, v7
	v_add_co_ci_u32_e32 v8, vcc_lo, 0, v9, vcc_lo
	s_delay_alu instid0(VALU_DEP_4) | instskip(NEXT) | instid1(VALU_DEP_3)
	v_xor_b32_e32 v9, v5, v12
	v_add_co_u32 v7, vcc_lo, v3, v7
	s_delay_alu instid0(VALU_DEP_3) | instskip(SKIP_1) | instid1(VALU_DEP_3)
	v_add_co_ci_u32_e32 v10, vcc_lo, v4, v8, vcc_lo
	v_xor_b32_e32 v11, v6, v12
	v_mul_hi_u32 v13, v9, v7
	s_delay_alu instid0(VALU_DEP_3) | instskip(NEXT) | instid1(VALU_DEP_3)
	v_mad_u64_u32 v[3:4], null, v9, v10, 0
	v_mad_u64_u32 v[5:6], null, v11, v7, 0
	;; [unrolled: 1-line block ×3, first 2 shown]
	s_delay_alu instid0(VALU_DEP_3) | instskip(NEXT) | instid1(VALU_DEP_4)
	v_add_co_u32 v3, vcc_lo, v13, v3
	v_add_co_ci_u32_e32 v4, vcc_lo, 0, v4, vcc_lo
	s_delay_alu instid0(VALU_DEP_2) | instskip(NEXT) | instid1(VALU_DEP_2)
	v_add_co_u32 v3, vcc_lo, v3, v5
	v_add_co_ci_u32_e32 v3, vcc_lo, v4, v6, vcc_lo
	v_add_co_ci_u32_e32 v4, vcc_lo, 0, v8, vcc_lo
	s_delay_alu instid0(VALU_DEP_2) | instskip(NEXT) | instid1(VALU_DEP_2)
	v_add_co_u32 v5, vcc_lo, v3, v7
	v_add_co_ci_u32_e32 v6, vcc_lo, 0, v4, vcc_lo
	s_delay_alu instid0(VALU_DEP_2) | instskip(SKIP_1) | instid1(VALU_DEP_3)
	v_mul_lo_u32 v7, s7, v5
	v_mad_u64_u32 v[3:4], null, s6, v5, 0
	v_mul_lo_u32 v8, s6, v6
	s_delay_alu instid0(VALU_DEP_2) | instskip(NEXT) | instid1(VALU_DEP_2)
	v_sub_co_u32 v3, vcc_lo, v9, v3
	v_add3_u32 v4, v4, v8, v7
	s_delay_alu instid0(VALU_DEP_1) | instskip(NEXT) | instid1(VALU_DEP_1)
	v_sub_nc_u32_e32 v7, v11, v4
	v_subrev_co_ci_u32_e64 v7, s2, s7, v7, vcc_lo
	v_add_co_u32 v8, s2, v5, 2
	s_delay_alu instid0(VALU_DEP_1) | instskip(SKIP_3) | instid1(VALU_DEP_3)
	v_add_co_ci_u32_e64 v9, s2, 0, v6, s2
	v_sub_co_u32 v10, s2, v3, s6
	v_sub_co_ci_u32_e32 v4, vcc_lo, v11, v4, vcc_lo
	v_subrev_co_ci_u32_e64 v7, s2, 0, v7, s2
	v_cmp_le_u32_e32 vcc_lo, s6, v10
	s_delay_alu instid0(VALU_DEP_3) | instskip(SKIP_1) | instid1(VALU_DEP_4)
	v_cmp_eq_u32_e64 s2, s7, v4
	v_cndmask_b32_e64 v10, 0, -1, vcc_lo
	v_cmp_le_u32_e32 vcc_lo, s7, v7
	v_cndmask_b32_e64 v11, 0, -1, vcc_lo
	v_cmp_le_u32_e32 vcc_lo, s6, v3
	v_cndmask_b32_e64 v3, 0, -1, vcc_lo
	v_cmp_le_u32_e32 vcc_lo, s7, v4
	v_cndmask_b32_e64 v13, 0, -1, vcc_lo
	v_cmp_eq_u32_e32 vcc_lo, s7, v7
	s_delay_alu instid0(VALU_DEP_2) | instskip(SKIP_3) | instid1(VALU_DEP_3)
	v_cndmask_b32_e64 v3, v13, v3, s2
	v_cndmask_b32_e32 v7, v11, v10, vcc_lo
	v_add_co_u32 v10, vcc_lo, v5, 1
	v_add_co_ci_u32_e32 v11, vcc_lo, 0, v6, vcc_lo
	v_cmp_ne_u32_e32 vcc_lo, 0, v7
	s_delay_alu instid0(VALU_DEP_2) | instskip(SKIP_2) | instid1(VALU_DEP_3)
	v_dual_cndmask_b32 v4, v11, v9 :: v_dual_cndmask_b32 v7, v10, v8
	v_cmp_ne_u32_e32 vcc_lo, 0, v3
	v_xor_b32_e32 v8, s4, v12
	v_dual_cndmask_b32 v3, v6, v4 :: v_dual_cndmask_b32 v4, v5, v7
	s_delay_alu instid0(VALU_DEP_1) | instskip(NEXT) | instid1(VALU_DEP_2)
	v_xor_b32_e32 v5, v3, v8
	v_xor_b32_e32 v4, v4, v8
	s_delay_alu instid0(VALU_DEP_1) | instskip(NEXT) | instid1(VALU_DEP_3)
	v_sub_co_u32 v3, vcc_lo, v4, v8
	v_sub_co_ci_u32_e32 v4, vcc_lo, v5, v8, vcc_lo
                                        ; implicit-def: $vgpr5
.LBB1159_7:
	s_and_not1_saveexec_b32 s2, s3
	s_cbranch_execz .LBB1159_9
; %bb.8:
	v_cvt_f32_u32_e32 v3, s38
	s_sub_i32 s3, 0, s38
	s_delay_alu instid0(VALU_DEP_1) | instskip(SKIP_2) | instid1(VALU_DEP_1)
	v_rcp_iflag_f32_e32 v3, v3
	s_waitcnt_depctr 0xfff
	v_mul_f32_e32 v3, 0x4f7ffffe, v3
	v_cvt_u32_f32_e32 v3, v3
	s_delay_alu instid0(VALU_DEP_1) | instskip(NEXT) | instid1(VALU_DEP_1)
	v_mul_lo_u32 v4, s3, v3
	v_mul_hi_u32 v4, v3, v4
	s_delay_alu instid0(VALU_DEP_1) | instskip(NEXT) | instid1(VALU_DEP_1)
	v_add_nc_u32_e32 v3, v3, v4
	v_mul_hi_u32 v3, v5, v3
	s_delay_alu instid0(VALU_DEP_1) | instskip(NEXT) | instid1(VALU_DEP_1)
	v_mul_lo_u32 v4, v3, s38
	v_sub_nc_u32_e32 v4, v5, v4
	v_add_nc_u32_e32 v5, 1, v3
	s_delay_alu instid0(VALU_DEP_2) | instskip(SKIP_1) | instid1(VALU_DEP_2)
	v_subrev_nc_u32_e32 v6, s38, v4
	v_cmp_le_u32_e32 vcc_lo, s38, v4
	v_dual_cndmask_b32 v4, v4, v6 :: v_dual_cndmask_b32 v3, v3, v5
	s_delay_alu instid0(VALU_DEP_1) | instskip(NEXT) | instid1(VALU_DEP_2)
	v_cmp_le_u32_e32 vcc_lo, s38, v4
	v_dual_mov_b32 v4, 0 :: v_dual_add_nc_u32 v5, 1, v3
	s_delay_alu instid0(VALU_DEP_1)
	v_cndmask_b32_e32 v3, v3, v5, vcc_lo
.LBB1159_9:
	s_or_b32 exec_lo, exec_lo, s2
	v_add_co_u32 v7, vcc_lo, 0x200, v29
	v_add_co_ci_u32_e32 v8, vcc_lo, 0, v30, vcc_lo
	v_mov_b32_e32 v5, 0
	s_delay_alu instid0(VALU_DEP_2) | instskip(NEXT) | instid1(VALU_DEP_1)
	v_or_b32_e32 v6, s39, v8
	v_cmp_ne_u64_e32 vcc_lo, 0, v[5:6]
                                        ; implicit-def: $vgpr5_vgpr6
	s_and_saveexec_b32 s2, vcc_lo
	s_delay_alu instid0(SALU_CYCLE_1)
	s_xor_b32 s3, exec_lo, s2
	s_cbranch_execz .LBB1159_11
; %bb.10:
	s_ashr_i32 s4, s39, 31
	s_delay_alu instid0(SALU_CYCLE_1) | instskip(SKIP_2) | instid1(SALU_CYCLE_1)
	s_add_u32 s6, s38, s4
	s_mov_b32 s5, s4
	s_addc_u32 s7, s39, s4
	s_xor_b64 s[6:7], s[6:7], s[4:5]
	s_delay_alu instid0(SALU_CYCLE_1) | instskip(SKIP_3) | instid1(VALU_DEP_1)
	v_cvt_f32_u32_e32 v5, s6
	v_cvt_f32_u32_e32 v6, s7
	s_sub_u32 s2, 0, s6
	s_subb_u32 s5, 0, s7
	v_fmamk_f32 v5, v6, 0x4f800000, v5
	s_delay_alu instid0(VALU_DEP_1) | instskip(SKIP_2) | instid1(VALU_DEP_1)
	v_rcp_f32_e32 v5, v5
	s_waitcnt_depctr 0xfff
	v_mul_f32_e32 v5, 0x5f7ffffc, v5
	v_mul_f32_e32 v6, 0x2f800000, v5
	s_delay_alu instid0(VALU_DEP_1) | instskip(NEXT) | instid1(VALU_DEP_1)
	v_trunc_f32_e32 v6, v6
	v_fmamk_f32 v5, v6, 0xcf800000, v5
	v_cvt_u32_f32_e32 v6, v6
	s_delay_alu instid0(VALU_DEP_2) | instskip(NEXT) | instid1(VALU_DEP_2)
	v_cvt_u32_f32_e32 v5, v5
	v_mul_lo_u32 v9, s2, v6
	s_delay_alu instid0(VALU_DEP_2) | instskip(SKIP_1) | instid1(VALU_DEP_2)
	v_mul_hi_u32 v10, s2, v5
	v_mul_lo_u32 v11, s5, v5
	v_add_nc_u32_e32 v9, v10, v9
	v_mul_lo_u32 v10, s2, v5
	s_delay_alu instid0(VALU_DEP_2) | instskip(NEXT) | instid1(VALU_DEP_2)
	v_add_nc_u32_e32 v9, v9, v11
	v_mul_hi_u32 v11, v5, v10
	s_delay_alu instid0(VALU_DEP_2)
	v_mul_lo_u32 v12, v5, v9
	v_mul_hi_u32 v13, v5, v9
	v_mul_hi_u32 v14, v6, v10
	v_mul_lo_u32 v10, v6, v10
	v_mul_hi_u32 v15, v6, v9
	v_mul_lo_u32 v9, v6, v9
	v_add_co_u32 v11, vcc_lo, v11, v12
	v_add_co_ci_u32_e32 v12, vcc_lo, 0, v13, vcc_lo
	s_delay_alu instid0(VALU_DEP_2) | instskip(NEXT) | instid1(VALU_DEP_2)
	v_add_co_u32 v10, vcc_lo, v11, v10
	v_add_co_ci_u32_e32 v10, vcc_lo, v12, v14, vcc_lo
	v_add_co_ci_u32_e32 v11, vcc_lo, 0, v15, vcc_lo
	v_ashrrev_i32_e32 v14, 31, v8
	s_delay_alu instid0(VALU_DEP_3) | instskip(NEXT) | instid1(VALU_DEP_3)
	v_add_co_u32 v9, vcc_lo, v10, v9
	v_add_co_ci_u32_e32 v10, vcc_lo, 0, v11, vcc_lo
	s_delay_alu instid0(VALU_DEP_2) | instskip(NEXT) | instid1(VALU_DEP_2)
	v_add_co_u32 v5, vcc_lo, v5, v9
	v_add_co_ci_u32_e32 v6, vcc_lo, v6, v10, vcc_lo
	s_delay_alu instid0(VALU_DEP_2) | instskip(SKIP_1) | instid1(VALU_DEP_3)
	v_mul_hi_u32 v9, s2, v5
	v_mul_lo_u32 v11, s5, v5
	v_mul_lo_u32 v10, s2, v6
	s_delay_alu instid0(VALU_DEP_1) | instskip(SKIP_1) | instid1(VALU_DEP_2)
	v_add_nc_u32_e32 v9, v9, v10
	v_mul_lo_u32 v10, s2, v5
	v_add_nc_u32_e32 v9, v9, v11
	s_delay_alu instid0(VALU_DEP_2) | instskip(NEXT) | instid1(VALU_DEP_2)
	v_mul_hi_u32 v11, v5, v10
	v_mul_lo_u32 v12, v5, v9
	v_mul_hi_u32 v13, v5, v9
	v_mul_hi_u32 v15, v6, v10
	v_mul_lo_u32 v10, v6, v10
	v_mul_hi_u32 v16, v6, v9
	v_mul_lo_u32 v9, v6, v9
	v_add_co_u32 v11, vcc_lo, v11, v12
	v_add_co_ci_u32_e32 v12, vcc_lo, 0, v13, vcc_lo
	s_delay_alu instid0(VALU_DEP_2) | instskip(NEXT) | instid1(VALU_DEP_2)
	v_add_co_u32 v10, vcc_lo, v11, v10
	v_add_co_ci_u32_e32 v10, vcc_lo, v12, v15, vcc_lo
	v_add_co_ci_u32_e32 v11, vcc_lo, 0, v16, vcc_lo
	v_add_co_u32 v7, vcc_lo, v7, v14
	v_add_co_ci_u32_e32 v8, vcc_lo, v8, v14, vcc_lo
	s_delay_alu instid0(VALU_DEP_4) | instskip(NEXT) | instid1(VALU_DEP_4)
	v_add_co_u32 v9, vcc_lo, v10, v9
	v_add_co_ci_u32_e32 v10, vcc_lo, 0, v11, vcc_lo
	s_delay_alu instid0(VALU_DEP_4) | instskip(NEXT) | instid1(VALU_DEP_3)
	v_xor_b32_e32 v11, v7, v14
	v_add_co_u32 v9, vcc_lo, v5, v9
	s_delay_alu instid0(VALU_DEP_3) | instskip(SKIP_1) | instid1(VALU_DEP_3)
	v_add_co_ci_u32_e32 v12, vcc_lo, v6, v10, vcc_lo
	v_xor_b32_e32 v13, v8, v14
	v_mul_hi_u32 v15, v11, v9
	s_delay_alu instid0(VALU_DEP_3) | instskip(NEXT) | instid1(VALU_DEP_3)
	v_mad_u64_u32 v[5:6], null, v11, v12, 0
	v_mad_u64_u32 v[7:8], null, v13, v9, 0
	;; [unrolled: 1-line block ×3, first 2 shown]
	s_delay_alu instid0(VALU_DEP_3) | instskip(NEXT) | instid1(VALU_DEP_4)
	v_add_co_u32 v5, vcc_lo, v15, v5
	v_add_co_ci_u32_e32 v6, vcc_lo, 0, v6, vcc_lo
	s_delay_alu instid0(VALU_DEP_2) | instskip(NEXT) | instid1(VALU_DEP_2)
	v_add_co_u32 v5, vcc_lo, v5, v7
	v_add_co_ci_u32_e32 v5, vcc_lo, v6, v8, vcc_lo
	v_add_co_ci_u32_e32 v6, vcc_lo, 0, v10, vcc_lo
	s_delay_alu instid0(VALU_DEP_2) | instskip(NEXT) | instid1(VALU_DEP_2)
	v_add_co_u32 v7, vcc_lo, v5, v9
	v_add_co_ci_u32_e32 v8, vcc_lo, 0, v6, vcc_lo
	s_delay_alu instid0(VALU_DEP_2) | instskip(SKIP_1) | instid1(VALU_DEP_3)
	v_mul_lo_u32 v9, s7, v7
	v_mad_u64_u32 v[5:6], null, s6, v7, 0
	v_mul_lo_u32 v10, s6, v8
	s_delay_alu instid0(VALU_DEP_2) | instskip(NEXT) | instid1(VALU_DEP_2)
	v_sub_co_u32 v5, vcc_lo, v11, v5
	v_add3_u32 v6, v6, v10, v9
	s_delay_alu instid0(VALU_DEP_1) | instskip(NEXT) | instid1(VALU_DEP_1)
	v_sub_nc_u32_e32 v9, v13, v6
	v_subrev_co_ci_u32_e64 v9, s2, s7, v9, vcc_lo
	v_add_co_u32 v10, s2, v7, 2
	s_delay_alu instid0(VALU_DEP_1) | instskip(SKIP_3) | instid1(VALU_DEP_3)
	v_add_co_ci_u32_e64 v11, s2, 0, v8, s2
	v_sub_co_u32 v12, s2, v5, s6
	v_sub_co_ci_u32_e32 v6, vcc_lo, v13, v6, vcc_lo
	v_subrev_co_ci_u32_e64 v9, s2, 0, v9, s2
	v_cmp_le_u32_e32 vcc_lo, s6, v12
	s_delay_alu instid0(VALU_DEP_3) | instskip(SKIP_1) | instid1(VALU_DEP_4)
	v_cmp_eq_u32_e64 s2, s7, v6
	v_cndmask_b32_e64 v12, 0, -1, vcc_lo
	v_cmp_le_u32_e32 vcc_lo, s7, v9
	v_cndmask_b32_e64 v13, 0, -1, vcc_lo
	v_cmp_le_u32_e32 vcc_lo, s6, v5
	;; [unrolled: 2-line block ×3, first 2 shown]
	v_cndmask_b32_e64 v15, 0, -1, vcc_lo
	v_cmp_eq_u32_e32 vcc_lo, s7, v9
	s_delay_alu instid0(VALU_DEP_2) | instskip(SKIP_3) | instid1(VALU_DEP_3)
	v_cndmask_b32_e64 v5, v15, v5, s2
	v_cndmask_b32_e32 v9, v13, v12, vcc_lo
	v_add_co_u32 v12, vcc_lo, v7, 1
	v_add_co_ci_u32_e32 v13, vcc_lo, 0, v8, vcc_lo
	v_cmp_ne_u32_e32 vcc_lo, 0, v9
	s_delay_alu instid0(VALU_DEP_2) | instskip(SKIP_2) | instid1(VALU_DEP_3)
	v_dual_cndmask_b32 v6, v13, v11 :: v_dual_cndmask_b32 v9, v12, v10
	v_cmp_ne_u32_e32 vcc_lo, 0, v5
	v_xor_b32_e32 v10, s4, v14
	v_dual_cndmask_b32 v5, v8, v6 :: v_dual_cndmask_b32 v6, v7, v9
	s_delay_alu instid0(VALU_DEP_1) | instskip(NEXT) | instid1(VALU_DEP_2)
	v_xor_b32_e32 v7, v5, v10
	v_xor_b32_e32 v6, v6, v10
	s_delay_alu instid0(VALU_DEP_1) | instskip(NEXT) | instid1(VALU_DEP_3)
	v_sub_co_u32 v5, vcc_lo, v6, v10
	v_sub_co_ci_u32_e32 v6, vcc_lo, v7, v10, vcc_lo
                                        ; implicit-def: $vgpr7
.LBB1159_11:
	s_and_not1_saveexec_b32 s2, s3
	s_cbranch_execz .LBB1159_13
; %bb.12:
	v_cvt_f32_u32_e32 v5, s38
	s_sub_i32 s3, 0, s38
	s_delay_alu instid0(VALU_DEP_1) | instskip(SKIP_2) | instid1(VALU_DEP_1)
	v_rcp_iflag_f32_e32 v5, v5
	s_waitcnt_depctr 0xfff
	v_mul_f32_e32 v5, 0x4f7ffffe, v5
	v_cvt_u32_f32_e32 v5, v5
	s_delay_alu instid0(VALU_DEP_1) | instskip(NEXT) | instid1(VALU_DEP_1)
	v_mul_lo_u32 v6, s3, v5
	v_mul_hi_u32 v6, v5, v6
	s_delay_alu instid0(VALU_DEP_1) | instskip(NEXT) | instid1(VALU_DEP_1)
	v_add_nc_u32_e32 v5, v5, v6
	v_mul_hi_u32 v5, v7, v5
	s_delay_alu instid0(VALU_DEP_1) | instskip(NEXT) | instid1(VALU_DEP_1)
	v_mul_lo_u32 v6, v5, s38
	v_sub_nc_u32_e32 v6, v7, v6
	v_add_nc_u32_e32 v7, 1, v5
	s_delay_alu instid0(VALU_DEP_2) | instskip(SKIP_1) | instid1(VALU_DEP_2)
	v_subrev_nc_u32_e32 v8, s38, v6
	v_cmp_le_u32_e32 vcc_lo, s38, v6
	v_dual_cndmask_b32 v6, v6, v8 :: v_dual_cndmask_b32 v5, v5, v7
	s_delay_alu instid0(VALU_DEP_1) | instskip(NEXT) | instid1(VALU_DEP_2)
	v_cmp_le_u32_e32 vcc_lo, s38, v6
	v_dual_mov_b32 v6, 0 :: v_dual_add_nc_u32 v7, 1, v5
	s_delay_alu instid0(VALU_DEP_1)
	v_cndmask_b32_e32 v5, v5, v7, vcc_lo
.LBB1159_13:
	s_or_b32 exec_lo, exec_lo, s2
	v_add_co_u32 v9, vcc_lo, 0x300, v29
	v_add_co_ci_u32_e32 v10, vcc_lo, 0, v30, vcc_lo
	v_mov_b32_e32 v7, 0
	s_delay_alu instid0(VALU_DEP_2) | instskip(NEXT) | instid1(VALU_DEP_1)
	v_or_b32_e32 v8, s39, v10
	v_cmp_ne_u64_e32 vcc_lo, 0, v[7:8]
                                        ; implicit-def: $vgpr7_vgpr8
	s_and_saveexec_b32 s2, vcc_lo
	s_delay_alu instid0(SALU_CYCLE_1)
	s_xor_b32 s3, exec_lo, s2
	s_cbranch_execz .LBB1159_15
; %bb.14:
	s_ashr_i32 s4, s39, 31
	s_delay_alu instid0(SALU_CYCLE_1) | instskip(SKIP_2) | instid1(SALU_CYCLE_1)
	s_add_u32 s6, s38, s4
	s_mov_b32 s5, s4
	s_addc_u32 s7, s39, s4
	s_xor_b64 s[6:7], s[6:7], s[4:5]
	s_delay_alu instid0(SALU_CYCLE_1) | instskip(SKIP_3) | instid1(VALU_DEP_1)
	v_cvt_f32_u32_e32 v7, s6
	v_cvt_f32_u32_e32 v8, s7
	s_sub_u32 s2, 0, s6
	s_subb_u32 s5, 0, s7
	v_fmamk_f32 v7, v8, 0x4f800000, v7
	s_delay_alu instid0(VALU_DEP_1) | instskip(SKIP_2) | instid1(VALU_DEP_1)
	v_rcp_f32_e32 v7, v7
	s_waitcnt_depctr 0xfff
	v_mul_f32_e32 v7, 0x5f7ffffc, v7
	v_mul_f32_e32 v8, 0x2f800000, v7
	s_delay_alu instid0(VALU_DEP_1) | instskip(NEXT) | instid1(VALU_DEP_1)
	v_trunc_f32_e32 v8, v8
	v_fmamk_f32 v7, v8, 0xcf800000, v7
	v_cvt_u32_f32_e32 v8, v8
	s_delay_alu instid0(VALU_DEP_2) | instskip(NEXT) | instid1(VALU_DEP_2)
	v_cvt_u32_f32_e32 v7, v7
	v_mul_lo_u32 v11, s2, v8
	s_delay_alu instid0(VALU_DEP_2) | instskip(SKIP_1) | instid1(VALU_DEP_2)
	v_mul_hi_u32 v12, s2, v7
	v_mul_lo_u32 v13, s5, v7
	v_add_nc_u32_e32 v11, v12, v11
	v_mul_lo_u32 v12, s2, v7
	s_delay_alu instid0(VALU_DEP_2) | instskip(NEXT) | instid1(VALU_DEP_2)
	v_add_nc_u32_e32 v11, v11, v13
	v_mul_hi_u32 v13, v7, v12
	s_delay_alu instid0(VALU_DEP_2)
	v_mul_lo_u32 v14, v7, v11
	v_mul_hi_u32 v15, v7, v11
	v_mul_hi_u32 v16, v8, v12
	v_mul_lo_u32 v12, v8, v12
	v_mul_hi_u32 v17, v8, v11
	v_mul_lo_u32 v11, v8, v11
	v_add_co_u32 v13, vcc_lo, v13, v14
	v_add_co_ci_u32_e32 v14, vcc_lo, 0, v15, vcc_lo
	s_delay_alu instid0(VALU_DEP_2) | instskip(NEXT) | instid1(VALU_DEP_2)
	v_add_co_u32 v12, vcc_lo, v13, v12
	v_add_co_ci_u32_e32 v12, vcc_lo, v14, v16, vcc_lo
	v_add_co_ci_u32_e32 v13, vcc_lo, 0, v17, vcc_lo
	v_ashrrev_i32_e32 v16, 31, v10
	s_delay_alu instid0(VALU_DEP_3) | instskip(NEXT) | instid1(VALU_DEP_3)
	v_add_co_u32 v11, vcc_lo, v12, v11
	v_add_co_ci_u32_e32 v12, vcc_lo, 0, v13, vcc_lo
	s_delay_alu instid0(VALU_DEP_2) | instskip(NEXT) | instid1(VALU_DEP_2)
	v_add_co_u32 v7, vcc_lo, v7, v11
	v_add_co_ci_u32_e32 v8, vcc_lo, v8, v12, vcc_lo
	s_delay_alu instid0(VALU_DEP_2) | instskip(SKIP_1) | instid1(VALU_DEP_3)
	v_mul_hi_u32 v11, s2, v7
	v_mul_lo_u32 v13, s5, v7
	v_mul_lo_u32 v12, s2, v8
	s_delay_alu instid0(VALU_DEP_1) | instskip(SKIP_1) | instid1(VALU_DEP_2)
	v_add_nc_u32_e32 v11, v11, v12
	v_mul_lo_u32 v12, s2, v7
	v_add_nc_u32_e32 v11, v11, v13
	s_delay_alu instid0(VALU_DEP_2) | instskip(NEXT) | instid1(VALU_DEP_2)
	v_mul_hi_u32 v13, v7, v12
	v_mul_lo_u32 v14, v7, v11
	v_mul_hi_u32 v15, v7, v11
	v_mul_hi_u32 v17, v8, v12
	v_mul_lo_u32 v12, v8, v12
	v_mul_hi_u32 v18, v8, v11
	v_mul_lo_u32 v11, v8, v11
	v_add_co_u32 v13, vcc_lo, v13, v14
	v_add_co_ci_u32_e32 v14, vcc_lo, 0, v15, vcc_lo
	s_delay_alu instid0(VALU_DEP_2) | instskip(NEXT) | instid1(VALU_DEP_2)
	v_add_co_u32 v12, vcc_lo, v13, v12
	v_add_co_ci_u32_e32 v12, vcc_lo, v14, v17, vcc_lo
	v_add_co_ci_u32_e32 v13, vcc_lo, 0, v18, vcc_lo
	v_add_co_u32 v9, vcc_lo, v9, v16
	v_add_co_ci_u32_e32 v10, vcc_lo, v10, v16, vcc_lo
	s_delay_alu instid0(VALU_DEP_4) | instskip(NEXT) | instid1(VALU_DEP_4)
	v_add_co_u32 v11, vcc_lo, v12, v11
	v_add_co_ci_u32_e32 v12, vcc_lo, 0, v13, vcc_lo
	s_delay_alu instid0(VALU_DEP_4) | instskip(NEXT) | instid1(VALU_DEP_3)
	v_xor_b32_e32 v13, v9, v16
	v_add_co_u32 v11, vcc_lo, v7, v11
	s_delay_alu instid0(VALU_DEP_3) | instskip(SKIP_1) | instid1(VALU_DEP_3)
	v_add_co_ci_u32_e32 v14, vcc_lo, v8, v12, vcc_lo
	v_xor_b32_e32 v15, v10, v16
	v_mul_hi_u32 v17, v13, v11
	s_delay_alu instid0(VALU_DEP_3) | instskip(NEXT) | instid1(VALU_DEP_3)
	v_mad_u64_u32 v[7:8], null, v13, v14, 0
	v_mad_u64_u32 v[9:10], null, v15, v11, 0
	;; [unrolled: 1-line block ×3, first 2 shown]
	s_delay_alu instid0(VALU_DEP_3) | instskip(NEXT) | instid1(VALU_DEP_4)
	v_add_co_u32 v7, vcc_lo, v17, v7
	v_add_co_ci_u32_e32 v8, vcc_lo, 0, v8, vcc_lo
	s_delay_alu instid0(VALU_DEP_2) | instskip(NEXT) | instid1(VALU_DEP_2)
	v_add_co_u32 v7, vcc_lo, v7, v9
	v_add_co_ci_u32_e32 v7, vcc_lo, v8, v10, vcc_lo
	v_add_co_ci_u32_e32 v8, vcc_lo, 0, v12, vcc_lo
	s_delay_alu instid0(VALU_DEP_2) | instskip(NEXT) | instid1(VALU_DEP_2)
	v_add_co_u32 v9, vcc_lo, v7, v11
	v_add_co_ci_u32_e32 v10, vcc_lo, 0, v8, vcc_lo
	s_delay_alu instid0(VALU_DEP_2) | instskip(SKIP_1) | instid1(VALU_DEP_3)
	v_mul_lo_u32 v11, s7, v9
	v_mad_u64_u32 v[7:8], null, s6, v9, 0
	v_mul_lo_u32 v12, s6, v10
	s_delay_alu instid0(VALU_DEP_2) | instskip(NEXT) | instid1(VALU_DEP_2)
	v_sub_co_u32 v7, vcc_lo, v13, v7
	v_add3_u32 v8, v8, v12, v11
	s_delay_alu instid0(VALU_DEP_1) | instskip(NEXT) | instid1(VALU_DEP_1)
	v_sub_nc_u32_e32 v11, v15, v8
	v_subrev_co_ci_u32_e64 v11, s2, s7, v11, vcc_lo
	v_add_co_u32 v12, s2, v9, 2
	s_delay_alu instid0(VALU_DEP_1) | instskip(SKIP_3) | instid1(VALU_DEP_3)
	v_add_co_ci_u32_e64 v13, s2, 0, v10, s2
	v_sub_co_u32 v14, s2, v7, s6
	v_sub_co_ci_u32_e32 v8, vcc_lo, v15, v8, vcc_lo
	v_subrev_co_ci_u32_e64 v11, s2, 0, v11, s2
	v_cmp_le_u32_e32 vcc_lo, s6, v14
	s_delay_alu instid0(VALU_DEP_3) | instskip(SKIP_1) | instid1(VALU_DEP_4)
	v_cmp_eq_u32_e64 s2, s7, v8
	v_cndmask_b32_e64 v14, 0, -1, vcc_lo
	v_cmp_le_u32_e32 vcc_lo, s7, v11
	v_cndmask_b32_e64 v15, 0, -1, vcc_lo
	v_cmp_le_u32_e32 vcc_lo, s6, v7
	;; [unrolled: 2-line block ×3, first 2 shown]
	v_cndmask_b32_e64 v17, 0, -1, vcc_lo
	v_cmp_eq_u32_e32 vcc_lo, s7, v11
	s_delay_alu instid0(VALU_DEP_2) | instskip(SKIP_3) | instid1(VALU_DEP_3)
	v_cndmask_b32_e64 v7, v17, v7, s2
	v_cndmask_b32_e32 v11, v15, v14, vcc_lo
	v_add_co_u32 v14, vcc_lo, v9, 1
	v_add_co_ci_u32_e32 v15, vcc_lo, 0, v10, vcc_lo
	v_cmp_ne_u32_e32 vcc_lo, 0, v11
	s_delay_alu instid0(VALU_DEP_2) | instskip(SKIP_2) | instid1(VALU_DEP_3)
	v_dual_cndmask_b32 v8, v15, v13 :: v_dual_cndmask_b32 v11, v14, v12
	v_cmp_ne_u32_e32 vcc_lo, 0, v7
	v_xor_b32_e32 v12, s4, v16
	v_dual_cndmask_b32 v7, v10, v8 :: v_dual_cndmask_b32 v8, v9, v11
	s_delay_alu instid0(VALU_DEP_1) | instskip(NEXT) | instid1(VALU_DEP_2)
	v_xor_b32_e32 v9, v7, v12
	v_xor_b32_e32 v8, v8, v12
	s_delay_alu instid0(VALU_DEP_1) | instskip(NEXT) | instid1(VALU_DEP_3)
	v_sub_co_u32 v7, vcc_lo, v8, v12
	v_sub_co_ci_u32_e32 v8, vcc_lo, v9, v12, vcc_lo
                                        ; implicit-def: $vgpr9
.LBB1159_15:
	s_and_not1_saveexec_b32 s2, s3
	s_cbranch_execz .LBB1159_17
; %bb.16:
	v_cvt_f32_u32_e32 v7, s38
	s_sub_i32 s3, 0, s38
	s_delay_alu instid0(VALU_DEP_1) | instskip(SKIP_2) | instid1(VALU_DEP_1)
	v_rcp_iflag_f32_e32 v7, v7
	s_waitcnt_depctr 0xfff
	v_mul_f32_e32 v7, 0x4f7ffffe, v7
	v_cvt_u32_f32_e32 v7, v7
	s_delay_alu instid0(VALU_DEP_1) | instskip(NEXT) | instid1(VALU_DEP_1)
	v_mul_lo_u32 v8, s3, v7
	v_mul_hi_u32 v8, v7, v8
	s_delay_alu instid0(VALU_DEP_1) | instskip(NEXT) | instid1(VALU_DEP_1)
	v_add_nc_u32_e32 v7, v7, v8
	v_mul_hi_u32 v7, v9, v7
	s_delay_alu instid0(VALU_DEP_1) | instskip(NEXT) | instid1(VALU_DEP_1)
	v_mul_lo_u32 v8, v7, s38
	v_sub_nc_u32_e32 v8, v9, v8
	v_add_nc_u32_e32 v9, 1, v7
	s_delay_alu instid0(VALU_DEP_2) | instskip(SKIP_1) | instid1(VALU_DEP_2)
	v_subrev_nc_u32_e32 v10, s38, v8
	v_cmp_le_u32_e32 vcc_lo, s38, v8
	v_dual_cndmask_b32 v8, v8, v10 :: v_dual_cndmask_b32 v7, v7, v9
	s_delay_alu instid0(VALU_DEP_1) | instskip(NEXT) | instid1(VALU_DEP_2)
	v_cmp_le_u32_e32 vcc_lo, s38, v8
	v_dual_mov_b32 v8, 0 :: v_dual_add_nc_u32 v9, 1, v7
	s_delay_alu instid0(VALU_DEP_1)
	v_cndmask_b32_e32 v7, v7, v9, vcc_lo
.LBB1159_17:
	s_or_b32 exec_lo, exec_lo, s2
	v_add_co_u32 v11, vcc_lo, 0x400, v29
	v_add_co_ci_u32_e32 v12, vcc_lo, 0, v30, vcc_lo
	v_mov_b32_e32 v9, 0
	s_delay_alu instid0(VALU_DEP_2) | instskip(NEXT) | instid1(VALU_DEP_1)
	v_or_b32_e32 v10, s39, v12
	v_cmp_ne_u64_e32 vcc_lo, 0, v[9:10]
                                        ; implicit-def: $vgpr9_vgpr10
	s_and_saveexec_b32 s2, vcc_lo
	s_delay_alu instid0(SALU_CYCLE_1)
	s_xor_b32 s3, exec_lo, s2
	s_cbranch_execz .LBB1159_19
; %bb.18:
	s_ashr_i32 s4, s39, 31
	s_delay_alu instid0(SALU_CYCLE_1) | instskip(SKIP_2) | instid1(SALU_CYCLE_1)
	s_add_u32 s6, s38, s4
	s_mov_b32 s5, s4
	s_addc_u32 s7, s39, s4
	s_xor_b64 s[6:7], s[6:7], s[4:5]
	s_delay_alu instid0(SALU_CYCLE_1) | instskip(SKIP_3) | instid1(VALU_DEP_1)
	v_cvt_f32_u32_e32 v9, s6
	v_cvt_f32_u32_e32 v10, s7
	s_sub_u32 s2, 0, s6
	s_subb_u32 s5, 0, s7
	v_fmamk_f32 v9, v10, 0x4f800000, v9
	s_delay_alu instid0(VALU_DEP_1) | instskip(SKIP_2) | instid1(VALU_DEP_1)
	v_rcp_f32_e32 v9, v9
	s_waitcnt_depctr 0xfff
	v_mul_f32_e32 v9, 0x5f7ffffc, v9
	v_mul_f32_e32 v10, 0x2f800000, v9
	s_delay_alu instid0(VALU_DEP_1) | instskip(NEXT) | instid1(VALU_DEP_1)
	v_trunc_f32_e32 v10, v10
	v_fmamk_f32 v9, v10, 0xcf800000, v9
	v_cvt_u32_f32_e32 v10, v10
	s_delay_alu instid0(VALU_DEP_2) | instskip(NEXT) | instid1(VALU_DEP_2)
	v_cvt_u32_f32_e32 v9, v9
	v_mul_lo_u32 v13, s2, v10
	s_delay_alu instid0(VALU_DEP_2) | instskip(SKIP_1) | instid1(VALU_DEP_2)
	v_mul_hi_u32 v14, s2, v9
	v_mul_lo_u32 v15, s5, v9
	v_add_nc_u32_e32 v13, v14, v13
	v_mul_lo_u32 v14, s2, v9
	s_delay_alu instid0(VALU_DEP_2) | instskip(NEXT) | instid1(VALU_DEP_2)
	v_add_nc_u32_e32 v13, v13, v15
	v_mul_hi_u32 v15, v9, v14
	s_delay_alu instid0(VALU_DEP_2)
	v_mul_lo_u32 v16, v9, v13
	v_mul_hi_u32 v17, v9, v13
	v_mul_hi_u32 v18, v10, v14
	v_mul_lo_u32 v14, v10, v14
	v_mul_hi_u32 v19, v10, v13
	v_mul_lo_u32 v13, v10, v13
	v_add_co_u32 v15, vcc_lo, v15, v16
	v_add_co_ci_u32_e32 v16, vcc_lo, 0, v17, vcc_lo
	s_delay_alu instid0(VALU_DEP_2) | instskip(NEXT) | instid1(VALU_DEP_2)
	v_add_co_u32 v14, vcc_lo, v15, v14
	v_add_co_ci_u32_e32 v14, vcc_lo, v16, v18, vcc_lo
	v_add_co_ci_u32_e32 v15, vcc_lo, 0, v19, vcc_lo
	v_ashrrev_i32_e32 v18, 31, v12
	s_delay_alu instid0(VALU_DEP_3) | instskip(NEXT) | instid1(VALU_DEP_3)
	v_add_co_u32 v13, vcc_lo, v14, v13
	v_add_co_ci_u32_e32 v14, vcc_lo, 0, v15, vcc_lo
	s_delay_alu instid0(VALU_DEP_2) | instskip(NEXT) | instid1(VALU_DEP_2)
	v_add_co_u32 v9, vcc_lo, v9, v13
	v_add_co_ci_u32_e32 v10, vcc_lo, v10, v14, vcc_lo
	s_delay_alu instid0(VALU_DEP_2) | instskip(SKIP_1) | instid1(VALU_DEP_3)
	v_mul_hi_u32 v13, s2, v9
	v_mul_lo_u32 v15, s5, v9
	v_mul_lo_u32 v14, s2, v10
	s_delay_alu instid0(VALU_DEP_1) | instskip(SKIP_1) | instid1(VALU_DEP_2)
	v_add_nc_u32_e32 v13, v13, v14
	v_mul_lo_u32 v14, s2, v9
	v_add_nc_u32_e32 v13, v13, v15
	s_delay_alu instid0(VALU_DEP_2) | instskip(NEXT) | instid1(VALU_DEP_2)
	v_mul_hi_u32 v15, v9, v14
	v_mul_lo_u32 v16, v9, v13
	v_mul_hi_u32 v17, v9, v13
	v_mul_hi_u32 v19, v10, v14
	v_mul_lo_u32 v14, v10, v14
	v_mul_hi_u32 v20, v10, v13
	v_mul_lo_u32 v13, v10, v13
	v_add_co_u32 v15, vcc_lo, v15, v16
	v_add_co_ci_u32_e32 v16, vcc_lo, 0, v17, vcc_lo
	s_delay_alu instid0(VALU_DEP_2) | instskip(NEXT) | instid1(VALU_DEP_2)
	v_add_co_u32 v14, vcc_lo, v15, v14
	v_add_co_ci_u32_e32 v14, vcc_lo, v16, v19, vcc_lo
	v_add_co_ci_u32_e32 v15, vcc_lo, 0, v20, vcc_lo
	v_add_co_u32 v11, vcc_lo, v11, v18
	v_add_co_ci_u32_e32 v12, vcc_lo, v12, v18, vcc_lo
	s_delay_alu instid0(VALU_DEP_4) | instskip(NEXT) | instid1(VALU_DEP_4)
	v_add_co_u32 v13, vcc_lo, v14, v13
	v_add_co_ci_u32_e32 v14, vcc_lo, 0, v15, vcc_lo
	s_delay_alu instid0(VALU_DEP_4) | instskip(NEXT) | instid1(VALU_DEP_3)
	v_xor_b32_e32 v15, v11, v18
	v_add_co_u32 v13, vcc_lo, v9, v13
	s_delay_alu instid0(VALU_DEP_3) | instskip(SKIP_1) | instid1(VALU_DEP_3)
	v_add_co_ci_u32_e32 v16, vcc_lo, v10, v14, vcc_lo
	v_xor_b32_e32 v17, v12, v18
	v_mul_hi_u32 v19, v15, v13
	s_delay_alu instid0(VALU_DEP_3) | instskip(NEXT) | instid1(VALU_DEP_3)
	v_mad_u64_u32 v[9:10], null, v15, v16, 0
	v_mad_u64_u32 v[11:12], null, v17, v13, 0
	;; [unrolled: 1-line block ×3, first 2 shown]
	s_delay_alu instid0(VALU_DEP_3) | instskip(NEXT) | instid1(VALU_DEP_4)
	v_add_co_u32 v9, vcc_lo, v19, v9
	v_add_co_ci_u32_e32 v10, vcc_lo, 0, v10, vcc_lo
	s_delay_alu instid0(VALU_DEP_2) | instskip(NEXT) | instid1(VALU_DEP_2)
	v_add_co_u32 v9, vcc_lo, v9, v11
	v_add_co_ci_u32_e32 v9, vcc_lo, v10, v12, vcc_lo
	v_add_co_ci_u32_e32 v10, vcc_lo, 0, v14, vcc_lo
	s_delay_alu instid0(VALU_DEP_2) | instskip(NEXT) | instid1(VALU_DEP_2)
	v_add_co_u32 v11, vcc_lo, v9, v13
	v_add_co_ci_u32_e32 v12, vcc_lo, 0, v10, vcc_lo
	s_delay_alu instid0(VALU_DEP_2) | instskip(SKIP_1) | instid1(VALU_DEP_3)
	v_mul_lo_u32 v13, s7, v11
	v_mad_u64_u32 v[9:10], null, s6, v11, 0
	v_mul_lo_u32 v14, s6, v12
	s_delay_alu instid0(VALU_DEP_2) | instskip(NEXT) | instid1(VALU_DEP_2)
	v_sub_co_u32 v9, vcc_lo, v15, v9
	v_add3_u32 v10, v10, v14, v13
	s_delay_alu instid0(VALU_DEP_1) | instskip(NEXT) | instid1(VALU_DEP_1)
	v_sub_nc_u32_e32 v13, v17, v10
	v_subrev_co_ci_u32_e64 v13, s2, s7, v13, vcc_lo
	v_add_co_u32 v14, s2, v11, 2
	s_delay_alu instid0(VALU_DEP_1) | instskip(SKIP_3) | instid1(VALU_DEP_3)
	v_add_co_ci_u32_e64 v15, s2, 0, v12, s2
	v_sub_co_u32 v16, s2, v9, s6
	v_sub_co_ci_u32_e32 v10, vcc_lo, v17, v10, vcc_lo
	v_subrev_co_ci_u32_e64 v13, s2, 0, v13, s2
	v_cmp_le_u32_e32 vcc_lo, s6, v16
	s_delay_alu instid0(VALU_DEP_3) | instskip(SKIP_1) | instid1(VALU_DEP_4)
	v_cmp_eq_u32_e64 s2, s7, v10
	v_cndmask_b32_e64 v16, 0, -1, vcc_lo
	v_cmp_le_u32_e32 vcc_lo, s7, v13
	v_cndmask_b32_e64 v17, 0, -1, vcc_lo
	v_cmp_le_u32_e32 vcc_lo, s6, v9
	v_cndmask_b32_e64 v9, 0, -1, vcc_lo
	v_cmp_le_u32_e32 vcc_lo, s7, v10
	v_cndmask_b32_e64 v19, 0, -1, vcc_lo
	v_cmp_eq_u32_e32 vcc_lo, s7, v13
	s_delay_alu instid0(VALU_DEP_2) | instskip(SKIP_3) | instid1(VALU_DEP_3)
	v_cndmask_b32_e64 v9, v19, v9, s2
	v_cndmask_b32_e32 v13, v17, v16, vcc_lo
	v_add_co_u32 v16, vcc_lo, v11, 1
	v_add_co_ci_u32_e32 v17, vcc_lo, 0, v12, vcc_lo
	v_cmp_ne_u32_e32 vcc_lo, 0, v13
	s_delay_alu instid0(VALU_DEP_2) | instskip(SKIP_2) | instid1(VALU_DEP_3)
	v_dual_cndmask_b32 v10, v17, v15 :: v_dual_cndmask_b32 v13, v16, v14
	v_cmp_ne_u32_e32 vcc_lo, 0, v9
	v_xor_b32_e32 v14, s4, v18
	v_dual_cndmask_b32 v9, v12, v10 :: v_dual_cndmask_b32 v10, v11, v13
	s_delay_alu instid0(VALU_DEP_1) | instskip(NEXT) | instid1(VALU_DEP_2)
	v_xor_b32_e32 v11, v9, v14
	v_xor_b32_e32 v10, v10, v14
	s_delay_alu instid0(VALU_DEP_1) | instskip(NEXT) | instid1(VALU_DEP_3)
	v_sub_co_u32 v9, vcc_lo, v10, v14
	v_sub_co_ci_u32_e32 v10, vcc_lo, v11, v14, vcc_lo
                                        ; implicit-def: $vgpr11
.LBB1159_19:
	s_and_not1_saveexec_b32 s2, s3
	s_cbranch_execz .LBB1159_21
; %bb.20:
	v_cvt_f32_u32_e32 v9, s38
	s_sub_i32 s3, 0, s38
	s_delay_alu instid0(VALU_DEP_1) | instskip(SKIP_2) | instid1(VALU_DEP_1)
	v_rcp_iflag_f32_e32 v9, v9
	s_waitcnt_depctr 0xfff
	v_mul_f32_e32 v9, 0x4f7ffffe, v9
	v_cvt_u32_f32_e32 v9, v9
	s_delay_alu instid0(VALU_DEP_1) | instskip(NEXT) | instid1(VALU_DEP_1)
	v_mul_lo_u32 v10, s3, v9
	v_mul_hi_u32 v10, v9, v10
	s_delay_alu instid0(VALU_DEP_1) | instskip(NEXT) | instid1(VALU_DEP_1)
	v_add_nc_u32_e32 v9, v9, v10
	v_mul_hi_u32 v9, v11, v9
	s_delay_alu instid0(VALU_DEP_1) | instskip(NEXT) | instid1(VALU_DEP_1)
	v_mul_lo_u32 v10, v9, s38
	v_sub_nc_u32_e32 v10, v11, v10
	v_add_nc_u32_e32 v11, 1, v9
	s_delay_alu instid0(VALU_DEP_2) | instskip(SKIP_1) | instid1(VALU_DEP_2)
	v_subrev_nc_u32_e32 v12, s38, v10
	v_cmp_le_u32_e32 vcc_lo, s38, v10
	v_dual_cndmask_b32 v10, v10, v12 :: v_dual_cndmask_b32 v9, v9, v11
	s_delay_alu instid0(VALU_DEP_1) | instskip(NEXT) | instid1(VALU_DEP_2)
	v_cmp_le_u32_e32 vcc_lo, s38, v10
	v_dual_mov_b32 v10, 0 :: v_dual_add_nc_u32 v11, 1, v9
	s_delay_alu instid0(VALU_DEP_1)
	v_cndmask_b32_e32 v9, v9, v11, vcc_lo
.LBB1159_21:
	s_or_b32 exec_lo, exec_lo, s2
	v_add_co_u32 v13, vcc_lo, 0x500, v29
	v_add_co_ci_u32_e32 v14, vcc_lo, 0, v30, vcc_lo
	v_mov_b32_e32 v11, 0
	s_delay_alu instid0(VALU_DEP_2) | instskip(NEXT) | instid1(VALU_DEP_1)
	v_or_b32_e32 v12, s39, v14
	v_cmp_ne_u64_e32 vcc_lo, 0, v[11:12]
                                        ; implicit-def: $vgpr11_vgpr12
	s_and_saveexec_b32 s2, vcc_lo
	s_delay_alu instid0(SALU_CYCLE_1)
	s_xor_b32 s3, exec_lo, s2
	s_cbranch_execz .LBB1159_23
; %bb.22:
	s_ashr_i32 s4, s39, 31
	s_delay_alu instid0(SALU_CYCLE_1) | instskip(SKIP_2) | instid1(SALU_CYCLE_1)
	s_add_u32 s6, s38, s4
	s_mov_b32 s5, s4
	s_addc_u32 s7, s39, s4
	s_xor_b64 s[6:7], s[6:7], s[4:5]
	s_delay_alu instid0(SALU_CYCLE_1) | instskip(SKIP_3) | instid1(VALU_DEP_1)
	v_cvt_f32_u32_e32 v11, s6
	v_cvt_f32_u32_e32 v12, s7
	s_sub_u32 s2, 0, s6
	s_subb_u32 s5, 0, s7
	v_fmamk_f32 v11, v12, 0x4f800000, v11
	s_delay_alu instid0(VALU_DEP_1) | instskip(SKIP_2) | instid1(VALU_DEP_1)
	v_rcp_f32_e32 v11, v11
	s_waitcnt_depctr 0xfff
	v_mul_f32_e32 v11, 0x5f7ffffc, v11
	v_mul_f32_e32 v12, 0x2f800000, v11
	s_delay_alu instid0(VALU_DEP_1) | instskip(NEXT) | instid1(VALU_DEP_1)
	v_trunc_f32_e32 v12, v12
	v_fmamk_f32 v11, v12, 0xcf800000, v11
	v_cvt_u32_f32_e32 v12, v12
	s_delay_alu instid0(VALU_DEP_2) | instskip(NEXT) | instid1(VALU_DEP_2)
	v_cvt_u32_f32_e32 v11, v11
	v_mul_lo_u32 v15, s2, v12
	s_delay_alu instid0(VALU_DEP_2) | instskip(SKIP_1) | instid1(VALU_DEP_2)
	v_mul_hi_u32 v16, s2, v11
	v_mul_lo_u32 v17, s5, v11
	v_add_nc_u32_e32 v15, v16, v15
	v_mul_lo_u32 v16, s2, v11
	s_delay_alu instid0(VALU_DEP_2) | instskip(NEXT) | instid1(VALU_DEP_2)
	v_add_nc_u32_e32 v15, v15, v17
	v_mul_hi_u32 v17, v11, v16
	s_delay_alu instid0(VALU_DEP_2)
	v_mul_lo_u32 v18, v11, v15
	v_mul_hi_u32 v19, v11, v15
	v_mul_hi_u32 v20, v12, v16
	v_mul_lo_u32 v16, v12, v16
	v_mul_hi_u32 v21, v12, v15
	v_mul_lo_u32 v15, v12, v15
	v_add_co_u32 v17, vcc_lo, v17, v18
	v_add_co_ci_u32_e32 v18, vcc_lo, 0, v19, vcc_lo
	s_delay_alu instid0(VALU_DEP_2) | instskip(NEXT) | instid1(VALU_DEP_2)
	v_add_co_u32 v16, vcc_lo, v17, v16
	v_add_co_ci_u32_e32 v16, vcc_lo, v18, v20, vcc_lo
	v_add_co_ci_u32_e32 v17, vcc_lo, 0, v21, vcc_lo
	v_ashrrev_i32_e32 v20, 31, v14
	s_delay_alu instid0(VALU_DEP_3) | instskip(NEXT) | instid1(VALU_DEP_3)
	v_add_co_u32 v15, vcc_lo, v16, v15
	v_add_co_ci_u32_e32 v16, vcc_lo, 0, v17, vcc_lo
	s_delay_alu instid0(VALU_DEP_2) | instskip(NEXT) | instid1(VALU_DEP_2)
	v_add_co_u32 v11, vcc_lo, v11, v15
	v_add_co_ci_u32_e32 v12, vcc_lo, v12, v16, vcc_lo
	s_delay_alu instid0(VALU_DEP_2) | instskip(SKIP_1) | instid1(VALU_DEP_3)
	v_mul_hi_u32 v15, s2, v11
	v_mul_lo_u32 v17, s5, v11
	v_mul_lo_u32 v16, s2, v12
	s_delay_alu instid0(VALU_DEP_1) | instskip(SKIP_1) | instid1(VALU_DEP_2)
	v_add_nc_u32_e32 v15, v15, v16
	v_mul_lo_u32 v16, s2, v11
	v_add_nc_u32_e32 v15, v15, v17
	s_delay_alu instid0(VALU_DEP_2) | instskip(NEXT) | instid1(VALU_DEP_2)
	v_mul_hi_u32 v17, v11, v16
	v_mul_lo_u32 v18, v11, v15
	v_mul_hi_u32 v19, v11, v15
	v_mul_hi_u32 v21, v12, v16
	v_mul_lo_u32 v16, v12, v16
	v_mul_hi_u32 v22, v12, v15
	v_mul_lo_u32 v15, v12, v15
	v_add_co_u32 v17, vcc_lo, v17, v18
	v_add_co_ci_u32_e32 v18, vcc_lo, 0, v19, vcc_lo
	s_delay_alu instid0(VALU_DEP_2) | instskip(NEXT) | instid1(VALU_DEP_2)
	v_add_co_u32 v16, vcc_lo, v17, v16
	v_add_co_ci_u32_e32 v16, vcc_lo, v18, v21, vcc_lo
	v_add_co_ci_u32_e32 v17, vcc_lo, 0, v22, vcc_lo
	v_add_co_u32 v13, vcc_lo, v13, v20
	v_add_co_ci_u32_e32 v14, vcc_lo, v14, v20, vcc_lo
	s_delay_alu instid0(VALU_DEP_4) | instskip(NEXT) | instid1(VALU_DEP_4)
	v_add_co_u32 v15, vcc_lo, v16, v15
	v_add_co_ci_u32_e32 v16, vcc_lo, 0, v17, vcc_lo
	s_delay_alu instid0(VALU_DEP_4) | instskip(NEXT) | instid1(VALU_DEP_3)
	v_xor_b32_e32 v17, v13, v20
	v_add_co_u32 v15, vcc_lo, v11, v15
	s_delay_alu instid0(VALU_DEP_3) | instskip(SKIP_1) | instid1(VALU_DEP_3)
	v_add_co_ci_u32_e32 v18, vcc_lo, v12, v16, vcc_lo
	v_xor_b32_e32 v19, v14, v20
	v_mul_hi_u32 v21, v17, v15
	s_delay_alu instid0(VALU_DEP_3) | instskip(NEXT) | instid1(VALU_DEP_3)
	v_mad_u64_u32 v[11:12], null, v17, v18, 0
	v_mad_u64_u32 v[13:14], null, v19, v15, 0
	v_mad_u64_u32 v[15:16], null, v19, v18, 0
	s_delay_alu instid0(VALU_DEP_3) | instskip(NEXT) | instid1(VALU_DEP_4)
	v_add_co_u32 v11, vcc_lo, v21, v11
	v_add_co_ci_u32_e32 v12, vcc_lo, 0, v12, vcc_lo
	s_delay_alu instid0(VALU_DEP_2) | instskip(NEXT) | instid1(VALU_DEP_2)
	v_add_co_u32 v11, vcc_lo, v11, v13
	v_add_co_ci_u32_e32 v11, vcc_lo, v12, v14, vcc_lo
	v_add_co_ci_u32_e32 v12, vcc_lo, 0, v16, vcc_lo
	s_delay_alu instid0(VALU_DEP_2) | instskip(NEXT) | instid1(VALU_DEP_2)
	v_add_co_u32 v13, vcc_lo, v11, v15
	v_add_co_ci_u32_e32 v14, vcc_lo, 0, v12, vcc_lo
	s_delay_alu instid0(VALU_DEP_2) | instskip(SKIP_1) | instid1(VALU_DEP_3)
	v_mul_lo_u32 v15, s7, v13
	v_mad_u64_u32 v[11:12], null, s6, v13, 0
	v_mul_lo_u32 v16, s6, v14
	s_delay_alu instid0(VALU_DEP_2) | instskip(NEXT) | instid1(VALU_DEP_2)
	v_sub_co_u32 v11, vcc_lo, v17, v11
	v_add3_u32 v12, v12, v16, v15
	s_delay_alu instid0(VALU_DEP_1) | instskip(NEXT) | instid1(VALU_DEP_1)
	v_sub_nc_u32_e32 v15, v19, v12
	v_subrev_co_ci_u32_e64 v15, s2, s7, v15, vcc_lo
	v_add_co_u32 v16, s2, v13, 2
	s_delay_alu instid0(VALU_DEP_1) | instskip(SKIP_3) | instid1(VALU_DEP_3)
	v_add_co_ci_u32_e64 v17, s2, 0, v14, s2
	v_sub_co_u32 v18, s2, v11, s6
	v_sub_co_ci_u32_e32 v12, vcc_lo, v19, v12, vcc_lo
	v_subrev_co_ci_u32_e64 v15, s2, 0, v15, s2
	v_cmp_le_u32_e32 vcc_lo, s6, v18
	s_delay_alu instid0(VALU_DEP_3) | instskip(SKIP_1) | instid1(VALU_DEP_4)
	v_cmp_eq_u32_e64 s2, s7, v12
	v_cndmask_b32_e64 v18, 0, -1, vcc_lo
	v_cmp_le_u32_e32 vcc_lo, s7, v15
	v_cndmask_b32_e64 v19, 0, -1, vcc_lo
	v_cmp_le_u32_e32 vcc_lo, s6, v11
	;; [unrolled: 2-line block ×3, first 2 shown]
	v_cndmask_b32_e64 v21, 0, -1, vcc_lo
	v_cmp_eq_u32_e32 vcc_lo, s7, v15
	s_delay_alu instid0(VALU_DEP_2) | instskip(SKIP_3) | instid1(VALU_DEP_3)
	v_cndmask_b32_e64 v11, v21, v11, s2
	v_cndmask_b32_e32 v15, v19, v18, vcc_lo
	v_add_co_u32 v18, vcc_lo, v13, 1
	v_add_co_ci_u32_e32 v19, vcc_lo, 0, v14, vcc_lo
	v_cmp_ne_u32_e32 vcc_lo, 0, v15
	s_delay_alu instid0(VALU_DEP_2) | instskip(SKIP_2) | instid1(VALU_DEP_3)
	v_dual_cndmask_b32 v12, v19, v17 :: v_dual_cndmask_b32 v15, v18, v16
	v_cmp_ne_u32_e32 vcc_lo, 0, v11
	v_xor_b32_e32 v16, s4, v20
	v_dual_cndmask_b32 v11, v14, v12 :: v_dual_cndmask_b32 v12, v13, v15
	s_delay_alu instid0(VALU_DEP_1) | instskip(NEXT) | instid1(VALU_DEP_2)
	v_xor_b32_e32 v13, v11, v16
	v_xor_b32_e32 v12, v12, v16
	s_delay_alu instid0(VALU_DEP_1) | instskip(NEXT) | instid1(VALU_DEP_3)
	v_sub_co_u32 v11, vcc_lo, v12, v16
	v_sub_co_ci_u32_e32 v12, vcc_lo, v13, v16, vcc_lo
                                        ; implicit-def: $vgpr13
.LBB1159_23:
	s_and_not1_saveexec_b32 s2, s3
	s_cbranch_execz .LBB1159_25
; %bb.24:
	v_cvt_f32_u32_e32 v11, s38
	s_sub_i32 s3, 0, s38
	s_delay_alu instid0(VALU_DEP_1) | instskip(SKIP_2) | instid1(VALU_DEP_1)
	v_rcp_iflag_f32_e32 v11, v11
	s_waitcnt_depctr 0xfff
	v_mul_f32_e32 v11, 0x4f7ffffe, v11
	v_cvt_u32_f32_e32 v11, v11
	s_delay_alu instid0(VALU_DEP_1) | instskip(NEXT) | instid1(VALU_DEP_1)
	v_mul_lo_u32 v12, s3, v11
	v_mul_hi_u32 v12, v11, v12
	s_delay_alu instid0(VALU_DEP_1) | instskip(NEXT) | instid1(VALU_DEP_1)
	v_add_nc_u32_e32 v11, v11, v12
	v_mul_hi_u32 v11, v13, v11
	s_delay_alu instid0(VALU_DEP_1) | instskip(NEXT) | instid1(VALU_DEP_1)
	v_mul_lo_u32 v12, v11, s38
	v_sub_nc_u32_e32 v12, v13, v12
	v_add_nc_u32_e32 v13, 1, v11
	s_delay_alu instid0(VALU_DEP_2) | instskip(SKIP_1) | instid1(VALU_DEP_2)
	v_subrev_nc_u32_e32 v14, s38, v12
	v_cmp_le_u32_e32 vcc_lo, s38, v12
	v_dual_cndmask_b32 v12, v12, v14 :: v_dual_cndmask_b32 v11, v11, v13
	s_delay_alu instid0(VALU_DEP_1) | instskip(NEXT) | instid1(VALU_DEP_2)
	v_cmp_le_u32_e32 vcc_lo, s38, v12
	v_dual_mov_b32 v12, 0 :: v_dual_add_nc_u32 v13, 1, v11
	s_delay_alu instid0(VALU_DEP_1)
	v_cndmask_b32_e32 v11, v11, v13, vcc_lo
.LBB1159_25:
	s_or_b32 exec_lo, exec_lo, s2
	v_add_co_u32 v15, vcc_lo, 0x600, v29
	v_add_co_ci_u32_e32 v16, vcc_lo, 0, v30, vcc_lo
	v_mov_b32_e32 v13, 0
	s_delay_alu instid0(VALU_DEP_2) | instskip(NEXT) | instid1(VALU_DEP_1)
	v_or_b32_e32 v14, s39, v16
	v_cmp_ne_u64_e32 vcc_lo, 0, v[13:14]
                                        ; implicit-def: $vgpr13_vgpr14
	s_and_saveexec_b32 s2, vcc_lo
	s_delay_alu instid0(SALU_CYCLE_1)
	s_xor_b32 s3, exec_lo, s2
	s_cbranch_execz .LBB1159_27
; %bb.26:
	s_ashr_i32 s4, s39, 31
	s_delay_alu instid0(SALU_CYCLE_1) | instskip(SKIP_2) | instid1(SALU_CYCLE_1)
	s_add_u32 s6, s38, s4
	s_mov_b32 s5, s4
	s_addc_u32 s7, s39, s4
	s_xor_b64 s[6:7], s[6:7], s[4:5]
	s_delay_alu instid0(SALU_CYCLE_1) | instskip(SKIP_3) | instid1(VALU_DEP_1)
	v_cvt_f32_u32_e32 v13, s6
	v_cvt_f32_u32_e32 v14, s7
	s_sub_u32 s2, 0, s6
	s_subb_u32 s5, 0, s7
	v_fmamk_f32 v13, v14, 0x4f800000, v13
	s_delay_alu instid0(VALU_DEP_1) | instskip(SKIP_2) | instid1(VALU_DEP_1)
	v_rcp_f32_e32 v13, v13
	s_waitcnt_depctr 0xfff
	v_mul_f32_e32 v13, 0x5f7ffffc, v13
	v_mul_f32_e32 v14, 0x2f800000, v13
	s_delay_alu instid0(VALU_DEP_1) | instskip(NEXT) | instid1(VALU_DEP_1)
	v_trunc_f32_e32 v14, v14
	v_fmamk_f32 v13, v14, 0xcf800000, v13
	v_cvt_u32_f32_e32 v14, v14
	s_delay_alu instid0(VALU_DEP_2) | instskip(NEXT) | instid1(VALU_DEP_2)
	v_cvt_u32_f32_e32 v13, v13
	v_mul_lo_u32 v17, s2, v14
	s_delay_alu instid0(VALU_DEP_2) | instskip(SKIP_1) | instid1(VALU_DEP_2)
	v_mul_hi_u32 v18, s2, v13
	v_mul_lo_u32 v19, s5, v13
	v_add_nc_u32_e32 v17, v18, v17
	v_mul_lo_u32 v18, s2, v13
	s_delay_alu instid0(VALU_DEP_2) | instskip(NEXT) | instid1(VALU_DEP_2)
	v_add_nc_u32_e32 v17, v17, v19
	v_mul_hi_u32 v19, v13, v18
	s_delay_alu instid0(VALU_DEP_2)
	v_mul_lo_u32 v20, v13, v17
	v_mul_hi_u32 v21, v13, v17
	v_mul_hi_u32 v22, v14, v18
	v_mul_lo_u32 v18, v14, v18
	v_mul_hi_u32 v23, v14, v17
	v_mul_lo_u32 v17, v14, v17
	v_add_co_u32 v19, vcc_lo, v19, v20
	v_add_co_ci_u32_e32 v20, vcc_lo, 0, v21, vcc_lo
	s_delay_alu instid0(VALU_DEP_2) | instskip(NEXT) | instid1(VALU_DEP_2)
	v_add_co_u32 v18, vcc_lo, v19, v18
	v_add_co_ci_u32_e32 v18, vcc_lo, v20, v22, vcc_lo
	v_add_co_ci_u32_e32 v19, vcc_lo, 0, v23, vcc_lo
	v_ashrrev_i32_e32 v22, 31, v16
	s_delay_alu instid0(VALU_DEP_3) | instskip(NEXT) | instid1(VALU_DEP_3)
	v_add_co_u32 v17, vcc_lo, v18, v17
	v_add_co_ci_u32_e32 v18, vcc_lo, 0, v19, vcc_lo
	s_delay_alu instid0(VALU_DEP_2) | instskip(NEXT) | instid1(VALU_DEP_2)
	v_add_co_u32 v13, vcc_lo, v13, v17
	v_add_co_ci_u32_e32 v14, vcc_lo, v14, v18, vcc_lo
	s_delay_alu instid0(VALU_DEP_2) | instskip(SKIP_1) | instid1(VALU_DEP_3)
	v_mul_hi_u32 v17, s2, v13
	v_mul_lo_u32 v19, s5, v13
	v_mul_lo_u32 v18, s2, v14
	s_delay_alu instid0(VALU_DEP_1) | instskip(SKIP_1) | instid1(VALU_DEP_2)
	v_add_nc_u32_e32 v17, v17, v18
	v_mul_lo_u32 v18, s2, v13
	v_add_nc_u32_e32 v17, v17, v19
	s_delay_alu instid0(VALU_DEP_2) | instskip(NEXT) | instid1(VALU_DEP_2)
	v_mul_hi_u32 v19, v13, v18
	v_mul_lo_u32 v20, v13, v17
	v_mul_hi_u32 v21, v13, v17
	v_mul_hi_u32 v23, v14, v18
	v_mul_lo_u32 v18, v14, v18
	v_mul_hi_u32 v24, v14, v17
	v_mul_lo_u32 v17, v14, v17
	v_add_co_u32 v19, vcc_lo, v19, v20
	v_add_co_ci_u32_e32 v20, vcc_lo, 0, v21, vcc_lo
	s_delay_alu instid0(VALU_DEP_2) | instskip(NEXT) | instid1(VALU_DEP_2)
	v_add_co_u32 v18, vcc_lo, v19, v18
	v_add_co_ci_u32_e32 v18, vcc_lo, v20, v23, vcc_lo
	v_add_co_ci_u32_e32 v19, vcc_lo, 0, v24, vcc_lo
	v_add_co_u32 v15, vcc_lo, v15, v22
	v_add_co_ci_u32_e32 v16, vcc_lo, v16, v22, vcc_lo
	s_delay_alu instid0(VALU_DEP_4) | instskip(NEXT) | instid1(VALU_DEP_4)
	v_add_co_u32 v17, vcc_lo, v18, v17
	v_add_co_ci_u32_e32 v18, vcc_lo, 0, v19, vcc_lo
	s_delay_alu instid0(VALU_DEP_4) | instskip(NEXT) | instid1(VALU_DEP_3)
	v_xor_b32_e32 v19, v15, v22
	v_add_co_u32 v17, vcc_lo, v13, v17
	s_delay_alu instid0(VALU_DEP_3) | instskip(SKIP_1) | instid1(VALU_DEP_3)
	v_add_co_ci_u32_e32 v20, vcc_lo, v14, v18, vcc_lo
	v_xor_b32_e32 v21, v16, v22
	v_mul_hi_u32 v23, v19, v17
	s_delay_alu instid0(VALU_DEP_3) | instskip(NEXT) | instid1(VALU_DEP_3)
	v_mad_u64_u32 v[13:14], null, v19, v20, 0
	v_mad_u64_u32 v[15:16], null, v21, v17, 0
	;; [unrolled: 1-line block ×3, first 2 shown]
	s_delay_alu instid0(VALU_DEP_3) | instskip(NEXT) | instid1(VALU_DEP_4)
	v_add_co_u32 v13, vcc_lo, v23, v13
	v_add_co_ci_u32_e32 v14, vcc_lo, 0, v14, vcc_lo
	s_delay_alu instid0(VALU_DEP_2) | instskip(NEXT) | instid1(VALU_DEP_2)
	v_add_co_u32 v13, vcc_lo, v13, v15
	v_add_co_ci_u32_e32 v13, vcc_lo, v14, v16, vcc_lo
	v_add_co_ci_u32_e32 v14, vcc_lo, 0, v18, vcc_lo
	s_delay_alu instid0(VALU_DEP_2) | instskip(NEXT) | instid1(VALU_DEP_2)
	v_add_co_u32 v15, vcc_lo, v13, v17
	v_add_co_ci_u32_e32 v16, vcc_lo, 0, v14, vcc_lo
	s_delay_alu instid0(VALU_DEP_2) | instskip(SKIP_1) | instid1(VALU_DEP_3)
	v_mul_lo_u32 v17, s7, v15
	v_mad_u64_u32 v[13:14], null, s6, v15, 0
	v_mul_lo_u32 v18, s6, v16
	s_delay_alu instid0(VALU_DEP_2) | instskip(NEXT) | instid1(VALU_DEP_2)
	v_sub_co_u32 v13, vcc_lo, v19, v13
	v_add3_u32 v14, v14, v18, v17
	s_delay_alu instid0(VALU_DEP_1) | instskip(NEXT) | instid1(VALU_DEP_1)
	v_sub_nc_u32_e32 v17, v21, v14
	v_subrev_co_ci_u32_e64 v17, s2, s7, v17, vcc_lo
	v_add_co_u32 v18, s2, v15, 2
	s_delay_alu instid0(VALU_DEP_1) | instskip(SKIP_3) | instid1(VALU_DEP_3)
	v_add_co_ci_u32_e64 v19, s2, 0, v16, s2
	v_sub_co_u32 v20, s2, v13, s6
	v_sub_co_ci_u32_e32 v14, vcc_lo, v21, v14, vcc_lo
	v_subrev_co_ci_u32_e64 v17, s2, 0, v17, s2
	v_cmp_le_u32_e32 vcc_lo, s6, v20
	s_delay_alu instid0(VALU_DEP_3) | instskip(SKIP_1) | instid1(VALU_DEP_4)
	v_cmp_eq_u32_e64 s2, s7, v14
	v_cndmask_b32_e64 v20, 0, -1, vcc_lo
	v_cmp_le_u32_e32 vcc_lo, s7, v17
	v_cndmask_b32_e64 v21, 0, -1, vcc_lo
	v_cmp_le_u32_e32 vcc_lo, s6, v13
	;; [unrolled: 2-line block ×3, first 2 shown]
	v_cndmask_b32_e64 v23, 0, -1, vcc_lo
	v_cmp_eq_u32_e32 vcc_lo, s7, v17
	s_delay_alu instid0(VALU_DEP_2) | instskip(SKIP_3) | instid1(VALU_DEP_3)
	v_cndmask_b32_e64 v13, v23, v13, s2
	v_cndmask_b32_e32 v17, v21, v20, vcc_lo
	v_add_co_u32 v20, vcc_lo, v15, 1
	v_add_co_ci_u32_e32 v21, vcc_lo, 0, v16, vcc_lo
	v_cmp_ne_u32_e32 vcc_lo, 0, v17
	s_delay_alu instid0(VALU_DEP_2) | instskip(SKIP_2) | instid1(VALU_DEP_3)
	v_dual_cndmask_b32 v14, v21, v19 :: v_dual_cndmask_b32 v17, v20, v18
	v_cmp_ne_u32_e32 vcc_lo, 0, v13
	v_xor_b32_e32 v18, s4, v22
	v_dual_cndmask_b32 v13, v16, v14 :: v_dual_cndmask_b32 v14, v15, v17
	s_delay_alu instid0(VALU_DEP_1) | instskip(NEXT) | instid1(VALU_DEP_2)
	v_xor_b32_e32 v15, v13, v18
	v_xor_b32_e32 v14, v14, v18
	s_delay_alu instid0(VALU_DEP_1) | instskip(NEXT) | instid1(VALU_DEP_3)
	v_sub_co_u32 v13, vcc_lo, v14, v18
	v_sub_co_ci_u32_e32 v14, vcc_lo, v15, v18, vcc_lo
                                        ; implicit-def: $vgpr15
.LBB1159_27:
	s_and_not1_saveexec_b32 s2, s3
	s_cbranch_execz .LBB1159_29
; %bb.28:
	v_cvt_f32_u32_e32 v13, s38
	s_sub_i32 s3, 0, s38
	s_delay_alu instid0(VALU_DEP_1) | instskip(SKIP_2) | instid1(VALU_DEP_1)
	v_rcp_iflag_f32_e32 v13, v13
	s_waitcnt_depctr 0xfff
	v_mul_f32_e32 v13, 0x4f7ffffe, v13
	v_cvt_u32_f32_e32 v13, v13
	s_delay_alu instid0(VALU_DEP_1) | instskip(NEXT) | instid1(VALU_DEP_1)
	v_mul_lo_u32 v14, s3, v13
	v_mul_hi_u32 v14, v13, v14
	s_delay_alu instid0(VALU_DEP_1) | instskip(NEXT) | instid1(VALU_DEP_1)
	v_add_nc_u32_e32 v13, v13, v14
	v_mul_hi_u32 v13, v15, v13
	s_delay_alu instid0(VALU_DEP_1) | instskip(NEXT) | instid1(VALU_DEP_1)
	v_mul_lo_u32 v14, v13, s38
	v_sub_nc_u32_e32 v14, v15, v14
	v_add_nc_u32_e32 v15, 1, v13
	s_delay_alu instid0(VALU_DEP_2) | instskip(SKIP_1) | instid1(VALU_DEP_2)
	v_subrev_nc_u32_e32 v16, s38, v14
	v_cmp_le_u32_e32 vcc_lo, s38, v14
	v_dual_cndmask_b32 v14, v14, v16 :: v_dual_cndmask_b32 v13, v13, v15
	s_delay_alu instid0(VALU_DEP_1) | instskip(NEXT) | instid1(VALU_DEP_2)
	v_cmp_le_u32_e32 vcc_lo, s38, v14
	v_dual_mov_b32 v14, 0 :: v_dual_add_nc_u32 v15, 1, v13
	s_delay_alu instid0(VALU_DEP_1)
	v_cndmask_b32_e32 v13, v13, v15, vcc_lo
.LBB1159_29:
	s_or_b32 exec_lo, exec_lo, s2
	v_add_co_u32 v17, vcc_lo, 0x700, v29
	v_add_co_ci_u32_e32 v18, vcc_lo, 0, v30, vcc_lo
	v_mov_b32_e32 v15, 0
	s_delay_alu instid0(VALU_DEP_2) | instskip(NEXT) | instid1(VALU_DEP_1)
	v_or_b32_e32 v16, s39, v18
	v_cmp_ne_u64_e32 vcc_lo, 0, v[15:16]
                                        ; implicit-def: $vgpr15_vgpr16
	s_and_saveexec_b32 s2, vcc_lo
	s_delay_alu instid0(SALU_CYCLE_1)
	s_xor_b32 s3, exec_lo, s2
	s_cbranch_execz .LBB1159_31
; %bb.30:
	s_ashr_i32 s4, s39, 31
	s_delay_alu instid0(SALU_CYCLE_1) | instskip(SKIP_2) | instid1(SALU_CYCLE_1)
	s_add_u32 s6, s38, s4
	s_mov_b32 s5, s4
	s_addc_u32 s7, s39, s4
	s_xor_b64 s[6:7], s[6:7], s[4:5]
	s_delay_alu instid0(SALU_CYCLE_1) | instskip(SKIP_3) | instid1(VALU_DEP_1)
	v_cvt_f32_u32_e32 v15, s6
	v_cvt_f32_u32_e32 v16, s7
	s_sub_u32 s2, 0, s6
	s_subb_u32 s5, 0, s7
	v_fmamk_f32 v15, v16, 0x4f800000, v15
	s_delay_alu instid0(VALU_DEP_1) | instskip(SKIP_2) | instid1(VALU_DEP_1)
	v_rcp_f32_e32 v15, v15
	s_waitcnt_depctr 0xfff
	v_mul_f32_e32 v15, 0x5f7ffffc, v15
	v_mul_f32_e32 v16, 0x2f800000, v15
	s_delay_alu instid0(VALU_DEP_1) | instskip(NEXT) | instid1(VALU_DEP_1)
	v_trunc_f32_e32 v16, v16
	v_fmamk_f32 v15, v16, 0xcf800000, v15
	v_cvt_u32_f32_e32 v16, v16
	s_delay_alu instid0(VALU_DEP_2) | instskip(NEXT) | instid1(VALU_DEP_2)
	v_cvt_u32_f32_e32 v15, v15
	v_mul_lo_u32 v19, s2, v16
	s_delay_alu instid0(VALU_DEP_2) | instskip(SKIP_1) | instid1(VALU_DEP_2)
	v_mul_hi_u32 v20, s2, v15
	v_mul_lo_u32 v21, s5, v15
	v_add_nc_u32_e32 v19, v20, v19
	v_mul_lo_u32 v20, s2, v15
	s_delay_alu instid0(VALU_DEP_2) | instskip(NEXT) | instid1(VALU_DEP_2)
	v_add_nc_u32_e32 v19, v19, v21
	v_mul_hi_u32 v21, v15, v20
	s_delay_alu instid0(VALU_DEP_2)
	v_mul_lo_u32 v22, v15, v19
	v_mul_hi_u32 v23, v15, v19
	v_mul_hi_u32 v24, v16, v20
	v_mul_lo_u32 v20, v16, v20
	v_mul_hi_u32 v25, v16, v19
	v_mul_lo_u32 v19, v16, v19
	v_add_co_u32 v21, vcc_lo, v21, v22
	v_add_co_ci_u32_e32 v22, vcc_lo, 0, v23, vcc_lo
	s_delay_alu instid0(VALU_DEP_2) | instskip(NEXT) | instid1(VALU_DEP_2)
	v_add_co_u32 v20, vcc_lo, v21, v20
	v_add_co_ci_u32_e32 v20, vcc_lo, v22, v24, vcc_lo
	v_add_co_ci_u32_e32 v21, vcc_lo, 0, v25, vcc_lo
	v_ashrrev_i32_e32 v24, 31, v18
	s_delay_alu instid0(VALU_DEP_3) | instskip(NEXT) | instid1(VALU_DEP_3)
	v_add_co_u32 v19, vcc_lo, v20, v19
	v_add_co_ci_u32_e32 v20, vcc_lo, 0, v21, vcc_lo
	s_delay_alu instid0(VALU_DEP_2) | instskip(NEXT) | instid1(VALU_DEP_2)
	v_add_co_u32 v15, vcc_lo, v15, v19
	v_add_co_ci_u32_e32 v16, vcc_lo, v16, v20, vcc_lo
	s_delay_alu instid0(VALU_DEP_2) | instskip(SKIP_1) | instid1(VALU_DEP_3)
	v_mul_hi_u32 v19, s2, v15
	v_mul_lo_u32 v21, s5, v15
	v_mul_lo_u32 v20, s2, v16
	s_delay_alu instid0(VALU_DEP_1) | instskip(SKIP_1) | instid1(VALU_DEP_2)
	v_add_nc_u32_e32 v19, v19, v20
	v_mul_lo_u32 v20, s2, v15
	v_add_nc_u32_e32 v19, v19, v21
	s_delay_alu instid0(VALU_DEP_2) | instskip(NEXT) | instid1(VALU_DEP_2)
	v_mul_hi_u32 v21, v15, v20
	v_mul_lo_u32 v22, v15, v19
	v_mul_hi_u32 v23, v15, v19
	v_mul_hi_u32 v25, v16, v20
	v_mul_lo_u32 v20, v16, v20
	v_mul_hi_u32 v26, v16, v19
	v_mul_lo_u32 v19, v16, v19
	v_add_co_u32 v21, vcc_lo, v21, v22
	v_add_co_ci_u32_e32 v22, vcc_lo, 0, v23, vcc_lo
	s_delay_alu instid0(VALU_DEP_2) | instskip(NEXT) | instid1(VALU_DEP_2)
	v_add_co_u32 v20, vcc_lo, v21, v20
	v_add_co_ci_u32_e32 v20, vcc_lo, v22, v25, vcc_lo
	v_add_co_ci_u32_e32 v21, vcc_lo, 0, v26, vcc_lo
	v_add_co_u32 v17, vcc_lo, v17, v24
	v_add_co_ci_u32_e32 v18, vcc_lo, v18, v24, vcc_lo
	s_delay_alu instid0(VALU_DEP_4) | instskip(NEXT) | instid1(VALU_DEP_4)
	v_add_co_u32 v19, vcc_lo, v20, v19
	v_add_co_ci_u32_e32 v20, vcc_lo, 0, v21, vcc_lo
	s_delay_alu instid0(VALU_DEP_4) | instskip(NEXT) | instid1(VALU_DEP_3)
	v_xor_b32_e32 v21, v17, v24
	v_add_co_u32 v19, vcc_lo, v15, v19
	s_delay_alu instid0(VALU_DEP_3) | instskip(SKIP_1) | instid1(VALU_DEP_3)
	v_add_co_ci_u32_e32 v22, vcc_lo, v16, v20, vcc_lo
	v_xor_b32_e32 v23, v18, v24
	v_mul_hi_u32 v25, v21, v19
	s_delay_alu instid0(VALU_DEP_3) | instskip(NEXT) | instid1(VALU_DEP_3)
	v_mad_u64_u32 v[15:16], null, v21, v22, 0
	v_mad_u64_u32 v[17:18], null, v23, v19, 0
	;; [unrolled: 1-line block ×3, first 2 shown]
	s_delay_alu instid0(VALU_DEP_3) | instskip(NEXT) | instid1(VALU_DEP_4)
	v_add_co_u32 v15, vcc_lo, v25, v15
	v_add_co_ci_u32_e32 v16, vcc_lo, 0, v16, vcc_lo
	s_delay_alu instid0(VALU_DEP_2) | instskip(NEXT) | instid1(VALU_DEP_2)
	v_add_co_u32 v15, vcc_lo, v15, v17
	v_add_co_ci_u32_e32 v15, vcc_lo, v16, v18, vcc_lo
	v_add_co_ci_u32_e32 v16, vcc_lo, 0, v20, vcc_lo
	s_delay_alu instid0(VALU_DEP_2) | instskip(NEXT) | instid1(VALU_DEP_2)
	v_add_co_u32 v17, vcc_lo, v15, v19
	v_add_co_ci_u32_e32 v18, vcc_lo, 0, v16, vcc_lo
	s_delay_alu instid0(VALU_DEP_2) | instskip(SKIP_1) | instid1(VALU_DEP_3)
	v_mul_lo_u32 v19, s7, v17
	v_mad_u64_u32 v[15:16], null, s6, v17, 0
	v_mul_lo_u32 v20, s6, v18
	s_delay_alu instid0(VALU_DEP_2) | instskip(NEXT) | instid1(VALU_DEP_2)
	v_sub_co_u32 v15, vcc_lo, v21, v15
	v_add3_u32 v16, v16, v20, v19
	s_delay_alu instid0(VALU_DEP_1) | instskip(NEXT) | instid1(VALU_DEP_1)
	v_sub_nc_u32_e32 v19, v23, v16
	v_subrev_co_ci_u32_e64 v19, s2, s7, v19, vcc_lo
	v_add_co_u32 v20, s2, v17, 2
	s_delay_alu instid0(VALU_DEP_1) | instskip(SKIP_3) | instid1(VALU_DEP_3)
	v_add_co_ci_u32_e64 v21, s2, 0, v18, s2
	v_sub_co_u32 v22, s2, v15, s6
	v_sub_co_ci_u32_e32 v16, vcc_lo, v23, v16, vcc_lo
	v_subrev_co_ci_u32_e64 v19, s2, 0, v19, s2
	v_cmp_le_u32_e32 vcc_lo, s6, v22
	s_delay_alu instid0(VALU_DEP_3) | instskip(SKIP_1) | instid1(VALU_DEP_4)
	v_cmp_eq_u32_e64 s2, s7, v16
	v_cndmask_b32_e64 v22, 0, -1, vcc_lo
	v_cmp_le_u32_e32 vcc_lo, s7, v19
	v_cndmask_b32_e64 v23, 0, -1, vcc_lo
	v_cmp_le_u32_e32 vcc_lo, s6, v15
	;; [unrolled: 2-line block ×3, first 2 shown]
	v_cndmask_b32_e64 v25, 0, -1, vcc_lo
	v_cmp_eq_u32_e32 vcc_lo, s7, v19
	s_delay_alu instid0(VALU_DEP_2) | instskip(SKIP_3) | instid1(VALU_DEP_3)
	v_cndmask_b32_e64 v15, v25, v15, s2
	v_cndmask_b32_e32 v19, v23, v22, vcc_lo
	v_add_co_u32 v22, vcc_lo, v17, 1
	v_add_co_ci_u32_e32 v23, vcc_lo, 0, v18, vcc_lo
	v_cmp_ne_u32_e32 vcc_lo, 0, v19
	s_delay_alu instid0(VALU_DEP_2) | instskip(SKIP_2) | instid1(VALU_DEP_3)
	v_dual_cndmask_b32 v16, v23, v21 :: v_dual_cndmask_b32 v19, v22, v20
	v_cmp_ne_u32_e32 vcc_lo, 0, v15
	v_xor_b32_e32 v20, s4, v24
	v_dual_cndmask_b32 v15, v18, v16 :: v_dual_cndmask_b32 v16, v17, v19
	s_delay_alu instid0(VALU_DEP_1) | instskip(NEXT) | instid1(VALU_DEP_2)
	v_xor_b32_e32 v17, v15, v20
	v_xor_b32_e32 v16, v16, v20
	s_delay_alu instid0(VALU_DEP_1) | instskip(NEXT) | instid1(VALU_DEP_3)
	v_sub_co_u32 v15, vcc_lo, v16, v20
	v_sub_co_ci_u32_e32 v16, vcc_lo, v17, v20, vcc_lo
                                        ; implicit-def: $vgpr17
.LBB1159_31:
	s_and_not1_saveexec_b32 s2, s3
	s_cbranch_execz .LBB1159_33
; %bb.32:
	v_cvt_f32_u32_e32 v15, s38
	s_sub_i32 s3, 0, s38
	s_delay_alu instid0(VALU_DEP_1) | instskip(SKIP_2) | instid1(VALU_DEP_1)
	v_rcp_iflag_f32_e32 v15, v15
	s_waitcnt_depctr 0xfff
	v_mul_f32_e32 v15, 0x4f7ffffe, v15
	v_cvt_u32_f32_e32 v15, v15
	s_delay_alu instid0(VALU_DEP_1) | instskip(NEXT) | instid1(VALU_DEP_1)
	v_mul_lo_u32 v16, s3, v15
	v_mul_hi_u32 v16, v15, v16
	s_delay_alu instid0(VALU_DEP_1) | instskip(NEXT) | instid1(VALU_DEP_1)
	v_add_nc_u32_e32 v15, v15, v16
	v_mul_hi_u32 v15, v17, v15
	s_delay_alu instid0(VALU_DEP_1) | instskip(NEXT) | instid1(VALU_DEP_1)
	v_mul_lo_u32 v16, v15, s38
	v_sub_nc_u32_e32 v16, v17, v16
	v_add_nc_u32_e32 v17, 1, v15
	s_delay_alu instid0(VALU_DEP_2) | instskip(SKIP_1) | instid1(VALU_DEP_2)
	v_subrev_nc_u32_e32 v18, s38, v16
	v_cmp_le_u32_e32 vcc_lo, s38, v16
	v_dual_cndmask_b32 v16, v16, v18 :: v_dual_cndmask_b32 v15, v15, v17
	s_delay_alu instid0(VALU_DEP_1) | instskip(NEXT) | instid1(VALU_DEP_2)
	v_cmp_le_u32_e32 vcc_lo, s38, v16
	v_dual_mov_b32 v16, 0 :: v_dual_add_nc_u32 v17, 1, v15
	s_delay_alu instid0(VALU_DEP_1)
	v_cndmask_b32_e32 v15, v15, v17, vcc_lo
.LBB1159_33:
	s_or_b32 exec_lo, exec_lo, s2
	v_add_co_u32 v19, vcc_lo, 0x800, v29
	v_add_co_ci_u32_e32 v20, vcc_lo, 0, v30, vcc_lo
	v_mov_b32_e32 v17, 0
	s_delay_alu instid0(VALU_DEP_2) | instskip(NEXT) | instid1(VALU_DEP_1)
	v_or_b32_e32 v18, s39, v20
	v_cmp_ne_u64_e32 vcc_lo, 0, v[17:18]
                                        ; implicit-def: $vgpr17_vgpr18
	s_and_saveexec_b32 s2, vcc_lo
	s_delay_alu instid0(SALU_CYCLE_1)
	s_xor_b32 s3, exec_lo, s2
	s_cbranch_execz .LBB1159_35
; %bb.34:
	s_ashr_i32 s4, s39, 31
	s_delay_alu instid0(SALU_CYCLE_1) | instskip(SKIP_2) | instid1(SALU_CYCLE_1)
	s_add_u32 s6, s38, s4
	s_mov_b32 s5, s4
	s_addc_u32 s7, s39, s4
	s_xor_b64 s[6:7], s[6:7], s[4:5]
	s_delay_alu instid0(SALU_CYCLE_1) | instskip(SKIP_3) | instid1(VALU_DEP_1)
	v_cvt_f32_u32_e32 v17, s6
	v_cvt_f32_u32_e32 v18, s7
	s_sub_u32 s2, 0, s6
	s_subb_u32 s5, 0, s7
	v_fmamk_f32 v17, v18, 0x4f800000, v17
	s_delay_alu instid0(VALU_DEP_1) | instskip(SKIP_2) | instid1(VALU_DEP_1)
	v_rcp_f32_e32 v17, v17
	s_waitcnt_depctr 0xfff
	v_mul_f32_e32 v17, 0x5f7ffffc, v17
	v_mul_f32_e32 v18, 0x2f800000, v17
	s_delay_alu instid0(VALU_DEP_1) | instskip(NEXT) | instid1(VALU_DEP_1)
	v_trunc_f32_e32 v18, v18
	v_fmamk_f32 v17, v18, 0xcf800000, v17
	v_cvt_u32_f32_e32 v18, v18
	s_delay_alu instid0(VALU_DEP_2) | instskip(NEXT) | instid1(VALU_DEP_2)
	v_cvt_u32_f32_e32 v17, v17
	v_mul_lo_u32 v21, s2, v18
	s_delay_alu instid0(VALU_DEP_2) | instskip(SKIP_1) | instid1(VALU_DEP_2)
	v_mul_hi_u32 v22, s2, v17
	v_mul_lo_u32 v23, s5, v17
	v_add_nc_u32_e32 v21, v22, v21
	v_mul_lo_u32 v22, s2, v17
	s_delay_alu instid0(VALU_DEP_2) | instskip(NEXT) | instid1(VALU_DEP_2)
	v_add_nc_u32_e32 v21, v21, v23
	v_mul_hi_u32 v23, v17, v22
	s_delay_alu instid0(VALU_DEP_2)
	v_mul_lo_u32 v24, v17, v21
	v_mul_hi_u32 v25, v17, v21
	v_mul_hi_u32 v26, v18, v22
	v_mul_lo_u32 v22, v18, v22
	v_mul_hi_u32 v27, v18, v21
	v_mul_lo_u32 v21, v18, v21
	v_add_co_u32 v23, vcc_lo, v23, v24
	v_add_co_ci_u32_e32 v24, vcc_lo, 0, v25, vcc_lo
	s_delay_alu instid0(VALU_DEP_2) | instskip(NEXT) | instid1(VALU_DEP_2)
	v_add_co_u32 v22, vcc_lo, v23, v22
	v_add_co_ci_u32_e32 v22, vcc_lo, v24, v26, vcc_lo
	v_add_co_ci_u32_e32 v23, vcc_lo, 0, v27, vcc_lo
	v_ashrrev_i32_e32 v26, 31, v20
	s_delay_alu instid0(VALU_DEP_3) | instskip(NEXT) | instid1(VALU_DEP_3)
	v_add_co_u32 v21, vcc_lo, v22, v21
	v_add_co_ci_u32_e32 v22, vcc_lo, 0, v23, vcc_lo
	s_delay_alu instid0(VALU_DEP_2) | instskip(NEXT) | instid1(VALU_DEP_2)
	v_add_co_u32 v17, vcc_lo, v17, v21
	v_add_co_ci_u32_e32 v18, vcc_lo, v18, v22, vcc_lo
	s_delay_alu instid0(VALU_DEP_2) | instskip(SKIP_1) | instid1(VALU_DEP_3)
	v_mul_hi_u32 v21, s2, v17
	v_mul_lo_u32 v23, s5, v17
	v_mul_lo_u32 v22, s2, v18
	s_delay_alu instid0(VALU_DEP_1) | instskip(SKIP_1) | instid1(VALU_DEP_2)
	v_add_nc_u32_e32 v21, v21, v22
	v_mul_lo_u32 v22, s2, v17
	v_add_nc_u32_e32 v21, v21, v23
	s_delay_alu instid0(VALU_DEP_2) | instskip(NEXT) | instid1(VALU_DEP_2)
	v_mul_hi_u32 v23, v17, v22
	v_mul_lo_u32 v24, v17, v21
	v_mul_hi_u32 v25, v17, v21
	v_mul_hi_u32 v27, v18, v22
	v_mul_lo_u32 v22, v18, v22
	v_mul_hi_u32 v28, v18, v21
	v_mul_lo_u32 v21, v18, v21
	v_add_co_u32 v23, vcc_lo, v23, v24
	v_add_co_ci_u32_e32 v24, vcc_lo, 0, v25, vcc_lo
	s_delay_alu instid0(VALU_DEP_2) | instskip(NEXT) | instid1(VALU_DEP_2)
	v_add_co_u32 v22, vcc_lo, v23, v22
	v_add_co_ci_u32_e32 v22, vcc_lo, v24, v27, vcc_lo
	v_add_co_ci_u32_e32 v23, vcc_lo, 0, v28, vcc_lo
	v_add_co_u32 v19, vcc_lo, v19, v26
	v_add_co_ci_u32_e32 v20, vcc_lo, v20, v26, vcc_lo
	s_delay_alu instid0(VALU_DEP_4) | instskip(NEXT) | instid1(VALU_DEP_4)
	v_add_co_u32 v21, vcc_lo, v22, v21
	v_add_co_ci_u32_e32 v22, vcc_lo, 0, v23, vcc_lo
	s_delay_alu instid0(VALU_DEP_4) | instskip(NEXT) | instid1(VALU_DEP_3)
	v_xor_b32_e32 v23, v19, v26
	v_add_co_u32 v21, vcc_lo, v17, v21
	s_delay_alu instid0(VALU_DEP_3) | instskip(SKIP_1) | instid1(VALU_DEP_3)
	v_add_co_ci_u32_e32 v24, vcc_lo, v18, v22, vcc_lo
	v_xor_b32_e32 v25, v20, v26
	v_mul_hi_u32 v27, v23, v21
	s_delay_alu instid0(VALU_DEP_3) | instskip(NEXT) | instid1(VALU_DEP_3)
	v_mad_u64_u32 v[17:18], null, v23, v24, 0
	v_mad_u64_u32 v[19:20], null, v25, v21, 0
	;; [unrolled: 1-line block ×3, first 2 shown]
	s_delay_alu instid0(VALU_DEP_3) | instskip(NEXT) | instid1(VALU_DEP_4)
	v_add_co_u32 v17, vcc_lo, v27, v17
	v_add_co_ci_u32_e32 v18, vcc_lo, 0, v18, vcc_lo
	s_delay_alu instid0(VALU_DEP_2) | instskip(NEXT) | instid1(VALU_DEP_2)
	v_add_co_u32 v17, vcc_lo, v17, v19
	v_add_co_ci_u32_e32 v17, vcc_lo, v18, v20, vcc_lo
	v_add_co_ci_u32_e32 v18, vcc_lo, 0, v22, vcc_lo
	s_delay_alu instid0(VALU_DEP_2) | instskip(NEXT) | instid1(VALU_DEP_2)
	v_add_co_u32 v19, vcc_lo, v17, v21
	v_add_co_ci_u32_e32 v20, vcc_lo, 0, v18, vcc_lo
	s_delay_alu instid0(VALU_DEP_2) | instskip(SKIP_1) | instid1(VALU_DEP_3)
	v_mul_lo_u32 v21, s7, v19
	v_mad_u64_u32 v[17:18], null, s6, v19, 0
	v_mul_lo_u32 v22, s6, v20
	s_delay_alu instid0(VALU_DEP_2) | instskip(NEXT) | instid1(VALU_DEP_2)
	v_sub_co_u32 v17, vcc_lo, v23, v17
	v_add3_u32 v18, v18, v22, v21
	s_delay_alu instid0(VALU_DEP_1) | instskip(NEXT) | instid1(VALU_DEP_1)
	v_sub_nc_u32_e32 v21, v25, v18
	v_subrev_co_ci_u32_e64 v21, s2, s7, v21, vcc_lo
	v_add_co_u32 v22, s2, v19, 2
	s_delay_alu instid0(VALU_DEP_1) | instskip(SKIP_3) | instid1(VALU_DEP_3)
	v_add_co_ci_u32_e64 v23, s2, 0, v20, s2
	v_sub_co_u32 v24, s2, v17, s6
	v_sub_co_ci_u32_e32 v18, vcc_lo, v25, v18, vcc_lo
	v_subrev_co_ci_u32_e64 v21, s2, 0, v21, s2
	v_cmp_le_u32_e32 vcc_lo, s6, v24
	s_delay_alu instid0(VALU_DEP_3) | instskip(SKIP_1) | instid1(VALU_DEP_4)
	v_cmp_eq_u32_e64 s2, s7, v18
	v_cndmask_b32_e64 v24, 0, -1, vcc_lo
	v_cmp_le_u32_e32 vcc_lo, s7, v21
	v_cndmask_b32_e64 v25, 0, -1, vcc_lo
	v_cmp_le_u32_e32 vcc_lo, s6, v17
	;; [unrolled: 2-line block ×3, first 2 shown]
	v_cndmask_b32_e64 v27, 0, -1, vcc_lo
	v_cmp_eq_u32_e32 vcc_lo, s7, v21
	s_delay_alu instid0(VALU_DEP_2) | instskip(SKIP_3) | instid1(VALU_DEP_3)
	v_cndmask_b32_e64 v17, v27, v17, s2
	v_cndmask_b32_e32 v21, v25, v24, vcc_lo
	v_add_co_u32 v24, vcc_lo, v19, 1
	v_add_co_ci_u32_e32 v25, vcc_lo, 0, v20, vcc_lo
	v_cmp_ne_u32_e32 vcc_lo, 0, v21
	s_delay_alu instid0(VALU_DEP_2) | instskip(SKIP_2) | instid1(VALU_DEP_3)
	v_dual_cndmask_b32 v18, v25, v23 :: v_dual_cndmask_b32 v21, v24, v22
	v_cmp_ne_u32_e32 vcc_lo, 0, v17
	v_xor_b32_e32 v22, s4, v26
	v_dual_cndmask_b32 v17, v20, v18 :: v_dual_cndmask_b32 v18, v19, v21
	s_delay_alu instid0(VALU_DEP_1) | instskip(NEXT) | instid1(VALU_DEP_2)
	v_xor_b32_e32 v19, v17, v22
	v_xor_b32_e32 v18, v18, v22
	s_delay_alu instid0(VALU_DEP_1) | instskip(NEXT) | instid1(VALU_DEP_3)
	v_sub_co_u32 v17, vcc_lo, v18, v22
	v_sub_co_ci_u32_e32 v18, vcc_lo, v19, v22, vcc_lo
                                        ; implicit-def: $vgpr19
.LBB1159_35:
	s_and_not1_saveexec_b32 s2, s3
	s_cbranch_execz .LBB1159_37
; %bb.36:
	v_cvt_f32_u32_e32 v17, s38
	s_sub_i32 s3, 0, s38
	s_delay_alu instid0(VALU_DEP_1) | instskip(SKIP_2) | instid1(VALU_DEP_1)
	v_rcp_iflag_f32_e32 v17, v17
	s_waitcnt_depctr 0xfff
	v_mul_f32_e32 v17, 0x4f7ffffe, v17
	v_cvt_u32_f32_e32 v17, v17
	s_delay_alu instid0(VALU_DEP_1) | instskip(NEXT) | instid1(VALU_DEP_1)
	v_mul_lo_u32 v18, s3, v17
	v_mul_hi_u32 v18, v17, v18
	s_delay_alu instid0(VALU_DEP_1) | instskip(NEXT) | instid1(VALU_DEP_1)
	v_add_nc_u32_e32 v17, v17, v18
	v_mul_hi_u32 v17, v19, v17
	s_delay_alu instid0(VALU_DEP_1) | instskip(NEXT) | instid1(VALU_DEP_1)
	v_mul_lo_u32 v18, v17, s38
	v_sub_nc_u32_e32 v18, v19, v18
	v_add_nc_u32_e32 v19, 1, v17
	s_delay_alu instid0(VALU_DEP_2) | instskip(SKIP_1) | instid1(VALU_DEP_2)
	v_subrev_nc_u32_e32 v20, s38, v18
	v_cmp_le_u32_e32 vcc_lo, s38, v18
	v_dual_cndmask_b32 v18, v18, v20 :: v_dual_cndmask_b32 v17, v17, v19
	s_delay_alu instid0(VALU_DEP_1) | instskip(NEXT) | instid1(VALU_DEP_2)
	v_cmp_le_u32_e32 vcc_lo, s38, v18
	v_dual_mov_b32 v18, 0 :: v_dual_add_nc_u32 v19, 1, v17
	s_delay_alu instid0(VALU_DEP_1)
	v_cndmask_b32_e32 v17, v17, v19, vcc_lo
.LBB1159_37:
	s_or_b32 exec_lo, exec_lo, s2
	v_add_co_u32 v21, vcc_lo, 0x900, v29
	v_add_co_ci_u32_e32 v22, vcc_lo, 0, v30, vcc_lo
	v_mov_b32_e32 v19, 0
	s_delay_alu instid0(VALU_DEP_2) | instskip(NEXT) | instid1(VALU_DEP_1)
	v_or_b32_e32 v20, s39, v22
	v_cmp_ne_u64_e32 vcc_lo, 0, v[19:20]
                                        ; implicit-def: $vgpr19_vgpr20
	s_and_saveexec_b32 s2, vcc_lo
	s_delay_alu instid0(SALU_CYCLE_1)
	s_xor_b32 s3, exec_lo, s2
	s_cbranch_execz .LBB1159_39
; %bb.38:
	s_ashr_i32 s4, s39, 31
	s_delay_alu instid0(SALU_CYCLE_1) | instskip(SKIP_2) | instid1(SALU_CYCLE_1)
	s_add_u32 s6, s38, s4
	s_mov_b32 s5, s4
	s_addc_u32 s7, s39, s4
	s_xor_b64 s[6:7], s[6:7], s[4:5]
	s_delay_alu instid0(SALU_CYCLE_1) | instskip(SKIP_3) | instid1(VALU_DEP_1)
	v_cvt_f32_u32_e32 v19, s6
	v_cvt_f32_u32_e32 v20, s7
	s_sub_u32 s2, 0, s6
	s_subb_u32 s5, 0, s7
	v_fmamk_f32 v19, v20, 0x4f800000, v19
	s_delay_alu instid0(VALU_DEP_1) | instskip(SKIP_2) | instid1(VALU_DEP_1)
	v_rcp_f32_e32 v19, v19
	s_waitcnt_depctr 0xfff
	v_mul_f32_e32 v19, 0x5f7ffffc, v19
	v_mul_f32_e32 v20, 0x2f800000, v19
	s_delay_alu instid0(VALU_DEP_1) | instskip(NEXT) | instid1(VALU_DEP_1)
	v_trunc_f32_e32 v20, v20
	v_fmamk_f32 v19, v20, 0xcf800000, v19
	v_cvt_u32_f32_e32 v20, v20
	s_delay_alu instid0(VALU_DEP_2) | instskip(NEXT) | instid1(VALU_DEP_2)
	v_cvt_u32_f32_e32 v19, v19
	v_mul_lo_u32 v23, s2, v20
	s_delay_alu instid0(VALU_DEP_2) | instskip(SKIP_1) | instid1(VALU_DEP_2)
	v_mul_hi_u32 v24, s2, v19
	v_mul_lo_u32 v25, s5, v19
	v_add_nc_u32_e32 v23, v24, v23
	v_mul_lo_u32 v24, s2, v19
	s_delay_alu instid0(VALU_DEP_2) | instskip(NEXT) | instid1(VALU_DEP_2)
	v_add_nc_u32_e32 v23, v23, v25
	v_mul_hi_u32 v25, v19, v24
	s_delay_alu instid0(VALU_DEP_2)
	v_mul_lo_u32 v26, v19, v23
	v_mul_hi_u32 v27, v19, v23
	v_mul_hi_u32 v28, v20, v24
	v_mul_lo_u32 v24, v20, v24
	v_mul_hi_u32 v31, v20, v23
	v_mul_lo_u32 v23, v20, v23
	v_add_co_u32 v25, vcc_lo, v25, v26
	v_add_co_ci_u32_e32 v26, vcc_lo, 0, v27, vcc_lo
	s_delay_alu instid0(VALU_DEP_2) | instskip(NEXT) | instid1(VALU_DEP_2)
	v_add_co_u32 v24, vcc_lo, v25, v24
	v_add_co_ci_u32_e32 v24, vcc_lo, v26, v28, vcc_lo
	v_add_co_ci_u32_e32 v25, vcc_lo, 0, v31, vcc_lo
	v_ashrrev_i32_e32 v28, 31, v22
	s_delay_alu instid0(VALU_DEP_3) | instskip(NEXT) | instid1(VALU_DEP_3)
	v_add_co_u32 v23, vcc_lo, v24, v23
	v_add_co_ci_u32_e32 v24, vcc_lo, 0, v25, vcc_lo
	s_delay_alu instid0(VALU_DEP_2) | instskip(NEXT) | instid1(VALU_DEP_2)
	v_add_co_u32 v19, vcc_lo, v19, v23
	v_add_co_ci_u32_e32 v20, vcc_lo, v20, v24, vcc_lo
	s_delay_alu instid0(VALU_DEP_2) | instskip(SKIP_1) | instid1(VALU_DEP_3)
	v_mul_hi_u32 v23, s2, v19
	v_mul_lo_u32 v25, s5, v19
	v_mul_lo_u32 v24, s2, v20
	s_delay_alu instid0(VALU_DEP_1) | instskip(SKIP_1) | instid1(VALU_DEP_2)
	v_add_nc_u32_e32 v23, v23, v24
	v_mul_lo_u32 v24, s2, v19
	v_add_nc_u32_e32 v23, v23, v25
	s_delay_alu instid0(VALU_DEP_2) | instskip(NEXT) | instid1(VALU_DEP_2)
	v_mul_hi_u32 v25, v19, v24
	v_mul_lo_u32 v26, v19, v23
	v_mul_hi_u32 v27, v19, v23
	v_mul_hi_u32 v31, v20, v24
	v_mul_lo_u32 v24, v20, v24
	v_mul_hi_u32 v32, v20, v23
	v_mul_lo_u32 v23, v20, v23
	v_add_co_u32 v25, vcc_lo, v25, v26
	v_add_co_ci_u32_e32 v26, vcc_lo, 0, v27, vcc_lo
	s_delay_alu instid0(VALU_DEP_2) | instskip(NEXT) | instid1(VALU_DEP_2)
	v_add_co_u32 v24, vcc_lo, v25, v24
	v_add_co_ci_u32_e32 v24, vcc_lo, v26, v31, vcc_lo
	v_add_co_ci_u32_e32 v25, vcc_lo, 0, v32, vcc_lo
	v_add_co_u32 v21, vcc_lo, v21, v28
	v_add_co_ci_u32_e32 v22, vcc_lo, v22, v28, vcc_lo
	s_delay_alu instid0(VALU_DEP_4) | instskip(NEXT) | instid1(VALU_DEP_4)
	v_add_co_u32 v23, vcc_lo, v24, v23
	v_add_co_ci_u32_e32 v24, vcc_lo, 0, v25, vcc_lo
	s_delay_alu instid0(VALU_DEP_4) | instskip(NEXT) | instid1(VALU_DEP_3)
	v_xor_b32_e32 v25, v21, v28
	v_add_co_u32 v23, vcc_lo, v19, v23
	s_delay_alu instid0(VALU_DEP_3) | instskip(SKIP_1) | instid1(VALU_DEP_3)
	v_add_co_ci_u32_e32 v26, vcc_lo, v20, v24, vcc_lo
	v_xor_b32_e32 v27, v22, v28
	v_mul_hi_u32 v31, v25, v23
	s_delay_alu instid0(VALU_DEP_3) | instskip(NEXT) | instid1(VALU_DEP_3)
	v_mad_u64_u32 v[19:20], null, v25, v26, 0
	v_mad_u64_u32 v[21:22], null, v27, v23, 0
	;; [unrolled: 1-line block ×3, first 2 shown]
	s_delay_alu instid0(VALU_DEP_3) | instskip(NEXT) | instid1(VALU_DEP_4)
	v_add_co_u32 v19, vcc_lo, v31, v19
	v_add_co_ci_u32_e32 v20, vcc_lo, 0, v20, vcc_lo
	s_delay_alu instid0(VALU_DEP_2) | instskip(NEXT) | instid1(VALU_DEP_2)
	v_add_co_u32 v19, vcc_lo, v19, v21
	v_add_co_ci_u32_e32 v19, vcc_lo, v20, v22, vcc_lo
	v_add_co_ci_u32_e32 v20, vcc_lo, 0, v24, vcc_lo
	s_delay_alu instid0(VALU_DEP_2) | instskip(NEXT) | instid1(VALU_DEP_2)
	v_add_co_u32 v21, vcc_lo, v19, v23
	v_add_co_ci_u32_e32 v22, vcc_lo, 0, v20, vcc_lo
	s_delay_alu instid0(VALU_DEP_2) | instskip(SKIP_1) | instid1(VALU_DEP_3)
	v_mul_lo_u32 v23, s7, v21
	v_mad_u64_u32 v[19:20], null, s6, v21, 0
	v_mul_lo_u32 v24, s6, v22
	s_delay_alu instid0(VALU_DEP_2) | instskip(NEXT) | instid1(VALU_DEP_2)
	v_sub_co_u32 v19, vcc_lo, v25, v19
	v_add3_u32 v20, v20, v24, v23
	s_delay_alu instid0(VALU_DEP_1) | instskip(NEXT) | instid1(VALU_DEP_1)
	v_sub_nc_u32_e32 v23, v27, v20
	v_subrev_co_ci_u32_e64 v23, s2, s7, v23, vcc_lo
	v_add_co_u32 v24, s2, v21, 2
	s_delay_alu instid0(VALU_DEP_1) | instskip(SKIP_3) | instid1(VALU_DEP_3)
	v_add_co_ci_u32_e64 v25, s2, 0, v22, s2
	v_sub_co_u32 v26, s2, v19, s6
	v_sub_co_ci_u32_e32 v20, vcc_lo, v27, v20, vcc_lo
	v_subrev_co_ci_u32_e64 v23, s2, 0, v23, s2
	v_cmp_le_u32_e32 vcc_lo, s6, v26
	s_delay_alu instid0(VALU_DEP_3) | instskip(SKIP_1) | instid1(VALU_DEP_4)
	v_cmp_eq_u32_e64 s2, s7, v20
	v_cndmask_b32_e64 v26, 0, -1, vcc_lo
	v_cmp_le_u32_e32 vcc_lo, s7, v23
	v_cndmask_b32_e64 v27, 0, -1, vcc_lo
	v_cmp_le_u32_e32 vcc_lo, s6, v19
	;; [unrolled: 2-line block ×3, first 2 shown]
	v_cndmask_b32_e64 v31, 0, -1, vcc_lo
	v_cmp_eq_u32_e32 vcc_lo, s7, v23
	s_delay_alu instid0(VALU_DEP_2) | instskip(SKIP_3) | instid1(VALU_DEP_3)
	v_cndmask_b32_e64 v19, v31, v19, s2
	v_cndmask_b32_e32 v23, v27, v26, vcc_lo
	v_add_co_u32 v26, vcc_lo, v21, 1
	v_add_co_ci_u32_e32 v27, vcc_lo, 0, v22, vcc_lo
	v_cmp_ne_u32_e32 vcc_lo, 0, v23
	s_delay_alu instid0(VALU_DEP_2) | instskip(SKIP_2) | instid1(VALU_DEP_3)
	v_dual_cndmask_b32 v20, v27, v25 :: v_dual_cndmask_b32 v23, v26, v24
	v_cmp_ne_u32_e32 vcc_lo, 0, v19
	v_xor_b32_e32 v24, s4, v28
	v_dual_cndmask_b32 v19, v22, v20 :: v_dual_cndmask_b32 v20, v21, v23
	s_delay_alu instid0(VALU_DEP_1) | instskip(NEXT) | instid1(VALU_DEP_2)
	v_xor_b32_e32 v21, v19, v24
	v_xor_b32_e32 v20, v20, v24
	s_delay_alu instid0(VALU_DEP_1) | instskip(NEXT) | instid1(VALU_DEP_3)
	v_sub_co_u32 v19, vcc_lo, v20, v24
	v_sub_co_ci_u32_e32 v20, vcc_lo, v21, v24, vcc_lo
                                        ; implicit-def: $vgpr21
.LBB1159_39:
	s_and_not1_saveexec_b32 s2, s3
	s_cbranch_execz .LBB1159_41
; %bb.40:
	v_cvt_f32_u32_e32 v19, s38
	s_sub_i32 s3, 0, s38
	s_delay_alu instid0(VALU_DEP_1) | instskip(SKIP_2) | instid1(VALU_DEP_1)
	v_rcp_iflag_f32_e32 v19, v19
	s_waitcnt_depctr 0xfff
	v_mul_f32_e32 v19, 0x4f7ffffe, v19
	v_cvt_u32_f32_e32 v19, v19
	s_delay_alu instid0(VALU_DEP_1) | instskip(NEXT) | instid1(VALU_DEP_1)
	v_mul_lo_u32 v20, s3, v19
	v_mul_hi_u32 v20, v19, v20
	s_delay_alu instid0(VALU_DEP_1) | instskip(NEXT) | instid1(VALU_DEP_1)
	v_add_nc_u32_e32 v19, v19, v20
	v_mul_hi_u32 v19, v21, v19
	s_delay_alu instid0(VALU_DEP_1) | instskip(NEXT) | instid1(VALU_DEP_1)
	v_mul_lo_u32 v20, v19, s38
	v_sub_nc_u32_e32 v20, v21, v20
	v_add_nc_u32_e32 v21, 1, v19
	s_delay_alu instid0(VALU_DEP_2) | instskip(SKIP_1) | instid1(VALU_DEP_2)
	v_subrev_nc_u32_e32 v22, s38, v20
	v_cmp_le_u32_e32 vcc_lo, s38, v20
	v_dual_cndmask_b32 v20, v20, v22 :: v_dual_cndmask_b32 v19, v19, v21
	s_delay_alu instid0(VALU_DEP_1) | instskip(NEXT) | instid1(VALU_DEP_2)
	v_cmp_le_u32_e32 vcc_lo, s38, v20
	v_dual_mov_b32 v20, 0 :: v_dual_add_nc_u32 v21, 1, v19
	s_delay_alu instid0(VALU_DEP_1)
	v_cndmask_b32_e32 v19, v19, v21, vcc_lo
.LBB1159_41:
	s_or_b32 exec_lo, exec_lo, s2
	v_add_co_u32 v23, vcc_lo, 0xa00, v29
	v_add_co_ci_u32_e32 v24, vcc_lo, 0, v30, vcc_lo
	v_mov_b32_e32 v21, 0
	s_delay_alu instid0(VALU_DEP_2) | instskip(NEXT) | instid1(VALU_DEP_1)
	v_or_b32_e32 v22, s39, v24
	v_cmp_ne_u64_e32 vcc_lo, 0, v[21:22]
                                        ; implicit-def: $vgpr21_vgpr22
	s_and_saveexec_b32 s2, vcc_lo
	s_delay_alu instid0(SALU_CYCLE_1)
	s_xor_b32 s3, exec_lo, s2
	s_cbranch_execz .LBB1159_43
; %bb.42:
	s_ashr_i32 s4, s39, 31
	s_delay_alu instid0(SALU_CYCLE_1) | instskip(SKIP_2) | instid1(SALU_CYCLE_1)
	s_add_u32 s6, s38, s4
	s_mov_b32 s5, s4
	s_addc_u32 s7, s39, s4
	s_xor_b64 s[6:7], s[6:7], s[4:5]
	s_delay_alu instid0(SALU_CYCLE_1) | instskip(SKIP_3) | instid1(VALU_DEP_1)
	v_cvt_f32_u32_e32 v21, s6
	v_cvt_f32_u32_e32 v22, s7
	s_sub_u32 s2, 0, s6
	s_subb_u32 s5, 0, s7
	v_fmamk_f32 v21, v22, 0x4f800000, v21
	s_delay_alu instid0(VALU_DEP_1) | instskip(SKIP_2) | instid1(VALU_DEP_1)
	v_rcp_f32_e32 v21, v21
	s_waitcnt_depctr 0xfff
	v_mul_f32_e32 v21, 0x5f7ffffc, v21
	v_mul_f32_e32 v22, 0x2f800000, v21
	s_delay_alu instid0(VALU_DEP_1) | instskip(NEXT) | instid1(VALU_DEP_1)
	v_trunc_f32_e32 v22, v22
	v_fmamk_f32 v21, v22, 0xcf800000, v21
	v_cvt_u32_f32_e32 v22, v22
	s_delay_alu instid0(VALU_DEP_2) | instskip(NEXT) | instid1(VALU_DEP_2)
	v_cvt_u32_f32_e32 v21, v21
	v_mul_lo_u32 v25, s2, v22
	s_delay_alu instid0(VALU_DEP_2) | instskip(SKIP_1) | instid1(VALU_DEP_2)
	v_mul_hi_u32 v26, s2, v21
	v_mul_lo_u32 v27, s5, v21
	v_add_nc_u32_e32 v25, v26, v25
	v_mul_lo_u32 v26, s2, v21
	s_delay_alu instid0(VALU_DEP_2) | instskip(NEXT) | instid1(VALU_DEP_2)
	v_add_nc_u32_e32 v25, v25, v27
	v_mul_hi_u32 v27, v21, v26
	s_delay_alu instid0(VALU_DEP_2)
	v_mul_lo_u32 v28, v21, v25
	v_mul_hi_u32 v31, v21, v25
	v_mul_hi_u32 v32, v22, v26
	v_mul_lo_u32 v26, v22, v26
	v_mul_hi_u32 v33, v22, v25
	v_mul_lo_u32 v25, v22, v25
	v_add_co_u32 v27, vcc_lo, v27, v28
	v_add_co_ci_u32_e32 v28, vcc_lo, 0, v31, vcc_lo
	s_delay_alu instid0(VALU_DEP_2) | instskip(NEXT) | instid1(VALU_DEP_2)
	v_add_co_u32 v26, vcc_lo, v27, v26
	v_add_co_ci_u32_e32 v26, vcc_lo, v28, v32, vcc_lo
	v_add_co_ci_u32_e32 v27, vcc_lo, 0, v33, vcc_lo
	v_ashrrev_i32_e32 v32, 31, v24
	s_delay_alu instid0(VALU_DEP_3) | instskip(NEXT) | instid1(VALU_DEP_3)
	v_add_co_u32 v25, vcc_lo, v26, v25
	v_add_co_ci_u32_e32 v26, vcc_lo, 0, v27, vcc_lo
	s_delay_alu instid0(VALU_DEP_2) | instskip(NEXT) | instid1(VALU_DEP_2)
	v_add_co_u32 v21, vcc_lo, v21, v25
	v_add_co_ci_u32_e32 v22, vcc_lo, v22, v26, vcc_lo
	s_delay_alu instid0(VALU_DEP_2) | instskip(SKIP_1) | instid1(VALU_DEP_3)
	v_mul_hi_u32 v25, s2, v21
	v_mul_lo_u32 v27, s5, v21
	v_mul_lo_u32 v26, s2, v22
	s_delay_alu instid0(VALU_DEP_1) | instskip(SKIP_1) | instid1(VALU_DEP_2)
	v_add_nc_u32_e32 v25, v25, v26
	v_mul_lo_u32 v26, s2, v21
	v_add_nc_u32_e32 v25, v25, v27
	s_delay_alu instid0(VALU_DEP_2) | instskip(NEXT) | instid1(VALU_DEP_2)
	v_mul_hi_u32 v27, v21, v26
	v_mul_lo_u32 v28, v21, v25
	v_mul_hi_u32 v31, v21, v25
	v_mul_hi_u32 v33, v22, v26
	v_mul_lo_u32 v26, v22, v26
	v_mul_hi_u32 v34, v22, v25
	v_mul_lo_u32 v25, v22, v25
	v_add_co_u32 v27, vcc_lo, v27, v28
	v_add_co_ci_u32_e32 v28, vcc_lo, 0, v31, vcc_lo
	s_delay_alu instid0(VALU_DEP_2) | instskip(NEXT) | instid1(VALU_DEP_2)
	v_add_co_u32 v26, vcc_lo, v27, v26
	v_add_co_ci_u32_e32 v26, vcc_lo, v28, v33, vcc_lo
	v_add_co_ci_u32_e32 v27, vcc_lo, 0, v34, vcc_lo
	v_add_co_u32 v23, vcc_lo, v23, v32
	v_add_co_ci_u32_e32 v24, vcc_lo, v24, v32, vcc_lo
	s_delay_alu instid0(VALU_DEP_4) | instskip(NEXT) | instid1(VALU_DEP_4)
	v_add_co_u32 v25, vcc_lo, v26, v25
	v_add_co_ci_u32_e32 v26, vcc_lo, 0, v27, vcc_lo
	s_delay_alu instid0(VALU_DEP_4) | instskip(NEXT) | instid1(VALU_DEP_3)
	v_xor_b32_e32 v27, v23, v32
	v_add_co_u32 v25, vcc_lo, v21, v25
	s_delay_alu instid0(VALU_DEP_3) | instskip(SKIP_1) | instid1(VALU_DEP_3)
	v_add_co_ci_u32_e32 v28, vcc_lo, v22, v26, vcc_lo
	v_xor_b32_e32 v31, v24, v32
	v_mul_hi_u32 v33, v27, v25
	s_delay_alu instid0(VALU_DEP_3) | instskip(NEXT) | instid1(VALU_DEP_3)
	v_mad_u64_u32 v[21:22], null, v27, v28, 0
	v_mad_u64_u32 v[23:24], null, v31, v25, 0
	;; [unrolled: 1-line block ×3, first 2 shown]
	s_delay_alu instid0(VALU_DEP_3) | instskip(NEXT) | instid1(VALU_DEP_4)
	v_add_co_u32 v21, vcc_lo, v33, v21
	v_add_co_ci_u32_e32 v22, vcc_lo, 0, v22, vcc_lo
	s_delay_alu instid0(VALU_DEP_2) | instskip(NEXT) | instid1(VALU_DEP_2)
	v_add_co_u32 v21, vcc_lo, v21, v23
	v_add_co_ci_u32_e32 v21, vcc_lo, v22, v24, vcc_lo
	v_add_co_ci_u32_e32 v22, vcc_lo, 0, v26, vcc_lo
	s_delay_alu instid0(VALU_DEP_2) | instskip(NEXT) | instid1(VALU_DEP_2)
	v_add_co_u32 v23, vcc_lo, v21, v25
	v_add_co_ci_u32_e32 v24, vcc_lo, 0, v22, vcc_lo
	s_delay_alu instid0(VALU_DEP_2) | instskip(SKIP_1) | instid1(VALU_DEP_3)
	v_mul_lo_u32 v25, s7, v23
	v_mad_u64_u32 v[21:22], null, s6, v23, 0
	v_mul_lo_u32 v26, s6, v24
	s_delay_alu instid0(VALU_DEP_2) | instskip(NEXT) | instid1(VALU_DEP_2)
	v_sub_co_u32 v21, vcc_lo, v27, v21
	v_add3_u32 v22, v22, v26, v25
	s_delay_alu instid0(VALU_DEP_1) | instskip(NEXT) | instid1(VALU_DEP_1)
	v_sub_nc_u32_e32 v25, v31, v22
	v_subrev_co_ci_u32_e64 v25, s2, s7, v25, vcc_lo
	v_add_co_u32 v26, s2, v23, 2
	s_delay_alu instid0(VALU_DEP_1) | instskip(SKIP_3) | instid1(VALU_DEP_3)
	v_add_co_ci_u32_e64 v27, s2, 0, v24, s2
	v_sub_co_u32 v28, s2, v21, s6
	v_sub_co_ci_u32_e32 v22, vcc_lo, v31, v22, vcc_lo
	v_subrev_co_ci_u32_e64 v25, s2, 0, v25, s2
	v_cmp_le_u32_e32 vcc_lo, s6, v28
	s_delay_alu instid0(VALU_DEP_3) | instskip(SKIP_1) | instid1(VALU_DEP_4)
	v_cmp_eq_u32_e64 s2, s7, v22
	v_cndmask_b32_e64 v28, 0, -1, vcc_lo
	v_cmp_le_u32_e32 vcc_lo, s7, v25
	v_cndmask_b32_e64 v31, 0, -1, vcc_lo
	v_cmp_le_u32_e32 vcc_lo, s6, v21
	;; [unrolled: 2-line block ×3, first 2 shown]
	v_cndmask_b32_e64 v33, 0, -1, vcc_lo
	v_cmp_eq_u32_e32 vcc_lo, s7, v25
	s_delay_alu instid0(VALU_DEP_2) | instskip(SKIP_3) | instid1(VALU_DEP_3)
	v_cndmask_b32_e64 v21, v33, v21, s2
	v_cndmask_b32_e32 v25, v31, v28, vcc_lo
	v_add_co_u32 v28, vcc_lo, v23, 1
	v_add_co_ci_u32_e32 v31, vcc_lo, 0, v24, vcc_lo
	v_cmp_ne_u32_e32 vcc_lo, 0, v25
	s_delay_alu instid0(VALU_DEP_2) | instskip(SKIP_2) | instid1(VALU_DEP_3)
	v_dual_cndmask_b32 v22, v31, v27 :: v_dual_cndmask_b32 v25, v28, v26
	v_cmp_ne_u32_e32 vcc_lo, 0, v21
	v_xor_b32_e32 v26, s4, v32
	v_dual_cndmask_b32 v21, v24, v22 :: v_dual_cndmask_b32 v22, v23, v25
	s_delay_alu instid0(VALU_DEP_1) | instskip(NEXT) | instid1(VALU_DEP_2)
	v_xor_b32_e32 v23, v21, v26
	v_xor_b32_e32 v22, v22, v26
	s_delay_alu instid0(VALU_DEP_1) | instskip(NEXT) | instid1(VALU_DEP_3)
	v_sub_co_u32 v21, vcc_lo, v22, v26
	v_sub_co_ci_u32_e32 v22, vcc_lo, v23, v26, vcc_lo
                                        ; implicit-def: $vgpr23
.LBB1159_43:
	s_and_not1_saveexec_b32 s2, s3
	s_cbranch_execz .LBB1159_45
; %bb.44:
	v_cvt_f32_u32_e32 v21, s38
	s_sub_i32 s3, 0, s38
	s_delay_alu instid0(VALU_DEP_1) | instskip(SKIP_2) | instid1(VALU_DEP_1)
	v_rcp_iflag_f32_e32 v21, v21
	s_waitcnt_depctr 0xfff
	v_mul_f32_e32 v21, 0x4f7ffffe, v21
	v_cvt_u32_f32_e32 v21, v21
	s_delay_alu instid0(VALU_DEP_1) | instskip(NEXT) | instid1(VALU_DEP_1)
	v_mul_lo_u32 v22, s3, v21
	v_mul_hi_u32 v22, v21, v22
	s_delay_alu instid0(VALU_DEP_1) | instskip(NEXT) | instid1(VALU_DEP_1)
	v_add_nc_u32_e32 v21, v21, v22
	v_mul_hi_u32 v21, v23, v21
	s_delay_alu instid0(VALU_DEP_1) | instskip(NEXT) | instid1(VALU_DEP_1)
	v_mul_lo_u32 v22, v21, s38
	v_sub_nc_u32_e32 v22, v23, v22
	v_add_nc_u32_e32 v23, 1, v21
	s_delay_alu instid0(VALU_DEP_2) | instskip(SKIP_1) | instid1(VALU_DEP_2)
	v_subrev_nc_u32_e32 v24, s38, v22
	v_cmp_le_u32_e32 vcc_lo, s38, v22
	v_dual_cndmask_b32 v22, v22, v24 :: v_dual_cndmask_b32 v21, v21, v23
	s_delay_alu instid0(VALU_DEP_1) | instskip(NEXT) | instid1(VALU_DEP_2)
	v_cmp_le_u32_e32 vcc_lo, s38, v22
	v_dual_mov_b32 v22, 0 :: v_dual_add_nc_u32 v23, 1, v21
	s_delay_alu instid0(VALU_DEP_1)
	v_cndmask_b32_e32 v21, v21, v23, vcc_lo
.LBB1159_45:
	s_or_b32 exec_lo, exec_lo, s2
	v_add_co_u32 v25, vcc_lo, 0xb00, v29
	v_add_co_ci_u32_e32 v26, vcc_lo, 0, v30, vcc_lo
	v_mov_b32_e32 v23, 0
	s_delay_alu instid0(VALU_DEP_2) | instskip(NEXT) | instid1(VALU_DEP_1)
	v_or_b32_e32 v24, s39, v26
	v_cmp_ne_u64_e32 vcc_lo, 0, v[23:24]
                                        ; implicit-def: $vgpr23_vgpr24
	s_and_saveexec_b32 s2, vcc_lo
	s_delay_alu instid0(SALU_CYCLE_1)
	s_xor_b32 s3, exec_lo, s2
	s_cbranch_execz .LBB1159_47
; %bb.46:
	s_ashr_i32 s4, s39, 31
	s_delay_alu instid0(SALU_CYCLE_1) | instskip(SKIP_2) | instid1(SALU_CYCLE_1)
	s_add_u32 s6, s38, s4
	s_mov_b32 s5, s4
	s_addc_u32 s7, s39, s4
	s_xor_b64 s[6:7], s[6:7], s[4:5]
	s_delay_alu instid0(SALU_CYCLE_1) | instskip(SKIP_3) | instid1(VALU_DEP_1)
	v_cvt_f32_u32_e32 v23, s6
	v_cvt_f32_u32_e32 v24, s7
	s_sub_u32 s2, 0, s6
	s_subb_u32 s5, 0, s7
	v_fmamk_f32 v23, v24, 0x4f800000, v23
	s_delay_alu instid0(VALU_DEP_1) | instskip(SKIP_2) | instid1(VALU_DEP_1)
	v_rcp_f32_e32 v23, v23
	s_waitcnt_depctr 0xfff
	v_mul_f32_e32 v23, 0x5f7ffffc, v23
	v_mul_f32_e32 v24, 0x2f800000, v23
	s_delay_alu instid0(VALU_DEP_1) | instskip(NEXT) | instid1(VALU_DEP_1)
	v_trunc_f32_e32 v24, v24
	v_fmamk_f32 v23, v24, 0xcf800000, v23
	v_cvt_u32_f32_e32 v24, v24
	s_delay_alu instid0(VALU_DEP_2) | instskip(NEXT) | instid1(VALU_DEP_2)
	v_cvt_u32_f32_e32 v23, v23
	v_mul_lo_u32 v27, s2, v24
	s_delay_alu instid0(VALU_DEP_2) | instskip(SKIP_1) | instid1(VALU_DEP_2)
	v_mul_hi_u32 v28, s2, v23
	v_mul_lo_u32 v31, s5, v23
	v_add_nc_u32_e32 v27, v28, v27
	v_mul_lo_u32 v28, s2, v23
	s_delay_alu instid0(VALU_DEP_2) | instskip(NEXT) | instid1(VALU_DEP_2)
	v_add_nc_u32_e32 v27, v27, v31
	v_mul_hi_u32 v31, v23, v28
	s_delay_alu instid0(VALU_DEP_2)
	v_mul_lo_u32 v32, v23, v27
	v_mul_hi_u32 v33, v23, v27
	v_mul_hi_u32 v34, v24, v28
	v_mul_lo_u32 v28, v24, v28
	v_mul_hi_u32 v35, v24, v27
	v_mul_lo_u32 v27, v24, v27
	v_add_co_u32 v31, vcc_lo, v31, v32
	v_add_co_ci_u32_e32 v32, vcc_lo, 0, v33, vcc_lo
	s_delay_alu instid0(VALU_DEP_2) | instskip(NEXT) | instid1(VALU_DEP_2)
	v_add_co_u32 v28, vcc_lo, v31, v28
	v_add_co_ci_u32_e32 v28, vcc_lo, v32, v34, vcc_lo
	v_add_co_ci_u32_e32 v31, vcc_lo, 0, v35, vcc_lo
	v_ashrrev_i32_e32 v34, 31, v26
	s_delay_alu instid0(VALU_DEP_3) | instskip(NEXT) | instid1(VALU_DEP_3)
	v_add_co_u32 v27, vcc_lo, v28, v27
	v_add_co_ci_u32_e32 v28, vcc_lo, 0, v31, vcc_lo
	s_delay_alu instid0(VALU_DEP_2) | instskip(NEXT) | instid1(VALU_DEP_2)
	v_add_co_u32 v23, vcc_lo, v23, v27
	v_add_co_ci_u32_e32 v24, vcc_lo, v24, v28, vcc_lo
	s_delay_alu instid0(VALU_DEP_2) | instskip(SKIP_1) | instid1(VALU_DEP_3)
	v_mul_hi_u32 v27, s2, v23
	v_mul_lo_u32 v31, s5, v23
	v_mul_lo_u32 v28, s2, v24
	s_delay_alu instid0(VALU_DEP_1) | instskip(SKIP_1) | instid1(VALU_DEP_2)
	v_add_nc_u32_e32 v27, v27, v28
	v_mul_lo_u32 v28, s2, v23
	v_add_nc_u32_e32 v27, v27, v31
	s_delay_alu instid0(VALU_DEP_2) | instskip(NEXT) | instid1(VALU_DEP_2)
	v_mul_hi_u32 v31, v23, v28
	v_mul_lo_u32 v32, v23, v27
	v_mul_hi_u32 v33, v23, v27
	v_mul_hi_u32 v35, v24, v28
	v_mul_lo_u32 v28, v24, v28
	v_mul_hi_u32 v36, v24, v27
	v_mul_lo_u32 v27, v24, v27
	v_add_co_u32 v31, vcc_lo, v31, v32
	v_add_co_ci_u32_e32 v32, vcc_lo, 0, v33, vcc_lo
	s_delay_alu instid0(VALU_DEP_2) | instskip(NEXT) | instid1(VALU_DEP_2)
	v_add_co_u32 v28, vcc_lo, v31, v28
	v_add_co_ci_u32_e32 v28, vcc_lo, v32, v35, vcc_lo
	v_add_co_ci_u32_e32 v31, vcc_lo, 0, v36, vcc_lo
	v_add_co_u32 v25, vcc_lo, v25, v34
	v_add_co_ci_u32_e32 v26, vcc_lo, v26, v34, vcc_lo
	s_delay_alu instid0(VALU_DEP_4) | instskip(NEXT) | instid1(VALU_DEP_4)
	v_add_co_u32 v27, vcc_lo, v28, v27
	v_add_co_ci_u32_e32 v28, vcc_lo, 0, v31, vcc_lo
	s_delay_alu instid0(VALU_DEP_4) | instskip(NEXT) | instid1(VALU_DEP_3)
	v_xor_b32_e32 v31, v25, v34
	v_add_co_u32 v27, vcc_lo, v23, v27
	s_delay_alu instid0(VALU_DEP_3) | instskip(SKIP_1) | instid1(VALU_DEP_3)
	v_add_co_ci_u32_e32 v32, vcc_lo, v24, v28, vcc_lo
	v_xor_b32_e32 v33, v26, v34
	v_mul_hi_u32 v35, v31, v27
	s_delay_alu instid0(VALU_DEP_3) | instskip(NEXT) | instid1(VALU_DEP_3)
	v_mad_u64_u32 v[23:24], null, v31, v32, 0
	v_mad_u64_u32 v[25:26], null, v33, v27, 0
	;; [unrolled: 1-line block ×3, first 2 shown]
	s_delay_alu instid0(VALU_DEP_3) | instskip(NEXT) | instid1(VALU_DEP_4)
	v_add_co_u32 v23, vcc_lo, v35, v23
	v_add_co_ci_u32_e32 v24, vcc_lo, 0, v24, vcc_lo
	s_delay_alu instid0(VALU_DEP_2) | instskip(NEXT) | instid1(VALU_DEP_2)
	v_add_co_u32 v23, vcc_lo, v23, v25
	v_add_co_ci_u32_e32 v23, vcc_lo, v24, v26, vcc_lo
	v_add_co_ci_u32_e32 v24, vcc_lo, 0, v28, vcc_lo
	s_delay_alu instid0(VALU_DEP_2) | instskip(NEXT) | instid1(VALU_DEP_2)
	v_add_co_u32 v25, vcc_lo, v23, v27
	v_add_co_ci_u32_e32 v26, vcc_lo, 0, v24, vcc_lo
	s_delay_alu instid0(VALU_DEP_2) | instskip(SKIP_1) | instid1(VALU_DEP_3)
	v_mul_lo_u32 v27, s7, v25
	v_mad_u64_u32 v[23:24], null, s6, v25, 0
	v_mul_lo_u32 v28, s6, v26
	s_delay_alu instid0(VALU_DEP_2) | instskip(NEXT) | instid1(VALU_DEP_2)
	v_sub_co_u32 v23, vcc_lo, v31, v23
	v_add3_u32 v24, v24, v28, v27
	s_delay_alu instid0(VALU_DEP_1) | instskip(NEXT) | instid1(VALU_DEP_1)
	v_sub_nc_u32_e32 v27, v33, v24
	v_subrev_co_ci_u32_e64 v27, s2, s7, v27, vcc_lo
	v_add_co_u32 v28, s2, v25, 2
	s_delay_alu instid0(VALU_DEP_1) | instskip(SKIP_3) | instid1(VALU_DEP_3)
	v_add_co_ci_u32_e64 v31, s2, 0, v26, s2
	v_sub_co_u32 v32, s2, v23, s6
	v_sub_co_ci_u32_e32 v24, vcc_lo, v33, v24, vcc_lo
	v_subrev_co_ci_u32_e64 v27, s2, 0, v27, s2
	v_cmp_le_u32_e32 vcc_lo, s6, v32
	s_delay_alu instid0(VALU_DEP_3) | instskip(SKIP_1) | instid1(VALU_DEP_4)
	v_cmp_eq_u32_e64 s2, s7, v24
	v_cndmask_b32_e64 v32, 0, -1, vcc_lo
	v_cmp_le_u32_e32 vcc_lo, s7, v27
	v_cndmask_b32_e64 v33, 0, -1, vcc_lo
	v_cmp_le_u32_e32 vcc_lo, s6, v23
	v_cndmask_b32_e64 v23, 0, -1, vcc_lo
	v_cmp_le_u32_e32 vcc_lo, s7, v24
	v_cndmask_b32_e64 v35, 0, -1, vcc_lo
	v_cmp_eq_u32_e32 vcc_lo, s7, v27
	s_delay_alu instid0(VALU_DEP_2) | instskip(SKIP_3) | instid1(VALU_DEP_3)
	v_cndmask_b32_e64 v23, v35, v23, s2
	v_cndmask_b32_e32 v27, v33, v32, vcc_lo
	v_add_co_u32 v32, vcc_lo, v25, 1
	v_add_co_ci_u32_e32 v33, vcc_lo, 0, v26, vcc_lo
	v_cmp_ne_u32_e32 vcc_lo, 0, v27
	s_delay_alu instid0(VALU_DEP_2) | instskip(SKIP_2) | instid1(VALU_DEP_3)
	v_dual_cndmask_b32 v24, v33, v31 :: v_dual_cndmask_b32 v27, v32, v28
	v_cmp_ne_u32_e32 vcc_lo, 0, v23
	v_xor_b32_e32 v28, s4, v34
	v_dual_cndmask_b32 v23, v26, v24 :: v_dual_cndmask_b32 v24, v25, v27
	s_delay_alu instid0(VALU_DEP_1) | instskip(NEXT) | instid1(VALU_DEP_2)
	v_xor_b32_e32 v25, v23, v28
	v_xor_b32_e32 v24, v24, v28
	s_delay_alu instid0(VALU_DEP_1) | instskip(NEXT) | instid1(VALU_DEP_3)
	v_sub_co_u32 v23, vcc_lo, v24, v28
	v_sub_co_ci_u32_e32 v24, vcc_lo, v25, v28, vcc_lo
                                        ; implicit-def: $vgpr25
.LBB1159_47:
	s_and_not1_saveexec_b32 s2, s3
	s_cbranch_execz .LBB1159_49
; %bb.48:
	v_cvt_f32_u32_e32 v23, s38
	s_sub_i32 s3, 0, s38
	s_delay_alu instid0(VALU_DEP_1) | instskip(SKIP_2) | instid1(VALU_DEP_1)
	v_rcp_iflag_f32_e32 v23, v23
	s_waitcnt_depctr 0xfff
	v_mul_f32_e32 v23, 0x4f7ffffe, v23
	v_cvt_u32_f32_e32 v23, v23
	s_delay_alu instid0(VALU_DEP_1) | instskip(NEXT) | instid1(VALU_DEP_1)
	v_mul_lo_u32 v24, s3, v23
	v_mul_hi_u32 v24, v23, v24
	s_delay_alu instid0(VALU_DEP_1) | instskip(NEXT) | instid1(VALU_DEP_1)
	v_add_nc_u32_e32 v23, v23, v24
	v_mul_hi_u32 v23, v25, v23
	s_delay_alu instid0(VALU_DEP_1) | instskip(NEXT) | instid1(VALU_DEP_1)
	v_mul_lo_u32 v24, v23, s38
	v_sub_nc_u32_e32 v24, v25, v24
	v_add_nc_u32_e32 v25, 1, v23
	s_delay_alu instid0(VALU_DEP_2) | instskip(SKIP_1) | instid1(VALU_DEP_2)
	v_subrev_nc_u32_e32 v26, s38, v24
	v_cmp_le_u32_e32 vcc_lo, s38, v24
	v_dual_cndmask_b32 v24, v24, v26 :: v_dual_cndmask_b32 v23, v23, v25
	s_delay_alu instid0(VALU_DEP_1) | instskip(NEXT) | instid1(VALU_DEP_2)
	v_cmp_le_u32_e32 vcc_lo, s38, v24
	v_dual_mov_b32 v24, 0 :: v_dual_add_nc_u32 v25, 1, v23
	s_delay_alu instid0(VALU_DEP_1)
	v_cndmask_b32_e32 v23, v23, v25, vcc_lo
.LBB1159_49:
	s_or_b32 exec_lo, exec_lo, s2
	v_add_co_u32 v27, vcc_lo, 0xc00, v29
	v_add_co_ci_u32_e32 v28, vcc_lo, 0, v30, vcc_lo
	v_mov_b32_e32 v25, 0
	s_delay_alu instid0(VALU_DEP_2) | instskip(NEXT) | instid1(VALU_DEP_1)
	v_or_b32_e32 v26, s39, v28
	v_cmp_ne_u64_e32 vcc_lo, 0, v[25:26]
                                        ; implicit-def: $vgpr25_vgpr26
	s_and_saveexec_b32 s2, vcc_lo
	s_delay_alu instid0(SALU_CYCLE_1)
	s_xor_b32 s3, exec_lo, s2
	s_cbranch_execz .LBB1159_51
; %bb.50:
	s_ashr_i32 s4, s39, 31
	s_delay_alu instid0(SALU_CYCLE_1) | instskip(SKIP_2) | instid1(SALU_CYCLE_1)
	s_add_u32 s6, s38, s4
	s_mov_b32 s5, s4
	s_addc_u32 s7, s39, s4
	s_xor_b64 s[6:7], s[6:7], s[4:5]
	s_delay_alu instid0(SALU_CYCLE_1) | instskip(SKIP_3) | instid1(VALU_DEP_1)
	v_cvt_f32_u32_e32 v25, s6
	v_cvt_f32_u32_e32 v26, s7
	s_sub_u32 s2, 0, s6
	s_subb_u32 s5, 0, s7
	v_fmamk_f32 v25, v26, 0x4f800000, v25
	s_delay_alu instid0(VALU_DEP_1) | instskip(SKIP_2) | instid1(VALU_DEP_1)
	v_rcp_f32_e32 v25, v25
	s_waitcnt_depctr 0xfff
	v_mul_f32_e32 v25, 0x5f7ffffc, v25
	v_mul_f32_e32 v26, 0x2f800000, v25
	s_delay_alu instid0(VALU_DEP_1) | instskip(NEXT) | instid1(VALU_DEP_1)
	v_trunc_f32_e32 v26, v26
	v_fmamk_f32 v25, v26, 0xcf800000, v25
	v_cvt_u32_f32_e32 v26, v26
	s_delay_alu instid0(VALU_DEP_2) | instskip(NEXT) | instid1(VALU_DEP_2)
	v_cvt_u32_f32_e32 v25, v25
	v_mul_lo_u32 v31, s2, v26
	s_delay_alu instid0(VALU_DEP_2) | instskip(SKIP_1) | instid1(VALU_DEP_2)
	v_mul_hi_u32 v32, s2, v25
	v_mul_lo_u32 v33, s5, v25
	v_add_nc_u32_e32 v31, v32, v31
	v_mul_lo_u32 v32, s2, v25
	s_delay_alu instid0(VALU_DEP_2) | instskip(NEXT) | instid1(VALU_DEP_2)
	v_add_nc_u32_e32 v31, v31, v33
	v_mul_hi_u32 v33, v25, v32
	s_delay_alu instid0(VALU_DEP_2)
	v_mul_lo_u32 v34, v25, v31
	v_mul_hi_u32 v35, v25, v31
	v_mul_hi_u32 v36, v26, v32
	v_mul_lo_u32 v32, v26, v32
	v_mul_hi_u32 v37, v26, v31
	v_mul_lo_u32 v31, v26, v31
	v_add_co_u32 v33, vcc_lo, v33, v34
	v_add_co_ci_u32_e32 v34, vcc_lo, 0, v35, vcc_lo
	s_delay_alu instid0(VALU_DEP_2) | instskip(NEXT) | instid1(VALU_DEP_2)
	v_add_co_u32 v32, vcc_lo, v33, v32
	v_add_co_ci_u32_e32 v32, vcc_lo, v34, v36, vcc_lo
	v_add_co_ci_u32_e32 v33, vcc_lo, 0, v37, vcc_lo
	v_ashrrev_i32_e32 v36, 31, v28
	s_delay_alu instid0(VALU_DEP_3) | instskip(NEXT) | instid1(VALU_DEP_3)
	v_add_co_u32 v31, vcc_lo, v32, v31
	v_add_co_ci_u32_e32 v32, vcc_lo, 0, v33, vcc_lo
	s_delay_alu instid0(VALU_DEP_2) | instskip(NEXT) | instid1(VALU_DEP_2)
	v_add_co_u32 v25, vcc_lo, v25, v31
	v_add_co_ci_u32_e32 v26, vcc_lo, v26, v32, vcc_lo
	s_delay_alu instid0(VALU_DEP_2) | instskip(SKIP_1) | instid1(VALU_DEP_3)
	v_mul_hi_u32 v31, s2, v25
	v_mul_lo_u32 v33, s5, v25
	v_mul_lo_u32 v32, s2, v26
	s_delay_alu instid0(VALU_DEP_1) | instskip(SKIP_1) | instid1(VALU_DEP_2)
	v_add_nc_u32_e32 v31, v31, v32
	v_mul_lo_u32 v32, s2, v25
	v_add_nc_u32_e32 v31, v31, v33
	s_delay_alu instid0(VALU_DEP_2) | instskip(NEXT) | instid1(VALU_DEP_2)
	v_mul_hi_u32 v33, v25, v32
	v_mul_lo_u32 v34, v25, v31
	v_mul_hi_u32 v35, v25, v31
	v_mul_hi_u32 v37, v26, v32
	v_mul_lo_u32 v32, v26, v32
	v_mul_hi_u32 v38, v26, v31
	v_mul_lo_u32 v31, v26, v31
	v_add_co_u32 v33, vcc_lo, v33, v34
	v_add_co_ci_u32_e32 v34, vcc_lo, 0, v35, vcc_lo
	s_delay_alu instid0(VALU_DEP_2) | instskip(NEXT) | instid1(VALU_DEP_2)
	v_add_co_u32 v32, vcc_lo, v33, v32
	v_add_co_ci_u32_e32 v32, vcc_lo, v34, v37, vcc_lo
	v_add_co_ci_u32_e32 v33, vcc_lo, 0, v38, vcc_lo
	v_add_co_u32 v27, vcc_lo, v27, v36
	v_add_co_ci_u32_e32 v28, vcc_lo, v28, v36, vcc_lo
	s_delay_alu instid0(VALU_DEP_4) | instskip(NEXT) | instid1(VALU_DEP_4)
	v_add_co_u32 v31, vcc_lo, v32, v31
	v_add_co_ci_u32_e32 v32, vcc_lo, 0, v33, vcc_lo
	s_delay_alu instid0(VALU_DEP_4) | instskip(NEXT) | instid1(VALU_DEP_3)
	v_xor_b32_e32 v33, v27, v36
	v_add_co_u32 v31, vcc_lo, v25, v31
	s_delay_alu instid0(VALU_DEP_3) | instskip(SKIP_1) | instid1(VALU_DEP_3)
	v_add_co_ci_u32_e32 v34, vcc_lo, v26, v32, vcc_lo
	v_xor_b32_e32 v35, v28, v36
	v_mul_hi_u32 v37, v33, v31
	s_delay_alu instid0(VALU_DEP_3) | instskip(NEXT) | instid1(VALU_DEP_3)
	v_mad_u64_u32 v[25:26], null, v33, v34, 0
	v_mad_u64_u32 v[27:28], null, v35, v31, 0
	;; [unrolled: 1-line block ×3, first 2 shown]
	s_delay_alu instid0(VALU_DEP_3) | instskip(NEXT) | instid1(VALU_DEP_4)
	v_add_co_u32 v25, vcc_lo, v37, v25
	v_add_co_ci_u32_e32 v26, vcc_lo, 0, v26, vcc_lo
	s_delay_alu instid0(VALU_DEP_2) | instskip(NEXT) | instid1(VALU_DEP_2)
	v_add_co_u32 v25, vcc_lo, v25, v27
	v_add_co_ci_u32_e32 v25, vcc_lo, v26, v28, vcc_lo
	v_add_co_ci_u32_e32 v26, vcc_lo, 0, v32, vcc_lo
	s_delay_alu instid0(VALU_DEP_2) | instskip(NEXT) | instid1(VALU_DEP_2)
	v_add_co_u32 v27, vcc_lo, v25, v31
	v_add_co_ci_u32_e32 v28, vcc_lo, 0, v26, vcc_lo
	s_delay_alu instid0(VALU_DEP_2) | instskip(SKIP_1) | instid1(VALU_DEP_3)
	v_mul_lo_u32 v31, s7, v27
	v_mad_u64_u32 v[25:26], null, s6, v27, 0
	v_mul_lo_u32 v32, s6, v28
	s_delay_alu instid0(VALU_DEP_2) | instskip(NEXT) | instid1(VALU_DEP_2)
	v_sub_co_u32 v25, vcc_lo, v33, v25
	v_add3_u32 v26, v26, v32, v31
	s_delay_alu instid0(VALU_DEP_1) | instskip(NEXT) | instid1(VALU_DEP_1)
	v_sub_nc_u32_e32 v31, v35, v26
	v_subrev_co_ci_u32_e64 v31, s2, s7, v31, vcc_lo
	v_add_co_u32 v32, s2, v27, 2
	s_delay_alu instid0(VALU_DEP_1) | instskip(SKIP_3) | instid1(VALU_DEP_3)
	v_add_co_ci_u32_e64 v33, s2, 0, v28, s2
	v_sub_co_u32 v34, s2, v25, s6
	v_sub_co_ci_u32_e32 v26, vcc_lo, v35, v26, vcc_lo
	v_subrev_co_ci_u32_e64 v31, s2, 0, v31, s2
	v_cmp_le_u32_e32 vcc_lo, s6, v34
	s_delay_alu instid0(VALU_DEP_3) | instskip(SKIP_1) | instid1(VALU_DEP_4)
	v_cmp_eq_u32_e64 s2, s7, v26
	v_cndmask_b32_e64 v34, 0, -1, vcc_lo
	v_cmp_le_u32_e32 vcc_lo, s7, v31
	v_cndmask_b32_e64 v35, 0, -1, vcc_lo
	v_cmp_le_u32_e32 vcc_lo, s6, v25
	;; [unrolled: 2-line block ×3, first 2 shown]
	v_cndmask_b32_e64 v37, 0, -1, vcc_lo
	v_cmp_eq_u32_e32 vcc_lo, s7, v31
	s_delay_alu instid0(VALU_DEP_2) | instskip(SKIP_3) | instid1(VALU_DEP_3)
	v_cndmask_b32_e64 v25, v37, v25, s2
	v_cndmask_b32_e32 v31, v35, v34, vcc_lo
	v_add_co_u32 v34, vcc_lo, v27, 1
	v_add_co_ci_u32_e32 v35, vcc_lo, 0, v28, vcc_lo
	v_cmp_ne_u32_e32 vcc_lo, 0, v31
	s_delay_alu instid0(VALU_DEP_2) | instskip(SKIP_2) | instid1(VALU_DEP_3)
	v_dual_cndmask_b32 v26, v35, v33 :: v_dual_cndmask_b32 v31, v34, v32
	v_cmp_ne_u32_e32 vcc_lo, 0, v25
	v_xor_b32_e32 v32, s4, v36
	v_dual_cndmask_b32 v25, v28, v26 :: v_dual_cndmask_b32 v26, v27, v31
	s_delay_alu instid0(VALU_DEP_1) | instskip(NEXT) | instid1(VALU_DEP_2)
	v_xor_b32_e32 v27, v25, v32
	v_xor_b32_e32 v26, v26, v32
	s_delay_alu instid0(VALU_DEP_1) | instskip(NEXT) | instid1(VALU_DEP_3)
	v_sub_co_u32 v25, vcc_lo, v26, v32
	v_sub_co_ci_u32_e32 v26, vcc_lo, v27, v32, vcc_lo
                                        ; implicit-def: $vgpr27
.LBB1159_51:
	s_and_not1_saveexec_b32 s2, s3
	s_cbranch_execz .LBB1159_53
; %bb.52:
	v_cvt_f32_u32_e32 v25, s38
	s_sub_i32 s3, 0, s38
	s_delay_alu instid0(VALU_DEP_1) | instskip(SKIP_2) | instid1(VALU_DEP_1)
	v_rcp_iflag_f32_e32 v25, v25
	s_waitcnt_depctr 0xfff
	v_mul_f32_e32 v25, 0x4f7ffffe, v25
	v_cvt_u32_f32_e32 v25, v25
	s_delay_alu instid0(VALU_DEP_1) | instskip(NEXT) | instid1(VALU_DEP_1)
	v_mul_lo_u32 v26, s3, v25
	v_mul_hi_u32 v26, v25, v26
	s_delay_alu instid0(VALU_DEP_1) | instskip(NEXT) | instid1(VALU_DEP_1)
	v_add_nc_u32_e32 v25, v25, v26
	v_mul_hi_u32 v25, v27, v25
	s_delay_alu instid0(VALU_DEP_1) | instskip(NEXT) | instid1(VALU_DEP_1)
	v_mul_lo_u32 v26, v25, s38
	v_sub_nc_u32_e32 v26, v27, v26
	v_add_nc_u32_e32 v27, 1, v25
	s_delay_alu instid0(VALU_DEP_2) | instskip(SKIP_1) | instid1(VALU_DEP_2)
	v_subrev_nc_u32_e32 v28, s38, v26
	v_cmp_le_u32_e32 vcc_lo, s38, v26
	v_dual_cndmask_b32 v26, v26, v28 :: v_dual_cndmask_b32 v25, v25, v27
	s_delay_alu instid0(VALU_DEP_1) | instskip(NEXT) | instid1(VALU_DEP_2)
	v_cmp_le_u32_e32 vcc_lo, s38, v26
	v_dual_mov_b32 v26, 0 :: v_dual_add_nc_u32 v27, 1, v25
	s_delay_alu instid0(VALU_DEP_1)
	v_cndmask_b32_e32 v25, v25, v27, vcc_lo
.LBB1159_53:
	s_or_b32 exec_lo, exec_lo, s2
	v_add_co_u32 v31, vcc_lo, 0xd00, v29
	v_add_co_ci_u32_e32 v32, vcc_lo, 0, v30, vcc_lo
	v_mov_b32_e32 v27, 0
	s_delay_alu instid0(VALU_DEP_2) | instskip(NEXT) | instid1(VALU_DEP_1)
	v_or_b32_e32 v28, s39, v32
	v_cmp_ne_u64_e32 vcc_lo, 0, v[27:28]
                                        ; implicit-def: $vgpr27_vgpr28
	s_and_saveexec_b32 s2, vcc_lo
	s_delay_alu instid0(SALU_CYCLE_1)
	s_xor_b32 s3, exec_lo, s2
	s_cbranch_execz .LBB1159_55
; %bb.54:
	s_ashr_i32 s4, s39, 31
	s_delay_alu instid0(SALU_CYCLE_1) | instskip(SKIP_2) | instid1(SALU_CYCLE_1)
	s_add_u32 s6, s38, s4
	s_mov_b32 s5, s4
	s_addc_u32 s7, s39, s4
	s_xor_b64 s[6:7], s[6:7], s[4:5]
	s_delay_alu instid0(SALU_CYCLE_1) | instskip(SKIP_3) | instid1(VALU_DEP_1)
	v_cvt_f32_u32_e32 v27, s6
	v_cvt_f32_u32_e32 v28, s7
	s_sub_u32 s2, 0, s6
	s_subb_u32 s5, 0, s7
	v_fmamk_f32 v27, v28, 0x4f800000, v27
	s_delay_alu instid0(VALU_DEP_1) | instskip(SKIP_2) | instid1(VALU_DEP_1)
	v_rcp_f32_e32 v27, v27
	s_waitcnt_depctr 0xfff
	v_mul_f32_e32 v27, 0x5f7ffffc, v27
	v_mul_f32_e32 v28, 0x2f800000, v27
	s_delay_alu instid0(VALU_DEP_1) | instskip(NEXT) | instid1(VALU_DEP_1)
	v_trunc_f32_e32 v28, v28
	v_fmamk_f32 v27, v28, 0xcf800000, v27
	v_cvt_u32_f32_e32 v28, v28
	s_delay_alu instid0(VALU_DEP_2) | instskip(NEXT) | instid1(VALU_DEP_2)
	v_cvt_u32_f32_e32 v27, v27
	v_mul_lo_u32 v33, s2, v28
	s_delay_alu instid0(VALU_DEP_2) | instskip(SKIP_1) | instid1(VALU_DEP_2)
	v_mul_hi_u32 v34, s2, v27
	v_mul_lo_u32 v35, s5, v27
	v_add_nc_u32_e32 v33, v34, v33
	v_mul_lo_u32 v34, s2, v27
	s_delay_alu instid0(VALU_DEP_2) | instskip(NEXT) | instid1(VALU_DEP_2)
	v_add_nc_u32_e32 v33, v33, v35
	v_mul_hi_u32 v35, v27, v34
	s_delay_alu instid0(VALU_DEP_2)
	v_mul_lo_u32 v36, v27, v33
	v_mul_hi_u32 v37, v27, v33
	v_mul_hi_u32 v38, v28, v34
	v_mul_lo_u32 v34, v28, v34
	v_mul_hi_u32 v39, v28, v33
	v_mul_lo_u32 v33, v28, v33
	v_add_co_u32 v35, vcc_lo, v35, v36
	v_add_co_ci_u32_e32 v36, vcc_lo, 0, v37, vcc_lo
	s_delay_alu instid0(VALU_DEP_2) | instskip(NEXT) | instid1(VALU_DEP_2)
	v_add_co_u32 v34, vcc_lo, v35, v34
	v_add_co_ci_u32_e32 v34, vcc_lo, v36, v38, vcc_lo
	v_add_co_ci_u32_e32 v35, vcc_lo, 0, v39, vcc_lo
	v_ashrrev_i32_e32 v38, 31, v32
	s_delay_alu instid0(VALU_DEP_3) | instskip(NEXT) | instid1(VALU_DEP_3)
	v_add_co_u32 v33, vcc_lo, v34, v33
	v_add_co_ci_u32_e32 v34, vcc_lo, 0, v35, vcc_lo
	s_delay_alu instid0(VALU_DEP_2) | instskip(NEXT) | instid1(VALU_DEP_2)
	v_add_co_u32 v27, vcc_lo, v27, v33
	v_add_co_ci_u32_e32 v28, vcc_lo, v28, v34, vcc_lo
	s_delay_alu instid0(VALU_DEP_2) | instskip(SKIP_1) | instid1(VALU_DEP_3)
	v_mul_hi_u32 v33, s2, v27
	v_mul_lo_u32 v35, s5, v27
	v_mul_lo_u32 v34, s2, v28
	s_delay_alu instid0(VALU_DEP_1) | instskip(SKIP_1) | instid1(VALU_DEP_2)
	v_add_nc_u32_e32 v33, v33, v34
	v_mul_lo_u32 v34, s2, v27
	v_add_nc_u32_e32 v33, v33, v35
	s_delay_alu instid0(VALU_DEP_2) | instskip(NEXT) | instid1(VALU_DEP_2)
	v_mul_hi_u32 v35, v27, v34
	v_mul_lo_u32 v36, v27, v33
	v_mul_hi_u32 v37, v27, v33
	v_mul_hi_u32 v39, v28, v34
	v_mul_lo_u32 v34, v28, v34
	v_mul_hi_u32 v40, v28, v33
	v_mul_lo_u32 v33, v28, v33
	v_add_co_u32 v35, vcc_lo, v35, v36
	v_add_co_ci_u32_e32 v36, vcc_lo, 0, v37, vcc_lo
	s_delay_alu instid0(VALU_DEP_2) | instskip(NEXT) | instid1(VALU_DEP_2)
	v_add_co_u32 v34, vcc_lo, v35, v34
	v_add_co_ci_u32_e32 v34, vcc_lo, v36, v39, vcc_lo
	v_add_co_ci_u32_e32 v35, vcc_lo, 0, v40, vcc_lo
	v_add_co_u32 v31, vcc_lo, v31, v38
	v_add_co_ci_u32_e32 v32, vcc_lo, v32, v38, vcc_lo
	s_delay_alu instid0(VALU_DEP_4) | instskip(NEXT) | instid1(VALU_DEP_4)
	v_add_co_u32 v33, vcc_lo, v34, v33
	v_add_co_ci_u32_e32 v34, vcc_lo, 0, v35, vcc_lo
	s_delay_alu instid0(VALU_DEP_4) | instskip(NEXT) | instid1(VALU_DEP_3)
	v_xor_b32_e32 v35, v31, v38
	v_add_co_u32 v33, vcc_lo, v27, v33
	s_delay_alu instid0(VALU_DEP_3) | instskip(SKIP_1) | instid1(VALU_DEP_3)
	v_add_co_ci_u32_e32 v36, vcc_lo, v28, v34, vcc_lo
	v_xor_b32_e32 v37, v32, v38
	v_mul_hi_u32 v39, v35, v33
	s_delay_alu instid0(VALU_DEP_3) | instskip(NEXT) | instid1(VALU_DEP_3)
	v_mad_u64_u32 v[27:28], null, v35, v36, 0
	v_mad_u64_u32 v[31:32], null, v37, v33, 0
	;; [unrolled: 1-line block ×3, first 2 shown]
	s_delay_alu instid0(VALU_DEP_3) | instskip(NEXT) | instid1(VALU_DEP_4)
	v_add_co_u32 v27, vcc_lo, v39, v27
	v_add_co_ci_u32_e32 v28, vcc_lo, 0, v28, vcc_lo
	s_delay_alu instid0(VALU_DEP_2) | instskip(NEXT) | instid1(VALU_DEP_2)
	v_add_co_u32 v27, vcc_lo, v27, v31
	v_add_co_ci_u32_e32 v27, vcc_lo, v28, v32, vcc_lo
	v_add_co_ci_u32_e32 v28, vcc_lo, 0, v34, vcc_lo
	s_delay_alu instid0(VALU_DEP_2) | instskip(NEXT) | instid1(VALU_DEP_2)
	v_add_co_u32 v31, vcc_lo, v27, v33
	v_add_co_ci_u32_e32 v32, vcc_lo, 0, v28, vcc_lo
	s_delay_alu instid0(VALU_DEP_2) | instskip(SKIP_1) | instid1(VALU_DEP_3)
	v_mul_lo_u32 v33, s7, v31
	v_mad_u64_u32 v[27:28], null, s6, v31, 0
	v_mul_lo_u32 v34, s6, v32
	s_delay_alu instid0(VALU_DEP_2) | instskip(NEXT) | instid1(VALU_DEP_2)
	v_sub_co_u32 v27, vcc_lo, v35, v27
	v_add3_u32 v28, v28, v34, v33
	s_delay_alu instid0(VALU_DEP_1) | instskip(NEXT) | instid1(VALU_DEP_1)
	v_sub_nc_u32_e32 v33, v37, v28
	v_subrev_co_ci_u32_e64 v33, s2, s7, v33, vcc_lo
	v_add_co_u32 v34, s2, v31, 2
	s_delay_alu instid0(VALU_DEP_1) | instskip(SKIP_3) | instid1(VALU_DEP_3)
	v_add_co_ci_u32_e64 v35, s2, 0, v32, s2
	v_sub_co_u32 v36, s2, v27, s6
	v_sub_co_ci_u32_e32 v28, vcc_lo, v37, v28, vcc_lo
	v_subrev_co_ci_u32_e64 v33, s2, 0, v33, s2
	v_cmp_le_u32_e32 vcc_lo, s6, v36
	s_delay_alu instid0(VALU_DEP_3) | instskip(SKIP_1) | instid1(VALU_DEP_4)
	v_cmp_eq_u32_e64 s2, s7, v28
	v_cndmask_b32_e64 v36, 0, -1, vcc_lo
	v_cmp_le_u32_e32 vcc_lo, s7, v33
	v_cndmask_b32_e64 v37, 0, -1, vcc_lo
	v_cmp_le_u32_e32 vcc_lo, s6, v27
	;; [unrolled: 2-line block ×3, first 2 shown]
	v_cndmask_b32_e64 v39, 0, -1, vcc_lo
	v_cmp_eq_u32_e32 vcc_lo, s7, v33
	s_delay_alu instid0(VALU_DEP_2) | instskip(SKIP_3) | instid1(VALU_DEP_3)
	v_cndmask_b32_e64 v27, v39, v27, s2
	v_cndmask_b32_e32 v33, v37, v36, vcc_lo
	v_add_co_u32 v36, vcc_lo, v31, 1
	v_add_co_ci_u32_e32 v37, vcc_lo, 0, v32, vcc_lo
	v_cmp_ne_u32_e32 vcc_lo, 0, v33
	s_delay_alu instid0(VALU_DEP_2) | instskip(SKIP_2) | instid1(VALU_DEP_3)
	v_dual_cndmask_b32 v28, v37, v35 :: v_dual_cndmask_b32 v33, v36, v34
	v_cmp_ne_u32_e32 vcc_lo, 0, v27
	v_xor_b32_e32 v34, s4, v38
	v_dual_cndmask_b32 v27, v32, v28 :: v_dual_cndmask_b32 v28, v31, v33
	s_delay_alu instid0(VALU_DEP_1) | instskip(NEXT) | instid1(VALU_DEP_2)
	v_xor_b32_e32 v31, v27, v34
	v_xor_b32_e32 v28, v28, v34
	s_delay_alu instid0(VALU_DEP_1) | instskip(NEXT) | instid1(VALU_DEP_3)
	v_sub_co_u32 v27, vcc_lo, v28, v34
	v_sub_co_ci_u32_e32 v28, vcc_lo, v31, v34, vcc_lo
                                        ; implicit-def: $vgpr31
.LBB1159_55:
	s_and_not1_saveexec_b32 s2, s3
	s_cbranch_execz .LBB1159_57
; %bb.56:
	v_cvt_f32_u32_e32 v27, s38
	s_sub_i32 s3, 0, s38
	s_delay_alu instid0(VALU_DEP_1) | instskip(SKIP_2) | instid1(VALU_DEP_1)
	v_rcp_iflag_f32_e32 v27, v27
	s_waitcnt_depctr 0xfff
	v_mul_f32_e32 v27, 0x4f7ffffe, v27
	v_cvt_u32_f32_e32 v27, v27
	s_delay_alu instid0(VALU_DEP_1) | instskip(NEXT) | instid1(VALU_DEP_1)
	v_mul_lo_u32 v28, s3, v27
	v_mul_hi_u32 v28, v27, v28
	s_delay_alu instid0(VALU_DEP_1) | instskip(NEXT) | instid1(VALU_DEP_1)
	v_add_nc_u32_e32 v27, v27, v28
	v_mul_hi_u32 v27, v31, v27
	s_delay_alu instid0(VALU_DEP_1) | instskip(NEXT) | instid1(VALU_DEP_1)
	v_mul_lo_u32 v28, v27, s38
	v_sub_nc_u32_e32 v28, v31, v28
	v_add_nc_u32_e32 v31, 1, v27
	s_delay_alu instid0(VALU_DEP_2) | instskip(SKIP_1) | instid1(VALU_DEP_2)
	v_subrev_nc_u32_e32 v32, s38, v28
	v_cmp_le_u32_e32 vcc_lo, s38, v28
	v_dual_cndmask_b32 v28, v28, v32 :: v_dual_cndmask_b32 v27, v27, v31
	s_delay_alu instid0(VALU_DEP_1) | instskip(NEXT) | instid1(VALU_DEP_2)
	v_cmp_le_u32_e32 vcc_lo, s38, v28
	v_dual_mov_b32 v28, 0 :: v_dual_add_nc_u32 v31, 1, v27
	s_delay_alu instid0(VALU_DEP_1)
	v_cndmask_b32_e32 v27, v27, v31, vcc_lo
.LBB1159_57:
	s_or_b32 exec_lo, exec_lo, s2
	v_add_co_u32 v31, vcc_lo, 0xe00, v29
	v_add_co_ci_u32_e32 v32, vcc_lo, 0, v30, vcc_lo
	v_mov_b32_e32 v29, 0
	s_delay_alu instid0(VALU_DEP_2) | instskip(NEXT) | instid1(VALU_DEP_1)
	v_or_b32_e32 v30, s39, v32
	v_cmp_ne_u64_e32 vcc_lo, 0, v[29:30]
                                        ; implicit-def: $vgpr29_vgpr30
	s_and_saveexec_b32 s2, vcc_lo
	s_delay_alu instid0(SALU_CYCLE_1)
	s_xor_b32 s3, exec_lo, s2
	s_cbranch_execz .LBB1159_59
; %bb.58:
	s_ashr_i32 s4, s39, 31
	s_delay_alu instid0(SALU_CYCLE_1) | instskip(SKIP_2) | instid1(SALU_CYCLE_1)
	s_add_u32 s6, s38, s4
	s_mov_b32 s5, s4
	s_addc_u32 s7, s39, s4
	s_xor_b64 s[6:7], s[6:7], s[4:5]
	s_delay_alu instid0(SALU_CYCLE_1) | instskip(SKIP_3) | instid1(VALU_DEP_1)
	v_cvt_f32_u32_e32 v29, s6
	v_cvt_f32_u32_e32 v30, s7
	s_sub_u32 s2, 0, s6
	s_subb_u32 s5, 0, s7
	v_fmamk_f32 v29, v30, 0x4f800000, v29
	s_delay_alu instid0(VALU_DEP_1) | instskip(SKIP_2) | instid1(VALU_DEP_1)
	v_rcp_f32_e32 v29, v29
	s_waitcnt_depctr 0xfff
	v_mul_f32_e32 v29, 0x5f7ffffc, v29
	v_mul_f32_e32 v30, 0x2f800000, v29
	s_delay_alu instid0(VALU_DEP_1) | instskip(NEXT) | instid1(VALU_DEP_1)
	v_trunc_f32_e32 v30, v30
	v_fmamk_f32 v29, v30, 0xcf800000, v29
	v_cvt_u32_f32_e32 v30, v30
	s_delay_alu instid0(VALU_DEP_2) | instskip(NEXT) | instid1(VALU_DEP_2)
	v_cvt_u32_f32_e32 v29, v29
	v_mul_lo_u32 v33, s2, v30
	s_delay_alu instid0(VALU_DEP_2) | instskip(SKIP_1) | instid1(VALU_DEP_2)
	v_mul_hi_u32 v34, s2, v29
	v_mul_lo_u32 v35, s5, v29
	v_add_nc_u32_e32 v33, v34, v33
	v_mul_lo_u32 v34, s2, v29
	s_delay_alu instid0(VALU_DEP_2) | instskip(NEXT) | instid1(VALU_DEP_2)
	v_add_nc_u32_e32 v33, v33, v35
	v_mul_hi_u32 v35, v29, v34
	s_delay_alu instid0(VALU_DEP_2)
	v_mul_lo_u32 v36, v29, v33
	v_mul_hi_u32 v37, v29, v33
	v_mul_hi_u32 v38, v30, v34
	v_mul_lo_u32 v34, v30, v34
	v_mul_hi_u32 v39, v30, v33
	v_mul_lo_u32 v33, v30, v33
	v_add_co_u32 v35, vcc_lo, v35, v36
	v_add_co_ci_u32_e32 v36, vcc_lo, 0, v37, vcc_lo
	s_delay_alu instid0(VALU_DEP_2) | instskip(NEXT) | instid1(VALU_DEP_2)
	v_add_co_u32 v34, vcc_lo, v35, v34
	v_add_co_ci_u32_e32 v34, vcc_lo, v36, v38, vcc_lo
	v_add_co_ci_u32_e32 v35, vcc_lo, 0, v39, vcc_lo
	v_ashrrev_i32_e32 v38, 31, v32
	s_delay_alu instid0(VALU_DEP_3) | instskip(NEXT) | instid1(VALU_DEP_3)
	v_add_co_u32 v33, vcc_lo, v34, v33
	v_add_co_ci_u32_e32 v34, vcc_lo, 0, v35, vcc_lo
	s_delay_alu instid0(VALU_DEP_2) | instskip(NEXT) | instid1(VALU_DEP_2)
	v_add_co_u32 v29, vcc_lo, v29, v33
	v_add_co_ci_u32_e32 v30, vcc_lo, v30, v34, vcc_lo
	s_delay_alu instid0(VALU_DEP_2) | instskip(SKIP_1) | instid1(VALU_DEP_3)
	v_mul_hi_u32 v33, s2, v29
	v_mul_lo_u32 v35, s5, v29
	v_mul_lo_u32 v34, s2, v30
	s_delay_alu instid0(VALU_DEP_1) | instskip(SKIP_1) | instid1(VALU_DEP_2)
	v_add_nc_u32_e32 v33, v33, v34
	v_mul_lo_u32 v34, s2, v29
	v_add_nc_u32_e32 v33, v33, v35
	s_delay_alu instid0(VALU_DEP_2) | instskip(NEXT) | instid1(VALU_DEP_2)
	v_mul_hi_u32 v35, v29, v34
	v_mul_lo_u32 v36, v29, v33
	v_mul_hi_u32 v37, v29, v33
	v_mul_hi_u32 v39, v30, v34
	v_mul_lo_u32 v34, v30, v34
	v_mul_hi_u32 v40, v30, v33
	v_mul_lo_u32 v33, v30, v33
	v_add_co_u32 v35, vcc_lo, v35, v36
	v_add_co_ci_u32_e32 v36, vcc_lo, 0, v37, vcc_lo
	s_delay_alu instid0(VALU_DEP_2) | instskip(NEXT) | instid1(VALU_DEP_2)
	v_add_co_u32 v34, vcc_lo, v35, v34
	v_add_co_ci_u32_e32 v34, vcc_lo, v36, v39, vcc_lo
	v_add_co_ci_u32_e32 v35, vcc_lo, 0, v40, vcc_lo
	v_add_co_u32 v31, vcc_lo, v31, v38
	v_add_co_ci_u32_e32 v32, vcc_lo, v32, v38, vcc_lo
	s_delay_alu instid0(VALU_DEP_4) | instskip(NEXT) | instid1(VALU_DEP_4)
	v_add_co_u32 v33, vcc_lo, v34, v33
	v_add_co_ci_u32_e32 v34, vcc_lo, 0, v35, vcc_lo
	s_delay_alu instid0(VALU_DEP_4) | instskip(NEXT) | instid1(VALU_DEP_3)
	v_xor_b32_e32 v35, v31, v38
	v_add_co_u32 v33, vcc_lo, v29, v33
	s_delay_alu instid0(VALU_DEP_3) | instskip(SKIP_1) | instid1(VALU_DEP_3)
	v_add_co_ci_u32_e32 v36, vcc_lo, v30, v34, vcc_lo
	v_xor_b32_e32 v37, v32, v38
	v_mul_hi_u32 v39, v35, v33
	s_delay_alu instid0(VALU_DEP_3) | instskip(NEXT) | instid1(VALU_DEP_3)
	v_mad_u64_u32 v[29:30], null, v35, v36, 0
	v_mad_u64_u32 v[31:32], null, v37, v33, 0
	;; [unrolled: 1-line block ×3, first 2 shown]
	s_delay_alu instid0(VALU_DEP_3) | instskip(NEXT) | instid1(VALU_DEP_4)
	v_add_co_u32 v29, vcc_lo, v39, v29
	v_add_co_ci_u32_e32 v30, vcc_lo, 0, v30, vcc_lo
	s_delay_alu instid0(VALU_DEP_2) | instskip(NEXT) | instid1(VALU_DEP_2)
	v_add_co_u32 v29, vcc_lo, v29, v31
	v_add_co_ci_u32_e32 v29, vcc_lo, v30, v32, vcc_lo
	v_add_co_ci_u32_e32 v30, vcc_lo, 0, v34, vcc_lo
	s_delay_alu instid0(VALU_DEP_2) | instskip(NEXT) | instid1(VALU_DEP_2)
	v_add_co_u32 v31, vcc_lo, v29, v33
	v_add_co_ci_u32_e32 v32, vcc_lo, 0, v30, vcc_lo
	s_delay_alu instid0(VALU_DEP_2) | instskip(SKIP_1) | instid1(VALU_DEP_3)
	v_mul_lo_u32 v33, s7, v31
	v_mad_u64_u32 v[29:30], null, s6, v31, 0
	v_mul_lo_u32 v34, s6, v32
	s_delay_alu instid0(VALU_DEP_2) | instskip(NEXT) | instid1(VALU_DEP_2)
	v_sub_co_u32 v29, vcc_lo, v35, v29
	v_add3_u32 v30, v30, v34, v33
	s_delay_alu instid0(VALU_DEP_1) | instskip(NEXT) | instid1(VALU_DEP_1)
	v_sub_nc_u32_e32 v33, v37, v30
	v_subrev_co_ci_u32_e64 v33, s2, s7, v33, vcc_lo
	v_add_co_u32 v34, s2, v31, 2
	s_delay_alu instid0(VALU_DEP_1) | instskip(SKIP_3) | instid1(VALU_DEP_3)
	v_add_co_ci_u32_e64 v35, s2, 0, v32, s2
	v_sub_co_u32 v36, s2, v29, s6
	v_sub_co_ci_u32_e32 v30, vcc_lo, v37, v30, vcc_lo
	v_subrev_co_ci_u32_e64 v33, s2, 0, v33, s2
	v_cmp_le_u32_e32 vcc_lo, s6, v36
	s_delay_alu instid0(VALU_DEP_3) | instskip(SKIP_1) | instid1(VALU_DEP_4)
	v_cmp_eq_u32_e64 s2, s7, v30
	v_cndmask_b32_e64 v36, 0, -1, vcc_lo
	v_cmp_le_u32_e32 vcc_lo, s7, v33
	v_cndmask_b32_e64 v37, 0, -1, vcc_lo
	v_cmp_le_u32_e32 vcc_lo, s6, v29
	;; [unrolled: 2-line block ×3, first 2 shown]
	v_cndmask_b32_e64 v39, 0, -1, vcc_lo
	v_cmp_eq_u32_e32 vcc_lo, s7, v33
	s_delay_alu instid0(VALU_DEP_2) | instskip(SKIP_3) | instid1(VALU_DEP_3)
	v_cndmask_b32_e64 v29, v39, v29, s2
	v_cndmask_b32_e32 v33, v37, v36, vcc_lo
	v_add_co_u32 v36, vcc_lo, v31, 1
	v_add_co_ci_u32_e32 v37, vcc_lo, 0, v32, vcc_lo
	v_cmp_ne_u32_e32 vcc_lo, 0, v33
	s_delay_alu instid0(VALU_DEP_2) | instskip(SKIP_2) | instid1(VALU_DEP_3)
	v_dual_cndmask_b32 v30, v37, v35 :: v_dual_cndmask_b32 v33, v36, v34
	v_cmp_ne_u32_e32 vcc_lo, 0, v29
	v_xor_b32_e32 v34, s4, v38
	v_dual_cndmask_b32 v29, v32, v30 :: v_dual_cndmask_b32 v30, v31, v33
	s_delay_alu instid0(VALU_DEP_1) | instskip(NEXT) | instid1(VALU_DEP_2)
	v_xor_b32_e32 v31, v29, v34
	v_xor_b32_e32 v30, v30, v34
	s_delay_alu instid0(VALU_DEP_1) | instskip(NEXT) | instid1(VALU_DEP_3)
	v_sub_co_u32 v29, vcc_lo, v30, v34
	v_sub_co_ci_u32_e32 v30, vcc_lo, v31, v34, vcc_lo
                                        ; implicit-def: $vgpr31
.LBB1159_59:
	s_and_not1_saveexec_b32 s2, s3
	s_cbranch_execz .LBB1159_61
; %bb.60:
	v_cvt_f32_u32_e32 v29, s38
	s_sub_i32 s3, 0, s38
	s_delay_alu instid0(VALU_DEP_1) | instskip(SKIP_2) | instid1(VALU_DEP_1)
	v_rcp_iflag_f32_e32 v29, v29
	s_waitcnt_depctr 0xfff
	v_mul_f32_e32 v29, 0x4f7ffffe, v29
	v_cvt_u32_f32_e32 v29, v29
	s_delay_alu instid0(VALU_DEP_1) | instskip(NEXT) | instid1(VALU_DEP_1)
	v_mul_lo_u32 v30, s3, v29
	v_mul_hi_u32 v30, v29, v30
	s_delay_alu instid0(VALU_DEP_1) | instskip(NEXT) | instid1(VALU_DEP_1)
	v_add_nc_u32_e32 v29, v29, v30
	v_mul_hi_u32 v29, v31, v29
	s_delay_alu instid0(VALU_DEP_1) | instskip(NEXT) | instid1(VALU_DEP_1)
	v_mul_lo_u32 v30, v29, s38
	v_sub_nc_u32_e32 v30, v31, v30
	v_add_nc_u32_e32 v31, 1, v29
	s_delay_alu instid0(VALU_DEP_2) | instskip(SKIP_1) | instid1(VALU_DEP_2)
	v_subrev_nc_u32_e32 v32, s38, v30
	v_cmp_le_u32_e32 vcc_lo, s38, v30
	v_dual_cndmask_b32 v30, v30, v32 :: v_dual_cndmask_b32 v29, v29, v31
	s_delay_alu instid0(VALU_DEP_1) | instskip(NEXT) | instid1(VALU_DEP_2)
	v_cmp_le_u32_e32 vcc_lo, s38, v30
	v_dual_mov_b32 v30, 0 :: v_dual_add_nc_u32 v31, 1, v29
	s_delay_alu instid0(VALU_DEP_1)
	v_cndmask_b32_e32 v29, v29, v31, vcc_lo
.LBB1159_61:
	s_or_b32 exec_lo, exec_lo, s2
	v_lshlrev_b32_e32 v62, 3, v0
	v_add_co_u32 v63, s2, s30, v0
	s_delay_alu instid0(VALU_DEP_1)
	v_add_co_ci_u32_e64 v64, null, s31, 0, s2
	ds_store_2addr_stride64_b64 v62, v[1:2], v[3:4] offset1:4
	ds_store_2addr_stride64_b64 v62, v[5:6], v[7:8] offset0:8 offset1:12
	ds_store_2addr_stride64_b64 v62, v[9:10], v[11:12] offset0:16 offset1:20
	ds_store_2addr_stride64_b64 v62, v[13:14], v[15:16] offset0:24 offset1:28
	ds_store_2addr_stride64_b64 v62, v[17:18], v[19:20] offset0:32 offset1:36
	ds_store_2addr_stride64_b64 v62, v[21:22], v[23:24] offset0:40 offset1:44
	ds_store_2addr_stride64_b64 v62, v[25:26], v[27:28] offset0:48 offset1:52
	ds_store_b64 v62, v[29:30] offset:28672
	v_mov_b32_e32 v29, 0
	v_mad_u32_u24 v61, 0x70, v0, v62
	s_waitcnt lgkmcnt(0)
	s_barrier
	buffer_gl0_inv
	ds_load_2addr_b64 v[25:28], v61 offset1:1
	ds_load_2addr_b64 v[21:24], v61 offset0:2 offset1:3
	ds_load_2addr_b64 v[17:20], v61 offset0:4 offset1:5
	;; [unrolled: 1-line block ×6, first 2 shown]
	ds_load_b64 v[57:58], v61 offset:112
	v_or_b32_e32 v30, s45, v64
	s_waitcnt lgkmcnt(0)
	s_barrier
	buffer_gl0_inv
	v_cmp_ne_u64_e32 vcc_lo, 0, v[29:30]
                                        ; implicit-def: $vgpr29_vgpr30
	s_and_saveexec_b32 s2, vcc_lo
	s_delay_alu instid0(SALU_CYCLE_1)
	s_xor_b32 s3, exec_lo, s2
	s_cbranch_execz .LBB1159_63
; %bb.62:
	s_ashr_i32 s4, s45, 31
	s_delay_alu instid0(SALU_CYCLE_1) | instskip(SKIP_2) | instid1(SALU_CYCLE_1)
	s_add_u32 s6, s44, s4
	s_mov_b32 s5, s4
	s_addc_u32 s7, s45, s4
	s_xor_b64 s[6:7], s[6:7], s[4:5]
	s_delay_alu instid0(SALU_CYCLE_1) | instskip(SKIP_3) | instid1(VALU_DEP_1)
	v_cvt_f32_u32_e32 v29, s6
	v_cvt_f32_u32_e32 v30, s7
	s_sub_u32 s2, 0, s6
	s_subb_u32 s5, 0, s7
	v_fmamk_f32 v29, v30, 0x4f800000, v29
	s_delay_alu instid0(VALU_DEP_1) | instskip(SKIP_2) | instid1(VALU_DEP_1)
	v_rcp_f32_e32 v29, v29
	s_waitcnt_depctr 0xfff
	v_mul_f32_e32 v29, 0x5f7ffffc, v29
	v_mul_f32_e32 v30, 0x2f800000, v29
	s_delay_alu instid0(VALU_DEP_1) | instskip(NEXT) | instid1(VALU_DEP_1)
	v_trunc_f32_e32 v30, v30
	v_fmamk_f32 v29, v30, 0xcf800000, v29
	v_cvt_u32_f32_e32 v30, v30
	s_delay_alu instid0(VALU_DEP_2) | instskip(NEXT) | instid1(VALU_DEP_2)
	v_cvt_u32_f32_e32 v29, v29
	v_mul_lo_u32 v31, s2, v30
	s_delay_alu instid0(VALU_DEP_2) | instskip(SKIP_1) | instid1(VALU_DEP_2)
	v_mul_hi_u32 v32, s2, v29
	v_mul_lo_u32 v33, s5, v29
	v_add_nc_u32_e32 v31, v32, v31
	v_mul_lo_u32 v32, s2, v29
	s_delay_alu instid0(VALU_DEP_2) | instskip(NEXT) | instid1(VALU_DEP_2)
	v_add_nc_u32_e32 v31, v31, v33
	v_mul_hi_u32 v33, v29, v32
	s_delay_alu instid0(VALU_DEP_2)
	v_mul_lo_u32 v34, v29, v31
	v_mul_hi_u32 v35, v29, v31
	v_mul_hi_u32 v36, v30, v32
	v_mul_lo_u32 v32, v30, v32
	v_mul_hi_u32 v37, v30, v31
	v_mul_lo_u32 v31, v30, v31
	v_add_co_u32 v33, vcc_lo, v33, v34
	v_add_co_ci_u32_e32 v34, vcc_lo, 0, v35, vcc_lo
	s_delay_alu instid0(VALU_DEP_2) | instskip(NEXT) | instid1(VALU_DEP_2)
	v_add_co_u32 v32, vcc_lo, v33, v32
	v_add_co_ci_u32_e32 v32, vcc_lo, v34, v36, vcc_lo
	v_add_co_ci_u32_e32 v33, vcc_lo, 0, v37, vcc_lo
	v_ashrrev_i32_e32 v36, 31, v64
	s_delay_alu instid0(VALU_DEP_3) | instskip(NEXT) | instid1(VALU_DEP_3)
	v_add_co_u32 v31, vcc_lo, v32, v31
	v_add_co_ci_u32_e32 v32, vcc_lo, 0, v33, vcc_lo
	s_delay_alu instid0(VALU_DEP_2) | instskip(NEXT) | instid1(VALU_DEP_2)
	v_add_co_u32 v29, vcc_lo, v29, v31
	v_add_co_ci_u32_e32 v30, vcc_lo, v30, v32, vcc_lo
	s_delay_alu instid0(VALU_DEP_2) | instskip(SKIP_1) | instid1(VALU_DEP_3)
	v_mul_hi_u32 v31, s2, v29
	v_mul_lo_u32 v33, s5, v29
	v_mul_lo_u32 v32, s2, v30
	s_delay_alu instid0(VALU_DEP_1) | instskip(SKIP_1) | instid1(VALU_DEP_2)
	v_add_nc_u32_e32 v31, v31, v32
	v_mul_lo_u32 v32, s2, v29
	v_add_nc_u32_e32 v31, v31, v33
	s_delay_alu instid0(VALU_DEP_2) | instskip(NEXT) | instid1(VALU_DEP_2)
	v_mul_hi_u32 v33, v29, v32
	v_mul_lo_u32 v34, v29, v31
	v_mul_hi_u32 v35, v29, v31
	v_mul_hi_u32 v37, v30, v32
	v_mul_lo_u32 v32, v30, v32
	v_mul_hi_u32 v38, v30, v31
	v_mul_lo_u32 v31, v30, v31
	v_add_co_u32 v33, vcc_lo, v33, v34
	v_add_co_ci_u32_e32 v34, vcc_lo, 0, v35, vcc_lo
	s_delay_alu instid0(VALU_DEP_2) | instskip(NEXT) | instid1(VALU_DEP_2)
	v_add_co_u32 v32, vcc_lo, v33, v32
	v_add_co_ci_u32_e32 v32, vcc_lo, v34, v37, vcc_lo
	v_add_co_ci_u32_e32 v33, vcc_lo, 0, v38, vcc_lo
	v_add_co_u32 v34, vcc_lo, v63, v36
	v_add_co_ci_u32_e32 v35, vcc_lo, v64, v36, vcc_lo
	s_delay_alu instid0(VALU_DEP_4) | instskip(NEXT) | instid1(VALU_DEP_4)
	v_add_co_u32 v31, vcc_lo, v32, v31
	v_add_co_ci_u32_e32 v32, vcc_lo, 0, v33, vcc_lo
	s_delay_alu instid0(VALU_DEP_4) | instskip(NEXT) | instid1(VALU_DEP_3)
	v_xor_b32_e32 v37, v34, v36
	v_add_co_u32 v33, vcc_lo, v29, v31
	s_delay_alu instid0(VALU_DEP_3) | instskip(SKIP_1) | instid1(VALU_DEP_3)
	v_add_co_ci_u32_e32 v38, vcc_lo, v30, v32, vcc_lo
	v_xor_b32_e32 v35, v35, v36
	v_mul_hi_u32 v39, v37, v33
	s_delay_alu instid0(VALU_DEP_3) | instskip(NEXT) | instid1(VALU_DEP_3)
	v_mad_u64_u32 v[29:30], null, v37, v38, 0
	v_mad_u64_u32 v[31:32], null, v35, v33, 0
	;; [unrolled: 1-line block ×3, first 2 shown]
	s_delay_alu instid0(VALU_DEP_3) | instskip(NEXT) | instid1(VALU_DEP_4)
	v_add_co_u32 v29, vcc_lo, v39, v29
	v_add_co_ci_u32_e32 v30, vcc_lo, 0, v30, vcc_lo
	s_delay_alu instid0(VALU_DEP_2) | instskip(NEXT) | instid1(VALU_DEP_2)
	v_add_co_u32 v29, vcc_lo, v29, v31
	v_add_co_ci_u32_e32 v29, vcc_lo, v30, v32, vcc_lo
	v_add_co_ci_u32_e32 v30, vcc_lo, 0, v34, vcc_lo
	s_delay_alu instid0(VALU_DEP_2) | instskip(NEXT) | instid1(VALU_DEP_2)
	v_add_co_u32 v31, vcc_lo, v29, v33
	v_add_co_ci_u32_e32 v32, vcc_lo, 0, v30, vcc_lo
	s_delay_alu instid0(VALU_DEP_2) | instskip(SKIP_1) | instid1(VALU_DEP_3)
	v_mul_lo_u32 v33, s7, v31
	v_mad_u64_u32 v[29:30], null, s6, v31, 0
	v_mul_lo_u32 v34, s6, v32
	s_delay_alu instid0(VALU_DEP_2) | instskip(NEXT) | instid1(VALU_DEP_2)
	v_sub_co_u32 v29, vcc_lo, v37, v29
	v_add3_u32 v30, v30, v34, v33
	s_delay_alu instid0(VALU_DEP_1) | instskip(NEXT) | instid1(VALU_DEP_1)
	v_sub_nc_u32_e32 v33, v35, v30
	v_subrev_co_ci_u32_e64 v33, s2, s7, v33, vcc_lo
	v_add_co_u32 v34, s2, v31, 2
	s_delay_alu instid0(VALU_DEP_1) | instskip(SKIP_3) | instid1(VALU_DEP_3)
	v_add_co_ci_u32_e64 v37, s2, 0, v32, s2
	v_sub_co_u32 v38, s2, v29, s6
	v_sub_co_ci_u32_e32 v30, vcc_lo, v35, v30, vcc_lo
	v_subrev_co_ci_u32_e64 v33, s2, 0, v33, s2
	v_cmp_le_u32_e32 vcc_lo, s6, v38
	s_delay_alu instid0(VALU_DEP_3) | instskip(SKIP_1) | instid1(VALU_DEP_4)
	v_cmp_eq_u32_e64 s2, s7, v30
	v_cndmask_b32_e64 v35, 0, -1, vcc_lo
	v_cmp_le_u32_e32 vcc_lo, s7, v33
	v_cndmask_b32_e64 v38, 0, -1, vcc_lo
	v_cmp_le_u32_e32 vcc_lo, s6, v29
	v_cndmask_b32_e64 v29, 0, -1, vcc_lo
	v_cmp_le_u32_e32 vcc_lo, s7, v30
	v_cndmask_b32_e64 v39, 0, -1, vcc_lo
	v_cmp_eq_u32_e32 vcc_lo, s7, v33
	s_delay_alu instid0(VALU_DEP_2) | instskip(SKIP_3) | instid1(VALU_DEP_3)
	v_cndmask_b32_e64 v29, v39, v29, s2
	v_cndmask_b32_e32 v33, v38, v35, vcc_lo
	v_add_co_u32 v35, vcc_lo, v31, 1
	v_add_co_ci_u32_e32 v38, vcc_lo, 0, v32, vcc_lo
	v_cmp_ne_u32_e32 vcc_lo, 0, v33
	s_delay_alu instid0(VALU_DEP_2) | instskip(SKIP_2) | instid1(VALU_DEP_3)
	v_dual_cndmask_b32 v30, v38, v37 :: v_dual_cndmask_b32 v33, v35, v34
	v_cmp_ne_u32_e32 vcc_lo, 0, v29
	v_xor_b32_e32 v34, s4, v36
	v_dual_cndmask_b32 v29, v32, v30 :: v_dual_cndmask_b32 v30, v31, v33
	s_delay_alu instid0(VALU_DEP_1) | instskip(NEXT) | instid1(VALU_DEP_2)
	v_xor_b32_e32 v31, v29, v34
	v_xor_b32_e32 v30, v30, v34
	s_delay_alu instid0(VALU_DEP_1) | instskip(NEXT) | instid1(VALU_DEP_3)
	v_sub_co_u32 v29, vcc_lo, v30, v34
	v_sub_co_ci_u32_e32 v30, vcc_lo, v31, v34, vcc_lo
.LBB1159_63:
	s_and_not1_saveexec_b32 s2, s3
	s_cbranch_execz .LBB1159_65
; %bb.64:
	v_cvt_f32_u32_e32 v29, s44
	s_sub_i32 s3, 0, s44
	s_delay_alu instid0(VALU_DEP_1) | instskip(SKIP_2) | instid1(VALU_DEP_1)
	v_rcp_iflag_f32_e32 v29, v29
	s_waitcnt_depctr 0xfff
	v_mul_f32_e32 v29, 0x4f7ffffe, v29
	v_cvt_u32_f32_e32 v29, v29
	s_delay_alu instid0(VALU_DEP_1) | instskip(NEXT) | instid1(VALU_DEP_1)
	v_mul_lo_u32 v30, s3, v29
	v_mul_hi_u32 v30, v29, v30
	s_delay_alu instid0(VALU_DEP_1) | instskip(NEXT) | instid1(VALU_DEP_1)
	v_add_nc_u32_e32 v29, v29, v30
	v_mul_hi_u32 v29, v63, v29
	s_delay_alu instid0(VALU_DEP_1) | instskip(SKIP_1) | instid1(VALU_DEP_2)
	v_mul_lo_u32 v30, v29, s44
	v_add_nc_u32_e32 v31, 1, v29
	v_sub_nc_u32_e32 v30, v63, v30
	s_delay_alu instid0(VALU_DEP_1) | instskip(SKIP_1) | instid1(VALU_DEP_2)
	v_subrev_nc_u32_e32 v32, s44, v30
	v_cmp_le_u32_e32 vcc_lo, s44, v30
	v_dual_cndmask_b32 v30, v30, v32 :: v_dual_cndmask_b32 v29, v29, v31
	s_delay_alu instid0(VALU_DEP_1) | instskip(NEXT) | instid1(VALU_DEP_2)
	v_cmp_le_u32_e32 vcc_lo, s44, v30
	v_dual_mov_b32 v30, 0 :: v_dual_add_nc_u32 v31, 1, v29
	s_delay_alu instid0(VALU_DEP_1)
	v_cndmask_b32_e32 v29, v29, v31, vcc_lo
.LBB1159_65:
	s_or_b32 exec_lo, exec_lo, s2
	v_add_co_u32 v65, vcc_lo, 0x100, v63
	v_add_co_ci_u32_e32 v66, vcc_lo, 0, v64, vcc_lo
	v_mov_b32_e32 v31, 0
	s_delay_alu instid0(VALU_DEP_2) | instskip(NEXT) | instid1(VALU_DEP_1)
	v_or_b32_e32 v32, s45, v66
	v_cmp_ne_u64_e32 vcc_lo, 0, v[31:32]
                                        ; implicit-def: $vgpr31_vgpr32
	s_and_saveexec_b32 s2, vcc_lo
	s_delay_alu instid0(SALU_CYCLE_1)
	s_xor_b32 s3, exec_lo, s2
	s_cbranch_execz .LBB1159_67
; %bb.66:
	s_ashr_i32 s4, s45, 31
	s_delay_alu instid0(SALU_CYCLE_1) | instskip(SKIP_2) | instid1(SALU_CYCLE_1)
	s_add_u32 s6, s44, s4
	s_mov_b32 s5, s4
	s_addc_u32 s7, s45, s4
	s_xor_b64 s[6:7], s[6:7], s[4:5]
	s_delay_alu instid0(SALU_CYCLE_1) | instskip(SKIP_3) | instid1(VALU_DEP_1)
	v_cvt_f32_u32_e32 v31, s6
	v_cvt_f32_u32_e32 v32, s7
	s_sub_u32 s2, 0, s6
	s_subb_u32 s5, 0, s7
	v_fmamk_f32 v31, v32, 0x4f800000, v31
	s_delay_alu instid0(VALU_DEP_1) | instskip(SKIP_2) | instid1(VALU_DEP_1)
	v_rcp_f32_e32 v31, v31
	s_waitcnt_depctr 0xfff
	v_mul_f32_e32 v31, 0x5f7ffffc, v31
	v_mul_f32_e32 v32, 0x2f800000, v31
	s_delay_alu instid0(VALU_DEP_1) | instskip(NEXT) | instid1(VALU_DEP_1)
	v_trunc_f32_e32 v32, v32
	v_fmamk_f32 v31, v32, 0xcf800000, v31
	v_cvt_u32_f32_e32 v32, v32
	s_delay_alu instid0(VALU_DEP_2) | instskip(NEXT) | instid1(VALU_DEP_2)
	v_cvt_u32_f32_e32 v31, v31
	v_mul_lo_u32 v33, s2, v32
	s_delay_alu instid0(VALU_DEP_2) | instskip(SKIP_1) | instid1(VALU_DEP_2)
	v_mul_hi_u32 v34, s2, v31
	v_mul_lo_u32 v35, s5, v31
	v_add_nc_u32_e32 v33, v34, v33
	v_mul_lo_u32 v34, s2, v31
	s_delay_alu instid0(VALU_DEP_2) | instskip(NEXT) | instid1(VALU_DEP_2)
	v_add_nc_u32_e32 v33, v33, v35
	v_mul_hi_u32 v35, v31, v34
	s_delay_alu instid0(VALU_DEP_2)
	v_mul_lo_u32 v36, v31, v33
	v_mul_hi_u32 v37, v31, v33
	v_mul_hi_u32 v38, v32, v34
	v_mul_lo_u32 v34, v32, v34
	v_mul_hi_u32 v39, v32, v33
	v_mul_lo_u32 v33, v32, v33
	v_add_co_u32 v35, vcc_lo, v35, v36
	v_add_co_ci_u32_e32 v36, vcc_lo, 0, v37, vcc_lo
	s_delay_alu instid0(VALU_DEP_2) | instskip(NEXT) | instid1(VALU_DEP_2)
	v_add_co_u32 v34, vcc_lo, v35, v34
	v_add_co_ci_u32_e32 v34, vcc_lo, v36, v38, vcc_lo
	v_add_co_ci_u32_e32 v35, vcc_lo, 0, v39, vcc_lo
	v_ashrrev_i32_e32 v38, 31, v66
	s_delay_alu instid0(VALU_DEP_3) | instskip(NEXT) | instid1(VALU_DEP_3)
	v_add_co_u32 v33, vcc_lo, v34, v33
	v_add_co_ci_u32_e32 v34, vcc_lo, 0, v35, vcc_lo
	s_delay_alu instid0(VALU_DEP_2) | instskip(NEXT) | instid1(VALU_DEP_2)
	v_add_co_u32 v31, vcc_lo, v31, v33
	v_add_co_ci_u32_e32 v32, vcc_lo, v32, v34, vcc_lo
	s_delay_alu instid0(VALU_DEP_2) | instskip(SKIP_1) | instid1(VALU_DEP_3)
	v_mul_hi_u32 v33, s2, v31
	v_mul_lo_u32 v35, s5, v31
	v_mul_lo_u32 v34, s2, v32
	s_delay_alu instid0(VALU_DEP_1) | instskip(SKIP_1) | instid1(VALU_DEP_2)
	v_add_nc_u32_e32 v33, v33, v34
	v_mul_lo_u32 v34, s2, v31
	v_add_nc_u32_e32 v33, v33, v35
	s_delay_alu instid0(VALU_DEP_2) | instskip(NEXT) | instid1(VALU_DEP_2)
	v_mul_hi_u32 v35, v31, v34
	v_mul_lo_u32 v36, v31, v33
	v_mul_hi_u32 v37, v31, v33
	v_mul_hi_u32 v39, v32, v34
	v_mul_lo_u32 v34, v32, v34
	v_mul_hi_u32 v40, v32, v33
	v_mul_lo_u32 v33, v32, v33
	v_add_co_u32 v35, vcc_lo, v35, v36
	v_add_co_ci_u32_e32 v36, vcc_lo, 0, v37, vcc_lo
	s_delay_alu instid0(VALU_DEP_2) | instskip(NEXT) | instid1(VALU_DEP_2)
	v_add_co_u32 v34, vcc_lo, v35, v34
	v_add_co_ci_u32_e32 v34, vcc_lo, v36, v39, vcc_lo
	v_add_co_ci_u32_e32 v35, vcc_lo, 0, v40, vcc_lo
	v_add_co_u32 v36, vcc_lo, v65, v38
	v_add_co_ci_u32_e32 v37, vcc_lo, v66, v38, vcc_lo
	s_delay_alu instid0(VALU_DEP_4) | instskip(NEXT) | instid1(VALU_DEP_4)
	v_add_co_u32 v33, vcc_lo, v34, v33
	v_add_co_ci_u32_e32 v34, vcc_lo, 0, v35, vcc_lo
	s_delay_alu instid0(VALU_DEP_4) | instskip(NEXT) | instid1(VALU_DEP_3)
	v_xor_b32_e32 v39, v36, v38
	v_add_co_u32 v35, vcc_lo, v31, v33
	s_delay_alu instid0(VALU_DEP_3) | instskip(SKIP_1) | instid1(VALU_DEP_3)
	v_add_co_ci_u32_e32 v40, vcc_lo, v32, v34, vcc_lo
	v_xor_b32_e32 v37, v37, v38
	v_mul_hi_u32 v41, v39, v35
	s_delay_alu instid0(VALU_DEP_3) | instskip(NEXT) | instid1(VALU_DEP_3)
	v_mad_u64_u32 v[31:32], null, v39, v40, 0
	v_mad_u64_u32 v[33:34], null, v37, v35, 0
	;; [unrolled: 1-line block ×3, first 2 shown]
	s_delay_alu instid0(VALU_DEP_3) | instskip(NEXT) | instid1(VALU_DEP_4)
	v_add_co_u32 v31, vcc_lo, v41, v31
	v_add_co_ci_u32_e32 v32, vcc_lo, 0, v32, vcc_lo
	s_delay_alu instid0(VALU_DEP_2) | instskip(NEXT) | instid1(VALU_DEP_2)
	v_add_co_u32 v31, vcc_lo, v31, v33
	v_add_co_ci_u32_e32 v31, vcc_lo, v32, v34, vcc_lo
	v_add_co_ci_u32_e32 v32, vcc_lo, 0, v36, vcc_lo
	s_delay_alu instid0(VALU_DEP_2) | instskip(NEXT) | instid1(VALU_DEP_2)
	v_add_co_u32 v33, vcc_lo, v31, v35
	v_add_co_ci_u32_e32 v34, vcc_lo, 0, v32, vcc_lo
	s_delay_alu instid0(VALU_DEP_2) | instskip(SKIP_1) | instid1(VALU_DEP_3)
	v_mul_lo_u32 v35, s7, v33
	v_mad_u64_u32 v[31:32], null, s6, v33, 0
	v_mul_lo_u32 v36, s6, v34
	s_delay_alu instid0(VALU_DEP_2) | instskip(NEXT) | instid1(VALU_DEP_2)
	v_sub_co_u32 v31, vcc_lo, v39, v31
	v_add3_u32 v32, v32, v36, v35
	s_delay_alu instid0(VALU_DEP_1) | instskip(NEXT) | instid1(VALU_DEP_1)
	v_sub_nc_u32_e32 v35, v37, v32
	v_subrev_co_ci_u32_e64 v35, s2, s7, v35, vcc_lo
	v_add_co_u32 v36, s2, v33, 2
	s_delay_alu instid0(VALU_DEP_1) | instskip(SKIP_3) | instid1(VALU_DEP_3)
	v_add_co_ci_u32_e64 v39, s2, 0, v34, s2
	v_sub_co_u32 v40, s2, v31, s6
	v_sub_co_ci_u32_e32 v32, vcc_lo, v37, v32, vcc_lo
	v_subrev_co_ci_u32_e64 v35, s2, 0, v35, s2
	v_cmp_le_u32_e32 vcc_lo, s6, v40
	s_delay_alu instid0(VALU_DEP_3) | instskip(SKIP_1) | instid1(VALU_DEP_4)
	v_cmp_eq_u32_e64 s2, s7, v32
	v_cndmask_b32_e64 v37, 0, -1, vcc_lo
	v_cmp_le_u32_e32 vcc_lo, s7, v35
	v_cndmask_b32_e64 v40, 0, -1, vcc_lo
	v_cmp_le_u32_e32 vcc_lo, s6, v31
	;; [unrolled: 2-line block ×3, first 2 shown]
	v_cndmask_b32_e64 v41, 0, -1, vcc_lo
	v_cmp_eq_u32_e32 vcc_lo, s7, v35
	s_delay_alu instid0(VALU_DEP_2) | instskip(SKIP_3) | instid1(VALU_DEP_3)
	v_cndmask_b32_e64 v31, v41, v31, s2
	v_cndmask_b32_e32 v35, v40, v37, vcc_lo
	v_add_co_u32 v37, vcc_lo, v33, 1
	v_add_co_ci_u32_e32 v40, vcc_lo, 0, v34, vcc_lo
	v_cmp_ne_u32_e32 vcc_lo, 0, v35
	s_delay_alu instid0(VALU_DEP_2) | instskip(SKIP_2) | instid1(VALU_DEP_3)
	v_dual_cndmask_b32 v32, v40, v39 :: v_dual_cndmask_b32 v35, v37, v36
	v_cmp_ne_u32_e32 vcc_lo, 0, v31
	v_xor_b32_e32 v36, s4, v38
	v_dual_cndmask_b32 v31, v34, v32 :: v_dual_cndmask_b32 v32, v33, v35
	s_delay_alu instid0(VALU_DEP_1) | instskip(NEXT) | instid1(VALU_DEP_2)
	v_xor_b32_e32 v33, v31, v36
	v_xor_b32_e32 v32, v32, v36
	s_delay_alu instid0(VALU_DEP_1) | instskip(NEXT) | instid1(VALU_DEP_3)
	v_sub_co_u32 v31, vcc_lo, v32, v36
	v_sub_co_ci_u32_e32 v32, vcc_lo, v33, v36, vcc_lo
.LBB1159_67:
	s_and_not1_saveexec_b32 s2, s3
	s_cbranch_execz .LBB1159_69
; %bb.68:
	v_cvt_f32_u32_e32 v31, s44
	s_sub_i32 s3, 0, s44
	s_delay_alu instid0(VALU_DEP_1) | instskip(SKIP_2) | instid1(VALU_DEP_1)
	v_rcp_iflag_f32_e32 v31, v31
	s_waitcnt_depctr 0xfff
	v_mul_f32_e32 v31, 0x4f7ffffe, v31
	v_cvt_u32_f32_e32 v31, v31
	s_delay_alu instid0(VALU_DEP_1) | instskip(NEXT) | instid1(VALU_DEP_1)
	v_mul_lo_u32 v32, s3, v31
	v_mul_hi_u32 v32, v31, v32
	s_delay_alu instid0(VALU_DEP_1) | instskip(NEXT) | instid1(VALU_DEP_1)
	v_add_nc_u32_e32 v31, v31, v32
	v_mul_hi_u32 v31, v65, v31
	s_delay_alu instid0(VALU_DEP_1) | instskip(SKIP_1) | instid1(VALU_DEP_2)
	v_mul_lo_u32 v32, v31, s44
	v_add_nc_u32_e32 v33, 1, v31
	v_sub_nc_u32_e32 v32, v65, v32
	s_delay_alu instid0(VALU_DEP_1) | instskip(SKIP_1) | instid1(VALU_DEP_2)
	v_subrev_nc_u32_e32 v34, s44, v32
	v_cmp_le_u32_e32 vcc_lo, s44, v32
	v_dual_cndmask_b32 v32, v32, v34 :: v_dual_cndmask_b32 v31, v31, v33
	s_delay_alu instid0(VALU_DEP_1) | instskip(NEXT) | instid1(VALU_DEP_2)
	v_cmp_le_u32_e32 vcc_lo, s44, v32
	v_dual_mov_b32 v32, 0 :: v_dual_add_nc_u32 v33, 1, v31
	s_delay_alu instid0(VALU_DEP_1)
	v_cndmask_b32_e32 v31, v31, v33, vcc_lo
.LBB1159_69:
	s_or_b32 exec_lo, exec_lo, s2
	v_add_co_u32 v67, vcc_lo, 0x200, v63
	v_add_co_ci_u32_e32 v68, vcc_lo, 0, v64, vcc_lo
	v_mov_b32_e32 v33, 0
	s_delay_alu instid0(VALU_DEP_2) | instskip(NEXT) | instid1(VALU_DEP_1)
	v_or_b32_e32 v34, s45, v68
	v_cmp_ne_u64_e32 vcc_lo, 0, v[33:34]
                                        ; implicit-def: $vgpr33_vgpr34
	s_and_saveexec_b32 s2, vcc_lo
	s_delay_alu instid0(SALU_CYCLE_1)
	s_xor_b32 s3, exec_lo, s2
	s_cbranch_execz .LBB1159_71
; %bb.70:
	s_ashr_i32 s4, s45, 31
	s_delay_alu instid0(SALU_CYCLE_1) | instskip(SKIP_2) | instid1(SALU_CYCLE_1)
	s_add_u32 s6, s44, s4
	s_mov_b32 s5, s4
	s_addc_u32 s7, s45, s4
	s_xor_b64 s[6:7], s[6:7], s[4:5]
	s_delay_alu instid0(SALU_CYCLE_1) | instskip(SKIP_3) | instid1(VALU_DEP_1)
	v_cvt_f32_u32_e32 v33, s6
	v_cvt_f32_u32_e32 v34, s7
	s_sub_u32 s2, 0, s6
	s_subb_u32 s5, 0, s7
	v_fmamk_f32 v33, v34, 0x4f800000, v33
	s_delay_alu instid0(VALU_DEP_1) | instskip(SKIP_2) | instid1(VALU_DEP_1)
	v_rcp_f32_e32 v33, v33
	s_waitcnt_depctr 0xfff
	v_mul_f32_e32 v33, 0x5f7ffffc, v33
	v_mul_f32_e32 v34, 0x2f800000, v33
	s_delay_alu instid0(VALU_DEP_1) | instskip(NEXT) | instid1(VALU_DEP_1)
	v_trunc_f32_e32 v34, v34
	v_fmamk_f32 v33, v34, 0xcf800000, v33
	v_cvt_u32_f32_e32 v34, v34
	s_delay_alu instid0(VALU_DEP_2) | instskip(NEXT) | instid1(VALU_DEP_2)
	v_cvt_u32_f32_e32 v33, v33
	v_mul_lo_u32 v35, s2, v34
	s_delay_alu instid0(VALU_DEP_2) | instskip(SKIP_1) | instid1(VALU_DEP_2)
	v_mul_hi_u32 v36, s2, v33
	v_mul_lo_u32 v37, s5, v33
	v_add_nc_u32_e32 v35, v36, v35
	v_mul_lo_u32 v36, s2, v33
	s_delay_alu instid0(VALU_DEP_2) | instskip(NEXT) | instid1(VALU_DEP_2)
	v_add_nc_u32_e32 v35, v35, v37
	v_mul_hi_u32 v37, v33, v36
	s_delay_alu instid0(VALU_DEP_2)
	v_mul_lo_u32 v38, v33, v35
	v_mul_hi_u32 v39, v33, v35
	v_mul_hi_u32 v40, v34, v36
	v_mul_lo_u32 v36, v34, v36
	v_mul_hi_u32 v41, v34, v35
	v_mul_lo_u32 v35, v34, v35
	v_add_co_u32 v37, vcc_lo, v37, v38
	v_add_co_ci_u32_e32 v38, vcc_lo, 0, v39, vcc_lo
	s_delay_alu instid0(VALU_DEP_2) | instskip(NEXT) | instid1(VALU_DEP_2)
	v_add_co_u32 v36, vcc_lo, v37, v36
	v_add_co_ci_u32_e32 v36, vcc_lo, v38, v40, vcc_lo
	v_add_co_ci_u32_e32 v37, vcc_lo, 0, v41, vcc_lo
	v_ashrrev_i32_e32 v40, 31, v68
	s_delay_alu instid0(VALU_DEP_3) | instskip(NEXT) | instid1(VALU_DEP_3)
	v_add_co_u32 v35, vcc_lo, v36, v35
	v_add_co_ci_u32_e32 v36, vcc_lo, 0, v37, vcc_lo
	s_delay_alu instid0(VALU_DEP_2) | instskip(NEXT) | instid1(VALU_DEP_2)
	v_add_co_u32 v33, vcc_lo, v33, v35
	v_add_co_ci_u32_e32 v34, vcc_lo, v34, v36, vcc_lo
	s_delay_alu instid0(VALU_DEP_2) | instskip(SKIP_1) | instid1(VALU_DEP_3)
	v_mul_hi_u32 v35, s2, v33
	v_mul_lo_u32 v37, s5, v33
	v_mul_lo_u32 v36, s2, v34
	s_delay_alu instid0(VALU_DEP_1) | instskip(SKIP_1) | instid1(VALU_DEP_2)
	v_add_nc_u32_e32 v35, v35, v36
	v_mul_lo_u32 v36, s2, v33
	v_add_nc_u32_e32 v35, v35, v37
	s_delay_alu instid0(VALU_DEP_2) | instskip(NEXT) | instid1(VALU_DEP_2)
	v_mul_hi_u32 v37, v33, v36
	v_mul_lo_u32 v38, v33, v35
	v_mul_hi_u32 v39, v33, v35
	v_mul_hi_u32 v41, v34, v36
	v_mul_lo_u32 v36, v34, v36
	v_mul_hi_u32 v42, v34, v35
	v_mul_lo_u32 v35, v34, v35
	v_add_co_u32 v37, vcc_lo, v37, v38
	v_add_co_ci_u32_e32 v38, vcc_lo, 0, v39, vcc_lo
	s_delay_alu instid0(VALU_DEP_2) | instskip(NEXT) | instid1(VALU_DEP_2)
	v_add_co_u32 v36, vcc_lo, v37, v36
	v_add_co_ci_u32_e32 v36, vcc_lo, v38, v41, vcc_lo
	v_add_co_ci_u32_e32 v37, vcc_lo, 0, v42, vcc_lo
	v_add_co_u32 v38, vcc_lo, v67, v40
	v_add_co_ci_u32_e32 v39, vcc_lo, v68, v40, vcc_lo
	s_delay_alu instid0(VALU_DEP_4) | instskip(NEXT) | instid1(VALU_DEP_4)
	v_add_co_u32 v35, vcc_lo, v36, v35
	v_add_co_ci_u32_e32 v36, vcc_lo, 0, v37, vcc_lo
	s_delay_alu instid0(VALU_DEP_4) | instskip(NEXT) | instid1(VALU_DEP_3)
	v_xor_b32_e32 v41, v38, v40
	v_add_co_u32 v37, vcc_lo, v33, v35
	s_delay_alu instid0(VALU_DEP_3) | instskip(SKIP_1) | instid1(VALU_DEP_3)
	v_add_co_ci_u32_e32 v42, vcc_lo, v34, v36, vcc_lo
	v_xor_b32_e32 v39, v39, v40
	v_mul_hi_u32 v43, v41, v37
	s_delay_alu instid0(VALU_DEP_3) | instskip(NEXT) | instid1(VALU_DEP_3)
	v_mad_u64_u32 v[33:34], null, v41, v42, 0
	v_mad_u64_u32 v[35:36], null, v39, v37, 0
	;; [unrolled: 1-line block ×3, first 2 shown]
	s_delay_alu instid0(VALU_DEP_3) | instskip(NEXT) | instid1(VALU_DEP_4)
	v_add_co_u32 v33, vcc_lo, v43, v33
	v_add_co_ci_u32_e32 v34, vcc_lo, 0, v34, vcc_lo
	s_delay_alu instid0(VALU_DEP_2) | instskip(NEXT) | instid1(VALU_DEP_2)
	v_add_co_u32 v33, vcc_lo, v33, v35
	v_add_co_ci_u32_e32 v33, vcc_lo, v34, v36, vcc_lo
	v_add_co_ci_u32_e32 v34, vcc_lo, 0, v38, vcc_lo
	s_delay_alu instid0(VALU_DEP_2) | instskip(NEXT) | instid1(VALU_DEP_2)
	v_add_co_u32 v35, vcc_lo, v33, v37
	v_add_co_ci_u32_e32 v36, vcc_lo, 0, v34, vcc_lo
	s_delay_alu instid0(VALU_DEP_2) | instskip(SKIP_1) | instid1(VALU_DEP_3)
	v_mul_lo_u32 v37, s7, v35
	v_mad_u64_u32 v[33:34], null, s6, v35, 0
	v_mul_lo_u32 v38, s6, v36
	s_delay_alu instid0(VALU_DEP_2) | instskip(NEXT) | instid1(VALU_DEP_2)
	v_sub_co_u32 v33, vcc_lo, v41, v33
	v_add3_u32 v34, v34, v38, v37
	s_delay_alu instid0(VALU_DEP_1) | instskip(NEXT) | instid1(VALU_DEP_1)
	v_sub_nc_u32_e32 v37, v39, v34
	v_subrev_co_ci_u32_e64 v37, s2, s7, v37, vcc_lo
	v_add_co_u32 v38, s2, v35, 2
	s_delay_alu instid0(VALU_DEP_1) | instskip(SKIP_3) | instid1(VALU_DEP_3)
	v_add_co_ci_u32_e64 v41, s2, 0, v36, s2
	v_sub_co_u32 v42, s2, v33, s6
	v_sub_co_ci_u32_e32 v34, vcc_lo, v39, v34, vcc_lo
	v_subrev_co_ci_u32_e64 v37, s2, 0, v37, s2
	v_cmp_le_u32_e32 vcc_lo, s6, v42
	s_delay_alu instid0(VALU_DEP_3) | instskip(SKIP_1) | instid1(VALU_DEP_4)
	v_cmp_eq_u32_e64 s2, s7, v34
	v_cndmask_b32_e64 v39, 0, -1, vcc_lo
	v_cmp_le_u32_e32 vcc_lo, s7, v37
	v_cndmask_b32_e64 v42, 0, -1, vcc_lo
	v_cmp_le_u32_e32 vcc_lo, s6, v33
	;; [unrolled: 2-line block ×3, first 2 shown]
	v_cndmask_b32_e64 v43, 0, -1, vcc_lo
	v_cmp_eq_u32_e32 vcc_lo, s7, v37
	s_delay_alu instid0(VALU_DEP_2) | instskip(SKIP_3) | instid1(VALU_DEP_3)
	v_cndmask_b32_e64 v33, v43, v33, s2
	v_cndmask_b32_e32 v37, v42, v39, vcc_lo
	v_add_co_u32 v39, vcc_lo, v35, 1
	v_add_co_ci_u32_e32 v42, vcc_lo, 0, v36, vcc_lo
	v_cmp_ne_u32_e32 vcc_lo, 0, v37
	s_delay_alu instid0(VALU_DEP_2) | instskip(SKIP_2) | instid1(VALU_DEP_3)
	v_dual_cndmask_b32 v34, v42, v41 :: v_dual_cndmask_b32 v37, v39, v38
	v_cmp_ne_u32_e32 vcc_lo, 0, v33
	v_xor_b32_e32 v38, s4, v40
	v_dual_cndmask_b32 v33, v36, v34 :: v_dual_cndmask_b32 v34, v35, v37
	s_delay_alu instid0(VALU_DEP_1) | instskip(NEXT) | instid1(VALU_DEP_2)
	v_xor_b32_e32 v35, v33, v38
	v_xor_b32_e32 v34, v34, v38
	s_delay_alu instid0(VALU_DEP_1) | instskip(NEXT) | instid1(VALU_DEP_3)
	v_sub_co_u32 v33, vcc_lo, v34, v38
	v_sub_co_ci_u32_e32 v34, vcc_lo, v35, v38, vcc_lo
.LBB1159_71:
	s_and_not1_saveexec_b32 s2, s3
	s_cbranch_execz .LBB1159_73
; %bb.72:
	v_cvt_f32_u32_e32 v33, s44
	s_sub_i32 s3, 0, s44
	s_delay_alu instid0(VALU_DEP_1) | instskip(SKIP_2) | instid1(VALU_DEP_1)
	v_rcp_iflag_f32_e32 v33, v33
	s_waitcnt_depctr 0xfff
	v_mul_f32_e32 v33, 0x4f7ffffe, v33
	v_cvt_u32_f32_e32 v33, v33
	s_delay_alu instid0(VALU_DEP_1) | instskip(NEXT) | instid1(VALU_DEP_1)
	v_mul_lo_u32 v34, s3, v33
	v_mul_hi_u32 v34, v33, v34
	s_delay_alu instid0(VALU_DEP_1) | instskip(NEXT) | instid1(VALU_DEP_1)
	v_add_nc_u32_e32 v33, v33, v34
	v_mul_hi_u32 v33, v67, v33
	s_delay_alu instid0(VALU_DEP_1) | instskip(SKIP_1) | instid1(VALU_DEP_2)
	v_mul_lo_u32 v34, v33, s44
	v_add_nc_u32_e32 v35, 1, v33
	v_sub_nc_u32_e32 v34, v67, v34
	s_delay_alu instid0(VALU_DEP_1) | instskip(SKIP_1) | instid1(VALU_DEP_2)
	v_subrev_nc_u32_e32 v36, s44, v34
	v_cmp_le_u32_e32 vcc_lo, s44, v34
	v_dual_cndmask_b32 v34, v34, v36 :: v_dual_cndmask_b32 v33, v33, v35
	s_delay_alu instid0(VALU_DEP_1) | instskip(NEXT) | instid1(VALU_DEP_2)
	v_cmp_le_u32_e32 vcc_lo, s44, v34
	v_dual_mov_b32 v34, 0 :: v_dual_add_nc_u32 v35, 1, v33
	s_delay_alu instid0(VALU_DEP_1)
	v_cndmask_b32_e32 v33, v33, v35, vcc_lo
.LBB1159_73:
	s_or_b32 exec_lo, exec_lo, s2
	v_add_co_u32 v69, vcc_lo, 0x300, v63
	v_add_co_ci_u32_e32 v70, vcc_lo, 0, v64, vcc_lo
	v_mov_b32_e32 v35, 0
	s_delay_alu instid0(VALU_DEP_2) | instskip(NEXT) | instid1(VALU_DEP_1)
	v_or_b32_e32 v36, s45, v70
	v_cmp_ne_u64_e32 vcc_lo, 0, v[35:36]
                                        ; implicit-def: $vgpr35_vgpr36
	s_and_saveexec_b32 s2, vcc_lo
	s_delay_alu instid0(SALU_CYCLE_1)
	s_xor_b32 s3, exec_lo, s2
	s_cbranch_execz .LBB1159_75
; %bb.74:
	s_ashr_i32 s4, s45, 31
	s_delay_alu instid0(SALU_CYCLE_1) | instskip(SKIP_2) | instid1(SALU_CYCLE_1)
	s_add_u32 s6, s44, s4
	s_mov_b32 s5, s4
	s_addc_u32 s7, s45, s4
	s_xor_b64 s[6:7], s[6:7], s[4:5]
	s_delay_alu instid0(SALU_CYCLE_1) | instskip(SKIP_3) | instid1(VALU_DEP_1)
	v_cvt_f32_u32_e32 v35, s6
	v_cvt_f32_u32_e32 v36, s7
	s_sub_u32 s2, 0, s6
	s_subb_u32 s5, 0, s7
	v_fmamk_f32 v35, v36, 0x4f800000, v35
	s_delay_alu instid0(VALU_DEP_1) | instskip(SKIP_2) | instid1(VALU_DEP_1)
	v_rcp_f32_e32 v35, v35
	s_waitcnt_depctr 0xfff
	v_mul_f32_e32 v35, 0x5f7ffffc, v35
	v_mul_f32_e32 v36, 0x2f800000, v35
	s_delay_alu instid0(VALU_DEP_1) | instskip(NEXT) | instid1(VALU_DEP_1)
	v_trunc_f32_e32 v36, v36
	v_fmamk_f32 v35, v36, 0xcf800000, v35
	v_cvt_u32_f32_e32 v36, v36
	s_delay_alu instid0(VALU_DEP_2) | instskip(NEXT) | instid1(VALU_DEP_2)
	v_cvt_u32_f32_e32 v35, v35
	v_mul_lo_u32 v37, s2, v36
	s_delay_alu instid0(VALU_DEP_2) | instskip(SKIP_1) | instid1(VALU_DEP_2)
	v_mul_hi_u32 v38, s2, v35
	v_mul_lo_u32 v39, s5, v35
	v_add_nc_u32_e32 v37, v38, v37
	v_mul_lo_u32 v38, s2, v35
	s_delay_alu instid0(VALU_DEP_2) | instskip(NEXT) | instid1(VALU_DEP_2)
	v_add_nc_u32_e32 v37, v37, v39
	v_mul_hi_u32 v39, v35, v38
	s_delay_alu instid0(VALU_DEP_2)
	v_mul_lo_u32 v40, v35, v37
	v_mul_hi_u32 v41, v35, v37
	v_mul_hi_u32 v42, v36, v38
	v_mul_lo_u32 v38, v36, v38
	v_mul_hi_u32 v43, v36, v37
	v_mul_lo_u32 v37, v36, v37
	v_add_co_u32 v39, vcc_lo, v39, v40
	v_add_co_ci_u32_e32 v40, vcc_lo, 0, v41, vcc_lo
	s_delay_alu instid0(VALU_DEP_2) | instskip(NEXT) | instid1(VALU_DEP_2)
	v_add_co_u32 v38, vcc_lo, v39, v38
	v_add_co_ci_u32_e32 v38, vcc_lo, v40, v42, vcc_lo
	v_add_co_ci_u32_e32 v39, vcc_lo, 0, v43, vcc_lo
	v_ashrrev_i32_e32 v42, 31, v70
	s_delay_alu instid0(VALU_DEP_3) | instskip(NEXT) | instid1(VALU_DEP_3)
	v_add_co_u32 v37, vcc_lo, v38, v37
	v_add_co_ci_u32_e32 v38, vcc_lo, 0, v39, vcc_lo
	s_delay_alu instid0(VALU_DEP_2) | instskip(NEXT) | instid1(VALU_DEP_2)
	v_add_co_u32 v35, vcc_lo, v35, v37
	v_add_co_ci_u32_e32 v36, vcc_lo, v36, v38, vcc_lo
	s_delay_alu instid0(VALU_DEP_2) | instskip(SKIP_1) | instid1(VALU_DEP_3)
	v_mul_hi_u32 v37, s2, v35
	v_mul_lo_u32 v39, s5, v35
	v_mul_lo_u32 v38, s2, v36
	s_delay_alu instid0(VALU_DEP_1) | instskip(SKIP_1) | instid1(VALU_DEP_2)
	v_add_nc_u32_e32 v37, v37, v38
	v_mul_lo_u32 v38, s2, v35
	v_add_nc_u32_e32 v37, v37, v39
	s_delay_alu instid0(VALU_DEP_2) | instskip(NEXT) | instid1(VALU_DEP_2)
	v_mul_hi_u32 v39, v35, v38
	v_mul_lo_u32 v40, v35, v37
	v_mul_hi_u32 v41, v35, v37
	v_mul_hi_u32 v43, v36, v38
	v_mul_lo_u32 v38, v36, v38
	v_mul_hi_u32 v44, v36, v37
	v_mul_lo_u32 v37, v36, v37
	v_add_co_u32 v39, vcc_lo, v39, v40
	v_add_co_ci_u32_e32 v40, vcc_lo, 0, v41, vcc_lo
	s_delay_alu instid0(VALU_DEP_2) | instskip(NEXT) | instid1(VALU_DEP_2)
	v_add_co_u32 v38, vcc_lo, v39, v38
	v_add_co_ci_u32_e32 v38, vcc_lo, v40, v43, vcc_lo
	v_add_co_ci_u32_e32 v39, vcc_lo, 0, v44, vcc_lo
	v_add_co_u32 v40, vcc_lo, v69, v42
	v_add_co_ci_u32_e32 v41, vcc_lo, v70, v42, vcc_lo
	s_delay_alu instid0(VALU_DEP_4) | instskip(NEXT) | instid1(VALU_DEP_4)
	v_add_co_u32 v37, vcc_lo, v38, v37
	v_add_co_ci_u32_e32 v38, vcc_lo, 0, v39, vcc_lo
	s_delay_alu instid0(VALU_DEP_4) | instskip(NEXT) | instid1(VALU_DEP_3)
	v_xor_b32_e32 v43, v40, v42
	v_add_co_u32 v39, vcc_lo, v35, v37
	s_delay_alu instid0(VALU_DEP_3) | instskip(SKIP_1) | instid1(VALU_DEP_3)
	v_add_co_ci_u32_e32 v44, vcc_lo, v36, v38, vcc_lo
	v_xor_b32_e32 v41, v41, v42
	v_mul_hi_u32 v45, v43, v39
	s_delay_alu instid0(VALU_DEP_3) | instskip(NEXT) | instid1(VALU_DEP_3)
	v_mad_u64_u32 v[35:36], null, v43, v44, 0
	v_mad_u64_u32 v[37:38], null, v41, v39, 0
	v_mad_u64_u32 v[39:40], null, v41, v44, 0
	s_delay_alu instid0(VALU_DEP_3) | instskip(NEXT) | instid1(VALU_DEP_4)
	v_add_co_u32 v35, vcc_lo, v45, v35
	v_add_co_ci_u32_e32 v36, vcc_lo, 0, v36, vcc_lo
	s_delay_alu instid0(VALU_DEP_2) | instskip(NEXT) | instid1(VALU_DEP_2)
	v_add_co_u32 v35, vcc_lo, v35, v37
	v_add_co_ci_u32_e32 v35, vcc_lo, v36, v38, vcc_lo
	v_add_co_ci_u32_e32 v36, vcc_lo, 0, v40, vcc_lo
	s_delay_alu instid0(VALU_DEP_2) | instskip(NEXT) | instid1(VALU_DEP_2)
	v_add_co_u32 v37, vcc_lo, v35, v39
	v_add_co_ci_u32_e32 v38, vcc_lo, 0, v36, vcc_lo
	s_delay_alu instid0(VALU_DEP_2) | instskip(SKIP_1) | instid1(VALU_DEP_3)
	v_mul_lo_u32 v39, s7, v37
	v_mad_u64_u32 v[35:36], null, s6, v37, 0
	v_mul_lo_u32 v40, s6, v38
	s_delay_alu instid0(VALU_DEP_2) | instskip(NEXT) | instid1(VALU_DEP_2)
	v_sub_co_u32 v35, vcc_lo, v43, v35
	v_add3_u32 v36, v36, v40, v39
	s_delay_alu instid0(VALU_DEP_1) | instskip(NEXT) | instid1(VALU_DEP_1)
	v_sub_nc_u32_e32 v39, v41, v36
	v_subrev_co_ci_u32_e64 v39, s2, s7, v39, vcc_lo
	v_add_co_u32 v40, s2, v37, 2
	s_delay_alu instid0(VALU_DEP_1) | instskip(SKIP_3) | instid1(VALU_DEP_3)
	v_add_co_ci_u32_e64 v43, s2, 0, v38, s2
	v_sub_co_u32 v44, s2, v35, s6
	v_sub_co_ci_u32_e32 v36, vcc_lo, v41, v36, vcc_lo
	v_subrev_co_ci_u32_e64 v39, s2, 0, v39, s2
	v_cmp_le_u32_e32 vcc_lo, s6, v44
	s_delay_alu instid0(VALU_DEP_3) | instskip(SKIP_1) | instid1(VALU_DEP_4)
	v_cmp_eq_u32_e64 s2, s7, v36
	v_cndmask_b32_e64 v41, 0, -1, vcc_lo
	v_cmp_le_u32_e32 vcc_lo, s7, v39
	v_cndmask_b32_e64 v44, 0, -1, vcc_lo
	v_cmp_le_u32_e32 vcc_lo, s6, v35
	v_cndmask_b32_e64 v35, 0, -1, vcc_lo
	v_cmp_le_u32_e32 vcc_lo, s7, v36
	v_cndmask_b32_e64 v45, 0, -1, vcc_lo
	v_cmp_eq_u32_e32 vcc_lo, s7, v39
	s_delay_alu instid0(VALU_DEP_2) | instskip(SKIP_3) | instid1(VALU_DEP_3)
	v_cndmask_b32_e64 v35, v45, v35, s2
	v_cndmask_b32_e32 v39, v44, v41, vcc_lo
	v_add_co_u32 v41, vcc_lo, v37, 1
	v_add_co_ci_u32_e32 v44, vcc_lo, 0, v38, vcc_lo
	v_cmp_ne_u32_e32 vcc_lo, 0, v39
	s_delay_alu instid0(VALU_DEP_2) | instskip(SKIP_2) | instid1(VALU_DEP_3)
	v_dual_cndmask_b32 v36, v44, v43 :: v_dual_cndmask_b32 v39, v41, v40
	v_cmp_ne_u32_e32 vcc_lo, 0, v35
	v_xor_b32_e32 v40, s4, v42
	v_dual_cndmask_b32 v35, v38, v36 :: v_dual_cndmask_b32 v36, v37, v39
	s_delay_alu instid0(VALU_DEP_1) | instskip(NEXT) | instid1(VALU_DEP_2)
	v_xor_b32_e32 v37, v35, v40
	v_xor_b32_e32 v36, v36, v40
	s_delay_alu instid0(VALU_DEP_1) | instskip(NEXT) | instid1(VALU_DEP_3)
	v_sub_co_u32 v35, vcc_lo, v36, v40
	v_sub_co_ci_u32_e32 v36, vcc_lo, v37, v40, vcc_lo
.LBB1159_75:
	s_and_not1_saveexec_b32 s2, s3
	s_cbranch_execz .LBB1159_77
; %bb.76:
	v_cvt_f32_u32_e32 v35, s44
	s_sub_i32 s3, 0, s44
	s_delay_alu instid0(VALU_DEP_1) | instskip(SKIP_2) | instid1(VALU_DEP_1)
	v_rcp_iflag_f32_e32 v35, v35
	s_waitcnt_depctr 0xfff
	v_mul_f32_e32 v35, 0x4f7ffffe, v35
	v_cvt_u32_f32_e32 v35, v35
	s_delay_alu instid0(VALU_DEP_1) | instskip(NEXT) | instid1(VALU_DEP_1)
	v_mul_lo_u32 v36, s3, v35
	v_mul_hi_u32 v36, v35, v36
	s_delay_alu instid0(VALU_DEP_1) | instskip(NEXT) | instid1(VALU_DEP_1)
	v_add_nc_u32_e32 v35, v35, v36
	v_mul_hi_u32 v35, v69, v35
	s_delay_alu instid0(VALU_DEP_1) | instskip(SKIP_1) | instid1(VALU_DEP_2)
	v_mul_lo_u32 v36, v35, s44
	v_add_nc_u32_e32 v37, 1, v35
	v_sub_nc_u32_e32 v36, v69, v36
	s_delay_alu instid0(VALU_DEP_1) | instskip(SKIP_1) | instid1(VALU_DEP_2)
	v_subrev_nc_u32_e32 v38, s44, v36
	v_cmp_le_u32_e32 vcc_lo, s44, v36
	v_dual_cndmask_b32 v36, v36, v38 :: v_dual_cndmask_b32 v35, v35, v37
	s_delay_alu instid0(VALU_DEP_1) | instskip(NEXT) | instid1(VALU_DEP_2)
	v_cmp_le_u32_e32 vcc_lo, s44, v36
	v_dual_mov_b32 v36, 0 :: v_dual_add_nc_u32 v37, 1, v35
	s_delay_alu instid0(VALU_DEP_1)
	v_cndmask_b32_e32 v35, v35, v37, vcc_lo
.LBB1159_77:
	s_or_b32 exec_lo, exec_lo, s2
	v_add_co_u32 v71, vcc_lo, 0x400, v63
	v_add_co_ci_u32_e32 v72, vcc_lo, 0, v64, vcc_lo
	v_mov_b32_e32 v37, 0
	s_delay_alu instid0(VALU_DEP_2) | instskip(NEXT) | instid1(VALU_DEP_1)
	v_or_b32_e32 v38, s45, v72
	v_cmp_ne_u64_e32 vcc_lo, 0, v[37:38]
                                        ; implicit-def: $vgpr37_vgpr38
	s_and_saveexec_b32 s2, vcc_lo
	s_delay_alu instid0(SALU_CYCLE_1)
	s_xor_b32 s3, exec_lo, s2
	s_cbranch_execz .LBB1159_79
; %bb.78:
	s_ashr_i32 s4, s45, 31
	s_delay_alu instid0(SALU_CYCLE_1) | instskip(SKIP_2) | instid1(SALU_CYCLE_1)
	s_add_u32 s6, s44, s4
	s_mov_b32 s5, s4
	s_addc_u32 s7, s45, s4
	s_xor_b64 s[6:7], s[6:7], s[4:5]
	s_delay_alu instid0(SALU_CYCLE_1) | instskip(SKIP_3) | instid1(VALU_DEP_1)
	v_cvt_f32_u32_e32 v37, s6
	v_cvt_f32_u32_e32 v38, s7
	s_sub_u32 s2, 0, s6
	s_subb_u32 s5, 0, s7
	v_fmamk_f32 v37, v38, 0x4f800000, v37
	s_delay_alu instid0(VALU_DEP_1) | instskip(SKIP_2) | instid1(VALU_DEP_1)
	v_rcp_f32_e32 v37, v37
	s_waitcnt_depctr 0xfff
	v_mul_f32_e32 v37, 0x5f7ffffc, v37
	v_mul_f32_e32 v38, 0x2f800000, v37
	s_delay_alu instid0(VALU_DEP_1) | instskip(NEXT) | instid1(VALU_DEP_1)
	v_trunc_f32_e32 v38, v38
	v_fmamk_f32 v37, v38, 0xcf800000, v37
	v_cvt_u32_f32_e32 v38, v38
	s_delay_alu instid0(VALU_DEP_2) | instskip(NEXT) | instid1(VALU_DEP_2)
	v_cvt_u32_f32_e32 v37, v37
	v_mul_lo_u32 v39, s2, v38
	s_delay_alu instid0(VALU_DEP_2) | instskip(SKIP_1) | instid1(VALU_DEP_2)
	v_mul_hi_u32 v40, s2, v37
	v_mul_lo_u32 v41, s5, v37
	v_add_nc_u32_e32 v39, v40, v39
	v_mul_lo_u32 v40, s2, v37
	s_delay_alu instid0(VALU_DEP_2) | instskip(NEXT) | instid1(VALU_DEP_2)
	v_add_nc_u32_e32 v39, v39, v41
	v_mul_hi_u32 v41, v37, v40
	s_delay_alu instid0(VALU_DEP_2)
	v_mul_lo_u32 v42, v37, v39
	v_mul_hi_u32 v43, v37, v39
	v_mul_hi_u32 v44, v38, v40
	v_mul_lo_u32 v40, v38, v40
	v_mul_hi_u32 v45, v38, v39
	v_mul_lo_u32 v39, v38, v39
	v_add_co_u32 v41, vcc_lo, v41, v42
	v_add_co_ci_u32_e32 v42, vcc_lo, 0, v43, vcc_lo
	s_delay_alu instid0(VALU_DEP_2) | instskip(NEXT) | instid1(VALU_DEP_2)
	v_add_co_u32 v40, vcc_lo, v41, v40
	v_add_co_ci_u32_e32 v40, vcc_lo, v42, v44, vcc_lo
	v_add_co_ci_u32_e32 v41, vcc_lo, 0, v45, vcc_lo
	v_ashrrev_i32_e32 v44, 31, v72
	s_delay_alu instid0(VALU_DEP_3) | instskip(NEXT) | instid1(VALU_DEP_3)
	v_add_co_u32 v39, vcc_lo, v40, v39
	v_add_co_ci_u32_e32 v40, vcc_lo, 0, v41, vcc_lo
	s_delay_alu instid0(VALU_DEP_2) | instskip(NEXT) | instid1(VALU_DEP_2)
	v_add_co_u32 v37, vcc_lo, v37, v39
	v_add_co_ci_u32_e32 v38, vcc_lo, v38, v40, vcc_lo
	s_delay_alu instid0(VALU_DEP_2) | instskip(SKIP_1) | instid1(VALU_DEP_3)
	v_mul_hi_u32 v39, s2, v37
	v_mul_lo_u32 v41, s5, v37
	v_mul_lo_u32 v40, s2, v38
	s_delay_alu instid0(VALU_DEP_1) | instskip(SKIP_1) | instid1(VALU_DEP_2)
	v_add_nc_u32_e32 v39, v39, v40
	v_mul_lo_u32 v40, s2, v37
	v_add_nc_u32_e32 v39, v39, v41
	s_delay_alu instid0(VALU_DEP_2) | instskip(NEXT) | instid1(VALU_DEP_2)
	v_mul_hi_u32 v41, v37, v40
	v_mul_lo_u32 v42, v37, v39
	v_mul_hi_u32 v43, v37, v39
	v_mul_hi_u32 v45, v38, v40
	v_mul_lo_u32 v40, v38, v40
	v_mul_hi_u32 v46, v38, v39
	v_mul_lo_u32 v39, v38, v39
	v_add_co_u32 v41, vcc_lo, v41, v42
	v_add_co_ci_u32_e32 v42, vcc_lo, 0, v43, vcc_lo
	s_delay_alu instid0(VALU_DEP_2) | instskip(NEXT) | instid1(VALU_DEP_2)
	v_add_co_u32 v40, vcc_lo, v41, v40
	v_add_co_ci_u32_e32 v40, vcc_lo, v42, v45, vcc_lo
	v_add_co_ci_u32_e32 v41, vcc_lo, 0, v46, vcc_lo
	v_add_co_u32 v42, vcc_lo, v71, v44
	v_add_co_ci_u32_e32 v43, vcc_lo, v72, v44, vcc_lo
	s_delay_alu instid0(VALU_DEP_4) | instskip(NEXT) | instid1(VALU_DEP_4)
	v_add_co_u32 v39, vcc_lo, v40, v39
	v_add_co_ci_u32_e32 v40, vcc_lo, 0, v41, vcc_lo
	s_delay_alu instid0(VALU_DEP_4) | instskip(NEXT) | instid1(VALU_DEP_3)
	v_xor_b32_e32 v45, v42, v44
	v_add_co_u32 v41, vcc_lo, v37, v39
	s_delay_alu instid0(VALU_DEP_3) | instskip(SKIP_1) | instid1(VALU_DEP_3)
	v_add_co_ci_u32_e32 v46, vcc_lo, v38, v40, vcc_lo
	v_xor_b32_e32 v43, v43, v44
	v_mul_hi_u32 v47, v45, v41
	s_delay_alu instid0(VALU_DEP_3) | instskip(NEXT) | instid1(VALU_DEP_3)
	v_mad_u64_u32 v[37:38], null, v45, v46, 0
	v_mad_u64_u32 v[39:40], null, v43, v41, 0
	;; [unrolled: 1-line block ×3, first 2 shown]
	s_delay_alu instid0(VALU_DEP_3) | instskip(NEXT) | instid1(VALU_DEP_4)
	v_add_co_u32 v37, vcc_lo, v47, v37
	v_add_co_ci_u32_e32 v38, vcc_lo, 0, v38, vcc_lo
	s_delay_alu instid0(VALU_DEP_2) | instskip(NEXT) | instid1(VALU_DEP_2)
	v_add_co_u32 v37, vcc_lo, v37, v39
	v_add_co_ci_u32_e32 v37, vcc_lo, v38, v40, vcc_lo
	v_add_co_ci_u32_e32 v38, vcc_lo, 0, v42, vcc_lo
	s_delay_alu instid0(VALU_DEP_2) | instskip(NEXT) | instid1(VALU_DEP_2)
	v_add_co_u32 v39, vcc_lo, v37, v41
	v_add_co_ci_u32_e32 v40, vcc_lo, 0, v38, vcc_lo
	s_delay_alu instid0(VALU_DEP_2) | instskip(SKIP_1) | instid1(VALU_DEP_3)
	v_mul_lo_u32 v41, s7, v39
	v_mad_u64_u32 v[37:38], null, s6, v39, 0
	v_mul_lo_u32 v42, s6, v40
	s_delay_alu instid0(VALU_DEP_2) | instskip(NEXT) | instid1(VALU_DEP_2)
	v_sub_co_u32 v37, vcc_lo, v45, v37
	v_add3_u32 v38, v38, v42, v41
	s_delay_alu instid0(VALU_DEP_1) | instskip(NEXT) | instid1(VALU_DEP_1)
	v_sub_nc_u32_e32 v41, v43, v38
	v_subrev_co_ci_u32_e64 v41, s2, s7, v41, vcc_lo
	v_add_co_u32 v42, s2, v39, 2
	s_delay_alu instid0(VALU_DEP_1) | instskip(SKIP_3) | instid1(VALU_DEP_3)
	v_add_co_ci_u32_e64 v45, s2, 0, v40, s2
	v_sub_co_u32 v46, s2, v37, s6
	v_sub_co_ci_u32_e32 v38, vcc_lo, v43, v38, vcc_lo
	v_subrev_co_ci_u32_e64 v41, s2, 0, v41, s2
	v_cmp_le_u32_e32 vcc_lo, s6, v46
	s_delay_alu instid0(VALU_DEP_3) | instskip(SKIP_1) | instid1(VALU_DEP_4)
	v_cmp_eq_u32_e64 s2, s7, v38
	v_cndmask_b32_e64 v43, 0, -1, vcc_lo
	v_cmp_le_u32_e32 vcc_lo, s7, v41
	v_cndmask_b32_e64 v46, 0, -1, vcc_lo
	v_cmp_le_u32_e32 vcc_lo, s6, v37
	;; [unrolled: 2-line block ×3, first 2 shown]
	v_cndmask_b32_e64 v47, 0, -1, vcc_lo
	v_cmp_eq_u32_e32 vcc_lo, s7, v41
	s_delay_alu instid0(VALU_DEP_2) | instskip(SKIP_3) | instid1(VALU_DEP_3)
	v_cndmask_b32_e64 v37, v47, v37, s2
	v_cndmask_b32_e32 v41, v46, v43, vcc_lo
	v_add_co_u32 v43, vcc_lo, v39, 1
	v_add_co_ci_u32_e32 v46, vcc_lo, 0, v40, vcc_lo
	v_cmp_ne_u32_e32 vcc_lo, 0, v41
	s_delay_alu instid0(VALU_DEP_2) | instskip(SKIP_2) | instid1(VALU_DEP_3)
	v_dual_cndmask_b32 v38, v46, v45 :: v_dual_cndmask_b32 v41, v43, v42
	v_cmp_ne_u32_e32 vcc_lo, 0, v37
	v_xor_b32_e32 v42, s4, v44
	v_dual_cndmask_b32 v37, v40, v38 :: v_dual_cndmask_b32 v38, v39, v41
	s_delay_alu instid0(VALU_DEP_1) | instskip(NEXT) | instid1(VALU_DEP_2)
	v_xor_b32_e32 v39, v37, v42
	v_xor_b32_e32 v38, v38, v42
	s_delay_alu instid0(VALU_DEP_1) | instskip(NEXT) | instid1(VALU_DEP_3)
	v_sub_co_u32 v37, vcc_lo, v38, v42
	v_sub_co_ci_u32_e32 v38, vcc_lo, v39, v42, vcc_lo
.LBB1159_79:
	s_and_not1_saveexec_b32 s2, s3
	s_cbranch_execz .LBB1159_81
; %bb.80:
	v_cvt_f32_u32_e32 v37, s44
	s_sub_i32 s3, 0, s44
	s_delay_alu instid0(VALU_DEP_1) | instskip(SKIP_2) | instid1(VALU_DEP_1)
	v_rcp_iflag_f32_e32 v37, v37
	s_waitcnt_depctr 0xfff
	v_mul_f32_e32 v37, 0x4f7ffffe, v37
	v_cvt_u32_f32_e32 v37, v37
	s_delay_alu instid0(VALU_DEP_1) | instskip(NEXT) | instid1(VALU_DEP_1)
	v_mul_lo_u32 v38, s3, v37
	v_mul_hi_u32 v38, v37, v38
	s_delay_alu instid0(VALU_DEP_1) | instskip(NEXT) | instid1(VALU_DEP_1)
	v_add_nc_u32_e32 v37, v37, v38
	v_mul_hi_u32 v37, v71, v37
	s_delay_alu instid0(VALU_DEP_1) | instskip(SKIP_1) | instid1(VALU_DEP_2)
	v_mul_lo_u32 v38, v37, s44
	v_add_nc_u32_e32 v39, 1, v37
	v_sub_nc_u32_e32 v38, v71, v38
	s_delay_alu instid0(VALU_DEP_1) | instskip(SKIP_1) | instid1(VALU_DEP_2)
	v_subrev_nc_u32_e32 v40, s44, v38
	v_cmp_le_u32_e32 vcc_lo, s44, v38
	v_dual_cndmask_b32 v38, v38, v40 :: v_dual_cndmask_b32 v37, v37, v39
	s_delay_alu instid0(VALU_DEP_1) | instskip(NEXT) | instid1(VALU_DEP_2)
	v_cmp_le_u32_e32 vcc_lo, s44, v38
	v_dual_mov_b32 v38, 0 :: v_dual_add_nc_u32 v39, 1, v37
	s_delay_alu instid0(VALU_DEP_1)
	v_cndmask_b32_e32 v37, v37, v39, vcc_lo
.LBB1159_81:
	s_or_b32 exec_lo, exec_lo, s2
	v_add_co_u32 v73, vcc_lo, 0x500, v63
	v_add_co_ci_u32_e32 v74, vcc_lo, 0, v64, vcc_lo
	v_mov_b32_e32 v39, 0
	s_delay_alu instid0(VALU_DEP_2) | instskip(NEXT) | instid1(VALU_DEP_1)
	v_or_b32_e32 v40, s45, v74
	v_cmp_ne_u64_e32 vcc_lo, 0, v[39:40]
                                        ; implicit-def: $vgpr39_vgpr40
	s_and_saveexec_b32 s2, vcc_lo
	s_delay_alu instid0(SALU_CYCLE_1)
	s_xor_b32 s3, exec_lo, s2
	s_cbranch_execz .LBB1159_83
; %bb.82:
	s_ashr_i32 s4, s45, 31
	s_delay_alu instid0(SALU_CYCLE_1) | instskip(SKIP_2) | instid1(SALU_CYCLE_1)
	s_add_u32 s6, s44, s4
	s_mov_b32 s5, s4
	s_addc_u32 s7, s45, s4
	s_xor_b64 s[6:7], s[6:7], s[4:5]
	s_delay_alu instid0(SALU_CYCLE_1) | instskip(SKIP_3) | instid1(VALU_DEP_1)
	v_cvt_f32_u32_e32 v39, s6
	v_cvt_f32_u32_e32 v40, s7
	s_sub_u32 s2, 0, s6
	s_subb_u32 s5, 0, s7
	v_fmamk_f32 v39, v40, 0x4f800000, v39
	s_delay_alu instid0(VALU_DEP_1) | instskip(SKIP_2) | instid1(VALU_DEP_1)
	v_rcp_f32_e32 v39, v39
	s_waitcnt_depctr 0xfff
	v_mul_f32_e32 v39, 0x5f7ffffc, v39
	v_mul_f32_e32 v40, 0x2f800000, v39
	s_delay_alu instid0(VALU_DEP_1) | instskip(NEXT) | instid1(VALU_DEP_1)
	v_trunc_f32_e32 v40, v40
	v_fmamk_f32 v39, v40, 0xcf800000, v39
	v_cvt_u32_f32_e32 v40, v40
	s_delay_alu instid0(VALU_DEP_2) | instskip(NEXT) | instid1(VALU_DEP_2)
	v_cvt_u32_f32_e32 v39, v39
	v_mul_lo_u32 v41, s2, v40
	s_delay_alu instid0(VALU_DEP_2) | instskip(SKIP_1) | instid1(VALU_DEP_2)
	v_mul_hi_u32 v42, s2, v39
	v_mul_lo_u32 v43, s5, v39
	v_add_nc_u32_e32 v41, v42, v41
	v_mul_lo_u32 v42, s2, v39
	s_delay_alu instid0(VALU_DEP_2) | instskip(NEXT) | instid1(VALU_DEP_2)
	v_add_nc_u32_e32 v41, v41, v43
	v_mul_hi_u32 v43, v39, v42
	s_delay_alu instid0(VALU_DEP_2)
	v_mul_lo_u32 v44, v39, v41
	v_mul_hi_u32 v45, v39, v41
	v_mul_hi_u32 v46, v40, v42
	v_mul_lo_u32 v42, v40, v42
	v_mul_hi_u32 v47, v40, v41
	v_mul_lo_u32 v41, v40, v41
	v_add_co_u32 v43, vcc_lo, v43, v44
	v_add_co_ci_u32_e32 v44, vcc_lo, 0, v45, vcc_lo
	s_delay_alu instid0(VALU_DEP_2) | instskip(NEXT) | instid1(VALU_DEP_2)
	v_add_co_u32 v42, vcc_lo, v43, v42
	v_add_co_ci_u32_e32 v42, vcc_lo, v44, v46, vcc_lo
	v_add_co_ci_u32_e32 v43, vcc_lo, 0, v47, vcc_lo
	v_ashrrev_i32_e32 v46, 31, v74
	s_delay_alu instid0(VALU_DEP_3) | instskip(NEXT) | instid1(VALU_DEP_3)
	v_add_co_u32 v41, vcc_lo, v42, v41
	v_add_co_ci_u32_e32 v42, vcc_lo, 0, v43, vcc_lo
	s_delay_alu instid0(VALU_DEP_2) | instskip(NEXT) | instid1(VALU_DEP_2)
	v_add_co_u32 v39, vcc_lo, v39, v41
	v_add_co_ci_u32_e32 v40, vcc_lo, v40, v42, vcc_lo
	s_delay_alu instid0(VALU_DEP_2) | instskip(SKIP_1) | instid1(VALU_DEP_3)
	v_mul_hi_u32 v41, s2, v39
	v_mul_lo_u32 v43, s5, v39
	v_mul_lo_u32 v42, s2, v40
	s_delay_alu instid0(VALU_DEP_1) | instskip(SKIP_1) | instid1(VALU_DEP_2)
	v_add_nc_u32_e32 v41, v41, v42
	v_mul_lo_u32 v42, s2, v39
	v_add_nc_u32_e32 v41, v41, v43
	s_delay_alu instid0(VALU_DEP_2) | instskip(NEXT) | instid1(VALU_DEP_2)
	v_mul_hi_u32 v43, v39, v42
	v_mul_lo_u32 v44, v39, v41
	v_mul_hi_u32 v45, v39, v41
	v_mul_hi_u32 v47, v40, v42
	v_mul_lo_u32 v42, v40, v42
	v_mul_hi_u32 v48, v40, v41
	v_mul_lo_u32 v41, v40, v41
	v_add_co_u32 v43, vcc_lo, v43, v44
	v_add_co_ci_u32_e32 v44, vcc_lo, 0, v45, vcc_lo
	s_delay_alu instid0(VALU_DEP_2) | instskip(NEXT) | instid1(VALU_DEP_2)
	v_add_co_u32 v42, vcc_lo, v43, v42
	v_add_co_ci_u32_e32 v42, vcc_lo, v44, v47, vcc_lo
	v_add_co_ci_u32_e32 v43, vcc_lo, 0, v48, vcc_lo
	v_add_co_u32 v44, vcc_lo, v73, v46
	v_add_co_ci_u32_e32 v45, vcc_lo, v74, v46, vcc_lo
	s_delay_alu instid0(VALU_DEP_4) | instskip(NEXT) | instid1(VALU_DEP_4)
	v_add_co_u32 v41, vcc_lo, v42, v41
	v_add_co_ci_u32_e32 v42, vcc_lo, 0, v43, vcc_lo
	s_delay_alu instid0(VALU_DEP_4) | instskip(NEXT) | instid1(VALU_DEP_3)
	v_xor_b32_e32 v47, v44, v46
	v_add_co_u32 v43, vcc_lo, v39, v41
	s_delay_alu instid0(VALU_DEP_3) | instskip(SKIP_1) | instid1(VALU_DEP_3)
	v_add_co_ci_u32_e32 v48, vcc_lo, v40, v42, vcc_lo
	v_xor_b32_e32 v45, v45, v46
	v_mul_hi_u32 v49, v47, v43
	s_delay_alu instid0(VALU_DEP_3) | instskip(NEXT) | instid1(VALU_DEP_3)
	v_mad_u64_u32 v[39:40], null, v47, v48, 0
	v_mad_u64_u32 v[41:42], null, v45, v43, 0
	;; [unrolled: 1-line block ×3, first 2 shown]
	s_delay_alu instid0(VALU_DEP_3) | instskip(NEXT) | instid1(VALU_DEP_4)
	v_add_co_u32 v39, vcc_lo, v49, v39
	v_add_co_ci_u32_e32 v40, vcc_lo, 0, v40, vcc_lo
	s_delay_alu instid0(VALU_DEP_2) | instskip(NEXT) | instid1(VALU_DEP_2)
	v_add_co_u32 v39, vcc_lo, v39, v41
	v_add_co_ci_u32_e32 v39, vcc_lo, v40, v42, vcc_lo
	v_add_co_ci_u32_e32 v40, vcc_lo, 0, v44, vcc_lo
	s_delay_alu instid0(VALU_DEP_2) | instskip(NEXT) | instid1(VALU_DEP_2)
	v_add_co_u32 v41, vcc_lo, v39, v43
	v_add_co_ci_u32_e32 v42, vcc_lo, 0, v40, vcc_lo
	s_delay_alu instid0(VALU_DEP_2) | instskip(SKIP_1) | instid1(VALU_DEP_3)
	v_mul_lo_u32 v43, s7, v41
	v_mad_u64_u32 v[39:40], null, s6, v41, 0
	v_mul_lo_u32 v44, s6, v42
	s_delay_alu instid0(VALU_DEP_2) | instskip(NEXT) | instid1(VALU_DEP_2)
	v_sub_co_u32 v39, vcc_lo, v47, v39
	v_add3_u32 v40, v40, v44, v43
	s_delay_alu instid0(VALU_DEP_1) | instskip(NEXT) | instid1(VALU_DEP_1)
	v_sub_nc_u32_e32 v43, v45, v40
	v_subrev_co_ci_u32_e64 v43, s2, s7, v43, vcc_lo
	v_add_co_u32 v44, s2, v41, 2
	s_delay_alu instid0(VALU_DEP_1) | instskip(SKIP_3) | instid1(VALU_DEP_3)
	v_add_co_ci_u32_e64 v47, s2, 0, v42, s2
	v_sub_co_u32 v48, s2, v39, s6
	v_sub_co_ci_u32_e32 v40, vcc_lo, v45, v40, vcc_lo
	v_subrev_co_ci_u32_e64 v43, s2, 0, v43, s2
	v_cmp_le_u32_e32 vcc_lo, s6, v48
	s_delay_alu instid0(VALU_DEP_3) | instskip(SKIP_1) | instid1(VALU_DEP_4)
	v_cmp_eq_u32_e64 s2, s7, v40
	v_cndmask_b32_e64 v45, 0, -1, vcc_lo
	v_cmp_le_u32_e32 vcc_lo, s7, v43
	v_cndmask_b32_e64 v48, 0, -1, vcc_lo
	v_cmp_le_u32_e32 vcc_lo, s6, v39
	;; [unrolled: 2-line block ×3, first 2 shown]
	v_cndmask_b32_e64 v49, 0, -1, vcc_lo
	v_cmp_eq_u32_e32 vcc_lo, s7, v43
	s_delay_alu instid0(VALU_DEP_2) | instskip(SKIP_3) | instid1(VALU_DEP_3)
	v_cndmask_b32_e64 v39, v49, v39, s2
	v_cndmask_b32_e32 v43, v48, v45, vcc_lo
	v_add_co_u32 v45, vcc_lo, v41, 1
	v_add_co_ci_u32_e32 v48, vcc_lo, 0, v42, vcc_lo
	v_cmp_ne_u32_e32 vcc_lo, 0, v43
	s_delay_alu instid0(VALU_DEP_2) | instskip(SKIP_2) | instid1(VALU_DEP_3)
	v_dual_cndmask_b32 v40, v48, v47 :: v_dual_cndmask_b32 v43, v45, v44
	v_cmp_ne_u32_e32 vcc_lo, 0, v39
	v_xor_b32_e32 v44, s4, v46
	v_dual_cndmask_b32 v39, v42, v40 :: v_dual_cndmask_b32 v40, v41, v43
	s_delay_alu instid0(VALU_DEP_1) | instskip(NEXT) | instid1(VALU_DEP_2)
	v_xor_b32_e32 v41, v39, v44
	v_xor_b32_e32 v40, v40, v44
	s_delay_alu instid0(VALU_DEP_1) | instskip(NEXT) | instid1(VALU_DEP_3)
	v_sub_co_u32 v39, vcc_lo, v40, v44
	v_sub_co_ci_u32_e32 v40, vcc_lo, v41, v44, vcc_lo
.LBB1159_83:
	s_and_not1_saveexec_b32 s2, s3
	s_cbranch_execz .LBB1159_85
; %bb.84:
	v_cvt_f32_u32_e32 v39, s44
	s_sub_i32 s3, 0, s44
	s_delay_alu instid0(VALU_DEP_1) | instskip(SKIP_2) | instid1(VALU_DEP_1)
	v_rcp_iflag_f32_e32 v39, v39
	s_waitcnt_depctr 0xfff
	v_mul_f32_e32 v39, 0x4f7ffffe, v39
	v_cvt_u32_f32_e32 v39, v39
	s_delay_alu instid0(VALU_DEP_1) | instskip(NEXT) | instid1(VALU_DEP_1)
	v_mul_lo_u32 v40, s3, v39
	v_mul_hi_u32 v40, v39, v40
	s_delay_alu instid0(VALU_DEP_1) | instskip(NEXT) | instid1(VALU_DEP_1)
	v_add_nc_u32_e32 v39, v39, v40
	v_mul_hi_u32 v39, v73, v39
	s_delay_alu instid0(VALU_DEP_1) | instskip(SKIP_1) | instid1(VALU_DEP_2)
	v_mul_lo_u32 v40, v39, s44
	v_add_nc_u32_e32 v41, 1, v39
	v_sub_nc_u32_e32 v40, v73, v40
	s_delay_alu instid0(VALU_DEP_1) | instskip(SKIP_1) | instid1(VALU_DEP_2)
	v_subrev_nc_u32_e32 v42, s44, v40
	v_cmp_le_u32_e32 vcc_lo, s44, v40
	v_dual_cndmask_b32 v40, v40, v42 :: v_dual_cndmask_b32 v39, v39, v41
	s_delay_alu instid0(VALU_DEP_1) | instskip(NEXT) | instid1(VALU_DEP_2)
	v_cmp_le_u32_e32 vcc_lo, s44, v40
	v_dual_mov_b32 v40, 0 :: v_dual_add_nc_u32 v41, 1, v39
	s_delay_alu instid0(VALU_DEP_1)
	v_cndmask_b32_e32 v39, v39, v41, vcc_lo
.LBB1159_85:
	s_or_b32 exec_lo, exec_lo, s2
	v_add_co_u32 v75, vcc_lo, 0x600, v63
	v_add_co_ci_u32_e32 v76, vcc_lo, 0, v64, vcc_lo
	v_mov_b32_e32 v41, 0
	s_delay_alu instid0(VALU_DEP_2) | instskip(NEXT) | instid1(VALU_DEP_1)
	v_or_b32_e32 v42, s45, v76
	v_cmp_ne_u64_e32 vcc_lo, 0, v[41:42]
                                        ; implicit-def: $vgpr41_vgpr42
	s_and_saveexec_b32 s2, vcc_lo
	s_delay_alu instid0(SALU_CYCLE_1)
	s_xor_b32 s3, exec_lo, s2
	s_cbranch_execz .LBB1159_87
; %bb.86:
	s_ashr_i32 s4, s45, 31
	s_delay_alu instid0(SALU_CYCLE_1) | instskip(SKIP_2) | instid1(SALU_CYCLE_1)
	s_add_u32 s6, s44, s4
	s_mov_b32 s5, s4
	s_addc_u32 s7, s45, s4
	s_xor_b64 s[6:7], s[6:7], s[4:5]
	s_delay_alu instid0(SALU_CYCLE_1) | instskip(SKIP_3) | instid1(VALU_DEP_1)
	v_cvt_f32_u32_e32 v41, s6
	v_cvt_f32_u32_e32 v42, s7
	s_sub_u32 s2, 0, s6
	s_subb_u32 s5, 0, s7
	v_fmamk_f32 v41, v42, 0x4f800000, v41
	s_delay_alu instid0(VALU_DEP_1) | instskip(SKIP_2) | instid1(VALU_DEP_1)
	v_rcp_f32_e32 v41, v41
	s_waitcnt_depctr 0xfff
	v_mul_f32_e32 v41, 0x5f7ffffc, v41
	v_mul_f32_e32 v42, 0x2f800000, v41
	s_delay_alu instid0(VALU_DEP_1) | instskip(NEXT) | instid1(VALU_DEP_1)
	v_trunc_f32_e32 v42, v42
	v_fmamk_f32 v41, v42, 0xcf800000, v41
	v_cvt_u32_f32_e32 v42, v42
	s_delay_alu instid0(VALU_DEP_2) | instskip(NEXT) | instid1(VALU_DEP_2)
	v_cvt_u32_f32_e32 v41, v41
	v_mul_lo_u32 v43, s2, v42
	s_delay_alu instid0(VALU_DEP_2) | instskip(SKIP_1) | instid1(VALU_DEP_2)
	v_mul_hi_u32 v44, s2, v41
	v_mul_lo_u32 v45, s5, v41
	v_add_nc_u32_e32 v43, v44, v43
	v_mul_lo_u32 v44, s2, v41
	s_delay_alu instid0(VALU_DEP_2) | instskip(NEXT) | instid1(VALU_DEP_2)
	v_add_nc_u32_e32 v43, v43, v45
	v_mul_hi_u32 v45, v41, v44
	s_delay_alu instid0(VALU_DEP_2)
	v_mul_lo_u32 v46, v41, v43
	v_mul_hi_u32 v47, v41, v43
	v_mul_hi_u32 v48, v42, v44
	v_mul_lo_u32 v44, v42, v44
	v_mul_hi_u32 v49, v42, v43
	v_mul_lo_u32 v43, v42, v43
	v_add_co_u32 v45, vcc_lo, v45, v46
	v_add_co_ci_u32_e32 v46, vcc_lo, 0, v47, vcc_lo
	s_delay_alu instid0(VALU_DEP_2) | instskip(NEXT) | instid1(VALU_DEP_2)
	v_add_co_u32 v44, vcc_lo, v45, v44
	v_add_co_ci_u32_e32 v44, vcc_lo, v46, v48, vcc_lo
	v_add_co_ci_u32_e32 v45, vcc_lo, 0, v49, vcc_lo
	v_ashrrev_i32_e32 v48, 31, v76
	s_delay_alu instid0(VALU_DEP_3) | instskip(NEXT) | instid1(VALU_DEP_3)
	v_add_co_u32 v43, vcc_lo, v44, v43
	v_add_co_ci_u32_e32 v44, vcc_lo, 0, v45, vcc_lo
	s_delay_alu instid0(VALU_DEP_2) | instskip(NEXT) | instid1(VALU_DEP_2)
	v_add_co_u32 v41, vcc_lo, v41, v43
	v_add_co_ci_u32_e32 v42, vcc_lo, v42, v44, vcc_lo
	s_delay_alu instid0(VALU_DEP_2) | instskip(SKIP_1) | instid1(VALU_DEP_3)
	v_mul_hi_u32 v43, s2, v41
	v_mul_lo_u32 v45, s5, v41
	v_mul_lo_u32 v44, s2, v42
	s_delay_alu instid0(VALU_DEP_1) | instskip(SKIP_1) | instid1(VALU_DEP_2)
	v_add_nc_u32_e32 v43, v43, v44
	v_mul_lo_u32 v44, s2, v41
	v_add_nc_u32_e32 v43, v43, v45
	s_delay_alu instid0(VALU_DEP_2) | instskip(NEXT) | instid1(VALU_DEP_2)
	v_mul_hi_u32 v45, v41, v44
	v_mul_lo_u32 v46, v41, v43
	v_mul_hi_u32 v47, v41, v43
	v_mul_hi_u32 v49, v42, v44
	v_mul_lo_u32 v44, v42, v44
	v_mul_hi_u32 v50, v42, v43
	v_mul_lo_u32 v43, v42, v43
	v_add_co_u32 v45, vcc_lo, v45, v46
	v_add_co_ci_u32_e32 v46, vcc_lo, 0, v47, vcc_lo
	s_delay_alu instid0(VALU_DEP_2) | instskip(NEXT) | instid1(VALU_DEP_2)
	v_add_co_u32 v44, vcc_lo, v45, v44
	v_add_co_ci_u32_e32 v44, vcc_lo, v46, v49, vcc_lo
	v_add_co_ci_u32_e32 v45, vcc_lo, 0, v50, vcc_lo
	v_add_co_u32 v46, vcc_lo, v75, v48
	v_add_co_ci_u32_e32 v47, vcc_lo, v76, v48, vcc_lo
	s_delay_alu instid0(VALU_DEP_4) | instskip(NEXT) | instid1(VALU_DEP_4)
	v_add_co_u32 v43, vcc_lo, v44, v43
	v_add_co_ci_u32_e32 v44, vcc_lo, 0, v45, vcc_lo
	s_delay_alu instid0(VALU_DEP_4) | instskip(NEXT) | instid1(VALU_DEP_3)
	v_xor_b32_e32 v49, v46, v48
	v_add_co_u32 v45, vcc_lo, v41, v43
	s_delay_alu instid0(VALU_DEP_3) | instskip(SKIP_1) | instid1(VALU_DEP_3)
	v_add_co_ci_u32_e32 v50, vcc_lo, v42, v44, vcc_lo
	v_xor_b32_e32 v47, v47, v48
	v_mul_hi_u32 v51, v49, v45
	s_delay_alu instid0(VALU_DEP_3) | instskip(NEXT) | instid1(VALU_DEP_3)
	v_mad_u64_u32 v[41:42], null, v49, v50, 0
	v_mad_u64_u32 v[43:44], null, v47, v45, 0
	;; [unrolled: 1-line block ×3, first 2 shown]
	s_delay_alu instid0(VALU_DEP_3) | instskip(NEXT) | instid1(VALU_DEP_4)
	v_add_co_u32 v41, vcc_lo, v51, v41
	v_add_co_ci_u32_e32 v42, vcc_lo, 0, v42, vcc_lo
	s_delay_alu instid0(VALU_DEP_2) | instskip(NEXT) | instid1(VALU_DEP_2)
	v_add_co_u32 v41, vcc_lo, v41, v43
	v_add_co_ci_u32_e32 v41, vcc_lo, v42, v44, vcc_lo
	v_add_co_ci_u32_e32 v42, vcc_lo, 0, v46, vcc_lo
	s_delay_alu instid0(VALU_DEP_2) | instskip(NEXT) | instid1(VALU_DEP_2)
	v_add_co_u32 v43, vcc_lo, v41, v45
	v_add_co_ci_u32_e32 v44, vcc_lo, 0, v42, vcc_lo
	s_delay_alu instid0(VALU_DEP_2) | instskip(SKIP_1) | instid1(VALU_DEP_3)
	v_mul_lo_u32 v45, s7, v43
	v_mad_u64_u32 v[41:42], null, s6, v43, 0
	v_mul_lo_u32 v46, s6, v44
	s_delay_alu instid0(VALU_DEP_2) | instskip(NEXT) | instid1(VALU_DEP_2)
	v_sub_co_u32 v41, vcc_lo, v49, v41
	v_add3_u32 v42, v42, v46, v45
	s_delay_alu instid0(VALU_DEP_1) | instskip(NEXT) | instid1(VALU_DEP_1)
	v_sub_nc_u32_e32 v45, v47, v42
	v_subrev_co_ci_u32_e64 v45, s2, s7, v45, vcc_lo
	v_add_co_u32 v46, s2, v43, 2
	s_delay_alu instid0(VALU_DEP_1) | instskip(SKIP_3) | instid1(VALU_DEP_3)
	v_add_co_ci_u32_e64 v49, s2, 0, v44, s2
	v_sub_co_u32 v50, s2, v41, s6
	v_sub_co_ci_u32_e32 v42, vcc_lo, v47, v42, vcc_lo
	v_subrev_co_ci_u32_e64 v45, s2, 0, v45, s2
	v_cmp_le_u32_e32 vcc_lo, s6, v50
	s_delay_alu instid0(VALU_DEP_3) | instskip(SKIP_1) | instid1(VALU_DEP_4)
	v_cmp_eq_u32_e64 s2, s7, v42
	v_cndmask_b32_e64 v47, 0, -1, vcc_lo
	v_cmp_le_u32_e32 vcc_lo, s7, v45
	v_cndmask_b32_e64 v50, 0, -1, vcc_lo
	v_cmp_le_u32_e32 vcc_lo, s6, v41
	;; [unrolled: 2-line block ×3, first 2 shown]
	v_cndmask_b32_e64 v51, 0, -1, vcc_lo
	v_cmp_eq_u32_e32 vcc_lo, s7, v45
	s_delay_alu instid0(VALU_DEP_2) | instskip(SKIP_3) | instid1(VALU_DEP_3)
	v_cndmask_b32_e64 v41, v51, v41, s2
	v_cndmask_b32_e32 v45, v50, v47, vcc_lo
	v_add_co_u32 v47, vcc_lo, v43, 1
	v_add_co_ci_u32_e32 v50, vcc_lo, 0, v44, vcc_lo
	v_cmp_ne_u32_e32 vcc_lo, 0, v45
	s_delay_alu instid0(VALU_DEP_2) | instskip(SKIP_2) | instid1(VALU_DEP_3)
	v_dual_cndmask_b32 v42, v50, v49 :: v_dual_cndmask_b32 v45, v47, v46
	v_cmp_ne_u32_e32 vcc_lo, 0, v41
	v_xor_b32_e32 v46, s4, v48
	v_dual_cndmask_b32 v41, v44, v42 :: v_dual_cndmask_b32 v42, v43, v45
	s_delay_alu instid0(VALU_DEP_1) | instskip(NEXT) | instid1(VALU_DEP_2)
	v_xor_b32_e32 v43, v41, v46
	v_xor_b32_e32 v42, v42, v46
	s_delay_alu instid0(VALU_DEP_1) | instskip(NEXT) | instid1(VALU_DEP_3)
	v_sub_co_u32 v41, vcc_lo, v42, v46
	v_sub_co_ci_u32_e32 v42, vcc_lo, v43, v46, vcc_lo
.LBB1159_87:
	s_and_not1_saveexec_b32 s2, s3
	s_cbranch_execz .LBB1159_89
; %bb.88:
	v_cvt_f32_u32_e32 v41, s44
	s_sub_i32 s3, 0, s44
	s_delay_alu instid0(VALU_DEP_1) | instskip(SKIP_2) | instid1(VALU_DEP_1)
	v_rcp_iflag_f32_e32 v41, v41
	s_waitcnt_depctr 0xfff
	v_mul_f32_e32 v41, 0x4f7ffffe, v41
	v_cvt_u32_f32_e32 v41, v41
	s_delay_alu instid0(VALU_DEP_1) | instskip(NEXT) | instid1(VALU_DEP_1)
	v_mul_lo_u32 v42, s3, v41
	v_mul_hi_u32 v42, v41, v42
	s_delay_alu instid0(VALU_DEP_1) | instskip(NEXT) | instid1(VALU_DEP_1)
	v_add_nc_u32_e32 v41, v41, v42
	v_mul_hi_u32 v41, v75, v41
	s_delay_alu instid0(VALU_DEP_1) | instskip(SKIP_1) | instid1(VALU_DEP_2)
	v_mul_lo_u32 v42, v41, s44
	v_add_nc_u32_e32 v43, 1, v41
	v_sub_nc_u32_e32 v42, v75, v42
	s_delay_alu instid0(VALU_DEP_1) | instskip(SKIP_1) | instid1(VALU_DEP_2)
	v_subrev_nc_u32_e32 v44, s44, v42
	v_cmp_le_u32_e32 vcc_lo, s44, v42
	v_dual_cndmask_b32 v42, v42, v44 :: v_dual_cndmask_b32 v41, v41, v43
	s_delay_alu instid0(VALU_DEP_1) | instskip(NEXT) | instid1(VALU_DEP_2)
	v_cmp_le_u32_e32 vcc_lo, s44, v42
	v_dual_mov_b32 v42, 0 :: v_dual_add_nc_u32 v43, 1, v41
	s_delay_alu instid0(VALU_DEP_1)
	v_cndmask_b32_e32 v41, v41, v43, vcc_lo
.LBB1159_89:
	s_or_b32 exec_lo, exec_lo, s2
	v_add_co_u32 v77, vcc_lo, 0x700, v63
	v_add_co_ci_u32_e32 v78, vcc_lo, 0, v64, vcc_lo
	v_mov_b32_e32 v43, 0
	s_delay_alu instid0(VALU_DEP_2) | instskip(NEXT) | instid1(VALU_DEP_1)
	v_or_b32_e32 v44, s45, v78
	v_cmp_ne_u64_e32 vcc_lo, 0, v[43:44]
                                        ; implicit-def: $vgpr43_vgpr44
	s_and_saveexec_b32 s2, vcc_lo
	s_delay_alu instid0(SALU_CYCLE_1)
	s_xor_b32 s3, exec_lo, s2
	s_cbranch_execz .LBB1159_91
; %bb.90:
	s_ashr_i32 s4, s45, 31
	s_delay_alu instid0(SALU_CYCLE_1) | instskip(SKIP_2) | instid1(SALU_CYCLE_1)
	s_add_u32 s6, s44, s4
	s_mov_b32 s5, s4
	s_addc_u32 s7, s45, s4
	s_xor_b64 s[6:7], s[6:7], s[4:5]
	s_delay_alu instid0(SALU_CYCLE_1) | instskip(SKIP_3) | instid1(VALU_DEP_1)
	v_cvt_f32_u32_e32 v43, s6
	v_cvt_f32_u32_e32 v44, s7
	s_sub_u32 s2, 0, s6
	s_subb_u32 s5, 0, s7
	v_fmamk_f32 v43, v44, 0x4f800000, v43
	s_delay_alu instid0(VALU_DEP_1) | instskip(SKIP_2) | instid1(VALU_DEP_1)
	v_rcp_f32_e32 v43, v43
	s_waitcnt_depctr 0xfff
	v_mul_f32_e32 v43, 0x5f7ffffc, v43
	v_mul_f32_e32 v44, 0x2f800000, v43
	s_delay_alu instid0(VALU_DEP_1) | instskip(NEXT) | instid1(VALU_DEP_1)
	v_trunc_f32_e32 v44, v44
	v_fmamk_f32 v43, v44, 0xcf800000, v43
	v_cvt_u32_f32_e32 v44, v44
	s_delay_alu instid0(VALU_DEP_2) | instskip(NEXT) | instid1(VALU_DEP_2)
	v_cvt_u32_f32_e32 v43, v43
	v_mul_lo_u32 v45, s2, v44
	s_delay_alu instid0(VALU_DEP_2) | instskip(SKIP_1) | instid1(VALU_DEP_2)
	v_mul_hi_u32 v46, s2, v43
	v_mul_lo_u32 v47, s5, v43
	v_add_nc_u32_e32 v45, v46, v45
	v_mul_lo_u32 v46, s2, v43
	s_delay_alu instid0(VALU_DEP_2) | instskip(NEXT) | instid1(VALU_DEP_2)
	v_add_nc_u32_e32 v45, v45, v47
	v_mul_hi_u32 v47, v43, v46
	s_delay_alu instid0(VALU_DEP_2)
	v_mul_lo_u32 v48, v43, v45
	v_mul_hi_u32 v49, v43, v45
	v_mul_hi_u32 v50, v44, v46
	v_mul_lo_u32 v46, v44, v46
	v_mul_hi_u32 v51, v44, v45
	v_mul_lo_u32 v45, v44, v45
	v_add_co_u32 v47, vcc_lo, v47, v48
	v_add_co_ci_u32_e32 v48, vcc_lo, 0, v49, vcc_lo
	s_delay_alu instid0(VALU_DEP_2) | instskip(NEXT) | instid1(VALU_DEP_2)
	v_add_co_u32 v46, vcc_lo, v47, v46
	v_add_co_ci_u32_e32 v46, vcc_lo, v48, v50, vcc_lo
	v_add_co_ci_u32_e32 v47, vcc_lo, 0, v51, vcc_lo
	v_ashrrev_i32_e32 v50, 31, v78
	s_delay_alu instid0(VALU_DEP_3) | instskip(NEXT) | instid1(VALU_DEP_3)
	v_add_co_u32 v45, vcc_lo, v46, v45
	v_add_co_ci_u32_e32 v46, vcc_lo, 0, v47, vcc_lo
	s_delay_alu instid0(VALU_DEP_2) | instskip(NEXT) | instid1(VALU_DEP_2)
	v_add_co_u32 v43, vcc_lo, v43, v45
	v_add_co_ci_u32_e32 v44, vcc_lo, v44, v46, vcc_lo
	s_delay_alu instid0(VALU_DEP_2) | instskip(SKIP_1) | instid1(VALU_DEP_3)
	v_mul_hi_u32 v45, s2, v43
	v_mul_lo_u32 v47, s5, v43
	v_mul_lo_u32 v46, s2, v44
	s_delay_alu instid0(VALU_DEP_1) | instskip(SKIP_1) | instid1(VALU_DEP_2)
	v_add_nc_u32_e32 v45, v45, v46
	v_mul_lo_u32 v46, s2, v43
	v_add_nc_u32_e32 v45, v45, v47
	s_delay_alu instid0(VALU_DEP_2) | instskip(NEXT) | instid1(VALU_DEP_2)
	v_mul_hi_u32 v47, v43, v46
	v_mul_lo_u32 v48, v43, v45
	v_mul_hi_u32 v49, v43, v45
	v_mul_hi_u32 v51, v44, v46
	v_mul_lo_u32 v46, v44, v46
	v_mul_hi_u32 v52, v44, v45
	v_mul_lo_u32 v45, v44, v45
	v_add_co_u32 v47, vcc_lo, v47, v48
	v_add_co_ci_u32_e32 v48, vcc_lo, 0, v49, vcc_lo
	s_delay_alu instid0(VALU_DEP_2) | instskip(NEXT) | instid1(VALU_DEP_2)
	v_add_co_u32 v46, vcc_lo, v47, v46
	v_add_co_ci_u32_e32 v46, vcc_lo, v48, v51, vcc_lo
	v_add_co_ci_u32_e32 v47, vcc_lo, 0, v52, vcc_lo
	v_add_co_u32 v48, vcc_lo, v77, v50
	v_add_co_ci_u32_e32 v49, vcc_lo, v78, v50, vcc_lo
	s_delay_alu instid0(VALU_DEP_4) | instskip(NEXT) | instid1(VALU_DEP_4)
	v_add_co_u32 v45, vcc_lo, v46, v45
	v_add_co_ci_u32_e32 v46, vcc_lo, 0, v47, vcc_lo
	s_delay_alu instid0(VALU_DEP_4) | instskip(NEXT) | instid1(VALU_DEP_3)
	v_xor_b32_e32 v51, v48, v50
	v_add_co_u32 v47, vcc_lo, v43, v45
	s_delay_alu instid0(VALU_DEP_3) | instskip(SKIP_1) | instid1(VALU_DEP_3)
	v_add_co_ci_u32_e32 v52, vcc_lo, v44, v46, vcc_lo
	v_xor_b32_e32 v49, v49, v50
	v_mul_hi_u32 v53, v51, v47
	s_delay_alu instid0(VALU_DEP_3) | instskip(NEXT) | instid1(VALU_DEP_3)
	v_mad_u64_u32 v[43:44], null, v51, v52, 0
	v_mad_u64_u32 v[45:46], null, v49, v47, 0
	;; [unrolled: 1-line block ×3, first 2 shown]
	s_delay_alu instid0(VALU_DEP_3) | instskip(NEXT) | instid1(VALU_DEP_4)
	v_add_co_u32 v43, vcc_lo, v53, v43
	v_add_co_ci_u32_e32 v44, vcc_lo, 0, v44, vcc_lo
	s_delay_alu instid0(VALU_DEP_2) | instskip(NEXT) | instid1(VALU_DEP_2)
	v_add_co_u32 v43, vcc_lo, v43, v45
	v_add_co_ci_u32_e32 v43, vcc_lo, v44, v46, vcc_lo
	v_add_co_ci_u32_e32 v44, vcc_lo, 0, v48, vcc_lo
	s_delay_alu instid0(VALU_DEP_2) | instskip(NEXT) | instid1(VALU_DEP_2)
	v_add_co_u32 v45, vcc_lo, v43, v47
	v_add_co_ci_u32_e32 v46, vcc_lo, 0, v44, vcc_lo
	s_delay_alu instid0(VALU_DEP_2) | instskip(SKIP_1) | instid1(VALU_DEP_3)
	v_mul_lo_u32 v47, s7, v45
	v_mad_u64_u32 v[43:44], null, s6, v45, 0
	v_mul_lo_u32 v48, s6, v46
	s_delay_alu instid0(VALU_DEP_2) | instskip(NEXT) | instid1(VALU_DEP_2)
	v_sub_co_u32 v43, vcc_lo, v51, v43
	v_add3_u32 v44, v44, v48, v47
	s_delay_alu instid0(VALU_DEP_1) | instskip(NEXT) | instid1(VALU_DEP_1)
	v_sub_nc_u32_e32 v47, v49, v44
	v_subrev_co_ci_u32_e64 v47, s2, s7, v47, vcc_lo
	v_add_co_u32 v48, s2, v45, 2
	s_delay_alu instid0(VALU_DEP_1) | instskip(SKIP_3) | instid1(VALU_DEP_3)
	v_add_co_ci_u32_e64 v51, s2, 0, v46, s2
	v_sub_co_u32 v52, s2, v43, s6
	v_sub_co_ci_u32_e32 v44, vcc_lo, v49, v44, vcc_lo
	v_subrev_co_ci_u32_e64 v47, s2, 0, v47, s2
	v_cmp_le_u32_e32 vcc_lo, s6, v52
	s_delay_alu instid0(VALU_DEP_3) | instskip(SKIP_1) | instid1(VALU_DEP_4)
	v_cmp_eq_u32_e64 s2, s7, v44
	v_cndmask_b32_e64 v49, 0, -1, vcc_lo
	v_cmp_le_u32_e32 vcc_lo, s7, v47
	v_cndmask_b32_e64 v52, 0, -1, vcc_lo
	v_cmp_le_u32_e32 vcc_lo, s6, v43
	;; [unrolled: 2-line block ×3, first 2 shown]
	v_cndmask_b32_e64 v53, 0, -1, vcc_lo
	v_cmp_eq_u32_e32 vcc_lo, s7, v47
	s_delay_alu instid0(VALU_DEP_2) | instskip(SKIP_3) | instid1(VALU_DEP_3)
	v_cndmask_b32_e64 v43, v53, v43, s2
	v_cndmask_b32_e32 v47, v52, v49, vcc_lo
	v_add_co_u32 v49, vcc_lo, v45, 1
	v_add_co_ci_u32_e32 v52, vcc_lo, 0, v46, vcc_lo
	v_cmp_ne_u32_e32 vcc_lo, 0, v47
	s_delay_alu instid0(VALU_DEP_2) | instskip(SKIP_2) | instid1(VALU_DEP_3)
	v_dual_cndmask_b32 v44, v52, v51 :: v_dual_cndmask_b32 v47, v49, v48
	v_cmp_ne_u32_e32 vcc_lo, 0, v43
	v_xor_b32_e32 v48, s4, v50
	v_dual_cndmask_b32 v43, v46, v44 :: v_dual_cndmask_b32 v44, v45, v47
	s_delay_alu instid0(VALU_DEP_1) | instskip(NEXT) | instid1(VALU_DEP_2)
	v_xor_b32_e32 v45, v43, v48
	v_xor_b32_e32 v44, v44, v48
	s_delay_alu instid0(VALU_DEP_1) | instskip(NEXT) | instid1(VALU_DEP_3)
	v_sub_co_u32 v43, vcc_lo, v44, v48
	v_sub_co_ci_u32_e32 v44, vcc_lo, v45, v48, vcc_lo
.LBB1159_91:
	s_and_not1_saveexec_b32 s2, s3
	s_cbranch_execz .LBB1159_93
; %bb.92:
	v_cvt_f32_u32_e32 v43, s44
	s_sub_i32 s3, 0, s44
	s_delay_alu instid0(VALU_DEP_1) | instskip(SKIP_2) | instid1(VALU_DEP_1)
	v_rcp_iflag_f32_e32 v43, v43
	s_waitcnt_depctr 0xfff
	v_mul_f32_e32 v43, 0x4f7ffffe, v43
	v_cvt_u32_f32_e32 v43, v43
	s_delay_alu instid0(VALU_DEP_1) | instskip(NEXT) | instid1(VALU_DEP_1)
	v_mul_lo_u32 v44, s3, v43
	v_mul_hi_u32 v44, v43, v44
	s_delay_alu instid0(VALU_DEP_1) | instskip(NEXT) | instid1(VALU_DEP_1)
	v_add_nc_u32_e32 v43, v43, v44
	v_mul_hi_u32 v43, v77, v43
	s_delay_alu instid0(VALU_DEP_1) | instskip(SKIP_1) | instid1(VALU_DEP_2)
	v_mul_lo_u32 v44, v43, s44
	v_add_nc_u32_e32 v45, 1, v43
	v_sub_nc_u32_e32 v44, v77, v44
	s_delay_alu instid0(VALU_DEP_1) | instskip(SKIP_1) | instid1(VALU_DEP_2)
	v_subrev_nc_u32_e32 v46, s44, v44
	v_cmp_le_u32_e32 vcc_lo, s44, v44
	v_dual_cndmask_b32 v44, v44, v46 :: v_dual_cndmask_b32 v43, v43, v45
	s_delay_alu instid0(VALU_DEP_1) | instskip(NEXT) | instid1(VALU_DEP_2)
	v_cmp_le_u32_e32 vcc_lo, s44, v44
	v_dual_mov_b32 v44, 0 :: v_dual_add_nc_u32 v45, 1, v43
	s_delay_alu instid0(VALU_DEP_1)
	v_cndmask_b32_e32 v43, v43, v45, vcc_lo
.LBB1159_93:
	s_or_b32 exec_lo, exec_lo, s2
	v_add_co_u32 v79, vcc_lo, 0x800, v63
	v_add_co_ci_u32_e32 v80, vcc_lo, 0, v64, vcc_lo
	v_mov_b32_e32 v45, 0
	s_delay_alu instid0(VALU_DEP_2) | instskip(NEXT) | instid1(VALU_DEP_1)
	v_or_b32_e32 v46, s45, v80
	v_cmp_ne_u64_e32 vcc_lo, 0, v[45:46]
                                        ; implicit-def: $vgpr45_vgpr46
	s_and_saveexec_b32 s2, vcc_lo
	s_delay_alu instid0(SALU_CYCLE_1)
	s_xor_b32 s3, exec_lo, s2
	s_cbranch_execz .LBB1159_95
; %bb.94:
	s_ashr_i32 s4, s45, 31
	s_delay_alu instid0(SALU_CYCLE_1) | instskip(SKIP_2) | instid1(SALU_CYCLE_1)
	s_add_u32 s6, s44, s4
	s_mov_b32 s5, s4
	s_addc_u32 s7, s45, s4
	s_xor_b64 s[6:7], s[6:7], s[4:5]
	s_delay_alu instid0(SALU_CYCLE_1) | instskip(SKIP_3) | instid1(VALU_DEP_1)
	v_cvt_f32_u32_e32 v45, s6
	v_cvt_f32_u32_e32 v46, s7
	s_sub_u32 s2, 0, s6
	s_subb_u32 s5, 0, s7
	v_fmamk_f32 v45, v46, 0x4f800000, v45
	s_delay_alu instid0(VALU_DEP_1) | instskip(SKIP_2) | instid1(VALU_DEP_1)
	v_rcp_f32_e32 v45, v45
	s_waitcnt_depctr 0xfff
	v_mul_f32_e32 v45, 0x5f7ffffc, v45
	v_mul_f32_e32 v46, 0x2f800000, v45
	s_delay_alu instid0(VALU_DEP_1) | instskip(NEXT) | instid1(VALU_DEP_1)
	v_trunc_f32_e32 v46, v46
	v_fmamk_f32 v45, v46, 0xcf800000, v45
	v_cvt_u32_f32_e32 v46, v46
	s_delay_alu instid0(VALU_DEP_2) | instskip(NEXT) | instid1(VALU_DEP_2)
	v_cvt_u32_f32_e32 v45, v45
	v_mul_lo_u32 v47, s2, v46
	s_delay_alu instid0(VALU_DEP_2) | instskip(SKIP_1) | instid1(VALU_DEP_2)
	v_mul_hi_u32 v48, s2, v45
	v_mul_lo_u32 v49, s5, v45
	v_add_nc_u32_e32 v47, v48, v47
	v_mul_lo_u32 v48, s2, v45
	s_delay_alu instid0(VALU_DEP_2) | instskip(NEXT) | instid1(VALU_DEP_2)
	v_add_nc_u32_e32 v47, v47, v49
	v_mul_hi_u32 v49, v45, v48
	s_delay_alu instid0(VALU_DEP_2)
	v_mul_lo_u32 v50, v45, v47
	v_mul_hi_u32 v51, v45, v47
	v_mul_hi_u32 v52, v46, v48
	v_mul_lo_u32 v48, v46, v48
	v_mul_hi_u32 v53, v46, v47
	v_mul_lo_u32 v47, v46, v47
	v_add_co_u32 v49, vcc_lo, v49, v50
	v_add_co_ci_u32_e32 v50, vcc_lo, 0, v51, vcc_lo
	s_delay_alu instid0(VALU_DEP_2) | instskip(NEXT) | instid1(VALU_DEP_2)
	v_add_co_u32 v48, vcc_lo, v49, v48
	v_add_co_ci_u32_e32 v48, vcc_lo, v50, v52, vcc_lo
	v_add_co_ci_u32_e32 v49, vcc_lo, 0, v53, vcc_lo
	v_ashrrev_i32_e32 v52, 31, v80
	s_delay_alu instid0(VALU_DEP_3) | instskip(NEXT) | instid1(VALU_DEP_3)
	v_add_co_u32 v47, vcc_lo, v48, v47
	v_add_co_ci_u32_e32 v48, vcc_lo, 0, v49, vcc_lo
	s_delay_alu instid0(VALU_DEP_2) | instskip(NEXT) | instid1(VALU_DEP_2)
	v_add_co_u32 v45, vcc_lo, v45, v47
	v_add_co_ci_u32_e32 v46, vcc_lo, v46, v48, vcc_lo
	s_delay_alu instid0(VALU_DEP_2) | instskip(SKIP_1) | instid1(VALU_DEP_3)
	v_mul_hi_u32 v47, s2, v45
	v_mul_lo_u32 v49, s5, v45
	v_mul_lo_u32 v48, s2, v46
	s_delay_alu instid0(VALU_DEP_1) | instskip(SKIP_1) | instid1(VALU_DEP_2)
	v_add_nc_u32_e32 v47, v47, v48
	v_mul_lo_u32 v48, s2, v45
	v_add_nc_u32_e32 v47, v47, v49
	s_delay_alu instid0(VALU_DEP_2) | instskip(NEXT) | instid1(VALU_DEP_2)
	v_mul_hi_u32 v49, v45, v48
	v_mul_lo_u32 v50, v45, v47
	v_mul_hi_u32 v51, v45, v47
	v_mul_hi_u32 v53, v46, v48
	v_mul_lo_u32 v48, v46, v48
	v_mul_hi_u32 v54, v46, v47
	v_mul_lo_u32 v47, v46, v47
	v_add_co_u32 v49, vcc_lo, v49, v50
	v_add_co_ci_u32_e32 v50, vcc_lo, 0, v51, vcc_lo
	s_delay_alu instid0(VALU_DEP_2) | instskip(NEXT) | instid1(VALU_DEP_2)
	v_add_co_u32 v48, vcc_lo, v49, v48
	v_add_co_ci_u32_e32 v48, vcc_lo, v50, v53, vcc_lo
	v_add_co_ci_u32_e32 v49, vcc_lo, 0, v54, vcc_lo
	v_add_co_u32 v50, vcc_lo, v79, v52
	v_add_co_ci_u32_e32 v51, vcc_lo, v80, v52, vcc_lo
	s_delay_alu instid0(VALU_DEP_4) | instskip(NEXT) | instid1(VALU_DEP_4)
	v_add_co_u32 v47, vcc_lo, v48, v47
	v_add_co_ci_u32_e32 v48, vcc_lo, 0, v49, vcc_lo
	s_delay_alu instid0(VALU_DEP_4) | instskip(NEXT) | instid1(VALU_DEP_3)
	v_xor_b32_e32 v53, v50, v52
	v_add_co_u32 v49, vcc_lo, v45, v47
	s_delay_alu instid0(VALU_DEP_3) | instskip(SKIP_1) | instid1(VALU_DEP_3)
	v_add_co_ci_u32_e32 v54, vcc_lo, v46, v48, vcc_lo
	v_xor_b32_e32 v51, v51, v52
	v_mul_hi_u32 v55, v53, v49
	s_delay_alu instid0(VALU_DEP_3) | instskip(NEXT) | instid1(VALU_DEP_3)
	v_mad_u64_u32 v[45:46], null, v53, v54, 0
	v_mad_u64_u32 v[47:48], null, v51, v49, 0
	;; [unrolled: 1-line block ×3, first 2 shown]
	s_delay_alu instid0(VALU_DEP_3) | instskip(NEXT) | instid1(VALU_DEP_4)
	v_add_co_u32 v45, vcc_lo, v55, v45
	v_add_co_ci_u32_e32 v46, vcc_lo, 0, v46, vcc_lo
	s_delay_alu instid0(VALU_DEP_2) | instskip(NEXT) | instid1(VALU_DEP_2)
	v_add_co_u32 v45, vcc_lo, v45, v47
	v_add_co_ci_u32_e32 v45, vcc_lo, v46, v48, vcc_lo
	v_add_co_ci_u32_e32 v46, vcc_lo, 0, v50, vcc_lo
	s_delay_alu instid0(VALU_DEP_2) | instskip(NEXT) | instid1(VALU_DEP_2)
	v_add_co_u32 v47, vcc_lo, v45, v49
	v_add_co_ci_u32_e32 v48, vcc_lo, 0, v46, vcc_lo
	s_delay_alu instid0(VALU_DEP_2) | instskip(SKIP_1) | instid1(VALU_DEP_3)
	v_mul_lo_u32 v49, s7, v47
	v_mad_u64_u32 v[45:46], null, s6, v47, 0
	v_mul_lo_u32 v50, s6, v48
	s_delay_alu instid0(VALU_DEP_2) | instskip(NEXT) | instid1(VALU_DEP_2)
	v_sub_co_u32 v45, vcc_lo, v53, v45
	v_add3_u32 v46, v46, v50, v49
	s_delay_alu instid0(VALU_DEP_1) | instskip(NEXT) | instid1(VALU_DEP_1)
	v_sub_nc_u32_e32 v49, v51, v46
	v_subrev_co_ci_u32_e64 v49, s2, s7, v49, vcc_lo
	v_add_co_u32 v50, s2, v47, 2
	s_delay_alu instid0(VALU_DEP_1) | instskip(SKIP_3) | instid1(VALU_DEP_3)
	v_add_co_ci_u32_e64 v53, s2, 0, v48, s2
	v_sub_co_u32 v54, s2, v45, s6
	v_sub_co_ci_u32_e32 v46, vcc_lo, v51, v46, vcc_lo
	v_subrev_co_ci_u32_e64 v49, s2, 0, v49, s2
	v_cmp_le_u32_e32 vcc_lo, s6, v54
	s_delay_alu instid0(VALU_DEP_3) | instskip(SKIP_1) | instid1(VALU_DEP_4)
	v_cmp_eq_u32_e64 s2, s7, v46
	v_cndmask_b32_e64 v51, 0, -1, vcc_lo
	v_cmp_le_u32_e32 vcc_lo, s7, v49
	v_cndmask_b32_e64 v54, 0, -1, vcc_lo
	v_cmp_le_u32_e32 vcc_lo, s6, v45
	;; [unrolled: 2-line block ×3, first 2 shown]
	v_cndmask_b32_e64 v55, 0, -1, vcc_lo
	v_cmp_eq_u32_e32 vcc_lo, s7, v49
	s_delay_alu instid0(VALU_DEP_2) | instskip(SKIP_3) | instid1(VALU_DEP_3)
	v_cndmask_b32_e64 v45, v55, v45, s2
	v_cndmask_b32_e32 v49, v54, v51, vcc_lo
	v_add_co_u32 v51, vcc_lo, v47, 1
	v_add_co_ci_u32_e32 v54, vcc_lo, 0, v48, vcc_lo
	v_cmp_ne_u32_e32 vcc_lo, 0, v49
	s_delay_alu instid0(VALU_DEP_2) | instskip(SKIP_2) | instid1(VALU_DEP_3)
	v_dual_cndmask_b32 v46, v54, v53 :: v_dual_cndmask_b32 v49, v51, v50
	v_cmp_ne_u32_e32 vcc_lo, 0, v45
	v_xor_b32_e32 v50, s4, v52
	v_dual_cndmask_b32 v45, v48, v46 :: v_dual_cndmask_b32 v46, v47, v49
	s_delay_alu instid0(VALU_DEP_1) | instskip(NEXT) | instid1(VALU_DEP_2)
	v_xor_b32_e32 v47, v45, v50
	v_xor_b32_e32 v46, v46, v50
	s_delay_alu instid0(VALU_DEP_1) | instskip(NEXT) | instid1(VALU_DEP_3)
	v_sub_co_u32 v45, vcc_lo, v46, v50
	v_sub_co_ci_u32_e32 v46, vcc_lo, v47, v50, vcc_lo
.LBB1159_95:
	s_and_not1_saveexec_b32 s2, s3
	s_cbranch_execz .LBB1159_97
; %bb.96:
	v_cvt_f32_u32_e32 v45, s44
	s_sub_i32 s3, 0, s44
	s_delay_alu instid0(VALU_DEP_1) | instskip(SKIP_2) | instid1(VALU_DEP_1)
	v_rcp_iflag_f32_e32 v45, v45
	s_waitcnt_depctr 0xfff
	v_mul_f32_e32 v45, 0x4f7ffffe, v45
	v_cvt_u32_f32_e32 v45, v45
	s_delay_alu instid0(VALU_DEP_1) | instskip(NEXT) | instid1(VALU_DEP_1)
	v_mul_lo_u32 v46, s3, v45
	v_mul_hi_u32 v46, v45, v46
	s_delay_alu instid0(VALU_DEP_1) | instskip(NEXT) | instid1(VALU_DEP_1)
	v_add_nc_u32_e32 v45, v45, v46
	v_mul_hi_u32 v45, v79, v45
	s_delay_alu instid0(VALU_DEP_1) | instskip(SKIP_1) | instid1(VALU_DEP_2)
	v_mul_lo_u32 v46, v45, s44
	v_add_nc_u32_e32 v47, 1, v45
	v_sub_nc_u32_e32 v46, v79, v46
	s_delay_alu instid0(VALU_DEP_1) | instskip(SKIP_1) | instid1(VALU_DEP_2)
	v_subrev_nc_u32_e32 v48, s44, v46
	v_cmp_le_u32_e32 vcc_lo, s44, v46
	v_dual_cndmask_b32 v46, v46, v48 :: v_dual_cndmask_b32 v45, v45, v47
	s_delay_alu instid0(VALU_DEP_1) | instskip(NEXT) | instid1(VALU_DEP_2)
	v_cmp_le_u32_e32 vcc_lo, s44, v46
	v_dual_mov_b32 v46, 0 :: v_dual_add_nc_u32 v47, 1, v45
	s_delay_alu instid0(VALU_DEP_1)
	v_cndmask_b32_e32 v45, v45, v47, vcc_lo
.LBB1159_97:
	s_or_b32 exec_lo, exec_lo, s2
	v_add_co_u32 v81, vcc_lo, 0x900, v63
	v_add_co_ci_u32_e32 v82, vcc_lo, 0, v64, vcc_lo
	v_mov_b32_e32 v47, 0
	s_delay_alu instid0(VALU_DEP_2) | instskip(NEXT) | instid1(VALU_DEP_1)
	v_or_b32_e32 v48, s45, v82
	v_cmp_ne_u64_e32 vcc_lo, 0, v[47:48]
                                        ; implicit-def: $vgpr47_vgpr48
	s_and_saveexec_b32 s2, vcc_lo
	s_delay_alu instid0(SALU_CYCLE_1)
	s_xor_b32 s3, exec_lo, s2
	s_cbranch_execz .LBB1159_99
; %bb.98:
	s_ashr_i32 s4, s45, 31
	s_delay_alu instid0(SALU_CYCLE_1) | instskip(SKIP_2) | instid1(SALU_CYCLE_1)
	s_add_u32 s6, s44, s4
	s_mov_b32 s5, s4
	s_addc_u32 s7, s45, s4
	s_xor_b64 s[6:7], s[6:7], s[4:5]
	s_delay_alu instid0(SALU_CYCLE_1) | instskip(SKIP_3) | instid1(VALU_DEP_1)
	v_cvt_f32_u32_e32 v47, s6
	v_cvt_f32_u32_e32 v48, s7
	s_sub_u32 s2, 0, s6
	s_subb_u32 s5, 0, s7
	v_fmamk_f32 v47, v48, 0x4f800000, v47
	s_delay_alu instid0(VALU_DEP_1) | instskip(SKIP_2) | instid1(VALU_DEP_1)
	v_rcp_f32_e32 v47, v47
	s_waitcnt_depctr 0xfff
	v_mul_f32_e32 v47, 0x5f7ffffc, v47
	v_mul_f32_e32 v48, 0x2f800000, v47
	s_delay_alu instid0(VALU_DEP_1) | instskip(NEXT) | instid1(VALU_DEP_1)
	v_trunc_f32_e32 v48, v48
	v_fmamk_f32 v47, v48, 0xcf800000, v47
	v_cvt_u32_f32_e32 v48, v48
	s_delay_alu instid0(VALU_DEP_2) | instskip(NEXT) | instid1(VALU_DEP_2)
	v_cvt_u32_f32_e32 v47, v47
	v_mul_lo_u32 v49, s2, v48
	s_delay_alu instid0(VALU_DEP_2) | instskip(SKIP_1) | instid1(VALU_DEP_2)
	v_mul_hi_u32 v50, s2, v47
	v_mul_lo_u32 v51, s5, v47
	v_add_nc_u32_e32 v49, v50, v49
	v_mul_lo_u32 v50, s2, v47
	s_delay_alu instid0(VALU_DEP_2) | instskip(NEXT) | instid1(VALU_DEP_2)
	v_add_nc_u32_e32 v49, v49, v51
	v_mul_hi_u32 v51, v47, v50
	s_delay_alu instid0(VALU_DEP_2)
	v_mul_lo_u32 v52, v47, v49
	v_mul_hi_u32 v53, v47, v49
	v_mul_hi_u32 v54, v48, v50
	v_mul_lo_u32 v50, v48, v50
	v_mul_hi_u32 v55, v48, v49
	v_mul_lo_u32 v49, v48, v49
	v_add_co_u32 v51, vcc_lo, v51, v52
	v_add_co_ci_u32_e32 v52, vcc_lo, 0, v53, vcc_lo
	s_delay_alu instid0(VALU_DEP_2) | instskip(NEXT) | instid1(VALU_DEP_2)
	v_add_co_u32 v50, vcc_lo, v51, v50
	v_add_co_ci_u32_e32 v50, vcc_lo, v52, v54, vcc_lo
	v_add_co_ci_u32_e32 v51, vcc_lo, 0, v55, vcc_lo
	v_ashrrev_i32_e32 v54, 31, v82
	s_delay_alu instid0(VALU_DEP_3) | instskip(NEXT) | instid1(VALU_DEP_3)
	v_add_co_u32 v49, vcc_lo, v50, v49
	v_add_co_ci_u32_e32 v50, vcc_lo, 0, v51, vcc_lo
	s_delay_alu instid0(VALU_DEP_2) | instskip(NEXT) | instid1(VALU_DEP_2)
	v_add_co_u32 v47, vcc_lo, v47, v49
	v_add_co_ci_u32_e32 v48, vcc_lo, v48, v50, vcc_lo
	s_delay_alu instid0(VALU_DEP_2) | instskip(SKIP_1) | instid1(VALU_DEP_3)
	v_mul_hi_u32 v49, s2, v47
	v_mul_lo_u32 v51, s5, v47
	v_mul_lo_u32 v50, s2, v48
	s_delay_alu instid0(VALU_DEP_1) | instskip(SKIP_1) | instid1(VALU_DEP_2)
	v_add_nc_u32_e32 v49, v49, v50
	v_mul_lo_u32 v50, s2, v47
	v_add_nc_u32_e32 v49, v49, v51
	s_delay_alu instid0(VALU_DEP_2) | instskip(NEXT) | instid1(VALU_DEP_2)
	v_mul_hi_u32 v51, v47, v50
	v_mul_lo_u32 v52, v47, v49
	v_mul_hi_u32 v53, v47, v49
	v_mul_hi_u32 v55, v48, v50
	v_mul_lo_u32 v50, v48, v50
	v_mul_hi_u32 v56, v48, v49
	v_mul_lo_u32 v49, v48, v49
	v_add_co_u32 v51, vcc_lo, v51, v52
	v_add_co_ci_u32_e32 v52, vcc_lo, 0, v53, vcc_lo
	s_delay_alu instid0(VALU_DEP_2) | instskip(NEXT) | instid1(VALU_DEP_2)
	v_add_co_u32 v50, vcc_lo, v51, v50
	v_add_co_ci_u32_e32 v50, vcc_lo, v52, v55, vcc_lo
	v_add_co_ci_u32_e32 v51, vcc_lo, 0, v56, vcc_lo
	v_add_co_u32 v52, vcc_lo, v81, v54
	v_add_co_ci_u32_e32 v53, vcc_lo, v82, v54, vcc_lo
	s_delay_alu instid0(VALU_DEP_4) | instskip(NEXT) | instid1(VALU_DEP_4)
	v_add_co_u32 v49, vcc_lo, v50, v49
	v_add_co_ci_u32_e32 v50, vcc_lo, 0, v51, vcc_lo
	s_delay_alu instid0(VALU_DEP_4) | instskip(NEXT) | instid1(VALU_DEP_3)
	v_xor_b32_e32 v55, v52, v54
	v_add_co_u32 v51, vcc_lo, v47, v49
	s_delay_alu instid0(VALU_DEP_3) | instskip(SKIP_1) | instid1(VALU_DEP_3)
	v_add_co_ci_u32_e32 v56, vcc_lo, v48, v50, vcc_lo
	v_xor_b32_e32 v53, v53, v54
	v_mul_hi_u32 v59, v55, v51
	s_delay_alu instid0(VALU_DEP_3) | instskip(NEXT) | instid1(VALU_DEP_3)
	v_mad_u64_u32 v[47:48], null, v55, v56, 0
	v_mad_u64_u32 v[49:50], null, v53, v51, 0
	;; [unrolled: 1-line block ×3, first 2 shown]
	s_delay_alu instid0(VALU_DEP_3) | instskip(NEXT) | instid1(VALU_DEP_4)
	v_add_co_u32 v47, vcc_lo, v59, v47
	v_add_co_ci_u32_e32 v48, vcc_lo, 0, v48, vcc_lo
	s_delay_alu instid0(VALU_DEP_2) | instskip(NEXT) | instid1(VALU_DEP_2)
	v_add_co_u32 v47, vcc_lo, v47, v49
	v_add_co_ci_u32_e32 v47, vcc_lo, v48, v50, vcc_lo
	v_add_co_ci_u32_e32 v48, vcc_lo, 0, v52, vcc_lo
	s_delay_alu instid0(VALU_DEP_2) | instskip(NEXT) | instid1(VALU_DEP_2)
	v_add_co_u32 v49, vcc_lo, v47, v51
	v_add_co_ci_u32_e32 v50, vcc_lo, 0, v48, vcc_lo
	s_delay_alu instid0(VALU_DEP_2) | instskip(SKIP_1) | instid1(VALU_DEP_3)
	v_mul_lo_u32 v51, s7, v49
	v_mad_u64_u32 v[47:48], null, s6, v49, 0
	v_mul_lo_u32 v52, s6, v50
	s_delay_alu instid0(VALU_DEP_2) | instskip(NEXT) | instid1(VALU_DEP_2)
	v_sub_co_u32 v47, vcc_lo, v55, v47
	v_add3_u32 v48, v48, v52, v51
	s_delay_alu instid0(VALU_DEP_1) | instskip(NEXT) | instid1(VALU_DEP_1)
	v_sub_nc_u32_e32 v51, v53, v48
	v_subrev_co_ci_u32_e64 v51, s2, s7, v51, vcc_lo
	v_add_co_u32 v52, s2, v49, 2
	s_delay_alu instid0(VALU_DEP_1) | instskip(SKIP_3) | instid1(VALU_DEP_3)
	v_add_co_ci_u32_e64 v55, s2, 0, v50, s2
	v_sub_co_u32 v56, s2, v47, s6
	v_sub_co_ci_u32_e32 v48, vcc_lo, v53, v48, vcc_lo
	v_subrev_co_ci_u32_e64 v51, s2, 0, v51, s2
	v_cmp_le_u32_e32 vcc_lo, s6, v56
	s_delay_alu instid0(VALU_DEP_3) | instskip(SKIP_1) | instid1(VALU_DEP_4)
	v_cmp_eq_u32_e64 s2, s7, v48
	v_cndmask_b32_e64 v53, 0, -1, vcc_lo
	v_cmp_le_u32_e32 vcc_lo, s7, v51
	v_cndmask_b32_e64 v56, 0, -1, vcc_lo
	v_cmp_le_u32_e32 vcc_lo, s6, v47
	;; [unrolled: 2-line block ×3, first 2 shown]
	v_cndmask_b32_e64 v59, 0, -1, vcc_lo
	v_cmp_eq_u32_e32 vcc_lo, s7, v51
	s_delay_alu instid0(VALU_DEP_2) | instskip(SKIP_3) | instid1(VALU_DEP_3)
	v_cndmask_b32_e64 v47, v59, v47, s2
	v_cndmask_b32_e32 v51, v56, v53, vcc_lo
	v_add_co_u32 v53, vcc_lo, v49, 1
	v_add_co_ci_u32_e32 v56, vcc_lo, 0, v50, vcc_lo
	v_cmp_ne_u32_e32 vcc_lo, 0, v51
	s_delay_alu instid0(VALU_DEP_2) | instskip(SKIP_2) | instid1(VALU_DEP_3)
	v_dual_cndmask_b32 v48, v56, v55 :: v_dual_cndmask_b32 v51, v53, v52
	v_cmp_ne_u32_e32 vcc_lo, 0, v47
	v_xor_b32_e32 v52, s4, v54
	v_dual_cndmask_b32 v47, v50, v48 :: v_dual_cndmask_b32 v48, v49, v51
	s_delay_alu instid0(VALU_DEP_1) | instskip(NEXT) | instid1(VALU_DEP_2)
	v_xor_b32_e32 v49, v47, v52
	v_xor_b32_e32 v48, v48, v52
	s_delay_alu instid0(VALU_DEP_1) | instskip(NEXT) | instid1(VALU_DEP_3)
	v_sub_co_u32 v47, vcc_lo, v48, v52
	v_sub_co_ci_u32_e32 v48, vcc_lo, v49, v52, vcc_lo
.LBB1159_99:
	s_and_not1_saveexec_b32 s2, s3
	s_cbranch_execz .LBB1159_101
; %bb.100:
	v_cvt_f32_u32_e32 v47, s44
	s_sub_i32 s3, 0, s44
	s_delay_alu instid0(VALU_DEP_1) | instskip(SKIP_2) | instid1(VALU_DEP_1)
	v_rcp_iflag_f32_e32 v47, v47
	s_waitcnt_depctr 0xfff
	v_mul_f32_e32 v47, 0x4f7ffffe, v47
	v_cvt_u32_f32_e32 v47, v47
	s_delay_alu instid0(VALU_DEP_1) | instskip(NEXT) | instid1(VALU_DEP_1)
	v_mul_lo_u32 v48, s3, v47
	v_mul_hi_u32 v48, v47, v48
	s_delay_alu instid0(VALU_DEP_1) | instskip(NEXT) | instid1(VALU_DEP_1)
	v_add_nc_u32_e32 v47, v47, v48
	v_mul_hi_u32 v47, v81, v47
	s_delay_alu instid0(VALU_DEP_1) | instskip(SKIP_1) | instid1(VALU_DEP_2)
	v_mul_lo_u32 v48, v47, s44
	v_add_nc_u32_e32 v49, 1, v47
	v_sub_nc_u32_e32 v48, v81, v48
	s_delay_alu instid0(VALU_DEP_1) | instskip(SKIP_1) | instid1(VALU_DEP_2)
	v_subrev_nc_u32_e32 v50, s44, v48
	v_cmp_le_u32_e32 vcc_lo, s44, v48
	v_dual_cndmask_b32 v48, v48, v50 :: v_dual_cndmask_b32 v47, v47, v49
	s_delay_alu instid0(VALU_DEP_1) | instskip(NEXT) | instid1(VALU_DEP_2)
	v_cmp_le_u32_e32 vcc_lo, s44, v48
	v_dual_mov_b32 v48, 0 :: v_dual_add_nc_u32 v49, 1, v47
	s_delay_alu instid0(VALU_DEP_1)
	v_cndmask_b32_e32 v47, v47, v49, vcc_lo
.LBB1159_101:
	s_or_b32 exec_lo, exec_lo, s2
	v_add_co_u32 v83, vcc_lo, 0xa00, v63
	v_add_co_ci_u32_e32 v84, vcc_lo, 0, v64, vcc_lo
	v_mov_b32_e32 v49, 0
	s_delay_alu instid0(VALU_DEP_2) | instskip(NEXT) | instid1(VALU_DEP_1)
	v_or_b32_e32 v50, s45, v84
	v_cmp_ne_u64_e32 vcc_lo, 0, v[49:50]
                                        ; implicit-def: $vgpr49_vgpr50
	s_and_saveexec_b32 s2, vcc_lo
	s_delay_alu instid0(SALU_CYCLE_1)
	s_xor_b32 s3, exec_lo, s2
	s_cbranch_execz .LBB1159_103
; %bb.102:
	s_ashr_i32 s4, s45, 31
	s_delay_alu instid0(SALU_CYCLE_1) | instskip(SKIP_2) | instid1(SALU_CYCLE_1)
	s_add_u32 s6, s44, s4
	s_mov_b32 s5, s4
	s_addc_u32 s7, s45, s4
	s_xor_b64 s[6:7], s[6:7], s[4:5]
	s_delay_alu instid0(SALU_CYCLE_1) | instskip(SKIP_3) | instid1(VALU_DEP_1)
	v_cvt_f32_u32_e32 v49, s6
	v_cvt_f32_u32_e32 v50, s7
	s_sub_u32 s2, 0, s6
	s_subb_u32 s5, 0, s7
	v_fmamk_f32 v49, v50, 0x4f800000, v49
	s_delay_alu instid0(VALU_DEP_1) | instskip(SKIP_2) | instid1(VALU_DEP_1)
	v_rcp_f32_e32 v49, v49
	s_waitcnt_depctr 0xfff
	v_mul_f32_e32 v49, 0x5f7ffffc, v49
	v_mul_f32_e32 v50, 0x2f800000, v49
	s_delay_alu instid0(VALU_DEP_1) | instskip(NEXT) | instid1(VALU_DEP_1)
	v_trunc_f32_e32 v50, v50
	v_fmamk_f32 v49, v50, 0xcf800000, v49
	v_cvt_u32_f32_e32 v50, v50
	s_delay_alu instid0(VALU_DEP_2) | instskip(NEXT) | instid1(VALU_DEP_2)
	v_cvt_u32_f32_e32 v49, v49
	v_mul_lo_u32 v51, s2, v50
	s_delay_alu instid0(VALU_DEP_2) | instskip(SKIP_1) | instid1(VALU_DEP_2)
	v_mul_hi_u32 v52, s2, v49
	v_mul_lo_u32 v53, s5, v49
	v_add_nc_u32_e32 v51, v52, v51
	v_mul_lo_u32 v52, s2, v49
	s_delay_alu instid0(VALU_DEP_2) | instskip(NEXT) | instid1(VALU_DEP_2)
	v_add_nc_u32_e32 v51, v51, v53
	v_mul_hi_u32 v53, v49, v52
	s_delay_alu instid0(VALU_DEP_2)
	v_mul_lo_u32 v54, v49, v51
	v_mul_hi_u32 v55, v49, v51
	v_mul_hi_u32 v56, v50, v52
	v_mul_lo_u32 v52, v50, v52
	v_mul_hi_u32 v59, v50, v51
	v_mul_lo_u32 v51, v50, v51
	v_add_co_u32 v53, vcc_lo, v53, v54
	v_add_co_ci_u32_e32 v54, vcc_lo, 0, v55, vcc_lo
	s_delay_alu instid0(VALU_DEP_2) | instskip(NEXT) | instid1(VALU_DEP_2)
	v_add_co_u32 v52, vcc_lo, v53, v52
	v_add_co_ci_u32_e32 v52, vcc_lo, v54, v56, vcc_lo
	v_add_co_ci_u32_e32 v53, vcc_lo, 0, v59, vcc_lo
	v_ashrrev_i32_e32 v56, 31, v84
	s_delay_alu instid0(VALU_DEP_3) | instskip(NEXT) | instid1(VALU_DEP_3)
	v_add_co_u32 v51, vcc_lo, v52, v51
	v_add_co_ci_u32_e32 v52, vcc_lo, 0, v53, vcc_lo
	s_delay_alu instid0(VALU_DEP_2) | instskip(NEXT) | instid1(VALU_DEP_2)
	v_add_co_u32 v49, vcc_lo, v49, v51
	v_add_co_ci_u32_e32 v50, vcc_lo, v50, v52, vcc_lo
	s_delay_alu instid0(VALU_DEP_2) | instskip(SKIP_1) | instid1(VALU_DEP_3)
	v_mul_hi_u32 v51, s2, v49
	v_mul_lo_u32 v53, s5, v49
	v_mul_lo_u32 v52, s2, v50
	s_delay_alu instid0(VALU_DEP_1) | instskip(SKIP_1) | instid1(VALU_DEP_2)
	v_add_nc_u32_e32 v51, v51, v52
	v_mul_lo_u32 v52, s2, v49
	v_add_nc_u32_e32 v51, v51, v53
	s_delay_alu instid0(VALU_DEP_2) | instskip(NEXT) | instid1(VALU_DEP_2)
	v_mul_hi_u32 v53, v49, v52
	v_mul_lo_u32 v54, v49, v51
	v_mul_hi_u32 v55, v49, v51
	v_mul_hi_u32 v59, v50, v52
	v_mul_lo_u32 v52, v50, v52
	v_mul_hi_u32 v60, v50, v51
	v_mul_lo_u32 v51, v50, v51
	v_add_co_u32 v53, vcc_lo, v53, v54
	v_add_co_ci_u32_e32 v54, vcc_lo, 0, v55, vcc_lo
	s_delay_alu instid0(VALU_DEP_2) | instskip(NEXT) | instid1(VALU_DEP_2)
	v_add_co_u32 v52, vcc_lo, v53, v52
	v_add_co_ci_u32_e32 v52, vcc_lo, v54, v59, vcc_lo
	v_add_co_ci_u32_e32 v53, vcc_lo, 0, v60, vcc_lo
	v_add_co_u32 v54, vcc_lo, v83, v56
	v_add_co_ci_u32_e32 v55, vcc_lo, v84, v56, vcc_lo
	s_delay_alu instid0(VALU_DEP_4) | instskip(NEXT) | instid1(VALU_DEP_4)
	v_add_co_u32 v51, vcc_lo, v52, v51
	v_add_co_ci_u32_e32 v52, vcc_lo, 0, v53, vcc_lo
	s_delay_alu instid0(VALU_DEP_4) | instskip(NEXT) | instid1(VALU_DEP_3)
	v_xor_b32_e32 v59, v54, v56
	v_add_co_u32 v53, vcc_lo, v49, v51
	s_delay_alu instid0(VALU_DEP_3) | instskip(SKIP_1) | instid1(VALU_DEP_3)
	v_add_co_ci_u32_e32 v60, vcc_lo, v50, v52, vcc_lo
	v_xor_b32_e32 v55, v55, v56
	v_mul_hi_u32 v85, v59, v53
	s_delay_alu instid0(VALU_DEP_3) | instskip(NEXT) | instid1(VALU_DEP_3)
	v_mad_u64_u32 v[49:50], null, v59, v60, 0
	v_mad_u64_u32 v[51:52], null, v55, v53, 0
	;; [unrolled: 1-line block ×3, first 2 shown]
	s_delay_alu instid0(VALU_DEP_3) | instskip(NEXT) | instid1(VALU_DEP_4)
	v_add_co_u32 v49, vcc_lo, v85, v49
	v_add_co_ci_u32_e32 v50, vcc_lo, 0, v50, vcc_lo
	s_delay_alu instid0(VALU_DEP_2) | instskip(NEXT) | instid1(VALU_DEP_2)
	v_add_co_u32 v49, vcc_lo, v49, v51
	v_add_co_ci_u32_e32 v49, vcc_lo, v50, v52, vcc_lo
	v_add_co_ci_u32_e32 v50, vcc_lo, 0, v54, vcc_lo
	s_delay_alu instid0(VALU_DEP_2) | instskip(NEXT) | instid1(VALU_DEP_2)
	v_add_co_u32 v51, vcc_lo, v49, v53
	v_add_co_ci_u32_e32 v52, vcc_lo, 0, v50, vcc_lo
	s_delay_alu instid0(VALU_DEP_2) | instskip(SKIP_1) | instid1(VALU_DEP_3)
	v_mul_lo_u32 v53, s7, v51
	v_mad_u64_u32 v[49:50], null, s6, v51, 0
	v_mul_lo_u32 v54, s6, v52
	s_delay_alu instid0(VALU_DEP_2) | instskip(NEXT) | instid1(VALU_DEP_2)
	v_sub_co_u32 v49, vcc_lo, v59, v49
	v_add3_u32 v50, v50, v54, v53
	s_delay_alu instid0(VALU_DEP_1) | instskip(NEXT) | instid1(VALU_DEP_1)
	v_sub_nc_u32_e32 v53, v55, v50
	v_subrev_co_ci_u32_e64 v53, s2, s7, v53, vcc_lo
	v_add_co_u32 v54, s2, v51, 2
	s_delay_alu instid0(VALU_DEP_1) | instskip(SKIP_3) | instid1(VALU_DEP_3)
	v_add_co_ci_u32_e64 v59, s2, 0, v52, s2
	v_sub_co_u32 v60, s2, v49, s6
	v_sub_co_ci_u32_e32 v50, vcc_lo, v55, v50, vcc_lo
	v_subrev_co_ci_u32_e64 v53, s2, 0, v53, s2
	v_cmp_le_u32_e32 vcc_lo, s6, v60
	s_delay_alu instid0(VALU_DEP_3) | instskip(SKIP_1) | instid1(VALU_DEP_4)
	v_cmp_eq_u32_e64 s2, s7, v50
	v_cndmask_b32_e64 v55, 0, -1, vcc_lo
	v_cmp_le_u32_e32 vcc_lo, s7, v53
	v_cndmask_b32_e64 v60, 0, -1, vcc_lo
	v_cmp_le_u32_e32 vcc_lo, s6, v49
	;; [unrolled: 2-line block ×3, first 2 shown]
	v_cndmask_b32_e64 v85, 0, -1, vcc_lo
	v_cmp_eq_u32_e32 vcc_lo, s7, v53
	s_delay_alu instid0(VALU_DEP_2) | instskip(SKIP_3) | instid1(VALU_DEP_3)
	v_cndmask_b32_e64 v49, v85, v49, s2
	v_cndmask_b32_e32 v53, v60, v55, vcc_lo
	v_add_co_u32 v55, vcc_lo, v51, 1
	v_add_co_ci_u32_e32 v60, vcc_lo, 0, v52, vcc_lo
	v_cmp_ne_u32_e32 vcc_lo, 0, v53
	s_delay_alu instid0(VALU_DEP_2) | instskip(SKIP_2) | instid1(VALU_DEP_3)
	v_dual_cndmask_b32 v50, v60, v59 :: v_dual_cndmask_b32 v53, v55, v54
	v_cmp_ne_u32_e32 vcc_lo, 0, v49
	v_xor_b32_e32 v54, s4, v56
	v_dual_cndmask_b32 v49, v52, v50 :: v_dual_cndmask_b32 v50, v51, v53
	s_delay_alu instid0(VALU_DEP_1) | instskip(NEXT) | instid1(VALU_DEP_2)
	v_xor_b32_e32 v51, v49, v54
	v_xor_b32_e32 v50, v50, v54
	s_delay_alu instid0(VALU_DEP_1) | instskip(NEXT) | instid1(VALU_DEP_3)
	v_sub_co_u32 v49, vcc_lo, v50, v54
	v_sub_co_ci_u32_e32 v50, vcc_lo, v51, v54, vcc_lo
.LBB1159_103:
	s_and_not1_saveexec_b32 s2, s3
	s_cbranch_execz .LBB1159_105
; %bb.104:
	v_cvt_f32_u32_e32 v49, s44
	s_sub_i32 s3, 0, s44
	s_delay_alu instid0(VALU_DEP_1) | instskip(SKIP_2) | instid1(VALU_DEP_1)
	v_rcp_iflag_f32_e32 v49, v49
	s_waitcnt_depctr 0xfff
	v_mul_f32_e32 v49, 0x4f7ffffe, v49
	v_cvt_u32_f32_e32 v49, v49
	s_delay_alu instid0(VALU_DEP_1) | instskip(NEXT) | instid1(VALU_DEP_1)
	v_mul_lo_u32 v50, s3, v49
	v_mul_hi_u32 v50, v49, v50
	s_delay_alu instid0(VALU_DEP_1) | instskip(NEXT) | instid1(VALU_DEP_1)
	v_add_nc_u32_e32 v49, v49, v50
	v_mul_hi_u32 v49, v83, v49
	s_delay_alu instid0(VALU_DEP_1) | instskip(SKIP_1) | instid1(VALU_DEP_2)
	v_mul_lo_u32 v50, v49, s44
	v_add_nc_u32_e32 v51, 1, v49
	v_sub_nc_u32_e32 v50, v83, v50
	s_delay_alu instid0(VALU_DEP_1) | instskip(SKIP_1) | instid1(VALU_DEP_2)
	v_subrev_nc_u32_e32 v52, s44, v50
	v_cmp_le_u32_e32 vcc_lo, s44, v50
	v_dual_cndmask_b32 v50, v50, v52 :: v_dual_cndmask_b32 v49, v49, v51
	s_delay_alu instid0(VALU_DEP_1) | instskip(NEXT) | instid1(VALU_DEP_2)
	v_cmp_le_u32_e32 vcc_lo, s44, v50
	v_dual_mov_b32 v50, 0 :: v_dual_add_nc_u32 v51, 1, v49
	s_delay_alu instid0(VALU_DEP_1)
	v_cndmask_b32_e32 v49, v49, v51, vcc_lo
.LBB1159_105:
	s_or_b32 exec_lo, exec_lo, s2
	v_add_co_u32 v85, vcc_lo, 0xb00, v63
	v_add_co_ci_u32_e32 v86, vcc_lo, 0, v64, vcc_lo
	v_mov_b32_e32 v51, 0
	s_delay_alu instid0(VALU_DEP_2) | instskip(NEXT) | instid1(VALU_DEP_1)
	v_or_b32_e32 v52, s45, v86
	v_cmp_ne_u64_e32 vcc_lo, 0, v[51:52]
                                        ; implicit-def: $vgpr51_vgpr52
	s_and_saveexec_b32 s2, vcc_lo
	s_delay_alu instid0(SALU_CYCLE_1)
	s_xor_b32 s3, exec_lo, s2
	s_cbranch_execz .LBB1159_107
; %bb.106:
	s_ashr_i32 s4, s45, 31
	s_delay_alu instid0(SALU_CYCLE_1) | instskip(SKIP_2) | instid1(SALU_CYCLE_1)
	s_add_u32 s6, s44, s4
	s_mov_b32 s5, s4
	s_addc_u32 s7, s45, s4
	s_xor_b64 s[6:7], s[6:7], s[4:5]
	s_delay_alu instid0(SALU_CYCLE_1) | instskip(SKIP_3) | instid1(VALU_DEP_1)
	v_cvt_f32_u32_e32 v51, s6
	v_cvt_f32_u32_e32 v52, s7
	s_sub_u32 s2, 0, s6
	s_subb_u32 s5, 0, s7
	v_fmamk_f32 v51, v52, 0x4f800000, v51
	s_delay_alu instid0(VALU_DEP_1) | instskip(SKIP_2) | instid1(VALU_DEP_1)
	v_rcp_f32_e32 v51, v51
	s_waitcnt_depctr 0xfff
	v_mul_f32_e32 v51, 0x5f7ffffc, v51
	v_mul_f32_e32 v52, 0x2f800000, v51
	s_delay_alu instid0(VALU_DEP_1) | instskip(NEXT) | instid1(VALU_DEP_1)
	v_trunc_f32_e32 v52, v52
	v_fmamk_f32 v51, v52, 0xcf800000, v51
	v_cvt_u32_f32_e32 v52, v52
	s_delay_alu instid0(VALU_DEP_2) | instskip(NEXT) | instid1(VALU_DEP_2)
	v_cvt_u32_f32_e32 v51, v51
	v_mul_lo_u32 v53, s2, v52
	s_delay_alu instid0(VALU_DEP_2) | instskip(SKIP_1) | instid1(VALU_DEP_2)
	v_mul_hi_u32 v54, s2, v51
	v_mul_lo_u32 v55, s5, v51
	v_add_nc_u32_e32 v53, v54, v53
	v_mul_lo_u32 v54, s2, v51
	s_delay_alu instid0(VALU_DEP_2) | instskip(NEXT) | instid1(VALU_DEP_2)
	v_add_nc_u32_e32 v53, v53, v55
	v_mul_hi_u32 v55, v51, v54
	s_delay_alu instid0(VALU_DEP_2)
	v_mul_lo_u32 v56, v51, v53
	v_mul_hi_u32 v59, v51, v53
	v_mul_hi_u32 v60, v52, v54
	v_mul_lo_u32 v54, v52, v54
	v_mul_hi_u32 v87, v52, v53
	v_mul_lo_u32 v53, v52, v53
	v_add_co_u32 v55, vcc_lo, v55, v56
	v_add_co_ci_u32_e32 v56, vcc_lo, 0, v59, vcc_lo
	s_delay_alu instid0(VALU_DEP_2) | instskip(NEXT) | instid1(VALU_DEP_2)
	v_add_co_u32 v54, vcc_lo, v55, v54
	v_add_co_ci_u32_e32 v54, vcc_lo, v56, v60, vcc_lo
	v_add_co_ci_u32_e32 v55, vcc_lo, 0, v87, vcc_lo
	v_ashrrev_i32_e32 v60, 31, v86
	s_delay_alu instid0(VALU_DEP_3) | instskip(NEXT) | instid1(VALU_DEP_3)
	v_add_co_u32 v53, vcc_lo, v54, v53
	v_add_co_ci_u32_e32 v54, vcc_lo, 0, v55, vcc_lo
	s_delay_alu instid0(VALU_DEP_2) | instskip(NEXT) | instid1(VALU_DEP_2)
	v_add_co_u32 v51, vcc_lo, v51, v53
	v_add_co_ci_u32_e32 v52, vcc_lo, v52, v54, vcc_lo
	s_delay_alu instid0(VALU_DEP_2) | instskip(SKIP_1) | instid1(VALU_DEP_3)
	v_mul_hi_u32 v53, s2, v51
	v_mul_lo_u32 v55, s5, v51
	v_mul_lo_u32 v54, s2, v52
	s_delay_alu instid0(VALU_DEP_1) | instskip(SKIP_1) | instid1(VALU_DEP_2)
	v_add_nc_u32_e32 v53, v53, v54
	v_mul_lo_u32 v54, s2, v51
	v_add_nc_u32_e32 v53, v53, v55
	s_delay_alu instid0(VALU_DEP_2) | instskip(NEXT) | instid1(VALU_DEP_2)
	v_mul_hi_u32 v55, v51, v54
	v_mul_lo_u32 v56, v51, v53
	v_mul_hi_u32 v59, v51, v53
	v_mul_hi_u32 v87, v52, v54
	v_mul_lo_u32 v54, v52, v54
	v_mul_hi_u32 v88, v52, v53
	v_mul_lo_u32 v53, v52, v53
	v_add_co_u32 v55, vcc_lo, v55, v56
	v_add_co_ci_u32_e32 v56, vcc_lo, 0, v59, vcc_lo
	s_delay_alu instid0(VALU_DEP_2) | instskip(NEXT) | instid1(VALU_DEP_2)
	v_add_co_u32 v54, vcc_lo, v55, v54
	v_add_co_ci_u32_e32 v54, vcc_lo, v56, v87, vcc_lo
	v_add_co_ci_u32_e32 v55, vcc_lo, 0, v88, vcc_lo
	v_add_co_u32 v56, vcc_lo, v85, v60
	v_add_co_ci_u32_e32 v59, vcc_lo, v86, v60, vcc_lo
	s_delay_alu instid0(VALU_DEP_4) | instskip(NEXT) | instid1(VALU_DEP_4)
	v_add_co_u32 v53, vcc_lo, v54, v53
	v_add_co_ci_u32_e32 v54, vcc_lo, 0, v55, vcc_lo
	s_delay_alu instid0(VALU_DEP_4) | instskip(NEXT) | instid1(VALU_DEP_3)
	v_xor_b32_e32 v87, v56, v60
	v_add_co_u32 v55, vcc_lo, v51, v53
	s_delay_alu instid0(VALU_DEP_3) | instskip(SKIP_1) | instid1(VALU_DEP_3)
	v_add_co_ci_u32_e32 v88, vcc_lo, v52, v54, vcc_lo
	v_xor_b32_e32 v59, v59, v60
	v_mul_hi_u32 v89, v87, v55
	s_delay_alu instid0(VALU_DEP_3) | instskip(NEXT) | instid1(VALU_DEP_3)
	v_mad_u64_u32 v[51:52], null, v87, v88, 0
	v_mad_u64_u32 v[53:54], null, v59, v55, 0
	v_mad_u64_u32 v[55:56], null, v59, v88, 0
	s_delay_alu instid0(VALU_DEP_3) | instskip(NEXT) | instid1(VALU_DEP_4)
	v_add_co_u32 v51, vcc_lo, v89, v51
	v_add_co_ci_u32_e32 v52, vcc_lo, 0, v52, vcc_lo
	s_delay_alu instid0(VALU_DEP_2) | instskip(NEXT) | instid1(VALU_DEP_2)
	v_add_co_u32 v51, vcc_lo, v51, v53
	v_add_co_ci_u32_e32 v51, vcc_lo, v52, v54, vcc_lo
	v_add_co_ci_u32_e32 v52, vcc_lo, 0, v56, vcc_lo
	s_delay_alu instid0(VALU_DEP_2) | instskip(NEXT) | instid1(VALU_DEP_2)
	v_add_co_u32 v53, vcc_lo, v51, v55
	v_add_co_ci_u32_e32 v54, vcc_lo, 0, v52, vcc_lo
	s_delay_alu instid0(VALU_DEP_2) | instskip(SKIP_1) | instid1(VALU_DEP_3)
	v_mul_lo_u32 v55, s7, v53
	v_mad_u64_u32 v[51:52], null, s6, v53, 0
	v_mul_lo_u32 v56, s6, v54
	s_delay_alu instid0(VALU_DEP_2) | instskip(NEXT) | instid1(VALU_DEP_2)
	v_sub_co_u32 v51, vcc_lo, v87, v51
	v_add3_u32 v52, v52, v56, v55
	s_delay_alu instid0(VALU_DEP_1) | instskip(NEXT) | instid1(VALU_DEP_1)
	v_sub_nc_u32_e32 v55, v59, v52
	v_subrev_co_ci_u32_e64 v55, s2, s7, v55, vcc_lo
	v_add_co_u32 v56, s2, v53, 2
	s_delay_alu instid0(VALU_DEP_1) | instskip(SKIP_3) | instid1(VALU_DEP_3)
	v_add_co_ci_u32_e64 v87, s2, 0, v54, s2
	v_sub_co_u32 v88, s2, v51, s6
	v_sub_co_ci_u32_e32 v52, vcc_lo, v59, v52, vcc_lo
	v_subrev_co_ci_u32_e64 v55, s2, 0, v55, s2
	v_cmp_le_u32_e32 vcc_lo, s6, v88
	s_delay_alu instid0(VALU_DEP_3) | instskip(SKIP_1) | instid1(VALU_DEP_4)
	v_cmp_eq_u32_e64 s2, s7, v52
	v_cndmask_b32_e64 v59, 0, -1, vcc_lo
	v_cmp_le_u32_e32 vcc_lo, s7, v55
	v_cndmask_b32_e64 v88, 0, -1, vcc_lo
	v_cmp_le_u32_e32 vcc_lo, s6, v51
	;; [unrolled: 2-line block ×3, first 2 shown]
	v_cndmask_b32_e64 v89, 0, -1, vcc_lo
	v_cmp_eq_u32_e32 vcc_lo, s7, v55
	s_delay_alu instid0(VALU_DEP_2) | instskip(SKIP_3) | instid1(VALU_DEP_3)
	v_cndmask_b32_e64 v51, v89, v51, s2
	v_cndmask_b32_e32 v55, v88, v59, vcc_lo
	v_add_co_u32 v59, vcc_lo, v53, 1
	v_add_co_ci_u32_e32 v88, vcc_lo, 0, v54, vcc_lo
	v_cmp_ne_u32_e32 vcc_lo, 0, v55
	s_delay_alu instid0(VALU_DEP_2) | instskip(SKIP_2) | instid1(VALU_DEP_3)
	v_dual_cndmask_b32 v52, v88, v87 :: v_dual_cndmask_b32 v55, v59, v56
	v_cmp_ne_u32_e32 vcc_lo, 0, v51
	v_xor_b32_e32 v56, s4, v60
	v_dual_cndmask_b32 v51, v54, v52 :: v_dual_cndmask_b32 v52, v53, v55
	s_delay_alu instid0(VALU_DEP_1) | instskip(NEXT) | instid1(VALU_DEP_2)
	v_xor_b32_e32 v53, v51, v56
	v_xor_b32_e32 v52, v52, v56
	s_delay_alu instid0(VALU_DEP_1) | instskip(NEXT) | instid1(VALU_DEP_3)
	v_sub_co_u32 v51, vcc_lo, v52, v56
	v_sub_co_ci_u32_e32 v52, vcc_lo, v53, v56, vcc_lo
.LBB1159_107:
	s_and_not1_saveexec_b32 s2, s3
	s_cbranch_execz .LBB1159_109
; %bb.108:
	v_cvt_f32_u32_e32 v51, s44
	s_sub_i32 s3, 0, s44
	s_delay_alu instid0(VALU_DEP_1) | instskip(SKIP_2) | instid1(VALU_DEP_1)
	v_rcp_iflag_f32_e32 v51, v51
	s_waitcnt_depctr 0xfff
	v_mul_f32_e32 v51, 0x4f7ffffe, v51
	v_cvt_u32_f32_e32 v51, v51
	s_delay_alu instid0(VALU_DEP_1) | instskip(NEXT) | instid1(VALU_DEP_1)
	v_mul_lo_u32 v52, s3, v51
	v_mul_hi_u32 v52, v51, v52
	s_delay_alu instid0(VALU_DEP_1) | instskip(NEXT) | instid1(VALU_DEP_1)
	v_add_nc_u32_e32 v51, v51, v52
	v_mul_hi_u32 v51, v85, v51
	s_delay_alu instid0(VALU_DEP_1) | instskip(SKIP_1) | instid1(VALU_DEP_2)
	v_mul_lo_u32 v52, v51, s44
	v_add_nc_u32_e32 v53, 1, v51
	v_sub_nc_u32_e32 v52, v85, v52
	s_delay_alu instid0(VALU_DEP_1) | instskip(SKIP_1) | instid1(VALU_DEP_2)
	v_subrev_nc_u32_e32 v54, s44, v52
	v_cmp_le_u32_e32 vcc_lo, s44, v52
	v_dual_cndmask_b32 v52, v52, v54 :: v_dual_cndmask_b32 v51, v51, v53
	s_delay_alu instid0(VALU_DEP_1) | instskip(NEXT) | instid1(VALU_DEP_2)
	v_cmp_le_u32_e32 vcc_lo, s44, v52
	v_dual_mov_b32 v52, 0 :: v_dual_add_nc_u32 v53, 1, v51
	s_delay_alu instid0(VALU_DEP_1)
	v_cndmask_b32_e32 v51, v51, v53, vcc_lo
.LBB1159_109:
	s_or_b32 exec_lo, exec_lo, s2
	v_add_co_u32 v87, vcc_lo, 0xc00, v63
	v_add_co_ci_u32_e32 v88, vcc_lo, 0, v64, vcc_lo
	v_mov_b32_e32 v53, 0
	s_delay_alu instid0(VALU_DEP_2) | instskip(NEXT) | instid1(VALU_DEP_1)
	v_or_b32_e32 v54, s45, v88
	v_cmp_ne_u64_e32 vcc_lo, 0, v[53:54]
                                        ; implicit-def: $vgpr53_vgpr54
	s_and_saveexec_b32 s2, vcc_lo
	s_delay_alu instid0(SALU_CYCLE_1)
	s_xor_b32 s3, exec_lo, s2
	s_cbranch_execz .LBB1159_111
; %bb.110:
	s_ashr_i32 s4, s45, 31
	s_delay_alu instid0(SALU_CYCLE_1) | instskip(SKIP_2) | instid1(SALU_CYCLE_1)
	s_add_u32 s6, s44, s4
	s_mov_b32 s5, s4
	s_addc_u32 s7, s45, s4
	s_xor_b64 s[6:7], s[6:7], s[4:5]
	s_delay_alu instid0(SALU_CYCLE_1) | instskip(SKIP_3) | instid1(VALU_DEP_1)
	v_cvt_f32_u32_e32 v53, s6
	v_cvt_f32_u32_e32 v54, s7
	s_sub_u32 s2, 0, s6
	s_subb_u32 s5, 0, s7
	v_fmamk_f32 v53, v54, 0x4f800000, v53
	s_delay_alu instid0(VALU_DEP_1) | instskip(SKIP_2) | instid1(VALU_DEP_1)
	v_rcp_f32_e32 v53, v53
	s_waitcnt_depctr 0xfff
	v_mul_f32_e32 v53, 0x5f7ffffc, v53
	v_mul_f32_e32 v54, 0x2f800000, v53
	s_delay_alu instid0(VALU_DEP_1) | instskip(NEXT) | instid1(VALU_DEP_1)
	v_trunc_f32_e32 v54, v54
	v_fmamk_f32 v53, v54, 0xcf800000, v53
	v_cvt_u32_f32_e32 v54, v54
	s_delay_alu instid0(VALU_DEP_2) | instskip(NEXT) | instid1(VALU_DEP_2)
	v_cvt_u32_f32_e32 v53, v53
	v_mul_lo_u32 v55, s2, v54
	s_delay_alu instid0(VALU_DEP_2) | instskip(SKIP_1) | instid1(VALU_DEP_2)
	v_mul_hi_u32 v56, s2, v53
	v_mul_lo_u32 v59, s5, v53
	v_add_nc_u32_e32 v55, v56, v55
	v_mul_lo_u32 v56, s2, v53
	s_delay_alu instid0(VALU_DEP_2) | instskip(NEXT) | instid1(VALU_DEP_2)
	v_add_nc_u32_e32 v55, v55, v59
	v_mul_hi_u32 v59, v53, v56
	s_delay_alu instid0(VALU_DEP_2)
	v_mul_lo_u32 v60, v53, v55
	v_mul_hi_u32 v89, v53, v55
	v_mul_hi_u32 v90, v54, v56
	v_mul_lo_u32 v56, v54, v56
	v_mul_hi_u32 v91, v54, v55
	v_mul_lo_u32 v55, v54, v55
	v_add_co_u32 v59, vcc_lo, v59, v60
	v_add_co_ci_u32_e32 v60, vcc_lo, 0, v89, vcc_lo
	s_delay_alu instid0(VALU_DEP_2) | instskip(NEXT) | instid1(VALU_DEP_2)
	v_add_co_u32 v56, vcc_lo, v59, v56
	v_add_co_ci_u32_e32 v56, vcc_lo, v60, v90, vcc_lo
	v_add_co_ci_u32_e32 v59, vcc_lo, 0, v91, vcc_lo
	v_ashrrev_i32_e32 v90, 31, v88
	s_delay_alu instid0(VALU_DEP_3) | instskip(NEXT) | instid1(VALU_DEP_3)
	v_add_co_u32 v55, vcc_lo, v56, v55
	v_add_co_ci_u32_e32 v56, vcc_lo, 0, v59, vcc_lo
	s_delay_alu instid0(VALU_DEP_2) | instskip(NEXT) | instid1(VALU_DEP_2)
	v_add_co_u32 v53, vcc_lo, v53, v55
	v_add_co_ci_u32_e32 v54, vcc_lo, v54, v56, vcc_lo
	s_delay_alu instid0(VALU_DEP_2) | instskip(SKIP_1) | instid1(VALU_DEP_3)
	v_mul_hi_u32 v55, s2, v53
	v_mul_lo_u32 v59, s5, v53
	v_mul_lo_u32 v56, s2, v54
	s_delay_alu instid0(VALU_DEP_1) | instskip(SKIP_1) | instid1(VALU_DEP_2)
	v_add_nc_u32_e32 v55, v55, v56
	v_mul_lo_u32 v56, s2, v53
	v_add_nc_u32_e32 v55, v55, v59
	s_delay_alu instid0(VALU_DEP_2) | instskip(NEXT) | instid1(VALU_DEP_2)
	v_mul_hi_u32 v59, v53, v56
	v_mul_lo_u32 v60, v53, v55
	v_mul_hi_u32 v89, v53, v55
	v_mul_hi_u32 v91, v54, v56
	v_mul_lo_u32 v56, v54, v56
	v_mul_hi_u32 v92, v54, v55
	v_mul_lo_u32 v55, v54, v55
	v_add_co_u32 v59, vcc_lo, v59, v60
	v_add_co_ci_u32_e32 v60, vcc_lo, 0, v89, vcc_lo
	s_delay_alu instid0(VALU_DEP_2) | instskip(NEXT) | instid1(VALU_DEP_2)
	v_add_co_u32 v56, vcc_lo, v59, v56
	v_add_co_ci_u32_e32 v56, vcc_lo, v60, v91, vcc_lo
	v_add_co_ci_u32_e32 v59, vcc_lo, 0, v92, vcc_lo
	v_add_co_u32 v60, vcc_lo, v87, v90
	v_add_co_ci_u32_e32 v89, vcc_lo, v88, v90, vcc_lo
	s_delay_alu instid0(VALU_DEP_4) | instskip(NEXT) | instid1(VALU_DEP_4)
	v_add_co_u32 v55, vcc_lo, v56, v55
	v_add_co_ci_u32_e32 v56, vcc_lo, 0, v59, vcc_lo
	s_delay_alu instid0(VALU_DEP_4) | instskip(NEXT) | instid1(VALU_DEP_3)
	v_xor_b32_e32 v91, v60, v90
	v_add_co_u32 v59, vcc_lo, v53, v55
	s_delay_alu instid0(VALU_DEP_3) | instskip(SKIP_1) | instid1(VALU_DEP_3)
	v_add_co_ci_u32_e32 v92, vcc_lo, v54, v56, vcc_lo
	v_xor_b32_e32 v89, v89, v90
	v_mul_hi_u32 v93, v91, v59
	s_delay_alu instid0(VALU_DEP_3) | instskip(NEXT) | instid1(VALU_DEP_3)
	v_mad_u64_u32 v[53:54], null, v91, v92, 0
	v_mad_u64_u32 v[55:56], null, v89, v59, 0
	;; [unrolled: 1-line block ×3, first 2 shown]
	s_delay_alu instid0(VALU_DEP_3) | instskip(NEXT) | instid1(VALU_DEP_4)
	v_add_co_u32 v53, vcc_lo, v93, v53
	v_add_co_ci_u32_e32 v54, vcc_lo, 0, v54, vcc_lo
	s_delay_alu instid0(VALU_DEP_2) | instskip(NEXT) | instid1(VALU_DEP_2)
	v_add_co_u32 v53, vcc_lo, v53, v55
	v_add_co_ci_u32_e32 v53, vcc_lo, v54, v56, vcc_lo
	v_add_co_ci_u32_e32 v54, vcc_lo, 0, v60, vcc_lo
	s_delay_alu instid0(VALU_DEP_2) | instskip(NEXT) | instid1(VALU_DEP_2)
	v_add_co_u32 v55, vcc_lo, v53, v59
	v_add_co_ci_u32_e32 v56, vcc_lo, 0, v54, vcc_lo
	s_delay_alu instid0(VALU_DEP_2) | instskip(SKIP_1) | instid1(VALU_DEP_3)
	v_mul_lo_u32 v59, s7, v55
	v_mad_u64_u32 v[53:54], null, s6, v55, 0
	v_mul_lo_u32 v60, s6, v56
	s_delay_alu instid0(VALU_DEP_2) | instskip(NEXT) | instid1(VALU_DEP_2)
	v_sub_co_u32 v53, vcc_lo, v91, v53
	v_add3_u32 v54, v54, v60, v59
	s_delay_alu instid0(VALU_DEP_1) | instskip(NEXT) | instid1(VALU_DEP_1)
	v_sub_nc_u32_e32 v59, v89, v54
	v_subrev_co_ci_u32_e64 v59, s2, s7, v59, vcc_lo
	v_add_co_u32 v60, s2, v55, 2
	s_delay_alu instid0(VALU_DEP_1) | instskip(SKIP_3) | instid1(VALU_DEP_3)
	v_add_co_ci_u32_e64 v91, s2, 0, v56, s2
	v_sub_co_u32 v92, s2, v53, s6
	v_sub_co_ci_u32_e32 v54, vcc_lo, v89, v54, vcc_lo
	v_subrev_co_ci_u32_e64 v59, s2, 0, v59, s2
	v_cmp_le_u32_e32 vcc_lo, s6, v92
	s_delay_alu instid0(VALU_DEP_3) | instskip(SKIP_1) | instid1(VALU_DEP_4)
	v_cmp_eq_u32_e64 s2, s7, v54
	v_cndmask_b32_e64 v89, 0, -1, vcc_lo
	v_cmp_le_u32_e32 vcc_lo, s7, v59
	v_cndmask_b32_e64 v92, 0, -1, vcc_lo
	v_cmp_le_u32_e32 vcc_lo, s6, v53
	;; [unrolled: 2-line block ×3, first 2 shown]
	v_cndmask_b32_e64 v93, 0, -1, vcc_lo
	v_cmp_eq_u32_e32 vcc_lo, s7, v59
	s_delay_alu instid0(VALU_DEP_2) | instskip(SKIP_3) | instid1(VALU_DEP_3)
	v_cndmask_b32_e64 v53, v93, v53, s2
	v_cndmask_b32_e32 v59, v92, v89, vcc_lo
	v_add_co_u32 v89, vcc_lo, v55, 1
	v_add_co_ci_u32_e32 v92, vcc_lo, 0, v56, vcc_lo
	v_cmp_ne_u32_e32 vcc_lo, 0, v59
	s_delay_alu instid0(VALU_DEP_2) | instskip(SKIP_2) | instid1(VALU_DEP_3)
	v_dual_cndmask_b32 v54, v92, v91 :: v_dual_cndmask_b32 v59, v89, v60
	v_cmp_ne_u32_e32 vcc_lo, 0, v53
	v_xor_b32_e32 v60, s4, v90
	v_dual_cndmask_b32 v53, v56, v54 :: v_dual_cndmask_b32 v54, v55, v59
	s_delay_alu instid0(VALU_DEP_1) | instskip(NEXT) | instid1(VALU_DEP_2)
	v_xor_b32_e32 v55, v53, v60
	v_xor_b32_e32 v54, v54, v60
	s_delay_alu instid0(VALU_DEP_1) | instskip(NEXT) | instid1(VALU_DEP_3)
	v_sub_co_u32 v53, vcc_lo, v54, v60
	v_sub_co_ci_u32_e32 v54, vcc_lo, v55, v60, vcc_lo
.LBB1159_111:
	s_and_not1_saveexec_b32 s2, s3
	s_cbranch_execz .LBB1159_113
; %bb.112:
	v_cvt_f32_u32_e32 v53, s44
	s_sub_i32 s3, 0, s44
	s_delay_alu instid0(VALU_DEP_1) | instskip(SKIP_2) | instid1(VALU_DEP_1)
	v_rcp_iflag_f32_e32 v53, v53
	s_waitcnt_depctr 0xfff
	v_mul_f32_e32 v53, 0x4f7ffffe, v53
	v_cvt_u32_f32_e32 v53, v53
	s_delay_alu instid0(VALU_DEP_1) | instskip(NEXT) | instid1(VALU_DEP_1)
	v_mul_lo_u32 v54, s3, v53
	v_mul_hi_u32 v54, v53, v54
	s_delay_alu instid0(VALU_DEP_1) | instskip(NEXT) | instid1(VALU_DEP_1)
	v_add_nc_u32_e32 v53, v53, v54
	v_mul_hi_u32 v53, v87, v53
	s_delay_alu instid0(VALU_DEP_1) | instskip(SKIP_1) | instid1(VALU_DEP_2)
	v_mul_lo_u32 v54, v53, s44
	v_add_nc_u32_e32 v55, 1, v53
	v_sub_nc_u32_e32 v54, v87, v54
	s_delay_alu instid0(VALU_DEP_1) | instskip(SKIP_1) | instid1(VALU_DEP_2)
	v_subrev_nc_u32_e32 v56, s44, v54
	v_cmp_le_u32_e32 vcc_lo, s44, v54
	v_dual_cndmask_b32 v54, v54, v56 :: v_dual_cndmask_b32 v53, v53, v55
	s_delay_alu instid0(VALU_DEP_1) | instskip(NEXT) | instid1(VALU_DEP_2)
	v_cmp_le_u32_e32 vcc_lo, s44, v54
	v_dual_mov_b32 v54, 0 :: v_dual_add_nc_u32 v55, 1, v53
	s_delay_alu instid0(VALU_DEP_1)
	v_cndmask_b32_e32 v53, v53, v55, vcc_lo
.LBB1159_113:
	s_or_b32 exec_lo, exec_lo, s2
	v_add_co_u32 v91, vcc_lo, 0xd00, v63
	v_add_co_ci_u32_e32 v92, vcc_lo, 0, v64, vcc_lo
	v_mov_b32_e32 v55, 0
                                        ; implicit-def: $vgpr59_vgpr60
	s_mov_b32 s2, exec_lo
	s_delay_alu instid0(VALU_DEP_2) | instskip(NEXT) | instid1(VALU_DEP_1)
	v_or_b32_e32 v56, s45, v92
	v_cmpx_ne_u64_e32 0, v[55:56]
	s_xor_b32 s3, exec_lo, s2
	s_cbranch_execz .LBB1159_115
; %bb.114:
	s_ashr_i32 s4, s45, 31
	s_delay_alu instid0(SALU_CYCLE_1) | instskip(SKIP_2) | instid1(SALU_CYCLE_1)
	s_add_u32 s6, s44, s4
	s_mov_b32 s5, s4
	s_addc_u32 s7, s45, s4
	s_xor_b64 s[6:7], s[6:7], s[4:5]
	s_delay_alu instid0(SALU_CYCLE_1) | instskip(SKIP_3) | instid1(VALU_DEP_1)
	v_cvt_f32_u32_e32 v55, s6
	v_cvt_f32_u32_e32 v56, s7
	s_sub_u32 s2, 0, s6
	s_subb_u32 s5, 0, s7
	v_fmamk_f32 v55, v56, 0x4f800000, v55
	s_delay_alu instid0(VALU_DEP_1) | instskip(SKIP_2) | instid1(VALU_DEP_1)
	v_rcp_f32_e32 v55, v55
	s_waitcnt_depctr 0xfff
	v_mul_f32_e32 v55, 0x5f7ffffc, v55
	v_mul_f32_e32 v56, 0x2f800000, v55
	s_delay_alu instid0(VALU_DEP_1) | instskip(NEXT) | instid1(VALU_DEP_1)
	v_trunc_f32_e32 v56, v56
	v_fmamk_f32 v55, v56, 0xcf800000, v55
	v_cvt_u32_f32_e32 v56, v56
	s_delay_alu instid0(VALU_DEP_2) | instskip(NEXT) | instid1(VALU_DEP_2)
	v_cvt_u32_f32_e32 v55, v55
	v_mul_lo_u32 v59, s2, v56
	s_delay_alu instid0(VALU_DEP_2) | instskip(SKIP_1) | instid1(VALU_DEP_2)
	v_mul_hi_u32 v60, s2, v55
	v_mul_lo_u32 v89, s5, v55
	v_add_nc_u32_e32 v59, v60, v59
	v_mul_lo_u32 v60, s2, v55
	s_delay_alu instid0(VALU_DEP_2) | instskip(NEXT) | instid1(VALU_DEP_2)
	v_add_nc_u32_e32 v59, v59, v89
	v_mul_hi_u32 v89, v55, v60
	s_delay_alu instid0(VALU_DEP_2)
	v_mul_lo_u32 v90, v55, v59
	v_mul_hi_u32 v93, v55, v59
	v_mul_hi_u32 v94, v56, v60
	v_mul_lo_u32 v60, v56, v60
	v_mul_hi_u32 v95, v56, v59
	v_mul_lo_u32 v59, v56, v59
	v_add_co_u32 v89, vcc_lo, v89, v90
	v_add_co_ci_u32_e32 v90, vcc_lo, 0, v93, vcc_lo
	s_delay_alu instid0(VALU_DEP_2) | instskip(NEXT) | instid1(VALU_DEP_2)
	v_add_co_u32 v60, vcc_lo, v89, v60
	v_add_co_ci_u32_e32 v60, vcc_lo, v90, v94, vcc_lo
	v_add_co_ci_u32_e32 v89, vcc_lo, 0, v95, vcc_lo
	v_ashrrev_i32_e32 v94, 31, v92
	s_delay_alu instid0(VALU_DEP_3) | instskip(NEXT) | instid1(VALU_DEP_3)
	v_add_co_u32 v59, vcc_lo, v60, v59
	v_add_co_ci_u32_e32 v60, vcc_lo, 0, v89, vcc_lo
	s_delay_alu instid0(VALU_DEP_2) | instskip(NEXT) | instid1(VALU_DEP_2)
	v_add_co_u32 v55, vcc_lo, v55, v59
	v_add_co_ci_u32_e32 v56, vcc_lo, v56, v60, vcc_lo
	s_delay_alu instid0(VALU_DEP_2) | instskip(SKIP_1) | instid1(VALU_DEP_3)
	v_mul_hi_u32 v59, s2, v55
	v_mul_lo_u32 v89, s5, v55
	v_mul_lo_u32 v60, s2, v56
	s_delay_alu instid0(VALU_DEP_1) | instskip(SKIP_1) | instid1(VALU_DEP_2)
	v_add_nc_u32_e32 v59, v59, v60
	v_mul_lo_u32 v60, s2, v55
	v_add_nc_u32_e32 v59, v59, v89
	s_delay_alu instid0(VALU_DEP_2) | instskip(NEXT) | instid1(VALU_DEP_2)
	v_mul_hi_u32 v89, v55, v60
	v_mul_lo_u32 v90, v55, v59
	v_mul_hi_u32 v93, v55, v59
	v_mul_hi_u32 v95, v56, v60
	v_mul_lo_u32 v60, v56, v60
	v_mul_hi_u32 v96, v56, v59
	v_mul_lo_u32 v59, v56, v59
	v_add_co_u32 v89, vcc_lo, v89, v90
	v_add_co_ci_u32_e32 v90, vcc_lo, 0, v93, vcc_lo
	s_delay_alu instid0(VALU_DEP_2) | instskip(NEXT) | instid1(VALU_DEP_2)
	v_add_co_u32 v60, vcc_lo, v89, v60
	v_add_co_ci_u32_e32 v60, vcc_lo, v90, v95, vcc_lo
	v_add_co_ci_u32_e32 v89, vcc_lo, 0, v96, vcc_lo
	v_add_co_u32 v90, vcc_lo, v91, v94
	v_add_co_ci_u32_e32 v93, vcc_lo, v92, v94, vcc_lo
	s_delay_alu instid0(VALU_DEP_4) | instskip(NEXT) | instid1(VALU_DEP_4)
	v_add_co_u32 v59, vcc_lo, v60, v59
	v_add_co_ci_u32_e32 v60, vcc_lo, 0, v89, vcc_lo
	s_delay_alu instid0(VALU_DEP_4) | instskip(NEXT) | instid1(VALU_DEP_3)
	v_xor_b32_e32 v95, v90, v94
	v_add_co_u32 v89, vcc_lo, v55, v59
	s_delay_alu instid0(VALU_DEP_3) | instskip(SKIP_1) | instid1(VALU_DEP_3)
	v_add_co_ci_u32_e32 v96, vcc_lo, v56, v60, vcc_lo
	v_xor_b32_e32 v93, v93, v94
	v_mul_hi_u32 v97, v95, v89
	s_delay_alu instid0(VALU_DEP_3) | instskip(NEXT) | instid1(VALU_DEP_3)
	v_mad_u64_u32 v[55:56], null, v95, v96, 0
	v_mad_u64_u32 v[59:60], null, v93, v89, 0
	v_mad_u64_u32 v[89:90], null, v93, v96, 0
	s_delay_alu instid0(VALU_DEP_3) | instskip(NEXT) | instid1(VALU_DEP_4)
	v_add_co_u32 v55, vcc_lo, v97, v55
	v_add_co_ci_u32_e32 v56, vcc_lo, 0, v56, vcc_lo
	s_delay_alu instid0(VALU_DEP_2) | instskip(NEXT) | instid1(VALU_DEP_2)
	v_add_co_u32 v55, vcc_lo, v55, v59
	v_add_co_ci_u32_e32 v55, vcc_lo, v56, v60, vcc_lo
	v_add_co_ci_u32_e32 v56, vcc_lo, 0, v90, vcc_lo
	s_delay_alu instid0(VALU_DEP_2) | instskip(NEXT) | instid1(VALU_DEP_2)
	v_add_co_u32 v59, vcc_lo, v55, v89
	v_add_co_ci_u32_e32 v60, vcc_lo, 0, v56, vcc_lo
	s_delay_alu instid0(VALU_DEP_2) | instskip(SKIP_1) | instid1(VALU_DEP_3)
	v_mul_lo_u32 v89, s7, v59
	v_mad_u64_u32 v[55:56], null, s6, v59, 0
	v_mul_lo_u32 v90, s6, v60
	s_delay_alu instid0(VALU_DEP_2) | instskip(NEXT) | instid1(VALU_DEP_2)
	v_sub_co_u32 v55, vcc_lo, v95, v55
	v_add3_u32 v56, v56, v90, v89
	s_delay_alu instid0(VALU_DEP_1) | instskip(NEXT) | instid1(VALU_DEP_1)
	v_sub_nc_u32_e32 v89, v93, v56
	v_subrev_co_ci_u32_e64 v89, s2, s7, v89, vcc_lo
	v_add_co_u32 v90, s2, v59, 2
	s_delay_alu instid0(VALU_DEP_1) | instskip(SKIP_3) | instid1(VALU_DEP_3)
	v_add_co_ci_u32_e64 v95, s2, 0, v60, s2
	v_sub_co_u32 v96, s2, v55, s6
	v_sub_co_ci_u32_e32 v56, vcc_lo, v93, v56, vcc_lo
	v_subrev_co_ci_u32_e64 v89, s2, 0, v89, s2
	v_cmp_le_u32_e32 vcc_lo, s6, v96
	s_delay_alu instid0(VALU_DEP_3) | instskip(SKIP_1) | instid1(VALU_DEP_4)
	v_cmp_eq_u32_e64 s2, s7, v56
	v_cndmask_b32_e64 v93, 0, -1, vcc_lo
	v_cmp_le_u32_e32 vcc_lo, s7, v89
	v_cndmask_b32_e64 v96, 0, -1, vcc_lo
	v_cmp_le_u32_e32 vcc_lo, s6, v55
	v_cndmask_b32_e64 v55, 0, -1, vcc_lo
	v_cmp_le_u32_e32 vcc_lo, s7, v56
	v_cndmask_b32_e64 v97, 0, -1, vcc_lo
	v_cmp_eq_u32_e32 vcc_lo, s7, v89
	s_delay_alu instid0(VALU_DEP_2) | instskip(SKIP_3) | instid1(VALU_DEP_3)
	v_cndmask_b32_e64 v55, v97, v55, s2
	v_cndmask_b32_e32 v89, v96, v93, vcc_lo
	v_add_co_u32 v93, vcc_lo, v59, 1
	v_add_co_ci_u32_e32 v96, vcc_lo, 0, v60, vcc_lo
	v_cmp_ne_u32_e32 vcc_lo, 0, v89
	s_delay_alu instid0(VALU_DEP_2) | instskip(SKIP_2) | instid1(VALU_DEP_3)
	v_dual_cndmask_b32 v56, v96, v95 :: v_dual_cndmask_b32 v89, v93, v90
	v_cmp_ne_u32_e32 vcc_lo, 0, v55
	v_xor_b32_e32 v55, s4, v94
	v_dual_cndmask_b32 v59, v59, v89 :: v_dual_cndmask_b32 v56, v60, v56
	s_delay_alu instid0(VALU_DEP_1) | instskip(NEXT) | instid1(VALU_DEP_2)
	v_xor_b32_e32 v59, v59, v55
	v_xor_b32_e32 v56, v56, v55
	s_delay_alu instid0(VALU_DEP_2) | instskip(NEXT) | instid1(VALU_DEP_2)
	v_sub_co_u32 v59, vcc_lo, v59, v55
	v_sub_co_ci_u32_e32 v60, vcc_lo, v56, v55, vcc_lo
.LBB1159_115:
	s_and_not1_saveexec_b32 s2, s3
	s_cbranch_execz .LBB1159_117
; %bb.116:
	v_cvt_f32_u32_e32 v55, s44
	s_sub_i32 s3, 0, s44
	s_delay_alu instid0(VALU_DEP_1) | instskip(SKIP_2) | instid1(VALU_DEP_1)
	v_rcp_iflag_f32_e32 v55, v55
	s_waitcnt_depctr 0xfff
	v_mul_f32_e32 v55, 0x4f7ffffe, v55
	v_cvt_u32_f32_e32 v55, v55
	s_delay_alu instid0(VALU_DEP_1) | instskip(NEXT) | instid1(VALU_DEP_1)
	v_mul_lo_u32 v56, s3, v55
	v_mul_hi_u32 v56, v55, v56
	s_delay_alu instid0(VALU_DEP_1) | instskip(NEXT) | instid1(VALU_DEP_1)
	v_add_nc_u32_e32 v55, v55, v56
	v_mul_hi_u32 v55, v91, v55
	s_delay_alu instid0(VALU_DEP_1) | instskip(SKIP_1) | instid1(VALU_DEP_2)
	v_mul_lo_u32 v56, v55, s44
	v_add_nc_u32_e32 v59, 1, v55
	v_sub_nc_u32_e32 v56, v91, v56
	s_delay_alu instid0(VALU_DEP_1) | instskip(SKIP_1) | instid1(VALU_DEP_2)
	v_subrev_nc_u32_e32 v60, s44, v56
	v_cmp_le_u32_e32 vcc_lo, s44, v56
	v_cndmask_b32_e32 v56, v56, v60, vcc_lo
	v_dual_mov_b32 v60, 0 :: v_dual_cndmask_b32 v55, v55, v59
	s_delay_alu instid0(VALU_DEP_2) | instskip(NEXT) | instid1(VALU_DEP_2)
	v_cmp_le_u32_e32 vcc_lo, s44, v56
	v_add_nc_u32_e32 v59, 1, v55
	s_delay_alu instid0(VALU_DEP_1)
	v_cndmask_b32_e32 v59, v55, v59, vcc_lo
.LBB1159_117:
	s_or_b32 exec_lo, exec_lo, s2
	v_add_co_u32 v89, vcc_lo, 0xe00, v63
	v_add_co_ci_u32_e32 v90, vcc_lo, 0, v64, vcc_lo
	v_mov_b32_e32 v55, 0
	s_delay_alu instid0(VALU_DEP_2) | instskip(NEXT) | instid1(VALU_DEP_1)
	v_or_b32_e32 v56, s45, v90
	v_cmp_ne_u64_e32 vcc_lo, 0, v[55:56]
                                        ; implicit-def: $vgpr55_vgpr56
	s_and_saveexec_b32 s2, vcc_lo
	s_delay_alu instid0(SALU_CYCLE_1)
	s_xor_b32 s3, exec_lo, s2
	s_cbranch_execz .LBB1159_119
; %bb.118:
	s_ashr_i32 s4, s45, 31
	s_delay_alu instid0(SALU_CYCLE_1) | instskip(SKIP_2) | instid1(SALU_CYCLE_1)
	s_add_u32 s6, s44, s4
	s_mov_b32 s5, s4
	s_addc_u32 s7, s45, s4
	s_xor_b64 s[6:7], s[6:7], s[4:5]
	s_delay_alu instid0(SALU_CYCLE_1) | instskip(SKIP_3) | instid1(VALU_DEP_1)
	v_cvt_f32_u32_e32 v55, s6
	v_cvt_f32_u32_e32 v56, s7
	s_sub_u32 s2, 0, s6
	s_subb_u32 s5, 0, s7
	v_fmamk_f32 v55, v56, 0x4f800000, v55
	s_delay_alu instid0(VALU_DEP_1) | instskip(SKIP_2) | instid1(VALU_DEP_1)
	v_rcp_f32_e32 v55, v55
	s_waitcnt_depctr 0xfff
	v_mul_f32_e32 v55, 0x5f7ffffc, v55
	v_mul_f32_e32 v56, 0x2f800000, v55
	s_delay_alu instid0(VALU_DEP_1) | instskip(NEXT) | instid1(VALU_DEP_1)
	v_trunc_f32_e32 v56, v56
	v_fmamk_f32 v55, v56, 0xcf800000, v55
	v_cvt_u32_f32_e32 v56, v56
	s_delay_alu instid0(VALU_DEP_2) | instskip(NEXT) | instid1(VALU_DEP_2)
	v_cvt_u32_f32_e32 v55, v55
	v_mul_lo_u32 v93, s2, v56
	s_delay_alu instid0(VALU_DEP_2) | instskip(SKIP_1) | instid1(VALU_DEP_2)
	v_mul_hi_u32 v94, s2, v55
	v_mul_lo_u32 v95, s5, v55
	v_add_nc_u32_e32 v93, v94, v93
	v_mul_lo_u32 v94, s2, v55
	s_delay_alu instid0(VALU_DEP_2) | instskip(NEXT) | instid1(VALU_DEP_2)
	v_add_nc_u32_e32 v93, v93, v95
	v_mul_hi_u32 v95, v55, v94
	s_delay_alu instid0(VALU_DEP_2)
	v_mul_lo_u32 v96, v55, v93
	v_mul_hi_u32 v97, v55, v93
	v_mul_hi_u32 v98, v56, v94
	v_mul_lo_u32 v94, v56, v94
	v_mul_hi_u32 v99, v56, v93
	v_mul_lo_u32 v93, v56, v93
	v_add_co_u32 v95, vcc_lo, v95, v96
	v_add_co_ci_u32_e32 v96, vcc_lo, 0, v97, vcc_lo
	s_delay_alu instid0(VALU_DEP_2) | instskip(NEXT) | instid1(VALU_DEP_2)
	v_add_co_u32 v94, vcc_lo, v95, v94
	v_add_co_ci_u32_e32 v94, vcc_lo, v96, v98, vcc_lo
	v_add_co_ci_u32_e32 v95, vcc_lo, 0, v99, vcc_lo
	v_ashrrev_i32_e32 v98, 31, v90
	s_delay_alu instid0(VALU_DEP_3) | instskip(NEXT) | instid1(VALU_DEP_3)
	v_add_co_u32 v93, vcc_lo, v94, v93
	v_add_co_ci_u32_e32 v94, vcc_lo, 0, v95, vcc_lo
	s_delay_alu instid0(VALU_DEP_2) | instskip(NEXT) | instid1(VALU_DEP_2)
	v_add_co_u32 v55, vcc_lo, v55, v93
	v_add_co_ci_u32_e32 v56, vcc_lo, v56, v94, vcc_lo
	s_delay_alu instid0(VALU_DEP_2) | instskip(SKIP_1) | instid1(VALU_DEP_3)
	v_mul_hi_u32 v93, s2, v55
	v_mul_lo_u32 v95, s5, v55
	v_mul_lo_u32 v94, s2, v56
	s_delay_alu instid0(VALU_DEP_1) | instskip(SKIP_1) | instid1(VALU_DEP_2)
	v_add_nc_u32_e32 v93, v93, v94
	v_mul_lo_u32 v94, s2, v55
	v_add_nc_u32_e32 v93, v93, v95
	s_delay_alu instid0(VALU_DEP_2) | instskip(NEXT) | instid1(VALU_DEP_2)
	v_mul_hi_u32 v95, v55, v94
	v_mul_lo_u32 v96, v55, v93
	v_mul_hi_u32 v97, v55, v93
	v_mul_hi_u32 v99, v56, v94
	v_mul_lo_u32 v94, v56, v94
	v_mul_hi_u32 v100, v56, v93
	v_mul_lo_u32 v93, v56, v93
	v_add_co_u32 v95, vcc_lo, v95, v96
	v_add_co_ci_u32_e32 v96, vcc_lo, 0, v97, vcc_lo
	s_delay_alu instid0(VALU_DEP_2) | instskip(NEXT) | instid1(VALU_DEP_2)
	v_add_co_u32 v94, vcc_lo, v95, v94
	v_add_co_ci_u32_e32 v94, vcc_lo, v96, v99, vcc_lo
	v_add_co_ci_u32_e32 v95, vcc_lo, 0, v100, vcc_lo
	v_add_co_u32 v96, vcc_lo, v89, v98
	v_add_co_ci_u32_e32 v97, vcc_lo, v90, v98, vcc_lo
	s_delay_alu instid0(VALU_DEP_4) | instskip(NEXT) | instid1(VALU_DEP_4)
	v_add_co_u32 v93, vcc_lo, v94, v93
	v_add_co_ci_u32_e32 v94, vcc_lo, 0, v95, vcc_lo
	s_delay_alu instid0(VALU_DEP_4) | instskip(NEXT) | instid1(VALU_DEP_3)
	v_xor_b32_e32 v99, v96, v98
	v_add_co_u32 v95, vcc_lo, v55, v93
	s_delay_alu instid0(VALU_DEP_3) | instskip(SKIP_1) | instid1(VALU_DEP_3)
	v_add_co_ci_u32_e32 v100, vcc_lo, v56, v94, vcc_lo
	v_xor_b32_e32 v97, v97, v98
	v_mul_hi_u32 v101, v99, v95
	s_delay_alu instid0(VALU_DEP_3) | instskip(NEXT) | instid1(VALU_DEP_3)
	v_mad_u64_u32 v[55:56], null, v99, v100, 0
	v_mad_u64_u32 v[93:94], null, v97, v95, 0
	;; [unrolled: 1-line block ×3, first 2 shown]
	s_delay_alu instid0(VALU_DEP_3) | instskip(NEXT) | instid1(VALU_DEP_4)
	v_add_co_u32 v55, vcc_lo, v101, v55
	v_add_co_ci_u32_e32 v56, vcc_lo, 0, v56, vcc_lo
	s_delay_alu instid0(VALU_DEP_2) | instskip(NEXT) | instid1(VALU_DEP_2)
	v_add_co_u32 v55, vcc_lo, v55, v93
	v_add_co_ci_u32_e32 v55, vcc_lo, v56, v94, vcc_lo
	v_add_co_ci_u32_e32 v56, vcc_lo, 0, v96, vcc_lo
	s_delay_alu instid0(VALU_DEP_2) | instskip(NEXT) | instid1(VALU_DEP_2)
	v_add_co_u32 v93, vcc_lo, v55, v95
	v_add_co_ci_u32_e32 v94, vcc_lo, 0, v56, vcc_lo
	s_delay_alu instid0(VALU_DEP_2) | instskip(SKIP_1) | instid1(VALU_DEP_3)
	v_mul_lo_u32 v95, s7, v93
	v_mad_u64_u32 v[55:56], null, s6, v93, 0
	v_mul_lo_u32 v96, s6, v94
	s_delay_alu instid0(VALU_DEP_2) | instskip(NEXT) | instid1(VALU_DEP_2)
	v_sub_co_u32 v55, vcc_lo, v99, v55
	v_add3_u32 v56, v56, v96, v95
	s_delay_alu instid0(VALU_DEP_1) | instskip(NEXT) | instid1(VALU_DEP_1)
	v_sub_nc_u32_e32 v95, v97, v56
	v_subrev_co_ci_u32_e64 v95, s2, s7, v95, vcc_lo
	v_add_co_u32 v96, s2, v93, 2
	s_delay_alu instid0(VALU_DEP_1) | instskip(SKIP_3) | instid1(VALU_DEP_3)
	v_add_co_ci_u32_e64 v99, s2, 0, v94, s2
	v_sub_co_u32 v100, s2, v55, s6
	v_sub_co_ci_u32_e32 v56, vcc_lo, v97, v56, vcc_lo
	v_subrev_co_ci_u32_e64 v95, s2, 0, v95, s2
	v_cmp_le_u32_e32 vcc_lo, s6, v100
	s_delay_alu instid0(VALU_DEP_3) | instskip(SKIP_1) | instid1(VALU_DEP_4)
	v_cmp_eq_u32_e64 s2, s7, v56
	v_cndmask_b32_e64 v97, 0, -1, vcc_lo
	v_cmp_le_u32_e32 vcc_lo, s7, v95
	v_cndmask_b32_e64 v100, 0, -1, vcc_lo
	v_cmp_le_u32_e32 vcc_lo, s6, v55
	;; [unrolled: 2-line block ×3, first 2 shown]
	v_cndmask_b32_e64 v101, 0, -1, vcc_lo
	v_cmp_eq_u32_e32 vcc_lo, s7, v95
	s_delay_alu instid0(VALU_DEP_2) | instskip(SKIP_3) | instid1(VALU_DEP_3)
	v_cndmask_b32_e64 v55, v101, v55, s2
	v_cndmask_b32_e32 v95, v100, v97, vcc_lo
	v_add_co_u32 v97, vcc_lo, v93, 1
	v_add_co_ci_u32_e32 v100, vcc_lo, 0, v94, vcc_lo
	v_cmp_ne_u32_e32 vcc_lo, 0, v95
	s_delay_alu instid0(VALU_DEP_2) | instskip(SKIP_2) | instid1(VALU_DEP_3)
	v_dual_cndmask_b32 v56, v100, v99 :: v_dual_cndmask_b32 v95, v97, v96
	v_cmp_ne_u32_e32 vcc_lo, 0, v55
	v_xor_b32_e32 v96, s4, v98
	v_dual_cndmask_b32 v55, v94, v56 :: v_dual_cndmask_b32 v56, v93, v95
	s_delay_alu instid0(VALU_DEP_1) | instskip(NEXT) | instid1(VALU_DEP_2)
	v_xor_b32_e32 v93, v55, v96
	v_xor_b32_e32 v56, v56, v96
	s_delay_alu instid0(VALU_DEP_1) | instskip(NEXT) | instid1(VALU_DEP_3)
	v_sub_co_u32 v55, vcc_lo, v56, v96
	v_sub_co_ci_u32_e32 v56, vcc_lo, v93, v96, vcc_lo
.LBB1159_119:
	s_and_not1_saveexec_b32 s2, s3
	s_cbranch_execz .LBB1159_121
; %bb.120:
	v_cvt_f32_u32_e32 v55, s44
	s_sub_i32 s3, 0, s44
	s_delay_alu instid0(VALU_DEP_1) | instskip(SKIP_2) | instid1(VALU_DEP_1)
	v_rcp_iflag_f32_e32 v55, v55
	s_waitcnt_depctr 0xfff
	v_mul_f32_e32 v55, 0x4f7ffffe, v55
	v_cvt_u32_f32_e32 v55, v55
	s_delay_alu instid0(VALU_DEP_1) | instskip(NEXT) | instid1(VALU_DEP_1)
	v_mul_lo_u32 v56, s3, v55
	v_mul_hi_u32 v56, v55, v56
	s_delay_alu instid0(VALU_DEP_1) | instskip(NEXT) | instid1(VALU_DEP_1)
	v_add_nc_u32_e32 v55, v55, v56
	v_mul_hi_u32 v55, v89, v55
	s_delay_alu instid0(VALU_DEP_1) | instskip(SKIP_1) | instid1(VALU_DEP_2)
	v_mul_lo_u32 v56, v55, s44
	v_add_nc_u32_e32 v93, 1, v55
	v_sub_nc_u32_e32 v56, v89, v56
	s_delay_alu instid0(VALU_DEP_1) | instskip(SKIP_1) | instid1(VALU_DEP_2)
	v_subrev_nc_u32_e32 v94, s44, v56
	v_cmp_le_u32_e32 vcc_lo, s44, v56
	v_dual_cndmask_b32 v56, v56, v94 :: v_dual_cndmask_b32 v55, v55, v93
	s_delay_alu instid0(VALU_DEP_1) | instskip(NEXT) | instid1(VALU_DEP_2)
	v_cmp_le_u32_e32 vcc_lo, s44, v56
	v_dual_mov_b32 v56, 0 :: v_dual_add_nc_u32 v93, 1, v55
	s_delay_alu instid0(VALU_DEP_1)
	v_cndmask_b32_e32 v55, v55, v93, vcc_lo
.LBB1159_121:
	s_or_b32 exec_lo, exec_lo, s2
	v_mul_lo_u32 v97, v60, s44
	v_mul_lo_u32 v98, v59, s45
	v_mad_u64_u32 v[93:94], null, v59, s44, 0
	v_mul_lo_u32 v99, v54, s44
	v_mul_lo_u32 v100, v53, s45
	v_mad_u64_u32 v[95:96], null, v53, s44, 0
	v_mul_lo_u32 v101, v52, s44
	v_mul_lo_u32 v102, v51, s45
	v_add3_u32 v94, v94, v98, v97
	v_mad_u64_u32 v[97:98], null, v51, s44, 0
	v_sub_co_u32 v91, vcc_lo, v91, v93
	s_delay_alu instid0(VALU_DEP_3) | instskip(NEXT) | instid1(VALU_DEP_2)
	v_sub_co_ci_u32_e32 v92, vcc_lo, v92, v94, vcc_lo
	v_add_co_u32 v59, vcc_lo, v59, v91
	v_add3_u32 v91, v96, v100, v99
	s_delay_alu instid0(VALU_DEP_3) | instskip(SKIP_2) | instid1(VALU_DEP_4)
	v_add_co_ci_u32_e32 v60, vcc_lo, v60, v92, vcc_lo
	v_add3_u32 v92, v98, v102, v101
	v_sub_co_u32 v93, vcc_lo, v87, v95
	v_sub_co_ci_u32_e32 v91, vcc_lo, v88, v91, vcc_lo
	v_sub_co_u32 v94, vcc_lo, v85, v97
	s_delay_alu instid0(VALU_DEP_4)
	v_sub_co_ci_u32_e32 v92, vcc_lo, v86, v92, vcc_lo
	v_mul_lo_u32 v95, v50, s44
	v_mul_lo_u32 v96, v49, s45
	v_mad_u64_u32 v[85:86], null, v49, s44, 0
	v_mul_lo_u32 v97, v48, s44
	v_mul_lo_u32 v98, v47, s45
	v_mad_u64_u32 v[87:88], null, v47, s44, 0
	v_add_co_u32 v53, vcc_lo, v53, v93
	v_add_co_ci_u32_e32 v54, vcc_lo, v54, v91, vcc_lo
	v_add_co_u32 v51, vcc_lo, v51, v94
	v_add3_u32 v86, v86, v96, v95
	v_add_co_ci_u32_e32 v52, vcc_lo, v52, v92, vcc_lo
	v_add3_u32 v88, v88, v98, v97
	v_sub_co_u32 v85, vcc_lo, v83, v85
	s_delay_alu instid0(VALU_DEP_4) | instskip(SKIP_1) | instid1(VALU_DEP_4)
	v_sub_co_ci_u32_e32 v86, vcc_lo, v84, v86, vcc_lo
	v_sub_co_u32 v87, vcc_lo, v81, v87
	v_sub_co_ci_u32_e32 v88, vcc_lo, v82, v88, vcc_lo
	v_mul_lo_u32 v91, v46, s44
	v_mul_lo_u32 v92, v45, s45
	v_mad_u64_u32 v[81:82], null, v45, s44, 0
	v_mul_lo_u32 v93, v44, s44
	v_mul_lo_u32 v94, v43, s45
	v_mad_u64_u32 v[83:84], null, v43, s44, 0
	v_add_co_u32 v49, vcc_lo, v49, v85
	v_add_co_ci_u32_e32 v50, vcc_lo, v50, v86, vcc_lo
	v_add_co_u32 v47, vcc_lo, v47, v87
	v_add3_u32 v82, v82, v92, v91
	v_add_co_ci_u32_e32 v48, vcc_lo, v48, v88, vcc_lo
	v_add3_u32 v84, v84, v94, v93
	v_sub_co_u32 v81, vcc_lo, v79, v81
	s_delay_alu instid0(VALU_DEP_4) | instskip(SKIP_1) | instid1(VALU_DEP_4)
	v_sub_co_ci_u32_e32 v82, vcc_lo, v80, v82, vcc_lo
	v_sub_co_u32 v83, vcc_lo, v77, v83
	;; [unrolled: 17-line block ×6, first 2 shown]
	v_sub_co_ci_u32_e32 v66, vcc_lo, v90, v68, vcc_lo
	s_delay_alu instid0(VALU_DEP_4) | instskip(NEXT) | instid1(VALU_DEP_4)
	v_add_co_u32 v29, vcc_lo, v29, v63
	v_add_co_ci_u32_e32 v30, vcc_lo, v30, v64, vcc_lo
	s_delay_alu instid0(VALU_DEP_4) | instskip(NEXT) | instid1(VALU_DEP_4)
	v_add_co_u32 v55, vcc_lo, v55, v65
	v_add_co_ci_u32_e32 v56, vcc_lo, v56, v66, vcc_lo
	ds_store_2addr_stride64_b64 v62, v[29:30], v[31:32] offset1:4
	ds_store_2addr_stride64_b64 v62, v[33:34], v[35:36] offset0:8 offset1:12
	ds_store_2addr_stride64_b64 v62, v[37:38], v[39:40] offset0:16 offset1:20
	;; [unrolled: 1-line block ×6, first 2 shown]
	ds_store_b64 v62, v[55:56] offset:28672
	s_waitcnt lgkmcnt(0)
	s_barrier
	s_load_b64 s[28:29], s[0:1], 0x88
	s_add_i32 s33, s33, s64
	s_branch .LBB1159_304
.LBB1159_122:
                                        ; implicit-def: $vgpr61
                                        ; implicit-def: $vgpr25_vgpr26
                                        ; implicit-def: $vgpr21_vgpr22
                                        ; implicit-def: $vgpr17_vgpr18
                                        ; implicit-def: $vgpr13_vgpr14
                                        ; implicit-def: $vgpr9_vgpr10
                                        ; implicit-def: $vgpr5_vgpr6
                                        ; implicit-def: $vgpr1_vgpr2
                                        ; implicit-def: $vgpr57_vgpr58
	s_load_b64 s[28:29], s[0:1], 0x88
	s_add_i32 s33, s33, s64
	s_cbranch_execz .LBB1159_304
; %bb.123:
	v_cmp_gt_u32_e64 s14, s33, v0
                                        ; implicit-def: $vgpr1_vgpr2
	s_delay_alu instid0(VALU_DEP_1)
	s_and_saveexec_b32 s1, s14
	s_cbranch_execz .LBB1159_129
; %bb.124:
	v_add_co_u32 v3, s0, s24, v0
	s_delay_alu instid0(VALU_DEP_1) | instskip(SKIP_1) | instid1(VALU_DEP_2)
	v_add_co_ci_u32_e64 v4, null, s25, 0, s0
	v_mov_b32_e32 v1, 0
	v_or_b32_e32 v2, s39, v4
	s_delay_alu instid0(VALU_DEP_1) | instskip(SKIP_1) | instid1(SALU_CYCLE_1)
	v_cmp_ne_u64_e32 vcc_lo, 0, v[1:2]
                                        ; implicit-def: $vgpr1_vgpr2
	s_and_saveexec_b32 s0, vcc_lo
	s_xor_b32 s6, exec_lo, s0
	s_cbranch_execz .LBB1159_126
; %bb.125:
	s_ashr_i32 s2, s39, 31
	s_delay_alu instid0(SALU_CYCLE_1) | instskip(SKIP_2) | instid1(SALU_CYCLE_1)
	s_add_u32 s4, s38, s2
	s_mov_b32 s3, s2
	s_addc_u32 s5, s39, s2
	s_xor_b64 s[4:5], s[4:5], s[2:3]
	s_delay_alu instid0(SALU_CYCLE_1) | instskip(SKIP_3) | instid1(VALU_DEP_1)
	v_cvt_f32_u32_e32 v1, s4
	v_cvt_f32_u32_e32 v2, s5
	s_sub_u32 s0, 0, s4
	s_subb_u32 s3, 0, s5
	v_fmamk_f32 v1, v2, 0x4f800000, v1
	s_delay_alu instid0(VALU_DEP_1) | instskip(SKIP_2) | instid1(VALU_DEP_1)
	v_rcp_f32_e32 v1, v1
	s_waitcnt_depctr 0xfff
	v_mul_f32_e32 v1, 0x5f7ffffc, v1
	v_mul_f32_e32 v2, 0x2f800000, v1
	s_delay_alu instid0(VALU_DEP_1) | instskip(NEXT) | instid1(VALU_DEP_1)
	v_trunc_f32_e32 v2, v2
	v_fmamk_f32 v1, v2, 0xcf800000, v1
	v_cvt_u32_f32_e32 v2, v2
	s_delay_alu instid0(VALU_DEP_2) | instskip(NEXT) | instid1(VALU_DEP_2)
	v_cvt_u32_f32_e32 v1, v1
	v_mul_lo_u32 v5, s0, v2
	s_delay_alu instid0(VALU_DEP_2) | instskip(SKIP_1) | instid1(VALU_DEP_2)
	v_mul_hi_u32 v6, s0, v1
	v_mul_lo_u32 v7, s3, v1
	v_add_nc_u32_e32 v5, v6, v5
	v_mul_lo_u32 v6, s0, v1
	s_delay_alu instid0(VALU_DEP_2) | instskip(NEXT) | instid1(VALU_DEP_2)
	v_add_nc_u32_e32 v5, v5, v7
	v_mul_hi_u32 v7, v1, v6
	s_delay_alu instid0(VALU_DEP_2)
	v_mul_lo_u32 v8, v1, v5
	v_mul_hi_u32 v9, v1, v5
	v_mul_hi_u32 v10, v2, v6
	v_mul_lo_u32 v6, v2, v6
	v_mul_hi_u32 v11, v2, v5
	v_mul_lo_u32 v5, v2, v5
	v_add_co_u32 v7, vcc_lo, v7, v8
	v_add_co_ci_u32_e32 v8, vcc_lo, 0, v9, vcc_lo
	s_delay_alu instid0(VALU_DEP_2) | instskip(NEXT) | instid1(VALU_DEP_2)
	v_add_co_u32 v6, vcc_lo, v7, v6
	v_add_co_ci_u32_e32 v6, vcc_lo, v8, v10, vcc_lo
	v_add_co_ci_u32_e32 v7, vcc_lo, 0, v11, vcc_lo
	v_ashrrev_i32_e32 v10, 31, v4
	s_delay_alu instid0(VALU_DEP_3) | instskip(NEXT) | instid1(VALU_DEP_3)
	v_add_co_u32 v5, vcc_lo, v6, v5
	v_add_co_ci_u32_e32 v6, vcc_lo, 0, v7, vcc_lo
	s_delay_alu instid0(VALU_DEP_2) | instskip(NEXT) | instid1(VALU_DEP_2)
	v_add_co_u32 v1, vcc_lo, v1, v5
	v_add_co_ci_u32_e32 v2, vcc_lo, v2, v6, vcc_lo
	s_delay_alu instid0(VALU_DEP_2) | instskip(SKIP_1) | instid1(VALU_DEP_3)
	v_mul_hi_u32 v5, s0, v1
	v_mul_lo_u32 v7, s3, v1
	v_mul_lo_u32 v6, s0, v2
	s_delay_alu instid0(VALU_DEP_1) | instskip(SKIP_1) | instid1(VALU_DEP_2)
	v_add_nc_u32_e32 v5, v5, v6
	v_mul_lo_u32 v6, s0, v1
	v_add_nc_u32_e32 v5, v5, v7
	s_delay_alu instid0(VALU_DEP_2) | instskip(NEXT) | instid1(VALU_DEP_2)
	v_mul_hi_u32 v7, v1, v6
	v_mul_lo_u32 v8, v1, v5
	v_mul_hi_u32 v9, v1, v5
	v_mul_hi_u32 v11, v2, v6
	v_mul_lo_u32 v6, v2, v6
	v_mul_hi_u32 v12, v2, v5
	v_mul_lo_u32 v5, v2, v5
	v_add_co_u32 v7, vcc_lo, v7, v8
	v_add_co_ci_u32_e32 v8, vcc_lo, 0, v9, vcc_lo
	s_delay_alu instid0(VALU_DEP_2) | instskip(NEXT) | instid1(VALU_DEP_2)
	v_add_co_u32 v6, vcc_lo, v7, v6
	v_add_co_ci_u32_e32 v6, vcc_lo, v8, v11, vcc_lo
	v_add_co_ci_u32_e32 v7, vcc_lo, 0, v12, vcc_lo
	v_add_co_u32 v3, vcc_lo, v3, v10
	v_add_co_ci_u32_e32 v4, vcc_lo, v4, v10, vcc_lo
	s_delay_alu instid0(VALU_DEP_4) | instskip(NEXT) | instid1(VALU_DEP_4)
	v_add_co_u32 v5, vcc_lo, v6, v5
	v_add_co_ci_u32_e32 v6, vcc_lo, 0, v7, vcc_lo
	s_delay_alu instid0(VALU_DEP_4) | instskip(NEXT) | instid1(VALU_DEP_3)
	v_xor_b32_e32 v7, v3, v10
	v_add_co_u32 v5, vcc_lo, v1, v5
	s_delay_alu instid0(VALU_DEP_3) | instskip(SKIP_1) | instid1(VALU_DEP_3)
	v_add_co_ci_u32_e32 v8, vcc_lo, v2, v6, vcc_lo
	v_xor_b32_e32 v9, v4, v10
	v_mul_hi_u32 v11, v7, v5
	s_delay_alu instid0(VALU_DEP_3) | instskip(NEXT) | instid1(VALU_DEP_3)
	v_mad_u64_u32 v[1:2], null, v7, v8, 0
	v_mad_u64_u32 v[3:4], null, v9, v5, 0
	;; [unrolled: 1-line block ×3, first 2 shown]
	s_delay_alu instid0(VALU_DEP_3) | instskip(NEXT) | instid1(VALU_DEP_4)
	v_add_co_u32 v1, vcc_lo, v11, v1
	v_add_co_ci_u32_e32 v2, vcc_lo, 0, v2, vcc_lo
	s_delay_alu instid0(VALU_DEP_2) | instskip(NEXT) | instid1(VALU_DEP_2)
	v_add_co_u32 v1, vcc_lo, v1, v3
	v_add_co_ci_u32_e32 v1, vcc_lo, v2, v4, vcc_lo
	v_add_co_ci_u32_e32 v2, vcc_lo, 0, v6, vcc_lo
	s_delay_alu instid0(VALU_DEP_2) | instskip(NEXT) | instid1(VALU_DEP_2)
	v_add_co_u32 v3, vcc_lo, v1, v5
	v_add_co_ci_u32_e32 v4, vcc_lo, 0, v2, vcc_lo
	s_delay_alu instid0(VALU_DEP_2) | instskip(SKIP_1) | instid1(VALU_DEP_3)
	v_mul_lo_u32 v5, s5, v3
	v_mad_u64_u32 v[1:2], null, s4, v3, 0
	v_mul_lo_u32 v6, s4, v4
	s_delay_alu instid0(VALU_DEP_2) | instskip(NEXT) | instid1(VALU_DEP_2)
	v_sub_co_u32 v1, vcc_lo, v7, v1
	v_add3_u32 v2, v2, v6, v5
	s_delay_alu instid0(VALU_DEP_1) | instskip(NEXT) | instid1(VALU_DEP_1)
	v_sub_nc_u32_e32 v5, v9, v2
	v_subrev_co_ci_u32_e64 v5, s0, s5, v5, vcc_lo
	v_add_co_u32 v6, s0, v3, 2
	s_delay_alu instid0(VALU_DEP_1) | instskip(SKIP_3) | instid1(VALU_DEP_3)
	v_add_co_ci_u32_e64 v7, s0, 0, v4, s0
	v_sub_co_u32 v8, s0, v1, s4
	v_sub_co_ci_u32_e32 v2, vcc_lo, v9, v2, vcc_lo
	v_subrev_co_ci_u32_e64 v5, s0, 0, v5, s0
	v_cmp_le_u32_e32 vcc_lo, s4, v8
	s_delay_alu instid0(VALU_DEP_3) | instskip(SKIP_1) | instid1(VALU_DEP_4)
	v_cmp_eq_u32_e64 s0, s5, v2
	v_cndmask_b32_e64 v8, 0, -1, vcc_lo
	v_cmp_le_u32_e32 vcc_lo, s5, v5
	v_cndmask_b32_e64 v9, 0, -1, vcc_lo
	v_cmp_le_u32_e32 vcc_lo, s4, v1
	;; [unrolled: 2-line block ×3, first 2 shown]
	v_cndmask_b32_e64 v11, 0, -1, vcc_lo
	v_cmp_eq_u32_e32 vcc_lo, s5, v5
	s_delay_alu instid0(VALU_DEP_2) | instskip(SKIP_3) | instid1(VALU_DEP_3)
	v_cndmask_b32_e64 v1, v11, v1, s0
	v_cndmask_b32_e32 v5, v9, v8, vcc_lo
	v_add_co_u32 v8, vcc_lo, v3, 1
	v_add_co_ci_u32_e32 v9, vcc_lo, 0, v4, vcc_lo
	v_cmp_ne_u32_e32 vcc_lo, 0, v5
	s_delay_alu instid0(VALU_DEP_2) | instskip(SKIP_2) | instid1(VALU_DEP_3)
	v_dual_cndmask_b32 v2, v9, v7 :: v_dual_cndmask_b32 v5, v8, v6
	v_cmp_ne_u32_e32 vcc_lo, 0, v1
	v_xor_b32_e32 v6, s2, v10
	v_dual_cndmask_b32 v1, v4, v2 :: v_dual_cndmask_b32 v2, v3, v5
	s_delay_alu instid0(VALU_DEP_1) | instskip(NEXT) | instid1(VALU_DEP_2)
	v_xor_b32_e32 v3, v1, v6
	v_xor_b32_e32 v2, v2, v6
	s_delay_alu instid0(VALU_DEP_1) | instskip(NEXT) | instid1(VALU_DEP_3)
	v_sub_co_u32 v1, vcc_lo, v2, v6
	v_sub_co_ci_u32_e32 v2, vcc_lo, v3, v6, vcc_lo
                                        ; implicit-def: $vgpr3
.LBB1159_126:
	s_and_not1_saveexec_b32 s0, s6
	s_cbranch_execz .LBB1159_128
; %bb.127:
	v_cvt_f32_u32_e32 v1, s38
	s_sub_i32 s2, 0, s38
	s_delay_alu instid0(VALU_DEP_1) | instskip(SKIP_2) | instid1(VALU_DEP_1)
	v_rcp_iflag_f32_e32 v1, v1
	s_waitcnt_depctr 0xfff
	v_mul_f32_e32 v1, 0x4f7ffffe, v1
	v_cvt_u32_f32_e32 v1, v1
	s_delay_alu instid0(VALU_DEP_1) | instskip(NEXT) | instid1(VALU_DEP_1)
	v_mul_lo_u32 v2, s2, v1
	v_mul_hi_u32 v2, v1, v2
	s_delay_alu instid0(VALU_DEP_1) | instskip(NEXT) | instid1(VALU_DEP_1)
	v_add_nc_u32_e32 v1, v1, v2
	v_mul_hi_u32 v1, v3, v1
	s_delay_alu instid0(VALU_DEP_1) | instskip(NEXT) | instid1(VALU_DEP_1)
	v_mul_lo_u32 v2, v1, s38
	v_sub_nc_u32_e32 v2, v3, v2
	v_add_nc_u32_e32 v3, 1, v1
	s_delay_alu instid0(VALU_DEP_2) | instskip(SKIP_1) | instid1(VALU_DEP_2)
	v_subrev_nc_u32_e32 v4, s38, v2
	v_cmp_le_u32_e32 vcc_lo, s38, v2
	v_dual_cndmask_b32 v2, v2, v4 :: v_dual_cndmask_b32 v1, v1, v3
	s_delay_alu instid0(VALU_DEP_1) | instskip(NEXT) | instid1(VALU_DEP_2)
	v_cmp_le_u32_e32 vcc_lo, s38, v2
	v_dual_mov_b32 v2, 0 :: v_dual_add_nc_u32 v3, 1, v1
	s_delay_alu instid0(VALU_DEP_1)
	v_cndmask_b32_e32 v1, v1, v3, vcc_lo
.LBB1159_128:
	s_or_b32 exec_lo, exec_lo, s0
.LBB1159_129:
	s_delay_alu instid0(SALU_CYCLE_1) | instskip(SKIP_1) | instid1(VALU_DEP_1)
	s_or_b32 exec_lo, exec_lo, s1
	v_or_b32_e32 v33, 0x100, v0
                                        ; implicit-def: $vgpr3_vgpr4
	v_cmp_gt_u32_e64 s13, s33, v33
	s_delay_alu instid0(VALU_DEP_1)
	s_and_saveexec_b32 s1, s13
	s_cbranch_execz .LBB1159_135
; %bb.130:
	v_add_co_u32 v5, s0, s24, v33
	s_delay_alu instid0(VALU_DEP_1) | instskip(SKIP_1) | instid1(VALU_DEP_2)
	v_add_co_ci_u32_e64 v6, null, s25, 0, s0
	v_mov_b32_e32 v3, 0
	v_or_b32_e32 v4, s39, v6
	s_delay_alu instid0(VALU_DEP_1) | instskip(SKIP_1) | instid1(SALU_CYCLE_1)
	v_cmp_ne_u64_e32 vcc_lo, 0, v[3:4]
                                        ; implicit-def: $vgpr3_vgpr4
	s_and_saveexec_b32 s0, vcc_lo
	s_xor_b32 s6, exec_lo, s0
	s_cbranch_execz .LBB1159_132
; %bb.131:
	s_ashr_i32 s2, s39, 31
	s_delay_alu instid0(SALU_CYCLE_1) | instskip(SKIP_2) | instid1(SALU_CYCLE_1)
	s_add_u32 s4, s38, s2
	s_mov_b32 s3, s2
	s_addc_u32 s5, s39, s2
	s_xor_b64 s[4:5], s[4:5], s[2:3]
	s_delay_alu instid0(SALU_CYCLE_1) | instskip(SKIP_3) | instid1(VALU_DEP_1)
	v_cvt_f32_u32_e32 v3, s4
	v_cvt_f32_u32_e32 v4, s5
	s_sub_u32 s0, 0, s4
	s_subb_u32 s3, 0, s5
	v_fmamk_f32 v3, v4, 0x4f800000, v3
	s_delay_alu instid0(VALU_DEP_1) | instskip(SKIP_2) | instid1(VALU_DEP_1)
	v_rcp_f32_e32 v3, v3
	s_waitcnt_depctr 0xfff
	v_mul_f32_e32 v3, 0x5f7ffffc, v3
	v_mul_f32_e32 v4, 0x2f800000, v3
	s_delay_alu instid0(VALU_DEP_1) | instskip(NEXT) | instid1(VALU_DEP_1)
	v_trunc_f32_e32 v4, v4
	v_fmamk_f32 v3, v4, 0xcf800000, v3
	v_cvt_u32_f32_e32 v4, v4
	s_delay_alu instid0(VALU_DEP_2) | instskip(NEXT) | instid1(VALU_DEP_2)
	v_cvt_u32_f32_e32 v3, v3
	v_mul_lo_u32 v7, s0, v4
	s_delay_alu instid0(VALU_DEP_2) | instskip(SKIP_1) | instid1(VALU_DEP_2)
	v_mul_hi_u32 v8, s0, v3
	v_mul_lo_u32 v9, s3, v3
	v_add_nc_u32_e32 v7, v8, v7
	v_mul_lo_u32 v8, s0, v3
	s_delay_alu instid0(VALU_DEP_2) | instskip(NEXT) | instid1(VALU_DEP_2)
	v_add_nc_u32_e32 v7, v7, v9
	v_mul_hi_u32 v9, v3, v8
	s_delay_alu instid0(VALU_DEP_2)
	v_mul_lo_u32 v10, v3, v7
	v_mul_hi_u32 v11, v3, v7
	v_mul_hi_u32 v12, v4, v8
	v_mul_lo_u32 v8, v4, v8
	v_mul_hi_u32 v13, v4, v7
	v_mul_lo_u32 v7, v4, v7
	v_add_co_u32 v9, vcc_lo, v9, v10
	v_add_co_ci_u32_e32 v10, vcc_lo, 0, v11, vcc_lo
	s_delay_alu instid0(VALU_DEP_2) | instskip(NEXT) | instid1(VALU_DEP_2)
	v_add_co_u32 v8, vcc_lo, v9, v8
	v_add_co_ci_u32_e32 v8, vcc_lo, v10, v12, vcc_lo
	v_add_co_ci_u32_e32 v9, vcc_lo, 0, v13, vcc_lo
	v_ashrrev_i32_e32 v12, 31, v6
	s_delay_alu instid0(VALU_DEP_3) | instskip(NEXT) | instid1(VALU_DEP_3)
	v_add_co_u32 v7, vcc_lo, v8, v7
	v_add_co_ci_u32_e32 v8, vcc_lo, 0, v9, vcc_lo
	s_delay_alu instid0(VALU_DEP_2) | instskip(NEXT) | instid1(VALU_DEP_2)
	v_add_co_u32 v3, vcc_lo, v3, v7
	v_add_co_ci_u32_e32 v4, vcc_lo, v4, v8, vcc_lo
	s_delay_alu instid0(VALU_DEP_2) | instskip(SKIP_1) | instid1(VALU_DEP_3)
	v_mul_hi_u32 v7, s0, v3
	v_mul_lo_u32 v9, s3, v3
	v_mul_lo_u32 v8, s0, v4
	s_delay_alu instid0(VALU_DEP_1) | instskip(SKIP_1) | instid1(VALU_DEP_2)
	v_add_nc_u32_e32 v7, v7, v8
	v_mul_lo_u32 v8, s0, v3
	v_add_nc_u32_e32 v7, v7, v9
	s_delay_alu instid0(VALU_DEP_2) | instskip(NEXT) | instid1(VALU_DEP_2)
	v_mul_hi_u32 v9, v3, v8
	v_mul_lo_u32 v10, v3, v7
	v_mul_hi_u32 v11, v3, v7
	v_mul_hi_u32 v13, v4, v8
	v_mul_lo_u32 v8, v4, v8
	v_mul_hi_u32 v14, v4, v7
	v_mul_lo_u32 v7, v4, v7
	v_add_co_u32 v9, vcc_lo, v9, v10
	v_add_co_ci_u32_e32 v10, vcc_lo, 0, v11, vcc_lo
	s_delay_alu instid0(VALU_DEP_2) | instskip(NEXT) | instid1(VALU_DEP_2)
	v_add_co_u32 v8, vcc_lo, v9, v8
	v_add_co_ci_u32_e32 v8, vcc_lo, v10, v13, vcc_lo
	v_add_co_ci_u32_e32 v9, vcc_lo, 0, v14, vcc_lo
	v_add_co_u32 v5, vcc_lo, v5, v12
	v_add_co_ci_u32_e32 v6, vcc_lo, v6, v12, vcc_lo
	s_delay_alu instid0(VALU_DEP_4) | instskip(NEXT) | instid1(VALU_DEP_4)
	v_add_co_u32 v7, vcc_lo, v8, v7
	v_add_co_ci_u32_e32 v8, vcc_lo, 0, v9, vcc_lo
	s_delay_alu instid0(VALU_DEP_4) | instskip(NEXT) | instid1(VALU_DEP_3)
	v_xor_b32_e32 v9, v5, v12
	v_add_co_u32 v7, vcc_lo, v3, v7
	s_delay_alu instid0(VALU_DEP_3) | instskip(SKIP_1) | instid1(VALU_DEP_3)
	v_add_co_ci_u32_e32 v10, vcc_lo, v4, v8, vcc_lo
	v_xor_b32_e32 v11, v6, v12
	v_mul_hi_u32 v13, v9, v7
	s_delay_alu instid0(VALU_DEP_3) | instskip(NEXT) | instid1(VALU_DEP_3)
	v_mad_u64_u32 v[3:4], null, v9, v10, 0
	v_mad_u64_u32 v[5:6], null, v11, v7, 0
	;; [unrolled: 1-line block ×3, first 2 shown]
	s_delay_alu instid0(VALU_DEP_3) | instskip(NEXT) | instid1(VALU_DEP_4)
	v_add_co_u32 v3, vcc_lo, v13, v3
	v_add_co_ci_u32_e32 v4, vcc_lo, 0, v4, vcc_lo
	s_delay_alu instid0(VALU_DEP_2) | instskip(NEXT) | instid1(VALU_DEP_2)
	v_add_co_u32 v3, vcc_lo, v3, v5
	v_add_co_ci_u32_e32 v3, vcc_lo, v4, v6, vcc_lo
	v_add_co_ci_u32_e32 v4, vcc_lo, 0, v8, vcc_lo
	s_delay_alu instid0(VALU_DEP_2) | instskip(NEXT) | instid1(VALU_DEP_2)
	v_add_co_u32 v5, vcc_lo, v3, v7
	v_add_co_ci_u32_e32 v6, vcc_lo, 0, v4, vcc_lo
	s_delay_alu instid0(VALU_DEP_2) | instskip(SKIP_1) | instid1(VALU_DEP_3)
	v_mul_lo_u32 v7, s5, v5
	v_mad_u64_u32 v[3:4], null, s4, v5, 0
	v_mul_lo_u32 v8, s4, v6
	s_delay_alu instid0(VALU_DEP_2) | instskip(NEXT) | instid1(VALU_DEP_2)
	v_sub_co_u32 v3, vcc_lo, v9, v3
	v_add3_u32 v4, v4, v8, v7
	s_delay_alu instid0(VALU_DEP_1) | instskip(NEXT) | instid1(VALU_DEP_1)
	v_sub_nc_u32_e32 v7, v11, v4
	v_subrev_co_ci_u32_e64 v7, s0, s5, v7, vcc_lo
	v_add_co_u32 v8, s0, v5, 2
	s_delay_alu instid0(VALU_DEP_1) | instskip(SKIP_3) | instid1(VALU_DEP_3)
	v_add_co_ci_u32_e64 v9, s0, 0, v6, s0
	v_sub_co_u32 v10, s0, v3, s4
	v_sub_co_ci_u32_e32 v4, vcc_lo, v11, v4, vcc_lo
	v_subrev_co_ci_u32_e64 v7, s0, 0, v7, s0
	v_cmp_le_u32_e32 vcc_lo, s4, v10
	s_delay_alu instid0(VALU_DEP_3) | instskip(SKIP_1) | instid1(VALU_DEP_4)
	v_cmp_eq_u32_e64 s0, s5, v4
	v_cndmask_b32_e64 v10, 0, -1, vcc_lo
	v_cmp_le_u32_e32 vcc_lo, s5, v7
	v_cndmask_b32_e64 v11, 0, -1, vcc_lo
	v_cmp_le_u32_e32 vcc_lo, s4, v3
	;; [unrolled: 2-line block ×3, first 2 shown]
	v_cndmask_b32_e64 v13, 0, -1, vcc_lo
	v_cmp_eq_u32_e32 vcc_lo, s5, v7
	s_delay_alu instid0(VALU_DEP_2) | instskip(SKIP_3) | instid1(VALU_DEP_3)
	v_cndmask_b32_e64 v3, v13, v3, s0
	v_cndmask_b32_e32 v7, v11, v10, vcc_lo
	v_add_co_u32 v10, vcc_lo, v5, 1
	v_add_co_ci_u32_e32 v11, vcc_lo, 0, v6, vcc_lo
	v_cmp_ne_u32_e32 vcc_lo, 0, v7
	s_delay_alu instid0(VALU_DEP_2) | instskip(SKIP_2) | instid1(VALU_DEP_3)
	v_dual_cndmask_b32 v4, v11, v9 :: v_dual_cndmask_b32 v7, v10, v8
	v_cmp_ne_u32_e32 vcc_lo, 0, v3
	v_xor_b32_e32 v8, s2, v12
	v_dual_cndmask_b32 v3, v6, v4 :: v_dual_cndmask_b32 v4, v5, v7
	s_delay_alu instid0(VALU_DEP_1) | instskip(NEXT) | instid1(VALU_DEP_2)
	v_xor_b32_e32 v5, v3, v8
	v_xor_b32_e32 v4, v4, v8
	s_delay_alu instid0(VALU_DEP_1) | instskip(NEXT) | instid1(VALU_DEP_3)
	v_sub_co_u32 v3, vcc_lo, v4, v8
	v_sub_co_ci_u32_e32 v4, vcc_lo, v5, v8, vcc_lo
                                        ; implicit-def: $vgpr5
.LBB1159_132:
	s_and_not1_saveexec_b32 s0, s6
	s_cbranch_execz .LBB1159_134
; %bb.133:
	v_cvt_f32_u32_e32 v3, s38
	s_sub_i32 s2, 0, s38
	s_delay_alu instid0(VALU_DEP_1) | instskip(SKIP_2) | instid1(VALU_DEP_1)
	v_rcp_iflag_f32_e32 v3, v3
	s_waitcnt_depctr 0xfff
	v_mul_f32_e32 v3, 0x4f7ffffe, v3
	v_cvt_u32_f32_e32 v3, v3
	s_delay_alu instid0(VALU_DEP_1) | instskip(NEXT) | instid1(VALU_DEP_1)
	v_mul_lo_u32 v4, s2, v3
	v_mul_hi_u32 v4, v3, v4
	s_delay_alu instid0(VALU_DEP_1) | instskip(NEXT) | instid1(VALU_DEP_1)
	v_add_nc_u32_e32 v3, v3, v4
	v_mul_hi_u32 v3, v5, v3
	s_delay_alu instid0(VALU_DEP_1) | instskip(NEXT) | instid1(VALU_DEP_1)
	v_mul_lo_u32 v4, v3, s38
	v_sub_nc_u32_e32 v4, v5, v4
	v_add_nc_u32_e32 v5, 1, v3
	s_delay_alu instid0(VALU_DEP_2) | instskip(SKIP_1) | instid1(VALU_DEP_2)
	v_subrev_nc_u32_e32 v6, s38, v4
	v_cmp_le_u32_e32 vcc_lo, s38, v4
	v_dual_cndmask_b32 v4, v4, v6 :: v_dual_cndmask_b32 v3, v3, v5
	s_delay_alu instid0(VALU_DEP_1) | instskip(NEXT) | instid1(VALU_DEP_2)
	v_cmp_le_u32_e32 vcc_lo, s38, v4
	v_dual_mov_b32 v4, 0 :: v_dual_add_nc_u32 v5, 1, v3
	s_delay_alu instid0(VALU_DEP_1)
	v_cndmask_b32_e32 v3, v3, v5, vcc_lo
.LBB1159_134:
	s_or_b32 exec_lo, exec_lo, s0
.LBB1159_135:
	s_delay_alu instid0(SALU_CYCLE_1) | instskip(SKIP_1) | instid1(VALU_DEP_1)
	s_or_b32 exec_lo, exec_lo, s1
	v_or_b32_e32 v35, 0x200, v0
                                        ; implicit-def: $vgpr5_vgpr6
	v_cmp_gt_u32_e64 s12, s33, v35
	s_delay_alu instid0(VALU_DEP_1)
	s_and_saveexec_b32 s1, s12
	s_cbranch_execz .LBB1159_141
; %bb.136:
	v_add_co_u32 v7, s0, s24, v35
	s_delay_alu instid0(VALU_DEP_1) | instskip(SKIP_1) | instid1(VALU_DEP_2)
	v_add_co_ci_u32_e64 v8, null, s25, 0, s0
	v_mov_b32_e32 v5, 0
	v_or_b32_e32 v6, s39, v8
	s_delay_alu instid0(VALU_DEP_1) | instskip(SKIP_1) | instid1(SALU_CYCLE_1)
	v_cmp_ne_u64_e32 vcc_lo, 0, v[5:6]
                                        ; implicit-def: $vgpr5_vgpr6
	s_and_saveexec_b32 s0, vcc_lo
	s_xor_b32 s6, exec_lo, s0
	s_cbranch_execz .LBB1159_138
; %bb.137:
	s_ashr_i32 s2, s39, 31
	s_delay_alu instid0(SALU_CYCLE_1) | instskip(SKIP_2) | instid1(SALU_CYCLE_1)
	s_add_u32 s4, s38, s2
	s_mov_b32 s3, s2
	s_addc_u32 s5, s39, s2
	s_xor_b64 s[4:5], s[4:5], s[2:3]
	s_delay_alu instid0(SALU_CYCLE_1) | instskip(SKIP_3) | instid1(VALU_DEP_1)
	v_cvt_f32_u32_e32 v5, s4
	v_cvt_f32_u32_e32 v6, s5
	s_sub_u32 s0, 0, s4
	s_subb_u32 s3, 0, s5
	v_fmamk_f32 v5, v6, 0x4f800000, v5
	s_delay_alu instid0(VALU_DEP_1) | instskip(SKIP_2) | instid1(VALU_DEP_1)
	v_rcp_f32_e32 v5, v5
	s_waitcnt_depctr 0xfff
	v_mul_f32_e32 v5, 0x5f7ffffc, v5
	v_mul_f32_e32 v6, 0x2f800000, v5
	s_delay_alu instid0(VALU_DEP_1) | instskip(NEXT) | instid1(VALU_DEP_1)
	v_trunc_f32_e32 v6, v6
	v_fmamk_f32 v5, v6, 0xcf800000, v5
	v_cvt_u32_f32_e32 v6, v6
	s_delay_alu instid0(VALU_DEP_2) | instskip(NEXT) | instid1(VALU_DEP_2)
	v_cvt_u32_f32_e32 v5, v5
	v_mul_lo_u32 v9, s0, v6
	s_delay_alu instid0(VALU_DEP_2) | instskip(SKIP_1) | instid1(VALU_DEP_2)
	v_mul_hi_u32 v10, s0, v5
	v_mul_lo_u32 v11, s3, v5
	v_add_nc_u32_e32 v9, v10, v9
	v_mul_lo_u32 v10, s0, v5
	s_delay_alu instid0(VALU_DEP_2) | instskip(NEXT) | instid1(VALU_DEP_2)
	v_add_nc_u32_e32 v9, v9, v11
	v_mul_hi_u32 v11, v5, v10
	s_delay_alu instid0(VALU_DEP_2)
	v_mul_lo_u32 v12, v5, v9
	v_mul_hi_u32 v13, v5, v9
	v_mul_hi_u32 v14, v6, v10
	v_mul_lo_u32 v10, v6, v10
	v_mul_hi_u32 v15, v6, v9
	v_mul_lo_u32 v9, v6, v9
	v_add_co_u32 v11, vcc_lo, v11, v12
	v_add_co_ci_u32_e32 v12, vcc_lo, 0, v13, vcc_lo
	s_delay_alu instid0(VALU_DEP_2) | instskip(NEXT) | instid1(VALU_DEP_2)
	v_add_co_u32 v10, vcc_lo, v11, v10
	v_add_co_ci_u32_e32 v10, vcc_lo, v12, v14, vcc_lo
	v_add_co_ci_u32_e32 v11, vcc_lo, 0, v15, vcc_lo
	v_ashrrev_i32_e32 v14, 31, v8
	s_delay_alu instid0(VALU_DEP_3) | instskip(NEXT) | instid1(VALU_DEP_3)
	v_add_co_u32 v9, vcc_lo, v10, v9
	v_add_co_ci_u32_e32 v10, vcc_lo, 0, v11, vcc_lo
	s_delay_alu instid0(VALU_DEP_2) | instskip(NEXT) | instid1(VALU_DEP_2)
	v_add_co_u32 v5, vcc_lo, v5, v9
	v_add_co_ci_u32_e32 v6, vcc_lo, v6, v10, vcc_lo
	s_delay_alu instid0(VALU_DEP_2) | instskip(SKIP_1) | instid1(VALU_DEP_3)
	v_mul_hi_u32 v9, s0, v5
	v_mul_lo_u32 v11, s3, v5
	v_mul_lo_u32 v10, s0, v6
	s_delay_alu instid0(VALU_DEP_1) | instskip(SKIP_1) | instid1(VALU_DEP_2)
	v_add_nc_u32_e32 v9, v9, v10
	v_mul_lo_u32 v10, s0, v5
	v_add_nc_u32_e32 v9, v9, v11
	s_delay_alu instid0(VALU_DEP_2) | instskip(NEXT) | instid1(VALU_DEP_2)
	v_mul_hi_u32 v11, v5, v10
	v_mul_lo_u32 v12, v5, v9
	v_mul_hi_u32 v13, v5, v9
	v_mul_hi_u32 v15, v6, v10
	v_mul_lo_u32 v10, v6, v10
	v_mul_hi_u32 v16, v6, v9
	v_mul_lo_u32 v9, v6, v9
	v_add_co_u32 v11, vcc_lo, v11, v12
	v_add_co_ci_u32_e32 v12, vcc_lo, 0, v13, vcc_lo
	s_delay_alu instid0(VALU_DEP_2) | instskip(NEXT) | instid1(VALU_DEP_2)
	v_add_co_u32 v10, vcc_lo, v11, v10
	v_add_co_ci_u32_e32 v10, vcc_lo, v12, v15, vcc_lo
	v_add_co_ci_u32_e32 v11, vcc_lo, 0, v16, vcc_lo
	v_add_co_u32 v7, vcc_lo, v7, v14
	v_add_co_ci_u32_e32 v8, vcc_lo, v8, v14, vcc_lo
	s_delay_alu instid0(VALU_DEP_4) | instskip(NEXT) | instid1(VALU_DEP_4)
	v_add_co_u32 v9, vcc_lo, v10, v9
	v_add_co_ci_u32_e32 v10, vcc_lo, 0, v11, vcc_lo
	s_delay_alu instid0(VALU_DEP_4) | instskip(NEXT) | instid1(VALU_DEP_3)
	v_xor_b32_e32 v11, v7, v14
	v_add_co_u32 v9, vcc_lo, v5, v9
	s_delay_alu instid0(VALU_DEP_3) | instskip(SKIP_1) | instid1(VALU_DEP_3)
	v_add_co_ci_u32_e32 v12, vcc_lo, v6, v10, vcc_lo
	v_xor_b32_e32 v13, v8, v14
	v_mul_hi_u32 v15, v11, v9
	s_delay_alu instid0(VALU_DEP_3) | instskip(NEXT) | instid1(VALU_DEP_3)
	v_mad_u64_u32 v[5:6], null, v11, v12, 0
	v_mad_u64_u32 v[7:8], null, v13, v9, 0
	v_mad_u64_u32 v[9:10], null, v13, v12, 0
	s_delay_alu instid0(VALU_DEP_3) | instskip(NEXT) | instid1(VALU_DEP_4)
	v_add_co_u32 v5, vcc_lo, v15, v5
	v_add_co_ci_u32_e32 v6, vcc_lo, 0, v6, vcc_lo
	s_delay_alu instid0(VALU_DEP_2) | instskip(NEXT) | instid1(VALU_DEP_2)
	v_add_co_u32 v5, vcc_lo, v5, v7
	v_add_co_ci_u32_e32 v5, vcc_lo, v6, v8, vcc_lo
	v_add_co_ci_u32_e32 v6, vcc_lo, 0, v10, vcc_lo
	s_delay_alu instid0(VALU_DEP_2) | instskip(NEXT) | instid1(VALU_DEP_2)
	v_add_co_u32 v7, vcc_lo, v5, v9
	v_add_co_ci_u32_e32 v8, vcc_lo, 0, v6, vcc_lo
	s_delay_alu instid0(VALU_DEP_2) | instskip(SKIP_1) | instid1(VALU_DEP_3)
	v_mul_lo_u32 v9, s5, v7
	v_mad_u64_u32 v[5:6], null, s4, v7, 0
	v_mul_lo_u32 v10, s4, v8
	s_delay_alu instid0(VALU_DEP_2) | instskip(NEXT) | instid1(VALU_DEP_2)
	v_sub_co_u32 v5, vcc_lo, v11, v5
	v_add3_u32 v6, v6, v10, v9
	s_delay_alu instid0(VALU_DEP_1) | instskip(NEXT) | instid1(VALU_DEP_1)
	v_sub_nc_u32_e32 v9, v13, v6
	v_subrev_co_ci_u32_e64 v9, s0, s5, v9, vcc_lo
	v_add_co_u32 v10, s0, v7, 2
	s_delay_alu instid0(VALU_DEP_1) | instskip(SKIP_3) | instid1(VALU_DEP_3)
	v_add_co_ci_u32_e64 v11, s0, 0, v8, s0
	v_sub_co_u32 v12, s0, v5, s4
	v_sub_co_ci_u32_e32 v6, vcc_lo, v13, v6, vcc_lo
	v_subrev_co_ci_u32_e64 v9, s0, 0, v9, s0
	v_cmp_le_u32_e32 vcc_lo, s4, v12
	s_delay_alu instid0(VALU_DEP_3) | instskip(SKIP_1) | instid1(VALU_DEP_4)
	v_cmp_eq_u32_e64 s0, s5, v6
	v_cndmask_b32_e64 v12, 0, -1, vcc_lo
	v_cmp_le_u32_e32 vcc_lo, s5, v9
	v_cndmask_b32_e64 v13, 0, -1, vcc_lo
	v_cmp_le_u32_e32 vcc_lo, s4, v5
	;; [unrolled: 2-line block ×3, first 2 shown]
	v_cndmask_b32_e64 v15, 0, -1, vcc_lo
	v_cmp_eq_u32_e32 vcc_lo, s5, v9
	s_delay_alu instid0(VALU_DEP_2) | instskip(SKIP_3) | instid1(VALU_DEP_3)
	v_cndmask_b32_e64 v5, v15, v5, s0
	v_cndmask_b32_e32 v9, v13, v12, vcc_lo
	v_add_co_u32 v12, vcc_lo, v7, 1
	v_add_co_ci_u32_e32 v13, vcc_lo, 0, v8, vcc_lo
	v_cmp_ne_u32_e32 vcc_lo, 0, v9
	s_delay_alu instid0(VALU_DEP_2) | instskip(SKIP_2) | instid1(VALU_DEP_3)
	v_dual_cndmask_b32 v6, v13, v11 :: v_dual_cndmask_b32 v9, v12, v10
	v_cmp_ne_u32_e32 vcc_lo, 0, v5
	v_xor_b32_e32 v10, s2, v14
	v_dual_cndmask_b32 v5, v8, v6 :: v_dual_cndmask_b32 v6, v7, v9
	s_delay_alu instid0(VALU_DEP_1) | instskip(NEXT) | instid1(VALU_DEP_2)
	v_xor_b32_e32 v7, v5, v10
	v_xor_b32_e32 v6, v6, v10
	s_delay_alu instid0(VALU_DEP_1) | instskip(NEXT) | instid1(VALU_DEP_3)
	v_sub_co_u32 v5, vcc_lo, v6, v10
	v_sub_co_ci_u32_e32 v6, vcc_lo, v7, v10, vcc_lo
                                        ; implicit-def: $vgpr7
.LBB1159_138:
	s_and_not1_saveexec_b32 s0, s6
	s_cbranch_execz .LBB1159_140
; %bb.139:
	v_cvt_f32_u32_e32 v5, s38
	s_sub_i32 s2, 0, s38
	s_delay_alu instid0(VALU_DEP_1) | instskip(SKIP_2) | instid1(VALU_DEP_1)
	v_rcp_iflag_f32_e32 v5, v5
	s_waitcnt_depctr 0xfff
	v_mul_f32_e32 v5, 0x4f7ffffe, v5
	v_cvt_u32_f32_e32 v5, v5
	s_delay_alu instid0(VALU_DEP_1) | instskip(NEXT) | instid1(VALU_DEP_1)
	v_mul_lo_u32 v6, s2, v5
	v_mul_hi_u32 v6, v5, v6
	s_delay_alu instid0(VALU_DEP_1) | instskip(NEXT) | instid1(VALU_DEP_1)
	v_add_nc_u32_e32 v5, v5, v6
	v_mul_hi_u32 v5, v7, v5
	s_delay_alu instid0(VALU_DEP_1) | instskip(NEXT) | instid1(VALU_DEP_1)
	v_mul_lo_u32 v6, v5, s38
	v_sub_nc_u32_e32 v6, v7, v6
	v_add_nc_u32_e32 v7, 1, v5
	s_delay_alu instid0(VALU_DEP_2) | instskip(SKIP_1) | instid1(VALU_DEP_2)
	v_subrev_nc_u32_e32 v8, s38, v6
	v_cmp_le_u32_e32 vcc_lo, s38, v6
	v_dual_cndmask_b32 v6, v6, v8 :: v_dual_cndmask_b32 v5, v5, v7
	s_delay_alu instid0(VALU_DEP_1) | instskip(NEXT) | instid1(VALU_DEP_2)
	v_cmp_le_u32_e32 vcc_lo, s38, v6
	v_dual_mov_b32 v6, 0 :: v_dual_add_nc_u32 v7, 1, v5
	s_delay_alu instid0(VALU_DEP_1)
	v_cndmask_b32_e32 v5, v5, v7, vcc_lo
.LBB1159_140:
	s_or_b32 exec_lo, exec_lo, s0
.LBB1159_141:
	s_delay_alu instid0(SALU_CYCLE_1) | instskip(SKIP_1) | instid1(VALU_DEP_1)
	s_or_b32 exec_lo, exec_lo, s1
	v_or_b32_e32 v37, 0x300, v0
                                        ; implicit-def: $vgpr7_vgpr8
	v_cmp_gt_u32_e64 s11, s33, v37
	s_delay_alu instid0(VALU_DEP_1)
	s_and_saveexec_b32 s1, s11
	s_cbranch_execz .LBB1159_147
; %bb.142:
	v_add_co_u32 v9, s0, s24, v37
	s_delay_alu instid0(VALU_DEP_1) | instskip(SKIP_1) | instid1(VALU_DEP_2)
	v_add_co_ci_u32_e64 v10, null, s25, 0, s0
	v_mov_b32_e32 v7, 0
	v_or_b32_e32 v8, s39, v10
	s_delay_alu instid0(VALU_DEP_1) | instskip(SKIP_1) | instid1(SALU_CYCLE_1)
	v_cmp_ne_u64_e32 vcc_lo, 0, v[7:8]
                                        ; implicit-def: $vgpr7_vgpr8
	s_and_saveexec_b32 s0, vcc_lo
	s_xor_b32 s6, exec_lo, s0
	s_cbranch_execz .LBB1159_144
; %bb.143:
	s_ashr_i32 s2, s39, 31
	s_delay_alu instid0(SALU_CYCLE_1) | instskip(SKIP_2) | instid1(SALU_CYCLE_1)
	s_add_u32 s4, s38, s2
	s_mov_b32 s3, s2
	s_addc_u32 s5, s39, s2
	s_xor_b64 s[4:5], s[4:5], s[2:3]
	s_delay_alu instid0(SALU_CYCLE_1) | instskip(SKIP_3) | instid1(VALU_DEP_1)
	v_cvt_f32_u32_e32 v7, s4
	v_cvt_f32_u32_e32 v8, s5
	s_sub_u32 s0, 0, s4
	s_subb_u32 s3, 0, s5
	v_fmamk_f32 v7, v8, 0x4f800000, v7
	s_delay_alu instid0(VALU_DEP_1) | instskip(SKIP_2) | instid1(VALU_DEP_1)
	v_rcp_f32_e32 v7, v7
	s_waitcnt_depctr 0xfff
	v_mul_f32_e32 v7, 0x5f7ffffc, v7
	v_mul_f32_e32 v8, 0x2f800000, v7
	s_delay_alu instid0(VALU_DEP_1) | instskip(NEXT) | instid1(VALU_DEP_1)
	v_trunc_f32_e32 v8, v8
	v_fmamk_f32 v7, v8, 0xcf800000, v7
	v_cvt_u32_f32_e32 v8, v8
	s_delay_alu instid0(VALU_DEP_2) | instskip(NEXT) | instid1(VALU_DEP_2)
	v_cvt_u32_f32_e32 v7, v7
	v_mul_lo_u32 v11, s0, v8
	s_delay_alu instid0(VALU_DEP_2) | instskip(SKIP_1) | instid1(VALU_DEP_2)
	v_mul_hi_u32 v12, s0, v7
	v_mul_lo_u32 v13, s3, v7
	v_add_nc_u32_e32 v11, v12, v11
	v_mul_lo_u32 v12, s0, v7
	s_delay_alu instid0(VALU_DEP_2) | instskip(NEXT) | instid1(VALU_DEP_2)
	v_add_nc_u32_e32 v11, v11, v13
	v_mul_hi_u32 v13, v7, v12
	s_delay_alu instid0(VALU_DEP_2)
	v_mul_lo_u32 v14, v7, v11
	v_mul_hi_u32 v15, v7, v11
	v_mul_hi_u32 v16, v8, v12
	v_mul_lo_u32 v12, v8, v12
	v_mul_hi_u32 v17, v8, v11
	v_mul_lo_u32 v11, v8, v11
	v_add_co_u32 v13, vcc_lo, v13, v14
	v_add_co_ci_u32_e32 v14, vcc_lo, 0, v15, vcc_lo
	s_delay_alu instid0(VALU_DEP_2) | instskip(NEXT) | instid1(VALU_DEP_2)
	v_add_co_u32 v12, vcc_lo, v13, v12
	v_add_co_ci_u32_e32 v12, vcc_lo, v14, v16, vcc_lo
	v_add_co_ci_u32_e32 v13, vcc_lo, 0, v17, vcc_lo
	v_ashrrev_i32_e32 v16, 31, v10
	s_delay_alu instid0(VALU_DEP_3) | instskip(NEXT) | instid1(VALU_DEP_3)
	v_add_co_u32 v11, vcc_lo, v12, v11
	v_add_co_ci_u32_e32 v12, vcc_lo, 0, v13, vcc_lo
	s_delay_alu instid0(VALU_DEP_2) | instskip(NEXT) | instid1(VALU_DEP_2)
	v_add_co_u32 v7, vcc_lo, v7, v11
	v_add_co_ci_u32_e32 v8, vcc_lo, v8, v12, vcc_lo
	s_delay_alu instid0(VALU_DEP_2) | instskip(SKIP_1) | instid1(VALU_DEP_3)
	v_mul_hi_u32 v11, s0, v7
	v_mul_lo_u32 v13, s3, v7
	v_mul_lo_u32 v12, s0, v8
	s_delay_alu instid0(VALU_DEP_1) | instskip(SKIP_1) | instid1(VALU_DEP_2)
	v_add_nc_u32_e32 v11, v11, v12
	v_mul_lo_u32 v12, s0, v7
	v_add_nc_u32_e32 v11, v11, v13
	s_delay_alu instid0(VALU_DEP_2) | instskip(NEXT) | instid1(VALU_DEP_2)
	v_mul_hi_u32 v13, v7, v12
	v_mul_lo_u32 v14, v7, v11
	v_mul_hi_u32 v15, v7, v11
	v_mul_hi_u32 v17, v8, v12
	v_mul_lo_u32 v12, v8, v12
	v_mul_hi_u32 v18, v8, v11
	v_mul_lo_u32 v11, v8, v11
	v_add_co_u32 v13, vcc_lo, v13, v14
	v_add_co_ci_u32_e32 v14, vcc_lo, 0, v15, vcc_lo
	s_delay_alu instid0(VALU_DEP_2) | instskip(NEXT) | instid1(VALU_DEP_2)
	v_add_co_u32 v12, vcc_lo, v13, v12
	v_add_co_ci_u32_e32 v12, vcc_lo, v14, v17, vcc_lo
	v_add_co_ci_u32_e32 v13, vcc_lo, 0, v18, vcc_lo
	v_add_co_u32 v9, vcc_lo, v9, v16
	v_add_co_ci_u32_e32 v10, vcc_lo, v10, v16, vcc_lo
	s_delay_alu instid0(VALU_DEP_4) | instskip(NEXT) | instid1(VALU_DEP_4)
	v_add_co_u32 v11, vcc_lo, v12, v11
	v_add_co_ci_u32_e32 v12, vcc_lo, 0, v13, vcc_lo
	s_delay_alu instid0(VALU_DEP_4) | instskip(NEXT) | instid1(VALU_DEP_3)
	v_xor_b32_e32 v13, v9, v16
	v_add_co_u32 v11, vcc_lo, v7, v11
	s_delay_alu instid0(VALU_DEP_3) | instskip(SKIP_1) | instid1(VALU_DEP_3)
	v_add_co_ci_u32_e32 v14, vcc_lo, v8, v12, vcc_lo
	v_xor_b32_e32 v15, v10, v16
	v_mul_hi_u32 v17, v13, v11
	s_delay_alu instid0(VALU_DEP_3) | instskip(NEXT) | instid1(VALU_DEP_3)
	v_mad_u64_u32 v[7:8], null, v13, v14, 0
	v_mad_u64_u32 v[9:10], null, v15, v11, 0
	;; [unrolled: 1-line block ×3, first 2 shown]
	s_delay_alu instid0(VALU_DEP_3) | instskip(NEXT) | instid1(VALU_DEP_4)
	v_add_co_u32 v7, vcc_lo, v17, v7
	v_add_co_ci_u32_e32 v8, vcc_lo, 0, v8, vcc_lo
	s_delay_alu instid0(VALU_DEP_2) | instskip(NEXT) | instid1(VALU_DEP_2)
	v_add_co_u32 v7, vcc_lo, v7, v9
	v_add_co_ci_u32_e32 v7, vcc_lo, v8, v10, vcc_lo
	v_add_co_ci_u32_e32 v8, vcc_lo, 0, v12, vcc_lo
	s_delay_alu instid0(VALU_DEP_2) | instskip(NEXT) | instid1(VALU_DEP_2)
	v_add_co_u32 v9, vcc_lo, v7, v11
	v_add_co_ci_u32_e32 v10, vcc_lo, 0, v8, vcc_lo
	s_delay_alu instid0(VALU_DEP_2) | instskip(SKIP_1) | instid1(VALU_DEP_3)
	v_mul_lo_u32 v11, s5, v9
	v_mad_u64_u32 v[7:8], null, s4, v9, 0
	v_mul_lo_u32 v12, s4, v10
	s_delay_alu instid0(VALU_DEP_2) | instskip(NEXT) | instid1(VALU_DEP_2)
	v_sub_co_u32 v7, vcc_lo, v13, v7
	v_add3_u32 v8, v8, v12, v11
	s_delay_alu instid0(VALU_DEP_1) | instskip(NEXT) | instid1(VALU_DEP_1)
	v_sub_nc_u32_e32 v11, v15, v8
	v_subrev_co_ci_u32_e64 v11, s0, s5, v11, vcc_lo
	v_add_co_u32 v12, s0, v9, 2
	s_delay_alu instid0(VALU_DEP_1) | instskip(SKIP_3) | instid1(VALU_DEP_3)
	v_add_co_ci_u32_e64 v13, s0, 0, v10, s0
	v_sub_co_u32 v14, s0, v7, s4
	v_sub_co_ci_u32_e32 v8, vcc_lo, v15, v8, vcc_lo
	v_subrev_co_ci_u32_e64 v11, s0, 0, v11, s0
	v_cmp_le_u32_e32 vcc_lo, s4, v14
	s_delay_alu instid0(VALU_DEP_3) | instskip(SKIP_1) | instid1(VALU_DEP_4)
	v_cmp_eq_u32_e64 s0, s5, v8
	v_cndmask_b32_e64 v14, 0, -1, vcc_lo
	v_cmp_le_u32_e32 vcc_lo, s5, v11
	v_cndmask_b32_e64 v15, 0, -1, vcc_lo
	v_cmp_le_u32_e32 vcc_lo, s4, v7
	;; [unrolled: 2-line block ×3, first 2 shown]
	v_cndmask_b32_e64 v17, 0, -1, vcc_lo
	v_cmp_eq_u32_e32 vcc_lo, s5, v11
	s_delay_alu instid0(VALU_DEP_2) | instskip(SKIP_3) | instid1(VALU_DEP_3)
	v_cndmask_b32_e64 v7, v17, v7, s0
	v_cndmask_b32_e32 v11, v15, v14, vcc_lo
	v_add_co_u32 v14, vcc_lo, v9, 1
	v_add_co_ci_u32_e32 v15, vcc_lo, 0, v10, vcc_lo
	v_cmp_ne_u32_e32 vcc_lo, 0, v11
	s_delay_alu instid0(VALU_DEP_2) | instskip(SKIP_2) | instid1(VALU_DEP_3)
	v_dual_cndmask_b32 v8, v15, v13 :: v_dual_cndmask_b32 v11, v14, v12
	v_cmp_ne_u32_e32 vcc_lo, 0, v7
	v_xor_b32_e32 v12, s2, v16
	v_dual_cndmask_b32 v7, v10, v8 :: v_dual_cndmask_b32 v8, v9, v11
	s_delay_alu instid0(VALU_DEP_1) | instskip(NEXT) | instid1(VALU_DEP_2)
	v_xor_b32_e32 v9, v7, v12
	v_xor_b32_e32 v8, v8, v12
	s_delay_alu instid0(VALU_DEP_1) | instskip(NEXT) | instid1(VALU_DEP_3)
	v_sub_co_u32 v7, vcc_lo, v8, v12
	v_sub_co_ci_u32_e32 v8, vcc_lo, v9, v12, vcc_lo
                                        ; implicit-def: $vgpr9
.LBB1159_144:
	s_and_not1_saveexec_b32 s0, s6
	s_cbranch_execz .LBB1159_146
; %bb.145:
	v_cvt_f32_u32_e32 v7, s38
	s_sub_i32 s2, 0, s38
	s_delay_alu instid0(VALU_DEP_1) | instskip(SKIP_2) | instid1(VALU_DEP_1)
	v_rcp_iflag_f32_e32 v7, v7
	s_waitcnt_depctr 0xfff
	v_mul_f32_e32 v7, 0x4f7ffffe, v7
	v_cvt_u32_f32_e32 v7, v7
	s_delay_alu instid0(VALU_DEP_1) | instskip(NEXT) | instid1(VALU_DEP_1)
	v_mul_lo_u32 v8, s2, v7
	v_mul_hi_u32 v8, v7, v8
	s_delay_alu instid0(VALU_DEP_1) | instskip(NEXT) | instid1(VALU_DEP_1)
	v_add_nc_u32_e32 v7, v7, v8
	v_mul_hi_u32 v7, v9, v7
	s_delay_alu instid0(VALU_DEP_1) | instskip(NEXT) | instid1(VALU_DEP_1)
	v_mul_lo_u32 v8, v7, s38
	v_sub_nc_u32_e32 v8, v9, v8
	v_add_nc_u32_e32 v9, 1, v7
	s_delay_alu instid0(VALU_DEP_2) | instskip(SKIP_1) | instid1(VALU_DEP_2)
	v_subrev_nc_u32_e32 v10, s38, v8
	v_cmp_le_u32_e32 vcc_lo, s38, v8
	v_dual_cndmask_b32 v8, v8, v10 :: v_dual_cndmask_b32 v7, v7, v9
	s_delay_alu instid0(VALU_DEP_1) | instskip(NEXT) | instid1(VALU_DEP_2)
	v_cmp_le_u32_e32 vcc_lo, s38, v8
	v_dual_mov_b32 v8, 0 :: v_dual_add_nc_u32 v9, 1, v7
	s_delay_alu instid0(VALU_DEP_1)
	v_cndmask_b32_e32 v7, v7, v9, vcc_lo
.LBB1159_146:
	s_or_b32 exec_lo, exec_lo, s0
.LBB1159_147:
	s_delay_alu instid0(SALU_CYCLE_1) | instskip(SKIP_1) | instid1(VALU_DEP_1)
	s_or_b32 exec_lo, exec_lo, s1
	v_or_b32_e32 v39, 0x400, v0
                                        ; implicit-def: $vgpr9_vgpr10
	v_cmp_gt_u32_e64 s10, s33, v39
	s_delay_alu instid0(VALU_DEP_1)
	s_and_saveexec_b32 s1, s10
	s_cbranch_execz .LBB1159_153
; %bb.148:
	v_add_co_u32 v11, s0, s24, v39
	s_delay_alu instid0(VALU_DEP_1) | instskip(SKIP_1) | instid1(VALU_DEP_2)
	v_add_co_ci_u32_e64 v12, null, s25, 0, s0
	v_mov_b32_e32 v9, 0
	v_or_b32_e32 v10, s39, v12
	s_delay_alu instid0(VALU_DEP_1) | instskip(SKIP_1) | instid1(SALU_CYCLE_1)
	v_cmp_ne_u64_e32 vcc_lo, 0, v[9:10]
                                        ; implicit-def: $vgpr9_vgpr10
	s_and_saveexec_b32 s0, vcc_lo
	s_xor_b32 s6, exec_lo, s0
	s_cbranch_execz .LBB1159_150
; %bb.149:
	s_ashr_i32 s2, s39, 31
	s_delay_alu instid0(SALU_CYCLE_1) | instskip(SKIP_2) | instid1(SALU_CYCLE_1)
	s_add_u32 s4, s38, s2
	s_mov_b32 s3, s2
	s_addc_u32 s5, s39, s2
	s_xor_b64 s[4:5], s[4:5], s[2:3]
	s_delay_alu instid0(SALU_CYCLE_1) | instskip(SKIP_3) | instid1(VALU_DEP_1)
	v_cvt_f32_u32_e32 v9, s4
	v_cvt_f32_u32_e32 v10, s5
	s_sub_u32 s0, 0, s4
	s_subb_u32 s3, 0, s5
	v_fmamk_f32 v9, v10, 0x4f800000, v9
	s_delay_alu instid0(VALU_DEP_1) | instskip(SKIP_2) | instid1(VALU_DEP_1)
	v_rcp_f32_e32 v9, v9
	s_waitcnt_depctr 0xfff
	v_mul_f32_e32 v9, 0x5f7ffffc, v9
	v_mul_f32_e32 v10, 0x2f800000, v9
	s_delay_alu instid0(VALU_DEP_1) | instskip(NEXT) | instid1(VALU_DEP_1)
	v_trunc_f32_e32 v10, v10
	v_fmamk_f32 v9, v10, 0xcf800000, v9
	v_cvt_u32_f32_e32 v10, v10
	s_delay_alu instid0(VALU_DEP_2) | instskip(NEXT) | instid1(VALU_DEP_2)
	v_cvt_u32_f32_e32 v9, v9
	v_mul_lo_u32 v13, s0, v10
	s_delay_alu instid0(VALU_DEP_2) | instskip(SKIP_1) | instid1(VALU_DEP_2)
	v_mul_hi_u32 v14, s0, v9
	v_mul_lo_u32 v15, s3, v9
	v_add_nc_u32_e32 v13, v14, v13
	v_mul_lo_u32 v14, s0, v9
	s_delay_alu instid0(VALU_DEP_2) | instskip(NEXT) | instid1(VALU_DEP_2)
	v_add_nc_u32_e32 v13, v13, v15
	v_mul_hi_u32 v15, v9, v14
	s_delay_alu instid0(VALU_DEP_2)
	v_mul_lo_u32 v16, v9, v13
	v_mul_hi_u32 v17, v9, v13
	v_mul_hi_u32 v18, v10, v14
	v_mul_lo_u32 v14, v10, v14
	v_mul_hi_u32 v19, v10, v13
	v_mul_lo_u32 v13, v10, v13
	v_add_co_u32 v15, vcc_lo, v15, v16
	v_add_co_ci_u32_e32 v16, vcc_lo, 0, v17, vcc_lo
	s_delay_alu instid0(VALU_DEP_2) | instskip(NEXT) | instid1(VALU_DEP_2)
	v_add_co_u32 v14, vcc_lo, v15, v14
	v_add_co_ci_u32_e32 v14, vcc_lo, v16, v18, vcc_lo
	v_add_co_ci_u32_e32 v15, vcc_lo, 0, v19, vcc_lo
	v_ashrrev_i32_e32 v18, 31, v12
	s_delay_alu instid0(VALU_DEP_3) | instskip(NEXT) | instid1(VALU_DEP_3)
	v_add_co_u32 v13, vcc_lo, v14, v13
	v_add_co_ci_u32_e32 v14, vcc_lo, 0, v15, vcc_lo
	s_delay_alu instid0(VALU_DEP_2) | instskip(NEXT) | instid1(VALU_DEP_2)
	v_add_co_u32 v9, vcc_lo, v9, v13
	v_add_co_ci_u32_e32 v10, vcc_lo, v10, v14, vcc_lo
	s_delay_alu instid0(VALU_DEP_2) | instskip(SKIP_1) | instid1(VALU_DEP_3)
	v_mul_hi_u32 v13, s0, v9
	v_mul_lo_u32 v15, s3, v9
	v_mul_lo_u32 v14, s0, v10
	s_delay_alu instid0(VALU_DEP_1) | instskip(SKIP_1) | instid1(VALU_DEP_2)
	v_add_nc_u32_e32 v13, v13, v14
	v_mul_lo_u32 v14, s0, v9
	v_add_nc_u32_e32 v13, v13, v15
	s_delay_alu instid0(VALU_DEP_2) | instskip(NEXT) | instid1(VALU_DEP_2)
	v_mul_hi_u32 v15, v9, v14
	v_mul_lo_u32 v16, v9, v13
	v_mul_hi_u32 v17, v9, v13
	v_mul_hi_u32 v19, v10, v14
	v_mul_lo_u32 v14, v10, v14
	v_mul_hi_u32 v20, v10, v13
	v_mul_lo_u32 v13, v10, v13
	v_add_co_u32 v15, vcc_lo, v15, v16
	v_add_co_ci_u32_e32 v16, vcc_lo, 0, v17, vcc_lo
	s_delay_alu instid0(VALU_DEP_2) | instskip(NEXT) | instid1(VALU_DEP_2)
	v_add_co_u32 v14, vcc_lo, v15, v14
	v_add_co_ci_u32_e32 v14, vcc_lo, v16, v19, vcc_lo
	v_add_co_ci_u32_e32 v15, vcc_lo, 0, v20, vcc_lo
	v_add_co_u32 v11, vcc_lo, v11, v18
	v_add_co_ci_u32_e32 v12, vcc_lo, v12, v18, vcc_lo
	s_delay_alu instid0(VALU_DEP_4) | instskip(NEXT) | instid1(VALU_DEP_4)
	v_add_co_u32 v13, vcc_lo, v14, v13
	v_add_co_ci_u32_e32 v14, vcc_lo, 0, v15, vcc_lo
	s_delay_alu instid0(VALU_DEP_4) | instskip(NEXT) | instid1(VALU_DEP_3)
	v_xor_b32_e32 v15, v11, v18
	v_add_co_u32 v13, vcc_lo, v9, v13
	s_delay_alu instid0(VALU_DEP_3) | instskip(SKIP_1) | instid1(VALU_DEP_3)
	v_add_co_ci_u32_e32 v16, vcc_lo, v10, v14, vcc_lo
	v_xor_b32_e32 v17, v12, v18
	v_mul_hi_u32 v19, v15, v13
	s_delay_alu instid0(VALU_DEP_3) | instskip(NEXT) | instid1(VALU_DEP_3)
	v_mad_u64_u32 v[9:10], null, v15, v16, 0
	v_mad_u64_u32 v[11:12], null, v17, v13, 0
	;; [unrolled: 1-line block ×3, first 2 shown]
	s_delay_alu instid0(VALU_DEP_3) | instskip(NEXT) | instid1(VALU_DEP_4)
	v_add_co_u32 v9, vcc_lo, v19, v9
	v_add_co_ci_u32_e32 v10, vcc_lo, 0, v10, vcc_lo
	s_delay_alu instid0(VALU_DEP_2) | instskip(NEXT) | instid1(VALU_DEP_2)
	v_add_co_u32 v9, vcc_lo, v9, v11
	v_add_co_ci_u32_e32 v9, vcc_lo, v10, v12, vcc_lo
	v_add_co_ci_u32_e32 v10, vcc_lo, 0, v14, vcc_lo
	s_delay_alu instid0(VALU_DEP_2) | instskip(NEXT) | instid1(VALU_DEP_2)
	v_add_co_u32 v11, vcc_lo, v9, v13
	v_add_co_ci_u32_e32 v12, vcc_lo, 0, v10, vcc_lo
	s_delay_alu instid0(VALU_DEP_2) | instskip(SKIP_1) | instid1(VALU_DEP_3)
	v_mul_lo_u32 v13, s5, v11
	v_mad_u64_u32 v[9:10], null, s4, v11, 0
	v_mul_lo_u32 v14, s4, v12
	s_delay_alu instid0(VALU_DEP_2) | instskip(NEXT) | instid1(VALU_DEP_2)
	v_sub_co_u32 v9, vcc_lo, v15, v9
	v_add3_u32 v10, v10, v14, v13
	s_delay_alu instid0(VALU_DEP_1) | instskip(NEXT) | instid1(VALU_DEP_1)
	v_sub_nc_u32_e32 v13, v17, v10
	v_subrev_co_ci_u32_e64 v13, s0, s5, v13, vcc_lo
	v_add_co_u32 v14, s0, v11, 2
	s_delay_alu instid0(VALU_DEP_1) | instskip(SKIP_3) | instid1(VALU_DEP_3)
	v_add_co_ci_u32_e64 v15, s0, 0, v12, s0
	v_sub_co_u32 v16, s0, v9, s4
	v_sub_co_ci_u32_e32 v10, vcc_lo, v17, v10, vcc_lo
	v_subrev_co_ci_u32_e64 v13, s0, 0, v13, s0
	v_cmp_le_u32_e32 vcc_lo, s4, v16
	s_delay_alu instid0(VALU_DEP_3) | instskip(SKIP_1) | instid1(VALU_DEP_4)
	v_cmp_eq_u32_e64 s0, s5, v10
	v_cndmask_b32_e64 v16, 0, -1, vcc_lo
	v_cmp_le_u32_e32 vcc_lo, s5, v13
	v_cndmask_b32_e64 v17, 0, -1, vcc_lo
	v_cmp_le_u32_e32 vcc_lo, s4, v9
	;; [unrolled: 2-line block ×3, first 2 shown]
	v_cndmask_b32_e64 v19, 0, -1, vcc_lo
	v_cmp_eq_u32_e32 vcc_lo, s5, v13
	s_delay_alu instid0(VALU_DEP_2) | instskip(SKIP_3) | instid1(VALU_DEP_3)
	v_cndmask_b32_e64 v9, v19, v9, s0
	v_cndmask_b32_e32 v13, v17, v16, vcc_lo
	v_add_co_u32 v16, vcc_lo, v11, 1
	v_add_co_ci_u32_e32 v17, vcc_lo, 0, v12, vcc_lo
	v_cmp_ne_u32_e32 vcc_lo, 0, v13
	s_delay_alu instid0(VALU_DEP_2) | instskip(SKIP_2) | instid1(VALU_DEP_3)
	v_dual_cndmask_b32 v10, v17, v15 :: v_dual_cndmask_b32 v13, v16, v14
	v_cmp_ne_u32_e32 vcc_lo, 0, v9
	v_xor_b32_e32 v14, s2, v18
	v_dual_cndmask_b32 v9, v12, v10 :: v_dual_cndmask_b32 v10, v11, v13
	s_delay_alu instid0(VALU_DEP_1) | instskip(NEXT) | instid1(VALU_DEP_2)
	v_xor_b32_e32 v11, v9, v14
	v_xor_b32_e32 v10, v10, v14
	s_delay_alu instid0(VALU_DEP_1) | instskip(NEXT) | instid1(VALU_DEP_3)
	v_sub_co_u32 v9, vcc_lo, v10, v14
	v_sub_co_ci_u32_e32 v10, vcc_lo, v11, v14, vcc_lo
                                        ; implicit-def: $vgpr11
.LBB1159_150:
	s_and_not1_saveexec_b32 s0, s6
	s_cbranch_execz .LBB1159_152
; %bb.151:
	v_cvt_f32_u32_e32 v9, s38
	s_sub_i32 s2, 0, s38
	s_delay_alu instid0(VALU_DEP_1) | instskip(SKIP_2) | instid1(VALU_DEP_1)
	v_rcp_iflag_f32_e32 v9, v9
	s_waitcnt_depctr 0xfff
	v_mul_f32_e32 v9, 0x4f7ffffe, v9
	v_cvt_u32_f32_e32 v9, v9
	s_delay_alu instid0(VALU_DEP_1) | instskip(NEXT) | instid1(VALU_DEP_1)
	v_mul_lo_u32 v10, s2, v9
	v_mul_hi_u32 v10, v9, v10
	s_delay_alu instid0(VALU_DEP_1) | instskip(NEXT) | instid1(VALU_DEP_1)
	v_add_nc_u32_e32 v9, v9, v10
	v_mul_hi_u32 v9, v11, v9
	s_delay_alu instid0(VALU_DEP_1) | instskip(NEXT) | instid1(VALU_DEP_1)
	v_mul_lo_u32 v10, v9, s38
	v_sub_nc_u32_e32 v10, v11, v10
	v_add_nc_u32_e32 v11, 1, v9
	s_delay_alu instid0(VALU_DEP_2) | instskip(SKIP_1) | instid1(VALU_DEP_2)
	v_subrev_nc_u32_e32 v12, s38, v10
	v_cmp_le_u32_e32 vcc_lo, s38, v10
	v_dual_cndmask_b32 v10, v10, v12 :: v_dual_cndmask_b32 v9, v9, v11
	s_delay_alu instid0(VALU_DEP_1) | instskip(NEXT) | instid1(VALU_DEP_2)
	v_cmp_le_u32_e32 vcc_lo, s38, v10
	v_dual_mov_b32 v10, 0 :: v_dual_add_nc_u32 v11, 1, v9
	s_delay_alu instid0(VALU_DEP_1)
	v_cndmask_b32_e32 v9, v9, v11, vcc_lo
.LBB1159_152:
	s_or_b32 exec_lo, exec_lo, s0
.LBB1159_153:
	s_delay_alu instid0(SALU_CYCLE_1) | instskip(SKIP_1) | instid1(VALU_DEP_1)
	s_or_b32 exec_lo, exec_lo, s1
	v_or_b32_e32 v41, 0x500, v0
                                        ; implicit-def: $vgpr11_vgpr12
	v_cmp_gt_u32_e64 s9, s33, v41
	s_delay_alu instid0(VALU_DEP_1)
	s_and_saveexec_b32 s1, s9
	s_cbranch_execz .LBB1159_159
; %bb.154:
	v_add_co_u32 v13, s0, s24, v41
	s_delay_alu instid0(VALU_DEP_1) | instskip(SKIP_1) | instid1(VALU_DEP_2)
	v_add_co_ci_u32_e64 v14, null, s25, 0, s0
	v_mov_b32_e32 v11, 0
	v_or_b32_e32 v12, s39, v14
	s_delay_alu instid0(VALU_DEP_1) | instskip(SKIP_1) | instid1(SALU_CYCLE_1)
	v_cmp_ne_u64_e32 vcc_lo, 0, v[11:12]
                                        ; implicit-def: $vgpr11_vgpr12
	s_and_saveexec_b32 s0, vcc_lo
	s_xor_b32 s6, exec_lo, s0
	s_cbranch_execz .LBB1159_156
; %bb.155:
	s_ashr_i32 s2, s39, 31
	s_delay_alu instid0(SALU_CYCLE_1) | instskip(SKIP_2) | instid1(SALU_CYCLE_1)
	s_add_u32 s4, s38, s2
	s_mov_b32 s3, s2
	s_addc_u32 s5, s39, s2
	s_xor_b64 s[4:5], s[4:5], s[2:3]
	s_delay_alu instid0(SALU_CYCLE_1) | instskip(SKIP_3) | instid1(VALU_DEP_1)
	v_cvt_f32_u32_e32 v11, s4
	v_cvt_f32_u32_e32 v12, s5
	s_sub_u32 s0, 0, s4
	s_subb_u32 s3, 0, s5
	v_fmamk_f32 v11, v12, 0x4f800000, v11
	s_delay_alu instid0(VALU_DEP_1) | instskip(SKIP_2) | instid1(VALU_DEP_1)
	v_rcp_f32_e32 v11, v11
	s_waitcnt_depctr 0xfff
	v_mul_f32_e32 v11, 0x5f7ffffc, v11
	v_mul_f32_e32 v12, 0x2f800000, v11
	s_delay_alu instid0(VALU_DEP_1) | instskip(NEXT) | instid1(VALU_DEP_1)
	v_trunc_f32_e32 v12, v12
	v_fmamk_f32 v11, v12, 0xcf800000, v11
	v_cvt_u32_f32_e32 v12, v12
	s_delay_alu instid0(VALU_DEP_2) | instskip(NEXT) | instid1(VALU_DEP_2)
	v_cvt_u32_f32_e32 v11, v11
	v_mul_lo_u32 v15, s0, v12
	s_delay_alu instid0(VALU_DEP_2) | instskip(SKIP_1) | instid1(VALU_DEP_2)
	v_mul_hi_u32 v16, s0, v11
	v_mul_lo_u32 v17, s3, v11
	v_add_nc_u32_e32 v15, v16, v15
	v_mul_lo_u32 v16, s0, v11
	s_delay_alu instid0(VALU_DEP_2) | instskip(NEXT) | instid1(VALU_DEP_2)
	v_add_nc_u32_e32 v15, v15, v17
	v_mul_hi_u32 v17, v11, v16
	s_delay_alu instid0(VALU_DEP_2)
	v_mul_lo_u32 v18, v11, v15
	v_mul_hi_u32 v19, v11, v15
	v_mul_hi_u32 v20, v12, v16
	v_mul_lo_u32 v16, v12, v16
	v_mul_hi_u32 v21, v12, v15
	v_mul_lo_u32 v15, v12, v15
	v_add_co_u32 v17, vcc_lo, v17, v18
	v_add_co_ci_u32_e32 v18, vcc_lo, 0, v19, vcc_lo
	s_delay_alu instid0(VALU_DEP_2) | instskip(NEXT) | instid1(VALU_DEP_2)
	v_add_co_u32 v16, vcc_lo, v17, v16
	v_add_co_ci_u32_e32 v16, vcc_lo, v18, v20, vcc_lo
	v_add_co_ci_u32_e32 v17, vcc_lo, 0, v21, vcc_lo
	v_ashrrev_i32_e32 v20, 31, v14
	s_delay_alu instid0(VALU_DEP_3) | instskip(NEXT) | instid1(VALU_DEP_3)
	v_add_co_u32 v15, vcc_lo, v16, v15
	v_add_co_ci_u32_e32 v16, vcc_lo, 0, v17, vcc_lo
	s_delay_alu instid0(VALU_DEP_2) | instskip(NEXT) | instid1(VALU_DEP_2)
	v_add_co_u32 v11, vcc_lo, v11, v15
	v_add_co_ci_u32_e32 v12, vcc_lo, v12, v16, vcc_lo
	s_delay_alu instid0(VALU_DEP_2) | instskip(SKIP_1) | instid1(VALU_DEP_3)
	v_mul_hi_u32 v15, s0, v11
	v_mul_lo_u32 v17, s3, v11
	v_mul_lo_u32 v16, s0, v12
	s_delay_alu instid0(VALU_DEP_1) | instskip(SKIP_1) | instid1(VALU_DEP_2)
	v_add_nc_u32_e32 v15, v15, v16
	v_mul_lo_u32 v16, s0, v11
	v_add_nc_u32_e32 v15, v15, v17
	s_delay_alu instid0(VALU_DEP_2) | instskip(NEXT) | instid1(VALU_DEP_2)
	v_mul_hi_u32 v17, v11, v16
	v_mul_lo_u32 v18, v11, v15
	v_mul_hi_u32 v19, v11, v15
	v_mul_hi_u32 v21, v12, v16
	v_mul_lo_u32 v16, v12, v16
	v_mul_hi_u32 v22, v12, v15
	v_mul_lo_u32 v15, v12, v15
	v_add_co_u32 v17, vcc_lo, v17, v18
	v_add_co_ci_u32_e32 v18, vcc_lo, 0, v19, vcc_lo
	s_delay_alu instid0(VALU_DEP_2) | instskip(NEXT) | instid1(VALU_DEP_2)
	v_add_co_u32 v16, vcc_lo, v17, v16
	v_add_co_ci_u32_e32 v16, vcc_lo, v18, v21, vcc_lo
	v_add_co_ci_u32_e32 v17, vcc_lo, 0, v22, vcc_lo
	v_add_co_u32 v13, vcc_lo, v13, v20
	v_add_co_ci_u32_e32 v14, vcc_lo, v14, v20, vcc_lo
	s_delay_alu instid0(VALU_DEP_4) | instskip(NEXT) | instid1(VALU_DEP_4)
	v_add_co_u32 v15, vcc_lo, v16, v15
	v_add_co_ci_u32_e32 v16, vcc_lo, 0, v17, vcc_lo
	s_delay_alu instid0(VALU_DEP_4) | instskip(NEXT) | instid1(VALU_DEP_3)
	v_xor_b32_e32 v17, v13, v20
	v_add_co_u32 v15, vcc_lo, v11, v15
	s_delay_alu instid0(VALU_DEP_3) | instskip(SKIP_1) | instid1(VALU_DEP_3)
	v_add_co_ci_u32_e32 v18, vcc_lo, v12, v16, vcc_lo
	v_xor_b32_e32 v19, v14, v20
	v_mul_hi_u32 v21, v17, v15
	s_delay_alu instid0(VALU_DEP_3) | instskip(NEXT) | instid1(VALU_DEP_3)
	v_mad_u64_u32 v[11:12], null, v17, v18, 0
	v_mad_u64_u32 v[13:14], null, v19, v15, 0
	;; [unrolled: 1-line block ×3, first 2 shown]
	s_delay_alu instid0(VALU_DEP_3) | instskip(NEXT) | instid1(VALU_DEP_4)
	v_add_co_u32 v11, vcc_lo, v21, v11
	v_add_co_ci_u32_e32 v12, vcc_lo, 0, v12, vcc_lo
	s_delay_alu instid0(VALU_DEP_2) | instskip(NEXT) | instid1(VALU_DEP_2)
	v_add_co_u32 v11, vcc_lo, v11, v13
	v_add_co_ci_u32_e32 v11, vcc_lo, v12, v14, vcc_lo
	v_add_co_ci_u32_e32 v12, vcc_lo, 0, v16, vcc_lo
	s_delay_alu instid0(VALU_DEP_2) | instskip(NEXT) | instid1(VALU_DEP_2)
	v_add_co_u32 v13, vcc_lo, v11, v15
	v_add_co_ci_u32_e32 v14, vcc_lo, 0, v12, vcc_lo
	s_delay_alu instid0(VALU_DEP_2) | instskip(SKIP_1) | instid1(VALU_DEP_3)
	v_mul_lo_u32 v15, s5, v13
	v_mad_u64_u32 v[11:12], null, s4, v13, 0
	v_mul_lo_u32 v16, s4, v14
	s_delay_alu instid0(VALU_DEP_2) | instskip(NEXT) | instid1(VALU_DEP_2)
	v_sub_co_u32 v11, vcc_lo, v17, v11
	v_add3_u32 v12, v12, v16, v15
	s_delay_alu instid0(VALU_DEP_1) | instskip(NEXT) | instid1(VALU_DEP_1)
	v_sub_nc_u32_e32 v15, v19, v12
	v_subrev_co_ci_u32_e64 v15, s0, s5, v15, vcc_lo
	v_add_co_u32 v16, s0, v13, 2
	s_delay_alu instid0(VALU_DEP_1) | instskip(SKIP_3) | instid1(VALU_DEP_3)
	v_add_co_ci_u32_e64 v17, s0, 0, v14, s0
	v_sub_co_u32 v18, s0, v11, s4
	v_sub_co_ci_u32_e32 v12, vcc_lo, v19, v12, vcc_lo
	v_subrev_co_ci_u32_e64 v15, s0, 0, v15, s0
	v_cmp_le_u32_e32 vcc_lo, s4, v18
	s_delay_alu instid0(VALU_DEP_3) | instskip(SKIP_1) | instid1(VALU_DEP_4)
	v_cmp_eq_u32_e64 s0, s5, v12
	v_cndmask_b32_e64 v18, 0, -1, vcc_lo
	v_cmp_le_u32_e32 vcc_lo, s5, v15
	v_cndmask_b32_e64 v19, 0, -1, vcc_lo
	v_cmp_le_u32_e32 vcc_lo, s4, v11
	;; [unrolled: 2-line block ×3, first 2 shown]
	v_cndmask_b32_e64 v21, 0, -1, vcc_lo
	v_cmp_eq_u32_e32 vcc_lo, s5, v15
	s_delay_alu instid0(VALU_DEP_2) | instskip(SKIP_3) | instid1(VALU_DEP_3)
	v_cndmask_b32_e64 v11, v21, v11, s0
	v_cndmask_b32_e32 v15, v19, v18, vcc_lo
	v_add_co_u32 v18, vcc_lo, v13, 1
	v_add_co_ci_u32_e32 v19, vcc_lo, 0, v14, vcc_lo
	v_cmp_ne_u32_e32 vcc_lo, 0, v15
	s_delay_alu instid0(VALU_DEP_2) | instskip(SKIP_2) | instid1(VALU_DEP_3)
	v_dual_cndmask_b32 v12, v19, v17 :: v_dual_cndmask_b32 v15, v18, v16
	v_cmp_ne_u32_e32 vcc_lo, 0, v11
	v_xor_b32_e32 v16, s2, v20
	v_dual_cndmask_b32 v11, v14, v12 :: v_dual_cndmask_b32 v12, v13, v15
	s_delay_alu instid0(VALU_DEP_1) | instskip(NEXT) | instid1(VALU_DEP_2)
	v_xor_b32_e32 v13, v11, v16
	v_xor_b32_e32 v12, v12, v16
	s_delay_alu instid0(VALU_DEP_1) | instskip(NEXT) | instid1(VALU_DEP_3)
	v_sub_co_u32 v11, vcc_lo, v12, v16
	v_sub_co_ci_u32_e32 v12, vcc_lo, v13, v16, vcc_lo
                                        ; implicit-def: $vgpr13
.LBB1159_156:
	s_and_not1_saveexec_b32 s0, s6
	s_cbranch_execz .LBB1159_158
; %bb.157:
	v_cvt_f32_u32_e32 v11, s38
	s_sub_i32 s2, 0, s38
	s_delay_alu instid0(VALU_DEP_1) | instskip(SKIP_2) | instid1(VALU_DEP_1)
	v_rcp_iflag_f32_e32 v11, v11
	s_waitcnt_depctr 0xfff
	v_mul_f32_e32 v11, 0x4f7ffffe, v11
	v_cvt_u32_f32_e32 v11, v11
	s_delay_alu instid0(VALU_DEP_1) | instskip(NEXT) | instid1(VALU_DEP_1)
	v_mul_lo_u32 v12, s2, v11
	v_mul_hi_u32 v12, v11, v12
	s_delay_alu instid0(VALU_DEP_1) | instskip(NEXT) | instid1(VALU_DEP_1)
	v_add_nc_u32_e32 v11, v11, v12
	v_mul_hi_u32 v11, v13, v11
	s_delay_alu instid0(VALU_DEP_1) | instskip(NEXT) | instid1(VALU_DEP_1)
	v_mul_lo_u32 v12, v11, s38
	v_sub_nc_u32_e32 v12, v13, v12
	v_add_nc_u32_e32 v13, 1, v11
	s_delay_alu instid0(VALU_DEP_2) | instskip(SKIP_1) | instid1(VALU_DEP_2)
	v_subrev_nc_u32_e32 v14, s38, v12
	v_cmp_le_u32_e32 vcc_lo, s38, v12
	v_dual_cndmask_b32 v12, v12, v14 :: v_dual_cndmask_b32 v11, v11, v13
	s_delay_alu instid0(VALU_DEP_1) | instskip(NEXT) | instid1(VALU_DEP_2)
	v_cmp_le_u32_e32 vcc_lo, s38, v12
	v_dual_mov_b32 v12, 0 :: v_dual_add_nc_u32 v13, 1, v11
	s_delay_alu instid0(VALU_DEP_1)
	v_cndmask_b32_e32 v11, v11, v13, vcc_lo
.LBB1159_158:
	s_or_b32 exec_lo, exec_lo, s0
.LBB1159_159:
	s_delay_alu instid0(SALU_CYCLE_1) | instskip(SKIP_1) | instid1(VALU_DEP_1)
	s_or_b32 exec_lo, exec_lo, s1
	v_or_b32_e32 v43, 0x600, v0
                                        ; implicit-def: $vgpr13_vgpr14
	v_cmp_gt_u32_e64 s8, s33, v43
	s_delay_alu instid0(VALU_DEP_1)
	s_and_saveexec_b32 s1, s8
	s_cbranch_execz .LBB1159_165
; %bb.160:
	v_add_co_u32 v15, s0, s24, v43
	s_delay_alu instid0(VALU_DEP_1) | instskip(SKIP_1) | instid1(VALU_DEP_2)
	v_add_co_ci_u32_e64 v16, null, s25, 0, s0
	v_mov_b32_e32 v13, 0
	v_or_b32_e32 v14, s39, v16
	s_delay_alu instid0(VALU_DEP_1) | instskip(SKIP_1) | instid1(SALU_CYCLE_1)
	v_cmp_ne_u64_e32 vcc_lo, 0, v[13:14]
                                        ; implicit-def: $vgpr13_vgpr14
	s_and_saveexec_b32 s0, vcc_lo
	s_xor_b32 s6, exec_lo, s0
	s_cbranch_execz .LBB1159_162
; %bb.161:
	s_ashr_i32 s2, s39, 31
	s_delay_alu instid0(SALU_CYCLE_1) | instskip(SKIP_2) | instid1(SALU_CYCLE_1)
	s_add_u32 s4, s38, s2
	s_mov_b32 s3, s2
	s_addc_u32 s5, s39, s2
	s_xor_b64 s[4:5], s[4:5], s[2:3]
	s_delay_alu instid0(SALU_CYCLE_1) | instskip(SKIP_3) | instid1(VALU_DEP_1)
	v_cvt_f32_u32_e32 v13, s4
	v_cvt_f32_u32_e32 v14, s5
	s_sub_u32 s0, 0, s4
	s_subb_u32 s3, 0, s5
	v_fmamk_f32 v13, v14, 0x4f800000, v13
	s_delay_alu instid0(VALU_DEP_1) | instskip(SKIP_2) | instid1(VALU_DEP_1)
	v_rcp_f32_e32 v13, v13
	s_waitcnt_depctr 0xfff
	v_mul_f32_e32 v13, 0x5f7ffffc, v13
	v_mul_f32_e32 v14, 0x2f800000, v13
	s_delay_alu instid0(VALU_DEP_1) | instskip(NEXT) | instid1(VALU_DEP_1)
	v_trunc_f32_e32 v14, v14
	v_fmamk_f32 v13, v14, 0xcf800000, v13
	v_cvt_u32_f32_e32 v14, v14
	s_delay_alu instid0(VALU_DEP_2) | instskip(NEXT) | instid1(VALU_DEP_2)
	v_cvt_u32_f32_e32 v13, v13
	v_mul_lo_u32 v17, s0, v14
	s_delay_alu instid0(VALU_DEP_2) | instskip(SKIP_1) | instid1(VALU_DEP_2)
	v_mul_hi_u32 v18, s0, v13
	v_mul_lo_u32 v19, s3, v13
	v_add_nc_u32_e32 v17, v18, v17
	v_mul_lo_u32 v18, s0, v13
	s_delay_alu instid0(VALU_DEP_2) | instskip(NEXT) | instid1(VALU_DEP_2)
	v_add_nc_u32_e32 v17, v17, v19
	v_mul_hi_u32 v19, v13, v18
	s_delay_alu instid0(VALU_DEP_2)
	v_mul_lo_u32 v20, v13, v17
	v_mul_hi_u32 v21, v13, v17
	v_mul_hi_u32 v22, v14, v18
	v_mul_lo_u32 v18, v14, v18
	v_mul_hi_u32 v23, v14, v17
	v_mul_lo_u32 v17, v14, v17
	v_add_co_u32 v19, vcc_lo, v19, v20
	v_add_co_ci_u32_e32 v20, vcc_lo, 0, v21, vcc_lo
	s_delay_alu instid0(VALU_DEP_2) | instskip(NEXT) | instid1(VALU_DEP_2)
	v_add_co_u32 v18, vcc_lo, v19, v18
	v_add_co_ci_u32_e32 v18, vcc_lo, v20, v22, vcc_lo
	v_add_co_ci_u32_e32 v19, vcc_lo, 0, v23, vcc_lo
	v_ashrrev_i32_e32 v22, 31, v16
	s_delay_alu instid0(VALU_DEP_3) | instskip(NEXT) | instid1(VALU_DEP_3)
	v_add_co_u32 v17, vcc_lo, v18, v17
	v_add_co_ci_u32_e32 v18, vcc_lo, 0, v19, vcc_lo
	s_delay_alu instid0(VALU_DEP_2) | instskip(NEXT) | instid1(VALU_DEP_2)
	v_add_co_u32 v13, vcc_lo, v13, v17
	v_add_co_ci_u32_e32 v14, vcc_lo, v14, v18, vcc_lo
	s_delay_alu instid0(VALU_DEP_2) | instskip(SKIP_1) | instid1(VALU_DEP_3)
	v_mul_hi_u32 v17, s0, v13
	v_mul_lo_u32 v19, s3, v13
	v_mul_lo_u32 v18, s0, v14
	s_delay_alu instid0(VALU_DEP_1) | instskip(SKIP_1) | instid1(VALU_DEP_2)
	v_add_nc_u32_e32 v17, v17, v18
	v_mul_lo_u32 v18, s0, v13
	v_add_nc_u32_e32 v17, v17, v19
	s_delay_alu instid0(VALU_DEP_2) | instskip(NEXT) | instid1(VALU_DEP_2)
	v_mul_hi_u32 v19, v13, v18
	v_mul_lo_u32 v20, v13, v17
	v_mul_hi_u32 v21, v13, v17
	v_mul_hi_u32 v23, v14, v18
	v_mul_lo_u32 v18, v14, v18
	v_mul_hi_u32 v24, v14, v17
	v_mul_lo_u32 v17, v14, v17
	v_add_co_u32 v19, vcc_lo, v19, v20
	v_add_co_ci_u32_e32 v20, vcc_lo, 0, v21, vcc_lo
	s_delay_alu instid0(VALU_DEP_2) | instskip(NEXT) | instid1(VALU_DEP_2)
	v_add_co_u32 v18, vcc_lo, v19, v18
	v_add_co_ci_u32_e32 v18, vcc_lo, v20, v23, vcc_lo
	v_add_co_ci_u32_e32 v19, vcc_lo, 0, v24, vcc_lo
	v_add_co_u32 v15, vcc_lo, v15, v22
	v_add_co_ci_u32_e32 v16, vcc_lo, v16, v22, vcc_lo
	s_delay_alu instid0(VALU_DEP_4) | instskip(NEXT) | instid1(VALU_DEP_4)
	v_add_co_u32 v17, vcc_lo, v18, v17
	v_add_co_ci_u32_e32 v18, vcc_lo, 0, v19, vcc_lo
	s_delay_alu instid0(VALU_DEP_4) | instskip(NEXT) | instid1(VALU_DEP_3)
	v_xor_b32_e32 v19, v15, v22
	v_add_co_u32 v17, vcc_lo, v13, v17
	s_delay_alu instid0(VALU_DEP_3) | instskip(SKIP_1) | instid1(VALU_DEP_3)
	v_add_co_ci_u32_e32 v20, vcc_lo, v14, v18, vcc_lo
	v_xor_b32_e32 v21, v16, v22
	v_mul_hi_u32 v23, v19, v17
	s_delay_alu instid0(VALU_DEP_3) | instskip(NEXT) | instid1(VALU_DEP_3)
	v_mad_u64_u32 v[13:14], null, v19, v20, 0
	v_mad_u64_u32 v[15:16], null, v21, v17, 0
	;; [unrolled: 1-line block ×3, first 2 shown]
	s_delay_alu instid0(VALU_DEP_3) | instskip(NEXT) | instid1(VALU_DEP_4)
	v_add_co_u32 v13, vcc_lo, v23, v13
	v_add_co_ci_u32_e32 v14, vcc_lo, 0, v14, vcc_lo
	s_delay_alu instid0(VALU_DEP_2) | instskip(NEXT) | instid1(VALU_DEP_2)
	v_add_co_u32 v13, vcc_lo, v13, v15
	v_add_co_ci_u32_e32 v13, vcc_lo, v14, v16, vcc_lo
	v_add_co_ci_u32_e32 v14, vcc_lo, 0, v18, vcc_lo
	s_delay_alu instid0(VALU_DEP_2) | instskip(NEXT) | instid1(VALU_DEP_2)
	v_add_co_u32 v15, vcc_lo, v13, v17
	v_add_co_ci_u32_e32 v16, vcc_lo, 0, v14, vcc_lo
	s_delay_alu instid0(VALU_DEP_2) | instskip(SKIP_1) | instid1(VALU_DEP_3)
	v_mul_lo_u32 v17, s5, v15
	v_mad_u64_u32 v[13:14], null, s4, v15, 0
	v_mul_lo_u32 v18, s4, v16
	s_delay_alu instid0(VALU_DEP_2) | instskip(NEXT) | instid1(VALU_DEP_2)
	v_sub_co_u32 v13, vcc_lo, v19, v13
	v_add3_u32 v14, v14, v18, v17
	s_delay_alu instid0(VALU_DEP_1) | instskip(NEXT) | instid1(VALU_DEP_1)
	v_sub_nc_u32_e32 v17, v21, v14
	v_subrev_co_ci_u32_e64 v17, s0, s5, v17, vcc_lo
	v_add_co_u32 v18, s0, v15, 2
	s_delay_alu instid0(VALU_DEP_1) | instskip(SKIP_3) | instid1(VALU_DEP_3)
	v_add_co_ci_u32_e64 v19, s0, 0, v16, s0
	v_sub_co_u32 v20, s0, v13, s4
	v_sub_co_ci_u32_e32 v14, vcc_lo, v21, v14, vcc_lo
	v_subrev_co_ci_u32_e64 v17, s0, 0, v17, s0
	v_cmp_le_u32_e32 vcc_lo, s4, v20
	s_delay_alu instid0(VALU_DEP_3) | instskip(SKIP_1) | instid1(VALU_DEP_4)
	v_cmp_eq_u32_e64 s0, s5, v14
	v_cndmask_b32_e64 v20, 0, -1, vcc_lo
	v_cmp_le_u32_e32 vcc_lo, s5, v17
	v_cndmask_b32_e64 v21, 0, -1, vcc_lo
	v_cmp_le_u32_e32 vcc_lo, s4, v13
	;; [unrolled: 2-line block ×3, first 2 shown]
	v_cndmask_b32_e64 v23, 0, -1, vcc_lo
	v_cmp_eq_u32_e32 vcc_lo, s5, v17
	s_delay_alu instid0(VALU_DEP_2) | instskip(SKIP_3) | instid1(VALU_DEP_3)
	v_cndmask_b32_e64 v13, v23, v13, s0
	v_cndmask_b32_e32 v17, v21, v20, vcc_lo
	v_add_co_u32 v20, vcc_lo, v15, 1
	v_add_co_ci_u32_e32 v21, vcc_lo, 0, v16, vcc_lo
	v_cmp_ne_u32_e32 vcc_lo, 0, v17
	s_delay_alu instid0(VALU_DEP_2) | instskip(SKIP_2) | instid1(VALU_DEP_3)
	v_dual_cndmask_b32 v14, v21, v19 :: v_dual_cndmask_b32 v17, v20, v18
	v_cmp_ne_u32_e32 vcc_lo, 0, v13
	v_xor_b32_e32 v18, s2, v22
	v_dual_cndmask_b32 v13, v16, v14 :: v_dual_cndmask_b32 v14, v15, v17
	s_delay_alu instid0(VALU_DEP_1) | instskip(NEXT) | instid1(VALU_DEP_2)
	v_xor_b32_e32 v15, v13, v18
	v_xor_b32_e32 v14, v14, v18
	s_delay_alu instid0(VALU_DEP_1) | instskip(NEXT) | instid1(VALU_DEP_3)
	v_sub_co_u32 v13, vcc_lo, v14, v18
	v_sub_co_ci_u32_e32 v14, vcc_lo, v15, v18, vcc_lo
                                        ; implicit-def: $vgpr15
.LBB1159_162:
	s_and_not1_saveexec_b32 s0, s6
	s_cbranch_execz .LBB1159_164
; %bb.163:
	v_cvt_f32_u32_e32 v13, s38
	s_sub_i32 s2, 0, s38
	s_delay_alu instid0(VALU_DEP_1) | instskip(SKIP_2) | instid1(VALU_DEP_1)
	v_rcp_iflag_f32_e32 v13, v13
	s_waitcnt_depctr 0xfff
	v_mul_f32_e32 v13, 0x4f7ffffe, v13
	v_cvt_u32_f32_e32 v13, v13
	s_delay_alu instid0(VALU_DEP_1) | instskip(NEXT) | instid1(VALU_DEP_1)
	v_mul_lo_u32 v14, s2, v13
	v_mul_hi_u32 v14, v13, v14
	s_delay_alu instid0(VALU_DEP_1) | instskip(NEXT) | instid1(VALU_DEP_1)
	v_add_nc_u32_e32 v13, v13, v14
	v_mul_hi_u32 v13, v15, v13
	s_delay_alu instid0(VALU_DEP_1) | instskip(NEXT) | instid1(VALU_DEP_1)
	v_mul_lo_u32 v14, v13, s38
	v_sub_nc_u32_e32 v14, v15, v14
	v_add_nc_u32_e32 v15, 1, v13
	s_delay_alu instid0(VALU_DEP_2) | instskip(SKIP_1) | instid1(VALU_DEP_2)
	v_subrev_nc_u32_e32 v16, s38, v14
	v_cmp_le_u32_e32 vcc_lo, s38, v14
	v_dual_cndmask_b32 v14, v14, v16 :: v_dual_cndmask_b32 v13, v13, v15
	s_delay_alu instid0(VALU_DEP_1) | instskip(NEXT) | instid1(VALU_DEP_2)
	v_cmp_le_u32_e32 vcc_lo, s38, v14
	v_dual_mov_b32 v14, 0 :: v_dual_add_nc_u32 v15, 1, v13
	s_delay_alu instid0(VALU_DEP_1)
	v_cndmask_b32_e32 v13, v13, v15, vcc_lo
.LBB1159_164:
	s_or_b32 exec_lo, exec_lo, s0
.LBB1159_165:
	s_delay_alu instid0(SALU_CYCLE_1) | instskip(SKIP_1) | instid1(VALU_DEP_1)
	s_or_b32 exec_lo, exec_lo, s1
	v_or_b32_e32 v45, 0x700, v0
                                        ; implicit-def: $vgpr15_vgpr16
	v_cmp_gt_u32_e64 s7, s33, v45
	s_delay_alu instid0(VALU_DEP_1)
	s_and_saveexec_b32 s1, s7
	s_cbranch_execz .LBB1159_171
; %bb.166:
	v_add_co_u32 v17, s0, s24, v45
	s_delay_alu instid0(VALU_DEP_1) | instskip(SKIP_1) | instid1(VALU_DEP_2)
	v_add_co_ci_u32_e64 v18, null, s25, 0, s0
	v_mov_b32_e32 v15, 0
	v_or_b32_e32 v16, s39, v18
	s_delay_alu instid0(VALU_DEP_1) | instskip(SKIP_1) | instid1(SALU_CYCLE_1)
	v_cmp_ne_u64_e32 vcc_lo, 0, v[15:16]
                                        ; implicit-def: $vgpr15_vgpr16
	s_and_saveexec_b32 s0, vcc_lo
	s_xor_b32 s6, exec_lo, s0
	s_cbranch_execz .LBB1159_168
; %bb.167:
	s_ashr_i32 s2, s39, 31
	s_delay_alu instid0(SALU_CYCLE_1) | instskip(SKIP_2) | instid1(SALU_CYCLE_1)
	s_add_u32 s4, s38, s2
	s_mov_b32 s3, s2
	s_addc_u32 s5, s39, s2
	s_xor_b64 s[4:5], s[4:5], s[2:3]
	s_delay_alu instid0(SALU_CYCLE_1) | instskip(SKIP_3) | instid1(VALU_DEP_1)
	v_cvt_f32_u32_e32 v15, s4
	v_cvt_f32_u32_e32 v16, s5
	s_sub_u32 s0, 0, s4
	s_subb_u32 s3, 0, s5
	v_fmamk_f32 v15, v16, 0x4f800000, v15
	s_delay_alu instid0(VALU_DEP_1) | instskip(SKIP_2) | instid1(VALU_DEP_1)
	v_rcp_f32_e32 v15, v15
	s_waitcnt_depctr 0xfff
	v_mul_f32_e32 v15, 0x5f7ffffc, v15
	v_mul_f32_e32 v16, 0x2f800000, v15
	s_delay_alu instid0(VALU_DEP_1) | instskip(NEXT) | instid1(VALU_DEP_1)
	v_trunc_f32_e32 v16, v16
	v_fmamk_f32 v15, v16, 0xcf800000, v15
	v_cvt_u32_f32_e32 v16, v16
	s_delay_alu instid0(VALU_DEP_2) | instskip(NEXT) | instid1(VALU_DEP_2)
	v_cvt_u32_f32_e32 v15, v15
	v_mul_lo_u32 v19, s0, v16
	s_delay_alu instid0(VALU_DEP_2) | instskip(SKIP_1) | instid1(VALU_DEP_2)
	v_mul_hi_u32 v20, s0, v15
	v_mul_lo_u32 v21, s3, v15
	v_add_nc_u32_e32 v19, v20, v19
	v_mul_lo_u32 v20, s0, v15
	s_delay_alu instid0(VALU_DEP_2) | instskip(NEXT) | instid1(VALU_DEP_2)
	v_add_nc_u32_e32 v19, v19, v21
	v_mul_hi_u32 v21, v15, v20
	s_delay_alu instid0(VALU_DEP_2)
	v_mul_lo_u32 v22, v15, v19
	v_mul_hi_u32 v23, v15, v19
	v_mul_hi_u32 v24, v16, v20
	v_mul_lo_u32 v20, v16, v20
	v_mul_hi_u32 v25, v16, v19
	v_mul_lo_u32 v19, v16, v19
	v_add_co_u32 v21, vcc_lo, v21, v22
	v_add_co_ci_u32_e32 v22, vcc_lo, 0, v23, vcc_lo
	s_delay_alu instid0(VALU_DEP_2) | instskip(NEXT) | instid1(VALU_DEP_2)
	v_add_co_u32 v20, vcc_lo, v21, v20
	v_add_co_ci_u32_e32 v20, vcc_lo, v22, v24, vcc_lo
	v_add_co_ci_u32_e32 v21, vcc_lo, 0, v25, vcc_lo
	v_ashrrev_i32_e32 v24, 31, v18
	s_delay_alu instid0(VALU_DEP_3) | instskip(NEXT) | instid1(VALU_DEP_3)
	v_add_co_u32 v19, vcc_lo, v20, v19
	v_add_co_ci_u32_e32 v20, vcc_lo, 0, v21, vcc_lo
	s_delay_alu instid0(VALU_DEP_2) | instskip(NEXT) | instid1(VALU_DEP_2)
	v_add_co_u32 v15, vcc_lo, v15, v19
	v_add_co_ci_u32_e32 v16, vcc_lo, v16, v20, vcc_lo
	s_delay_alu instid0(VALU_DEP_2) | instskip(SKIP_1) | instid1(VALU_DEP_3)
	v_mul_hi_u32 v19, s0, v15
	v_mul_lo_u32 v21, s3, v15
	v_mul_lo_u32 v20, s0, v16
	s_delay_alu instid0(VALU_DEP_1) | instskip(SKIP_1) | instid1(VALU_DEP_2)
	v_add_nc_u32_e32 v19, v19, v20
	v_mul_lo_u32 v20, s0, v15
	v_add_nc_u32_e32 v19, v19, v21
	s_delay_alu instid0(VALU_DEP_2) | instskip(NEXT) | instid1(VALU_DEP_2)
	v_mul_hi_u32 v21, v15, v20
	v_mul_lo_u32 v22, v15, v19
	v_mul_hi_u32 v23, v15, v19
	v_mul_hi_u32 v25, v16, v20
	v_mul_lo_u32 v20, v16, v20
	v_mul_hi_u32 v26, v16, v19
	v_mul_lo_u32 v19, v16, v19
	v_add_co_u32 v21, vcc_lo, v21, v22
	v_add_co_ci_u32_e32 v22, vcc_lo, 0, v23, vcc_lo
	s_delay_alu instid0(VALU_DEP_2) | instskip(NEXT) | instid1(VALU_DEP_2)
	v_add_co_u32 v20, vcc_lo, v21, v20
	v_add_co_ci_u32_e32 v20, vcc_lo, v22, v25, vcc_lo
	v_add_co_ci_u32_e32 v21, vcc_lo, 0, v26, vcc_lo
	v_add_co_u32 v17, vcc_lo, v17, v24
	v_add_co_ci_u32_e32 v18, vcc_lo, v18, v24, vcc_lo
	s_delay_alu instid0(VALU_DEP_4) | instskip(NEXT) | instid1(VALU_DEP_4)
	v_add_co_u32 v19, vcc_lo, v20, v19
	v_add_co_ci_u32_e32 v20, vcc_lo, 0, v21, vcc_lo
	s_delay_alu instid0(VALU_DEP_4) | instskip(NEXT) | instid1(VALU_DEP_3)
	v_xor_b32_e32 v21, v17, v24
	v_add_co_u32 v19, vcc_lo, v15, v19
	s_delay_alu instid0(VALU_DEP_3) | instskip(SKIP_1) | instid1(VALU_DEP_3)
	v_add_co_ci_u32_e32 v22, vcc_lo, v16, v20, vcc_lo
	v_xor_b32_e32 v23, v18, v24
	v_mul_hi_u32 v25, v21, v19
	s_delay_alu instid0(VALU_DEP_3) | instskip(NEXT) | instid1(VALU_DEP_3)
	v_mad_u64_u32 v[15:16], null, v21, v22, 0
	v_mad_u64_u32 v[17:18], null, v23, v19, 0
	;; [unrolled: 1-line block ×3, first 2 shown]
	s_delay_alu instid0(VALU_DEP_3) | instskip(NEXT) | instid1(VALU_DEP_4)
	v_add_co_u32 v15, vcc_lo, v25, v15
	v_add_co_ci_u32_e32 v16, vcc_lo, 0, v16, vcc_lo
	s_delay_alu instid0(VALU_DEP_2) | instskip(NEXT) | instid1(VALU_DEP_2)
	v_add_co_u32 v15, vcc_lo, v15, v17
	v_add_co_ci_u32_e32 v15, vcc_lo, v16, v18, vcc_lo
	v_add_co_ci_u32_e32 v16, vcc_lo, 0, v20, vcc_lo
	s_delay_alu instid0(VALU_DEP_2) | instskip(NEXT) | instid1(VALU_DEP_2)
	v_add_co_u32 v17, vcc_lo, v15, v19
	v_add_co_ci_u32_e32 v18, vcc_lo, 0, v16, vcc_lo
	s_delay_alu instid0(VALU_DEP_2) | instskip(SKIP_1) | instid1(VALU_DEP_3)
	v_mul_lo_u32 v19, s5, v17
	v_mad_u64_u32 v[15:16], null, s4, v17, 0
	v_mul_lo_u32 v20, s4, v18
	s_delay_alu instid0(VALU_DEP_2) | instskip(NEXT) | instid1(VALU_DEP_2)
	v_sub_co_u32 v15, vcc_lo, v21, v15
	v_add3_u32 v16, v16, v20, v19
	s_delay_alu instid0(VALU_DEP_1) | instskip(NEXT) | instid1(VALU_DEP_1)
	v_sub_nc_u32_e32 v19, v23, v16
	v_subrev_co_ci_u32_e64 v19, s0, s5, v19, vcc_lo
	v_add_co_u32 v20, s0, v17, 2
	s_delay_alu instid0(VALU_DEP_1) | instskip(SKIP_3) | instid1(VALU_DEP_3)
	v_add_co_ci_u32_e64 v21, s0, 0, v18, s0
	v_sub_co_u32 v22, s0, v15, s4
	v_sub_co_ci_u32_e32 v16, vcc_lo, v23, v16, vcc_lo
	v_subrev_co_ci_u32_e64 v19, s0, 0, v19, s0
	v_cmp_le_u32_e32 vcc_lo, s4, v22
	s_delay_alu instid0(VALU_DEP_3) | instskip(SKIP_1) | instid1(VALU_DEP_4)
	v_cmp_eq_u32_e64 s0, s5, v16
	v_cndmask_b32_e64 v22, 0, -1, vcc_lo
	v_cmp_le_u32_e32 vcc_lo, s5, v19
	v_cndmask_b32_e64 v23, 0, -1, vcc_lo
	v_cmp_le_u32_e32 vcc_lo, s4, v15
	;; [unrolled: 2-line block ×3, first 2 shown]
	v_cndmask_b32_e64 v25, 0, -1, vcc_lo
	v_cmp_eq_u32_e32 vcc_lo, s5, v19
	s_delay_alu instid0(VALU_DEP_2) | instskip(SKIP_3) | instid1(VALU_DEP_3)
	v_cndmask_b32_e64 v15, v25, v15, s0
	v_cndmask_b32_e32 v19, v23, v22, vcc_lo
	v_add_co_u32 v22, vcc_lo, v17, 1
	v_add_co_ci_u32_e32 v23, vcc_lo, 0, v18, vcc_lo
	v_cmp_ne_u32_e32 vcc_lo, 0, v19
	s_delay_alu instid0(VALU_DEP_2) | instskip(SKIP_2) | instid1(VALU_DEP_3)
	v_dual_cndmask_b32 v16, v23, v21 :: v_dual_cndmask_b32 v19, v22, v20
	v_cmp_ne_u32_e32 vcc_lo, 0, v15
	v_xor_b32_e32 v20, s2, v24
	v_dual_cndmask_b32 v15, v18, v16 :: v_dual_cndmask_b32 v16, v17, v19
	s_delay_alu instid0(VALU_DEP_1) | instskip(NEXT) | instid1(VALU_DEP_2)
	v_xor_b32_e32 v17, v15, v20
	v_xor_b32_e32 v16, v16, v20
	s_delay_alu instid0(VALU_DEP_1) | instskip(NEXT) | instid1(VALU_DEP_3)
	v_sub_co_u32 v15, vcc_lo, v16, v20
	v_sub_co_ci_u32_e32 v16, vcc_lo, v17, v20, vcc_lo
                                        ; implicit-def: $vgpr17
.LBB1159_168:
	s_and_not1_saveexec_b32 s0, s6
	s_cbranch_execz .LBB1159_170
; %bb.169:
	v_cvt_f32_u32_e32 v15, s38
	s_sub_i32 s2, 0, s38
	s_delay_alu instid0(VALU_DEP_1) | instskip(SKIP_2) | instid1(VALU_DEP_1)
	v_rcp_iflag_f32_e32 v15, v15
	s_waitcnt_depctr 0xfff
	v_mul_f32_e32 v15, 0x4f7ffffe, v15
	v_cvt_u32_f32_e32 v15, v15
	s_delay_alu instid0(VALU_DEP_1) | instskip(NEXT) | instid1(VALU_DEP_1)
	v_mul_lo_u32 v16, s2, v15
	v_mul_hi_u32 v16, v15, v16
	s_delay_alu instid0(VALU_DEP_1) | instskip(NEXT) | instid1(VALU_DEP_1)
	v_add_nc_u32_e32 v15, v15, v16
	v_mul_hi_u32 v15, v17, v15
	s_delay_alu instid0(VALU_DEP_1) | instskip(NEXT) | instid1(VALU_DEP_1)
	v_mul_lo_u32 v16, v15, s38
	v_sub_nc_u32_e32 v16, v17, v16
	v_add_nc_u32_e32 v17, 1, v15
	s_delay_alu instid0(VALU_DEP_2) | instskip(SKIP_1) | instid1(VALU_DEP_2)
	v_subrev_nc_u32_e32 v18, s38, v16
	v_cmp_le_u32_e32 vcc_lo, s38, v16
	v_dual_cndmask_b32 v16, v16, v18 :: v_dual_cndmask_b32 v15, v15, v17
	s_delay_alu instid0(VALU_DEP_1) | instskip(NEXT) | instid1(VALU_DEP_2)
	v_cmp_le_u32_e32 vcc_lo, s38, v16
	v_dual_mov_b32 v16, 0 :: v_dual_add_nc_u32 v17, 1, v15
	s_delay_alu instid0(VALU_DEP_1)
	v_cndmask_b32_e32 v15, v15, v17, vcc_lo
.LBB1159_170:
	s_or_b32 exec_lo, exec_lo, s0
.LBB1159_171:
	s_delay_alu instid0(SALU_CYCLE_1) | instskip(SKIP_1) | instid1(VALU_DEP_1)
	s_or_b32 exec_lo, exec_lo, s1
	v_or_b32_e32 v47, 0x800, v0
                                        ; implicit-def: $vgpr17_vgpr18
	v_cmp_gt_u32_e64 s6, s33, v47
	s_delay_alu instid0(VALU_DEP_1)
	s_and_saveexec_b32 s1, s6
	s_cbranch_execz .LBB1159_177
; %bb.172:
	v_add_co_u32 v19, s0, s24, v47
	s_delay_alu instid0(VALU_DEP_1) | instskip(SKIP_1) | instid1(VALU_DEP_2)
	v_add_co_ci_u32_e64 v20, null, s25, 0, s0
	v_mov_b32_e32 v17, 0
	v_or_b32_e32 v18, s39, v20
	s_delay_alu instid0(VALU_DEP_1) | instskip(SKIP_1) | instid1(SALU_CYCLE_1)
	v_cmp_ne_u64_e32 vcc_lo, 0, v[17:18]
                                        ; implicit-def: $vgpr17_vgpr18
	s_and_saveexec_b32 s0, vcc_lo
	s_xor_b32 s16, exec_lo, s0
	s_cbranch_execz .LBB1159_174
; %bb.173:
	s_ashr_i32 s2, s39, 31
	s_delay_alu instid0(SALU_CYCLE_1) | instskip(SKIP_2) | instid1(SALU_CYCLE_1)
	s_add_u32 s4, s38, s2
	s_mov_b32 s3, s2
	s_addc_u32 s5, s39, s2
	s_xor_b64 s[4:5], s[4:5], s[2:3]
	s_delay_alu instid0(SALU_CYCLE_1) | instskip(SKIP_3) | instid1(VALU_DEP_1)
	v_cvt_f32_u32_e32 v17, s4
	v_cvt_f32_u32_e32 v18, s5
	s_sub_u32 s0, 0, s4
	s_subb_u32 s3, 0, s5
	v_fmamk_f32 v17, v18, 0x4f800000, v17
	s_delay_alu instid0(VALU_DEP_1) | instskip(SKIP_2) | instid1(VALU_DEP_1)
	v_rcp_f32_e32 v17, v17
	s_waitcnt_depctr 0xfff
	v_mul_f32_e32 v17, 0x5f7ffffc, v17
	v_mul_f32_e32 v18, 0x2f800000, v17
	s_delay_alu instid0(VALU_DEP_1) | instskip(NEXT) | instid1(VALU_DEP_1)
	v_trunc_f32_e32 v18, v18
	v_fmamk_f32 v17, v18, 0xcf800000, v17
	v_cvt_u32_f32_e32 v18, v18
	s_delay_alu instid0(VALU_DEP_2) | instskip(NEXT) | instid1(VALU_DEP_2)
	v_cvt_u32_f32_e32 v17, v17
	v_mul_lo_u32 v21, s0, v18
	s_delay_alu instid0(VALU_DEP_2) | instskip(SKIP_1) | instid1(VALU_DEP_2)
	v_mul_hi_u32 v22, s0, v17
	v_mul_lo_u32 v23, s3, v17
	v_add_nc_u32_e32 v21, v22, v21
	v_mul_lo_u32 v22, s0, v17
	s_delay_alu instid0(VALU_DEP_2) | instskip(NEXT) | instid1(VALU_DEP_2)
	v_add_nc_u32_e32 v21, v21, v23
	v_mul_hi_u32 v23, v17, v22
	s_delay_alu instid0(VALU_DEP_2)
	v_mul_lo_u32 v24, v17, v21
	v_mul_hi_u32 v25, v17, v21
	v_mul_hi_u32 v26, v18, v22
	v_mul_lo_u32 v22, v18, v22
	v_mul_hi_u32 v27, v18, v21
	v_mul_lo_u32 v21, v18, v21
	v_add_co_u32 v23, vcc_lo, v23, v24
	v_add_co_ci_u32_e32 v24, vcc_lo, 0, v25, vcc_lo
	s_delay_alu instid0(VALU_DEP_2) | instskip(NEXT) | instid1(VALU_DEP_2)
	v_add_co_u32 v22, vcc_lo, v23, v22
	v_add_co_ci_u32_e32 v22, vcc_lo, v24, v26, vcc_lo
	v_add_co_ci_u32_e32 v23, vcc_lo, 0, v27, vcc_lo
	v_ashrrev_i32_e32 v26, 31, v20
	s_delay_alu instid0(VALU_DEP_3) | instskip(NEXT) | instid1(VALU_DEP_3)
	v_add_co_u32 v21, vcc_lo, v22, v21
	v_add_co_ci_u32_e32 v22, vcc_lo, 0, v23, vcc_lo
	s_delay_alu instid0(VALU_DEP_2) | instskip(NEXT) | instid1(VALU_DEP_2)
	v_add_co_u32 v17, vcc_lo, v17, v21
	v_add_co_ci_u32_e32 v18, vcc_lo, v18, v22, vcc_lo
	s_delay_alu instid0(VALU_DEP_2) | instskip(SKIP_1) | instid1(VALU_DEP_3)
	v_mul_hi_u32 v21, s0, v17
	v_mul_lo_u32 v23, s3, v17
	v_mul_lo_u32 v22, s0, v18
	s_delay_alu instid0(VALU_DEP_1) | instskip(SKIP_1) | instid1(VALU_DEP_2)
	v_add_nc_u32_e32 v21, v21, v22
	v_mul_lo_u32 v22, s0, v17
	v_add_nc_u32_e32 v21, v21, v23
	s_delay_alu instid0(VALU_DEP_2) | instskip(NEXT) | instid1(VALU_DEP_2)
	v_mul_hi_u32 v23, v17, v22
	v_mul_lo_u32 v24, v17, v21
	v_mul_hi_u32 v25, v17, v21
	v_mul_hi_u32 v27, v18, v22
	v_mul_lo_u32 v22, v18, v22
	v_mul_hi_u32 v28, v18, v21
	v_mul_lo_u32 v21, v18, v21
	v_add_co_u32 v23, vcc_lo, v23, v24
	v_add_co_ci_u32_e32 v24, vcc_lo, 0, v25, vcc_lo
	s_delay_alu instid0(VALU_DEP_2) | instskip(NEXT) | instid1(VALU_DEP_2)
	v_add_co_u32 v22, vcc_lo, v23, v22
	v_add_co_ci_u32_e32 v22, vcc_lo, v24, v27, vcc_lo
	v_add_co_ci_u32_e32 v23, vcc_lo, 0, v28, vcc_lo
	v_add_co_u32 v19, vcc_lo, v19, v26
	v_add_co_ci_u32_e32 v20, vcc_lo, v20, v26, vcc_lo
	s_delay_alu instid0(VALU_DEP_4) | instskip(NEXT) | instid1(VALU_DEP_4)
	v_add_co_u32 v21, vcc_lo, v22, v21
	v_add_co_ci_u32_e32 v22, vcc_lo, 0, v23, vcc_lo
	s_delay_alu instid0(VALU_DEP_4) | instskip(NEXT) | instid1(VALU_DEP_3)
	v_xor_b32_e32 v23, v19, v26
	v_add_co_u32 v21, vcc_lo, v17, v21
	s_delay_alu instid0(VALU_DEP_3) | instskip(SKIP_1) | instid1(VALU_DEP_3)
	v_add_co_ci_u32_e32 v24, vcc_lo, v18, v22, vcc_lo
	v_xor_b32_e32 v25, v20, v26
	v_mul_hi_u32 v27, v23, v21
	s_delay_alu instid0(VALU_DEP_3) | instskip(NEXT) | instid1(VALU_DEP_3)
	v_mad_u64_u32 v[17:18], null, v23, v24, 0
	v_mad_u64_u32 v[19:20], null, v25, v21, 0
	;; [unrolled: 1-line block ×3, first 2 shown]
	s_delay_alu instid0(VALU_DEP_3) | instskip(NEXT) | instid1(VALU_DEP_4)
	v_add_co_u32 v17, vcc_lo, v27, v17
	v_add_co_ci_u32_e32 v18, vcc_lo, 0, v18, vcc_lo
	s_delay_alu instid0(VALU_DEP_2) | instskip(NEXT) | instid1(VALU_DEP_2)
	v_add_co_u32 v17, vcc_lo, v17, v19
	v_add_co_ci_u32_e32 v17, vcc_lo, v18, v20, vcc_lo
	v_add_co_ci_u32_e32 v18, vcc_lo, 0, v22, vcc_lo
	s_delay_alu instid0(VALU_DEP_2) | instskip(NEXT) | instid1(VALU_DEP_2)
	v_add_co_u32 v19, vcc_lo, v17, v21
	v_add_co_ci_u32_e32 v20, vcc_lo, 0, v18, vcc_lo
	s_delay_alu instid0(VALU_DEP_2) | instskip(SKIP_1) | instid1(VALU_DEP_3)
	v_mul_lo_u32 v21, s5, v19
	v_mad_u64_u32 v[17:18], null, s4, v19, 0
	v_mul_lo_u32 v22, s4, v20
	s_delay_alu instid0(VALU_DEP_2) | instskip(NEXT) | instid1(VALU_DEP_2)
	v_sub_co_u32 v17, vcc_lo, v23, v17
	v_add3_u32 v18, v18, v22, v21
	s_delay_alu instid0(VALU_DEP_1) | instskip(NEXT) | instid1(VALU_DEP_1)
	v_sub_nc_u32_e32 v21, v25, v18
	v_subrev_co_ci_u32_e64 v21, s0, s5, v21, vcc_lo
	v_add_co_u32 v22, s0, v19, 2
	s_delay_alu instid0(VALU_DEP_1) | instskip(SKIP_3) | instid1(VALU_DEP_3)
	v_add_co_ci_u32_e64 v23, s0, 0, v20, s0
	v_sub_co_u32 v24, s0, v17, s4
	v_sub_co_ci_u32_e32 v18, vcc_lo, v25, v18, vcc_lo
	v_subrev_co_ci_u32_e64 v21, s0, 0, v21, s0
	v_cmp_le_u32_e32 vcc_lo, s4, v24
	s_delay_alu instid0(VALU_DEP_3) | instskip(SKIP_1) | instid1(VALU_DEP_4)
	v_cmp_eq_u32_e64 s0, s5, v18
	v_cndmask_b32_e64 v24, 0, -1, vcc_lo
	v_cmp_le_u32_e32 vcc_lo, s5, v21
	v_cndmask_b32_e64 v25, 0, -1, vcc_lo
	v_cmp_le_u32_e32 vcc_lo, s4, v17
	;; [unrolled: 2-line block ×3, first 2 shown]
	v_cndmask_b32_e64 v27, 0, -1, vcc_lo
	v_cmp_eq_u32_e32 vcc_lo, s5, v21
	s_delay_alu instid0(VALU_DEP_2) | instskip(SKIP_3) | instid1(VALU_DEP_3)
	v_cndmask_b32_e64 v17, v27, v17, s0
	v_cndmask_b32_e32 v21, v25, v24, vcc_lo
	v_add_co_u32 v24, vcc_lo, v19, 1
	v_add_co_ci_u32_e32 v25, vcc_lo, 0, v20, vcc_lo
	v_cmp_ne_u32_e32 vcc_lo, 0, v21
	s_delay_alu instid0(VALU_DEP_2) | instskip(SKIP_2) | instid1(VALU_DEP_3)
	v_dual_cndmask_b32 v18, v25, v23 :: v_dual_cndmask_b32 v21, v24, v22
	v_cmp_ne_u32_e32 vcc_lo, 0, v17
	v_xor_b32_e32 v22, s2, v26
	v_dual_cndmask_b32 v17, v20, v18 :: v_dual_cndmask_b32 v18, v19, v21
	s_delay_alu instid0(VALU_DEP_1) | instskip(NEXT) | instid1(VALU_DEP_2)
	v_xor_b32_e32 v19, v17, v22
	v_xor_b32_e32 v18, v18, v22
	s_delay_alu instid0(VALU_DEP_1) | instskip(NEXT) | instid1(VALU_DEP_3)
	v_sub_co_u32 v17, vcc_lo, v18, v22
	v_sub_co_ci_u32_e32 v18, vcc_lo, v19, v22, vcc_lo
                                        ; implicit-def: $vgpr19
.LBB1159_174:
	s_and_not1_saveexec_b32 s0, s16
	s_cbranch_execz .LBB1159_176
; %bb.175:
	v_cvt_f32_u32_e32 v17, s38
	s_sub_i32 s2, 0, s38
	s_delay_alu instid0(VALU_DEP_1) | instskip(SKIP_2) | instid1(VALU_DEP_1)
	v_rcp_iflag_f32_e32 v17, v17
	s_waitcnt_depctr 0xfff
	v_mul_f32_e32 v17, 0x4f7ffffe, v17
	v_cvt_u32_f32_e32 v17, v17
	s_delay_alu instid0(VALU_DEP_1) | instskip(NEXT) | instid1(VALU_DEP_1)
	v_mul_lo_u32 v18, s2, v17
	v_mul_hi_u32 v18, v17, v18
	s_delay_alu instid0(VALU_DEP_1) | instskip(NEXT) | instid1(VALU_DEP_1)
	v_add_nc_u32_e32 v17, v17, v18
	v_mul_hi_u32 v17, v19, v17
	s_delay_alu instid0(VALU_DEP_1) | instskip(NEXT) | instid1(VALU_DEP_1)
	v_mul_lo_u32 v18, v17, s38
	v_sub_nc_u32_e32 v18, v19, v18
	v_add_nc_u32_e32 v19, 1, v17
	s_delay_alu instid0(VALU_DEP_2) | instskip(SKIP_1) | instid1(VALU_DEP_2)
	v_subrev_nc_u32_e32 v20, s38, v18
	v_cmp_le_u32_e32 vcc_lo, s38, v18
	v_dual_cndmask_b32 v18, v18, v20 :: v_dual_cndmask_b32 v17, v17, v19
	s_delay_alu instid0(VALU_DEP_1) | instskip(NEXT) | instid1(VALU_DEP_2)
	v_cmp_le_u32_e32 vcc_lo, s38, v18
	v_dual_mov_b32 v18, 0 :: v_dual_add_nc_u32 v19, 1, v17
	s_delay_alu instid0(VALU_DEP_1)
	v_cndmask_b32_e32 v17, v17, v19, vcc_lo
.LBB1159_176:
	s_or_b32 exec_lo, exec_lo, s0
.LBB1159_177:
	s_delay_alu instid0(SALU_CYCLE_1) | instskip(SKIP_1) | instid1(VALU_DEP_1)
	s_or_b32 exec_lo, exec_lo, s1
	v_or_b32_e32 v49, 0x900, v0
                                        ; implicit-def: $vgpr19_vgpr20
	v_cmp_gt_u32_e64 s5, s33, v49
	s_delay_alu instid0(VALU_DEP_1)
	s_and_saveexec_b32 s1, s5
	s_cbranch_execz .LBB1159_183
; %bb.178:
	v_add_co_u32 v21, s0, s24, v49
	s_delay_alu instid0(VALU_DEP_1) | instskip(SKIP_1) | instid1(VALU_DEP_2)
	v_add_co_ci_u32_e64 v22, null, s25, 0, s0
	v_mov_b32_e32 v19, 0
	v_or_b32_e32 v20, s39, v22
	s_delay_alu instid0(VALU_DEP_1) | instskip(SKIP_1) | instid1(SALU_CYCLE_1)
	v_cmp_ne_u64_e32 vcc_lo, 0, v[19:20]
                                        ; implicit-def: $vgpr19_vgpr20
	s_and_saveexec_b32 s0, vcc_lo
	s_xor_b32 s4, exec_lo, s0
	s_cbranch_execz .LBB1159_180
; %bb.179:
	s_ashr_i32 s2, s39, 31
	s_delay_alu instid0(SALU_CYCLE_1) | instskip(SKIP_2) | instid1(SALU_CYCLE_1)
	s_add_u32 s16, s38, s2
	s_mov_b32 s3, s2
	s_addc_u32 s17, s39, s2
	s_xor_b64 s[16:17], s[16:17], s[2:3]
	s_delay_alu instid0(SALU_CYCLE_1) | instskip(SKIP_3) | instid1(VALU_DEP_1)
	v_cvt_f32_u32_e32 v19, s16
	v_cvt_f32_u32_e32 v20, s17
	s_sub_u32 s0, 0, s16
	s_subb_u32 s3, 0, s17
	v_fmamk_f32 v19, v20, 0x4f800000, v19
	s_delay_alu instid0(VALU_DEP_1) | instskip(SKIP_2) | instid1(VALU_DEP_1)
	v_rcp_f32_e32 v19, v19
	s_waitcnt_depctr 0xfff
	v_mul_f32_e32 v19, 0x5f7ffffc, v19
	v_mul_f32_e32 v20, 0x2f800000, v19
	s_delay_alu instid0(VALU_DEP_1) | instskip(NEXT) | instid1(VALU_DEP_1)
	v_trunc_f32_e32 v20, v20
	v_fmamk_f32 v19, v20, 0xcf800000, v19
	v_cvt_u32_f32_e32 v20, v20
	s_delay_alu instid0(VALU_DEP_2) | instskip(NEXT) | instid1(VALU_DEP_2)
	v_cvt_u32_f32_e32 v19, v19
	v_mul_lo_u32 v23, s0, v20
	s_delay_alu instid0(VALU_DEP_2) | instskip(SKIP_1) | instid1(VALU_DEP_2)
	v_mul_hi_u32 v24, s0, v19
	v_mul_lo_u32 v25, s3, v19
	v_add_nc_u32_e32 v23, v24, v23
	v_mul_lo_u32 v24, s0, v19
	s_delay_alu instid0(VALU_DEP_2) | instskip(NEXT) | instid1(VALU_DEP_2)
	v_add_nc_u32_e32 v23, v23, v25
	v_mul_hi_u32 v25, v19, v24
	s_delay_alu instid0(VALU_DEP_2)
	v_mul_lo_u32 v26, v19, v23
	v_mul_hi_u32 v27, v19, v23
	v_mul_hi_u32 v28, v20, v24
	v_mul_lo_u32 v24, v20, v24
	v_mul_hi_u32 v29, v20, v23
	v_mul_lo_u32 v23, v20, v23
	v_add_co_u32 v25, vcc_lo, v25, v26
	v_add_co_ci_u32_e32 v26, vcc_lo, 0, v27, vcc_lo
	s_delay_alu instid0(VALU_DEP_2) | instskip(NEXT) | instid1(VALU_DEP_2)
	v_add_co_u32 v24, vcc_lo, v25, v24
	v_add_co_ci_u32_e32 v24, vcc_lo, v26, v28, vcc_lo
	v_add_co_ci_u32_e32 v25, vcc_lo, 0, v29, vcc_lo
	v_ashrrev_i32_e32 v28, 31, v22
	s_delay_alu instid0(VALU_DEP_3) | instskip(NEXT) | instid1(VALU_DEP_3)
	v_add_co_u32 v23, vcc_lo, v24, v23
	v_add_co_ci_u32_e32 v24, vcc_lo, 0, v25, vcc_lo
	s_delay_alu instid0(VALU_DEP_2) | instskip(NEXT) | instid1(VALU_DEP_2)
	v_add_co_u32 v19, vcc_lo, v19, v23
	v_add_co_ci_u32_e32 v20, vcc_lo, v20, v24, vcc_lo
	s_delay_alu instid0(VALU_DEP_2) | instskip(SKIP_1) | instid1(VALU_DEP_3)
	v_mul_hi_u32 v23, s0, v19
	v_mul_lo_u32 v25, s3, v19
	v_mul_lo_u32 v24, s0, v20
	s_delay_alu instid0(VALU_DEP_1) | instskip(SKIP_1) | instid1(VALU_DEP_2)
	v_add_nc_u32_e32 v23, v23, v24
	v_mul_lo_u32 v24, s0, v19
	v_add_nc_u32_e32 v23, v23, v25
	s_delay_alu instid0(VALU_DEP_2) | instskip(NEXT) | instid1(VALU_DEP_2)
	v_mul_hi_u32 v25, v19, v24
	v_mul_lo_u32 v26, v19, v23
	v_mul_hi_u32 v27, v19, v23
	v_mul_hi_u32 v29, v20, v24
	v_mul_lo_u32 v24, v20, v24
	v_mul_hi_u32 v30, v20, v23
	v_mul_lo_u32 v23, v20, v23
	v_add_co_u32 v25, vcc_lo, v25, v26
	v_add_co_ci_u32_e32 v26, vcc_lo, 0, v27, vcc_lo
	s_delay_alu instid0(VALU_DEP_2) | instskip(NEXT) | instid1(VALU_DEP_2)
	v_add_co_u32 v24, vcc_lo, v25, v24
	v_add_co_ci_u32_e32 v24, vcc_lo, v26, v29, vcc_lo
	v_add_co_ci_u32_e32 v25, vcc_lo, 0, v30, vcc_lo
	v_add_co_u32 v21, vcc_lo, v21, v28
	v_add_co_ci_u32_e32 v22, vcc_lo, v22, v28, vcc_lo
	s_delay_alu instid0(VALU_DEP_4) | instskip(NEXT) | instid1(VALU_DEP_4)
	v_add_co_u32 v23, vcc_lo, v24, v23
	v_add_co_ci_u32_e32 v24, vcc_lo, 0, v25, vcc_lo
	s_delay_alu instid0(VALU_DEP_4) | instskip(NEXT) | instid1(VALU_DEP_3)
	v_xor_b32_e32 v25, v21, v28
	v_add_co_u32 v23, vcc_lo, v19, v23
	s_delay_alu instid0(VALU_DEP_3) | instskip(SKIP_1) | instid1(VALU_DEP_3)
	v_add_co_ci_u32_e32 v26, vcc_lo, v20, v24, vcc_lo
	v_xor_b32_e32 v27, v22, v28
	v_mul_hi_u32 v29, v25, v23
	s_delay_alu instid0(VALU_DEP_3) | instskip(NEXT) | instid1(VALU_DEP_3)
	v_mad_u64_u32 v[19:20], null, v25, v26, 0
	v_mad_u64_u32 v[21:22], null, v27, v23, 0
	v_mad_u64_u32 v[23:24], null, v27, v26, 0
	s_delay_alu instid0(VALU_DEP_3) | instskip(NEXT) | instid1(VALU_DEP_4)
	v_add_co_u32 v19, vcc_lo, v29, v19
	v_add_co_ci_u32_e32 v20, vcc_lo, 0, v20, vcc_lo
	s_delay_alu instid0(VALU_DEP_2) | instskip(NEXT) | instid1(VALU_DEP_2)
	v_add_co_u32 v19, vcc_lo, v19, v21
	v_add_co_ci_u32_e32 v19, vcc_lo, v20, v22, vcc_lo
	v_add_co_ci_u32_e32 v20, vcc_lo, 0, v24, vcc_lo
	s_delay_alu instid0(VALU_DEP_2) | instskip(NEXT) | instid1(VALU_DEP_2)
	v_add_co_u32 v21, vcc_lo, v19, v23
	v_add_co_ci_u32_e32 v22, vcc_lo, 0, v20, vcc_lo
	s_delay_alu instid0(VALU_DEP_2) | instskip(SKIP_1) | instid1(VALU_DEP_3)
	v_mul_lo_u32 v23, s17, v21
	v_mad_u64_u32 v[19:20], null, s16, v21, 0
	v_mul_lo_u32 v24, s16, v22
	s_delay_alu instid0(VALU_DEP_2) | instskip(NEXT) | instid1(VALU_DEP_2)
	v_sub_co_u32 v19, vcc_lo, v25, v19
	v_add3_u32 v20, v20, v24, v23
	s_delay_alu instid0(VALU_DEP_1) | instskip(NEXT) | instid1(VALU_DEP_1)
	v_sub_nc_u32_e32 v23, v27, v20
	v_subrev_co_ci_u32_e64 v23, s0, s17, v23, vcc_lo
	v_add_co_u32 v24, s0, v21, 2
	s_delay_alu instid0(VALU_DEP_1) | instskip(SKIP_3) | instid1(VALU_DEP_3)
	v_add_co_ci_u32_e64 v25, s0, 0, v22, s0
	v_sub_co_u32 v26, s0, v19, s16
	v_sub_co_ci_u32_e32 v20, vcc_lo, v27, v20, vcc_lo
	v_subrev_co_ci_u32_e64 v23, s0, 0, v23, s0
	v_cmp_le_u32_e32 vcc_lo, s16, v26
	s_delay_alu instid0(VALU_DEP_3) | instskip(SKIP_1) | instid1(VALU_DEP_4)
	v_cmp_eq_u32_e64 s0, s17, v20
	v_cndmask_b32_e64 v26, 0, -1, vcc_lo
	v_cmp_le_u32_e32 vcc_lo, s17, v23
	v_cndmask_b32_e64 v27, 0, -1, vcc_lo
	v_cmp_le_u32_e32 vcc_lo, s16, v19
	;; [unrolled: 2-line block ×3, first 2 shown]
	v_cndmask_b32_e64 v29, 0, -1, vcc_lo
	v_cmp_eq_u32_e32 vcc_lo, s17, v23
	s_delay_alu instid0(VALU_DEP_2) | instskip(SKIP_3) | instid1(VALU_DEP_3)
	v_cndmask_b32_e64 v19, v29, v19, s0
	v_cndmask_b32_e32 v23, v27, v26, vcc_lo
	v_add_co_u32 v26, vcc_lo, v21, 1
	v_add_co_ci_u32_e32 v27, vcc_lo, 0, v22, vcc_lo
	v_cmp_ne_u32_e32 vcc_lo, 0, v23
	s_delay_alu instid0(VALU_DEP_2) | instskip(SKIP_2) | instid1(VALU_DEP_3)
	v_dual_cndmask_b32 v20, v27, v25 :: v_dual_cndmask_b32 v23, v26, v24
	v_cmp_ne_u32_e32 vcc_lo, 0, v19
	v_xor_b32_e32 v24, s2, v28
	v_dual_cndmask_b32 v19, v22, v20 :: v_dual_cndmask_b32 v20, v21, v23
	s_delay_alu instid0(VALU_DEP_1) | instskip(NEXT) | instid1(VALU_DEP_2)
	v_xor_b32_e32 v21, v19, v24
	v_xor_b32_e32 v20, v20, v24
	s_delay_alu instid0(VALU_DEP_1) | instskip(NEXT) | instid1(VALU_DEP_3)
	v_sub_co_u32 v19, vcc_lo, v20, v24
	v_sub_co_ci_u32_e32 v20, vcc_lo, v21, v24, vcc_lo
                                        ; implicit-def: $vgpr21
.LBB1159_180:
	s_and_not1_saveexec_b32 s0, s4
	s_cbranch_execz .LBB1159_182
; %bb.181:
	v_cvt_f32_u32_e32 v19, s38
	s_sub_i32 s2, 0, s38
	s_delay_alu instid0(VALU_DEP_1) | instskip(SKIP_2) | instid1(VALU_DEP_1)
	v_rcp_iflag_f32_e32 v19, v19
	s_waitcnt_depctr 0xfff
	v_mul_f32_e32 v19, 0x4f7ffffe, v19
	v_cvt_u32_f32_e32 v19, v19
	s_delay_alu instid0(VALU_DEP_1) | instskip(NEXT) | instid1(VALU_DEP_1)
	v_mul_lo_u32 v20, s2, v19
	v_mul_hi_u32 v20, v19, v20
	s_delay_alu instid0(VALU_DEP_1) | instskip(NEXT) | instid1(VALU_DEP_1)
	v_add_nc_u32_e32 v19, v19, v20
	v_mul_hi_u32 v19, v21, v19
	s_delay_alu instid0(VALU_DEP_1) | instskip(NEXT) | instid1(VALU_DEP_1)
	v_mul_lo_u32 v20, v19, s38
	v_sub_nc_u32_e32 v20, v21, v20
	v_add_nc_u32_e32 v21, 1, v19
	s_delay_alu instid0(VALU_DEP_2) | instskip(SKIP_1) | instid1(VALU_DEP_2)
	v_subrev_nc_u32_e32 v22, s38, v20
	v_cmp_le_u32_e32 vcc_lo, s38, v20
	v_dual_cndmask_b32 v20, v20, v22 :: v_dual_cndmask_b32 v19, v19, v21
	s_delay_alu instid0(VALU_DEP_1) | instskip(NEXT) | instid1(VALU_DEP_2)
	v_cmp_le_u32_e32 vcc_lo, s38, v20
	v_dual_mov_b32 v20, 0 :: v_dual_add_nc_u32 v21, 1, v19
	s_delay_alu instid0(VALU_DEP_1)
	v_cndmask_b32_e32 v19, v19, v21, vcc_lo
.LBB1159_182:
	s_or_b32 exec_lo, exec_lo, s0
.LBB1159_183:
	s_delay_alu instid0(SALU_CYCLE_1) | instskip(SKIP_1) | instid1(VALU_DEP_1)
	s_or_b32 exec_lo, exec_lo, s1
	v_or_b32_e32 v51, 0xa00, v0
                                        ; implicit-def: $vgpr21_vgpr22
	v_cmp_gt_u32_e64 s4, s33, v51
	s_delay_alu instid0(VALU_DEP_1)
	s_and_saveexec_b32 s1, s4
	s_cbranch_execz .LBB1159_189
; %bb.184:
	v_add_co_u32 v23, s0, s24, v51
	s_delay_alu instid0(VALU_DEP_1) | instskip(SKIP_1) | instid1(VALU_DEP_2)
	v_add_co_ci_u32_e64 v24, null, s25, 0, s0
	v_mov_b32_e32 v21, 0
	v_or_b32_e32 v22, s39, v24
	s_delay_alu instid0(VALU_DEP_1) | instskip(SKIP_1) | instid1(SALU_CYCLE_1)
	v_cmp_ne_u64_e32 vcc_lo, 0, v[21:22]
                                        ; implicit-def: $vgpr21_vgpr22
	s_and_saveexec_b32 s0, vcc_lo
	s_xor_b32 s20, exec_lo, s0
	s_cbranch_execz .LBB1159_186
; %bb.185:
	s_ashr_i32 s2, s39, 31
	s_delay_alu instid0(SALU_CYCLE_1) | instskip(SKIP_2) | instid1(SALU_CYCLE_1)
	s_add_u32 s16, s38, s2
	s_mov_b32 s3, s2
	s_addc_u32 s17, s39, s2
	s_xor_b64 s[16:17], s[16:17], s[2:3]
	s_delay_alu instid0(SALU_CYCLE_1) | instskip(SKIP_3) | instid1(VALU_DEP_1)
	v_cvt_f32_u32_e32 v21, s16
	v_cvt_f32_u32_e32 v22, s17
	s_sub_u32 s0, 0, s16
	s_subb_u32 s3, 0, s17
	v_fmamk_f32 v21, v22, 0x4f800000, v21
	s_delay_alu instid0(VALU_DEP_1) | instskip(SKIP_2) | instid1(VALU_DEP_1)
	v_rcp_f32_e32 v21, v21
	s_waitcnt_depctr 0xfff
	v_mul_f32_e32 v21, 0x5f7ffffc, v21
	v_mul_f32_e32 v22, 0x2f800000, v21
	s_delay_alu instid0(VALU_DEP_1) | instskip(NEXT) | instid1(VALU_DEP_1)
	v_trunc_f32_e32 v22, v22
	v_fmamk_f32 v21, v22, 0xcf800000, v21
	v_cvt_u32_f32_e32 v22, v22
	s_delay_alu instid0(VALU_DEP_2) | instskip(NEXT) | instid1(VALU_DEP_2)
	v_cvt_u32_f32_e32 v21, v21
	v_mul_lo_u32 v25, s0, v22
	s_delay_alu instid0(VALU_DEP_2) | instskip(SKIP_1) | instid1(VALU_DEP_2)
	v_mul_hi_u32 v26, s0, v21
	v_mul_lo_u32 v27, s3, v21
	v_add_nc_u32_e32 v25, v26, v25
	v_mul_lo_u32 v26, s0, v21
	s_delay_alu instid0(VALU_DEP_2) | instskip(NEXT) | instid1(VALU_DEP_2)
	v_add_nc_u32_e32 v25, v25, v27
	v_mul_hi_u32 v27, v21, v26
	s_delay_alu instid0(VALU_DEP_2)
	v_mul_lo_u32 v28, v21, v25
	v_mul_hi_u32 v29, v21, v25
	v_mul_hi_u32 v30, v22, v26
	v_mul_lo_u32 v26, v22, v26
	v_mul_hi_u32 v31, v22, v25
	v_mul_lo_u32 v25, v22, v25
	v_add_co_u32 v27, vcc_lo, v27, v28
	v_add_co_ci_u32_e32 v28, vcc_lo, 0, v29, vcc_lo
	s_delay_alu instid0(VALU_DEP_2) | instskip(NEXT) | instid1(VALU_DEP_2)
	v_add_co_u32 v26, vcc_lo, v27, v26
	v_add_co_ci_u32_e32 v26, vcc_lo, v28, v30, vcc_lo
	v_add_co_ci_u32_e32 v27, vcc_lo, 0, v31, vcc_lo
	v_ashrrev_i32_e32 v30, 31, v24
	s_delay_alu instid0(VALU_DEP_3) | instskip(NEXT) | instid1(VALU_DEP_3)
	v_add_co_u32 v25, vcc_lo, v26, v25
	v_add_co_ci_u32_e32 v26, vcc_lo, 0, v27, vcc_lo
	s_delay_alu instid0(VALU_DEP_2) | instskip(NEXT) | instid1(VALU_DEP_2)
	v_add_co_u32 v21, vcc_lo, v21, v25
	v_add_co_ci_u32_e32 v22, vcc_lo, v22, v26, vcc_lo
	s_delay_alu instid0(VALU_DEP_2) | instskip(SKIP_1) | instid1(VALU_DEP_3)
	v_mul_hi_u32 v25, s0, v21
	v_mul_lo_u32 v27, s3, v21
	v_mul_lo_u32 v26, s0, v22
	s_delay_alu instid0(VALU_DEP_1) | instskip(SKIP_1) | instid1(VALU_DEP_2)
	v_add_nc_u32_e32 v25, v25, v26
	v_mul_lo_u32 v26, s0, v21
	v_add_nc_u32_e32 v25, v25, v27
	s_delay_alu instid0(VALU_DEP_2) | instskip(NEXT) | instid1(VALU_DEP_2)
	v_mul_hi_u32 v27, v21, v26
	v_mul_lo_u32 v28, v21, v25
	v_mul_hi_u32 v29, v21, v25
	v_mul_hi_u32 v31, v22, v26
	v_mul_lo_u32 v26, v22, v26
	v_mul_hi_u32 v32, v22, v25
	v_mul_lo_u32 v25, v22, v25
	v_add_co_u32 v27, vcc_lo, v27, v28
	v_add_co_ci_u32_e32 v28, vcc_lo, 0, v29, vcc_lo
	s_delay_alu instid0(VALU_DEP_2) | instskip(NEXT) | instid1(VALU_DEP_2)
	v_add_co_u32 v26, vcc_lo, v27, v26
	v_add_co_ci_u32_e32 v26, vcc_lo, v28, v31, vcc_lo
	v_add_co_ci_u32_e32 v27, vcc_lo, 0, v32, vcc_lo
	v_add_co_u32 v23, vcc_lo, v23, v30
	v_add_co_ci_u32_e32 v24, vcc_lo, v24, v30, vcc_lo
	s_delay_alu instid0(VALU_DEP_4) | instskip(NEXT) | instid1(VALU_DEP_4)
	v_add_co_u32 v25, vcc_lo, v26, v25
	v_add_co_ci_u32_e32 v26, vcc_lo, 0, v27, vcc_lo
	s_delay_alu instid0(VALU_DEP_4) | instskip(NEXT) | instid1(VALU_DEP_3)
	v_xor_b32_e32 v27, v23, v30
	v_add_co_u32 v25, vcc_lo, v21, v25
	s_delay_alu instid0(VALU_DEP_3) | instskip(SKIP_1) | instid1(VALU_DEP_3)
	v_add_co_ci_u32_e32 v28, vcc_lo, v22, v26, vcc_lo
	v_xor_b32_e32 v29, v24, v30
	v_mul_hi_u32 v31, v27, v25
	s_delay_alu instid0(VALU_DEP_3) | instskip(NEXT) | instid1(VALU_DEP_3)
	v_mad_u64_u32 v[21:22], null, v27, v28, 0
	v_mad_u64_u32 v[23:24], null, v29, v25, 0
	;; [unrolled: 1-line block ×3, first 2 shown]
	s_delay_alu instid0(VALU_DEP_3) | instskip(NEXT) | instid1(VALU_DEP_4)
	v_add_co_u32 v21, vcc_lo, v31, v21
	v_add_co_ci_u32_e32 v22, vcc_lo, 0, v22, vcc_lo
	s_delay_alu instid0(VALU_DEP_2) | instskip(NEXT) | instid1(VALU_DEP_2)
	v_add_co_u32 v21, vcc_lo, v21, v23
	v_add_co_ci_u32_e32 v21, vcc_lo, v22, v24, vcc_lo
	v_add_co_ci_u32_e32 v22, vcc_lo, 0, v26, vcc_lo
	s_delay_alu instid0(VALU_DEP_2) | instskip(NEXT) | instid1(VALU_DEP_2)
	v_add_co_u32 v23, vcc_lo, v21, v25
	v_add_co_ci_u32_e32 v24, vcc_lo, 0, v22, vcc_lo
	s_delay_alu instid0(VALU_DEP_2) | instskip(SKIP_1) | instid1(VALU_DEP_3)
	v_mul_lo_u32 v25, s17, v23
	v_mad_u64_u32 v[21:22], null, s16, v23, 0
	v_mul_lo_u32 v26, s16, v24
	s_delay_alu instid0(VALU_DEP_2) | instskip(NEXT) | instid1(VALU_DEP_2)
	v_sub_co_u32 v21, vcc_lo, v27, v21
	v_add3_u32 v22, v22, v26, v25
	s_delay_alu instid0(VALU_DEP_1) | instskip(NEXT) | instid1(VALU_DEP_1)
	v_sub_nc_u32_e32 v25, v29, v22
	v_subrev_co_ci_u32_e64 v25, s0, s17, v25, vcc_lo
	v_add_co_u32 v26, s0, v23, 2
	s_delay_alu instid0(VALU_DEP_1) | instskip(SKIP_3) | instid1(VALU_DEP_3)
	v_add_co_ci_u32_e64 v27, s0, 0, v24, s0
	v_sub_co_u32 v28, s0, v21, s16
	v_sub_co_ci_u32_e32 v22, vcc_lo, v29, v22, vcc_lo
	v_subrev_co_ci_u32_e64 v25, s0, 0, v25, s0
	v_cmp_le_u32_e32 vcc_lo, s16, v28
	s_delay_alu instid0(VALU_DEP_3) | instskip(SKIP_1) | instid1(VALU_DEP_4)
	v_cmp_eq_u32_e64 s0, s17, v22
	v_cndmask_b32_e64 v28, 0, -1, vcc_lo
	v_cmp_le_u32_e32 vcc_lo, s17, v25
	v_cndmask_b32_e64 v29, 0, -1, vcc_lo
	v_cmp_le_u32_e32 vcc_lo, s16, v21
	;; [unrolled: 2-line block ×3, first 2 shown]
	v_cndmask_b32_e64 v31, 0, -1, vcc_lo
	v_cmp_eq_u32_e32 vcc_lo, s17, v25
	s_delay_alu instid0(VALU_DEP_2) | instskip(SKIP_3) | instid1(VALU_DEP_3)
	v_cndmask_b32_e64 v21, v31, v21, s0
	v_cndmask_b32_e32 v25, v29, v28, vcc_lo
	v_add_co_u32 v28, vcc_lo, v23, 1
	v_add_co_ci_u32_e32 v29, vcc_lo, 0, v24, vcc_lo
	v_cmp_ne_u32_e32 vcc_lo, 0, v25
	s_delay_alu instid0(VALU_DEP_2) | instskip(SKIP_2) | instid1(VALU_DEP_3)
	v_dual_cndmask_b32 v22, v29, v27 :: v_dual_cndmask_b32 v25, v28, v26
	v_cmp_ne_u32_e32 vcc_lo, 0, v21
	v_xor_b32_e32 v26, s2, v30
	v_dual_cndmask_b32 v21, v24, v22 :: v_dual_cndmask_b32 v22, v23, v25
	s_delay_alu instid0(VALU_DEP_1) | instskip(NEXT) | instid1(VALU_DEP_2)
	v_xor_b32_e32 v23, v21, v26
	v_xor_b32_e32 v22, v22, v26
	s_delay_alu instid0(VALU_DEP_1) | instskip(NEXT) | instid1(VALU_DEP_3)
	v_sub_co_u32 v21, vcc_lo, v22, v26
	v_sub_co_ci_u32_e32 v22, vcc_lo, v23, v26, vcc_lo
                                        ; implicit-def: $vgpr23
.LBB1159_186:
	s_and_not1_saveexec_b32 s0, s20
	s_cbranch_execz .LBB1159_188
; %bb.187:
	v_cvt_f32_u32_e32 v21, s38
	s_sub_i32 s2, 0, s38
	s_delay_alu instid0(VALU_DEP_1) | instskip(SKIP_2) | instid1(VALU_DEP_1)
	v_rcp_iflag_f32_e32 v21, v21
	s_waitcnt_depctr 0xfff
	v_mul_f32_e32 v21, 0x4f7ffffe, v21
	v_cvt_u32_f32_e32 v21, v21
	s_delay_alu instid0(VALU_DEP_1) | instskip(NEXT) | instid1(VALU_DEP_1)
	v_mul_lo_u32 v22, s2, v21
	v_mul_hi_u32 v22, v21, v22
	s_delay_alu instid0(VALU_DEP_1) | instskip(NEXT) | instid1(VALU_DEP_1)
	v_add_nc_u32_e32 v21, v21, v22
	v_mul_hi_u32 v21, v23, v21
	s_delay_alu instid0(VALU_DEP_1) | instskip(NEXT) | instid1(VALU_DEP_1)
	v_mul_lo_u32 v22, v21, s38
	v_sub_nc_u32_e32 v22, v23, v22
	v_add_nc_u32_e32 v23, 1, v21
	s_delay_alu instid0(VALU_DEP_2) | instskip(SKIP_1) | instid1(VALU_DEP_2)
	v_subrev_nc_u32_e32 v24, s38, v22
	v_cmp_le_u32_e32 vcc_lo, s38, v22
	v_dual_cndmask_b32 v22, v22, v24 :: v_dual_cndmask_b32 v21, v21, v23
	s_delay_alu instid0(VALU_DEP_1) | instskip(NEXT) | instid1(VALU_DEP_2)
	v_cmp_le_u32_e32 vcc_lo, s38, v22
	v_dual_mov_b32 v22, 0 :: v_dual_add_nc_u32 v23, 1, v21
	s_delay_alu instid0(VALU_DEP_1)
	v_cndmask_b32_e32 v21, v21, v23, vcc_lo
.LBB1159_188:
	s_or_b32 exec_lo, exec_lo, s0
.LBB1159_189:
	s_delay_alu instid0(SALU_CYCLE_1) | instskip(SKIP_1) | instid1(VALU_DEP_1)
	s_or_b32 exec_lo, exec_lo, s1
	v_or_b32_e32 v53, 0xb00, v0
                                        ; implicit-def: $vgpr23_vgpr24
	v_cmp_gt_u32_e64 s3, s33, v53
	s_delay_alu instid0(VALU_DEP_1)
	s_and_saveexec_b32 s1, s3
	s_cbranch_execz .LBB1159_195
; %bb.190:
	v_add_co_u32 v25, s0, s24, v53
	s_delay_alu instid0(VALU_DEP_1) | instskip(SKIP_1) | instid1(VALU_DEP_2)
	v_add_co_ci_u32_e64 v26, null, s25, 0, s0
	v_mov_b32_e32 v23, 0
	v_or_b32_e32 v24, s39, v26
	s_delay_alu instid0(VALU_DEP_1) | instskip(SKIP_1) | instid1(SALU_CYCLE_1)
	v_cmp_ne_u64_e32 vcc_lo, 0, v[23:24]
                                        ; implicit-def: $vgpr23_vgpr24
	s_and_saveexec_b32 s0, vcc_lo
	s_xor_b32 s2, exec_lo, s0
	s_cbranch_execz .LBB1159_192
; %bb.191:
	s_ashr_i32 s16, s39, 31
	s_delay_alu instid0(SALU_CYCLE_1) | instskip(SKIP_2) | instid1(SALU_CYCLE_1)
	s_add_u32 s20, s38, s16
	s_mov_b32 s17, s16
	s_addc_u32 s21, s39, s16
	s_xor_b64 s[20:21], s[20:21], s[16:17]
	s_delay_alu instid0(SALU_CYCLE_1) | instskip(SKIP_3) | instid1(VALU_DEP_1)
	v_cvt_f32_u32_e32 v23, s20
	v_cvt_f32_u32_e32 v24, s21
	s_sub_u32 s0, 0, s20
	s_subb_u32 s17, 0, s21
	v_fmamk_f32 v23, v24, 0x4f800000, v23
	s_delay_alu instid0(VALU_DEP_1) | instskip(SKIP_2) | instid1(VALU_DEP_1)
	v_rcp_f32_e32 v23, v23
	s_waitcnt_depctr 0xfff
	v_mul_f32_e32 v23, 0x5f7ffffc, v23
	v_mul_f32_e32 v24, 0x2f800000, v23
	s_delay_alu instid0(VALU_DEP_1) | instskip(NEXT) | instid1(VALU_DEP_1)
	v_trunc_f32_e32 v24, v24
	v_fmamk_f32 v23, v24, 0xcf800000, v23
	v_cvt_u32_f32_e32 v24, v24
	s_delay_alu instid0(VALU_DEP_2) | instskip(NEXT) | instid1(VALU_DEP_2)
	v_cvt_u32_f32_e32 v23, v23
	v_mul_lo_u32 v27, s0, v24
	s_delay_alu instid0(VALU_DEP_2) | instskip(SKIP_1) | instid1(VALU_DEP_2)
	v_mul_hi_u32 v28, s0, v23
	v_mul_lo_u32 v29, s17, v23
	v_add_nc_u32_e32 v27, v28, v27
	v_mul_lo_u32 v28, s0, v23
	s_delay_alu instid0(VALU_DEP_2) | instskip(NEXT) | instid1(VALU_DEP_2)
	v_add_nc_u32_e32 v27, v27, v29
	v_mul_hi_u32 v29, v23, v28
	s_delay_alu instid0(VALU_DEP_2)
	v_mul_lo_u32 v30, v23, v27
	v_mul_hi_u32 v31, v23, v27
	v_mul_hi_u32 v32, v24, v28
	v_mul_lo_u32 v28, v24, v28
	v_mul_hi_u32 v34, v24, v27
	v_mul_lo_u32 v27, v24, v27
	v_add_co_u32 v29, vcc_lo, v29, v30
	v_add_co_ci_u32_e32 v30, vcc_lo, 0, v31, vcc_lo
	s_delay_alu instid0(VALU_DEP_2) | instskip(NEXT) | instid1(VALU_DEP_2)
	v_add_co_u32 v28, vcc_lo, v29, v28
	v_add_co_ci_u32_e32 v28, vcc_lo, v30, v32, vcc_lo
	v_add_co_ci_u32_e32 v29, vcc_lo, 0, v34, vcc_lo
	v_ashrrev_i32_e32 v32, 31, v26
	s_delay_alu instid0(VALU_DEP_3) | instskip(NEXT) | instid1(VALU_DEP_3)
	v_add_co_u32 v27, vcc_lo, v28, v27
	v_add_co_ci_u32_e32 v28, vcc_lo, 0, v29, vcc_lo
	s_delay_alu instid0(VALU_DEP_2) | instskip(NEXT) | instid1(VALU_DEP_2)
	v_add_co_u32 v23, vcc_lo, v23, v27
	v_add_co_ci_u32_e32 v24, vcc_lo, v24, v28, vcc_lo
	s_delay_alu instid0(VALU_DEP_2) | instskip(SKIP_1) | instid1(VALU_DEP_3)
	v_mul_hi_u32 v27, s0, v23
	v_mul_lo_u32 v29, s17, v23
	v_mul_lo_u32 v28, s0, v24
	s_delay_alu instid0(VALU_DEP_1) | instskip(SKIP_1) | instid1(VALU_DEP_2)
	v_add_nc_u32_e32 v27, v27, v28
	v_mul_lo_u32 v28, s0, v23
	v_add_nc_u32_e32 v27, v27, v29
	s_delay_alu instid0(VALU_DEP_2) | instskip(NEXT) | instid1(VALU_DEP_2)
	v_mul_hi_u32 v29, v23, v28
	v_mul_lo_u32 v30, v23, v27
	v_mul_hi_u32 v31, v23, v27
	v_mul_hi_u32 v34, v24, v28
	v_mul_lo_u32 v28, v24, v28
	v_mul_hi_u32 v36, v24, v27
	v_mul_lo_u32 v27, v24, v27
	v_add_co_u32 v29, vcc_lo, v29, v30
	v_add_co_ci_u32_e32 v30, vcc_lo, 0, v31, vcc_lo
	s_delay_alu instid0(VALU_DEP_2) | instskip(NEXT) | instid1(VALU_DEP_2)
	v_add_co_u32 v28, vcc_lo, v29, v28
	v_add_co_ci_u32_e32 v28, vcc_lo, v30, v34, vcc_lo
	v_add_co_ci_u32_e32 v29, vcc_lo, 0, v36, vcc_lo
	v_add_co_u32 v25, vcc_lo, v25, v32
	v_add_co_ci_u32_e32 v26, vcc_lo, v26, v32, vcc_lo
	s_delay_alu instid0(VALU_DEP_4) | instskip(NEXT) | instid1(VALU_DEP_4)
	v_add_co_u32 v27, vcc_lo, v28, v27
	v_add_co_ci_u32_e32 v28, vcc_lo, 0, v29, vcc_lo
	s_delay_alu instid0(VALU_DEP_4) | instskip(NEXT) | instid1(VALU_DEP_3)
	v_xor_b32_e32 v29, v25, v32
	v_add_co_u32 v27, vcc_lo, v23, v27
	s_delay_alu instid0(VALU_DEP_3) | instskip(SKIP_1) | instid1(VALU_DEP_3)
	v_add_co_ci_u32_e32 v30, vcc_lo, v24, v28, vcc_lo
	v_xor_b32_e32 v31, v26, v32
	v_mul_hi_u32 v34, v29, v27
	s_delay_alu instid0(VALU_DEP_3) | instskip(NEXT) | instid1(VALU_DEP_3)
	v_mad_u64_u32 v[23:24], null, v29, v30, 0
	v_mad_u64_u32 v[25:26], null, v31, v27, 0
	;; [unrolled: 1-line block ×3, first 2 shown]
	s_delay_alu instid0(VALU_DEP_3) | instskip(NEXT) | instid1(VALU_DEP_4)
	v_add_co_u32 v23, vcc_lo, v34, v23
	v_add_co_ci_u32_e32 v24, vcc_lo, 0, v24, vcc_lo
	s_delay_alu instid0(VALU_DEP_2) | instskip(NEXT) | instid1(VALU_DEP_2)
	v_add_co_u32 v23, vcc_lo, v23, v25
	v_add_co_ci_u32_e32 v23, vcc_lo, v24, v26, vcc_lo
	v_add_co_ci_u32_e32 v24, vcc_lo, 0, v28, vcc_lo
	s_delay_alu instid0(VALU_DEP_2) | instskip(NEXT) | instid1(VALU_DEP_2)
	v_add_co_u32 v25, vcc_lo, v23, v27
	v_add_co_ci_u32_e32 v26, vcc_lo, 0, v24, vcc_lo
	s_delay_alu instid0(VALU_DEP_2) | instskip(SKIP_1) | instid1(VALU_DEP_3)
	v_mul_lo_u32 v27, s21, v25
	v_mad_u64_u32 v[23:24], null, s20, v25, 0
	v_mul_lo_u32 v28, s20, v26
	s_delay_alu instid0(VALU_DEP_2) | instskip(NEXT) | instid1(VALU_DEP_2)
	v_sub_co_u32 v23, vcc_lo, v29, v23
	v_add3_u32 v24, v24, v28, v27
	s_delay_alu instid0(VALU_DEP_1) | instskip(NEXT) | instid1(VALU_DEP_1)
	v_sub_nc_u32_e32 v27, v31, v24
	v_subrev_co_ci_u32_e64 v27, s0, s21, v27, vcc_lo
	v_add_co_u32 v28, s0, v25, 2
	s_delay_alu instid0(VALU_DEP_1) | instskip(SKIP_3) | instid1(VALU_DEP_3)
	v_add_co_ci_u32_e64 v29, s0, 0, v26, s0
	v_sub_co_u32 v30, s0, v23, s20
	v_sub_co_ci_u32_e32 v24, vcc_lo, v31, v24, vcc_lo
	v_subrev_co_ci_u32_e64 v27, s0, 0, v27, s0
	v_cmp_le_u32_e32 vcc_lo, s20, v30
	s_delay_alu instid0(VALU_DEP_3) | instskip(SKIP_1) | instid1(VALU_DEP_4)
	v_cmp_eq_u32_e64 s0, s21, v24
	v_cndmask_b32_e64 v30, 0, -1, vcc_lo
	v_cmp_le_u32_e32 vcc_lo, s21, v27
	v_cndmask_b32_e64 v31, 0, -1, vcc_lo
	v_cmp_le_u32_e32 vcc_lo, s20, v23
	;; [unrolled: 2-line block ×3, first 2 shown]
	v_cndmask_b32_e64 v34, 0, -1, vcc_lo
	v_cmp_eq_u32_e32 vcc_lo, s21, v27
	s_delay_alu instid0(VALU_DEP_2) | instskip(SKIP_3) | instid1(VALU_DEP_3)
	v_cndmask_b32_e64 v23, v34, v23, s0
	v_cndmask_b32_e32 v27, v31, v30, vcc_lo
	v_add_co_u32 v30, vcc_lo, v25, 1
	v_add_co_ci_u32_e32 v31, vcc_lo, 0, v26, vcc_lo
	v_cmp_ne_u32_e32 vcc_lo, 0, v27
	s_delay_alu instid0(VALU_DEP_2) | instskip(SKIP_2) | instid1(VALU_DEP_3)
	v_dual_cndmask_b32 v24, v31, v29 :: v_dual_cndmask_b32 v27, v30, v28
	v_cmp_ne_u32_e32 vcc_lo, 0, v23
	v_xor_b32_e32 v28, s16, v32
	v_dual_cndmask_b32 v23, v26, v24 :: v_dual_cndmask_b32 v24, v25, v27
	s_delay_alu instid0(VALU_DEP_1) | instskip(NEXT) | instid1(VALU_DEP_2)
	v_xor_b32_e32 v25, v23, v28
	v_xor_b32_e32 v24, v24, v28
	s_delay_alu instid0(VALU_DEP_1) | instskip(NEXT) | instid1(VALU_DEP_3)
	v_sub_co_u32 v23, vcc_lo, v24, v28
	v_sub_co_ci_u32_e32 v24, vcc_lo, v25, v28, vcc_lo
                                        ; implicit-def: $vgpr25
.LBB1159_192:
	s_and_not1_saveexec_b32 s0, s2
	s_cbranch_execz .LBB1159_194
; %bb.193:
	v_cvt_f32_u32_e32 v23, s38
	s_sub_i32 s2, 0, s38
	s_delay_alu instid0(VALU_DEP_1) | instskip(SKIP_2) | instid1(VALU_DEP_1)
	v_rcp_iflag_f32_e32 v23, v23
	s_waitcnt_depctr 0xfff
	v_mul_f32_e32 v23, 0x4f7ffffe, v23
	v_cvt_u32_f32_e32 v23, v23
	s_delay_alu instid0(VALU_DEP_1) | instskip(NEXT) | instid1(VALU_DEP_1)
	v_mul_lo_u32 v24, s2, v23
	v_mul_hi_u32 v24, v23, v24
	s_delay_alu instid0(VALU_DEP_1) | instskip(NEXT) | instid1(VALU_DEP_1)
	v_add_nc_u32_e32 v23, v23, v24
	v_mul_hi_u32 v23, v25, v23
	s_delay_alu instid0(VALU_DEP_1) | instskip(NEXT) | instid1(VALU_DEP_1)
	v_mul_lo_u32 v24, v23, s38
	v_sub_nc_u32_e32 v24, v25, v24
	v_add_nc_u32_e32 v25, 1, v23
	s_delay_alu instid0(VALU_DEP_2) | instskip(SKIP_1) | instid1(VALU_DEP_2)
	v_subrev_nc_u32_e32 v26, s38, v24
	v_cmp_le_u32_e32 vcc_lo, s38, v24
	v_dual_cndmask_b32 v24, v24, v26 :: v_dual_cndmask_b32 v23, v23, v25
	s_delay_alu instid0(VALU_DEP_1) | instskip(NEXT) | instid1(VALU_DEP_2)
	v_cmp_le_u32_e32 vcc_lo, s38, v24
	v_dual_mov_b32 v24, 0 :: v_dual_add_nc_u32 v25, 1, v23
	s_delay_alu instid0(VALU_DEP_1)
	v_cndmask_b32_e32 v23, v23, v25, vcc_lo
.LBB1159_194:
	s_or_b32 exec_lo, exec_lo, s0
.LBB1159_195:
	s_delay_alu instid0(SALU_CYCLE_1) | instskip(SKIP_1) | instid1(VALU_DEP_1)
	s_or_b32 exec_lo, exec_lo, s1
	v_or_b32_e32 v55, 0xc00, v0
                                        ; implicit-def: $vgpr25_vgpr26
	v_cmp_gt_u32_e64 s2, s33, v55
	s_delay_alu instid0(VALU_DEP_1)
	s_and_saveexec_b32 s1, s2
	s_cbranch_execz .LBB1159_201
; %bb.196:
	v_add_co_u32 v27, s0, s24, v55
	s_delay_alu instid0(VALU_DEP_1) | instskip(SKIP_1) | instid1(VALU_DEP_2)
	v_add_co_ci_u32_e64 v28, null, s25, 0, s0
	v_mov_b32_e32 v25, 0
	v_or_b32_e32 v26, s39, v28
	s_delay_alu instid0(VALU_DEP_1) | instskip(SKIP_1) | instid1(SALU_CYCLE_1)
	v_cmp_ne_u64_e32 vcc_lo, 0, v[25:26]
                                        ; implicit-def: $vgpr25_vgpr26
	s_and_saveexec_b32 s0, vcc_lo
	s_xor_b32 s22, exec_lo, s0
	s_cbranch_execz .LBB1159_198
; %bb.197:
	s_ashr_i32 s16, s39, 31
	s_delay_alu instid0(SALU_CYCLE_1) | instskip(SKIP_2) | instid1(SALU_CYCLE_1)
	s_add_u32 s20, s38, s16
	s_mov_b32 s17, s16
	s_addc_u32 s21, s39, s16
	s_xor_b64 s[20:21], s[20:21], s[16:17]
	s_delay_alu instid0(SALU_CYCLE_1) | instskip(SKIP_3) | instid1(VALU_DEP_1)
	v_cvt_f32_u32_e32 v25, s20
	v_cvt_f32_u32_e32 v26, s21
	s_sub_u32 s0, 0, s20
	s_subb_u32 s17, 0, s21
	v_fmamk_f32 v25, v26, 0x4f800000, v25
	s_delay_alu instid0(VALU_DEP_1) | instskip(SKIP_2) | instid1(VALU_DEP_1)
	v_rcp_f32_e32 v25, v25
	s_waitcnt_depctr 0xfff
	v_mul_f32_e32 v25, 0x5f7ffffc, v25
	v_mul_f32_e32 v26, 0x2f800000, v25
	s_delay_alu instid0(VALU_DEP_1) | instskip(NEXT) | instid1(VALU_DEP_1)
	v_trunc_f32_e32 v26, v26
	v_fmamk_f32 v25, v26, 0xcf800000, v25
	v_cvt_u32_f32_e32 v26, v26
	s_delay_alu instid0(VALU_DEP_2) | instskip(NEXT) | instid1(VALU_DEP_2)
	v_cvt_u32_f32_e32 v25, v25
	v_mul_lo_u32 v29, s0, v26
	s_delay_alu instid0(VALU_DEP_2) | instskip(SKIP_1) | instid1(VALU_DEP_2)
	v_mul_hi_u32 v30, s0, v25
	v_mul_lo_u32 v31, s17, v25
	v_add_nc_u32_e32 v29, v30, v29
	v_mul_lo_u32 v30, s0, v25
	s_delay_alu instid0(VALU_DEP_2) | instskip(NEXT) | instid1(VALU_DEP_2)
	v_add_nc_u32_e32 v29, v29, v31
	v_mul_hi_u32 v31, v25, v30
	s_delay_alu instid0(VALU_DEP_2)
	v_mul_lo_u32 v32, v25, v29
	v_mul_hi_u32 v34, v25, v29
	v_mul_hi_u32 v36, v26, v30
	v_mul_lo_u32 v30, v26, v30
	v_mul_hi_u32 v38, v26, v29
	v_mul_lo_u32 v29, v26, v29
	v_add_co_u32 v31, vcc_lo, v31, v32
	v_add_co_ci_u32_e32 v32, vcc_lo, 0, v34, vcc_lo
	s_delay_alu instid0(VALU_DEP_2) | instskip(NEXT) | instid1(VALU_DEP_2)
	v_add_co_u32 v30, vcc_lo, v31, v30
	v_add_co_ci_u32_e32 v30, vcc_lo, v32, v36, vcc_lo
	v_add_co_ci_u32_e32 v31, vcc_lo, 0, v38, vcc_lo
	v_ashrrev_i32_e32 v36, 31, v28
	s_delay_alu instid0(VALU_DEP_3) | instskip(NEXT) | instid1(VALU_DEP_3)
	v_add_co_u32 v29, vcc_lo, v30, v29
	v_add_co_ci_u32_e32 v30, vcc_lo, 0, v31, vcc_lo
	s_delay_alu instid0(VALU_DEP_2) | instskip(NEXT) | instid1(VALU_DEP_2)
	v_add_co_u32 v25, vcc_lo, v25, v29
	v_add_co_ci_u32_e32 v26, vcc_lo, v26, v30, vcc_lo
	s_delay_alu instid0(VALU_DEP_2) | instskip(SKIP_1) | instid1(VALU_DEP_3)
	v_mul_hi_u32 v29, s0, v25
	v_mul_lo_u32 v31, s17, v25
	v_mul_lo_u32 v30, s0, v26
	s_delay_alu instid0(VALU_DEP_1) | instskip(SKIP_1) | instid1(VALU_DEP_2)
	v_add_nc_u32_e32 v29, v29, v30
	v_mul_lo_u32 v30, s0, v25
	v_add_nc_u32_e32 v29, v29, v31
	s_delay_alu instid0(VALU_DEP_2) | instskip(NEXT) | instid1(VALU_DEP_2)
	v_mul_hi_u32 v31, v25, v30
	v_mul_lo_u32 v32, v25, v29
	v_mul_hi_u32 v34, v25, v29
	v_mul_hi_u32 v38, v26, v30
	v_mul_lo_u32 v30, v26, v30
	v_mul_hi_u32 v40, v26, v29
	v_mul_lo_u32 v29, v26, v29
	v_add_co_u32 v31, vcc_lo, v31, v32
	v_add_co_ci_u32_e32 v32, vcc_lo, 0, v34, vcc_lo
	s_delay_alu instid0(VALU_DEP_2) | instskip(NEXT) | instid1(VALU_DEP_2)
	v_add_co_u32 v30, vcc_lo, v31, v30
	v_add_co_ci_u32_e32 v30, vcc_lo, v32, v38, vcc_lo
	v_add_co_ci_u32_e32 v31, vcc_lo, 0, v40, vcc_lo
	v_add_co_u32 v27, vcc_lo, v27, v36
	v_add_co_ci_u32_e32 v28, vcc_lo, v28, v36, vcc_lo
	s_delay_alu instid0(VALU_DEP_4) | instskip(NEXT) | instid1(VALU_DEP_4)
	v_add_co_u32 v29, vcc_lo, v30, v29
	v_add_co_ci_u32_e32 v30, vcc_lo, 0, v31, vcc_lo
	s_delay_alu instid0(VALU_DEP_4) | instskip(NEXT) | instid1(VALU_DEP_3)
	v_xor_b32_e32 v31, v27, v36
	v_add_co_u32 v29, vcc_lo, v25, v29
	s_delay_alu instid0(VALU_DEP_3) | instskip(SKIP_1) | instid1(VALU_DEP_3)
	v_add_co_ci_u32_e32 v32, vcc_lo, v26, v30, vcc_lo
	v_xor_b32_e32 v34, v28, v36
	v_mul_hi_u32 v38, v31, v29
	s_delay_alu instid0(VALU_DEP_3) | instskip(NEXT) | instid1(VALU_DEP_3)
	v_mad_u64_u32 v[25:26], null, v31, v32, 0
	v_mad_u64_u32 v[27:28], null, v34, v29, 0
	;; [unrolled: 1-line block ×3, first 2 shown]
	s_delay_alu instid0(VALU_DEP_3) | instskip(NEXT) | instid1(VALU_DEP_4)
	v_add_co_u32 v25, vcc_lo, v38, v25
	v_add_co_ci_u32_e32 v26, vcc_lo, 0, v26, vcc_lo
	s_delay_alu instid0(VALU_DEP_2) | instskip(NEXT) | instid1(VALU_DEP_2)
	v_add_co_u32 v25, vcc_lo, v25, v27
	v_add_co_ci_u32_e32 v25, vcc_lo, v26, v28, vcc_lo
	v_add_co_ci_u32_e32 v26, vcc_lo, 0, v30, vcc_lo
	s_delay_alu instid0(VALU_DEP_2) | instskip(NEXT) | instid1(VALU_DEP_2)
	v_add_co_u32 v27, vcc_lo, v25, v29
	v_add_co_ci_u32_e32 v28, vcc_lo, 0, v26, vcc_lo
	s_delay_alu instid0(VALU_DEP_2) | instskip(SKIP_1) | instid1(VALU_DEP_3)
	v_mul_lo_u32 v29, s21, v27
	v_mad_u64_u32 v[25:26], null, s20, v27, 0
	v_mul_lo_u32 v30, s20, v28
	s_delay_alu instid0(VALU_DEP_2) | instskip(NEXT) | instid1(VALU_DEP_2)
	v_sub_co_u32 v25, vcc_lo, v31, v25
	v_add3_u32 v26, v26, v30, v29
	s_delay_alu instid0(VALU_DEP_1) | instskip(NEXT) | instid1(VALU_DEP_1)
	v_sub_nc_u32_e32 v29, v34, v26
	v_subrev_co_ci_u32_e64 v29, s0, s21, v29, vcc_lo
	v_add_co_u32 v30, s0, v27, 2
	s_delay_alu instid0(VALU_DEP_1) | instskip(SKIP_3) | instid1(VALU_DEP_3)
	v_add_co_ci_u32_e64 v31, s0, 0, v28, s0
	v_sub_co_u32 v32, s0, v25, s20
	v_sub_co_ci_u32_e32 v26, vcc_lo, v34, v26, vcc_lo
	v_subrev_co_ci_u32_e64 v29, s0, 0, v29, s0
	v_cmp_le_u32_e32 vcc_lo, s20, v32
	s_delay_alu instid0(VALU_DEP_3) | instskip(SKIP_1) | instid1(VALU_DEP_4)
	v_cmp_eq_u32_e64 s0, s21, v26
	v_cndmask_b32_e64 v32, 0, -1, vcc_lo
	v_cmp_le_u32_e32 vcc_lo, s21, v29
	v_cndmask_b32_e64 v34, 0, -1, vcc_lo
	v_cmp_le_u32_e32 vcc_lo, s20, v25
	;; [unrolled: 2-line block ×3, first 2 shown]
	v_cndmask_b32_e64 v38, 0, -1, vcc_lo
	v_cmp_eq_u32_e32 vcc_lo, s21, v29
	s_delay_alu instid0(VALU_DEP_2) | instskip(SKIP_3) | instid1(VALU_DEP_3)
	v_cndmask_b32_e64 v25, v38, v25, s0
	v_cndmask_b32_e32 v29, v34, v32, vcc_lo
	v_add_co_u32 v32, vcc_lo, v27, 1
	v_add_co_ci_u32_e32 v34, vcc_lo, 0, v28, vcc_lo
	v_cmp_ne_u32_e32 vcc_lo, 0, v29
	s_delay_alu instid0(VALU_DEP_2) | instskip(SKIP_2) | instid1(VALU_DEP_3)
	v_dual_cndmask_b32 v26, v34, v31 :: v_dual_cndmask_b32 v29, v32, v30
	v_cmp_ne_u32_e32 vcc_lo, 0, v25
	v_xor_b32_e32 v30, s16, v36
	v_dual_cndmask_b32 v25, v28, v26 :: v_dual_cndmask_b32 v26, v27, v29
	s_delay_alu instid0(VALU_DEP_1) | instskip(NEXT) | instid1(VALU_DEP_2)
	v_xor_b32_e32 v27, v25, v30
	v_xor_b32_e32 v26, v26, v30
	s_delay_alu instid0(VALU_DEP_1) | instskip(NEXT) | instid1(VALU_DEP_3)
	v_sub_co_u32 v25, vcc_lo, v26, v30
	v_sub_co_ci_u32_e32 v26, vcc_lo, v27, v30, vcc_lo
                                        ; implicit-def: $vgpr27
.LBB1159_198:
	s_and_not1_saveexec_b32 s0, s22
	s_cbranch_execz .LBB1159_200
; %bb.199:
	v_cvt_f32_u32_e32 v25, s38
	s_sub_i32 s16, 0, s38
	s_delay_alu instid0(VALU_DEP_1) | instskip(SKIP_2) | instid1(VALU_DEP_1)
	v_rcp_iflag_f32_e32 v25, v25
	s_waitcnt_depctr 0xfff
	v_mul_f32_e32 v25, 0x4f7ffffe, v25
	v_cvt_u32_f32_e32 v25, v25
	s_delay_alu instid0(VALU_DEP_1) | instskip(NEXT) | instid1(VALU_DEP_1)
	v_mul_lo_u32 v26, s16, v25
	v_mul_hi_u32 v26, v25, v26
	s_delay_alu instid0(VALU_DEP_1) | instskip(NEXT) | instid1(VALU_DEP_1)
	v_add_nc_u32_e32 v25, v25, v26
	v_mul_hi_u32 v25, v27, v25
	s_delay_alu instid0(VALU_DEP_1) | instskip(NEXT) | instid1(VALU_DEP_1)
	v_mul_lo_u32 v26, v25, s38
	v_sub_nc_u32_e32 v26, v27, v26
	v_add_nc_u32_e32 v27, 1, v25
	s_delay_alu instid0(VALU_DEP_2) | instskip(SKIP_1) | instid1(VALU_DEP_2)
	v_subrev_nc_u32_e32 v28, s38, v26
	v_cmp_le_u32_e32 vcc_lo, s38, v26
	v_dual_cndmask_b32 v26, v26, v28 :: v_dual_cndmask_b32 v25, v25, v27
	s_delay_alu instid0(VALU_DEP_1) | instskip(NEXT) | instid1(VALU_DEP_2)
	v_cmp_le_u32_e32 vcc_lo, s38, v26
	v_dual_mov_b32 v26, 0 :: v_dual_add_nc_u32 v27, 1, v25
	s_delay_alu instid0(VALU_DEP_1)
	v_cndmask_b32_e32 v25, v25, v27, vcc_lo
.LBB1159_200:
	s_or_b32 exec_lo, exec_lo, s0
.LBB1159_201:
	s_delay_alu instid0(SALU_CYCLE_1) | instskip(SKIP_1) | instid1(VALU_DEP_1)
	s_or_b32 exec_lo, exec_lo, s1
	v_or_b32_e32 v59, 0xd00, v0
                                        ; implicit-def: $vgpr27_vgpr28
	v_cmp_gt_u32_e64 s1, s33, v59
	s_delay_alu instid0(VALU_DEP_1)
	s_and_saveexec_b32 s22, s1
	s_cbranch_execz .LBB1159_207
; %bb.202:
	v_add_co_u32 v29, s0, s24, v59
	s_delay_alu instid0(VALU_DEP_1) | instskip(SKIP_1) | instid1(VALU_DEP_2)
	v_add_co_ci_u32_e64 v30, null, s25, 0, s0
	v_mov_b32_e32 v27, 0
	v_or_b32_e32 v28, s39, v30
	s_delay_alu instid0(VALU_DEP_1) | instskip(SKIP_1) | instid1(SALU_CYCLE_1)
	v_cmp_ne_u64_e32 vcc_lo, 0, v[27:28]
                                        ; implicit-def: $vgpr27_vgpr28
	s_and_saveexec_b32 s0, vcc_lo
	s_xor_b32 s23, exec_lo, s0
	s_cbranch_execz .LBB1159_204
; %bb.203:
	s_ashr_i32 s16, s39, 31
	s_delay_alu instid0(SALU_CYCLE_1) | instskip(SKIP_2) | instid1(SALU_CYCLE_1)
	s_add_u32 s20, s38, s16
	s_mov_b32 s17, s16
	s_addc_u32 s21, s39, s16
	s_xor_b64 s[20:21], s[20:21], s[16:17]
	s_delay_alu instid0(SALU_CYCLE_1) | instskip(SKIP_3) | instid1(VALU_DEP_1)
	v_cvt_f32_u32_e32 v27, s20
	v_cvt_f32_u32_e32 v28, s21
	s_sub_u32 s0, 0, s20
	s_subb_u32 s17, 0, s21
	v_fmamk_f32 v27, v28, 0x4f800000, v27
	s_delay_alu instid0(VALU_DEP_1) | instskip(SKIP_2) | instid1(VALU_DEP_1)
	v_rcp_f32_e32 v27, v27
	s_waitcnt_depctr 0xfff
	v_mul_f32_e32 v27, 0x5f7ffffc, v27
	v_mul_f32_e32 v28, 0x2f800000, v27
	s_delay_alu instid0(VALU_DEP_1) | instskip(NEXT) | instid1(VALU_DEP_1)
	v_trunc_f32_e32 v28, v28
	v_fmamk_f32 v27, v28, 0xcf800000, v27
	v_cvt_u32_f32_e32 v28, v28
	s_delay_alu instid0(VALU_DEP_2) | instskip(NEXT) | instid1(VALU_DEP_2)
	v_cvt_u32_f32_e32 v27, v27
	v_mul_lo_u32 v31, s0, v28
	s_delay_alu instid0(VALU_DEP_2) | instskip(SKIP_1) | instid1(VALU_DEP_2)
	v_mul_hi_u32 v32, s0, v27
	v_mul_lo_u32 v34, s17, v27
	v_add_nc_u32_e32 v31, v32, v31
	v_mul_lo_u32 v32, s0, v27
	s_delay_alu instid0(VALU_DEP_2) | instskip(NEXT) | instid1(VALU_DEP_2)
	v_add_nc_u32_e32 v31, v31, v34
	v_mul_hi_u32 v34, v27, v32
	s_delay_alu instid0(VALU_DEP_2)
	v_mul_lo_u32 v36, v27, v31
	v_mul_hi_u32 v38, v27, v31
	v_mul_hi_u32 v40, v28, v32
	v_mul_lo_u32 v32, v28, v32
	v_mul_hi_u32 v42, v28, v31
	v_mul_lo_u32 v31, v28, v31
	v_add_co_u32 v34, vcc_lo, v34, v36
	v_add_co_ci_u32_e32 v36, vcc_lo, 0, v38, vcc_lo
	s_delay_alu instid0(VALU_DEP_2) | instskip(NEXT) | instid1(VALU_DEP_2)
	v_add_co_u32 v32, vcc_lo, v34, v32
	v_add_co_ci_u32_e32 v32, vcc_lo, v36, v40, vcc_lo
	v_add_co_ci_u32_e32 v34, vcc_lo, 0, v42, vcc_lo
	v_ashrrev_i32_e32 v40, 31, v30
	s_delay_alu instid0(VALU_DEP_3) | instskip(NEXT) | instid1(VALU_DEP_3)
	v_add_co_u32 v31, vcc_lo, v32, v31
	v_add_co_ci_u32_e32 v32, vcc_lo, 0, v34, vcc_lo
	s_delay_alu instid0(VALU_DEP_2) | instskip(NEXT) | instid1(VALU_DEP_2)
	v_add_co_u32 v27, vcc_lo, v27, v31
	v_add_co_ci_u32_e32 v28, vcc_lo, v28, v32, vcc_lo
	s_delay_alu instid0(VALU_DEP_2) | instskip(SKIP_1) | instid1(VALU_DEP_3)
	v_mul_hi_u32 v31, s0, v27
	v_mul_lo_u32 v34, s17, v27
	v_mul_lo_u32 v32, s0, v28
	s_delay_alu instid0(VALU_DEP_1) | instskip(SKIP_1) | instid1(VALU_DEP_2)
	v_add_nc_u32_e32 v31, v31, v32
	v_mul_lo_u32 v32, s0, v27
	v_add_nc_u32_e32 v31, v31, v34
	s_delay_alu instid0(VALU_DEP_2) | instskip(NEXT) | instid1(VALU_DEP_2)
	v_mul_hi_u32 v34, v27, v32
	v_mul_lo_u32 v36, v27, v31
	v_mul_hi_u32 v38, v27, v31
	v_mul_hi_u32 v42, v28, v32
	v_mul_lo_u32 v32, v28, v32
	v_mul_hi_u32 v44, v28, v31
	v_mul_lo_u32 v31, v28, v31
	v_add_co_u32 v34, vcc_lo, v34, v36
	v_add_co_ci_u32_e32 v36, vcc_lo, 0, v38, vcc_lo
	s_delay_alu instid0(VALU_DEP_2) | instskip(NEXT) | instid1(VALU_DEP_2)
	v_add_co_u32 v32, vcc_lo, v34, v32
	v_add_co_ci_u32_e32 v32, vcc_lo, v36, v42, vcc_lo
	v_add_co_ci_u32_e32 v34, vcc_lo, 0, v44, vcc_lo
	v_add_co_u32 v29, vcc_lo, v29, v40
	v_add_co_ci_u32_e32 v30, vcc_lo, v30, v40, vcc_lo
	s_delay_alu instid0(VALU_DEP_4) | instskip(NEXT) | instid1(VALU_DEP_4)
	v_add_co_u32 v31, vcc_lo, v32, v31
	v_add_co_ci_u32_e32 v32, vcc_lo, 0, v34, vcc_lo
	s_delay_alu instid0(VALU_DEP_4) | instskip(NEXT) | instid1(VALU_DEP_3)
	v_xor_b32_e32 v34, v29, v40
	v_add_co_u32 v31, vcc_lo, v27, v31
	s_delay_alu instid0(VALU_DEP_3) | instskip(SKIP_1) | instid1(VALU_DEP_3)
	v_add_co_ci_u32_e32 v36, vcc_lo, v28, v32, vcc_lo
	v_xor_b32_e32 v38, v30, v40
	v_mul_hi_u32 v42, v34, v31
	s_delay_alu instid0(VALU_DEP_3) | instskip(NEXT) | instid1(VALU_DEP_3)
	v_mad_u64_u32 v[27:28], null, v34, v36, 0
	v_mad_u64_u32 v[29:30], null, v38, v31, 0
	;; [unrolled: 1-line block ×3, first 2 shown]
	s_delay_alu instid0(VALU_DEP_3) | instskip(NEXT) | instid1(VALU_DEP_4)
	v_add_co_u32 v27, vcc_lo, v42, v27
	v_add_co_ci_u32_e32 v28, vcc_lo, 0, v28, vcc_lo
	s_delay_alu instid0(VALU_DEP_2) | instskip(NEXT) | instid1(VALU_DEP_2)
	v_add_co_u32 v27, vcc_lo, v27, v29
	v_add_co_ci_u32_e32 v27, vcc_lo, v28, v30, vcc_lo
	v_add_co_ci_u32_e32 v28, vcc_lo, 0, v32, vcc_lo
	s_delay_alu instid0(VALU_DEP_2) | instskip(NEXT) | instid1(VALU_DEP_2)
	v_add_co_u32 v29, vcc_lo, v27, v31
	v_add_co_ci_u32_e32 v30, vcc_lo, 0, v28, vcc_lo
	s_delay_alu instid0(VALU_DEP_2) | instskip(SKIP_1) | instid1(VALU_DEP_3)
	v_mul_lo_u32 v31, s21, v29
	v_mad_u64_u32 v[27:28], null, s20, v29, 0
	v_mul_lo_u32 v32, s20, v30
	s_delay_alu instid0(VALU_DEP_2) | instskip(NEXT) | instid1(VALU_DEP_2)
	v_sub_co_u32 v27, vcc_lo, v34, v27
	v_add3_u32 v28, v28, v32, v31
	s_delay_alu instid0(VALU_DEP_1) | instskip(NEXT) | instid1(VALU_DEP_1)
	v_sub_nc_u32_e32 v31, v38, v28
	v_subrev_co_ci_u32_e64 v31, s0, s21, v31, vcc_lo
	v_add_co_u32 v32, s0, v29, 2
	s_delay_alu instid0(VALU_DEP_1) | instskip(SKIP_3) | instid1(VALU_DEP_3)
	v_add_co_ci_u32_e64 v34, s0, 0, v30, s0
	v_sub_co_u32 v36, s0, v27, s20
	v_sub_co_ci_u32_e32 v28, vcc_lo, v38, v28, vcc_lo
	v_subrev_co_ci_u32_e64 v31, s0, 0, v31, s0
	v_cmp_le_u32_e32 vcc_lo, s20, v36
	s_delay_alu instid0(VALU_DEP_3) | instskip(SKIP_1) | instid1(VALU_DEP_4)
	v_cmp_eq_u32_e64 s0, s21, v28
	v_cndmask_b32_e64 v36, 0, -1, vcc_lo
	v_cmp_le_u32_e32 vcc_lo, s21, v31
	v_cndmask_b32_e64 v38, 0, -1, vcc_lo
	v_cmp_le_u32_e32 vcc_lo, s20, v27
	;; [unrolled: 2-line block ×3, first 2 shown]
	v_cndmask_b32_e64 v42, 0, -1, vcc_lo
	v_cmp_eq_u32_e32 vcc_lo, s21, v31
	s_delay_alu instid0(VALU_DEP_2) | instskip(SKIP_3) | instid1(VALU_DEP_3)
	v_cndmask_b32_e64 v27, v42, v27, s0
	v_cndmask_b32_e32 v31, v38, v36, vcc_lo
	v_add_co_u32 v36, vcc_lo, v29, 1
	v_add_co_ci_u32_e32 v38, vcc_lo, 0, v30, vcc_lo
	v_cmp_ne_u32_e32 vcc_lo, 0, v31
	s_delay_alu instid0(VALU_DEP_2) | instskip(SKIP_2) | instid1(VALU_DEP_3)
	v_dual_cndmask_b32 v28, v38, v34 :: v_dual_cndmask_b32 v31, v36, v32
	v_cmp_ne_u32_e32 vcc_lo, 0, v27
	v_xor_b32_e32 v32, s16, v40
	v_dual_cndmask_b32 v27, v30, v28 :: v_dual_cndmask_b32 v28, v29, v31
	s_delay_alu instid0(VALU_DEP_1) | instskip(NEXT) | instid1(VALU_DEP_2)
	v_xor_b32_e32 v29, v27, v32
	v_xor_b32_e32 v28, v28, v32
	s_delay_alu instid0(VALU_DEP_1) | instskip(NEXT) | instid1(VALU_DEP_3)
	v_sub_co_u32 v27, vcc_lo, v28, v32
	v_sub_co_ci_u32_e32 v28, vcc_lo, v29, v32, vcc_lo
                                        ; implicit-def: $vgpr29
.LBB1159_204:
	s_and_not1_saveexec_b32 s0, s23
	s_cbranch_execz .LBB1159_206
; %bb.205:
	v_cvt_f32_u32_e32 v27, s38
	s_sub_i32 s16, 0, s38
	s_delay_alu instid0(VALU_DEP_1) | instskip(SKIP_2) | instid1(VALU_DEP_1)
	v_rcp_iflag_f32_e32 v27, v27
	s_waitcnt_depctr 0xfff
	v_mul_f32_e32 v27, 0x4f7ffffe, v27
	v_cvt_u32_f32_e32 v27, v27
	s_delay_alu instid0(VALU_DEP_1) | instskip(NEXT) | instid1(VALU_DEP_1)
	v_mul_lo_u32 v28, s16, v27
	v_mul_hi_u32 v28, v27, v28
	s_delay_alu instid0(VALU_DEP_1) | instskip(NEXT) | instid1(VALU_DEP_1)
	v_add_nc_u32_e32 v27, v27, v28
	v_mul_hi_u32 v27, v29, v27
	s_delay_alu instid0(VALU_DEP_1) | instskip(NEXT) | instid1(VALU_DEP_1)
	v_mul_lo_u32 v28, v27, s38
	v_sub_nc_u32_e32 v28, v29, v28
	v_add_nc_u32_e32 v29, 1, v27
	s_delay_alu instid0(VALU_DEP_2) | instskip(SKIP_1) | instid1(VALU_DEP_2)
	v_subrev_nc_u32_e32 v30, s38, v28
	v_cmp_le_u32_e32 vcc_lo, s38, v28
	v_dual_cndmask_b32 v28, v28, v30 :: v_dual_cndmask_b32 v27, v27, v29
	s_delay_alu instid0(VALU_DEP_1) | instskip(NEXT) | instid1(VALU_DEP_2)
	v_cmp_le_u32_e32 vcc_lo, s38, v28
	v_dual_mov_b32 v28, 0 :: v_dual_add_nc_u32 v29, 1, v27
	s_delay_alu instid0(VALU_DEP_1)
	v_cndmask_b32_e32 v27, v27, v29, vcc_lo
.LBB1159_206:
	s_or_b32 exec_lo, exec_lo, s0
.LBB1159_207:
	s_delay_alu instid0(SALU_CYCLE_1) | instskip(SKIP_1) | instid1(VALU_DEP_1)
	s_or_b32 exec_lo, exec_lo, s22
	v_or_b32_e32 v63, 0xe00, v0
                                        ; implicit-def: $vgpr29_vgpr30
	v_cmp_gt_u32_e64 s0, s33, v63
	s_delay_alu instid0(VALU_DEP_1)
	s_and_saveexec_b32 s17, s0
	s_cbranch_execz .LBB1159_213
; %bb.208:
	v_add_co_u32 v31, s16, s24, v63
	s_delay_alu instid0(VALU_DEP_1) | instskip(SKIP_1) | instid1(VALU_DEP_2)
	v_add_co_ci_u32_e64 v32, null, s25, 0, s16
	v_mov_b32_e32 v29, 0
	v_or_b32_e32 v30, s39, v32
	s_delay_alu instid0(VALU_DEP_1) | instskip(SKIP_1) | instid1(SALU_CYCLE_1)
	v_cmp_ne_u64_e32 vcc_lo, 0, v[29:30]
                                        ; implicit-def: $vgpr29_vgpr30
	s_and_saveexec_b32 s16, vcc_lo
	s_xor_b32 s34, exec_lo, s16
	s_cbranch_execz .LBB1159_210
; %bb.209:
	s_ashr_i32 s20, s39, 31
	s_delay_alu instid0(SALU_CYCLE_1) | instskip(SKIP_2) | instid1(SALU_CYCLE_1)
	s_add_u32 s22, s38, s20
	s_mov_b32 s21, s20
	s_addc_u32 s23, s39, s20
	s_xor_b64 s[22:23], s[22:23], s[20:21]
	s_delay_alu instid0(SALU_CYCLE_1) | instskip(SKIP_3) | instid1(VALU_DEP_1)
	v_cvt_f32_u32_e32 v29, s22
	v_cvt_f32_u32_e32 v30, s23
	s_sub_u32 s16, 0, s22
	s_subb_u32 s21, 0, s23
	v_fmamk_f32 v29, v30, 0x4f800000, v29
	s_delay_alu instid0(VALU_DEP_1) | instskip(SKIP_2) | instid1(VALU_DEP_1)
	v_rcp_f32_e32 v29, v29
	s_waitcnt_depctr 0xfff
	v_mul_f32_e32 v29, 0x5f7ffffc, v29
	v_mul_f32_e32 v30, 0x2f800000, v29
	s_delay_alu instid0(VALU_DEP_1) | instskip(NEXT) | instid1(VALU_DEP_1)
	v_trunc_f32_e32 v30, v30
	v_fmamk_f32 v29, v30, 0xcf800000, v29
	v_cvt_u32_f32_e32 v30, v30
	s_delay_alu instid0(VALU_DEP_2) | instskip(NEXT) | instid1(VALU_DEP_2)
	v_cvt_u32_f32_e32 v29, v29
	v_mul_lo_u32 v34, s16, v30
	s_delay_alu instid0(VALU_DEP_2) | instskip(SKIP_1) | instid1(VALU_DEP_2)
	v_mul_hi_u32 v36, s16, v29
	v_mul_lo_u32 v38, s21, v29
	v_add_nc_u32_e32 v34, v36, v34
	v_mul_lo_u32 v36, s16, v29
	s_delay_alu instid0(VALU_DEP_2) | instskip(NEXT) | instid1(VALU_DEP_2)
	v_add_nc_u32_e32 v34, v34, v38
	v_mul_hi_u32 v38, v29, v36
	s_delay_alu instid0(VALU_DEP_2)
	v_mul_lo_u32 v40, v29, v34
	v_mul_hi_u32 v42, v29, v34
	v_mul_hi_u32 v44, v30, v36
	v_mul_lo_u32 v36, v30, v36
	v_mul_hi_u32 v46, v30, v34
	v_mul_lo_u32 v34, v30, v34
	v_add_co_u32 v38, vcc_lo, v38, v40
	v_add_co_ci_u32_e32 v40, vcc_lo, 0, v42, vcc_lo
	s_delay_alu instid0(VALU_DEP_2) | instskip(NEXT) | instid1(VALU_DEP_2)
	v_add_co_u32 v36, vcc_lo, v38, v36
	v_add_co_ci_u32_e32 v36, vcc_lo, v40, v44, vcc_lo
	v_add_co_ci_u32_e32 v38, vcc_lo, 0, v46, vcc_lo
	v_ashrrev_i32_e32 v44, 31, v32
	s_delay_alu instid0(VALU_DEP_3) | instskip(NEXT) | instid1(VALU_DEP_3)
	v_add_co_u32 v34, vcc_lo, v36, v34
	v_add_co_ci_u32_e32 v36, vcc_lo, 0, v38, vcc_lo
	s_delay_alu instid0(VALU_DEP_2) | instskip(NEXT) | instid1(VALU_DEP_2)
	v_add_co_u32 v29, vcc_lo, v29, v34
	v_add_co_ci_u32_e32 v30, vcc_lo, v30, v36, vcc_lo
	s_delay_alu instid0(VALU_DEP_2) | instskip(SKIP_1) | instid1(VALU_DEP_3)
	v_mul_hi_u32 v34, s16, v29
	v_mul_lo_u32 v38, s21, v29
	v_mul_lo_u32 v36, s16, v30
	s_delay_alu instid0(VALU_DEP_1) | instskip(SKIP_1) | instid1(VALU_DEP_2)
	v_add_nc_u32_e32 v34, v34, v36
	v_mul_lo_u32 v36, s16, v29
	v_add_nc_u32_e32 v34, v34, v38
	s_delay_alu instid0(VALU_DEP_2) | instskip(NEXT) | instid1(VALU_DEP_2)
	v_mul_hi_u32 v38, v29, v36
	v_mul_lo_u32 v40, v29, v34
	v_mul_hi_u32 v42, v29, v34
	v_mul_hi_u32 v46, v30, v36
	v_mul_lo_u32 v36, v30, v36
	v_mul_hi_u32 v48, v30, v34
	v_mul_lo_u32 v34, v30, v34
	v_add_co_u32 v38, vcc_lo, v38, v40
	v_add_co_ci_u32_e32 v40, vcc_lo, 0, v42, vcc_lo
	s_delay_alu instid0(VALU_DEP_2) | instskip(NEXT) | instid1(VALU_DEP_2)
	v_add_co_u32 v36, vcc_lo, v38, v36
	v_add_co_ci_u32_e32 v36, vcc_lo, v40, v46, vcc_lo
	v_add_co_ci_u32_e32 v38, vcc_lo, 0, v48, vcc_lo
	v_add_co_u32 v31, vcc_lo, v31, v44
	v_add_co_ci_u32_e32 v32, vcc_lo, v32, v44, vcc_lo
	s_delay_alu instid0(VALU_DEP_4) | instskip(NEXT) | instid1(VALU_DEP_4)
	v_add_co_u32 v34, vcc_lo, v36, v34
	v_add_co_ci_u32_e32 v36, vcc_lo, 0, v38, vcc_lo
	s_delay_alu instid0(VALU_DEP_4) | instskip(NEXT) | instid1(VALU_DEP_3)
	v_xor_b32_e32 v38, v31, v44
	v_add_co_u32 v34, vcc_lo, v29, v34
	s_delay_alu instid0(VALU_DEP_3) | instskip(SKIP_1) | instid1(VALU_DEP_3)
	v_add_co_ci_u32_e32 v36, vcc_lo, v30, v36, vcc_lo
	v_xor_b32_e32 v40, v32, v44
	v_mul_hi_u32 v42, v38, v34
	s_delay_alu instid0(VALU_DEP_3) | instskip(NEXT) | instid1(VALU_DEP_3)
	v_mad_u64_u32 v[29:30], null, v38, v36, 0
	v_mad_u64_u32 v[31:32], null, v40, v34, 0
	;; [unrolled: 1-line block ×3, first 2 shown]
	s_delay_alu instid0(VALU_DEP_3) | instskip(NEXT) | instid1(VALU_DEP_4)
	v_add_co_u32 v29, vcc_lo, v42, v29
	v_add_co_ci_u32_e32 v30, vcc_lo, 0, v30, vcc_lo
	s_delay_alu instid0(VALU_DEP_2) | instskip(NEXT) | instid1(VALU_DEP_2)
	v_add_co_u32 v29, vcc_lo, v29, v31
	v_add_co_ci_u32_e32 v29, vcc_lo, v30, v32, vcc_lo
	v_add_co_ci_u32_e32 v30, vcc_lo, 0, v57, vcc_lo
	s_delay_alu instid0(VALU_DEP_2) | instskip(NEXT) | instid1(VALU_DEP_2)
	v_add_co_u32 v31, vcc_lo, v29, v56
	v_add_co_ci_u32_e32 v32, vcc_lo, 0, v30, vcc_lo
	s_delay_alu instid0(VALU_DEP_2) | instskip(SKIP_1) | instid1(VALU_DEP_3)
	v_mul_lo_u32 v34, s23, v31
	v_mad_u64_u32 v[29:30], null, s22, v31, 0
	v_mul_lo_u32 v36, s22, v32
	s_delay_alu instid0(VALU_DEP_2) | instskip(NEXT) | instid1(VALU_DEP_2)
	v_sub_co_u32 v29, vcc_lo, v38, v29
	v_add3_u32 v30, v30, v36, v34
	s_delay_alu instid0(VALU_DEP_1) | instskip(NEXT) | instid1(VALU_DEP_1)
	v_sub_nc_u32_e32 v34, v40, v30
	v_subrev_co_ci_u32_e64 v34, s16, s23, v34, vcc_lo
	v_add_co_u32 v36, s16, v31, 2
	s_delay_alu instid0(VALU_DEP_1) | instskip(SKIP_3) | instid1(VALU_DEP_3)
	v_add_co_ci_u32_e64 v38, s16, 0, v32, s16
	v_sub_co_u32 v42, s16, v29, s22
	v_sub_co_ci_u32_e32 v30, vcc_lo, v40, v30, vcc_lo
	v_subrev_co_ci_u32_e64 v34, s16, 0, v34, s16
	v_cmp_le_u32_e32 vcc_lo, s22, v42
	s_delay_alu instid0(VALU_DEP_3) | instskip(SKIP_1) | instid1(VALU_DEP_4)
	v_cmp_eq_u32_e64 s16, s23, v30
	v_cndmask_b32_e64 v40, 0, -1, vcc_lo
	v_cmp_le_u32_e32 vcc_lo, s23, v34
	v_cndmask_b32_e64 v42, 0, -1, vcc_lo
	v_cmp_le_u32_e32 vcc_lo, s22, v29
	;; [unrolled: 2-line block ×3, first 2 shown]
	v_cndmask_b32_e64 v46, 0, -1, vcc_lo
	v_cmp_eq_u32_e32 vcc_lo, s23, v34
	s_delay_alu instid0(VALU_DEP_2) | instskip(SKIP_3) | instid1(VALU_DEP_3)
	v_cndmask_b32_e64 v29, v46, v29, s16
	v_cndmask_b32_e32 v34, v42, v40, vcc_lo
	v_add_co_u32 v40, vcc_lo, v31, 1
	v_add_co_ci_u32_e32 v42, vcc_lo, 0, v32, vcc_lo
	v_cmp_ne_u32_e32 vcc_lo, 0, v34
	s_delay_alu instid0(VALU_DEP_2) | instskip(NEXT) | instid1(VALU_DEP_4)
	v_cndmask_b32_e32 v30, v42, v38, vcc_lo
	v_cndmask_b32_e32 v34, v40, v36, vcc_lo
	v_cmp_ne_u32_e32 vcc_lo, 0, v29
	v_xor_b32_e32 v36, s20, v44
	s_delay_alu instid0(VALU_DEP_4) | instskip(NEXT) | instid1(VALU_DEP_4)
	v_cndmask_b32_e32 v29, v32, v30, vcc_lo
	v_cndmask_b32_e32 v30, v31, v34, vcc_lo
	s_delay_alu instid0(VALU_DEP_2) | instskip(NEXT) | instid1(VALU_DEP_2)
	v_xor_b32_e32 v31, v29, v36
	v_xor_b32_e32 v30, v30, v36
	s_delay_alu instid0(VALU_DEP_1) | instskip(NEXT) | instid1(VALU_DEP_3)
	v_sub_co_u32 v29, vcc_lo, v30, v36
	v_sub_co_ci_u32_e32 v30, vcc_lo, v31, v36, vcc_lo
                                        ; implicit-def: $vgpr31
.LBB1159_210:
	s_and_not1_saveexec_b32 s16, s34
	s_cbranch_execz .LBB1159_212
; %bb.211:
	v_cvt_f32_u32_e32 v29, s38
	s_sub_i32 s20, 0, s38
	s_delay_alu instid0(VALU_DEP_1) | instskip(SKIP_2) | instid1(VALU_DEP_1)
	v_rcp_iflag_f32_e32 v29, v29
	s_waitcnt_depctr 0xfff
	v_mul_f32_e32 v29, 0x4f7ffffe, v29
	v_cvt_u32_f32_e32 v29, v29
	s_delay_alu instid0(VALU_DEP_1) | instskip(NEXT) | instid1(VALU_DEP_1)
	v_mul_lo_u32 v30, s20, v29
	v_mul_hi_u32 v30, v29, v30
	s_delay_alu instid0(VALU_DEP_1) | instskip(NEXT) | instid1(VALU_DEP_1)
	v_add_nc_u32_e32 v29, v29, v30
	v_mul_hi_u32 v29, v31, v29
	s_delay_alu instid0(VALU_DEP_1) | instskip(NEXT) | instid1(VALU_DEP_1)
	v_mul_lo_u32 v30, v29, s38
	v_sub_nc_u32_e32 v30, v31, v30
	v_add_nc_u32_e32 v31, 1, v29
	s_delay_alu instid0(VALU_DEP_2) | instskip(SKIP_1) | instid1(VALU_DEP_2)
	v_subrev_nc_u32_e32 v32, s38, v30
	v_cmp_le_u32_e32 vcc_lo, s38, v30
	v_dual_cndmask_b32 v30, v30, v32 :: v_dual_cndmask_b32 v29, v29, v31
	s_delay_alu instid0(VALU_DEP_1) | instskip(NEXT) | instid1(VALU_DEP_2)
	v_cmp_le_u32_e32 vcc_lo, s38, v30
	v_dual_mov_b32 v30, 0 :: v_dual_add_nc_u32 v31, 1, v29
	s_delay_alu instid0(VALU_DEP_1)
	v_cndmask_b32_e32 v29, v29, v31, vcc_lo
.LBB1159_212:
	s_or_b32 exec_lo, exec_lo, s16
.LBB1159_213:
	s_delay_alu instid0(SALU_CYCLE_1)
	s_or_b32 exec_lo, exec_lo, s17
	v_lshlrev_b32_e32 v62, 3, v0
	ds_store_2addr_stride64_b64 v62, v[1:2], v[3:4] offset1:4
	ds_store_2addr_stride64_b64 v62, v[5:6], v[7:8] offset0:8 offset1:12
	ds_store_2addr_stride64_b64 v62, v[9:10], v[11:12] offset0:16 offset1:20
	;; [unrolled: 1-line block ×6, first 2 shown]
	v_mad_u32_u24 v61, 0x70, v0, v62
	ds_store_b64 v62, v[29:30] offset:28672
	s_waitcnt lgkmcnt(0)
	s_barrier
	buffer_gl0_inv
	ds_load_2addr_b64 v[25:28], v61 offset1:1
	ds_load_2addr_b64 v[21:24], v61 offset0:2 offset1:3
	ds_load_2addr_b64 v[17:20], v61 offset0:4 offset1:5
	;; [unrolled: 1-line block ×6, first 2 shown]
	ds_load_b64 v[57:58], v61 offset:112
	s_waitcnt lgkmcnt(0)
	s_barrier
	buffer_gl0_inv
                                        ; implicit-def: $vgpr29_vgpr30
	s_and_saveexec_b32 s22, s14
	s_cbranch_execnz .LBB1159_228
; %bb.214:
	s_or_b32 exec_lo, exec_lo, s22
                                        ; implicit-def: $vgpr31_vgpr32
	s_and_saveexec_b32 s14, s13
	s_cbranch_execnz .LBB1159_233
.LBB1159_215:
	s_or_b32 exec_lo, exec_lo, s14
                                        ; implicit-def: $vgpr33_vgpr34
	s_and_saveexec_b32 s13, s12
	s_cbranch_execnz .LBB1159_238
.LBB1159_216:
	s_or_b32 exec_lo, exec_lo, s13
                                        ; implicit-def: $vgpr35_vgpr36
	s_and_saveexec_b32 s14, s11
	s_cbranch_execnz .LBB1159_243
.LBB1159_217:
	s_or_b32 exec_lo, exec_lo, s14
                                        ; implicit-def: $vgpr37_vgpr38
	s_and_saveexec_b32 s11, s10
	s_cbranch_execnz .LBB1159_248
.LBB1159_218:
	s_or_b32 exec_lo, exec_lo, s11
                                        ; implicit-def: $vgpr39_vgpr40
	s_and_saveexec_b32 s14, s9
	s_cbranch_execnz .LBB1159_253
.LBB1159_219:
	s_or_b32 exec_lo, exec_lo, s14
                                        ; implicit-def: $vgpr41_vgpr42
	s_and_saveexec_b32 s9, s8
	s_cbranch_execnz .LBB1159_258
.LBB1159_220:
	s_or_b32 exec_lo, exec_lo, s9
                                        ; implicit-def: $vgpr43_vgpr44
	s_and_saveexec_b32 s12, s7
	s_cbranch_execnz .LBB1159_263
.LBB1159_221:
	s_or_b32 exec_lo, exec_lo, s12
                                        ; implicit-def: $vgpr45_vgpr46
	s_and_saveexec_b32 s7, s6
	s_cbranch_execnz .LBB1159_268
.LBB1159_222:
	s_or_b32 exec_lo, exec_lo, s7
                                        ; implicit-def: $vgpr47_vgpr48
	s_and_saveexec_b32 s10, s5
	s_cbranch_execnz .LBB1159_273
.LBB1159_223:
	s_or_b32 exec_lo, exec_lo, s10
                                        ; implicit-def: $vgpr49_vgpr50
	s_and_saveexec_b32 s5, s4
	s_cbranch_execnz .LBB1159_278
.LBB1159_224:
	s_or_b32 exec_lo, exec_lo, s5
                                        ; implicit-def: $vgpr51_vgpr52
	s_and_saveexec_b32 s8, s3
	s_cbranch_execnz .LBB1159_283
.LBB1159_225:
	s_or_b32 exec_lo, exec_lo, s8
                                        ; implicit-def: $vgpr53_vgpr54
	s_and_saveexec_b32 s3, s2
	s_cbranch_execnz .LBB1159_288
.LBB1159_226:
	s_or_b32 exec_lo, exec_lo, s3
                                        ; implicit-def: $vgpr55_vgpr56
	s_and_saveexec_b32 s6, s1
	s_cbranch_execnz .LBB1159_293
.LBB1159_227:
	s_or_b32 exec_lo, exec_lo, s6
                                        ; implicit-def: $vgpr59_vgpr60
	s_and_saveexec_b32 s1, s0
	s_cbranch_execnz .LBB1159_298
	s_branch .LBB1159_303
.LBB1159_228:
	v_add_co_u32 v31, s14, s30, v0
	s_delay_alu instid0(VALU_DEP_1) | instskip(SKIP_1) | instid1(VALU_DEP_2)
	v_add_co_ci_u32_e64 v32, null, s31, 0, s14
	v_mov_b32_e32 v29, 0
	v_or_b32_e32 v30, s45, v32
	s_delay_alu instid0(VALU_DEP_1) | instskip(SKIP_1) | instid1(SALU_CYCLE_1)
	v_cmp_ne_u64_e32 vcc_lo, 0, v[29:30]
                                        ; implicit-def: $vgpr29_vgpr30
	s_and_saveexec_b32 s14, vcc_lo
	s_xor_b32 s23, exec_lo, s14
	s_cbranch_execz .LBB1159_230
; %bb.229:
	s_ashr_i32 s16, s45, 31
	s_delay_alu instid0(SALU_CYCLE_1) | instskip(SKIP_2) | instid1(SALU_CYCLE_1)
	s_add_u32 s20, s44, s16
	s_mov_b32 s17, s16
	s_addc_u32 s21, s45, s16
	s_xor_b64 s[20:21], s[20:21], s[16:17]
	s_delay_alu instid0(SALU_CYCLE_1) | instskip(SKIP_3) | instid1(VALU_DEP_1)
	v_cvt_f32_u32_e32 v29, s20
	v_cvt_f32_u32_e32 v30, s21
	s_sub_u32 s14, 0, s20
	s_subb_u32 s17, 0, s21
	v_fmamk_f32 v29, v30, 0x4f800000, v29
	s_delay_alu instid0(VALU_DEP_1) | instskip(SKIP_2) | instid1(VALU_DEP_1)
	v_rcp_f32_e32 v29, v29
	s_waitcnt_depctr 0xfff
	v_mul_f32_e32 v29, 0x5f7ffffc, v29
	v_mul_f32_e32 v30, 0x2f800000, v29
	s_delay_alu instid0(VALU_DEP_1) | instskip(NEXT) | instid1(VALU_DEP_1)
	v_trunc_f32_e32 v30, v30
	v_fmamk_f32 v29, v30, 0xcf800000, v29
	v_cvt_u32_f32_e32 v30, v30
	s_delay_alu instid0(VALU_DEP_2) | instskip(NEXT) | instid1(VALU_DEP_2)
	v_cvt_u32_f32_e32 v29, v29
	v_mul_lo_u32 v34, s14, v30
	s_delay_alu instid0(VALU_DEP_2) | instskip(SKIP_1) | instid1(VALU_DEP_2)
	v_mul_hi_u32 v36, s14, v29
	v_mul_lo_u32 v38, s17, v29
	v_add_nc_u32_e32 v34, v36, v34
	v_mul_lo_u32 v36, s14, v29
	s_delay_alu instid0(VALU_DEP_2) | instskip(NEXT) | instid1(VALU_DEP_2)
	v_add_nc_u32_e32 v34, v34, v38
	v_mul_hi_u32 v38, v29, v36
	s_delay_alu instid0(VALU_DEP_2)
	v_mul_lo_u32 v40, v29, v34
	v_mul_hi_u32 v42, v29, v34
	v_mul_hi_u32 v44, v30, v36
	v_mul_lo_u32 v36, v30, v36
	v_mul_hi_u32 v46, v30, v34
	v_mul_lo_u32 v34, v30, v34
	v_add_co_u32 v38, vcc_lo, v38, v40
	v_add_co_ci_u32_e32 v40, vcc_lo, 0, v42, vcc_lo
	s_delay_alu instid0(VALU_DEP_2) | instskip(NEXT) | instid1(VALU_DEP_2)
	v_add_co_u32 v36, vcc_lo, v38, v36
	v_add_co_ci_u32_e32 v36, vcc_lo, v40, v44, vcc_lo
	v_add_co_ci_u32_e32 v38, vcc_lo, 0, v46, vcc_lo
	v_ashrrev_i32_e32 v44, 31, v32
	s_delay_alu instid0(VALU_DEP_3) | instskip(NEXT) | instid1(VALU_DEP_3)
	v_add_co_u32 v34, vcc_lo, v36, v34
	v_add_co_ci_u32_e32 v36, vcc_lo, 0, v38, vcc_lo
	s_delay_alu instid0(VALU_DEP_2) | instskip(NEXT) | instid1(VALU_DEP_2)
	v_add_co_u32 v29, vcc_lo, v29, v34
	v_add_co_ci_u32_e32 v30, vcc_lo, v30, v36, vcc_lo
	s_delay_alu instid0(VALU_DEP_2) | instskip(SKIP_1) | instid1(VALU_DEP_3)
	v_mul_hi_u32 v34, s14, v29
	v_mul_lo_u32 v38, s17, v29
	v_mul_lo_u32 v36, s14, v30
	s_delay_alu instid0(VALU_DEP_1) | instskip(SKIP_1) | instid1(VALU_DEP_2)
	v_add_nc_u32_e32 v34, v34, v36
	v_mul_lo_u32 v36, s14, v29
	v_add_nc_u32_e32 v34, v34, v38
	s_delay_alu instid0(VALU_DEP_2) | instskip(NEXT) | instid1(VALU_DEP_2)
	v_mul_hi_u32 v38, v29, v36
	v_mul_lo_u32 v40, v29, v34
	v_mul_hi_u32 v42, v29, v34
	v_mul_hi_u32 v46, v30, v36
	v_mul_lo_u32 v36, v30, v36
	v_mul_hi_u32 v48, v30, v34
	v_mul_lo_u32 v34, v30, v34
	v_add_co_u32 v38, vcc_lo, v38, v40
	v_add_co_ci_u32_e32 v40, vcc_lo, 0, v42, vcc_lo
	s_delay_alu instid0(VALU_DEP_2) | instskip(NEXT) | instid1(VALU_DEP_2)
	v_add_co_u32 v36, vcc_lo, v38, v36
	v_add_co_ci_u32_e32 v36, vcc_lo, v40, v46, vcc_lo
	v_add_co_ci_u32_e32 v38, vcc_lo, 0, v48, vcc_lo
	v_add_co_u32 v40, vcc_lo, v31, v44
	v_add_co_ci_u32_e32 v42, vcc_lo, v32, v44, vcc_lo
	s_delay_alu instid0(VALU_DEP_4) | instskip(NEXT) | instid1(VALU_DEP_4)
	v_add_co_u32 v34, vcc_lo, v36, v34
	v_add_co_ci_u32_e32 v36, vcc_lo, 0, v38, vcc_lo
	s_delay_alu instid0(VALU_DEP_4) | instskip(NEXT) | instid1(VALU_DEP_3)
	v_xor_b32_e32 v38, v40, v44
	v_add_co_u32 v34, vcc_lo, v29, v34
	s_delay_alu instid0(VALU_DEP_3) | instskip(SKIP_1) | instid1(VALU_DEP_3)
	v_add_co_ci_u32_e32 v36, vcc_lo, v30, v36, vcc_lo
	v_xor_b32_e32 v40, v42, v44
	v_mul_hi_u32 v42, v38, v34
	s_delay_alu instid0(VALU_DEP_3) | instskip(NEXT) | instid1(VALU_DEP_3)
	v_mad_u64_u32 v[29:30], null, v38, v36, 0
	v_mad_u64_u32 v[64:65], null, v40, v34, 0
	;; [unrolled: 1-line block ×3, first 2 shown]
	s_delay_alu instid0(VALU_DEP_3) | instskip(NEXT) | instid1(VALU_DEP_4)
	v_add_co_u32 v29, vcc_lo, v42, v29
	v_add_co_ci_u32_e32 v30, vcc_lo, 0, v30, vcc_lo
	s_delay_alu instid0(VALU_DEP_2) | instskip(NEXT) | instid1(VALU_DEP_2)
	v_add_co_u32 v29, vcc_lo, v29, v64
	v_add_co_ci_u32_e32 v29, vcc_lo, v30, v65, vcc_lo
	v_add_co_ci_u32_e32 v30, vcc_lo, 0, v67, vcc_lo
	s_delay_alu instid0(VALU_DEP_2) | instskip(NEXT) | instid1(VALU_DEP_2)
	v_add_co_u32 v34, vcc_lo, v29, v66
	v_add_co_ci_u32_e32 v36, vcc_lo, 0, v30, vcc_lo
	s_delay_alu instid0(VALU_DEP_2) | instskip(SKIP_1) | instid1(VALU_DEP_3)
	v_mul_lo_u32 v42, s21, v34
	v_mad_u64_u32 v[29:30], null, s20, v34, 0
	v_mul_lo_u32 v46, s20, v36
	s_delay_alu instid0(VALU_DEP_2) | instskip(NEXT) | instid1(VALU_DEP_2)
	v_sub_co_u32 v29, vcc_lo, v38, v29
	v_add3_u32 v30, v30, v46, v42
	s_delay_alu instid0(VALU_DEP_1) | instskip(NEXT) | instid1(VALU_DEP_1)
	v_sub_nc_u32_e32 v42, v40, v30
	v_subrev_co_ci_u32_e64 v38, s14, s21, v42, vcc_lo
	v_add_co_u32 v42, s14, v34, 2
	s_delay_alu instid0(VALU_DEP_1) | instskip(SKIP_3) | instid1(VALU_DEP_3)
	v_add_co_ci_u32_e64 v46, s14, 0, v36, s14
	v_sub_co_u32 v48, s14, v29, s20
	v_sub_co_ci_u32_e32 v30, vcc_lo, v40, v30, vcc_lo
	v_subrev_co_ci_u32_e64 v38, s14, 0, v38, s14
	v_cmp_le_u32_e32 vcc_lo, s20, v48
	s_delay_alu instid0(VALU_DEP_3) | instskip(SKIP_1) | instid1(VALU_DEP_4)
	v_cmp_eq_u32_e64 s14, s21, v30
	v_cndmask_b32_e64 v40, 0, -1, vcc_lo
	v_cmp_le_u32_e32 vcc_lo, s21, v38
	v_cndmask_b32_e64 v48, 0, -1, vcc_lo
	v_cmp_le_u32_e32 vcc_lo, s20, v29
	;; [unrolled: 2-line block ×3, first 2 shown]
	v_cndmask_b32_e64 v50, 0, -1, vcc_lo
	v_cmp_eq_u32_e32 vcc_lo, s21, v38
	s_delay_alu instid0(VALU_DEP_2) | instskip(SKIP_3) | instid1(VALU_DEP_3)
	v_cndmask_b32_e64 v29, v50, v29, s14
	v_cndmask_b32_e32 v38, v48, v40, vcc_lo
	v_add_co_u32 v40, vcc_lo, v34, 1
	v_add_co_ci_u32_e32 v48, vcc_lo, 0, v36, vcc_lo
	v_cmp_ne_u32_e32 vcc_lo, 0, v38
	s_delay_alu instid0(VALU_DEP_2) | instskip(NEXT) | instid1(VALU_DEP_4)
	v_cndmask_b32_e32 v30, v48, v46, vcc_lo
	v_cndmask_b32_e32 v38, v40, v42, vcc_lo
	v_cmp_ne_u32_e32 vcc_lo, 0, v29
	v_xor_b32_e32 v40, s16, v44
	s_delay_alu instid0(VALU_DEP_4) | instskip(NEXT) | instid1(VALU_DEP_4)
	v_cndmask_b32_e32 v29, v36, v30, vcc_lo
	v_cndmask_b32_e32 v30, v34, v38, vcc_lo
	s_delay_alu instid0(VALU_DEP_2) | instskip(NEXT) | instid1(VALU_DEP_2)
	v_xor_b32_e32 v34, v29, v40
	v_xor_b32_e32 v30, v30, v40
	s_delay_alu instid0(VALU_DEP_1) | instskip(NEXT) | instid1(VALU_DEP_3)
	v_sub_co_u32 v29, vcc_lo, v30, v40
	v_sub_co_ci_u32_e32 v30, vcc_lo, v34, v40, vcc_lo
.LBB1159_230:
	s_and_not1_saveexec_b32 s14, s23
	s_cbranch_execz .LBB1159_232
; %bb.231:
	v_cvt_f32_u32_e32 v29, s44
	s_sub_i32 s16, 0, s44
	s_delay_alu instid0(VALU_DEP_1) | instskip(SKIP_2) | instid1(VALU_DEP_1)
	v_rcp_iflag_f32_e32 v29, v29
	s_waitcnt_depctr 0xfff
	v_mul_f32_e32 v29, 0x4f7ffffe, v29
	v_cvt_u32_f32_e32 v29, v29
	s_delay_alu instid0(VALU_DEP_1) | instskip(NEXT) | instid1(VALU_DEP_1)
	v_mul_lo_u32 v30, s16, v29
	v_mul_hi_u32 v30, v29, v30
	s_delay_alu instid0(VALU_DEP_1) | instskip(NEXT) | instid1(VALU_DEP_1)
	v_add_nc_u32_e32 v29, v29, v30
	v_mul_hi_u32 v29, v31, v29
	s_delay_alu instid0(VALU_DEP_1) | instskip(SKIP_1) | instid1(VALU_DEP_2)
	v_mul_lo_u32 v30, v29, s44
	v_add_nc_u32_e32 v34, 1, v29
	v_sub_nc_u32_e32 v30, v31, v30
	s_delay_alu instid0(VALU_DEP_1) | instskip(SKIP_1) | instid1(VALU_DEP_2)
	v_subrev_nc_u32_e32 v36, s44, v30
	v_cmp_le_u32_e32 vcc_lo, s44, v30
	v_dual_cndmask_b32 v30, v30, v36 :: v_dual_cndmask_b32 v29, v29, v34
	s_delay_alu instid0(VALU_DEP_1) | instskip(SKIP_1) | instid1(VALU_DEP_3)
	v_cmp_le_u32_e32 vcc_lo, s44, v30
	v_mov_b32_e32 v30, 0
	v_add_nc_u32_e32 v34, 1, v29
	s_delay_alu instid0(VALU_DEP_1)
	v_cndmask_b32_e32 v29, v29, v34, vcc_lo
.LBB1159_232:
	s_or_b32 exec_lo, exec_lo, s14
	s_delay_alu instid0(VALU_DEP_1) | instskip(NEXT) | instid1(VALU_DEP_2)
	v_mul_lo_u32 v34, v30, s44
	v_mul_lo_u32 v36, v29, s45
	v_mad_u64_u32 v[64:65], null, v29, s44, 0
	s_delay_alu instid0(VALU_DEP_1) | instskip(NEXT) | instid1(VALU_DEP_2)
	v_add3_u32 v34, v65, v36, v34
	v_sub_co_u32 v31, vcc_lo, v31, v64
	s_delay_alu instid0(VALU_DEP_2) | instskip(NEXT) | instid1(VALU_DEP_2)
	v_sub_co_ci_u32_e32 v32, vcc_lo, v32, v34, vcc_lo
	v_add_co_u32 v29, vcc_lo, v29, v31
	s_delay_alu instid0(VALU_DEP_2)
	v_add_co_ci_u32_e32 v30, vcc_lo, v30, v32, vcc_lo
	s_or_b32 exec_lo, exec_lo, s22
                                        ; implicit-def: $vgpr31_vgpr32
	s_and_saveexec_b32 s14, s13
	s_cbranch_execz .LBB1159_215
.LBB1159_233:
	v_add_co_u32 v33, s13, s30, v33
	s_delay_alu instid0(VALU_DEP_1) | instskip(SKIP_1) | instid1(VALU_DEP_2)
	v_add_co_ci_u32_e64 v34, null, s31, 0, s13
	v_mov_b32_e32 v31, 0
	v_or_b32_e32 v32, s45, v34
	s_delay_alu instid0(VALU_DEP_1) | instskip(SKIP_1) | instid1(SALU_CYCLE_1)
	v_cmp_ne_u64_e32 vcc_lo, 0, v[31:32]
                                        ; implicit-def: $vgpr31_vgpr32
	s_and_saveexec_b32 s13, vcc_lo
	s_xor_b32 s22, exec_lo, s13
	s_cbranch_execz .LBB1159_235
; %bb.234:
	s_ashr_i32 s16, s45, 31
	s_delay_alu instid0(SALU_CYCLE_1) | instskip(SKIP_2) | instid1(SALU_CYCLE_1)
	s_add_u32 s20, s44, s16
	s_mov_b32 s17, s16
	s_addc_u32 s21, s45, s16
	s_xor_b64 s[20:21], s[20:21], s[16:17]
	s_delay_alu instid0(SALU_CYCLE_1) | instskip(SKIP_3) | instid1(VALU_DEP_1)
	v_cvt_f32_u32_e32 v31, s20
	v_cvt_f32_u32_e32 v32, s21
	s_sub_u32 s13, 0, s20
	s_subb_u32 s17, 0, s21
	v_fmamk_f32 v31, v32, 0x4f800000, v31
	s_delay_alu instid0(VALU_DEP_1) | instskip(SKIP_2) | instid1(VALU_DEP_1)
	v_rcp_f32_e32 v31, v31
	s_waitcnt_depctr 0xfff
	v_mul_f32_e32 v31, 0x5f7ffffc, v31
	v_mul_f32_e32 v32, 0x2f800000, v31
	s_delay_alu instid0(VALU_DEP_1) | instskip(NEXT) | instid1(VALU_DEP_1)
	v_trunc_f32_e32 v32, v32
	v_fmamk_f32 v31, v32, 0xcf800000, v31
	v_cvt_u32_f32_e32 v32, v32
	s_delay_alu instid0(VALU_DEP_2) | instskip(NEXT) | instid1(VALU_DEP_2)
	v_cvt_u32_f32_e32 v31, v31
	v_mul_lo_u32 v36, s13, v32
	s_delay_alu instid0(VALU_DEP_2) | instskip(SKIP_1) | instid1(VALU_DEP_2)
	v_mul_hi_u32 v38, s13, v31
	v_mul_lo_u32 v40, s17, v31
	v_add_nc_u32_e32 v36, v38, v36
	v_mul_lo_u32 v38, s13, v31
	s_delay_alu instid0(VALU_DEP_2) | instskip(NEXT) | instid1(VALU_DEP_2)
	v_add_nc_u32_e32 v36, v36, v40
	v_mul_hi_u32 v40, v31, v38
	s_delay_alu instid0(VALU_DEP_2)
	v_mul_lo_u32 v42, v31, v36
	v_mul_hi_u32 v44, v31, v36
	v_mul_hi_u32 v46, v32, v38
	v_mul_lo_u32 v38, v32, v38
	v_mul_hi_u32 v48, v32, v36
	v_mul_lo_u32 v36, v32, v36
	v_add_co_u32 v40, vcc_lo, v40, v42
	v_add_co_ci_u32_e32 v42, vcc_lo, 0, v44, vcc_lo
	s_delay_alu instid0(VALU_DEP_2) | instskip(NEXT) | instid1(VALU_DEP_2)
	v_add_co_u32 v38, vcc_lo, v40, v38
	v_add_co_ci_u32_e32 v38, vcc_lo, v42, v46, vcc_lo
	v_add_co_ci_u32_e32 v40, vcc_lo, 0, v48, vcc_lo
	v_ashrrev_i32_e32 v46, 31, v34
	s_delay_alu instid0(VALU_DEP_3) | instskip(NEXT) | instid1(VALU_DEP_3)
	v_add_co_u32 v36, vcc_lo, v38, v36
	v_add_co_ci_u32_e32 v38, vcc_lo, 0, v40, vcc_lo
	s_delay_alu instid0(VALU_DEP_2) | instskip(NEXT) | instid1(VALU_DEP_2)
	v_add_co_u32 v31, vcc_lo, v31, v36
	v_add_co_ci_u32_e32 v32, vcc_lo, v32, v38, vcc_lo
	s_delay_alu instid0(VALU_DEP_2) | instskip(SKIP_1) | instid1(VALU_DEP_3)
	v_mul_hi_u32 v36, s13, v31
	v_mul_lo_u32 v40, s17, v31
	v_mul_lo_u32 v38, s13, v32
	s_delay_alu instid0(VALU_DEP_1) | instskip(SKIP_1) | instid1(VALU_DEP_2)
	v_add_nc_u32_e32 v36, v36, v38
	v_mul_lo_u32 v38, s13, v31
	v_add_nc_u32_e32 v36, v36, v40
	s_delay_alu instid0(VALU_DEP_2) | instskip(NEXT) | instid1(VALU_DEP_2)
	v_mul_hi_u32 v40, v31, v38
	v_mul_lo_u32 v42, v31, v36
	v_mul_hi_u32 v44, v31, v36
	v_mul_hi_u32 v48, v32, v38
	v_mul_lo_u32 v38, v32, v38
	v_mul_hi_u32 v50, v32, v36
	v_mul_lo_u32 v36, v32, v36
	v_add_co_u32 v40, vcc_lo, v40, v42
	v_add_co_ci_u32_e32 v42, vcc_lo, 0, v44, vcc_lo
	s_delay_alu instid0(VALU_DEP_2) | instskip(NEXT) | instid1(VALU_DEP_2)
	v_add_co_u32 v38, vcc_lo, v40, v38
	v_add_co_ci_u32_e32 v38, vcc_lo, v42, v48, vcc_lo
	v_add_co_ci_u32_e32 v40, vcc_lo, 0, v50, vcc_lo
	v_add_co_u32 v42, vcc_lo, v33, v46
	v_add_co_ci_u32_e32 v44, vcc_lo, v34, v46, vcc_lo
	s_delay_alu instid0(VALU_DEP_4) | instskip(NEXT) | instid1(VALU_DEP_4)
	v_add_co_u32 v36, vcc_lo, v38, v36
	v_add_co_ci_u32_e32 v38, vcc_lo, 0, v40, vcc_lo
	s_delay_alu instid0(VALU_DEP_4) | instskip(NEXT) | instid1(VALU_DEP_3)
	v_xor_b32_e32 v40, v42, v46
	v_add_co_u32 v36, vcc_lo, v31, v36
	s_delay_alu instid0(VALU_DEP_3) | instskip(SKIP_1) | instid1(VALU_DEP_3)
	v_add_co_ci_u32_e32 v38, vcc_lo, v32, v38, vcc_lo
	v_xor_b32_e32 v42, v44, v46
	v_mul_hi_u32 v44, v40, v36
	s_delay_alu instid0(VALU_DEP_3) | instskip(NEXT) | instid1(VALU_DEP_3)
	v_mad_u64_u32 v[31:32], null, v40, v38, 0
	v_mad_u64_u32 v[64:65], null, v42, v36, 0
	;; [unrolled: 1-line block ×3, first 2 shown]
	s_delay_alu instid0(VALU_DEP_3) | instskip(NEXT) | instid1(VALU_DEP_4)
	v_add_co_u32 v31, vcc_lo, v44, v31
	v_add_co_ci_u32_e32 v32, vcc_lo, 0, v32, vcc_lo
	s_delay_alu instid0(VALU_DEP_2) | instskip(NEXT) | instid1(VALU_DEP_2)
	v_add_co_u32 v31, vcc_lo, v31, v64
	v_add_co_ci_u32_e32 v31, vcc_lo, v32, v65, vcc_lo
	v_add_co_ci_u32_e32 v32, vcc_lo, 0, v67, vcc_lo
	s_delay_alu instid0(VALU_DEP_2) | instskip(NEXT) | instid1(VALU_DEP_2)
	v_add_co_u32 v36, vcc_lo, v31, v66
	v_add_co_ci_u32_e32 v38, vcc_lo, 0, v32, vcc_lo
	s_delay_alu instid0(VALU_DEP_2) | instskip(SKIP_1) | instid1(VALU_DEP_3)
	v_mul_lo_u32 v44, s21, v36
	v_mad_u64_u32 v[31:32], null, s20, v36, 0
	v_mul_lo_u32 v48, s20, v38
	s_delay_alu instid0(VALU_DEP_2) | instskip(NEXT) | instid1(VALU_DEP_2)
	v_sub_co_u32 v31, vcc_lo, v40, v31
	v_add3_u32 v32, v32, v48, v44
	s_delay_alu instid0(VALU_DEP_1) | instskip(NEXT) | instid1(VALU_DEP_1)
	v_sub_nc_u32_e32 v44, v42, v32
	v_subrev_co_ci_u32_e64 v40, s13, s21, v44, vcc_lo
	v_add_co_u32 v44, s13, v36, 2
	s_delay_alu instid0(VALU_DEP_1) | instskip(SKIP_3) | instid1(VALU_DEP_3)
	v_add_co_ci_u32_e64 v48, s13, 0, v38, s13
	v_sub_co_u32 v50, s13, v31, s20
	v_sub_co_ci_u32_e32 v32, vcc_lo, v42, v32, vcc_lo
	v_subrev_co_ci_u32_e64 v40, s13, 0, v40, s13
	v_cmp_le_u32_e32 vcc_lo, s20, v50
	s_delay_alu instid0(VALU_DEP_3) | instskip(SKIP_1) | instid1(VALU_DEP_4)
	v_cmp_eq_u32_e64 s13, s21, v32
	v_cndmask_b32_e64 v42, 0, -1, vcc_lo
	v_cmp_le_u32_e32 vcc_lo, s21, v40
	v_cndmask_b32_e64 v50, 0, -1, vcc_lo
	v_cmp_le_u32_e32 vcc_lo, s20, v31
	;; [unrolled: 2-line block ×3, first 2 shown]
	v_cndmask_b32_e64 v52, 0, -1, vcc_lo
	v_cmp_eq_u32_e32 vcc_lo, s21, v40
	s_delay_alu instid0(VALU_DEP_2) | instskip(SKIP_3) | instid1(VALU_DEP_3)
	v_cndmask_b32_e64 v31, v52, v31, s13
	v_cndmask_b32_e32 v40, v50, v42, vcc_lo
	v_add_co_u32 v42, vcc_lo, v36, 1
	v_add_co_ci_u32_e32 v50, vcc_lo, 0, v38, vcc_lo
	v_cmp_ne_u32_e32 vcc_lo, 0, v40
	s_delay_alu instid0(VALU_DEP_2) | instskip(NEXT) | instid1(VALU_DEP_4)
	v_cndmask_b32_e32 v32, v50, v48, vcc_lo
	v_cndmask_b32_e32 v40, v42, v44, vcc_lo
	v_cmp_ne_u32_e32 vcc_lo, 0, v31
	v_xor_b32_e32 v42, s16, v46
	s_delay_alu instid0(VALU_DEP_4) | instskip(NEXT) | instid1(VALU_DEP_4)
	v_cndmask_b32_e32 v31, v38, v32, vcc_lo
	v_cndmask_b32_e32 v32, v36, v40, vcc_lo
	s_delay_alu instid0(VALU_DEP_2) | instskip(NEXT) | instid1(VALU_DEP_2)
	v_xor_b32_e32 v36, v31, v42
	v_xor_b32_e32 v32, v32, v42
	s_delay_alu instid0(VALU_DEP_1) | instskip(NEXT) | instid1(VALU_DEP_3)
	v_sub_co_u32 v31, vcc_lo, v32, v42
	v_sub_co_ci_u32_e32 v32, vcc_lo, v36, v42, vcc_lo
.LBB1159_235:
	s_and_not1_saveexec_b32 s13, s22
	s_cbranch_execz .LBB1159_237
; %bb.236:
	v_cvt_f32_u32_e32 v31, s44
	s_sub_i32 s16, 0, s44
	s_delay_alu instid0(VALU_DEP_1) | instskip(SKIP_2) | instid1(VALU_DEP_1)
	v_rcp_iflag_f32_e32 v31, v31
	s_waitcnt_depctr 0xfff
	v_mul_f32_e32 v31, 0x4f7ffffe, v31
	v_cvt_u32_f32_e32 v31, v31
	s_delay_alu instid0(VALU_DEP_1) | instskip(NEXT) | instid1(VALU_DEP_1)
	v_mul_lo_u32 v32, s16, v31
	v_mul_hi_u32 v32, v31, v32
	s_delay_alu instid0(VALU_DEP_1) | instskip(NEXT) | instid1(VALU_DEP_1)
	v_add_nc_u32_e32 v31, v31, v32
	v_mul_hi_u32 v31, v33, v31
	s_delay_alu instid0(VALU_DEP_1) | instskip(SKIP_1) | instid1(VALU_DEP_2)
	v_mul_lo_u32 v32, v31, s44
	v_add_nc_u32_e32 v36, 1, v31
	v_sub_nc_u32_e32 v32, v33, v32
	s_delay_alu instid0(VALU_DEP_1) | instskip(SKIP_1) | instid1(VALU_DEP_2)
	v_subrev_nc_u32_e32 v38, s44, v32
	v_cmp_le_u32_e32 vcc_lo, s44, v32
	v_dual_cndmask_b32 v32, v32, v38 :: v_dual_cndmask_b32 v31, v31, v36
	s_delay_alu instid0(VALU_DEP_1) | instskip(SKIP_1) | instid1(VALU_DEP_3)
	v_cmp_le_u32_e32 vcc_lo, s44, v32
	v_mov_b32_e32 v32, 0
	v_add_nc_u32_e32 v36, 1, v31
	s_delay_alu instid0(VALU_DEP_1)
	v_cndmask_b32_e32 v31, v31, v36, vcc_lo
.LBB1159_237:
	s_or_b32 exec_lo, exec_lo, s13
	s_delay_alu instid0(VALU_DEP_1) | instskip(NEXT) | instid1(VALU_DEP_2)
	v_mul_lo_u32 v36, v32, s44
	v_mul_lo_u32 v38, v31, s45
	v_mad_u64_u32 v[64:65], null, v31, s44, 0
	s_delay_alu instid0(VALU_DEP_1) | instskip(NEXT) | instid1(VALU_DEP_2)
	v_add3_u32 v36, v65, v38, v36
	v_sub_co_u32 v33, vcc_lo, v33, v64
	s_delay_alu instid0(VALU_DEP_2) | instskip(NEXT) | instid1(VALU_DEP_2)
	v_sub_co_ci_u32_e32 v34, vcc_lo, v34, v36, vcc_lo
	v_add_co_u32 v31, vcc_lo, v31, v33
	s_delay_alu instid0(VALU_DEP_2)
	v_add_co_ci_u32_e32 v32, vcc_lo, v32, v34, vcc_lo
	s_or_b32 exec_lo, exec_lo, s14
                                        ; implicit-def: $vgpr33_vgpr34
	s_and_saveexec_b32 s13, s12
	s_cbranch_execz .LBB1159_216
.LBB1159_238:
	v_add_co_u32 v35, s12, s30, v35
	s_delay_alu instid0(VALU_DEP_1) | instskip(SKIP_1) | instid1(VALU_DEP_2)
	v_add_co_ci_u32_e64 v36, null, s31, 0, s12
	v_mov_b32_e32 v33, 0
	v_or_b32_e32 v34, s45, v36
	s_delay_alu instid0(VALU_DEP_1) | instskip(SKIP_1) | instid1(SALU_CYCLE_1)
	v_cmp_ne_u64_e32 vcc_lo, 0, v[33:34]
                                        ; implicit-def: $vgpr33_vgpr34
	s_and_saveexec_b32 s12, vcc_lo
	s_xor_b32 s14, exec_lo, s12
	s_cbranch_execz .LBB1159_240
; %bb.239:
	s_ashr_i32 s16, s45, 31
	s_delay_alu instid0(SALU_CYCLE_1) | instskip(SKIP_2) | instid1(SALU_CYCLE_1)
	s_add_u32 s20, s44, s16
	s_mov_b32 s17, s16
	s_addc_u32 s21, s45, s16
	s_xor_b64 s[20:21], s[20:21], s[16:17]
	s_delay_alu instid0(SALU_CYCLE_1) | instskip(SKIP_3) | instid1(VALU_DEP_1)
	v_cvt_f32_u32_e32 v33, s20
	v_cvt_f32_u32_e32 v34, s21
	s_sub_u32 s12, 0, s20
	s_subb_u32 s17, 0, s21
	v_fmamk_f32 v33, v34, 0x4f800000, v33
	s_delay_alu instid0(VALU_DEP_1) | instskip(SKIP_2) | instid1(VALU_DEP_1)
	v_rcp_f32_e32 v33, v33
	s_waitcnt_depctr 0xfff
	v_mul_f32_e32 v33, 0x5f7ffffc, v33
	v_mul_f32_e32 v34, 0x2f800000, v33
	s_delay_alu instid0(VALU_DEP_1) | instskip(NEXT) | instid1(VALU_DEP_1)
	v_trunc_f32_e32 v34, v34
	v_fmamk_f32 v33, v34, 0xcf800000, v33
	v_cvt_u32_f32_e32 v34, v34
	s_delay_alu instid0(VALU_DEP_2) | instskip(NEXT) | instid1(VALU_DEP_2)
	v_cvt_u32_f32_e32 v33, v33
	v_mul_lo_u32 v38, s12, v34
	s_delay_alu instid0(VALU_DEP_2) | instskip(SKIP_1) | instid1(VALU_DEP_2)
	v_mul_hi_u32 v40, s12, v33
	v_mul_lo_u32 v42, s17, v33
	v_add_nc_u32_e32 v38, v40, v38
	v_mul_lo_u32 v40, s12, v33
	s_delay_alu instid0(VALU_DEP_2) | instskip(NEXT) | instid1(VALU_DEP_2)
	v_add_nc_u32_e32 v38, v38, v42
	v_mul_hi_u32 v42, v33, v40
	s_delay_alu instid0(VALU_DEP_2)
	v_mul_lo_u32 v44, v33, v38
	v_mul_hi_u32 v46, v33, v38
	v_mul_hi_u32 v48, v34, v40
	v_mul_lo_u32 v40, v34, v40
	v_mul_hi_u32 v50, v34, v38
	v_mul_lo_u32 v38, v34, v38
	v_add_co_u32 v42, vcc_lo, v42, v44
	v_add_co_ci_u32_e32 v44, vcc_lo, 0, v46, vcc_lo
	s_delay_alu instid0(VALU_DEP_2) | instskip(NEXT) | instid1(VALU_DEP_2)
	v_add_co_u32 v40, vcc_lo, v42, v40
	v_add_co_ci_u32_e32 v40, vcc_lo, v44, v48, vcc_lo
	v_add_co_ci_u32_e32 v42, vcc_lo, 0, v50, vcc_lo
	v_ashrrev_i32_e32 v48, 31, v36
	s_delay_alu instid0(VALU_DEP_3) | instskip(NEXT) | instid1(VALU_DEP_3)
	v_add_co_u32 v38, vcc_lo, v40, v38
	v_add_co_ci_u32_e32 v40, vcc_lo, 0, v42, vcc_lo
	s_delay_alu instid0(VALU_DEP_2) | instskip(NEXT) | instid1(VALU_DEP_2)
	v_add_co_u32 v33, vcc_lo, v33, v38
	v_add_co_ci_u32_e32 v34, vcc_lo, v34, v40, vcc_lo
	s_delay_alu instid0(VALU_DEP_2) | instskip(SKIP_1) | instid1(VALU_DEP_3)
	v_mul_hi_u32 v38, s12, v33
	v_mul_lo_u32 v42, s17, v33
	v_mul_lo_u32 v40, s12, v34
	s_delay_alu instid0(VALU_DEP_1) | instskip(SKIP_1) | instid1(VALU_DEP_2)
	v_add_nc_u32_e32 v38, v38, v40
	v_mul_lo_u32 v40, s12, v33
	v_add_nc_u32_e32 v38, v38, v42
	s_delay_alu instid0(VALU_DEP_2) | instskip(NEXT) | instid1(VALU_DEP_2)
	v_mul_hi_u32 v42, v33, v40
	v_mul_lo_u32 v44, v33, v38
	v_mul_hi_u32 v46, v33, v38
	v_mul_hi_u32 v50, v34, v40
	v_mul_lo_u32 v40, v34, v40
	v_mul_hi_u32 v52, v34, v38
	v_mul_lo_u32 v38, v34, v38
	v_add_co_u32 v42, vcc_lo, v42, v44
	v_add_co_ci_u32_e32 v44, vcc_lo, 0, v46, vcc_lo
	s_delay_alu instid0(VALU_DEP_2) | instskip(NEXT) | instid1(VALU_DEP_2)
	v_add_co_u32 v40, vcc_lo, v42, v40
	v_add_co_ci_u32_e32 v40, vcc_lo, v44, v50, vcc_lo
	v_add_co_ci_u32_e32 v42, vcc_lo, 0, v52, vcc_lo
	v_add_co_u32 v44, vcc_lo, v35, v48
	v_add_co_ci_u32_e32 v46, vcc_lo, v36, v48, vcc_lo
	s_delay_alu instid0(VALU_DEP_4) | instskip(NEXT) | instid1(VALU_DEP_4)
	v_add_co_u32 v38, vcc_lo, v40, v38
	v_add_co_ci_u32_e32 v40, vcc_lo, 0, v42, vcc_lo
	s_delay_alu instid0(VALU_DEP_4) | instskip(NEXT) | instid1(VALU_DEP_3)
	v_xor_b32_e32 v42, v44, v48
	v_add_co_u32 v38, vcc_lo, v33, v38
	s_delay_alu instid0(VALU_DEP_3) | instskip(SKIP_1) | instid1(VALU_DEP_3)
	v_add_co_ci_u32_e32 v40, vcc_lo, v34, v40, vcc_lo
	v_xor_b32_e32 v44, v46, v48
	v_mul_hi_u32 v46, v42, v38
	s_delay_alu instid0(VALU_DEP_3) | instskip(NEXT) | instid1(VALU_DEP_3)
	v_mad_u64_u32 v[33:34], null, v42, v40, 0
	v_mad_u64_u32 v[64:65], null, v44, v38, 0
	;; [unrolled: 1-line block ×3, first 2 shown]
	s_delay_alu instid0(VALU_DEP_3) | instskip(NEXT) | instid1(VALU_DEP_4)
	v_add_co_u32 v33, vcc_lo, v46, v33
	v_add_co_ci_u32_e32 v34, vcc_lo, 0, v34, vcc_lo
	s_delay_alu instid0(VALU_DEP_2) | instskip(NEXT) | instid1(VALU_DEP_2)
	v_add_co_u32 v33, vcc_lo, v33, v64
	v_add_co_ci_u32_e32 v33, vcc_lo, v34, v65, vcc_lo
	v_add_co_ci_u32_e32 v34, vcc_lo, 0, v67, vcc_lo
	s_delay_alu instid0(VALU_DEP_2) | instskip(NEXT) | instid1(VALU_DEP_2)
	v_add_co_u32 v38, vcc_lo, v33, v66
	v_add_co_ci_u32_e32 v40, vcc_lo, 0, v34, vcc_lo
	s_delay_alu instid0(VALU_DEP_2) | instskip(SKIP_1) | instid1(VALU_DEP_3)
	v_mul_lo_u32 v46, s21, v38
	v_mad_u64_u32 v[33:34], null, s20, v38, 0
	v_mul_lo_u32 v50, s20, v40
	s_delay_alu instid0(VALU_DEP_2) | instskip(NEXT) | instid1(VALU_DEP_2)
	v_sub_co_u32 v33, vcc_lo, v42, v33
	v_add3_u32 v34, v34, v50, v46
	s_delay_alu instid0(VALU_DEP_1) | instskip(NEXT) | instid1(VALU_DEP_1)
	v_sub_nc_u32_e32 v46, v44, v34
	v_subrev_co_ci_u32_e64 v42, s12, s21, v46, vcc_lo
	v_add_co_u32 v46, s12, v38, 2
	s_delay_alu instid0(VALU_DEP_1) | instskip(SKIP_3) | instid1(VALU_DEP_3)
	v_add_co_ci_u32_e64 v50, s12, 0, v40, s12
	v_sub_co_u32 v52, s12, v33, s20
	v_sub_co_ci_u32_e32 v34, vcc_lo, v44, v34, vcc_lo
	v_subrev_co_ci_u32_e64 v42, s12, 0, v42, s12
	v_cmp_le_u32_e32 vcc_lo, s20, v52
	s_delay_alu instid0(VALU_DEP_3) | instskip(SKIP_1) | instid1(VALU_DEP_4)
	v_cmp_eq_u32_e64 s12, s21, v34
	v_cndmask_b32_e64 v44, 0, -1, vcc_lo
	v_cmp_le_u32_e32 vcc_lo, s21, v42
	v_cndmask_b32_e64 v52, 0, -1, vcc_lo
	v_cmp_le_u32_e32 vcc_lo, s20, v33
	;; [unrolled: 2-line block ×3, first 2 shown]
	v_cndmask_b32_e64 v54, 0, -1, vcc_lo
	v_cmp_eq_u32_e32 vcc_lo, s21, v42
	s_delay_alu instid0(VALU_DEP_2) | instskip(SKIP_3) | instid1(VALU_DEP_3)
	v_cndmask_b32_e64 v33, v54, v33, s12
	v_cndmask_b32_e32 v42, v52, v44, vcc_lo
	v_add_co_u32 v44, vcc_lo, v38, 1
	v_add_co_ci_u32_e32 v52, vcc_lo, 0, v40, vcc_lo
	v_cmp_ne_u32_e32 vcc_lo, 0, v42
	s_delay_alu instid0(VALU_DEP_2) | instskip(NEXT) | instid1(VALU_DEP_4)
	v_cndmask_b32_e32 v34, v52, v50, vcc_lo
	v_cndmask_b32_e32 v42, v44, v46, vcc_lo
	v_cmp_ne_u32_e32 vcc_lo, 0, v33
	v_xor_b32_e32 v44, s16, v48
	s_delay_alu instid0(VALU_DEP_4) | instskip(NEXT) | instid1(VALU_DEP_4)
	v_cndmask_b32_e32 v33, v40, v34, vcc_lo
	v_cndmask_b32_e32 v34, v38, v42, vcc_lo
	s_delay_alu instid0(VALU_DEP_2) | instskip(NEXT) | instid1(VALU_DEP_2)
	v_xor_b32_e32 v38, v33, v44
	v_xor_b32_e32 v34, v34, v44
	s_delay_alu instid0(VALU_DEP_1) | instskip(NEXT) | instid1(VALU_DEP_3)
	v_sub_co_u32 v33, vcc_lo, v34, v44
	v_sub_co_ci_u32_e32 v34, vcc_lo, v38, v44, vcc_lo
.LBB1159_240:
	s_and_not1_saveexec_b32 s12, s14
	s_cbranch_execz .LBB1159_242
; %bb.241:
	v_cvt_f32_u32_e32 v33, s44
	s_sub_i32 s14, 0, s44
	s_delay_alu instid0(VALU_DEP_1) | instskip(SKIP_2) | instid1(VALU_DEP_1)
	v_rcp_iflag_f32_e32 v33, v33
	s_waitcnt_depctr 0xfff
	v_mul_f32_e32 v33, 0x4f7ffffe, v33
	v_cvt_u32_f32_e32 v33, v33
	s_delay_alu instid0(VALU_DEP_1) | instskip(NEXT) | instid1(VALU_DEP_1)
	v_mul_lo_u32 v34, s14, v33
	v_mul_hi_u32 v34, v33, v34
	s_delay_alu instid0(VALU_DEP_1) | instskip(NEXT) | instid1(VALU_DEP_1)
	v_add_nc_u32_e32 v33, v33, v34
	v_mul_hi_u32 v33, v35, v33
	s_delay_alu instid0(VALU_DEP_1) | instskip(SKIP_1) | instid1(VALU_DEP_2)
	v_mul_lo_u32 v34, v33, s44
	v_add_nc_u32_e32 v38, 1, v33
	v_sub_nc_u32_e32 v34, v35, v34
	s_delay_alu instid0(VALU_DEP_1) | instskip(SKIP_1) | instid1(VALU_DEP_2)
	v_subrev_nc_u32_e32 v40, s44, v34
	v_cmp_le_u32_e32 vcc_lo, s44, v34
	v_dual_cndmask_b32 v34, v34, v40 :: v_dual_cndmask_b32 v33, v33, v38
	s_delay_alu instid0(VALU_DEP_1) | instskip(SKIP_1) | instid1(VALU_DEP_3)
	v_cmp_le_u32_e32 vcc_lo, s44, v34
	v_mov_b32_e32 v34, 0
	v_add_nc_u32_e32 v38, 1, v33
	s_delay_alu instid0(VALU_DEP_1)
	v_cndmask_b32_e32 v33, v33, v38, vcc_lo
.LBB1159_242:
	s_or_b32 exec_lo, exec_lo, s12
	s_delay_alu instid0(VALU_DEP_1) | instskip(NEXT) | instid1(VALU_DEP_2)
	v_mul_lo_u32 v38, v34, s44
	v_mul_lo_u32 v40, v33, s45
	v_mad_u64_u32 v[64:65], null, v33, s44, 0
	s_delay_alu instid0(VALU_DEP_1) | instskip(NEXT) | instid1(VALU_DEP_2)
	v_add3_u32 v38, v65, v40, v38
	v_sub_co_u32 v35, vcc_lo, v35, v64
	s_delay_alu instid0(VALU_DEP_2) | instskip(NEXT) | instid1(VALU_DEP_2)
	v_sub_co_ci_u32_e32 v36, vcc_lo, v36, v38, vcc_lo
	v_add_co_u32 v33, vcc_lo, v33, v35
	s_delay_alu instid0(VALU_DEP_2)
	v_add_co_ci_u32_e32 v34, vcc_lo, v34, v36, vcc_lo
	s_or_b32 exec_lo, exec_lo, s13
                                        ; implicit-def: $vgpr35_vgpr36
	s_and_saveexec_b32 s14, s11
	s_cbranch_execz .LBB1159_217
.LBB1159_243:
	v_add_co_u32 v37, s11, s30, v37
	s_delay_alu instid0(VALU_DEP_1) | instskip(SKIP_1) | instid1(VALU_DEP_2)
	v_add_co_ci_u32_e64 v38, null, s31, 0, s11
	v_mov_b32_e32 v35, 0
	v_or_b32_e32 v36, s45, v38
	s_delay_alu instid0(VALU_DEP_1) | instskip(SKIP_1) | instid1(SALU_CYCLE_1)
	v_cmp_ne_u64_e32 vcc_lo, 0, v[35:36]
                                        ; implicit-def: $vgpr35_vgpr36
	s_and_saveexec_b32 s11, vcc_lo
	s_xor_b32 s20, exec_lo, s11
	s_cbranch_execz .LBB1159_245
; %bb.244:
	s_ashr_i32 s12, s45, 31
	s_delay_alu instid0(SALU_CYCLE_1) | instskip(SKIP_2) | instid1(SALU_CYCLE_1)
	s_add_u32 s16, s44, s12
	s_mov_b32 s13, s12
	s_addc_u32 s17, s45, s12
	s_xor_b64 s[16:17], s[16:17], s[12:13]
	s_delay_alu instid0(SALU_CYCLE_1) | instskip(SKIP_3) | instid1(VALU_DEP_1)
	v_cvt_f32_u32_e32 v35, s16
	v_cvt_f32_u32_e32 v36, s17
	s_sub_u32 s11, 0, s16
	s_subb_u32 s13, 0, s17
	v_fmamk_f32 v35, v36, 0x4f800000, v35
	s_delay_alu instid0(VALU_DEP_1) | instskip(SKIP_2) | instid1(VALU_DEP_1)
	v_rcp_f32_e32 v35, v35
	s_waitcnt_depctr 0xfff
	v_mul_f32_e32 v35, 0x5f7ffffc, v35
	v_mul_f32_e32 v36, 0x2f800000, v35
	s_delay_alu instid0(VALU_DEP_1) | instskip(NEXT) | instid1(VALU_DEP_1)
	v_trunc_f32_e32 v36, v36
	v_fmamk_f32 v35, v36, 0xcf800000, v35
	v_cvt_u32_f32_e32 v36, v36
	s_delay_alu instid0(VALU_DEP_2) | instskip(NEXT) | instid1(VALU_DEP_2)
	v_cvt_u32_f32_e32 v35, v35
	v_mul_lo_u32 v40, s11, v36
	s_delay_alu instid0(VALU_DEP_2) | instskip(SKIP_1) | instid1(VALU_DEP_2)
	v_mul_hi_u32 v42, s11, v35
	v_mul_lo_u32 v44, s13, v35
	v_add_nc_u32_e32 v40, v42, v40
	v_mul_lo_u32 v42, s11, v35
	s_delay_alu instid0(VALU_DEP_2) | instskip(NEXT) | instid1(VALU_DEP_2)
	v_add_nc_u32_e32 v40, v40, v44
	v_mul_hi_u32 v44, v35, v42
	s_delay_alu instid0(VALU_DEP_2)
	v_mul_lo_u32 v46, v35, v40
	v_mul_hi_u32 v48, v35, v40
	v_mul_hi_u32 v50, v36, v42
	v_mul_lo_u32 v42, v36, v42
	v_mul_hi_u32 v52, v36, v40
	v_mul_lo_u32 v40, v36, v40
	v_add_co_u32 v44, vcc_lo, v44, v46
	v_add_co_ci_u32_e32 v46, vcc_lo, 0, v48, vcc_lo
	s_delay_alu instid0(VALU_DEP_2) | instskip(NEXT) | instid1(VALU_DEP_2)
	v_add_co_u32 v42, vcc_lo, v44, v42
	v_add_co_ci_u32_e32 v42, vcc_lo, v46, v50, vcc_lo
	v_add_co_ci_u32_e32 v44, vcc_lo, 0, v52, vcc_lo
	v_ashrrev_i32_e32 v50, 31, v38
	s_delay_alu instid0(VALU_DEP_3) | instskip(NEXT) | instid1(VALU_DEP_3)
	v_add_co_u32 v40, vcc_lo, v42, v40
	v_add_co_ci_u32_e32 v42, vcc_lo, 0, v44, vcc_lo
	s_delay_alu instid0(VALU_DEP_2) | instskip(NEXT) | instid1(VALU_DEP_2)
	v_add_co_u32 v35, vcc_lo, v35, v40
	v_add_co_ci_u32_e32 v36, vcc_lo, v36, v42, vcc_lo
	s_delay_alu instid0(VALU_DEP_2) | instskip(SKIP_1) | instid1(VALU_DEP_3)
	v_mul_hi_u32 v40, s11, v35
	v_mul_lo_u32 v44, s13, v35
	v_mul_lo_u32 v42, s11, v36
	s_delay_alu instid0(VALU_DEP_1) | instskip(SKIP_1) | instid1(VALU_DEP_2)
	v_add_nc_u32_e32 v40, v40, v42
	v_mul_lo_u32 v42, s11, v35
	v_add_nc_u32_e32 v40, v40, v44
	s_delay_alu instid0(VALU_DEP_2) | instskip(NEXT) | instid1(VALU_DEP_2)
	v_mul_hi_u32 v44, v35, v42
	v_mul_lo_u32 v46, v35, v40
	v_mul_hi_u32 v48, v35, v40
	v_mul_hi_u32 v52, v36, v42
	v_mul_lo_u32 v42, v36, v42
	v_mul_hi_u32 v54, v36, v40
	v_mul_lo_u32 v40, v36, v40
	v_add_co_u32 v44, vcc_lo, v44, v46
	v_add_co_ci_u32_e32 v46, vcc_lo, 0, v48, vcc_lo
	s_delay_alu instid0(VALU_DEP_2) | instskip(NEXT) | instid1(VALU_DEP_2)
	v_add_co_u32 v42, vcc_lo, v44, v42
	v_add_co_ci_u32_e32 v42, vcc_lo, v46, v52, vcc_lo
	v_add_co_ci_u32_e32 v44, vcc_lo, 0, v54, vcc_lo
	v_add_co_u32 v46, vcc_lo, v37, v50
	v_add_co_ci_u32_e32 v48, vcc_lo, v38, v50, vcc_lo
	s_delay_alu instid0(VALU_DEP_4) | instskip(NEXT) | instid1(VALU_DEP_4)
	v_add_co_u32 v40, vcc_lo, v42, v40
	v_add_co_ci_u32_e32 v42, vcc_lo, 0, v44, vcc_lo
	s_delay_alu instid0(VALU_DEP_4) | instskip(NEXT) | instid1(VALU_DEP_3)
	v_xor_b32_e32 v44, v46, v50
	v_add_co_u32 v40, vcc_lo, v35, v40
	s_delay_alu instid0(VALU_DEP_3) | instskip(SKIP_1) | instid1(VALU_DEP_3)
	v_add_co_ci_u32_e32 v42, vcc_lo, v36, v42, vcc_lo
	v_xor_b32_e32 v46, v48, v50
	v_mul_hi_u32 v48, v44, v40
	s_delay_alu instid0(VALU_DEP_3) | instskip(NEXT) | instid1(VALU_DEP_3)
	v_mad_u64_u32 v[35:36], null, v44, v42, 0
	v_mad_u64_u32 v[64:65], null, v46, v40, 0
	;; [unrolled: 1-line block ×3, first 2 shown]
	s_delay_alu instid0(VALU_DEP_3) | instskip(NEXT) | instid1(VALU_DEP_4)
	v_add_co_u32 v35, vcc_lo, v48, v35
	v_add_co_ci_u32_e32 v36, vcc_lo, 0, v36, vcc_lo
	s_delay_alu instid0(VALU_DEP_2) | instskip(NEXT) | instid1(VALU_DEP_2)
	v_add_co_u32 v35, vcc_lo, v35, v64
	v_add_co_ci_u32_e32 v35, vcc_lo, v36, v65, vcc_lo
	v_add_co_ci_u32_e32 v36, vcc_lo, 0, v67, vcc_lo
	s_delay_alu instid0(VALU_DEP_2) | instskip(NEXT) | instid1(VALU_DEP_2)
	v_add_co_u32 v40, vcc_lo, v35, v66
	v_add_co_ci_u32_e32 v42, vcc_lo, 0, v36, vcc_lo
	s_delay_alu instid0(VALU_DEP_2) | instskip(SKIP_1) | instid1(VALU_DEP_3)
	v_mul_lo_u32 v48, s17, v40
	v_mad_u64_u32 v[35:36], null, s16, v40, 0
	v_mul_lo_u32 v52, s16, v42
	s_delay_alu instid0(VALU_DEP_2) | instskip(NEXT) | instid1(VALU_DEP_2)
	v_sub_co_u32 v35, vcc_lo, v44, v35
	v_add3_u32 v36, v36, v52, v48
	s_delay_alu instid0(VALU_DEP_1) | instskip(NEXT) | instid1(VALU_DEP_1)
	v_sub_nc_u32_e32 v48, v46, v36
	v_subrev_co_ci_u32_e64 v44, s11, s17, v48, vcc_lo
	v_add_co_u32 v48, s11, v40, 2
	s_delay_alu instid0(VALU_DEP_1) | instskip(SKIP_3) | instid1(VALU_DEP_3)
	v_add_co_ci_u32_e64 v52, s11, 0, v42, s11
	v_sub_co_u32 v54, s11, v35, s16
	v_sub_co_ci_u32_e32 v36, vcc_lo, v46, v36, vcc_lo
	v_subrev_co_ci_u32_e64 v44, s11, 0, v44, s11
	v_cmp_le_u32_e32 vcc_lo, s16, v54
	s_delay_alu instid0(VALU_DEP_3) | instskip(SKIP_1) | instid1(VALU_DEP_4)
	v_cmp_eq_u32_e64 s11, s17, v36
	v_cndmask_b32_e64 v46, 0, -1, vcc_lo
	v_cmp_le_u32_e32 vcc_lo, s17, v44
	v_cndmask_b32_e64 v54, 0, -1, vcc_lo
	v_cmp_le_u32_e32 vcc_lo, s16, v35
	;; [unrolled: 2-line block ×3, first 2 shown]
	v_cndmask_b32_e64 v56, 0, -1, vcc_lo
	v_cmp_eq_u32_e32 vcc_lo, s17, v44
	s_delay_alu instid0(VALU_DEP_2) | instskip(SKIP_3) | instid1(VALU_DEP_3)
	v_cndmask_b32_e64 v35, v56, v35, s11
	v_cndmask_b32_e32 v44, v54, v46, vcc_lo
	v_add_co_u32 v46, vcc_lo, v40, 1
	v_add_co_ci_u32_e32 v54, vcc_lo, 0, v42, vcc_lo
	v_cmp_ne_u32_e32 vcc_lo, 0, v44
	s_delay_alu instid0(VALU_DEP_2) | instskip(NEXT) | instid1(VALU_DEP_4)
	v_cndmask_b32_e32 v36, v54, v52, vcc_lo
	v_cndmask_b32_e32 v44, v46, v48, vcc_lo
	v_cmp_ne_u32_e32 vcc_lo, 0, v35
	v_xor_b32_e32 v46, s12, v50
	s_delay_alu instid0(VALU_DEP_4) | instskip(NEXT) | instid1(VALU_DEP_4)
	v_cndmask_b32_e32 v35, v42, v36, vcc_lo
	v_cndmask_b32_e32 v36, v40, v44, vcc_lo
	s_delay_alu instid0(VALU_DEP_2) | instskip(NEXT) | instid1(VALU_DEP_2)
	v_xor_b32_e32 v40, v35, v46
	v_xor_b32_e32 v36, v36, v46
	s_delay_alu instid0(VALU_DEP_1) | instskip(NEXT) | instid1(VALU_DEP_3)
	v_sub_co_u32 v35, vcc_lo, v36, v46
	v_sub_co_ci_u32_e32 v36, vcc_lo, v40, v46, vcc_lo
.LBB1159_245:
	s_and_not1_saveexec_b32 s11, s20
	s_cbranch_execz .LBB1159_247
; %bb.246:
	v_cvt_f32_u32_e32 v35, s44
	s_sub_i32 s12, 0, s44
	s_delay_alu instid0(VALU_DEP_1) | instskip(SKIP_2) | instid1(VALU_DEP_1)
	v_rcp_iflag_f32_e32 v35, v35
	s_waitcnt_depctr 0xfff
	v_mul_f32_e32 v35, 0x4f7ffffe, v35
	v_cvt_u32_f32_e32 v35, v35
	s_delay_alu instid0(VALU_DEP_1) | instskip(NEXT) | instid1(VALU_DEP_1)
	v_mul_lo_u32 v36, s12, v35
	v_mul_hi_u32 v36, v35, v36
	s_delay_alu instid0(VALU_DEP_1) | instskip(NEXT) | instid1(VALU_DEP_1)
	v_add_nc_u32_e32 v35, v35, v36
	v_mul_hi_u32 v35, v37, v35
	s_delay_alu instid0(VALU_DEP_1) | instskip(SKIP_1) | instid1(VALU_DEP_2)
	v_mul_lo_u32 v36, v35, s44
	v_add_nc_u32_e32 v40, 1, v35
	v_sub_nc_u32_e32 v36, v37, v36
	s_delay_alu instid0(VALU_DEP_1) | instskip(SKIP_1) | instid1(VALU_DEP_2)
	v_subrev_nc_u32_e32 v42, s44, v36
	v_cmp_le_u32_e32 vcc_lo, s44, v36
	v_dual_cndmask_b32 v36, v36, v42 :: v_dual_cndmask_b32 v35, v35, v40
	s_delay_alu instid0(VALU_DEP_1) | instskip(SKIP_1) | instid1(VALU_DEP_3)
	v_cmp_le_u32_e32 vcc_lo, s44, v36
	v_mov_b32_e32 v36, 0
	v_add_nc_u32_e32 v40, 1, v35
	s_delay_alu instid0(VALU_DEP_1)
	v_cndmask_b32_e32 v35, v35, v40, vcc_lo
.LBB1159_247:
	s_or_b32 exec_lo, exec_lo, s11
	s_delay_alu instid0(VALU_DEP_1) | instskip(NEXT) | instid1(VALU_DEP_2)
	v_mul_lo_u32 v40, v36, s44
	v_mul_lo_u32 v42, v35, s45
	v_mad_u64_u32 v[64:65], null, v35, s44, 0
	s_delay_alu instid0(VALU_DEP_1) | instskip(NEXT) | instid1(VALU_DEP_2)
	v_add3_u32 v40, v65, v42, v40
	v_sub_co_u32 v37, vcc_lo, v37, v64
	s_delay_alu instid0(VALU_DEP_2) | instskip(NEXT) | instid1(VALU_DEP_2)
	v_sub_co_ci_u32_e32 v38, vcc_lo, v38, v40, vcc_lo
	v_add_co_u32 v35, vcc_lo, v35, v37
	s_delay_alu instid0(VALU_DEP_2)
	v_add_co_ci_u32_e32 v36, vcc_lo, v36, v38, vcc_lo
	s_or_b32 exec_lo, exec_lo, s14
                                        ; implicit-def: $vgpr37_vgpr38
	s_and_saveexec_b32 s11, s10
	s_cbranch_execz .LBB1159_218
.LBB1159_248:
	v_add_co_u32 v39, s10, s30, v39
	s_delay_alu instid0(VALU_DEP_1) | instskip(SKIP_1) | instid1(VALU_DEP_2)
	v_add_co_ci_u32_e64 v40, null, s31, 0, s10
	v_mov_b32_e32 v37, 0
	v_or_b32_e32 v38, s45, v40
	s_delay_alu instid0(VALU_DEP_1) | instskip(SKIP_1) | instid1(SALU_CYCLE_1)
	v_cmp_ne_u64_e32 vcc_lo, 0, v[37:38]
                                        ; implicit-def: $vgpr37_vgpr38
	s_and_saveexec_b32 s10, vcc_lo
	s_xor_b32 s14, exec_lo, s10
	s_cbranch_execz .LBB1159_250
; %bb.249:
	s_ashr_i32 s12, s45, 31
	s_delay_alu instid0(SALU_CYCLE_1) | instskip(SKIP_2) | instid1(SALU_CYCLE_1)
	s_add_u32 s16, s44, s12
	s_mov_b32 s13, s12
	s_addc_u32 s17, s45, s12
	s_xor_b64 s[16:17], s[16:17], s[12:13]
	s_delay_alu instid0(SALU_CYCLE_1) | instskip(SKIP_3) | instid1(VALU_DEP_1)
	v_cvt_f32_u32_e32 v37, s16
	v_cvt_f32_u32_e32 v38, s17
	s_sub_u32 s10, 0, s16
	s_subb_u32 s13, 0, s17
	v_fmamk_f32 v37, v38, 0x4f800000, v37
	s_delay_alu instid0(VALU_DEP_1) | instskip(SKIP_2) | instid1(VALU_DEP_1)
	v_rcp_f32_e32 v37, v37
	s_waitcnt_depctr 0xfff
	v_mul_f32_e32 v37, 0x5f7ffffc, v37
	v_mul_f32_e32 v38, 0x2f800000, v37
	s_delay_alu instid0(VALU_DEP_1) | instskip(NEXT) | instid1(VALU_DEP_1)
	v_trunc_f32_e32 v38, v38
	v_fmamk_f32 v37, v38, 0xcf800000, v37
	v_cvt_u32_f32_e32 v38, v38
	s_delay_alu instid0(VALU_DEP_2) | instskip(NEXT) | instid1(VALU_DEP_2)
	v_cvt_u32_f32_e32 v37, v37
	v_mul_lo_u32 v42, s10, v38
	s_delay_alu instid0(VALU_DEP_2) | instskip(SKIP_1) | instid1(VALU_DEP_2)
	v_mul_hi_u32 v44, s10, v37
	v_mul_lo_u32 v46, s13, v37
	v_add_nc_u32_e32 v42, v44, v42
	v_mul_lo_u32 v44, s10, v37
	s_delay_alu instid0(VALU_DEP_2) | instskip(NEXT) | instid1(VALU_DEP_2)
	v_add_nc_u32_e32 v42, v42, v46
	v_mul_hi_u32 v46, v37, v44
	s_delay_alu instid0(VALU_DEP_2)
	v_mul_lo_u32 v48, v37, v42
	v_mul_hi_u32 v50, v37, v42
	v_mul_hi_u32 v52, v38, v44
	v_mul_lo_u32 v44, v38, v44
	v_mul_hi_u32 v54, v38, v42
	v_mul_lo_u32 v42, v38, v42
	v_add_co_u32 v46, vcc_lo, v46, v48
	v_add_co_ci_u32_e32 v48, vcc_lo, 0, v50, vcc_lo
	s_delay_alu instid0(VALU_DEP_2) | instskip(NEXT) | instid1(VALU_DEP_2)
	v_add_co_u32 v44, vcc_lo, v46, v44
	v_add_co_ci_u32_e32 v44, vcc_lo, v48, v52, vcc_lo
	v_add_co_ci_u32_e32 v46, vcc_lo, 0, v54, vcc_lo
	v_ashrrev_i32_e32 v52, 31, v40
	s_delay_alu instid0(VALU_DEP_3) | instskip(NEXT) | instid1(VALU_DEP_3)
	v_add_co_u32 v42, vcc_lo, v44, v42
	v_add_co_ci_u32_e32 v44, vcc_lo, 0, v46, vcc_lo
	s_delay_alu instid0(VALU_DEP_2) | instskip(NEXT) | instid1(VALU_DEP_2)
	v_add_co_u32 v37, vcc_lo, v37, v42
	v_add_co_ci_u32_e32 v38, vcc_lo, v38, v44, vcc_lo
	s_delay_alu instid0(VALU_DEP_2) | instskip(SKIP_1) | instid1(VALU_DEP_3)
	v_mul_hi_u32 v42, s10, v37
	v_mul_lo_u32 v46, s13, v37
	v_mul_lo_u32 v44, s10, v38
	s_delay_alu instid0(VALU_DEP_1) | instskip(SKIP_1) | instid1(VALU_DEP_2)
	v_add_nc_u32_e32 v42, v42, v44
	v_mul_lo_u32 v44, s10, v37
	v_add_nc_u32_e32 v42, v42, v46
	s_delay_alu instid0(VALU_DEP_2) | instskip(NEXT) | instid1(VALU_DEP_2)
	v_mul_hi_u32 v46, v37, v44
	v_mul_lo_u32 v48, v37, v42
	v_mul_hi_u32 v50, v37, v42
	v_mul_hi_u32 v54, v38, v44
	v_mul_lo_u32 v44, v38, v44
	v_mul_hi_u32 v56, v38, v42
	v_mul_lo_u32 v42, v38, v42
	v_add_co_u32 v46, vcc_lo, v46, v48
	v_add_co_ci_u32_e32 v48, vcc_lo, 0, v50, vcc_lo
	s_delay_alu instid0(VALU_DEP_2) | instskip(NEXT) | instid1(VALU_DEP_2)
	v_add_co_u32 v44, vcc_lo, v46, v44
	v_add_co_ci_u32_e32 v44, vcc_lo, v48, v54, vcc_lo
	v_add_co_ci_u32_e32 v46, vcc_lo, 0, v56, vcc_lo
	v_add_co_u32 v48, vcc_lo, v39, v52
	v_add_co_ci_u32_e32 v50, vcc_lo, v40, v52, vcc_lo
	s_delay_alu instid0(VALU_DEP_4) | instskip(NEXT) | instid1(VALU_DEP_4)
	v_add_co_u32 v42, vcc_lo, v44, v42
	v_add_co_ci_u32_e32 v44, vcc_lo, 0, v46, vcc_lo
	s_delay_alu instid0(VALU_DEP_4) | instskip(NEXT) | instid1(VALU_DEP_3)
	v_xor_b32_e32 v46, v48, v52
	v_add_co_u32 v42, vcc_lo, v37, v42
	s_delay_alu instid0(VALU_DEP_3) | instskip(SKIP_1) | instid1(VALU_DEP_3)
	v_add_co_ci_u32_e32 v44, vcc_lo, v38, v44, vcc_lo
	v_xor_b32_e32 v48, v50, v52
	v_mul_hi_u32 v50, v46, v42
	s_delay_alu instid0(VALU_DEP_3) | instskip(NEXT) | instid1(VALU_DEP_3)
	v_mad_u64_u32 v[37:38], null, v46, v44, 0
	v_mad_u64_u32 v[64:65], null, v48, v42, 0
	;; [unrolled: 1-line block ×3, first 2 shown]
	s_delay_alu instid0(VALU_DEP_3) | instskip(NEXT) | instid1(VALU_DEP_4)
	v_add_co_u32 v37, vcc_lo, v50, v37
	v_add_co_ci_u32_e32 v38, vcc_lo, 0, v38, vcc_lo
	s_delay_alu instid0(VALU_DEP_2) | instskip(NEXT) | instid1(VALU_DEP_2)
	v_add_co_u32 v37, vcc_lo, v37, v64
	v_add_co_ci_u32_e32 v37, vcc_lo, v38, v65, vcc_lo
	v_add_co_ci_u32_e32 v38, vcc_lo, 0, v67, vcc_lo
	s_delay_alu instid0(VALU_DEP_2) | instskip(NEXT) | instid1(VALU_DEP_2)
	v_add_co_u32 v42, vcc_lo, v37, v66
	v_add_co_ci_u32_e32 v44, vcc_lo, 0, v38, vcc_lo
	s_delay_alu instid0(VALU_DEP_2) | instskip(SKIP_1) | instid1(VALU_DEP_3)
	v_mul_lo_u32 v50, s17, v42
	v_mad_u64_u32 v[37:38], null, s16, v42, 0
	v_mul_lo_u32 v54, s16, v44
	s_delay_alu instid0(VALU_DEP_2) | instskip(NEXT) | instid1(VALU_DEP_2)
	v_sub_co_u32 v37, vcc_lo, v46, v37
	v_add3_u32 v38, v38, v54, v50
	s_delay_alu instid0(VALU_DEP_1) | instskip(NEXT) | instid1(VALU_DEP_1)
	v_sub_nc_u32_e32 v50, v48, v38
	v_subrev_co_ci_u32_e64 v46, s10, s17, v50, vcc_lo
	v_add_co_u32 v50, s10, v42, 2
	s_delay_alu instid0(VALU_DEP_1) | instskip(SKIP_3) | instid1(VALU_DEP_3)
	v_add_co_ci_u32_e64 v54, s10, 0, v44, s10
	v_sub_co_u32 v56, s10, v37, s16
	v_sub_co_ci_u32_e32 v38, vcc_lo, v48, v38, vcc_lo
	v_subrev_co_ci_u32_e64 v46, s10, 0, v46, s10
	v_cmp_le_u32_e32 vcc_lo, s16, v56
	s_delay_alu instid0(VALU_DEP_3) | instskip(SKIP_1) | instid1(VALU_DEP_4)
	v_cmp_eq_u32_e64 s10, s17, v38
	v_cndmask_b32_e64 v48, 0, -1, vcc_lo
	v_cmp_le_u32_e32 vcc_lo, s17, v46
	v_cndmask_b32_e64 v56, 0, -1, vcc_lo
	v_cmp_le_u32_e32 vcc_lo, s16, v37
	;; [unrolled: 2-line block ×3, first 2 shown]
	v_cndmask_b32_e64 v60, 0, -1, vcc_lo
	v_cmp_eq_u32_e32 vcc_lo, s17, v46
	s_delay_alu instid0(VALU_DEP_2) | instskip(SKIP_3) | instid1(VALU_DEP_3)
	v_cndmask_b32_e64 v37, v60, v37, s10
	v_cndmask_b32_e32 v46, v56, v48, vcc_lo
	v_add_co_u32 v48, vcc_lo, v42, 1
	v_add_co_ci_u32_e32 v56, vcc_lo, 0, v44, vcc_lo
	v_cmp_ne_u32_e32 vcc_lo, 0, v46
	s_delay_alu instid0(VALU_DEP_2) | instskip(NEXT) | instid1(VALU_DEP_4)
	v_cndmask_b32_e32 v38, v56, v54, vcc_lo
	v_cndmask_b32_e32 v46, v48, v50, vcc_lo
	v_cmp_ne_u32_e32 vcc_lo, 0, v37
	v_xor_b32_e32 v48, s12, v52
	s_delay_alu instid0(VALU_DEP_4) | instskip(NEXT) | instid1(VALU_DEP_4)
	v_cndmask_b32_e32 v37, v44, v38, vcc_lo
	v_cndmask_b32_e32 v38, v42, v46, vcc_lo
	s_delay_alu instid0(VALU_DEP_2) | instskip(NEXT) | instid1(VALU_DEP_2)
	v_xor_b32_e32 v42, v37, v48
	v_xor_b32_e32 v38, v38, v48
	s_delay_alu instid0(VALU_DEP_1) | instskip(NEXT) | instid1(VALU_DEP_3)
	v_sub_co_u32 v37, vcc_lo, v38, v48
	v_sub_co_ci_u32_e32 v38, vcc_lo, v42, v48, vcc_lo
.LBB1159_250:
	s_and_not1_saveexec_b32 s10, s14
	s_cbranch_execz .LBB1159_252
; %bb.251:
	v_cvt_f32_u32_e32 v37, s44
	s_sub_i32 s12, 0, s44
	s_delay_alu instid0(VALU_DEP_1) | instskip(SKIP_2) | instid1(VALU_DEP_1)
	v_rcp_iflag_f32_e32 v37, v37
	s_waitcnt_depctr 0xfff
	v_mul_f32_e32 v37, 0x4f7ffffe, v37
	v_cvt_u32_f32_e32 v37, v37
	s_delay_alu instid0(VALU_DEP_1) | instskip(NEXT) | instid1(VALU_DEP_1)
	v_mul_lo_u32 v38, s12, v37
	v_mul_hi_u32 v38, v37, v38
	s_delay_alu instid0(VALU_DEP_1) | instskip(NEXT) | instid1(VALU_DEP_1)
	v_add_nc_u32_e32 v37, v37, v38
	v_mul_hi_u32 v37, v39, v37
	s_delay_alu instid0(VALU_DEP_1) | instskip(SKIP_1) | instid1(VALU_DEP_2)
	v_mul_lo_u32 v38, v37, s44
	v_add_nc_u32_e32 v42, 1, v37
	v_sub_nc_u32_e32 v38, v39, v38
	s_delay_alu instid0(VALU_DEP_1) | instskip(SKIP_1) | instid1(VALU_DEP_2)
	v_subrev_nc_u32_e32 v44, s44, v38
	v_cmp_le_u32_e32 vcc_lo, s44, v38
	v_dual_cndmask_b32 v38, v38, v44 :: v_dual_cndmask_b32 v37, v37, v42
	s_delay_alu instid0(VALU_DEP_1) | instskip(SKIP_1) | instid1(VALU_DEP_3)
	v_cmp_le_u32_e32 vcc_lo, s44, v38
	v_mov_b32_e32 v38, 0
	v_add_nc_u32_e32 v42, 1, v37
	s_delay_alu instid0(VALU_DEP_1)
	v_cndmask_b32_e32 v37, v37, v42, vcc_lo
.LBB1159_252:
	s_or_b32 exec_lo, exec_lo, s10
	s_delay_alu instid0(VALU_DEP_1) | instskip(NEXT) | instid1(VALU_DEP_2)
	v_mul_lo_u32 v42, v38, s44
	v_mul_lo_u32 v44, v37, s45
	v_mad_u64_u32 v[64:65], null, v37, s44, 0
	s_delay_alu instid0(VALU_DEP_1) | instskip(NEXT) | instid1(VALU_DEP_2)
	v_add3_u32 v42, v65, v44, v42
	v_sub_co_u32 v39, vcc_lo, v39, v64
	s_delay_alu instid0(VALU_DEP_2) | instskip(NEXT) | instid1(VALU_DEP_2)
	v_sub_co_ci_u32_e32 v40, vcc_lo, v40, v42, vcc_lo
	v_add_co_u32 v37, vcc_lo, v37, v39
	s_delay_alu instid0(VALU_DEP_2)
	v_add_co_ci_u32_e32 v38, vcc_lo, v38, v40, vcc_lo
	s_or_b32 exec_lo, exec_lo, s11
                                        ; implicit-def: $vgpr39_vgpr40
	s_and_saveexec_b32 s14, s9
	s_cbranch_execz .LBB1159_219
.LBB1159_253:
	v_add_co_u32 v41, s9, s30, v41
	s_delay_alu instid0(VALU_DEP_1) | instskip(SKIP_1) | instid1(VALU_DEP_2)
	v_add_co_ci_u32_e64 v42, null, s31, 0, s9
	v_mov_b32_e32 v39, 0
	v_or_b32_e32 v40, s45, v42
	s_delay_alu instid0(VALU_DEP_1) | instskip(SKIP_1) | instid1(SALU_CYCLE_1)
	v_cmp_ne_u64_e32 vcc_lo, 0, v[39:40]
                                        ; implicit-def: $vgpr39_vgpr40
	s_and_saveexec_b32 s9, vcc_lo
	s_xor_b32 s16, exec_lo, s9
	s_cbranch_execz .LBB1159_255
; %bb.254:
	s_ashr_i32 s10, s45, 31
	s_delay_alu instid0(SALU_CYCLE_1) | instskip(SKIP_2) | instid1(SALU_CYCLE_1)
	s_add_u32 s12, s44, s10
	s_mov_b32 s11, s10
	s_addc_u32 s13, s45, s10
	s_xor_b64 s[12:13], s[12:13], s[10:11]
	s_delay_alu instid0(SALU_CYCLE_1) | instskip(SKIP_3) | instid1(VALU_DEP_1)
	v_cvt_f32_u32_e32 v39, s12
	v_cvt_f32_u32_e32 v40, s13
	s_sub_u32 s9, 0, s12
	s_subb_u32 s11, 0, s13
	v_fmamk_f32 v39, v40, 0x4f800000, v39
	s_delay_alu instid0(VALU_DEP_1) | instskip(SKIP_2) | instid1(VALU_DEP_1)
	v_rcp_f32_e32 v39, v39
	s_waitcnt_depctr 0xfff
	v_mul_f32_e32 v39, 0x5f7ffffc, v39
	v_mul_f32_e32 v40, 0x2f800000, v39
	s_delay_alu instid0(VALU_DEP_1) | instskip(NEXT) | instid1(VALU_DEP_1)
	v_trunc_f32_e32 v40, v40
	v_fmamk_f32 v39, v40, 0xcf800000, v39
	v_cvt_u32_f32_e32 v40, v40
	s_delay_alu instid0(VALU_DEP_2) | instskip(NEXT) | instid1(VALU_DEP_2)
	v_cvt_u32_f32_e32 v39, v39
	v_mul_lo_u32 v44, s9, v40
	s_delay_alu instid0(VALU_DEP_2) | instskip(SKIP_1) | instid1(VALU_DEP_2)
	v_mul_hi_u32 v46, s9, v39
	v_mul_lo_u32 v48, s11, v39
	v_add_nc_u32_e32 v44, v46, v44
	v_mul_lo_u32 v46, s9, v39
	s_delay_alu instid0(VALU_DEP_2) | instskip(NEXT) | instid1(VALU_DEP_2)
	v_add_nc_u32_e32 v44, v44, v48
	v_mul_hi_u32 v48, v39, v46
	s_delay_alu instid0(VALU_DEP_2)
	v_mul_lo_u32 v50, v39, v44
	v_mul_hi_u32 v52, v39, v44
	v_mul_hi_u32 v54, v40, v46
	v_mul_lo_u32 v46, v40, v46
	v_mul_hi_u32 v56, v40, v44
	v_mul_lo_u32 v44, v40, v44
	v_add_co_u32 v48, vcc_lo, v48, v50
	v_add_co_ci_u32_e32 v50, vcc_lo, 0, v52, vcc_lo
	s_delay_alu instid0(VALU_DEP_2) | instskip(NEXT) | instid1(VALU_DEP_2)
	v_add_co_u32 v46, vcc_lo, v48, v46
	v_add_co_ci_u32_e32 v46, vcc_lo, v50, v54, vcc_lo
	v_add_co_ci_u32_e32 v48, vcc_lo, 0, v56, vcc_lo
	v_ashrrev_i32_e32 v54, 31, v42
	s_delay_alu instid0(VALU_DEP_3) | instskip(NEXT) | instid1(VALU_DEP_3)
	v_add_co_u32 v44, vcc_lo, v46, v44
	v_add_co_ci_u32_e32 v46, vcc_lo, 0, v48, vcc_lo
	s_delay_alu instid0(VALU_DEP_2) | instskip(NEXT) | instid1(VALU_DEP_2)
	v_add_co_u32 v39, vcc_lo, v39, v44
	v_add_co_ci_u32_e32 v40, vcc_lo, v40, v46, vcc_lo
	s_delay_alu instid0(VALU_DEP_2) | instskip(SKIP_1) | instid1(VALU_DEP_3)
	v_mul_hi_u32 v44, s9, v39
	v_mul_lo_u32 v48, s11, v39
	v_mul_lo_u32 v46, s9, v40
	s_delay_alu instid0(VALU_DEP_1) | instskip(SKIP_1) | instid1(VALU_DEP_2)
	v_add_nc_u32_e32 v44, v44, v46
	v_mul_lo_u32 v46, s9, v39
	v_add_nc_u32_e32 v44, v44, v48
	s_delay_alu instid0(VALU_DEP_2) | instskip(NEXT) | instid1(VALU_DEP_2)
	v_mul_hi_u32 v48, v39, v46
	v_mul_lo_u32 v50, v39, v44
	v_mul_hi_u32 v52, v39, v44
	v_mul_hi_u32 v56, v40, v46
	v_mul_lo_u32 v46, v40, v46
	v_mul_hi_u32 v60, v40, v44
	v_mul_lo_u32 v44, v40, v44
	v_add_co_u32 v48, vcc_lo, v48, v50
	v_add_co_ci_u32_e32 v50, vcc_lo, 0, v52, vcc_lo
	s_delay_alu instid0(VALU_DEP_2) | instskip(NEXT) | instid1(VALU_DEP_2)
	v_add_co_u32 v46, vcc_lo, v48, v46
	v_add_co_ci_u32_e32 v46, vcc_lo, v50, v56, vcc_lo
	v_add_co_ci_u32_e32 v48, vcc_lo, 0, v60, vcc_lo
	v_add_co_u32 v50, vcc_lo, v41, v54
	v_add_co_ci_u32_e32 v52, vcc_lo, v42, v54, vcc_lo
	s_delay_alu instid0(VALU_DEP_4) | instskip(NEXT) | instid1(VALU_DEP_4)
	v_add_co_u32 v44, vcc_lo, v46, v44
	v_add_co_ci_u32_e32 v46, vcc_lo, 0, v48, vcc_lo
	s_delay_alu instid0(VALU_DEP_4) | instskip(NEXT) | instid1(VALU_DEP_3)
	v_xor_b32_e32 v48, v50, v54
	v_add_co_u32 v44, vcc_lo, v39, v44
	s_delay_alu instid0(VALU_DEP_3) | instskip(SKIP_1) | instid1(VALU_DEP_3)
	v_add_co_ci_u32_e32 v46, vcc_lo, v40, v46, vcc_lo
	v_xor_b32_e32 v50, v52, v54
	v_mul_hi_u32 v52, v48, v44
	s_delay_alu instid0(VALU_DEP_3) | instskip(NEXT) | instid1(VALU_DEP_3)
	v_mad_u64_u32 v[39:40], null, v48, v46, 0
	v_mad_u64_u32 v[64:65], null, v50, v44, 0
	;; [unrolled: 1-line block ×3, first 2 shown]
	s_delay_alu instid0(VALU_DEP_3) | instskip(NEXT) | instid1(VALU_DEP_4)
	v_add_co_u32 v39, vcc_lo, v52, v39
	v_add_co_ci_u32_e32 v40, vcc_lo, 0, v40, vcc_lo
	s_delay_alu instid0(VALU_DEP_2) | instskip(NEXT) | instid1(VALU_DEP_2)
	v_add_co_u32 v39, vcc_lo, v39, v64
	v_add_co_ci_u32_e32 v39, vcc_lo, v40, v65, vcc_lo
	v_add_co_ci_u32_e32 v40, vcc_lo, 0, v67, vcc_lo
	s_delay_alu instid0(VALU_DEP_2) | instskip(NEXT) | instid1(VALU_DEP_2)
	v_add_co_u32 v44, vcc_lo, v39, v66
	v_add_co_ci_u32_e32 v46, vcc_lo, 0, v40, vcc_lo
	s_delay_alu instid0(VALU_DEP_2) | instskip(SKIP_1) | instid1(VALU_DEP_3)
	v_mul_lo_u32 v52, s13, v44
	v_mad_u64_u32 v[39:40], null, s12, v44, 0
	v_mul_lo_u32 v56, s12, v46
	s_delay_alu instid0(VALU_DEP_2) | instskip(NEXT) | instid1(VALU_DEP_2)
	v_sub_co_u32 v39, vcc_lo, v48, v39
	v_add3_u32 v40, v40, v56, v52
	s_delay_alu instid0(VALU_DEP_1) | instskip(NEXT) | instid1(VALU_DEP_1)
	v_sub_nc_u32_e32 v52, v50, v40
	v_subrev_co_ci_u32_e64 v48, s9, s13, v52, vcc_lo
	v_add_co_u32 v52, s9, v44, 2
	s_delay_alu instid0(VALU_DEP_1) | instskip(SKIP_3) | instid1(VALU_DEP_3)
	v_add_co_ci_u32_e64 v56, s9, 0, v46, s9
	v_sub_co_u32 v60, s9, v39, s12
	v_sub_co_ci_u32_e32 v40, vcc_lo, v50, v40, vcc_lo
	v_subrev_co_ci_u32_e64 v48, s9, 0, v48, s9
	v_cmp_le_u32_e32 vcc_lo, s12, v60
	s_delay_alu instid0(VALU_DEP_3) | instskip(SKIP_1) | instid1(VALU_DEP_4)
	v_cmp_eq_u32_e64 s9, s13, v40
	v_cndmask_b32_e64 v50, 0, -1, vcc_lo
	v_cmp_le_u32_e32 vcc_lo, s13, v48
	v_cndmask_b32_e64 v60, 0, -1, vcc_lo
	v_cmp_le_u32_e32 vcc_lo, s12, v39
	;; [unrolled: 2-line block ×3, first 2 shown]
	v_cndmask_b32_e64 v64, 0, -1, vcc_lo
	v_cmp_eq_u32_e32 vcc_lo, s13, v48
	s_delay_alu instid0(VALU_DEP_2) | instskip(SKIP_3) | instid1(VALU_DEP_3)
	v_cndmask_b32_e64 v39, v64, v39, s9
	v_cndmask_b32_e32 v48, v60, v50, vcc_lo
	v_add_co_u32 v50, vcc_lo, v44, 1
	v_add_co_ci_u32_e32 v60, vcc_lo, 0, v46, vcc_lo
	v_cmp_ne_u32_e32 vcc_lo, 0, v48
	s_delay_alu instid0(VALU_DEP_2) | instskip(NEXT) | instid1(VALU_DEP_4)
	v_cndmask_b32_e32 v40, v60, v56, vcc_lo
	v_cndmask_b32_e32 v48, v50, v52, vcc_lo
	v_cmp_ne_u32_e32 vcc_lo, 0, v39
	v_xor_b32_e32 v50, s10, v54
	s_delay_alu instid0(VALU_DEP_4) | instskip(NEXT) | instid1(VALU_DEP_4)
	v_cndmask_b32_e32 v39, v46, v40, vcc_lo
	v_cndmask_b32_e32 v40, v44, v48, vcc_lo
	s_delay_alu instid0(VALU_DEP_2) | instskip(NEXT) | instid1(VALU_DEP_2)
	v_xor_b32_e32 v44, v39, v50
	v_xor_b32_e32 v40, v40, v50
	s_delay_alu instid0(VALU_DEP_1) | instskip(NEXT) | instid1(VALU_DEP_3)
	v_sub_co_u32 v39, vcc_lo, v40, v50
	v_sub_co_ci_u32_e32 v40, vcc_lo, v44, v50, vcc_lo
.LBB1159_255:
	s_and_not1_saveexec_b32 s9, s16
	s_cbranch_execz .LBB1159_257
; %bb.256:
	v_cvt_f32_u32_e32 v39, s44
	s_sub_i32 s10, 0, s44
	s_delay_alu instid0(VALU_DEP_1) | instskip(SKIP_2) | instid1(VALU_DEP_1)
	v_rcp_iflag_f32_e32 v39, v39
	s_waitcnt_depctr 0xfff
	v_mul_f32_e32 v39, 0x4f7ffffe, v39
	v_cvt_u32_f32_e32 v39, v39
	s_delay_alu instid0(VALU_DEP_1) | instskip(NEXT) | instid1(VALU_DEP_1)
	v_mul_lo_u32 v40, s10, v39
	v_mul_hi_u32 v40, v39, v40
	s_delay_alu instid0(VALU_DEP_1) | instskip(NEXT) | instid1(VALU_DEP_1)
	v_add_nc_u32_e32 v39, v39, v40
	v_mul_hi_u32 v39, v41, v39
	s_delay_alu instid0(VALU_DEP_1) | instskip(SKIP_1) | instid1(VALU_DEP_2)
	v_mul_lo_u32 v40, v39, s44
	v_add_nc_u32_e32 v44, 1, v39
	v_sub_nc_u32_e32 v40, v41, v40
	s_delay_alu instid0(VALU_DEP_1) | instskip(SKIP_1) | instid1(VALU_DEP_2)
	v_subrev_nc_u32_e32 v46, s44, v40
	v_cmp_le_u32_e32 vcc_lo, s44, v40
	v_dual_cndmask_b32 v40, v40, v46 :: v_dual_cndmask_b32 v39, v39, v44
	s_delay_alu instid0(VALU_DEP_1) | instskip(SKIP_1) | instid1(VALU_DEP_3)
	v_cmp_le_u32_e32 vcc_lo, s44, v40
	v_mov_b32_e32 v40, 0
	v_add_nc_u32_e32 v44, 1, v39
	s_delay_alu instid0(VALU_DEP_1)
	v_cndmask_b32_e32 v39, v39, v44, vcc_lo
.LBB1159_257:
	s_or_b32 exec_lo, exec_lo, s9
	s_delay_alu instid0(VALU_DEP_1) | instskip(NEXT) | instid1(VALU_DEP_2)
	v_mul_lo_u32 v44, v40, s44
	v_mul_lo_u32 v46, v39, s45
	v_mad_u64_u32 v[64:65], null, v39, s44, 0
	s_delay_alu instid0(VALU_DEP_1) | instskip(NEXT) | instid1(VALU_DEP_2)
	v_add3_u32 v44, v65, v46, v44
	v_sub_co_u32 v41, vcc_lo, v41, v64
	s_delay_alu instid0(VALU_DEP_2) | instskip(NEXT) | instid1(VALU_DEP_2)
	v_sub_co_ci_u32_e32 v42, vcc_lo, v42, v44, vcc_lo
	v_add_co_u32 v39, vcc_lo, v39, v41
	s_delay_alu instid0(VALU_DEP_2)
	v_add_co_ci_u32_e32 v40, vcc_lo, v40, v42, vcc_lo
	s_or_b32 exec_lo, exec_lo, s14
                                        ; implicit-def: $vgpr41_vgpr42
	s_and_saveexec_b32 s9, s8
	s_cbranch_execz .LBB1159_220
.LBB1159_258:
	v_add_co_u32 v43, s8, s30, v43
	s_delay_alu instid0(VALU_DEP_1) | instskip(SKIP_1) | instid1(VALU_DEP_2)
	v_add_co_ci_u32_e64 v44, null, s31, 0, s8
	v_mov_b32_e32 v41, 0
	v_or_b32_e32 v42, s45, v44
	s_delay_alu instid0(VALU_DEP_1) | instskip(SKIP_1) | instid1(SALU_CYCLE_1)
	v_cmp_ne_u64_e32 vcc_lo, 0, v[41:42]
                                        ; implicit-def: $vgpr41_vgpr42
	s_and_saveexec_b32 s8, vcc_lo
	s_xor_b32 s14, exec_lo, s8
	s_cbranch_execz .LBB1159_260
; %bb.259:
	s_ashr_i32 s10, s45, 31
	s_delay_alu instid0(SALU_CYCLE_1) | instskip(SKIP_2) | instid1(SALU_CYCLE_1)
	s_add_u32 s12, s44, s10
	s_mov_b32 s11, s10
	s_addc_u32 s13, s45, s10
	s_xor_b64 s[12:13], s[12:13], s[10:11]
	s_delay_alu instid0(SALU_CYCLE_1) | instskip(SKIP_3) | instid1(VALU_DEP_1)
	v_cvt_f32_u32_e32 v41, s12
	v_cvt_f32_u32_e32 v42, s13
	s_sub_u32 s8, 0, s12
	s_subb_u32 s11, 0, s13
	v_fmamk_f32 v41, v42, 0x4f800000, v41
	s_delay_alu instid0(VALU_DEP_1) | instskip(SKIP_2) | instid1(VALU_DEP_1)
	v_rcp_f32_e32 v41, v41
	s_waitcnt_depctr 0xfff
	v_mul_f32_e32 v41, 0x5f7ffffc, v41
	v_mul_f32_e32 v42, 0x2f800000, v41
	s_delay_alu instid0(VALU_DEP_1) | instskip(NEXT) | instid1(VALU_DEP_1)
	v_trunc_f32_e32 v42, v42
	v_fmamk_f32 v41, v42, 0xcf800000, v41
	v_cvt_u32_f32_e32 v42, v42
	s_delay_alu instid0(VALU_DEP_2) | instskip(NEXT) | instid1(VALU_DEP_2)
	v_cvt_u32_f32_e32 v41, v41
	v_mul_lo_u32 v46, s8, v42
	s_delay_alu instid0(VALU_DEP_2) | instskip(SKIP_1) | instid1(VALU_DEP_2)
	v_mul_hi_u32 v48, s8, v41
	v_mul_lo_u32 v50, s11, v41
	v_add_nc_u32_e32 v46, v48, v46
	v_mul_lo_u32 v48, s8, v41
	s_delay_alu instid0(VALU_DEP_2) | instskip(NEXT) | instid1(VALU_DEP_2)
	v_add_nc_u32_e32 v46, v46, v50
	v_mul_hi_u32 v50, v41, v48
	s_delay_alu instid0(VALU_DEP_2)
	v_mul_lo_u32 v52, v41, v46
	v_mul_hi_u32 v54, v41, v46
	v_mul_hi_u32 v56, v42, v48
	v_mul_lo_u32 v48, v42, v48
	v_mul_hi_u32 v60, v42, v46
	v_mul_lo_u32 v46, v42, v46
	v_add_co_u32 v50, vcc_lo, v50, v52
	v_add_co_ci_u32_e32 v52, vcc_lo, 0, v54, vcc_lo
	s_delay_alu instid0(VALU_DEP_2) | instskip(NEXT) | instid1(VALU_DEP_2)
	v_add_co_u32 v48, vcc_lo, v50, v48
	v_add_co_ci_u32_e32 v48, vcc_lo, v52, v56, vcc_lo
	v_add_co_ci_u32_e32 v50, vcc_lo, 0, v60, vcc_lo
	v_ashrrev_i32_e32 v56, 31, v44
	s_delay_alu instid0(VALU_DEP_3) | instskip(NEXT) | instid1(VALU_DEP_3)
	v_add_co_u32 v46, vcc_lo, v48, v46
	v_add_co_ci_u32_e32 v48, vcc_lo, 0, v50, vcc_lo
	s_delay_alu instid0(VALU_DEP_2) | instskip(NEXT) | instid1(VALU_DEP_2)
	v_add_co_u32 v41, vcc_lo, v41, v46
	v_add_co_ci_u32_e32 v42, vcc_lo, v42, v48, vcc_lo
	s_delay_alu instid0(VALU_DEP_2) | instskip(SKIP_1) | instid1(VALU_DEP_3)
	v_mul_hi_u32 v46, s8, v41
	v_mul_lo_u32 v50, s11, v41
	v_mul_lo_u32 v48, s8, v42
	s_delay_alu instid0(VALU_DEP_1) | instskip(SKIP_1) | instid1(VALU_DEP_2)
	v_add_nc_u32_e32 v46, v46, v48
	v_mul_lo_u32 v48, s8, v41
	v_add_nc_u32_e32 v46, v46, v50
	s_delay_alu instid0(VALU_DEP_2) | instskip(NEXT) | instid1(VALU_DEP_2)
	v_mul_hi_u32 v50, v41, v48
	v_mul_lo_u32 v52, v41, v46
	v_mul_hi_u32 v54, v41, v46
	v_mul_hi_u32 v60, v42, v48
	v_mul_lo_u32 v48, v42, v48
	v_mul_hi_u32 v64, v42, v46
	v_mul_lo_u32 v46, v42, v46
	v_add_co_u32 v50, vcc_lo, v50, v52
	v_add_co_ci_u32_e32 v52, vcc_lo, 0, v54, vcc_lo
	s_delay_alu instid0(VALU_DEP_2) | instskip(NEXT) | instid1(VALU_DEP_2)
	v_add_co_u32 v48, vcc_lo, v50, v48
	v_add_co_ci_u32_e32 v48, vcc_lo, v52, v60, vcc_lo
	v_add_co_ci_u32_e32 v50, vcc_lo, 0, v64, vcc_lo
	v_add_co_u32 v52, vcc_lo, v43, v56
	v_add_co_ci_u32_e32 v54, vcc_lo, v44, v56, vcc_lo
	s_delay_alu instid0(VALU_DEP_4) | instskip(NEXT) | instid1(VALU_DEP_4)
	v_add_co_u32 v46, vcc_lo, v48, v46
	v_add_co_ci_u32_e32 v48, vcc_lo, 0, v50, vcc_lo
	s_delay_alu instid0(VALU_DEP_4) | instskip(NEXT) | instid1(VALU_DEP_3)
	v_xor_b32_e32 v50, v52, v56
	v_add_co_u32 v46, vcc_lo, v41, v46
	s_delay_alu instid0(VALU_DEP_3) | instskip(SKIP_1) | instid1(VALU_DEP_3)
	v_add_co_ci_u32_e32 v48, vcc_lo, v42, v48, vcc_lo
	v_xor_b32_e32 v52, v54, v56
	v_mul_hi_u32 v54, v50, v46
	s_delay_alu instid0(VALU_DEP_3) | instskip(NEXT) | instid1(VALU_DEP_3)
	v_mad_u64_u32 v[41:42], null, v50, v48, 0
	v_mad_u64_u32 v[64:65], null, v52, v46, 0
	;; [unrolled: 1-line block ×3, first 2 shown]
	s_delay_alu instid0(VALU_DEP_3) | instskip(NEXT) | instid1(VALU_DEP_4)
	v_add_co_u32 v41, vcc_lo, v54, v41
	v_add_co_ci_u32_e32 v42, vcc_lo, 0, v42, vcc_lo
	s_delay_alu instid0(VALU_DEP_2) | instskip(NEXT) | instid1(VALU_DEP_2)
	v_add_co_u32 v41, vcc_lo, v41, v64
	v_add_co_ci_u32_e32 v41, vcc_lo, v42, v65, vcc_lo
	v_add_co_ci_u32_e32 v42, vcc_lo, 0, v67, vcc_lo
	s_delay_alu instid0(VALU_DEP_2) | instskip(NEXT) | instid1(VALU_DEP_2)
	v_add_co_u32 v46, vcc_lo, v41, v66
	v_add_co_ci_u32_e32 v48, vcc_lo, 0, v42, vcc_lo
	s_delay_alu instid0(VALU_DEP_2) | instskip(SKIP_1) | instid1(VALU_DEP_3)
	v_mul_lo_u32 v54, s13, v46
	v_mad_u64_u32 v[41:42], null, s12, v46, 0
	v_mul_lo_u32 v60, s12, v48
	s_delay_alu instid0(VALU_DEP_2) | instskip(NEXT) | instid1(VALU_DEP_2)
	v_sub_co_u32 v41, vcc_lo, v50, v41
	v_add3_u32 v42, v42, v60, v54
	s_delay_alu instid0(VALU_DEP_1) | instskip(NEXT) | instid1(VALU_DEP_1)
	v_sub_nc_u32_e32 v54, v52, v42
	v_subrev_co_ci_u32_e64 v50, s8, s13, v54, vcc_lo
	v_add_co_u32 v54, s8, v46, 2
	s_delay_alu instid0(VALU_DEP_1) | instskip(SKIP_3) | instid1(VALU_DEP_3)
	v_add_co_ci_u32_e64 v60, s8, 0, v48, s8
	v_sub_co_u32 v64, s8, v41, s12
	v_sub_co_ci_u32_e32 v42, vcc_lo, v52, v42, vcc_lo
	v_subrev_co_ci_u32_e64 v50, s8, 0, v50, s8
	v_cmp_le_u32_e32 vcc_lo, s12, v64
	s_delay_alu instid0(VALU_DEP_3) | instskip(SKIP_1) | instid1(VALU_DEP_4)
	v_cmp_eq_u32_e64 s8, s13, v42
	v_cndmask_b32_e64 v52, 0, -1, vcc_lo
	v_cmp_le_u32_e32 vcc_lo, s13, v50
	v_cndmask_b32_e64 v64, 0, -1, vcc_lo
	v_cmp_le_u32_e32 vcc_lo, s12, v41
	;; [unrolled: 2-line block ×3, first 2 shown]
	v_cndmask_b32_e64 v65, 0, -1, vcc_lo
	v_cmp_eq_u32_e32 vcc_lo, s13, v50
	s_delay_alu instid0(VALU_DEP_2) | instskip(SKIP_3) | instid1(VALU_DEP_3)
	v_cndmask_b32_e64 v41, v65, v41, s8
	v_cndmask_b32_e32 v50, v64, v52, vcc_lo
	v_add_co_u32 v52, vcc_lo, v46, 1
	v_add_co_ci_u32_e32 v64, vcc_lo, 0, v48, vcc_lo
	v_cmp_ne_u32_e32 vcc_lo, 0, v50
	s_delay_alu instid0(VALU_DEP_2) | instskip(NEXT) | instid1(VALU_DEP_4)
	v_cndmask_b32_e32 v42, v64, v60, vcc_lo
	v_cndmask_b32_e32 v50, v52, v54, vcc_lo
	v_cmp_ne_u32_e32 vcc_lo, 0, v41
	v_xor_b32_e32 v52, s10, v56
	s_delay_alu instid0(VALU_DEP_4) | instskip(NEXT) | instid1(VALU_DEP_4)
	v_cndmask_b32_e32 v41, v48, v42, vcc_lo
	v_cndmask_b32_e32 v42, v46, v50, vcc_lo
	s_delay_alu instid0(VALU_DEP_2) | instskip(NEXT) | instid1(VALU_DEP_2)
	v_xor_b32_e32 v46, v41, v52
	v_xor_b32_e32 v42, v42, v52
	s_delay_alu instid0(VALU_DEP_1) | instskip(NEXT) | instid1(VALU_DEP_3)
	v_sub_co_u32 v41, vcc_lo, v42, v52
	v_sub_co_ci_u32_e32 v42, vcc_lo, v46, v52, vcc_lo
.LBB1159_260:
	s_and_not1_saveexec_b32 s8, s14
	s_cbranch_execz .LBB1159_262
; %bb.261:
	v_cvt_f32_u32_e32 v41, s44
	s_sub_i32 s10, 0, s44
	s_delay_alu instid0(VALU_DEP_1) | instskip(SKIP_2) | instid1(VALU_DEP_1)
	v_rcp_iflag_f32_e32 v41, v41
	s_waitcnt_depctr 0xfff
	v_mul_f32_e32 v41, 0x4f7ffffe, v41
	v_cvt_u32_f32_e32 v41, v41
	s_delay_alu instid0(VALU_DEP_1) | instskip(NEXT) | instid1(VALU_DEP_1)
	v_mul_lo_u32 v42, s10, v41
	v_mul_hi_u32 v42, v41, v42
	s_delay_alu instid0(VALU_DEP_1) | instskip(NEXT) | instid1(VALU_DEP_1)
	v_add_nc_u32_e32 v41, v41, v42
	v_mul_hi_u32 v41, v43, v41
	s_delay_alu instid0(VALU_DEP_1) | instskip(SKIP_1) | instid1(VALU_DEP_2)
	v_mul_lo_u32 v42, v41, s44
	v_add_nc_u32_e32 v46, 1, v41
	v_sub_nc_u32_e32 v42, v43, v42
	s_delay_alu instid0(VALU_DEP_1) | instskip(SKIP_1) | instid1(VALU_DEP_2)
	v_subrev_nc_u32_e32 v48, s44, v42
	v_cmp_le_u32_e32 vcc_lo, s44, v42
	v_dual_cndmask_b32 v42, v42, v48 :: v_dual_cndmask_b32 v41, v41, v46
	s_delay_alu instid0(VALU_DEP_1) | instskip(SKIP_1) | instid1(VALU_DEP_3)
	v_cmp_le_u32_e32 vcc_lo, s44, v42
	v_mov_b32_e32 v42, 0
	v_add_nc_u32_e32 v46, 1, v41
	s_delay_alu instid0(VALU_DEP_1)
	v_cndmask_b32_e32 v41, v41, v46, vcc_lo
.LBB1159_262:
	s_or_b32 exec_lo, exec_lo, s8
	s_delay_alu instid0(VALU_DEP_1) | instskip(NEXT) | instid1(VALU_DEP_2)
	v_mul_lo_u32 v46, v42, s44
	v_mul_lo_u32 v48, v41, s45
	v_mad_u64_u32 v[64:65], null, v41, s44, 0
	s_delay_alu instid0(VALU_DEP_1) | instskip(NEXT) | instid1(VALU_DEP_2)
	v_add3_u32 v46, v65, v48, v46
	v_sub_co_u32 v43, vcc_lo, v43, v64
	s_delay_alu instid0(VALU_DEP_2) | instskip(NEXT) | instid1(VALU_DEP_2)
	v_sub_co_ci_u32_e32 v44, vcc_lo, v44, v46, vcc_lo
	v_add_co_u32 v41, vcc_lo, v41, v43
	s_delay_alu instid0(VALU_DEP_2)
	v_add_co_ci_u32_e32 v42, vcc_lo, v42, v44, vcc_lo
	s_or_b32 exec_lo, exec_lo, s9
                                        ; implicit-def: $vgpr43_vgpr44
	s_and_saveexec_b32 s12, s7
	s_cbranch_execz .LBB1159_221
.LBB1159_263:
	v_add_co_u32 v45, s7, s30, v45
	s_delay_alu instid0(VALU_DEP_1) | instskip(SKIP_1) | instid1(VALU_DEP_2)
	v_add_co_ci_u32_e64 v46, null, s31, 0, s7
	v_mov_b32_e32 v43, 0
	v_or_b32_e32 v44, s45, v46
	s_delay_alu instid0(VALU_DEP_1) | instskip(SKIP_1) | instid1(SALU_CYCLE_1)
	v_cmp_ne_u64_e32 vcc_lo, 0, v[43:44]
                                        ; implicit-def: $vgpr43_vgpr44
	s_and_saveexec_b32 s7, vcc_lo
	s_xor_b32 s13, exec_lo, s7
	s_cbranch_execz .LBB1159_265
; %bb.264:
	s_ashr_i32 s8, s45, 31
	s_delay_alu instid0(SALU_CYCLE_1) | instskip(SKIP_2) | instid1(SALU_CYCLE_1)
	s_add_u32 s10, s44, s8
	s_mov_b32 s9, s8
	s_addc_u32 s11, s45, s8
	s_xor_b64 s[10:11], s[10:11], s[8:9]
	s_delay_alu instid0(SALU_CYCLE_1) | instskip(SKIP_3) | instid1(VALU_DEP_1)
	v_cvt_f32_u32_e32 v43, s10
	v_cvt_f32_u32_e32 v44, s11
	s_sub_u32 s7, 0, s10
	s_subb_u32 s9, 0, s11
	v_fmamk_f32 v43, v44, 0x4f800000, v43
	s_delay_alu instid0(VALU_DEP_1) | instskip(SKIP_2) | instid1(VALU_DEP_1)
	v_rcp_f32_e32 v43, v43
	s_waitcnt_depctr 0xfff
	v_mul_f32_e32 v43, 0x5f7ffffc, v43
	v_mul_f32_e32 v44, 0x2f800000, v43
	s_delay_alu instid0(VALU_DEP_1) | instskip(NEXT) | instid1(VALU_DEP_1)
	v_trunc_f32_e32 v44, v44
	v_fmamk_f32 v43, v44, 0xcf800000, v43
	v_cvt_u32_f32_e32 v44, v44
	s_delay_alu instid0(VALU_DEP_2) | instskip(NEXT) | instid1(VALU_DEP_2)
	v_cvt_u32_f32_e32 v43, v43
	v_mul_lo_u32 v48, s7, v44
	s_delay_alu instid0(VALU_DEP_2) | instskip(SKIP_1) | instid1(VALU_DEP_2)
	v_mul_hi_u32 v50, s7, v43
	v_mul_lo_u32 v52, s9, v43
	v_add_nc_u32_e32 v48, v50, v48
	v_mul_lo_u32 v50, s7, v43
	s_delay_alu instid0(VALU_DEP_2) | instskip(NEXT) | instid1(VALU_DEP_2)
	v_add_nc_u32_e32 v48, v48, v52
	v_mul_hi_u32 v52, v43, v50
	s_delay_alu instid0(VALU_DEP_2)
	v_mul_lo_u32 v54, v43, v48
	v_mul_hi_u32 v56, v43, v48
	v_mul_hi_u32 v60, v44, v50
	v_mul_lo_u32 v50, v44, v50
	v_mul_hi_u32 v64, v44, v48
	v_mul_lo_u32 v48, v44, v48
	v_add_co_u32 v52, vcc_lo, v52, v54
	v_add_co_ci_u32_e32 v54, vcc_lo, 0, v56, vcc_lo
	s_delay_alu instid0(VALU_DEP_2) | instskip(NEXT) | instid1(VALU_DEP_2)
	v_add_co_u32 v50, vcc_lo, v52, v50
	v_add_co_ci_u32_e32 v50, vcc_lo, v54, v60, vcc_lo
	v_add_co_ci_u32_e32 v52, vcc_lo, 0, v64, vcc_lo
	v_ashrrev_i32_e32 v60, 31, v46
	s_delay_alu instid0(VALU_DEP_3) | instskip(NEXT) | instid1(VALU_DEP_3)
	v_add_co_u32 v48, vcc_lo, v50, v48
	v_add_co_ci_u32_e32 v50, vcc_lo, 0, v52, vcc_lo
	s_delay_alu instid0(VALU_DEP_2) | instskip(NEXT) | instid1(VALU_DEP_2)
	v_add_co_u32 v43, vcc_lo, v43, v48
	v_add_co_ci_u32_e32 v44, vcc_lo, v44, v50, vcc_lo
	s_delay_alu instid0(VALU_DEP_2) | instskip(SKIP_1) | instid1(VALU_DEP_3)
	v_mul_hi_u32 v48, s7, v43
	v_mul_lo_u32 v52, s9, v43
	v_mul_lo_u32 v50, s7, v44
	s_delay_alu instid0(VALU_DEP_1) | instskip(SKIP_1) | instid1(VALU_DEP_2)
	v_add_nc_u32_e32 v48, v48, v50
	v_mul_lo_u32 v50, s7, v43
	v_add_nc_u32_e32 v48, v48, v52
	s_delay_alu instid0(VALU_DEP_2) | instskip(NEXT) | instid1(VALU_DEP_2)
	v_mul_hi_u32 v52, v43, v50
	v_mul_lo_u32 v54, v43, v48
	v_mul_hi_u32 v56, v43, v48
	v_mul_hi_u32 v64, v44, v50
	v_mul_lo_u32 v50, v44, v50
	v_mul_hi_u32 v65, v44, v48
	v_mul_lo_u32 v48, v44, v48
	v_add_co_u32 v52, vcc_lo, v52, v54
	v_add_co_ci_u32_e32 v54, vcc_lo, 0, v56, vcc_lo
	s_delay_alu instid0(VALU_DEP_2) | instskip(NEXT) | instid1(VALU_DEP_2)
	v_add_co_u32 v50, vcc_lo, v52, v50
	v_add_co_ci_u32_e32 v50, vcc_lo, v54, v64, vcc_lo
	v_add_co_ci_u32_e32 v52, vcc_lo, 0, v65, vcc_lo
	v_add_co_u32 v54, vcc_lo, v45, v60
	v_add_co_ci_u32_e32 v56, vcc_lo, v46, v60, vcc_lo
	s_delay_alu instid0(VALU_DEP_4) | instskip(NEXT) | instid1(VALU_DEP_4)
	v_add_co_u32 v48, vcc_lo, v50, v48
	v_add_co_ci_u32_e32 v50, vcc_lo, 0, v52, vcc_lo
	s_delay_alu instid0(VALU_DEP_4) | instskip(NEXT) | instid1(VALU_DEP_3)
	v_xor_b32_e32 v52, v54, v60
	v_add_co_u32 v48, vcc_lo, v43, v48
	s_delay_alu instid0(VALU_DEP_3) | instskip(SKIP_1) | instid1(VALU_DEP_3)
	v_add_co_ci_u32_e32 v50, vcc_lo, v44, v50, vcc_lo
	v_xor_b32_e32 v54, v56, v60
	v_mul_hi_u32 v56, v52, v48
	s_delay_alu instid0(VALU_DEP_3) | instskip(NEXT) | instid1(VALU_DEP_3)
	v_mad_u64_u32 v[43:44], null, v52, v50, 0
	v_mad_u64_u32 v[64:65], null, v54, v48, 0
	;; [unrolled: 1-line block ×3, first 2 shown]
	s_delay_alu instid0(VALU_DEP_3) | instskip(NEXT) | instid1(VALU_DEP_4)
	v_add_co_u32 v43, vcc_lo, v56, v43
	v_add_co_ci_u32_e32 v44, vcc_lo, 0, v44, vcc_lo
	s_delay_alu instid0(VALU_DEP_2) | instskip(NEXT) | instid1(VALU_DEP_2)
	v_add_co_u32 v43, vcc_lo, v43, v64
	v_add_co_ci_u32_e32 v43, vcc_lo, v44, v65, vcc_lo
	v_add_co_ci_u32_e32 v44, vcc_lo, 0, v67, vcc_lo
	s_delay_alu instid0(VALU_DEP_2) | instskip(NEXT) | instid1(VALU_DEP_2)
	v_add_co_u32 v48, vcc_lo, v43, v66
	v_add_co_ci_u32_e32 v50, vcc_lo, 0, v44, vcc_lo
	s_delay_alu instid0(VALU_DEP_2) | instskip(SKIP_1) | instid1(VALU_DEP_3)
	v_mul_lo_u32 v56, s11, v48
	v_mad_u64_u32 v[43:44], null, s10, v48, 0
	v_mul_lo_u32 v64, s10, v50
	s_delay_alu instid0(VALU_DEP_2) | instskip(NEXT) | instid1(VALU_DEP_2)
	v_sub_co_u32 v43, vcc_lo, v52, v43
	v_add3_u32 v44, v44, v64, v56
	s_delay_alu instid0(VALU_DEP_1) | instskip(NEXT) | instid1(VALU_DEP_1)
	v_sub_nc_u32_e32 v56, v54, v44
	v_subrev_co_ci_u32_e64 v52, s7, s11, v56, vcc_lo
	v_add_co_u32 v56, s7, v48, 2
	s_delay_alu instid0(VALU_DEP_1) | instskip(SKIP_3) | instid1(VALU_DEP_3)
	v_add_co_ci_u32_e64 v64, s7, 0, v50, s7
	v_sub_co_u32 v65, s7, v43, s10
	v_sub_co_ci_u32_e32 v44, vcc_lo, v54, v44, vcc_lo
	v_subrev_co_ci_u32_e64 v52, s7, 0, v52, s7
	v_cmp_le_u32_e32 vcc_lo, s10, v65
	s_delay_alu instid0(VALU_DEP_3) | instskip(SKIP_1) | instid1(VALU_DEP_4)
	v_cmp_eq_u32_e64 s7, s11, v44
	v_cndmask_b32_e64 v54, 0, -1, vcc_lo
	v_cmp_le_u32_e32 vcc_lo, s11, v52
	v_cndmask_b32_e64 v65, 0, -1, vcc_lo
	v_cmp_le_u32_e32 vcc_lo, s10, v43
	;; [unrolled: 2-line block ×3, first 2 shown]
	v_cndmask_b32_e64 v66, 0, -1, vcc_lo
	v_cmp_eq_u32_e32 vcc_lo, s11, v52
	s_delay_alu instid0(VALU_DEP_2) | instskip(SKIP_3) | instid1(VALU_DEP_3)
	v_cndmask_b32_e64 v43, v66, v43, s7
	v_cndmask_b32_e32 v52, v65, v54, vcc_lo
	v_add_co_u32 v54, vcc_lo, v48, 1
	v_add_co_ci_u32_e32 v65, vcc_lo, 0, v50, vcc_lo
	v_cmp_ne_u32_e32 vcc_lo, 0, v52
	s_delay_alu instid0(VALU_DEP_2) | instskip(NEXT) | instid1(VALU_DEP_4)
	v_cndmask_b32_e32 v44, v65, v64, vcc_lo
	v_cndmask_b32_e32 v52, v54, v56, vcc_lo
	v_cmp_ne_u32_e32 vcc_lo, 0, v43
	v_xor_b32_e32 v54, s8, v60
	s_delay_alu instid0(VALU_DEP_4) | instskip(NEXT) | instid1(VALU_DEP_4)
	v_cndmask_b32_e32 v43, v50, v44, vcc_lo
	v_cndmask_b32_e32 v44, v48, v52, vcc_lo
	s_delay_alu instid0(VALU_DEP_2) | instskip(NEXT) | instid1(VALU_DEP_2)
	v_xor_b32_e32 v48, v43, v54
	v_xor_b32_e32 v44, v44, v54
	s_delay_alu instid0(VALU_DEP_1) | instskip(NEXT) | instid1(VALU_DEP_3)
	v_sub_co_u32 v43, vcc_lo, v44, v54
	v_sub_co_ci_u32_e32 v44, vcc_lo, v48, v54, vcc_lo
.LBB1159_265:
	s_and_not1_saveexec_b32 s7, s13
	s_cbranch_execz .LBB1159_267
; %bb.266:
	v_cvt_f32_u32_e32 v43, s44
	s_sub_i32 s8, 0, s44
	s_delay_alu instid0(VALU_DEP_1) | instskip(SKIP_2) | instid1(VALU_DEP_1)
	v_rcp_iflag_f32_e32 v43, v43
	s_waitcnt_depctr 0xfff
	v_mul_f32_e32 v43, 0x4f7ffffe, v43
	v_cvt_u32_f32_e32 v43, v43
	s_delay_alu instid0(VALU_DEP_1) | instskip(NEXT) | instid1(VALU_DEP_1)
	v_mul_lo_u32 v44, s8, v43
	v_mul_hi_u32 v44, v43, v44
	s_delay_alu instid0(VALU_DEP_1) | instskip(NEXT) | instid1(VALU_DEP_1)
	v_add_nc_u32_e32 v43, v43, v44
	v_mul_hi_u32 v43, v45, v43
	s_delay_alu instid0(VALU_DEP_1) | instskip(SKIP_1) | instid1(VALU_DEP_2)
	v_mul_lo_u32 v44, v43, s44
	v_add_nc_u32_e32 v48, 1, v43
	v_sub_nc_u32_e32 v44, v45, v44
	s_delay_alu instid0(VALU_DEP_1) | instskip(SKIP_1) | instid1(VALU_DEP_2)
	v_subrev_nc_u32_e32 v50, s44, v44
	v_cmp_le_u32_e32 vcc_lo, s44, v44
	v_dual_cndmask_b32 v44, v44, v50 :: v_dual_cndmask_b32 v43, v43, v48
	s_delay_alu instid0(VALU_DEP_1) | instskip(SKIP_1) | instid1(VALU_DEP_3)
	v_cmp_le_u32_e32 vcc_lo, s44, v44
	v_mov_b32_e32 v44, 0
	v_add_nc_u32_e32 v48, 1, v43
	s_delay_alu instid0(VALU_DEP_1)
	v_cndmask_b32_e32 v43, v43, v48, vcc_lo
.LBB1159_267:
	s_or_b32 exec_lo, exec_lo, s7
	s_delay_alu instid0(VALU_DEP_1) | instskip(NEXT) | instid1(VALU_DEP_2)
	v_mul_lo_u32 v48, v44, s44
	v_mul_lo_u32 v50, v43, s45
	v_mad_u64_u32 v[64:65], null, v43, s44, 0
	s_delay_alu instid0(VALU_DEP_1) | instskip(NEXT) | instid1(VALU_DEP_2)
	v_add3_u32 v48, v65, v50, v48
	v_sub_co_u32 v45, vcc_lo, v45, v64
	s_delay_alu instid0(VALU_DEP_2) | instskip(NEXT) | instid1(VALU_DEP_2)
	v_sub_co_ci_u32_e32 v46, vcc_lo, v46, v48, vcc_lo
	v_add_co_u32 v43, vcc_lo, v43, v45
	s_delay_alu instid0(VALU_DEP_2)
	v_add_co_ci_u32_e32 v44, vcc_lo, v44, v46, vcc_lo
	s_or_b32 exec_lo, exec_lo, s12
                                        ; implicit-def: $vgpr45_vgpr46
	s_and_saveexec_b32 s7, s6
	s_cbranch_execz .LBB1159_222
.LBB1159_268:
	v_add_co_u32 v47, s6, s30, v47
	s_delay_alu instid0(VALU_DEP_1) | instskip(SKIP_1) | instid1(VALU_DEP_2)
	v_add_co_ci_u32_e64 v48, null, s31, 0, s6
	v_mov_b32_e32 v45, 0
	v_or_b32_e32 v46, s45, v48
	s_delay_alu instid0(VALU_DEP_1) | instskip(SKIP_1) | instid1(SALU_CYCLE_1)
	v_cmp_ne_u64_e32 vcc_lo, 0, v[45:46]
                                        ; implicit-def: $vgpr45_vgpr46
	s_and_saveexec_b32 s6, vcc_lo
	s_xor_b32 s12, exec_lo, s6
	s_cbranch_execz .LBB1159_270
; %bb.269:
	s_ashr_i32 s8, s45, 31
	v_ashrrev_i32_e32 v68, 31, v48
	s_add_u32 s10, s44, s8
	s_mov_b32 s9, s8
	s_addc_u32 s11, s45, s8
	s_delay_alu instid0(SALU_CYCLE_1) | instskip(NEXT) | instid1(SALU_CYCLE_1)
	s_xor_b64 s[10:11], s[10:11], s[8:9]
	v_cvt_f32_u32_e32 v45, s10
	v_cvt_f32_u32_e32 v46, s11
	s_sub_u32 s6, 0, s10
	s_subb_u32 s9, 0, s11
	s_delay_alu instid0(VALU_DEP_1) | instskip(NEXT) | instid1(VALU_DEP_1)
	v_fmamk_f32 v45, v46, 0x4f800000, v45
	v_rcp_f32_e32 v45, v45
	s_waitcnt_depctr 0xfff
	v_mul_f32_e32 v45, 0x5f7ffffc, v45
	s_delay_alu instid0(VALU_DEP_1) | instskip(NEXT) | instid1(VALU_DEP_1)
	v_mul_f32_e32 v46, 0x2f800000, v45
	v_trunc_f32_e32 v46, v46
	s_delay_alu instid0(VALU_DEP_1) | instskip(SKIP_1) | instid1(VALU_DEP_2)
	v_fmamk_f32 v45, v46, 0xcf800000, v45
	v_cvt_u32_f32_e32 v46, v46
	v_cvt_u32_f32_e32 v45, v45
	s_delay_alu instid0(VALU_DEP_2) | instskip(NEXT) | instid1(VALU_DEP_2)
	v_mul_lo_u32 v50, s6, v46
	v_mul_hi_u32 v52, s6, v45
	v_mul_lo_u32 v54, s9, v45
	s_delay_alu instid0(VALU_DEP_2) | instskip(SKIP_1) | instid1(VALU_DEP_2)
	v_add_nc_u32_e32 v50, v52, v50
	v_mul_lo_u32 v52, s6, v45
	v_add_nc_u32_e32 v50, v50, v54
	s_delay_alu instid0(VALU_DEP_2) | instskip(NEXT) | instid1(VALU_DEP_2)
	v_mul_hi_u32 v54, v45, v52
	v_mul_lo_u32 v56, v45, v50
	v_mul_hi_u32 v60, v45, v50
	v_mul_hi_u32 v64, v46, v52
	v_mul_lo_u32 v52, v46, v52
	v_mul_hi_u32 v65, v46, v50
	v_mul_lo_u32 v50, v46, v50
	v_add_co_u32 v54, vcc_lo, v54, v56
	v_add_co_ci_u32_e32 v56, vcc_lo, 0, v60, vcc_lo
	s_delay_alu instid0(VALU_DEP_2) | instskip(NEXT) | instid1(VALU_DEP_2)
	v_add_co_u32 v52, vcc_lo, v54, v52
	v_add_co_ci_u32_e32 v52, vcc_lo, v56, v64, vcc_lo
	v_add_co_ci_u32_e32 v54, vcc_lo, 0, v65, vcc_lo
	s_delay_alu instid0(VALU_DEP_2) | instskip(NEXT) | instid1(VALU_DEP_2)
	v_add_co_u32 v50, vcc_lo, v52, v50
	v_add_co_ci_u32_e32 v52, vcc_lo, 0, v54, vcc_lo
	s_delay_alu instid0(VALU_DEP_2) | instskip(NEXT) | instid1(VALU_DEP_2)
	v_add_co_u32 v45, vcc_lo, v45, v50
	v_add_co_ci_u32_e32 v46, vcc_lo, v46, v52, vcc_lo
	s_delay_alu instid0(VALU_DEP_2) | instskip(SKIP_1) | instid1(VALU_DEP_3)
	v_mul_hi_u32 v50, s6, v45
	v_mul_lo_u32 v54, s9, v45
	v_mul_lo_u32 v52, s6, v46
	s_delay_alu instid0(VALU_DEP_1) | instskip(SKIP_1) | instid1(VALU_DEP_2)
	v_add_nc_u32_e32 v50, v50, v52
	v_mul_lo_u32 v52, s6, v45
	v_add_nc_u32_e32 v50, v50, v54
	s_delay_alu instid0(VALU_DEP_2) | instskip(NEXT) | instid1(VALU_DEP_2)
	v_mul_hi_u32 v54, v45, v52
	v_mul_lo_u32 v56, v45, v50
	v_mul_hi_u32 v60, v45, v50
	v_mul_hi_u32 v64, v46, v52
	v_mul_lo_u32 v52, v46, v52
	v_mul_hi_u32 v65, v46, v50
	v_mul_lo_u32 v50, v46, v50
	v_add_co_u32 v54, vcc_lo, v54, v56
	v_add_co_ci_u32_e32 v56, vcc_lo, 0, v60, vcc_lo
	s_delay_alu instid0(VALU_DEP_2) | instskip(NEXT) | instid1(VALU_DEP_2)
	v_add_co_u32 v52, vcc_lo, v54, v52
	v_add_co_ci_u32_e32 v52, vcc_lo, v56, v64, vcc_lo
	v_add_co_ci_u32_e32 v54, vcc_lo, 0, v65, vcc_lo
	v_add_co_u32 v56, vcc_lo, v47, v68
	v_add_co_ci_u32_e32 v60, vcc_lo, v48, v68, vcc_lo
	s_delay_alu instid0(VALU_DEP_4) | instskip(NEXT) | instid1(VALU_DEP_4)
	v_add_co_u32 v50, vcc_lo, v52, v50
	v_add_co_ci_u32_e32 v52, vcc_lo, 0, v54, vcc_lo
	s_delay_alu instid0(VALU_DEP_4) | instskip(NEXT) | instid1(VALU_DEP_3)
	v_xor_b32_e32 v54, v56, v68
	v_add_co_u32 v50, vcc_lo, v45, v50
	s_delay_alu instid0(VALU_DEP_3) | instskip(SKIP_1) | instid1(VALU_DEP_3)
	v_add_co_ci_u32_e32 v52, vcc_lo, v46, v52, vcc_lo
	v_xor_b32_e32 v56, v60, v68
	v_mul_hi_u32 v60, v54, v50
	s_delay_alu instid0(VALU_DEP_3) | instskip(NEXT) | instid1(VALU_DEP_3)
	v_mad_u64_u32 v[45:46], null, v54, v52, 0
	v_mad_u64_u32 v[64:65], null, v56, v50, 0
	;; [unrolled: 1-line block ×3, first 2 shown]
	s_delay_alu instid0(VALU_DEP_3) | instskip(NEXT) | instid1(VALU_DEP_4)
	v_add_co_u32 v45, vcc_lo, v60, v45
	v_add_co_ci_u32_e32 v46, vcc_lo, 0, v46, vcc_lo
	s_delay_alu instid0(VALU_DEP_2) | instskip(NEXT) | instid1(VALU_DEP_2)
	v_add_co_u32 v45, vcc_lo, v45, v64
	v_add_co_ci_u32_e32 v45, vcc_lo, v46, v65, vcc_lo
	v_add_co_ci_u32_e32 v46, vcc_lo, 0, v67, vcc_lo
	s_delay_alu instid0(VALU_DEP_2) | instskip(NEXT) | instid1(VALU_DEP_2)
	v_add_co_u32 v50, vcc_lo, v45, v66
	v_add_co_ci_u32_e32 v52, vcc_lo, 0, v46, vcc_lo
	s_delay_alu instid0(VALU_DEP_2) | instskip(SKIP_1) | instid1(VALU_DEP_3)
	v_mul_lo_u32 v60, s11, v50
	v_mad_u64_u32 v[45:46], null, s10, v50, 0
	v_mul_lo_u32 v64, s10, v52
	s_delay_alu instid0(VALU_DEP_2) | instskip(NEXT) | instid1(VALU_DEP_2)
	v_sub_co_u32 v45, vcc_lo, v54, v45
	v_add3_u32 v46, v46, v64, v60
	s_delay_alu instid0(VALU_DEP_1) | instskip(NEXT) | instid1(VALU_DEP_1)
	v_sub_nc_u32_e32 v60, v56, v46
	v_subrev_co_ci_u32_e64 v54, s6, s11, v60, vcc_lo
	v_add_co_u32 v60, s6, v50, 2
	s_delay_alu instid0(VALU_DEP_1) | instskip(SKIP_3) | instid1(VALU_DEP_3)
	v_add_co_ci_u32_e64 v64, s6, 0, v52, s6
	v_sub_co_u32 v65, s6, v45, s10
	v_sub_co_ci_u32_e32 v46, vcc_lo, v56, v46, vcc_lo
	v_subrev_co_ci_u32_e64 v54, s6, 0, v54, s6
	v_cmp_le_u32_e32 vcc_lo, s10, v65
	s_delay_alu instid0(VALU_DEP_3) | instskip(SKIP_1) | instid1(VALU_DEP_4)
	v_cmp_eq_u32_e64 s6, s11, v46
	v_cndmask_b32_e64 v56, 0, -1, vcc_lo
	v_cmp_le_u32_e32 vcc_lo, s11, v54
	v_cndmask_b32_e64 v65, 0, -1, vcc_lo
	v_cmp_le_u32_e32 vcc_lo, s10, v45
	;; [unrolled: 2-line block ×3, first 2 shown]
	v_cndmask_b32_e64 v66, 0, -1, vcc_lo
	v_cmp_eq_u32_e32 vcc_lo, s11, v54
	s_delay_alu instid0(VALU_DEP_2) | instskip(SKIP_3) | instid1(VALU_DEP_3)
	v_cndmask_b32_e64 v45, v66, v45, s6
	v_cndmask_b32_e32 v54, v65, v56, vcc_lo
	v_add_co_u32 v56, vcc_lo, v50, 1
	v_add_co_ci_u32_e32 v65, vcc_lo, 0, v52, vcc_lo
	v_cmp_ne_u32_e32 vcc_lo, 0, v54
	s_delay_alu instid0(VALU_DEP_2) | instskip(NEXT) | instid1(VALU_DEP_4)
	v_cndmask_b32_e32 v46, v65, v64, vcc_lo
	v_cndmask_b32_e32 v54, v56, v60, vcc_lo
	v_cmp_ne_u32_e32 vcc_lo, 0, v45
	v_xor_b32_e32 v56, s8, v68
	s_delay_alu instid0(VALU_DEP_4) | instskip(NEXT) | instid1(VALU_DEP_4)
	v_cndmask_b32_e32 v45, v52, v46, vcc_lo
	v_cndmask_b32_e32 v46, v50, v54, vcc_lo
	s_delay_alu instid0(VALU_DEP_2) | instskip(NEXT) | instid1(VALU_DEP_2)
	v_xor_b32_e32 v50, v45, v56
	v_xor_b32_e32 v46, v46, v56
	s_delay_alu instid0(VALU_DEP_1) | instskip(NEXT) | instid1(VALU_DEP_3)
	v_sub_co_u32 v45, vcc_lo, v46, v56
	v_sub_co_ci_u32_e32 v46, vcc_lo, v50, v56, vcc_lo
.LBB1159_270:
	s_and_not1_saveexec_b32 s6, s12
	s_cbranch_execz .LBB1159_272
; %bb.271:
	v_cvt_f32_u32_e32 v45, s44
	s_sub_i32 s8, 0, s44
	s_delay_alu instid0(VALU_DEP_1) | instskip(SKIP_2) | instid1(VALU_DEP_1)
	v_rcp_iflag_f32_e32 v45, v45
	s_waitcnt_depctr 0xfff
	v_mul_f32_e32 v45, 0x4f7ffffe, v45
	v_cvt_u32_f32_e32 v45, v45
	s_delay_alu instid0(VALU_DEP_1) | instskip(NEXT) | instid1(VALU_DEP_1)
	v_mul_lo_u32 v46, s8, v45
	v_mul_hi_u32 v46, v45, v46
	s_delay_alu instid0(VALU_DEP_1) | instskip(NEXT) | instid1(VALU_DEP_1)
	v_add_nc_u32_e32 v45, v45, v46
	v_mul_hi_u32 v45, v47, v45
	s_delay_alu instid0(VALU_DEP_1) | instskip(SKIP_1) | instid1(VALU_DEP_2)
	v_mul_lo_u32 v46, v45, s44
	v_add_nc_u32_e32 v50, 1, v45
	v_sub_nc_u32_e32 v46, v47, v46
	s_delay_alu instid0(VALU_DEP_1) | instskip(SKIP_1) | instid1(VALU_DEP_2)
	v_subrev_nc_u32_e32 v52, s44, v46
	v_cmp_le_u32_e32 vcc_lo, s44, v46
	v_dual_cndmask_b32 v46, v46, v52 :: v_dual_cndmask_b32 v45, v45, v50
	s_delay_alu instid0(VALU_DEP_1) | instskip(SKIP_1) | instid1(VALU_DEP_3)
	v_cmp_le_u32_e32 vcc_lo, s44, v46
	v_mov_b32_e32 v46, 0
	v_add_nc_u32_e32 v50, 1, v45
	s_delay_alu instid0(VALU_DEP_1)
	v_cndmask_b32_e32 v45, v45, v50, vcc_lo
.LBB1159_272:
	s_or_b32 exec_lo, exec_lo, s6
	s_delay_alu instid0(VALU_DEP_1) | instskip(NEXT) | instid1(VALU_DEP_2)
	v_mul_lo_u32 v50, v46, s44
	v_mul_lo_u32 v52, v45, s45
	v_mad_u64_u32 v[64:65], null, v45, s44, 0
	s_delay_alu instid0(VALU_DEP_1) | instskip(NEXT) | instid1(VALU_DEP_2)
	v_add3_u32 v50, v65, v52, v50
	v_sub_co_u32 v47, vcc_lo, v47, v64
	s_delay_alu instid0(VALU_DEP_2) | instskip(NEXT) | instid1(VALU_DEP_2)
	v_sub_co_ci_u32_e32 v48, vcc_lo, v48, v50, vcc_lo
	v_add_co_u32 v45, vcc_lo, v45, v47
	s_delay_alu instid0(VALU_DEP_2)
	v_add_co_ci_u32_e32 v46, vcc_lo, v46, v48, vcc_lo
	s_or_b32 exec_lo, exec_lo, s7
                                        ; implicit-def: $vgpr47_vgpr48
	s_and_saveexec_b32 s10, s5
	s_cbranch_execz .LBB1159_223
.LBB1159_273:
	v_add_co_u32 v49, s5, s30, v49
	s_delay_alu instid0(VALU_DEP_1) | instskip(SKIP_1) | instid1(VALU_DEP_2)
	v_add_co_ci_u32_e64 v50, null, s31, 0, s5
	v_mov_b32_e32 v47, 0
	v_or_b32_e32 v48, s45, v50
	s_delay_alu instid0(VALU_DEP_1) | instskip(SKIP_1) | instid1(SALU_CYCLE_1)
	v_cmp_ne_u64_e32 vcc_lo, 0, v[47:48]
                                        ; implicit-def: $vgpr47_vgpr48
	s_and_saveexec_b32 s5, vcc_lo
	s_xor_b32 s11, exec_lo, s5
	s_cbranch_execz .LBB1159_275
; %bb.274:
	s_ashr_i32 s6, s45, 31
	v_ashrrev_i32_e32 v68, 31, v50
	s_add_u32 s8, s44, s6
	s_mov_b32 s7, s6
	s_addc_u32 s9, s45, s6
	s_delay_alu instid0(SALU_CYCLE_1) | instskip(NEXT) | instid1(SALU_CYCLE_1)
	s_xor_b64 s[8:9], s[8:9], s[6:7]
	v_cvt_f32_u32_e32 v47, s8
	v_cvt_f32_u32_e32 v48, s9
	s_sub_u32 s5, 0, s8
	s_subb_u32 s7, 0, s9
	s_delay_alu instid0(VALU_DEP_1) | instskip(NEXT) | instid1(VALU_DEP_1)
	v_fmamk_f32 v47, v48, 0x4f800000, v47
	v_rcp_f32_e32 v47, v47
	s_waitcnt_depctr 0xfff
	v_mul_f32_e32 v47, 0x5f7ffffc, v47
	s_delay_alu instid0(VALU_DEP_1) | instskip(NEXT) | instid1(VALU_DEP_1)
	v_mul_f32_e32 v48, 0x2f800000, v47
	v_trunc_f32_e32 v48, v48
	s_delay_alu instid0(VALU_DEP_1) | instskip(SKIP_1) | instid1(VALU_DEP_2)
	v_fmamk_f32 v47, v48, 0xcf800000, v47
	v_cvt_u32_f32_e32 v48, v48
	v_cvt_u32_f32_e32 v47, v47
	s_delay_alu instid0(VALU_DEP_2) | instskip(NEXT) | instid1(VALU_DEP_2)
	v_mul_lo_u32 v52, s5, v48
	v_mul_hi_u32 v54, s5, v47
	v_mul_lo_u32 v56, s7, v47
	s_delay_alu instid0(VALU_DEP_2) | instskip(SKIP_1) | instid1(VALU_DEP_2)
	v_add_nc_u32_e32 v52, v54, v52
	v_mul_lo_u32 v54, s5, v47
	v_add_nc_u32_e32 v52, v52, v56
	s_delay_alu instid0(VALU_DEP_2) | instskip(NEXT) | instid1(VALU_DEP_2)
	v_mul_hi_u32 v56, v47, v54
	v_mul_lo_u32 v60, v47, v52
	v_mul_hi_u32 v64, v47, v52
	v_mul_hi_u32 v65, v48, v54
	v_mul_lo_u32 v54, v48, v54
	v_mul_hi_u32 v66, v48, v52
	v_mul_lo_u32 v52, v48, v52
	v_add_co_u32 v56, vcc_lo, v56, v60
	v_add_co_ci_u32_e32 v60, vcc_lo, 0, v64, vcc_lo
	s_delay_alu instid0(VALU_DEP_2) | instskip(NEXT) | instid1(VALU_DEP_2)
	v_add_co_u32 v54, vcc_lo, v56, v54
	v_add_co_ci_u32_e32 v54, vcc_lo, v60, v65, vcc_lo
	v_add_co_ci_u32_e32 v56, vcc_lo, 0, v66, vcc_lo
	s_delay_alu instid0(VALU_DEP_2) | instskip(NEXT) | instid1(VALU_DEP_2)
	v_add_co_u32 v52, vcc_lo, v54, v52
	v_add_co_ci_u32_e32 v54, vcc_lo, 0, v56, vcc_lo
	s_delay_alu instid0(VALU_DEP_2) | instskip(NEXT) | instid1(VALU_DEP_2)
	v_add_co_u32 v47, vcc_lo, v47, v52
	v_add_co_ci_u32_e32 v48, vcc_lo, v48, v54, vcc_lo
	s_delay_alu instid0(VALU_DEP_2) | instskip(SKIP_1) | instid1(VALU_DEP_3)
	v_mul_hi_u32 v52, s5, v47
	v_mul_lo_u32 v56, s7, v47
	v_mul_lo_u32 v54, s5, v48
	s_delay_alu instid0(VALU_DEP_1) | instskip(SKIP_1) | instid1(VALU_DEP_2)
	v_add_nc_u32_e32 v52, v52, v54
	v_mul_lo_u32 v54, s5, v47
	v_add_nc_u32_e32 v52, v52, v56
	s_delay_alu instid0(VALU_DEP_2) | instskip(NEXT) | instid1(VALU_DEP_2)
	v_mul_hi_u32 v56, v47, v54
	v_mul_lo_u32 v60, v47, v52
	v_mul_hi_u32 v64, v47, v52
	v_mul_hi_u32 v65, v48, v54
	v_mul_lo_u32 v54, v48, v54
	v_mul_hi_u32 v66, v48, v52
	v_mul_lo_u32 v52, v48, v52
	v_add_co_u32 v56, vcc_lo, v56, v60
	v_add_co_ci_u32_e32 v60, vcc_lo, 0, v64, vcc_lo
	s_delay_alu instid0(VALU_DEP_2) | instskip(NEXT) | instid1(VALU_DEP_2)
	v_add_co_u32 v54, vcc_lo, v56, v54
	v_add_co_ci_u32_e32 v54, vcc_lo, v60, v65, vcc_lo
	v_add_co_ci_u32_e32 v56, vcc_lo, 0, v66, vcc_lo
	v_add_co_u32 v60, vcc_lo, v49, v68
	v_add_co_ci_u32_e32 v64, vcc_lo, v50, v68, vcc_lo
	s_delay_alu instid0(VALU_DEP_4) | instskip(NEXT) | instid1(VALU_DEP_4)
	v_add_co_u32 v52, vcc_lo, v54, v52
	v_add_co_ci_u32_e32 v54, vcc_lo, 0, v56, vcc_lo
	s_delay_alu instid0(VALU_DEP_4) | instskip(NEXT) | instid1(VALU_DEP_3)
	v_xor_b32_e32 v56, v60, v68
	v_add_co_u32 v52, vcc_lo, v47, v52
	s_delay_alu instid0(VALU_DEP_3) | instskip(SKIP_1) | instid1(VALU_DEP_3)
	v_add_co_ci_u32_e32 v54, vcc_lo, v48, v54, vcc_lo
	v_xor_b32_e32 v60, v64, v68
	v_mul_hi_u32 v69, v56, v52
	s_delay_alu instid0(VALU_DEP_3) | instskip(NEXT) | instid1(VALU_DEP_3)
	v_mad_u64_u32 v[47:48], null, v56, v54, 0
	v_mad_u64_u32 v[64:65], null, v60, v52, 0
	;; [unrolled: 1-line block ×3, first 2 shown]
	s_delay_alu instid0(VALU_DEP_3) | instskip(NEXT) | instid1(VALU_DEP_4)
	v_add_co_u32 v47, vcc_lo, v69, v47
	v_add_co_ci_u32_e32 v48, vcc_lo, 0, v48, vcc_lo
	s_delay_alu instid0(VALU_DEP_2) | instskip(NEXT) | instid1(VALU_DEP_2)
	v_add_co_u32 v47, vcc_lo, v47, v64
	v_add_co_ci_u32_e32 v47, vcc_lo, v48, v65, vcc_lo
	v_add_co_ci_u32_e32 v48, vcc_lo, 0, v67, vcc_lo
	s_delay_alu instid0(VALU_DEP_2) | instskip(NEXT) | instid1(VALU_DEP_2)
	v_add_co_u32 v52, vcc_lo, v47, v66
	v_add_co_ci_u32_e32 v54, vcc_lo, 0, v48, vcc_lo
	s_delay_alu instid0(VALU_DEP_2) | instskip(SKIP_1) | instid1(VALU_DEP_3)
	v_mul_lo_u32 v64, s9, v52
	v_mad_u64_u32 v[47:48], null, s8, v52, 0
	v_mul_lo_u32 v65, s8, v54
	s_delay_alu instid0(VALU_DEP_2) | instskip(NEXT) | instid1(VALU_DEP_2)
	v_sub_co_u32 v47, vcc_lo, v56, v47
	v_add3_u32 v48, v48, v65, v64
	s_delay_alu instid0(VALU_DEP_1) | instskip(NEXT) | instid1(VALU_DEP_1)
	v_sub_nc_u32_e32 v64, v60, v48
	v_subrev_co_ci_u32_e64 v56, s5, s9, v64, vcc_lo
	v_add_co_u32 v64, s5, v52, 2
	s_delay_alu instid0(VALU_DEP_1) | instskip(SKIP_3) | instid1(VALU_DEP_3)
	v_add_co_ci_u32_e64 v65, s5, 0, v54, s5
	v_sub_co_u32 v66, s5, v47, s8
	v_sub_co_ci_u32_e32 v48, vcc_lo, v60, v48, vcc_lo
	v_subrev_co_ci_u32_e64 v56, s5, 0, v56, s5
	v_cmp_le_u32_e32 vcc_lo, s8, v66
	s_delay_alu instid0(VALU_DEP_3) | instskip(SKIP_1) | instid1(VALU_DEP_4)
	v_cmp_eq_u32_e64 s5, s9, v48
	v_cndmask_b32_e64 v60, 0, -1, vcc_lo
	v_cmp_le_u32_e32 vcc_lo, s9, v56
	v_cndmask_b32_e64 v66, 0, -1, vcc_lo
	v_cmp_le_u32_e32 vcc_lo, s8, v47
	;; [unrolled: 2-line block ×3, first 2 shown]
	v_cndmask_b32_e64 v67, 0, -1, vcc_lo
	v_cmp_eq_u32_e32 vcc_lo, s9, v56
	s_delay_alu instid0(VALU_DEP_2) | instskip(SKIP_3) | instid1(VALU_DEP_3)
	v_cndmask_b32_e64 v47, v67, v47, s5
	v_cndmask_b32_e32 v56, v66, v60, vcc_lo
	v_add_co_u32 v60, vcc_lo, v52, 1
	v_add_co_ci_u32_e32 v66, vcc_lo, 0, v54, vcc_lo
	v_cmp_ne_u32_e32 vcc_lo, 0, v56
	s_delay_alu instid0(VALU_DEP_2) | instskip(NEXT) | instid1(VALU_DEP_4)
	v_cndmask_b32_e32 v48, v66, v65, vcc_lo
	v_cndmask_b32_e32 v56, v60, v64, vcc_lo
	v_cmp_ne_u32_e32 vcc_lo, 0, v47
	v_xor_b32_e32 v60, s6, v68
	s_delay_alu instid0(VALU_DEP_4) | instskip(NEXT) | instid1(VALU_DEP_4)
	v_cndmask_b32_e32 v47, v54, v48, vcc_lo
	v_cndmask_b32_e32 v48, v52, v56, vcc_lo
	s_delay_alu instid0(VALU_DEP_2) | instskip(NEXT) | instid1(VALU_DEP_2)
	v_xor_b32_e32 v52, v47, v60
	v_xor_b32_e32 v48, v48, v60
	s_delay_alu instid0(VALU_DEP_1) | instskip(NEXT) | instid1(VALU_DEP_3)
	v_sub_co_u32 v47, vcc_lo, v48, v60
	v_sub_co_ci_u32_e32 v48, vcc_lo, v52, v60, vcc_lo
.LBB1159_275:
	s_and_not1_saveexec_b32 s5, s11
	s_cbranch_execz .LBB1159_277
; %bb.276:
	v_cvt_f32_u32_e32 v47, s44
	s_sub_i32 s6, 0, s44
	s_delay_alu instid0(VALU_DEP_1) | instskip(SKIP_2) | instid1(VALU_DEP_1)
	v_rcp_iflag_f32_e32 v47, v47
	s_waitcnt_depctr 0xfff
	v_mul_f32_e32 v47, 0x4f7ffffe, v47
	v_cvt_u32_f32_e32 v47, v47
	s_delay_alu instid0(VALU_DEP_1) | instskip(NEXT) | instid1(VALU_DEP_1)
	v_mul_lo_u32 v48, s6, v47
	v_mul_hi_u32 v48, v47, v48
	s_delay_alu instid0(VALU_DEP_1) | instskip(NEXT) | instid1(VALU_DEP_1)
	v_add_nc_u32_e32 v47, v47, v48
	v_mul_hi_u32 v47, v49, v47
	s_delay_alu instid0(VALU_DEP_1) | instskip(SKIP_1) | instid1(VALU_DEP_2)
	v_mul_lo_u32 v48, v47, s44
	v_add_nc_u32_e32 v52, 1, v47
	v_sub_nc_u32_e32 v48, v49, v48
	s_delay_alu instid0(VALU_DEP_1) | instskip(SKIP_1) | instid1(VALU_DEP_2)
	v_subrev_nc_u32_e32 v54, s44, v48
	v_cmp_le_u32_e32 vcc_lo, s44, v48
	v_dual_cndmask_b32 v48, v48, v54 :: v_dual_cndmask_b32 v47, v47, v52
	s_delay_alu instid0(VALU_DEP_1) | instskip(SKIP_1) | instid1(VALU_DEP_3)
	v_cmp_le_u32_e32 vcc_lo, s44, v48
	v_mov_b32_e32 v48, 0
	v_add_nc_u32_e32 v52, 1, v47
	s_delay_alu instid0(VALU_DEP_1)
	v_cndmask_b32_e32 v47, v47, v52, vcc_lo
.LBB1159_277:
	s_or_b32 exec_lo, exec_lo, s5
	s_delay_alu instid0(VALU_DEP_1) | instskip(NEXT) | instid1(VALU_DEP_2)
	v_mul_lo_u32 v52, v48, s44
	v_mul_lo_u32 v54, v47, s45
	v_mad_u64_u32 v[64:65], null, v47, s44, 0
	s_delay_alu instid0(VALU_DEP_1) | instskip(NEXT) | instid1(VALU_DEP_2)
	v_add3_u32 v52, v65, v54, v52
	v_sub_co_u32 v49, vcc_lo, v49, v64
	s_delay_alu instid0(VALU_DEP_2) | instskip(NEXT) | instid1(VALU_DEP_2)
	v_sub_co_ci_u32_e32 v50, vcc_lo, v50, v52, vcc_lo
	v_add_co_u32 v47, vcc_lo, v47, v49
	s_delay_alu instid0(VALU_DEP_2)
	v_add_co_ci_u32_e32 v48, vcc_lo, v48, v50, vcc_lo
	s_or_b32 exec_lo, exec_lo, s10
                                        ; implicit-def: $vgpr49_vgpr50
	s_and_saveexec_b32 s5, s4
	s_cbranch_execz .LBB1159_224
.LBB1159_278:
	v_add_co_u32 v51, s4, s30, v51
	s_delay_alu instid0(VALU_DEP_1) | instskip(SKIP_1) | instid1(VALU_DEP_2)
	v_add_co_ci_u32_e64 v52, null, s31, 0, s4
	v_mov_b32_e32 v49, 0
	v_or_b32_e32 v50, s45, v52
	s_delay_alu instid0(VALU_DEP_1) | instskip(SKIP_1) | instid1(SALU_CYCLE_1)
	v_cmp_ne_u64_e32 vcc_lo, 0, v[49:50]
                                        ; implicit-def: $vgpr49_vgpr50
	s_and_saveexec_b32 s4, vcc_lo
	s_xor_b32 s10, exec_lo, s4
	s_cbranch_execz .LBB1159_280
; %bb.279:
	s_ashr_i32 s6, s45, 31
	v_ashrrev_i32_e32 v68, 31, v52
	s_add_u32 s8, s44, s6
	s_mov_b32 s7, s6
	s_addc_u32 s9, s45, s6
	s_delay_alu instid0(SALU_CYCLE_1) | instskip(NEXT) | instid1(SALU_CYCLE_1)
	s_xor_b64 s[8:9], s[8:9], s[6:7]
	v_cvt_f32_u32_e32 v49, s8
	v_cvt_f32_u32_e32 v50, s9
	s_sub_u32 s4, 0, s8
	s_subb_u32 s7, 0, s9
	s_delay_alu instid0(VALU_DEP_1) | instskip(NEXT) | instid1(VALU_DEP_1)
	v_fmamk_f32 v49, v50, 0x4f800000, v49
	v_rcp_f32_e32 v49, v49
	s_waitcnt_depctr 0xfff
	v_mul_f32_e32 v49, 0x5f7ffffc, v49
	s_delay_alu instid0(VALU_DEP_1) | instskip(NEXT) | instid1(VALU_DEP_1)
	v_mul_f32_e32 v50, 0x2f800000, v49
	v_trunc_f32_e32 v50, v50
	s_delay_alu instid0(VALU_DEP_1) | instskip(SKIP_1) | instid1(VALU_DEP_2)
	v_fmamk_f32 v49, v50, 0xcf800000, v49
	v_cvt_u32_f32_e32 v50, v50
	v_cvt_u32_f32_e32 v49, v49
	s_delay_alu instid0(VALU_DEP_2) | instskip(NEXT) | instid1(VALU_DEP_2)
	v_mul_lo_u32 v54, s4, v50
	v_mul_hi_u32 v56, s4, v49
	v_mul_lo_u32 v60, s7, v49
	s_delay_alu instid0(VALU_DEP_2) | instskip(SKIP_1) | instid1(VALU_DEP_2)
	v_add_nc_u32_e32 v54, v56, v54
	v_mul_lo_u32 v56, s4, v49
	v_add_nc_u32_e32 v54, v54, v60
	s_delay_alu instid0(VALU_DEP_2) | instskip(NEXT) | instid1(VALU_DEP_2)
	v_mul_hi_u32 v60, v49, v56
	v_mul_lo_u32 v64, v49, v54
	v_mul_hi_u32 v65, v49, v54
	v_mul_hi_u32 v66, v50, v56
	v_mul_lo_u32 v56, v50, v56
	v_mul_hi_u32 v67, v50, v54
	v_mul_lo_u32 v54, v50, v54
	v_add_co_u32 v60, vcc_lo, v60, v64
	v_add_co_ci_u32_e32 v64, vcc_lo, 0, v65, vcc_lo
	s_delay_alu instid0(VALU_DEP_2) | instskip(NEXT) | instid1(VALU_DEP_2)
	v_add_co_u32 v56, vcc_lo, v60, v56
	v_add_co_ci_u32_e32 v56, vcc_lo, v64, v66, vcc_lo
	v_add_co_ci_u32_e32 v60, vcc_lo, 0, v67, vcc_lo
	s_delay_alu instid0(VALU_DEP_2) | instskip(NEXT) | instid1(VALU_DEP_2)
	v_add_co_u32 v54, vcc_lo, v56, v54
	v_add_co_ci_u32_e32 v56, vcc_lo, 0, v60, vcc_lo
	s_delay_alu instid0(VALU_DEP_2) | instskip(NEXT) | instid1(VALU_DEP_2)
	v_add_co_u32 v49, vcc_lo, v49, v54
	v_add_co_ci_u32_e32 v50, vcc_lo, v50, v56, vcc_lo
	s_delay_alu instid0(VALU_DEP_2) | instskip(SKIP_1) | instid1(VALU_DEP_3)
	v_mul_hi_u32 v54, s4, v49
	v_mul_lo_u32 v60, s7, v49
	v_mul_lo_u32 v56, s4, v50
	s_delay_alu instid0(VALU_DEP_1) | instskip(SKIP_1) | instid1(VALU_DEP_2)
	v_add_nc_u32_e32 v54, v54, v56
	v_mul_lo_u32 v56, s4, v49
	v_add_nc_u32_e32 v54, v54, v60
	s_delay_alu instid0(VALU_DEP_2) | instskip(NEXT) | instid1(VALU_DEP_2)
	v_mul_hi_u32 v60, v49, v56
	v_mul_lo_u32 v64, v49, v54
	v_mul_hi_u32 v65, v49, v54
	v_mul_hi_u32 v66, v50, v56
	v_mul_lo_u32 v56, v50, v56
	v_mul_hi_u32 v67, v50, v54
	v_mul_lo_u32 v54, v50, v54
	v_add_co_u32 v60, vcc_lo, v60, v64
	v_add_co_ci_u32_e32 v64, vcc_lo, 0, v65, vcc_lo
	s_delay_alu instid0(VALU_DEP_2) | instskip(NEXT) | instid1(VALU_DEP_2)
	v_add_co_u32 v56, vcc_lo, v60, v56
	v_add_co_ci_u32_e32 v56, vcc_lo, v64, v66, vcc_lo
	v_add_co_ci_u32_e32 v60, vcc_lo, 0, v67, vcc_lo
	v_add_co_u32 v64, vcc_lo, v51, v68
	v_add_co_ci_u32_e32 v65, vcc_lo, v52, v68, vcc_lo
	s_delay_alu instid0(VALU_DEP_4) | instskip(NEXT) | instid1(VALU_DEP_4)
	v_add_co_u32 v54, vcc_lo, v56, v54
	v_add_co_ci_u32_e32 v56, vcc_lo, 0, v60, vcc_lo
	s_delay_alu instid0(VALU_DEP_4) | instskip(NEXT) | instid1(VALU_DEP_3)
	v_xor_b32_e32 v60, v64, v68
	v_add_co_u32 v54, vcc_lo, v49, v54
	s_delay_alu instid0(VALU_DEP_3) | instskip(SKIP_1) | instid1(VALU_DEP_3)
	v_add_co_ci_u32_e32 v56, vcc_lo, v50, v56, vcc_lo
	v_xor_b32_e32 v69, v65, v68
	v_mul_hi_u32 v70, v60, v54
	s_delay_alu instid0(VALU_DEP_3) | instskip(NEXT) | instid1(VALU_DEP_3)
	v_mad_u64_u32 v[49:50], null, v60, v56, 0
	v_mad_u64_u32 v[64:65], null, v69, v54, 0
	;; [unrolled: 1-line block ×3, first 2 shown]
	s_delay_alu instid0(VALU_DEP_3) | instskip(NEXT) | instid1(VALU_DEP_4)
	v_add_co_u32 v49, vcc_lo, v70, v49
	v_add_co_ci_u32_e32 v50, vcc_lo, 0, v50, vcc_lo
	s_delay_alu instid0(VALU_DEP_2) | instskip(NEXT) | instid1(VALU_DEP_2)
	v_add_co_u32 v49, vcc_lo, v49, v64
	v_add_co_ci_u32_e32 v49, vcc_lo, v50, v65, vcc_lo
	v_add_co_ci_u32_e32 v50, vcc_lo, 0, v67, vcc_lo
	s_delay_alu instid0(VALU_DEP_2) | instskip(NEXT) | instid1(VALU_DEP_2)
	v_add_co_u32 v54, vcc_lo, v49, v66
	v_add_co_ci_u32_e32 v56, vcc_lo, 0, v50, vcc_lo
	s_delay_alu instid0(VALU_DEP_2) | instskip(SKIP_1) | instid1(VALU_DEP_3)
	v_mul_lo_u32 v64, s9, v54
	v_mad_u64_u32 v[49:50], null, s8, v54, 0
	v_mul_lo_u32 v65, s8, v56
	s_delay_alu instid0(VALU_DEP_2) | instskip(NEXT) | instid1(VALU_DEP_2)
	v_sub_co_u32 v49, vcc_lo, v60, v49
	v_add3_u32 v50, v50, v65, v64
	s_delay_alu instid0(VALU_DEP_1) | instskip(NEXT) | instid1(VALU_DEP_1)
	v_sub_nc_u32_e32 v64, v69, v50
	v_subrev_co_ci_u32_e64 v60, s4, s9, v64, vcc_lo
	v_add_co_u32 v64, s4, v54, 2
	s_delay_alu instid0(VALU_DEP_1) | instskip(SKIP_3) | instid1(VALU_DEP_3)
	v_add_co_ci_u32_e64 v65, s4, 0, v56, s4
	v_sub_co_u32 v66, s4, v49, s8
	v_sub_co_ci_u32_e32 v50, vcc_lo, v69, v50, vcc_lo
	v_subrev_co_ci_u32_e64 v60, s4, 0, v60, s4
	v_cmp_le_u32_e32 vcc_lo, s8, v66
	s_delay_alu instid0(VALU_DEP_3) | instskip(SKIP_1) | instid1(VALU_DEP_4)
	v_cmp_eq_u32_e64 s4, s9, v50
	v_cndmask_b32_e64 v66, 0, -1, vcc_lo
	v_cmp_le_u32_e32 vcc_lo, s9, v60
	v_cndmask_b32_e64 v67, 0, -1, vcc_lo
	v_cmp_le_u32_e32 vcc_lo, s8, v49
	;; [unrolled: 2-line block ×3, first 2 shown]
	v_cndmask_b32_e64 v69, 0, -1, vcc_lo
	v_cmp_eq_u32_e32 vcc_lo, s9, v60
	s_delay_alu instid0(VALU_DEP_2) | instskip(SKIP_3) | instid1(VALU_DEP_3)
	v_cndmask_b32_e64 v49, v69, v49, s4
	v_cndmask_b32_e32 v60, v67, v66, vcc_lo
	v_add_co_u32 v66, vcc_lo, v54, 1
	v_add_co_ci_u32_e32 v67, vcc_lo, 0, v56, vcc_lo
	v_cmp_ne_u32_e32 vcc_lo, 0, v60
	s_delay_alu instid0(VALU_DEP_2) | instskip(NEXT) | instid1(VALU_DEP_4)
	v_cndmask_b32_e32 v50, v67, v65, vcc_lo
	v_cndmask_b32_e32 v60, v66, v64, vcc_lo
	v_cmp_ne_u32_e32 vcc_lo, 0, v49
	v_xor_b32_e32 v64, s6, v68
	s_delay_alu instid0(VALU_DEP_3) | instskip(NEXT) | instid1(VALU_DEP_1)
	v_dual_cndmask_b32 v49, v56, v50 :: v_dual_cndmask_b32 v50, v54, v60
	v_xor_b32_e32 v54, v49, v64
	s_delay_alu instid0(VALU_DEP_2) | instskip(NEXT) | instid1(VALU_DEP_1)
	v_xor_b32_e32 v50, v50, v64
	v_sub_co_u32 v49, vcc_lo, v50, v64
	s_delay_alu instid0(VALU_DEP_3)
	v_sub_co_ci_u32_e32 v50, vcc_lo, v54, v64, vcc_lo
.LBB1159_280:
	s_and_not1_saveexec_b32 s4, s10
	s_cbranch_execz .LBB1159_282
; %bb.281:
	v_cvt_f32_u32_e32 v49, s44
	s_sub_i32 s6, 0, s44
	s_delay_alu instid0(VALU_DEP_1) | instskip(SKIP_2) | instid1(VALU_DEP_1)
	v_rcp_iflag_f32_e32 v49, v49
	s_waitcnt_depctr 0xfff
	v_mul_f32_e32 v49, 0x4f7ffffe, v49
	v_cvt_u32_f32_e32 v49, v49
	s_delay_alu instid0(VALU_DEP_1) | instskip(NEXT) | instid1(VALU_DEP_1)
	v_mul_lo_u32 v50, s6, v49
	v_mul_hi_u32 v50, v49, v50
	s_delay_alu instid0(VALU_DEP_1) | instskip(NEXT) | instid1(VALU_DEP_1)
	v_add_nc_u32_e32 v49, v49, v50
	v_mul_hi_u32 v49, v51, v49
	s_delay_alu instid0(VALU_DEP_1) | instskip(SKIP_1) | instid1(VALU_DEP_2)
	v_mul_lo_u32 v50, v49, s44
	v_add_nc_u32_e32 v54, 1, v49
	v_sub_nc_u32_e32 v50, v51, v50
	s_delay_alu instid0(VALU_DEP_1) | instskip(SKIP_1) | instid1(VALU_DEP_2)
	v_subrev_nc_u32_e32 v56, s44, v50
	v_cmp_le_u32_e32 vcc_lo, s44, v50
	v_dual_cndmask_b32 v50, v50, v56 :: v_dual_cndmask_b32 v49, v49, v54
	s_delay_alu instid0(VALU_DEP_1) | instskip(SKIP_1) | instid1(VALU_DEP_3)
	v_cmp_le_u32_e32 vcc_lo, s44, v50
	v_mov_b32_e32 v50, 0
	v_add_nc_u32_e32 v54, 1, v49
	s_delay_alu instid0(VALU_DEP_1)
	v_cndmask_b32_e32 v49, v49, v54, vcc_lo
.LBB1159_282:
	s_or_b32 exec_lo, exec_lo, s4
	s_delay_alu instid0(VALU_DEP_1) | instskip(NEXT) | instid1(VALU_DEP_2)
	v_mul_lo_u32 v54, v50, s44
	v_mul_lo_u32 v56, v49, s45
	v_mad_u64_u32 v[64:65], null, v49, s44, 0
	s_delay_alu instid0(VALU_DEP_1) | instskip(NEXT) | instid1(VALU_DEP_2)
	v_add3_u32 v54, v65, v56, v54
	v_sub_co_u32 v51, vcc_lo, v51, v64
	s_delay_alu instid0(VALU_DEP_2) | instskip(NEXT) | instid1(VALU_DEP_2)
	v_sub_co_ci_u32_e32 v52, vcc_lo, v52, v54, vcc_lo
	v_add_co_u32 v49, vcc_lo, v49, v51
	s_delay_alu instid0(VALU_DEP_2)
	v_add_co_ci_u32_e32 v50, vcc_lo, v50, v52, vcc_lo
	s_or_b32 exec_lo, exec_lo, s5
                                        ; implicit-def: $vgpr51_vgpr52
	s_and_saveexec_b32 s8, s3
	s_cbranch_execz .LBB1159_225
.LBB1159_283:
	v_add_co_u32 v53, s3, s30, v53
	s_delay_alu instid0(VALU_DEP_1) | instskip(SKIP_1) | instid1(VALU_DEP_2)
	v_add_co_ci_u32_e64 v54, null, s31, 0, s3
	v_mov_b32_e32 v51, 0
	v_or_b32_e32 v52, s45, v54
	s_delay_alu instid0(VALU_DEP_1) | instskip(SKIP_1) | instid1(SALU_CYCLE_1)
	v_cmp_ne_u64_e32 vcc_lo, 0, v[51:52]
                                        ; implicit-def: $vgpr51_vgpr52
	s_and_saveexec_b32 s3, vcc_lo
	s_xor_b32 s9, exec_lo, s3
	s_cbranch_execz .LBB1159_285
; %bb.284:
	s_ashr_i32 s4, s45, 31
	s_delay_alu instid0(SALU_CYCLE_1) | instskip(SKIP_2) | instid1(SALU_CYCLE_1)
	s_add_u32 s6, s44, s4
	s_mov_b32 s5, s4
	s_addc_u32 s7, s45, s4
	s_xor_b64 s[6:7], s[6:7], s[4:5]
	s_delay_alu instid0(SALU_CYCLE_1) | instskip(SKIP_3) | instid1(VALU_DEP_1)
	v_cvt_f32_u32_e32 v51, s6
	v_cvt_f32_u32_e32 v52, s7
	s_sub_u32 s3, 0, s6
	s_subb_u32 s5, 0, s7
	v_fmamk_f32 v51, v52, 0x4f800000, v51
	s_delay_alu instid0(VALU_DEP_1) | instskip(SKIP_2) | instid1(VALU_DEP_1)
	v_rcp_f32_e32 v51, v51
	s_waitcnt_depctr 0xfff
	v_mul_f32_e32 v51, 0x5f7ffffc, v51
	v_mul_f32_e32 v52, 0x2f800000, v51
	s_delay_alu instid0(VALU_DEP_1) | instskip(NEXT) | instid1(VALU_DEP_1)
	v_trunc_f32_e32 v52, v52
	v_fmamk_f32 v51, v52, 0xcf800000, v51
	v_cvt_u32_f32_e32 v52, v52
	s_delay_alu instid0(VALU_DEP_2) | instskip(NEXT) | instid1(VALU_DEP_2)
	v_cvt_u32_f32_e32 v51, v51
	v_mul_lo_u32 v56, s3, v52
	s_delay_alu instid0(VALU_DEP_2) | instskip(SKIP_1) | instid1(VALU_DEP_2)
	v_mul_hi_u32 v60, s3, v51
	v_mul_lo_u32 v64, s5, v51
	v_add_nc_u32_e32 v56, v60, v56
	v_mul_lo_u32 v60, s3, v51
	s_delay_alu instid0(VALU_DEP_2) | instskip(NEXT) | instid1(VALU_DEP_2)
	v_add_nc_u32_e32 v56, v56, v64
	v_mul_hi_u32 v64, v51, v60
	s_delay_alu instid0(VALU_DEP_2)
	v_mul_lo_u32 v65, v51, v56
	v_mul_hi_u32 v66, v51, v56
	v_mul_hi_u32 v67, v52, v60
	v_mul_lo_u32 v60, v52, v60
	v_mul_hi_u32 v68, v52, v56
	v_mul_lo_u32 v56, v52, v56
	v_add_co_u32 v64, vcc_lo, v64, v65
	v_add_co_ci_u32_e32 v65, vcc_lo, 0, v66, vcc_lo
	s_delay_alu instid0(VALU_DEP_2) | instskip(NEXT) | instid1(VALU_DEP_2)
	v_add_co_u32 v60, vcc_lo, v64, v60
	v_add_co_ci_u32_e32 v60, vcc_lo, v65, v67, vcc_lo
	v_add_co_ci_u32_e32 v64, vcc_lo, 0, v68, vcc_lo
	v_ashrrev_i32_e32 v68, 31, v54
	s_delay_alu instid0(VALU_DEP_3) | instskip(NEXT) | instid1(VALU_DEP_3)
	v_add_co_u32 v56, vcc_lo, v60, v56
	v_add_co_ci_u32_e32 v60, vcc_lo, 0, v64, vcc_lo
	s_delay_alu instid0(VALU_DEP_2) | instskip(NEXT) | instid1(VALU_DEP_2)
	v_add_co_u32 v51, vcc_lo, v51, v56
	v_add_co_ci_u32_e32 v52, vcc_lo, v52, v60, vcc_lo
	s_delay_alu instid0(VALU_DEP_2) | instskip(SKIP_1) | instid1(VALU_DEP_3)
	v_mul_hi_u32 v56, s3, v51
	v_mul_lo_u32 v64, s5, v51
	v_mul_lo_u32 v60, s3, v52
	s_delay_alu instid0(VALU_DEP_1) | instskip(SKIP_1) | instid1(VALU_DEP_2)
	v_add_nc_u32_e32 v56, v56, v60
	v_mul_lo_u32 v60, s3, v51
	v_add_nc_u32_e32 v56, v56, v64
	s_delay_alu instid0(VALU_DEP_2) | instskip(NEXT) | instid1(VALU_DEP_2)
	v_mul_hi_u32 v64, v51, v60
	v_mul_lo_u32 v65, v51, v56
	v_mul_hi_u32 v66, v51, v56
	v_mul_hi_u32 v67, v52, v60
	v_mul_lo_u32 v60, v52, v60
	v_mul_hi_u32 v69, v52, v56
	v_mul_lo_u32 v56, v52, v56
	v_add_co_u32 v64, vcc_lo, v64, v65
	v_add_co_ci_u32_e32 v65, vcc_lo, 0, v66, vcc_lo
	s_delay_alu instid0(VALU_DEP_2) | instskip(NEXT) | instid1(VALU_DEP_2)
	v_add_co_u32 v60, vcc_lo, v64, v60
	v_add_co_ci_u32_e32 v60, vcc_lo, v65, v67, vcc_lo
	v_add_co_ci_u32_e32 v64, vcc_lo, 0, v69, vcc_lo
	v_add_co_u32 v65, vcc_lo, v53, v68
	v_add_co_ci_u32_e32 v66, vcc_lo, v54, v68, vcc_lo
	s_delay_alu instid0(VALU_DEP_4) | instskip(NEXT) | instid1(VALU_DEP_4)
	v_add_co_u32 v56, vcc_lo, v60, v56
	v_add_co_ci_u32_e32 v60, vcc_lo, 0, v64, vcc_lo
	s_delay_alu instid0(VALU_DEP_4) | instskip(NEXT) | instid1(VALU_DEP_3)
	v_xor_b32_e32 v69, v65, v68
	v_add_co_u32 v56, vcc_lo, v51, v56
	s_delay_alu instid0(VALU_DEP_3) | instskip(SKIP_1) | instid1(VALU_DEP_3)
	v_add_co_ci_u32_e32 v60, vcc_lo, v52, v60, vcc_lo
	v_xor_b32_e32 v70, v66, v68
	v_mul_hi_u32 v71, v69, v56
	s_delay_alu instid0(VALU_DEP_3) | instskip(NEXT) | instid1(VALU_DEP_3)
	v_mad_u64_u32 v[51:52], null, v69, v60, 0
	v_mad_u64_u32 v[64:65], null, v70, v56, 0
	;; [unrolled: 1-line block ×3, first 2 shown]
	s_delay_alu instid0(VALU_DEP_3) | instskip(NEXT) | instid1(VALU_DEP_4)
	v_add_co_u32 v51, vcc_lo, v71, v51
	v_add_co_ci_u32_e32 v52, vcc_lo, 0, v52, vcc_lo
	s_delay_alu instid0(VALU_DEP_2) | instskip(NEXT) | instid1(VALU_DEP_2)
	v_add_co_u32 v51, vcc_lo, v51, v64
	v_add_co_ci_u32_e32 v51, vcc_lo, v52, v65, vcc_lo
	v_add_co_ci_u32_e32 v52, vcc_lo, 0, v67, vcc_lo
	s_delay_alu instid0(VALU_DEP_2) | instskip(NEXT) | instid1(VALU_DEP_2)
	v_add_co_u32 v56, vcc_lo, v51, v66
	v_add_co_ci_u32_e32 v60, vcc_lo, 0, v52, vcc_lo
	s_delay_alu instid0(VALU_DEP_2) | instskip(SKIP_1) | instid1(VALU_DEP_3)
	v_mul_lo_u32 v64, s7, v56
	v_mad_u64_u32 v[51:52], null, s6, v56, 0
	v_mul_lo_u32 v65, s6, v60
	s_delay_alu instid0(VALU_DEP_2) | instskip(NEXT) | instid1(VALU_DEP_2)
	v_sub_co_u32 v51, vcc_lo, v69, v51
	v_add3_u32 v52, v52, v65, v64
	s_delay_alu instid0(VALU_DEP_1) | instskip(NEXT) | instid1(VALU_DEP_1)
	v_sub_nc_u32_e32 v64, v70, v52
	v_subrev_co_ci_u32_e64 v64, s3, s7, v64, vcc_lo
	v_add_co_u32 v65, s3, v56, 2
	s_delay_alu instid0(VALU_DEP_1) | instskip(SKIP_3) | instid1(VALU_DEP_3)
	v_add_co_ci_u32_e64 v66, s3, 0, v60, s3
	v_sub_co_u32 v67, s3, v51, s6
	v_sub_co_ci_u32_e32 v52, vcc_lo, v70, v52, vcc_lo
	v_subrev_co_ci_u32_e64 v64, s3, 0, v64, s3
	v_cmp_le_u32_e32 vcc_lo, s6, v67
	s_delay_alu instid0(VALU_DEP_3) | instskip(SKIP_1) | instid1(VALU_DEP_4)
	v_cmp_eq_u32_e64 s3, s7, v52
	v_cndmask_b32_e64 v67, 0, -1, vcc_lo
	v_cmp_le_u32_e32 vcc_lo, s7, v64
	v_cndmask_b32_e64 v69, 0, -1, vcc_lo
	v_cmp_le_u32_e32 vcc_lo, s6, v51
	;; [unrolled: 2-line block ×3, first 2 shown]
	v_cndmask_b32_e64 v70, 0, -1, vcc_lo
	v_cmp_eq_u32_e32 vcc_lo, s7, v64
	s_delay_alu instid0(VALU_DEP_2) | instskip(SKIP_3) | instid1(VALU_DEP_3)
	v_cndmask_b32_e64 v51, v70, v51, s3
	v_cndmask_b32_e32 v64, v69, v67, vcc_lo
	v_add_co_u32 v67, vcc_lo, v56, 1
	v_add_co_ci_u32_e32 v69, vcc_lo, 0, v60, vcc_lo
	v_cmp_ne_u32_e32 vcc_lo, 0, v64
	s_delay_alu instid0(VALU_DEP_2) | instskip(NEXT) | instid1(VALU_DEP_4)
	v_cndmask_b32_e32 v52, v69, v66, vcc_lo
	v_cndmask_b32_e32 v64, v67, v65, vcc_lo
	v_cmp_ne_u32_e32 vcc_lo, 0, v51
	v_xor_b32_e32 v65, s4, v68
	s_delay_alu instid0(VALU_DEP_4) | instskip(NEXT) | instid1(VALU_DEP_4)
	v_cndmask_b32_e32 v51, v60, v52, vcc_lo
	v_cndmask_b32_e32 v52, v56, v64, vcc_lo
	s_delay_alu instid0(VALU_DEP_2) | instskip(NEXT) | instid1(VALU_DEP_2)
	v_xor_b32_e32 v56, v51, v65
	v_xor_b32_e32 v52, v52, v65
	s_delay_alu instid0(VALU_DEP_1) | instskip(NEXT) | instid1(VALU_DEP_3)
	v_sub_co_u32 v51, vcc_lo, v52, v65
	v_sub_co_ci_u32_e32 v52, vcc_lo, v56, v65, vcc_lo
.LBB1159_285:
	s_and_not1_saveexec_b32 s3, s9
	s_cbranch_execz .LBB1159_287
; %bb.286:
	v_cvt_f32_u32_e32 v51, s44
	s_sub_i32 s4, 0, s44
	s_delay_alu instid0(VALU_DEP_1) | instskip(SKIP_2) | instid1(VALU_DEP_1)
	v_rcp_iflag_f32_e32 v51, v51
	s_waitcnt_depctr 0xfff
	v_mul_f32_e32 v51, 0x4f7ffffe, v51
	v_cvt_u32_f32_e32 v51, v51
	s_delay_alu instid0(VALU_DEP_1) | instskip(NEXT) | instid1(VALU_DEP_1)
	v_mul_lo_u32 v52, s4, v51
	v_mul_hi_u32 v52, v51, v52
	s_delay_alu instid0(VALU_DEP_1) | instskip(NEXT) | instid1(VALU_DEP_1)
	v_add_nc_u32_e32 v51, v51, v52
	v_mul_hi_u32 v51, v53, v51
	s_delay_alu instid0(VALU_DEP_1) | instskip(SKIP_1) | instid1(VALU_DEP_2)
	v_mul_lo_u32 v52, v51, s44
	v_add_nc_u32_e32 v56, 1, v51
	v_sub_nc_u32_e32 v52, v53, v52
	s_delay_alu instid0(VALU_DEP_1) | instskip(SKIP_1) | instid1(VALU_DEP_2)
	v_subrev_nc_u32_e32 v60, s44, v52
	v_cmp_le_u32_e32 vcc_lo, s44, v52
	v_cndmask_b32_e32 v52, v52, v60, vcc_lo
	v_cndmask_b32_e32 v51, v51, v56, vcc_lo
	s_delay_alu instid0(VALU_DEP_2) | instskip(SKIP_1) | instid1(VALU_DEP_3)
	v_cmp_le_u32_e32 vcc_lo, s44, v52
	v_mov_b32_e32 v52, 0
	v_add_nc_u32_e32 v56, 1, v51
	s_delay_alu instid0(VALU_DEP_1)
	v_cndmask_b32_e32 v51, v51, v56, vcc_lo
.LBB1159_287:
	s_or_b32 exec_lo, exec_lo, s3
	s_delay_alu instid0(VALU_DEP_1) | instskip(NEXT) | instid1(VALU_DEP_2)
	v_mul_lo_u32 v56, v52, s44
	v_mul_lo_u32 v60, v51, s45
	v_mad_u64_u32 v[64:65], null, v51, s44, 0
	s_delay_alu instid0(VALU_DEP_1) | instskip(NEXT) | instid1(VALU_DEP_2)
	v_add3_u32 v56, v65, v60, v56
	v_sub_co_u32 v53, vcc_lo, v53, v64
	s_delay_alu instid0(VALU_DEP_2) | instskip(NEXT) | instid1(VALU_DEP_2)
	v_sub_co_ci_u32_e32 v54, vcc_lo, v54, v56, vcc_lo
	v_add_co_u32 v51, vcc_lo, v51, v53
	s_delay_alu instid0(VALU_DEP_2)
	v_add_co_ci_u32_e32 v52, vcc_lo, v52, v54, vcc_lo
	s_or_b32 exec_lo, exec_lo, s8
                                        ; implicit-def: $vgpr53_vgpr54
	s_and_saveexec_b32 s3, s2
	s_cbranch_execz .LBB1159_226
.LBB1159_288:
	v_add_co_u32 v55, s2, s30, v55
	s_delay_alu instid0(VALU_DEP_1) | instskip(SKIP_1) | instid1(VALU_DEP_2)
	v_add_co_ci_u32_e64 v56, null, s31, 0, s2
	v_mov_b32_e32 v53, 0
	v_or_b32_e32 v54, s45, v56
	s_delay_alu instid0(VALU_DEP_1) | instskip(SKIP_1) | instid1(SALU_CYCLE_1)
	v_cmp_ne_u64_e32 vcc_lo, 0, v[53:54]
                                        ; implicit-def: $vgpr53_vgpr54
	s_and_saveexec_b32 s2, vcc_lo
	s_xor_b32 s8, exec_lo, s2
	s_cbranch_execz .LBB1159_290
; %bb.289:
	s_ashr_i32 s4, s45, 31
	s_delay_alu instid0(SALU_CYCLE_1) | instskip(SKIP_2) | instid1(SALU_CYCLE_1)
	s_add_u32 s6, s44, s4
	s_mov_b32 s5, s4
	s_addc_u32 s7, s45, s4
	s_xor_b64 s[6:7], s[6:7], s[4:5]
	s_delay_alu instid0(SALU_CYCLE_1) | instskip(SKIP_3) | instid1(VALU_DEP_1)
	v_cvt_f32_u32_e32 v53, s6
	v_cvt_f32_u32_e32 v54, s7
	s_sub_u32 s2, 0, s6
	s_subb_u32 s5, 0, s7
	v_fmamk_f32 v53, v54, 0x4f800000, v53
	s_delay_alu instid0(VALU_DEP_1) | instskip(SKIP_2) | instid1(VALU_DEP_1)
	v_rcp_f32_e32 v53, v53
	s_waitcnt_depctr 0xfff
	v_mul_f32_e32 v53, 0x5f7ffffc, v53
	v_mul_f32_e32 v54, 0x2f800000, v53
	s_delay_alu instid0(VALU_DEP_1) | instskip(NEXT) | instid1(VALU_DEP_1)
	v_trunc_f32_e32 v54, v54
	v_fmamk_f32 v53, v54, 0xcf800000, v53
	v_cvt_u32_f32_e32 v54, v54
	s_delay_alu instid0(VALU_DEP_2) | instskip(NEXT) | instid1(VALU_DEP_2)
	v_cvt_u32_f32_e32 v53, v53
	v_mul_lo_u32 v60, s2, v54
	s_delay_alu instid0(VALU_DEP_2) | instskip(SKIP_1) | instid1(VALU_DEP_2)
	v_mul_hi_u32 v64, s2, v53
	v_mul_lo_u32 v65, s5, v53
	v_add_nc_u32_e32 v60, v64, v60
	v_mul_lo_u32 v64, s2, v53
	s_delay_alu instid0(VALU_DEP_2) | instskip(NEXT) | instid1(VALU_DEP_2)
	v_add_nc_u32_e32 v60, v60, v65
	v_mul_hi_u32 v65, v53, v64
	s_delay_alu instid0(VALU_DEP_2)
	v_mul_lo_u32 v66, v53, v60
	v_mul_hi_u32 v67, v53, v60
	v_mul_hi_u32 v68, v54, v64
	v_mul_lo_u32 v64, v54, v64
	v_mul_hi_u32 v69, v54, v60
	v_mul_lo_u32 v60, v54, v60
	v_add_co_u32 v65, vcc_lo, v65, v66
	v_add_co_ci_u32_e32 v66, vcc_lo, 0, v67, vcc_lo
	s_delay_alu instid0(VALU_DEP_2) | instskip(NEXT) | instid1(VALU_DEP_2)
	v_add_co_u32 v64, vcc_lo, v65, v64
	v_add_co_ci_u32_e32 v64, vcc_lo, v66, v68, vcc_lo
	v_add_co_ci_u32_e32 v65, vcc_lo, 0, v69, vcc_lo
	v_ashrrev_i32_e32 v68, 31, v56
	s_delay_alu instid0(VALU_DEP_3) | instskip(NEXT) | instid1(VALU_DEP_3)
	v_add_co_u32 v60, vcc_lo, v64, v60
	v_add_co_ci_u32_e32 v64, vcc_lo, 0, v65, vcc_lo
	s_delay_alu instid0(VALU_DEP_2) | instskip(NEXT) | instid1(VALU_DEP_2)
	v_add_co_u32 v53, vcc_lo, v53, v60
	v_add_co_ci_u32_e32 v54, vcc_lo, v54, v64, vcc_lo
	s_delay_alu instid0(VALU_DEP_2) | instskip(SKIP_1) | instid1(VALU_DEP_3)
	v_mul_hi_u32 v60, s2, v53
	v_mul_lo_u32 v65, s5, v53
	v_mul_lo_u32 v64, s2, v54
	s_delay_alu instid0(VALU_DEP_1) | instskip(SKIP_1) | instid1(VALU_DEP_2)
	v_add_nc_u32_e32 v60, v60, v64
	v_mul_lo_u32 v64, s2, v53
	v_add_nc_u32_e32 v60, v60, v65
	s_delay_alu instid0(VALU_DEP_2) | instskip(NEXT) | instid1(VALU_DEP_2)
	v_mul_hi_u32 v65, v53, v64
	v_mul_lo_u32 v66, v53, v60
	v_mul_hi_u32 v67, v53, v60
	v_mul_hi_u32 v69, v54, v64
	v_mul_lo_u32 v64, v54, v64
	v_mul_hi_u32 v70, v54, v60
	v_mul_lo_u32 v60, v54, v60
	v_add_co_u32 v65, vcc_lo, v65, v66
	v_add_co_ci_u32_e32 v66, vcc_lo, 0, v67, vcc_lo
	s_delay_alu instid0(VALU_DEP_2) | instskip(NEXT) | instid1(VALU_DEP_2)
	v_add_co_u32 v64, vcc_lo, v65, v64
	v_add_co_ci_u32_e32 v64, vcc_lo, v66, v69, vcc_lo
	v_add_co_ci_u32_e32 v65, vcc_lo, 0, v70, vcc_lo
	v_add_co_u32 v66, vcc_lo, v55, v68
	v_add_co_ci_u32_e32 v67, vcc_lo, v56, v68, vcc_lo
	s_delay_alu instid0(VALU_DEP_4) | instskip(NEXT) | instid1(VALU_DEP_4)
	v_add_co_u32 v60, vcc_lo, v64, v60
	v_add_co_ci_u32_e32 v64, vcc_lo, 0, v65, vcc_lo
	s_delay_alu instid0(VALU_DEP_4) | instskip(NEXT) | instid1(VALU_DEP_3)
	v_xor_b32_e32 v69, v66, v68
	v_add_co_u32 v60, vcc_lo, v53, v60
	s_delay_alu instid0(VALU_DEP_3) | instskip(SKIP_1) | instid1(VALU_DEP_3)
	v_add_co_ci_u32_e32 v70, vcc_lo, v54, v64, vcc_lo
	v_xor_b32_e32 v71, v67, v68
	v_mul_hi_u32 v72, v69, v60
	s_delay_alu instid0(VALU_DEP_3) | instskip(NEXT) | instid1(VALU_DEP_3)
	v_mad_u64_u32 v[53:54], null, v69, v70, 0
	v_mad_u64_u32 v[64:65], null, v71, v60, 0
	;; [unrolled: 1-line block ×3, first 2 shown]
	s_delay_alu instid0(VALU_DEP_3) | instskip(NEXT) | instid1(VALU_DEP_4)
	v_add_co_u32 v53, vcc_lo, v72, v53
	v_add_co_ci_u32_e32 v54, vcc_lo, 0, v54, vcc_lo
	s_delay_alu instid0(VALU_DEP_2) | instskip(NEXT) | instid1(VALU_DEP_2)
	v_add_co_u32 v53, vcc_lo, v53, v64
	v_add_co_ci_u32_e32 v53, vcc_lo, v54, v65, vcc_lo
	v_add_co_ci_u32_e32 v54, vcc_lo, 0, v67, vcc_lo
	s_delay_alu instid0(VALU_DEP_2) | instskip(NEXT) | instid1(VALU_DEP_2)
	v_add_co_u32 v60, vcc_lo, v53, v66
	v_add_co_ci_u32_e32 v64, vcc_lo, 0, v54, vcc_lo
	s_delay_alu instid0(VALU_DEP_2) | instskip(SKIP_1) | instid1(VALU_DEP_3)
	v_mul_lo_u32 v65, s7, v60
	v_mad_u64_u32 v[53:54], null, s6, v60, 0
	v_mul_lo_u32 v66, s6, v64
	s_delay_alu instid0(VALU_DEP_2) | instskip(NEXT) | instid1(VALU_DEP_2)
	v_sub_co_u32 v53, vcc_lo, v69, v53
	v_add3_u32 v54, v54, v66, v65
	s_delay_alu instid0(VALU_DEP_1) | instskip(NEXT) | instid1(VALU_DEP_1)
	v_sub_nc_u32_e32 v65, v71, v54
	v_subrev_co_ci_u32_e64 v65, s2, s7, v65, vcc_lo
	v_add_co_u32 v66, s2, v60, 2
	s_delay_alu instid0(VALU_DEP_1) | instskip(SKIP_3) | instid1(VALU_DEP_3)
	v_add_co_ci_u32_e64 v67, s2, 0, v64, s2
	v_sub_co_u32 v69, s2, v53, s6
	v_sub_co_ci_u32_e32 v54, vcc_lo, v71, v54, vcc_lo
	v_subrev_co_ci_u32_e64 v65, s2, 0, v65, s2
	v_cmp_le_u32_e32 vcc_lo, s6, v69
	s_delay_alu instid0(VALU_DEP_3) | instskip(SKIP_1) | instid1(VALU_DEP_4)
	v_cmp_eq_u32_e64 s2, s7, v54
	v_cndmask_b32_e64 v69, 0, -1, vcc_lo
	v_cmp_le_u32_e32 vcc_lo, s7, v65
	v_cndmask_b32_e64 v70, 0, -1, vcc_lo
	v_cmp_le_u32_e32 vcc_lo, s6, v53
	;; [unrolled: 2-line block ×3, first 2 shown]
	v_cndmask_b32_e64 v71, 0, -1, vcc_lo
	v_cmp_eq_u32_e32 vcc_lo, s7, v65
	s_delay_alu instid0(VALU_DEP_2) | instskip(SKIP_3) | instid1(VALU_DEP_3)
	v_cndmask_b32_e64 v53, v71, v53, s2
	v_cndmask_b32_e32 v65, v70, v69, vcc_lo
	v_add_co_u32 v69, vcc_lo, v60, 1
	v_add_co_ci_u32_e32 v70, vcc_lo, 0, v64, vcc_lo
	v_cmp_ne_u32_e32 vcc_lo, 0, v65
	s_delay_alu instid0(VALU_DEP_2) | instskip(SKIP_2) | instid1(VALU_DEP_3)
	v_dual_cndmask_b32 v54, v70, v67 :: v_dual_cndmask_b32 v65, v69, v66
	v_cmp_ne_u32_e32 vcc_lo, 0, v53
	v_xor_b32_e32 v66, s4, v68
	v_cndmask_b32_e32 v53, v64, v54, vcc_lo
	s_delay_alu instid0(VALU_DEP_4) | instskip(NEXT) | instid1(VALU_DEP_2)
	v_cndmask_b32_e32 v54, v60, v65, vcc_lo
	v_xor_b32_e32 v60, v53, v66
	s_delay_alu instid0(VALU_DEP_2) | instskip(NEXT) | instid1(VALU_DEP_1)
	v_xor_b32_e32 v54, v54, v66
	v_sub_co_u32 v53, vcc_lo, v54, v66
	s_delay_alu instid0(VALU_DEP_3)
	v_sub_co_ci_u32_e32 v54, vcc_lo, v60, v66, vcc_lo
.LBB1159_290:
	s_and_not1_saveexec_b32 s2, s8
	s_cbranch_execz .LBB1159_292
; %bb.291:
	v_cvt_f32_u32_e32 v53, s44
	s_sub_i32 s4, 0, s44
	s_delay_alu instid0(VALU_DEP_1) | instskip(SKIP_2) | instid1(VALU_DEP_1)
	v_rcp_iflag_f32_e32 v53, v53
	s_waitcnt_depctr 0xfff
	v_mul_f32_e32 v53, 0x4f7ffffe, v53
	v_cvt_u32_f32_e32 v53, v53
	s_delay_alu instid0(VALU_DEP_1) | instskip(NEXT) | instid1(VALU_DEP_1)
	v_mul_lo_u32 v54, s4, v53
	v_mul_hi_u32 v54, v53, v54
	s_delay_alu instid0(VALU_DEP_1) | instskip(NEXT) | instid1(VALU_DEP_1)
	v_add_nc_u32_e32 v53, v53, v54
	v_mul_hi_u32 v53, v55, v53
	s_delay_alu instid0(VALU_DEP_1) | instskip(SKIP_1) | instid1(VALU_DEP_2)
	v_mul_lo_u32 v54, v53, s44
	v_add_nc_u32_e32 v60, 1, v53
	v_sub_nc_u32_e32 v54, v55, v54
	s_delay_alu instid0(VALU_DEP_1) | instskip(SKIP_1) | instid1(VALU_DEP_2)
	v_subrev_nc_u32_e32 v64, s44, v54
	v_cmp_le_u32_e32 vcc_lo, s44, v54
	v_cndmask_b32_e32 v54, v54, v64, vcc_lo
	v_cndmask_b32_e32 v53, v53, v60, vcc_lo
	s_delay_alu instid0(VALU_DEP_2) | instskip(SKIP_1) | instid1(VALU_DEP_3)
	v_cmp_le_u32_e32 vcc_lo, s44, v54
	v_mov_b32_e32 v54, 0
	v_add_nc_u32_e32 v60, 1, v53
	s_delay_alu instid0(VALU_DEP_1)
	v_cndmask_b32_e32 v53, v53, v60, vcc_lo
.LBB1159_292:
	s_or_b32 exec_lo, exec_lo, s2
	s_delay_alu instid0(VALU_DEP_1) | instskip(NEXT) | instid1(VALU_DEP_2)
	v_mul_lo_u32 v60, v54, s44
	v_mul_lo_u32 v66, v53, s45
	v_mad_u64_u32 v[64:65], null, v53, s44, 0
	s_delay_alu instid0(VALU_DEP_1) | instskip(NEXT) | instid1(VALU_DEP_2)
	v_add3_u32 v60, v65, v66, v60
	v_sub_co_u32 v55, vcc_lo, v55, v64
	s_delay_alu instid0(VALU_DEP_2) | instskip(NEXT) | instid1(VALU_DEP_2)
	v_sub_co_ci_u32_e32 v56, vcc_lo, v56, v60, vcc_lo
	v_add_co_u32 v53, vcc_lo, v53, v55
	s_delay_alu instid0(VALU_DEP_2)
	v_add_co_ci_u32_e32 v54, vcc_lo, v54, v56, vcc_lo
	s_or_b32 exec_lo, exec_lo, s3
                                        ; implicit-def: $vgpr55_vgpr56
	s_and_saveexec_b32 s6, s1
	s_cbranch_execz .LBB1159_227
.LBB1159_293:
	v_add_co_u32 v59, s1, s30, v59
	s_delay_alu instid0(VALU_DEP_1) | instskip(SKIP_1) | instid1(VALU_DEP_2)
	v_add_co_ci_u32_e64 v60, null, s31, 0, s1
	v_mov_b32_e32 v55, 0
	v_or_b32_e32 v56, s45, v60
	s_delay_alu instid0(VALU_DEP_1) | instskip(SKIP_1) | instid1(SALU_CYCLE_1)
	v_cmp_ne_u64_e32 vcc_lo, 0, v[55:56]
                                        ; implicit-def: $vgpr55_vgpr56
	s_and_saveexec_b32 s1, vcc_lo
	s_xor_b32 s7, exec_lo, s1
	s_cbranch_execz .LBB1159_295
; %bb.294:
	s_ashr_i32 s2, s45, 31
	s_delay_alu instid0(SALU_CYCLE_1) | instskip(SKIP_2) | instid1(SALU_CYCLE_1)
	s_add_u32 s4, s44, s2
	s_mov_b32 s3, s2
	s_addc_u32 s5, s45, s2
	s_xor_b64 s[4:5], s[4:5], s[2:3]
	s_delay_alu instid0(SALU_CYCLE_1) | instskip(SKIP_3) | instid1(VALU_DEP_1)
	v_cvt_f32_u32_e32 v55, s4
	v_cvt_f32_u32_e32 v56, s5
	s_sub_u32 s1, 0, s4
	s_subb_u32 s3, 0, s5
	v_fmamk_f32 v55, v56, 0x4f800000, v55
	s_delay_alu instid0(VALU_DEP_1) | instskip(SKIP_2) | instid1(VALU_DEP_1)
	v_rcp_f32_e32 v55, v55
	s_waitcnt_depctr 0xfff
	v_mul_f32_e32 v55, 0x5f7ffffc, v55
	v_mul_f32_e32 v56, 0x2f800000, v55
	s_delay_alu instid0(VALU_DEP_1) | instskip(NEXT) | instid1(VALU_DEP_1)
	v_trunc_f32_e32 v56, v56
	v_fmamk_f32 v55, v56, 0xcf800000, v55
	v_cvt_u32_f32_e32 v56, v56
	s_delay_alu instid0(VALU_DEP_2) | instskip(NEXT) | instid1(VALU_DEP_2)
	v_cvt_u32_f32_e32 v55, v55
	v_mul_lo_u32 v64, s1, v56
	s_delay_alu instid0(VALU_DEP_2) | instskip(SKIP_1) | instid1(VALU_DEP_2)
	v_mul_hi_u32 v65, s1, v55
	v_mul_lo_u32 v66, s3, v55
	v_add_nc_u32_e32 v64, v65, v64
	v_mul_lo_u32 v65, s1, v55
	s_delay_alu instid0(VALU_DEP_2) | instskip(NEXT) | instid1(VALU_DEP_2)
	v_add_nc_u32_e32 v64, v64, v66
	v_mul_hi_u32 v66, v55, v65
	s_delay_alu instid0(VALU_DEP_2)
	v_mul_lo_u32 v67, v55, v64
	v_mul_hi_u32 v68, v55, v64
	v_mul_hi_u32 v69, v56, v65
	v_mul_lo_u32 v65, v56, v65
	v_mul_hi_u32 v70, v56, v64
	v_mul_lo_u32 v64, v56, v64
	v_add_co_u32 v66, vcc_lo, v66, v67
	v_add_co_ci_u32_e32 v67, vcc_lo, 0, v68, vcc_lo
	s_delay_alu instid0(VALU_DEP_2) | instskip(NEXT) | instid1(VALU_DEP_2)
	v_add_co_u32 v65, vcc_lo, v66, v65
	v_add_co_ci_u32_e32 v65, vcc_lo, v67, v69, vcc_lo
	v_add_co_ci_u32_e32 v66, vcc_lo, 0, v70, vcc_lo
	v_ashrrev_i32_e32 v69, 31, v60
	s_delay_alu instid0(VALU_DEP_3) | instskip(NEXT) | instid1(VALU_DEP_3)
	v_add_co_u32 v64, vcc_lo, v65, v64
	v_add_co_ci_u32_e32 v65, vcc_lo, 0, v66, vcc_lo
	s_delay_alu instid0(VALU_DEP_2) | instskip(NEXT) | instid1(VALU_DEP_2)
	v_add_co_u32 v55, vcc_lo, v55, v64
	v_add_co_ci_u32_e32 v56, vcc_lo, v56, v65, vcc_lo
	s_delay_alu instid0(VALU_DEP_2) | instskip(SKIP_1) | instid1(VALU_DEP_3)
	v_mul_hi_u32 v64, s1, v55
	v_mul_lo_u32 v66, s3, v55
	v_mul_lo_u32 v65, s1, v56
	s_delay_alu instid0(VALU_DEP_1) | instskip(SKIP_1) | instid1(VALU_DEP_2)
	v_add_nc_u32_e32 v64, v64, v65
	v_mul_lo_u32 v65, s1, v55
	v_add_nc_u32_e32 v64, v64, v66
	s_delay_alu instid0(VALU_DEP_2) | instskip(NEXT) | instid1(VALU_DEP_2)
	v_mul_hi_u32 v66, v55, v65
	v_mul_lo_u32 v67, v55, v64
	v_mul_hi_u32 v68, v55, v64
	v_mul_hi_u32 v70, v56, v65
	v_mul_lo_u32 v65, v56, v65
	v_mul_hi_u32 v71, v56, v64
	v_mul_lo_u32 v64, v56, v64
	v_add_co_u32 v66, vcc_lo, v66, v67
	v_add_co_ci_u32_e32 v67, vcc_lo, 0, v68, vcc_lo
	s_delay_alu instid0(VALU_DEP_2) | instskip(NEXT) | instid1(VALU_DEP_2)
	v_add_co_u32 v65, vcc_lo, v66, v65
	v_add_co_ci_u32_e32 v65, vcc_lo, v67, v70, vcc_lo
	v_add_co_ci_u32_e32 v66, vcc_lo, 0, v71, vcc_lo
	v_add_co_u32 v67, vcc_lo, v59, v69
	v_add_co_ci_u32_e32 v68, vcc_lo, v60, v69, vcc_lo
	s_delay_alu instid0(VALU_DEP_4) | instskip(NEXT) | instid1(VALU_DEP_4)
	v_add_co_u32 v64, vcc_lo, v65, v64
	v_add_co_ci_u32_e32 v65, vcc_lo, 0, v66, vcc_lo
	s_delay_alu instid0(VALU_DEP_4) | instskip(NEXT) | instid1(VALU_DEP_3)
	v_xor_b32_e32 v70, v67, v69
	v_add_co_u32 v66, vcc_lo, v55, v64
	s_delay_alu instid0(VALU_DEP_3) | instskip(SKIP_1) | instid1(VALU_DEP_3)
	v_add_co_ci_u32_e32 v71, vcc_lo, v56, v65, vcc_lo
	v_xor_b32_e32 v68, v68, v69
	v_mul_hi_u32 v72, v70, v66
	s_delay_alu instid0(VALU_DEP_3) | instskip(NEXT) | instid1(VALU_DEP_3)
	v_mad_u64_u32 v[55:56], null, v70, v71, 0
	v_mad_u64_u32 v[64:65], null, v68, v66, 0
	;; [unrolled: 1-line block ×3, first 2 shown]
	s_delay_alu instid0(VALU_DEP_3) | instskip(NEXT) | instid1(VALU_DEP_4)
	v_add_co_u32 v55, vcc_lo, v72, v55
	v_add_co_ci_u32_e32 v56, vcc_lo, 0, v56, vcc_lo
	s_delay_alu instid0(VALU_DEP_2) | instskip(NEXT) | instid1(VALU_DEP_2)
	v_add_co_u32 v55, vcc_lo, v55, v64
	v_add_co_ci_u32_e32 v55, vcc_lo, v56, v65, vcc_lo
	v_add_co_ci_u32_e32 v56, vcc_lo, 0, v67, vcc_lo
	s_delay_alu instid0(VALU_DEP_2) | instskip(NEXT) | instid1(VALU_DEP_2)
	v_add_co_u32 v64, vcc_lo, v55, v66
	v_add_co_ci_u32_e32 v65, vcc_lo, 0, v56, vcc_lo
	s_delay_alu instid0(VALU_DEP_2) | instskip(SKIP_1) | instid1(VALU_DEP_3)
	v_mul_lo_u32 v66, s5, v64
	v_mad_u64_u32 v[55:56], null, s4, v64, 0
	v_mul_lo_u32 v67, s4, v65
	s_delay_alu instid0(VALU_DEP_2) | instskip(NEXT) | instid1(VALU_DEP_2)
	v_sub_co_u32 v55, vcc_lo, v70, v55
	v_add3_u32 v56, v56, v67, v66
	s_delay_alu instid0(VALU_DEP_1) | instskip(NEXT) | instid1(VALU_DEP_1)
	v_sub_nc_u32_e32 v66, v68, v56
	v_subrev_co_ci_u32_e64 v66, s1, s5, v66, vcc_lo
	v_add_co_u32 v67, s1, v64, 2
	s_delay_alu instid0(VALU_DEP_1) | instskip(SKIP_3) | instid1(VALU_DEP_3)
	v_add_co_ci_u32_e64 v70, s1, 0, v65, s1
	v_sub_co_u32 v71, s1, v55, s4
	v_sub_co_ci_u32_e32 v56, vcc_lo, v68, v56, vcc_lo
	v_subrev_co_ci_u32_e64 v66, s1, 0, v66, s1
	v_cmp_le_u32_e32 vcc_lo, s4, v71
	s_delay_alu instid0(VALU_DEP_3) | instskip(SKIP_1) | instid1(VALU_DEP_4)
	v_cmp_eq_u32_e64 s1, s5, v56
	v_cndmask_b32_e64 v68, 0, -1, vcc_lo
	v_cmp_le_u32_e32 vcc_lo, s5, v66
	v_cndmask_b32_e64 v71, 0, -1, vcc_lo
	v_cmp_le_u32_e32 vcc_lo, s4, v55
	;; [unrolled: 2-line block ×3, first 2 shown]
	v_cndmask_b32_e64 v72, 0, -1, vcc_lo
	v_cmp_eq_u32_e32 vcc_lo, s5, v66
	s_delay_alu instid0(VALU_DEP_2) | instskip(SKIP_3) | instid1(VALU_DEP_3)
	v_cndmask_b32_e64 v55, v72, v55, s1
	v_cndmask_b32_e32 v66, v71, v68, vcc_lo
	v_add_co_u32 v68, vcc_lo, v64, 1
	v_add_co_ci_u32_e32 v71, vcc_lo, 0, v65, vcc_lo
	v_cmp_ne_u32_e32 vcc_lo, 0, v66
	s_delay_alu instid0(VALU_DEP_2) | instskip(NEXT) | instid1(VALU_DEP_4)
	v_cndmask_b32_e32 v56, v71, v70, vcc_lo
	v_cndmask_b32_e32 v66, v68, v67, vcc_lo
	v_cmp_ne_u32_e32 vcc_lo, 0, v55
	v_xor_b32_e32 v67, s2, v69
	s_delay_alu instid0(VALU_DEP_3) | instskip(NEXT) | instid1(VALU_DEP_1)
	v_dual_cndmask_b32 v55, v65, v56 :: v_dual_cndmask_b32 v56, v64, v66
	v_xor_b32_e32 v64, v55, v67
	s_delay_alu instid0(VALU_DEP_2) | instskip(NEXT) | instid1(VALU_DEP_1)
	v_xor_b32_e32 v56, v56, v67
	v_sub_co_u32 v55, vcc_lo, v56, v67
	s_delay_alu instid0(VALU_DEP_3)
	v_sub_co_ci_u32_e32 v56, vcc_lo, v64, v67, vcc_lo
.LBB1159_295:
	s_and_not1_saveexec_b32 s1, s7
	s_cbranch_execz .LBB1159_297
; %bb.296:
	v_cvt_f32_u32_e32 v55, s44
	s_sub_i32 s2, 0, s44
	s_delay_alu instid0(VALU_DEP_1) | instskip(SKIP_2) | instid1(VALU_DEP_1)
	v_rcp_iflag_f32_e32 v55, v55
	s_waitcnt_depctr 0xfff
	v_mul_f32_e32 v55, 0x4f7ffffe, v55
	v_cvt_u32_f32_e32 v55, v55
	s_delay_alu instid0(VALU_DEP_1) | instskip(NEXT) | instid1(VALU_DEP_1)
	v_mul_lo_u32 v56, s2, v55
	v_mul_hi_u32 v56, v55, v56
	s_delay_alu instid0(VALU_DEP_1) | instskip(NEXT) | instid1(VALU_DEP_1)
	v_add_nc_u32_e32 v55, v55, v56
	v_mul_hi_u32 v55, v59, v55
	s_delay_alu instid0(VALU_DEP_1) | instskip(SKIP_1) | instid1(VALU_DEP_2)
	v_mul_lo_u32 v56, v55, s44
	v_add_nc_u32_e32 v64, 1, v55
	v_sub_nc_u32_e32 v56, v59, v56
	s_delay_alu instid0(VALU_DEP_1) | instskip(SKIP_1) | instid1(VALU_DEP_2)
	v_subrev_nc_u32_e32 v65, s44, v56
	v_cmp_le_u32_e32 vcc_lo, s44, v56
	v_dual_cndmask_b32 v56, v56, v65 :: v_dual_cndmask_b32 v55, v55, v64
	s_delay_alu instid0(VALU_DEP_1) | instskip(SKIP_1) | instid1(VALU_DEP_3)
	v_cmp_le_u32_e32 vcc_lo, s44, v56
	v_mov_b32_e32 v56, 0
	v_add_nc_u32_e32 v64, 1, v55
	s_delay_alu instid0(VALU_DEP_1)
	v_cndmask_b32_e32 v55, v55, v64, vcc_lo
.LBB1159_297:
	s_or_b32 exec_lo, exec_lo, s1
	s_delay_alu instid0(VALU_DEP_1) | instskip(NEXT) | instid1(VALU_DEP_2)
	v_mul_lo_u32 v66, v56, s44
	v_mul_lo_u32 v67, v55, s45
	v_mad_u64_u32 v[64:65], null, v55, s44, 0
	s_delay_alu instid0(VALU_DEP_1) | instskip(NEXT) | instid1(VALU_DEP_2)
	v_add3_u32 v65, v65, v67, v66
	v_sub_co_u32 v59, vcc_lo, v59, v64
	s_delay_alu instid0(VALU_DEP_2) | instskip(NEXT) | instid1(VALU_DEP_2)
	v_sub_co_ci_u32_e32 v60, vcc_lo, v60, v65, vcc_lo
	v_add_co_u32 v55, vcc_lo, v55, v59
	s_delay_alu instid0(VALU_DEP_2)
	v_add_co_ci_u32_e32 v56, vcc_lo, v56, v60, vcc_lo
	s_or_b32 exec_lo, exec_lo, s6
                                        ; implicit-def: $vgpr59_vgpr60
	s_and_saveexec_b32 s1, s0
	s_cbranch_execz .LBB1159_303
.LBB1159_298:
	v_add_co_u32 v63, s0, s30, v63
	s_delay_alu instid0(VALU_DEP_1) | instskip(SKIP_1) | instid1(VALU_DEP_2)
	v_add_co_ci_u32_e64 v64, null, s31, 0, s0
	v_mov_b32_e32 v59, 0
	v_or_b32_e32 v60, s45, v64
	s_delay_alu instid0(VALU_DEP_1) | instskip(SKIP_1) | instid1(SALU_CYCLE_1)
	v_cmp_ne_u64_e32 vcc_lo, 0, v[59:60]
                                        ; implicit-def: $vgpr59_vgpr60
	s_and_saveexec_b32 s0, vcc_lo
	s_xor_b32 s6, exec_lo, s0
	s_cbranch_execz .LBB1159_300
; %bb.299:
	s_ashr_i32 s2, s45, 31
	s_delay_alu instid0(SALU_CYCLE_1) | instskip(SKIP_2) | instid1(SALU_CYCLE_1)
	s_add_u32 s4, s44, s2
	s_mov_b32 s3, s2
	s_addc_u32 s5, s45, s2
	s_xor_b64 s[4:5], s[4:5], s[2:3]
	s_delay_alu instid0(SALU_CYCLE_1) | instskip(SKIP_3) | instid1(VALU_DEP_1)
	v_cvt_f32_u32_e32 v59, s4
	v_cvt_f32_u32_e32 v60, s5
	s_sub_u32 s0, 0, s4
	s_subb_u32 s3, 0, s5
	v_fmamk_f32 v59, v60, 0x4f800000, v59
	s_delay_alu instid0(VALU_DEP_1) | instskip(SKIP_2) | instid1(VALU_DEP_1)
	v_rcp_f32_e32 v59, v59
	s_waitcnt_depctr 0xfff
	v_mul_f32_e32 v59, 0x5f7ffffc, v59
	v_mul_f32_e32 v60, 0x2f800000, v59
	s_delay_alu instid0(VALU_DEP_1) | instskip(NEXT) | instid1(VALU_DEP_1)
	v_trunc_f32_e32 v60, v60
	v_fmamk_f32 v59, v60, 0xcf800000, v59
	v_cvt_u32_f32_e32 v60, v60
	s_delay_alu instid0(VALU_DEP_2) | instskip(NEXT) | instid1(VALU_DEP_2)
	v_cvt_u32_f32_e32 v59, v59
	v_mul_lo_u32 v65, s0, v60
	s_delay_alu instid0(VALU_DEP_2) | instskip(SKIP_1) | instid1(VALU_DEP_2)
	v_mul_hi_u32 v66, s0, v59
	v_mul_lo_u32 v67, s3, v59
	v_add_nc_u32_e32 v65, v66, v65
	v_mul_lo_u32 v66, s0, v59
	s_delay_alu instid0(VALU_DEP_2) | instskip(NEXT) | instid1(VALU_DEP_2)
	v_add_nc_u32_e32 v65, v65, v67
	v_mul_hi_u32 v67, v59, v66
	s_delay_alu instid0(VALU_DEP_2)
	v_mul_lo_u32 v68, v59, v65
	v_mul_hi_u32 v69, v59, v65
	v_mul_hi_u32 v70, v60, v66
	v_mul_lo_u32 v66, v60, v66
	v_mul_hi_u32 v71, v60, v65
	v_mul_lo_u32 v65, v60, v65
	v_add_co_u32 v67, vcc_lo, v67, v68
	v_add_co_ci_u32_e32 v68, vcc_lo, 0, v69, vcc_lo
	s_delay_alu instid0(VALU_DEP_2) | instskip(NEXT) | instid1(VALU_DEP_2)
	v_add_co_u32 v66, vcc_lo, v67, v66
	v_add_co_ci_u32_e32 v66, vcc_lo, v68, v70, vcc_lo
	v_add_co_ci_u32_e32 v67, vcc_lo, 0, v71, vcc_lo
	v_ashrrev_i32_e32 v70, 31, v64
	s_delay_alu instid0(VALU_DEP_3) | instskip(NEXT) | instid1(VALU_DEP_3)
	v_add_co_u32 v65, vcc_lo, v66, v65
	v_add_co_ci_u32_e32 v66, vcc_lo, 0, v67, vcc_lo
	s_delay_alu instid0(VALU_DEP_2) | instskip(NEXT) | instid1(VALU_DEP_2)
	v_add_co_u32 v59, vcc_lo, v59, v65
	v_add_co_ci_u32_e32 v60, vcc_lo, v60, v66, vcc_lo
	s_delay_alu instid0(VALU_DEP_2) | instskip(SKIP_1) | instid1(VALU_DEP_3)
	v_mul_hi_u32 v65, s0, v59
	v_mul_lo_u32 v67, s3, v59
	v_mul_lo_u32 v66, s0, v60
	s_delay_alu instid0(VALU_DEP_1) | instskip(SKIP_1) | instid1(VALU_DEP_2)
	v_add_nc_u32_e32 v65, v65, v66
	v_mul_lo_u32 v66, s0, v59
	v_add_nc_u32_e32 v65, v65, v67
	s_delay_alu instid0(VALU_DEP_2) | instskip(NEXT) | instid1(VALU_DEP_2)
	v_mul_hi_u32 v67, v59, v66
	v_mul_lo_u32 v68, v59, v65
	v_mul_hi_u32 v69, v59, v65
	v_mul_hi_u32 v71, v60, v66
	v_mul_lo_u32 v66, v60, v66
	v_mul_hi_u32 v72, v60, v65
	v_mul_lo_u32 v65, v60, v65
	v_add_co_u32 v67, vcc_lo, v67, v68
	v_add_co_ci_u32_e32 v68, vcc_lo, 0, v69, vcc_lo
	s_delay_alu instid0(VALU_DEP_2) | instskip(NEXT) | instid1(VALU_DEP_2)
	v_add_co_u32 v66, vcc_lo, v67, v66
	v_add_co_ci_u32_e32 v66, vcc_lo, v68, v71, vcc_lo
	v_add_co_ci_u32_e32 v67, vcc_lo, 0, v72, vcc_lo
	v_add_co_u32 v68, vcc_lo, v63, v70
	v_add_co_ci_u32_e32 v69, vcc_lo, v64, v70, vcc_lo
	s_delay_alu instid0(VALU_DEP_4) | instskip(NEXT) | instid1(VALU_DEP_4)
	v_add_co_u32 v65, vcc_lo, v66, v65
	v_add_co_ci_u32_e32 v66, vcc_lo, 0, v67, vcc_lo
	s_delay_alu instid0(VALU_DEP_4) | instskip(NEXT) | instid1(VALU_DEP_3)
	v_xor_b32_e32 v71, v68, v70
	v_add_co_u32 v67, vcc_lo, v59, v65
	s_delay_alu instid0(VALU_DEP_3) | instskip(SKIP_1) | instid1(VALU_DEP_3)
	v_add_co_ci_u32_e32 v72, vcc_lo, v60, v66, vcc_lo
	v_xor_b32_e32 v69, v69, v70
	v_mul_hi_u32 v73, v71, v67
	s_delay_alu instid0(VALU_DEP_3) | instskip(NEXT) | instid1(VALU_DEP_3)
	v_mad_u64_u32 v[59:60], null, v71, v72, 0
	v_mad_u64_u32 v[65:66], null, v69, v67, 0
	;; [unrolled: 1-line block ×3, first 2 shown]
	s_delay_alu instid0(VALU_DEP_3) | instskip(NEXT) | instid1(VALU_DEP_4)
	v_add_co_u32 v59, vcc_lo, v73, v59
	v_add_co_ci_u32_e32 v60, vcc_lo, 0, v60, vcc_lo
	s_delay_alu instid0(VALU_DEP_2) | instskip(NEXT) | instid1(VALU_DEP_2)
	v_add_co_u32 v59, vcc_lo, v59, v65
	v_add_co_ci_u32_e32 v59, vcc_lo, v60, v66, vcc_lo
	v_add_co_ci_u32_e32 v60, vcc_lo, 0, v68, vcc_lo
	s_delay_alu instid0(VALU_DEP_2) | instskip(NEXT) | instid1(VALU_DEP_2)
	v_add_co_u32 v65, vcc_lo, v59, v67
	v_add_co_ci_u32_e32 v66, vcc_lo, 0, v60, vcc_lo
	s_delay_alu instid0(VALU_DEP_2) | instskip(SKIP_1) | instid1(VALU_DEP_3)
	v_mul_lo_u32 v67, s5, v65
	v_mad_u64_u32 v[59:60], null, s4, v65, 0
	v_mul_lo_u32 v68, s4, v66
	s_delay_alu instid0(VALU_DEP_2) | instskip(NEXT) | instid1(VALU_DEP_2)
	v_sub_co_u32 v59, vcc_lo, v71, v59
	v_add3_u32 v60, v60, v68, v67
	s_delay_alu instid0(VALU_DEP_1) | instskip(NEXT) | instid1(VALU_DEP_1)
	v_sub_nc_u32_e32 v67, v69, v60
	v_subrev_co_ci_u32_e64 v67, s0, s5, v67, vcc_lo
	v_add_co_u32 v68, s0, v65, 2
	s_delay_alu instid0(VALU_DEP_1) | instskip(SKIP_3) | instid1(VALU_DEP_3)
	v_add_co_ci_u32_e64 v71, s0, 0, v66, s0
	v_sub_co_u32 v72, s0, v59, s4
	v_sub_co_ci_u32_e32 v60, vcc_lo, v69, v60, vcc_lo
	v_subrev_co_ci_u32_e64 v67, s0, 0, v67, s0
	v_cmp_le_u32_e32 vcc_lo, s4, v72
	s_delay_alu instid0(VALU_DEP_3) | instskip(SKIP_1) | instid1(VALU_DEP_4)
	v_cmp_eq_u32_e64 s0, s5, v60
	v_cndmask_b32_e64 v69, 0, -1, vcc_lo
	v_cmp_le_u32_e32 vcc_lo, s5, v67
	v_cndmask_b32_e64 v72, 0, -1, vcc_lo
	v_cmp_le_u32_e32 vcc_lo, s4, v59
	;; [unrolled: 2-line block ×3, first 2 shown]
	v_cndmask_b32_e64 v73, 0, -1, vcc_lo
	v_cmp_eq_u32_e32 vcc_lo, s5, v67
	s_delay_alu instid0(VALU_DEP_2) | instskip(SKIP_3) | instid1(VALU_DEP_3)
	v_cndmask_b32_e64 v59, v73, v59, s0
	v_cndmask_b32_e32 v67, v72, v69, vcc_lo
	v_add_co_u32 v69, vcc_lo, v65, 1
	v_add_co_ci_u32_e32 v72, vcc_lo, 0, v66, vcc_lo
	v_cmp_ne_u32_e32 vcc_lo, 0, v67
	s_delay_alu instid0(VALU_DEP_2) | instskip(SKIP_2) | instid1(VALU_DEP_3)
	v_dual_cndmask_b32 v60, v72, v71 :: v_dual_cndmask_b32 v67, v69, v68
	v_cmp_ne_u32_e32 vcc_lo, 0, v59
	v_xor_b32_e32 v68, s2, v70
	v_dual_cndmask_b32 v59, v66, v60 :: v_dual_cndmask_b32 v60, v65, v67
	s_delay_alu instid0(VALU_DEP_1) | instskip(NEXT) | instid1(VALU_DEP_2)
	v_xor_b32_e32 v65, v59, v68
	v_xor_b32_e32 v60, v60, v68
	s_delay_alu instid0(VALU_DEP_1) | instskip(NEXT) | instid1(VALU_DEP_3)
	v_sub_co_u32 v59, vcc_lo, v60, v68
	v_sub_co_ci_u32_e32 v60, vcc_lo, v65, v68, vcc_lo
.LBB1159_300:
	s_and_not1_saveexec_b32 s0, s6
	s_cbranch_execz .LBB1159_302
; %bb.301:
	v_cvt_f32_u32_e32 v59, s44
	s_sub_i32 s2, 0, s44
	s_delay_alu instid0(VALU_DEP_1) | instskip(SKIP_2) | instid1(VALU_DEP_1)
	v_rcp_iflag_f32_e32 v59, v59
	s_waitcnt_depctr 0xfff
	v_mul_f32_e32 v59, 0x4f7ffffe, v59
	v_cvt_u32_f32_e32 v59, v59
	s_delay_alu instid0(VALU_DEP_1) | instskip(NEXT) | instid1(VALU_DEP_1)
	v_mul_lo_u32 v60, s2, v59
	v_mul_hi_u32 v60, v59, v60
	s_delay_alu instid0(VALU_DEP_1) | instskip(NEXT) | instid1(VALU_DEP_1)
	v_add_nc_u32_e32 v59, v59, v60
	v_mul_hi_u32 v59, v63, v59
	s_delay_alu instid0(VALU_DEP_1) | instskip(SKIP_1) | instid1(VALU_DEP_2)
	v_mul_lo_u32 v60, v59, s44
	v_add_nc_u32_e32 v65, 1, v59
	v_sub_nc_u32_e32 v60, v63, v60
	s_delay_alu instid0(VALU_DEP_1) | instskip(SKIP_1) | instid1(VALU_DEP_2)
	v_subrev_nc_u32_e32 v66, s44, v60
	v_cmp_le_u32_e32 vcc_lo, s44, v60
	v_dual_cndmask_b32 v60, v60, v66 :: v_dual_cndmask_b32 v59, v59, v65
	s_delay_alu instid0(VALU_DEP_1) | instskip(NEXT) | instid1(VALU_DEP_2)
	v_cmp_le_u32_e32 vcc_lo, s44, v60
	v_dual_mov_b32 v60, 0 :: v_dual_add_nc_u32 v65, 1, v59
	s_delay_alu instid0(VALU_DEP_1)
	v_cndmask_b32_e32 v59, v59, v65, vcc_lo
.LBB1159_302:
	s_or_b32 exec_lo, exec_lo, s0
	s_delay_alu instid0(VALU_DEP_1) | instskip(NEXT) | instid1(VALU_DEP_2)
	v_mul_lo_u32 v67, v60, s44
	v_mul_lo_u32 v68, v59, s45
	v_mad_u64_u32 v[65:66], null, v59, s44, 0
	s_delay_alu instid0(VALU_DEP_1) | instskip(NEXT) | instid1(VALU_DEP_2)
	v_add3_u32 v66, v66, v68, v67
	v_sub_co_u32 v63, vcc_lo, v63, v65
	s_delay_alu instid0(VALU_DEP_2) | instskip(NEXT) | instid1(VALU_DEP_2)
	v_sub_co_ci_u32_e32 v64, vcc_lo, v64, v66, vcc_lo
	v_add_co_u32 v59, vcc_lo, v59, v63
	s_delay_alu instid0(VALU_DEP_2)
	v_add_co_ci_u32_e32 v60, vcc_lo, v60, v64, vcc_lo
.LBB1159_303:
	s_or_b32 exec_lo, exec_lo, s1
	ds_store_2addr_stride64_b64 v62, v[29:30], v[31:32] offset1:4
	ds_store_2addr_stride64_b64 v62, v[33:34], v[35:36] offset0:8 offset1:12
	ds_store_2addr_stride64_b64 v62, v[37:38], v[39:40] offset0:16 offset1:20
	;; [unrolled: 1-line block ×6, first 2 shown]
	ds_store_b64 v62, v[59:60] offset:28672
	s_waitcnt lgkmcnt(0)
	s_barrier
.LBB1159_304:
	s_waitcnt lgkmcnt(0)
	buffer_gl0_inv
	ds_load_2addr_b64 v[53:56], v61 offset1:1
	ds_load_2addr_b64 v[49:52], v61 offset0:2 offset1:3
	ds_load_2addr_b64 v[45:48], v61 offset0:4 offset1:5
	;; [unrolled: 1-line block ×6, first 2 shown]
	ds_load_b64 v[59:60], v61 offset:112
	s_cmp_eq_u64 s[18:19], 0
	s_waitcnt lgkmcnt(0)
	s_cselect_b32 s34, -1, 0
	s_cmp_lg_u64 s[18:19], 0
	s_barrier
	s_cselect_b32 s14, -1, 0
	s_and_b32 vcc_lo, exec_lo, s26
	buffer_gl0_inv
	s_cbranch_vccz .LBB1159_313
; %bb.305:
	s_and_b32 vcc_lo, exec_lo, s14
	s_cbranch_vccz .LBB1159_314
; %bb.306:
	s_add_u32 s2, s24, -1
	s_addc_u32 s3, s25, -1
	s_delay_alu instid0(SALU_CYCLE_1) | instskip(SKIP_1) | instid1(SALU_CYCLE_1)
	s_or_b64 s[4:5], s[2:3], s[38:39]
	s_mov_b32 s4, 0
	s_cmp_lg_u64 s[4:5], 0
	s_cbranch_scc0 .LBB1159_535
; %bb.307:
	s_ashr_i32 s6, s39, 31
	s_delay_alu instid0(SALU_CYCLE_1) | instskip(SKIP_2) | instid1(SALU_CYCLE_1)
	s_add_u32 s0, s38, s6
	s_mov_b32 s7, s6
	s_addc_u32 s1, s39, s6
	s_xor_b64 s[0:1], s[0:1], s[6:7]
	s_delay_alu instid0(SALU_CYCLE_1) | instskip(SKIP_3) | instid1(VALU_DEP_1)
	v_cvt_f32_u32_e32 v61, s0
	v_cvt_f32_u32_e32 v62, s1
	s_sub_u32 s9, 0, s0
	s_subb_u32 s10, 0, s1
	v_fmamk_f32 v61, v62, 0x4f800000, v61
	s_delay_alu instid0(VALU_DEP_1) | instskip(SKIP_2) | instid1(VALU_DEP_1)
	v_rcp_f32_e32 v61, v61
	s_waitcnt_depctr 0xfff
	v_mul_f32_e32 v61, 0x5f7ffffc, v61
	v_mul_f32_e32 v62, 0x2f800000, v61
	s_delay_alu instid0(VALU_DEP_1) | instskip(NEXT) | instid1(VALU_DEP_1)
	v_trunc_f32_e32 v62, v62
	v_fmamk_f32 v61, v62, 0xcf800000, v61
	v_cvt_u32_f32_e32 v62, v62
	s_delay_alu instid0(VALU_DEP_2) | instskip(NEXT) | instid1(VALU_DEP_2)
	v_cvt_u32_f32_e32 v61, v61
	v_readfirstlane_b32 s5, v62
	s_delay_alu instid0(VALU_DEP_2) | instskip(NEXT) | instid1(VALU_DEP_2)
	v_readfirstlane_b32 s8, v61
	s_mul_i32 s11, s9, s5
	s_delay_alu instid0(VALU_DEP_1)
	s_mul_hi_u32 s13, s9, s8
	s_mul_i32 s12, s10, s8
	s_add_i32 s11, s13, s11
	s_mul_i32 s16, s9, s8
	s_add_i32 s11, s11, s12
	s_mul_hi_u32 s13, s8, s16
	s_mul_hi_u32 s17, s5, s16
	s_mul_i32 s12, s5, s16
	s_mul_hi_u32 s16, s8, s11
	s_mul_i32 s8, s8, s11
	s_mul_hi_u32 s20, s5, s11
	s_add_u32 s8, s13, s8
	s_addc_u32 s13, 0, s16
	s_add_u32 s8, s8, s12
	s_mul_i32 s11, s5, s11
	s_addc_u32 s8, s13, s17
	s_addc_u32 s12, s20, 0
	s_add_u32 s8, s8, s11
	s_addc_u32 s11, 0, s12
	v_add_co_u32 v61, s8, v61, s8
	s_delay_alu instid0(VALU_DEP_1) | instskip(SKIP_1) | instid1(VALU_DEP_1)
	s_cmp_lg_u32 s8, 0
	s_addc_u32 s5, s5, s11
	v_readfirstlane_b32 s8, v61
	s_mul_i32 s11, s9, s5
	s_delay_alu instid0(VALU_DEP_1)
	s_mul_hi_u32 s12, s9, s8
	s_mul_i32 s10, s10, s8
	s_add_i32 s11, s12, s11
	s_mul_i32 s9, s9, s8
	s_add_i32 s11, s11, s10
	s_mul_hi_u32 s12, s5, s9
	s_mul_i32 s13, s5, s9
	s_mul_hi_u32 s9, s8, s9
	s_mul_hi_u32 s16, s8, s11
	s_mul_i32 s8, s8, s11
	s_mul_hi_u32 s10, s5, s11
	s_add_u32 s8, s9, s8
	s_addc_u32 s9, 0, s16
	s_add_u32 s8, s8, s13
	s_mul_i32 s11, s5, s11
	s_addc_u32 s8, s9, s12
	s_addc_u32 s9, s10, 0
	s_add_u32 s8, s8, s11
	s_addc_u32 s9, 0, s9
	v_add_co_u32 v61, s8, v61, s8
	s_delay_alu instid0(VALU_DEP_1) | instskip(SKIP_2) | instid1(SALU_CYCLE_1)
	s_cmp_lg_u32 s8, 0
	s_addc_u32 s5, s5, s9
	s_ashr_i32 s8, s3, 31
	s_add_u32 s10, s2, s8
	s_addc_u32 s11, s3, s8
	v_readfirstlane_b32 s3, v61
	s_mov_b32 s9, s8
	s_delay_alu instid0(SALU_CYCLE_1) | instskip(NEXT) | instid1(SALU_CYCLE_1)
	s_xor_b64 s[10:11], s[10:11], s[8:9]
	s_mul_i32 s13, s10, s5
	s_delay_alu instid0(VALU_DEP_1)
	s_mul_hi_u32 s16, s10, s3
	s_mul_hi_u32 s12, s10, s5
	;; [unrolled: 1-line block ×3, first 2 shown]
	s_mul_i32 s3, s11, s3
	s_add_u32 s13, s16, s13
	s_addc_u32 s12, 0, s12
	s_mul_hi_u32 s17, s11, s5
	s_add_u32 s3, s13, s3
	s_mul_i32 s5, s11, s5
	s_addc_u32 s3, s12, s20
	s_addc_u32 s12, s17, 0
	s_add_u32 s3, s3, s5
	s_addc_u32 s5, 0, s12
	s_mul_i32 s17, s0, s3
	s_mul_hi_u32 s12, s0, s3
	s_mul_i32 s16, s0, s5
	v_sub_co_u32 v61, s10, s10, s17
	s_mul_i32 s13, s1, s3
	s_add_i32 s12, s12, s16
	s_delay_alu instid0(SALU_CYCLE_1) | instskip(NEXT) | instid1(VALU_DEP_1)
	s_add_i32 s12, s12, s13
	v_sub_co_u32 v62, s16, v61, s0
	s_sub_i32 s13, s11, s12
	s_cmp_lg_u32 s10, 0
	s_subb_u32 s13, s13, s1
	s_cmp_lg_u32 s16, 0
	v_cmp_le_u32_e32 vcc_lo, s0, v62
	s_subb_u32 s13, s13, 0
	s_delay_alu instid0(SALU_CYCLE_1)
	s_cmp_ge_u32 s13, s1
	v_cndmask_b32_e64 v62, 0, -1, vcc_lo
	s_cselect_b32 s16, -1, 0
	s_cmp_eq_u32 s13, s1
	s_cselect_b32 vcc_lo, -1, 0
	s_add_u32 s13, s3, 1
	v_cndmask_b32_e32 v62, s16, v62, vcc_lo
	s_addc_u32 s16, s5, 0
	s_add_u32 s17, s3, 2
	s_addc_u32 s20, s5, 0
	v_mov_b32_e32 v63, s17
	s_cmp_lg_u32 s10, 0
	v_cmp_le_u32_e32 vcc_lo, s0, v61
	s_subb_u32 s0, s11, s12
	s_delay_alu instid0(SALU_CYCLE_1)
	s_cmp_ge_u32 s0, s1
	v_cndmask_b32_e64 v61, 0, -1, vcc_lo
	s_cselect_b32 s10, -1, 0
	s_cmp_eq_u32 s0, s1
	v_cmp_ne_u32_e32 vcc_lo, 0, v62
	s_cselect_b32 s0, -1, 0
	v_mov_b32_e32 v62, s20
	v_cndmask_b32_e64 v61, s10, v61, s0
	s_xor_b64 s[0:1], s[8:9], s[6:7]
	v_cndmask_b32_e32 v63, s13, v63, vcc_lo
	s_delay_alu instid0(VALU_DEP_3) | instskip(NEXT) | instid1(VALU_DEP_3)
	v_cndmask_b32_e32 v62, s16, v62, vcc_lo
	v_cmp_ne_u32_e32 vcc_lo, 0, v61
	s_delay_alu instid0(VALU_DEP_2) | instskip(NEXT) | instid1(VALU_DEP_4)
	v_cndmask_b32_e32 v61, s5, v62, vcc_lo
	v_cndmask_b32_e32 v62, s3, v63, vcc_lo
	s_delay_alu instid0(VALU_DEP_2) | instskip(NEXT) | instid1(VALU_DEP_2)
	v_xor_b32_e32 v63, s1, v61
	v_xor_b32_e32 v62, s0, v62
	s_delay_alu instid0(VALU_DEP_1) | instskip(NEXT) | instid1(VALU_DEP_3)
	v_sub_co_u32 v61, vcc_lo, v62, s0
	v_subrev_co_ci_u32_e32 v62, vcc_lo, s1, v63, vcc_lo
	s_and_not1_b32 vcc_lo, exec_lo, s4
	s_cbranch_vccnz .LBB1159_309
.LBB1159_308:
	v_cvt_f32_u32_e32 v61, s38
	s_sub_i32 s1, 0, s38
	s_delay_alu instid0(VALU_DEP_1) | instskip(SKIP_2) | instid1(VALU_DEP_1)
	v_rcp_iflag_f32_e32 v61, v61
	s_waitcnt_depctr 0xfff
	v_mul_f32_e32 v61, 0x4f7ffffe, v61
	v_cvt_u32_f32_e32 v61, v61
	s_delay_alu instid0(VALU_DEP_1) | instskip(NEXT) | instid1(VALU_DEP_1)
	v_readfirstlane_b32 s0, v61
	s_mul_i32 s1, s1, s0
	s_delay_alu instid0(SALU_CYCLE_1) | instskip(NEXT) | instid1(SALU_CYCLE_1)
	s_mul_hi_u32 s1, s0, s1
	s_add_i32 s0, s0, s1
	s_delay_alu instid0(SALU_CYCLE_1) | instskip(NEXT) | instid1(SALU_CYCLE_1)
	s_mul_hi_u32 s0, s2, s0
	s_mul_i32 s1, s0, s38
	s_delay_alu instid0(SALU_CYCLE_1)
	s_sub_i32 s1, s2, s1
	s_add_i32 s2, s0, 1
	s_sub_i32 s3, s1, s38
	s_cmp_ge_u32 s1, s38
	s_cselect_b32 s0, s2, s0
	s_cselect_b32 s1, s3, s1
	s_add_i32 s2, s0, 1
	s_cmp_ge_u32 s1, s38
	s_mov_b32 s1, 0
	s_cselect_b32 s0, s2, s0
	s_delay_alu instid0(SALU_CYCLE_1)
	v_dual_mov_b32 v62, s1 :: v_dual_mov_b32 v61, s0
.LBB1159_309:
	v_cmp_ne_u64_e64 s0, v[3:4], v[57:58]
	v_cmp_ne_u64_e64 s1, v[1:2], v[3:4]
	;; [unrolled: 1-line block ×13, first 2 shown]
	v_cmp_ne_u64_e32 vcc_lo, v[25:26], v[27:28]
	v_lshlrev_b32_e32 v63, 3, v0
	s_mov_b32 s16, 0
	s_mov_b32 s17, exec_lo
	ds_store_b64 v63, v[57:58]
	s_waitcnt lgkmcnt(0)
	s_barrier
	buffer_gl0_inv
	v_cmpx_ne_u32_e32 0, v0
	s_cbranch_execz .LBB1159_311
; %bb.310:
	v_add_nc_u32_e32 v61, -8, v63
	ds_load_b64 v[61:62], v61
.LBB1159_311:
	s_or_b32 exec_lo, exec_lo, s17
	v_cndmask_b32_e64 v105, 0, 1, s0
	v_cndmask_b32_e64 v99, 0, 1, s1
	;; [unrolled: 1-line block ×13, first 2 shown]
	s_waitcnt lgkmcnt(0)
	v_cmp_ne_u64_e64 s0, v[61:62], v[25:26]
	v_cndmask_b32_e64 v112, 0, 1, vcc_lo
	s_mov_b32 s23, -1
	s_and_b32 vcc_lo, exec_lo, s16
	s_cbranch_vccnz .LBB1159_315
.LBB1159_312:
                                        ; implicit-def: $sgpr1
	s_branch .LBB1159_329
.LBB1159_313:
	s_mov_b32 s23, 0
                                        ; implicit-def: $sgpr0
                                        ; implicit-def: $vgpr105
                                        ; implicit-def: $vgpr99
                                        ; implicit-def: $vgpr100
                                        ; implicit-def: $vgpr101
                                        ; implicit-def: $vgpr102
                                        ; implicit-def: $vgpr103
                                        ; implicit-def: $vgpr104
                                        ; implicit-def: $vgpr106
                                        ; implicit-def: $vgpr107
                                        ; implicit-def: $vgpr108
                                        ; implicit-def: $vgpr109
                                        ; implicit-def: $vgpr110
                                        ; implicit-def: $vgpr111
                                        ; implicit-def: $vgpr112
                                        ; implicit-def: $sgpr1
	s_cbranch_execnz .LBB1159_318
	s_branch .LBB1159_329
.LBB1159_314:
	s_mov_b32 s23, 0
                                        ; implicit-def: $sgpr0
                                        ; implicit-def: $vgpr105
                                        ; implicit-def: $vgpr99
                                        ; implicit-def: $vgpr100
                                        ; implicit-def: $vgpr101
                                        ; implicit-def: $vgpr102
                                        ; implicit-def: $vgpr103
                                        ; implicit-def: $vgpr104
                                        ; implicit-def: $vgpr106
                                        ; implicit-def: $vgpr107
                                        ; implicit-def: $vgpr108
                                        ; implicit-def: $vgpr109
                                        ; implicit-def: $vgpr110
                                        ; implicit-def: $vgpr111
                                        ; implicit-def: $vgpr112
	s_cbranch_execz .LBB1159_312
.LBB1159_315:
	v_cmp_ne_u64_e32 vcc_lo, v[3:4], v[57:58]
	v_lshlrev_b32_e32 v61, 3, v0
	s_mov_b32 s1, exec_lo
                                        ; implicit-def: $sgpr0
	ds_store_b64 v61, v[57:58]
	v_cndmask_b32_e64 v105, 0, 1, vcc_lo
	v_cmp_ne_u64_e32 vcc_lo, v[1:2], v[3:4]
	s_waitcnt lgkmcnt(0)
	s_barrier
	buffer_gl0_inv
	v_cndmask_b32_e64 v99, 0, 1, vcc_lo
	v_cmp_ne_u64_e32 vcc_lo, v[7:8], v[1:2]
	v_cndmask_b32_e64 v100, 0, 1, vcc_lo
	v_cmp_ne_u64_e32 vcc_lo, v[5:6], v[7:8]
	;; [unrolled: 2-line block ×12, first 2 shown]
	v_cndmask_b32_e64 v112, 0, 1, vcc_lo
	v_cmpx_ne_u32_e32 0, v0
	s_xor_b32 s1, exec_lo, s1
	s_cbranch_execz .LBB1159_317
; %bb.316:
	v_add_nc_u32_e32 v61, -8, v61
	s_or_b32 s23, s23, exec_lo
	ds_load_b64 v[61:62], v61
	s_waitcnt lgkmcnt(0)
	v_cmp_ne_u64_e32 vcc_lo, v[61:62], v[25:26]
	s_and_b32 s0, vcc_lo, exec_lo
.LBB1159_317:
	s_or_b32 exec_lo, exec_lo, s1
	s_mov_b32 s1, 1
	s_branch .LBB1159_329
.LBB1159_318:
	s_mul_hi_u32 s0, s18, 0xfffff100
	s_mul_i32 s1, s19, 0xfffff100
	s_sub_i32 s0, s0, s18
	s_mul_i32 s2, s18, 0xfffff100
	s_add_i32 s0, s0, s1
	s_add_u32 s30, s2, s64
	s_addc_u32 s31, s0, s65
	s_and_b32 vcc_lo, exec_lo, s14
	s_cbranch_vccz .LBB1159_326
; %bb.319:
	s_add_u32 s2, s24, -1
	s_addc_u32 s3, s25, -1
	s_delay_alu instid0(SALU_CYCLE_1) | instskip(SKIP_1) | instid1(SALU_CYCLE_1)
	s_or_b64 s[4:5], s[2:3], s[38:39]
	s_mov_b32 s4, 0
	s_cmp_lg_u64 s[4:5], 0
	s_cbranch_scc0 .LBB1159_536
; %bb.320:
	s_ashr_i32 s6, s39, 31
	s_delay_alu instid0(SALU_CYCLE_1) | instskip(SKIP_2) | instid1(SALU_CYCLE_1)
	s_add_u32 s0, s38, s6
	s_mov_b32 s7, s6
	s_addc_u32 s1, s39, s6
	s_xor_b64 s[0:1], s[0:1], s[6:7]
	s_delay_alu instid0(SALU_CYCLE_1) | instskip(SKIP_3) | instid1(VALU_DEP_1)
	v_cvt_f32_u32_e32 v61, s0
	v_cvt_f32_u32_e32 v62, s1
	s_sub_u32 s9, 0, s0
	s_subb_u32 s10, 0, s1
	v_fmamk_f32 v61, v62, 0x4f800000, v61
	s_delay_alu instid0(VALU_DEP_1) | instskip(SKIP_2) | instid1(VALU_DEP_1)
	v_rcp_f32_e32 v61, v61
	s_waitcnt_depctr 0xfff
	v_mul_f32_e32 v61, 0x5f7ffffc, v61
	v_mul_f32_e32 v62, 0x2f800000, v61
	s_delay_alu instid0(VALU_DEP_1) | instskip(NEXT) | instid1(VALU_DEP_1)
	v_trunc_f32_e32 v62, v62
	v_fmamk_f32 v61, v62, 0xcf800000, v61
	v_cvt_u32_f32_e32 v62, v62
	s_delay_alu instid0(VALU_DEP_2) | instskip(NEXT) | instid1(VALU_DEP_2)
	v_cvt_u32_f32_e32 v61, v61
	v_readfirstlane_b32 s5, v62
	s_delay_alu instid0(VALU_DEP_2) | instskip(NEXT) | instid1(VALU_DEP_2)
	v_readfirstlane_b32 s8, v61
	s_mul_i32 s11, s9, s5
	s_delay_alu instid0(VALU_DEP_1)
	s_mul_hi_u32 s13, s9, s8
	s_mul_i32 s12, s10, s8
	s_add_i32 s11, s13, s11
	s_mul_i32 s14, s9, s8
	s_add_i32 s11, s11, s12
	s_mul_hi_u32 s13, s8, s14
	s_mul_hi_u32 s16, s5, s14
	s_mul_i32 s12, s5, s14
	s_mul_hi_u32 s14, s8, s11
	s_mul_i32 s8, s8, s11
	s_mul_hi_u32 s17, s5, s11
	s_add_u32 s8, s13, s8
	s_addc_u32 s13, 0, s14
	s_add_u32 s8, s8, s12
	s_mul_i32 s11, s5, s11
	s_addc_u32 s8, s13, s16
	s_addc_u32 s12, s17, 0
	s_add_u32 s8, s8, s11
	s_addc_u32 s11, 0, s12
	v_add_co_u32 v61, s8, v61, s8
	s_delay_alu instid0(VALU_DEP_1) | instskip(SKIP_1) | instid1(VALU_DEP_1)
	s_cmp_lg_u32 s8, 0
	s_addc_u32 s5, s5, s11
	v_readfirstlane_b32 s8, v61
	s_mul_i32 s11, s9, s5
	s_delay_alu instid0(VALU_DEP_1)
	s_mul_hi_u32 s12, s9, s8
	s_mul_i32 s10, s10, s8
	s_add_i32 s11, s12, s11
	s_mul_i32 s9, s9, s8
	s_add_i32 s11, s11, s10
	s_mul_hi_u32 s12, s5, s9
	s_mul_i32 s13, s5, s9
	s_mul_hi_u32 s9, s8, s9
	s_mul_hi_u32 s14, s8, s11
	s_mul_i32 s8, s8, s11
	s_mul_hi_u32 s10, s5, s11
	s_add_u32 s8, s9, s8
	s_addc_u32 s9, 0, s14
	s_add_u32 s8, s8, s13
	s_mul_i32 s11, s5, s11
	s_addc_u32 s8, s9, s12
	s_addc_u32 s9, s10, 0
	s_add_u32 s8, s8, s11
	s_addc_u32 s9, 0, s9
	v_add_co_u32 v61, s8, v61, s8
	s_delay_alu instid0(VALU_DEP_1) | instskip(SKIP_2) | instid1(SALU_CYCLE_1)
	s_cmp_lg_u32 s8, 0
	s_addc_u32 s5, s5, s9
	s_ashr_i32 s8, s3, 31
	s_add_u32 s10, s2, s8
	s_addc_u32 s11, s3, s8
	v_readfirstlane_b32 s3, v61
	s_mov_b32 s9, s8
	s_delay_alu instid0(SALU_CYCLE_1) | instskip(NEXT) | instid1(SALU_CYCLE_1)
	s_xor_b64 s[10:11], s[10:11], s[8:9]
	s_mul_i32 s13, s10, s5
	s_delay_alu instid0(VALU_DEP_1)
	s_mul_hi_u32 s14, s10, s3
	s_mul_hi_u32 s12, s10, s5
	s_mul_hi_u32 s17, s11, s3
	s_mul_i32 s3, s11, s3
	s_add_u32 s13, s14, s13
	s_addc_u32 s12, 0, s12
	s_mul_hi_u32 s16, s11, s5
	s_add_u32 s3, s13, s3
	s_mul_i32 s5, s11, s5
	s_addc_u32 s3, s12, s17
	s_addc_u32 s12, s16, 0
	s_add_u32 s3, s3, s5
	s_addc_u32 s5, 0, s12
	s_mul_i32 s16, s0, s3
	s_mul_hi_u32 s12, s0, s3
	s_mul_i32 s14, s0, s5
	v_sub_co_u32 v61, s10, s10, s16
	s_mul_i32 s13, s1, s3
	s_add_i32 s12, s12, s14
	s_delay_alu instid0(SALU_CYCLE_1) | instskip(NEXT) | instid1(VALU_DEP_1)
	s_add_i32 s12, s12, s13
	v_sub_co_u32 v62, s14, v61, s0
	s_sub_i32 s13, s11, s12
	s_cmp_lg_u32 s10, 0
	s_subb_u32 s13, s13, s1
	s_cmp_lg_u32 s14, 0
	v_cmp_le_u32_e32 vcc_lo, s0, v62
	s_subb_u32 s13, s13, 0
	s_delay_alu instid0(SALU_CYCLE_1)
	s_cmp_ge_u32 s13, s1
	v_cndmask_b32_e64 v62, 0, -1, vcc_lo
	s_cselect_b32 s14, -1, 0
	s_cmp_eq_u32 s13, s1
	s_cselect_b32 vcc_lo, -1, 0
	s_add_u32 s13, s3, 1
	v_cndmask_b32_e32 v62, s14, v62, vcc_lo
	s_addc_u32 s14, s5, 0
	s_add_u32 s16, s3, 2
	s_addc_u32 s17, s5, 0
	v_mov_b32_e32 v63, s16
	s_cmp_lg_u32 s10, 0
	v_cmp_le_u32_e32 vcc_lo, s0, v61
	s_subb_u32 s0, s11, s12
	s_delay_alu instid0(SALU_CYCLE_1)
	s_cmp_ge_u32 s0, s1
	v_cndmask_b32_e64 v61, 0, -1, vcc_lo
	s_cselect_b32 s10, -1, 0
	s_cmp_eq_u32 s0, s1
	v_cmp_ne_u32_e32 vcc_lo, 0, v62
	s_cselect_b32 s0, -1, 0
	v_mov_b32_e32 v62, s17
	v_cndmask_b32_e64 v61, s10, v61, s0
	s_xor_b64 s[0:1], s[8:9], s[6:7]
	v_cndmask_b32_e32 v63, s13, v63, vcc_lo
	s_delay_alu instid0(VALU_DEP_3) | instskip(NEXT) | instid1(VALU_DEP_3)
	v_cndmask_b32_e32 v62, s14, v62, vcc_lo
	v_cmp_ne_u32_e32 vcc_lo, 0, v61
	s_delay_alu instid0(VALU_DEP_2) | instskip(NEXT) | instid1(VALU_DEP_4)
	v_cndmask_b32_e32 v61, s5, v62, vcc_lo
	v_cndmask_b32_e32 v62, s3, v63, vcc_lo
	s_delay_alu instid0(VALU_DEP_2) | instskip(NEXT) | instid1(VALU_DEP_2)
	v_xor_b32_e32 v63, s1, v61
	v_xor_b32_e32 v62, s0, v62
	s_delay_alu instid0(VALU_DEP_1) | instskip(NEXT) | instid1(VALU_DEP_3)
	v_sub_co_u32 v61, vcc_lo, v62, s0
	v_subrev_co_ci_u32_e32 v62, vcc_lo, s1, v63, vcc_lo
	s_and_not1_b32 vcc_lo, exec_lo, s4
	s_cbranch_vccnz .LBB1159_322
.LBB1159_321:
	v_cvt_f32_u32_e32 v61, s38
	s_sub_i32 s1, 0, s38
	s_delay_alu instid0(VALU_DEP_1) | instskip(SKIP_2) | instid1(VALU_DEP_1)
	v_rcp_iflag_f32_e32 v61, v61
	s_waitcnt_depctr 0xfff
	v_mul_f32_e32 v61, 0x4f7ffffe, v61
	v_cvt_u32_f32_e32 v61, v61
	s_delay_alu instid0(VALU_DEP_1) | instskip(NEXT) | instid1(VALU_DEP_1)
	v_readfirstlane_b32 s0, v61
	s_mul_i32 s1, s1, s0
	s_delay_alu instid0(SALU_CYCLE_1) | instskip(NEXT) | instid1(SALU_CYCLE_1)
	s_mul_hi_u32 s1, s0, s1
	s_add_i32 s0, s0, s1
	s_delay_alu instid0(SALU_CYCLE_1) | instskip(NEXT) | instid1(SALU_CYCLE_1)
	s_mul_hi_u32 s0, s2, s0
	s_mul_i32 s1, s0, s38
	s_delay_alu instid0(SALU_CYCLE_1)
	s_sub_i32 s1, s2, s1
	s_add_i32 s2, s0, 1
	s_sub_i32 s3, s1, s38
	s_cmp_ge_u32 s1, s38
	s_cselect_b32 s0, s2, s0
	s_cselect_b32 s1, s3, s1
	s_add_i32 s2, s0, 1
	s_cmp_ge_u32 s1, s38
	s_mov_b32 s1, 0
	s_cselect_b32 s0, s2, s0
	s_delay_alu instid0(SALU_CYCLE_1)
	v_dual_mov_b32 v62, s1 :: v_dual_mov_b32 v61, s0
.LBB1159_322:
	v_mad_u32_u24 v63, v0, 15, 14
	v_mov_b32_e32 v64, 0
	v_cmp_ne_u64_e64 s6, v[3:4], v[57:58]
	v_cmp_ne_u64_e64 s8, v[1:2], v[3:4]
	;; [unrolled: 1-line block ×4, first 2 shown]
	v_cmp_gt_u64_e32 vcc_lo, s[30:31], v[63:64]
	v_mad_u32_u24 v63, v0, 15, 13
	v_cmp_ne_u64_e64 s11, v[11:12], v[5:6]
	v_cmp_ne_u64_e64 s13, v[9:10], v[11:12]
	;; [unrolled: 1-line block ×4, first 2 shown]
	v_cmp_gt_u64_e64 s0, s[30:31], v[63:64]
	v_mad_u32_u24 v63, v0, 15, 12
	s_and_b32 s36, vcc_lo, s6
	v_cmp_ne_u64_e64 s17, v[19:20], v[13:14]
	v_cmp_ne_u64_e64 s19, v[17:18], v[19:20]
	;; [unrolled: 1-line block ×3, first 2 shown]
	v_cmp_gt_u64_e64 s1, s[30:31], v[63:64]
	v_mad_u32_u24 v63, v0, 15, 11
	v_cmp_ne_u64_e64 s21, v[21:22], v[23:24]
	v_cmp_ne_u64_e64 s22, v[27:28], v[21:22]
	;; [unrolled: 1-line block ×3, first 2 shown]
	s_and_b32 s37, s0, s8
	v_cmp_gt_u64_e64 s2, s[30:31], v[63:64]
	v_mad_u32_u24 v63, v0, 15, 10
	v_lshlrev_b32_e32 v66, 3, v0
	v_mul_u32_u24_e32 v65, 15, v0
	v_cmp_ne_u32_e64 s25, 0, v0
	s_mov_b32 s35, 0
	v_cmp_gt_u64_e64 s3, s[30:31], v[63:64]
	v_mad_u32_u24 v63, v0, 15, 9
	s_and_b32 s9, s1, s9
	s_and_b32 s10, s2, s10
	ds_store_b64 v66, v[57:58]
	s_waitcnt lgkmcnt(0)
	v_cmp_gt_u64_e64 s4, s[30:31], v[63:64]
	v_mad_u32_u24 v63, v0, 15, 8
	s_and_b32 s11, s3, s11
	s_barrier
	buffer_gl0_inv
	v_cmp_gt_u64_e64 s5, s[30:31], v[63:64]
	v_mad_u32_u24 v63, v0, 15, 7
	s_and_b32 s13, s4, s13
	s_delay_alu instid0(VALU_DEP_1) | instskip(SKIP_1) | instid1(VALU_DEP_4)
	v_cmp_gt_u64_e64 s7, s[30:31], v[63:64]
	v_mad_u32_u24 v63, v0, 15, 6
	s_and_b32 s5, s5, s14
	s_delay_alu instid0(VALU_DEP_1) | instskip(SKIP_1) | instid1(VALU_DEP_4)
	;; [unrolled: 4-line block ×6, first 2 shown]
	v_cmp_gt_u64_e32 vcc_lo, s[30:31], v[63:64]
	v_mad_u32_u24 v63, v0, 15, 1
	s_and_b32 s2, s26, s21
	s_delay_alu instid0(VALU_DEP_1) | instskip(SKIP_1) | instid1(VALU_DEP_1)
	v_cmp_gt_u64_e64 s0, s[30:31], v[63:64]
	s_and_b32 s3, vcc_lo, s22
	s_and_b32 s4, s0, s24
	s_and_saveexec_b32 s0, s25
	s_cbranch_execz .LBB1159_324
; %bb.323:
	v_add_nc_u32_e32 v61, -8, v66
	ds_load_b64 v[61:62], v61
.LBB1159_324:
	s_or_b32 exec_lo, exec_lo, s0
	v_mov_b32_e32 v66, v64
	s_waitcnt lgkmcnt(0)
	v_cmp_ne_u64_e64 s0, v[61:62], v[25:26]
	v_cndmask_b32_e64 v105, 0, 1, s36
	v_cndmask_b32_e64 v99, 0, 1, s37
	;; [unrolled: 1-line block ×3, first 2 shown]
	v_cmp_gt_u64_e32 vcc_lo, s[30:31], v[65:66]
	v_cndmask_b32_e64 v101, 0, 1, s10
	v_cndmask_b32_e64 v102, 0, 1, s11
	;; [unrolled: 1-line block ×11, first 2 shown]
	s_and_b32 s0, vcc_lo, s0
	s_mov_b32 s23, -1
	s_and_b32 vcc_lo, exec_lo, s35
	s_cbranch_vccnz .LBB1159_327
.LBB1159_325:
                                        ; implicit-def: $sgpr1
	v_mov_b32_e32 v113, s1
	s_and_saveexec_b32 s1, s23
	s_cbranch_execnz .LBB1159_330
	s_branch .LBB1159_331
.LBB1159_326:
                                        ; implicit-def: $sgpr0
                                        ; implicit-def: $vgpr105
                                        ; implicit-def: $vgpr99
                                        ; implicit-def: $vgpr100
                                        ; implicit-def: $vgpr101
                                        ; implicit-def: $vgpr102
                                        ; implicit-def: $vgpr103
                                        ; implicit-def: $vgpr104
                                        ; implicit-def: $vgpr106
                                        ; implicit-def: $vgpr107
                                        ; implicit-def: $vgpr108
                                        ; implicit-def: $vgpr109
                                        ; implicit-def: $vgpr110
                                        ; implicit-def: $vgpr111
                                        ; implicit-def: $vgpr112
	s_cbranch_execz .LBB1159_325
.LBB1159_327:
	v_mad_u32_u24 v61, v0, 15, 14
	v_dual_mov_b32 v62, 0 :: v_dual_lshlrev_b32 v63, 3, v0
	v_cmp_ne_u64_e64 s5, v[1:2], v[3:4]
	v_cmp_ne_u64_e64 s4, v[3:4], v[57:58]
	;; [unrolled: 1-line block ×3, first 2 shown]
	s_delay_alu instid0(VALU_DEP_4)
	v_cmp_gt_u64_e32 vcc_lo, s[30:31], v[61:62]
	v_mad_u32_u24 v61, v0, 15, 13
	v_cmp_ne_u64_e64 s8, v[5:6], v[7:8]
	v_cmp_ne_u64_e64 s9, v[11:12], v[5:6]
	;; [unrolled: 1-line block ×4, first 2 shown]
	v_cmp_gt_u64_e64 s0, s[30:31], v[61:62]
	v_mad_u32_u24 v61, v0, 15, 12
	s_and_b32 s4, vcc_lo, s4
	v_cmp_ne_u64_e64 s13, v[13:14], v[15:16]
	v_cmp_ne_u64_e64 s14, v[19:20], v[13:14]
	;; [unrolled: 1-line block ×3, first 2 shown]
	v_cmp_gt_u64_e64 s1, s[30:31], v[61:62]
	v_mad_u32_u24 v61, v0, 15, 11
	s_and_b32 s0, s0, s5
	v_cmp_ne_u64_e64 s17, v[23:24], v[17:18]
	v_cndmask_b32_e64 v99, 0, 1, s0
	v_cmp_ne_u64_e64 s19, v[21:22], v[23:24]
	v_cmp_gt_u64_e64 s2, s[30:31], v[61:62]
	v_mad_u32_u24 v61, v0, 15, 10
	s_and_b32 s0, s1, s6
	v_cmp_ne_u64_e64 s20, v[27:28], v[21:22]
	v_cndmask_b32_e64 v100, 0, 1, s0
	v_cmp_ne_u64_e64 s21, v[25:26], v[27:28]
	v_cmp_gt_u64_e64 s3, s[30:31], v[61:62]
	v_mad_u32_u24 v61, v0, 15, 9
	s_and_b32 s0, s2, s8
	v_cndmask_b32_e64 v105, 0, 1, s4
	v_cndmask_b32_e64 v101, 0, 1, s0
	ds_store_b64 v63, v[57:58]
	v_cmp_gt_u64_e64 s7, s[30:31], v[61:62]
	v_mad_u32_u24 v61, v0, 15, 8
	s_and_b32 s1, s3, s9
	s_waitcnt lgkmcnt(0)
	v_cndmask_b32_e64 v102, 0, 1, s1
	s_barrier
	v_cmp_gt_u64_e64 s12, s[30:31], v[61:62]
	v_mad_u32_u24 v61, v0, 15, 7
	s_and_b32 s1, s7, s10
	buffer_gl0_inv
	v_cndmask_b32_e64 v103, 0, 1, s1
	v_cmp_gt_u64_e64 s18, s[30:31], v[61:62]
	v_mad_u32_u24 v61, v0, 15, 6
	s_and_b32 s2, s12, s11
	s_delay_alu instid0(SALU_CYCLE_1) | instskip(NEXT) | instid1(VALU_DEP_2)
	v_cndmask_b32_e64 v104, 0, 1, s2
	v_cmp_gt_u64_e64 s22, s[30:31], v[61:62]
	v_mad_u32_u24 v61, v0, 15, 5
	s_and_b32 s2, s18, s13
	s_delay_alu instid0(SALU_CYCLE_1) | instskip(NEXT) | instid1(VALU_DEP_2)
	v_cndmask_b32_e64 v106, 0, 1, s2
	v_cmp_gt_u64_e32 vcc_lo, s[30:31], v[61:62]
	v_mad_u32_u24 v61, v0, 15, 4
	s_and_b32 s3, s22, s14
	s_delay_alu instid0(SALU_CYCLE_1) | instskip(NEXT) | instid1(VALU_DEP_2)
	v_cndmask_b32_e64 v107, 0, 1, s3
	v_cmp_gt_u64_e64 s0, s[30:31], v[61:62]
	v_mad_u32_u24 v61, v0, 15, 3
	s_and_b32 s3, vcc_lo, s16
	s_delay_alu instid0(SALU_CYCLE_1) | instskip(NEXT) | instid1(VALU_DEP_2)
	v_cndmask_b32_e64 v108, 0, 1, s3
	v_cmp_gt_u64_e64 s1, s[30:31], v[61:62]
	v_mad_u32_u24 v61, v0, 15, 2
	s_and_b32 s0, s0, s17
	s_delay_alu instid0(SALU_CYCLE_1) | instskip(NEXT) | instid1(VALU_DEP_2)
	v_cndmask_b32_e64 v109, 0, 1, s0
	v_cmp_gt_u64_e64 s2, s[30:31], v[61:62]
	v_mad_u32_u24 v61, v0, 15, 1
	s_and_b32 s0, s1, s19
	s_mov_b32 s1, 1
	v_cndmask_b32_e64 v110, 0, 1, s0
	s_delay_alu instid0(VALU_DEP_2) | instskip(SKIP_4) | instid1(SALU_CYCLE_1)
	v_cmp_gt_u64_e32 vcc_lo, s[30:31], v[61:62]
	s_and_b32 s0, s2, s20
	s_mov_b32 s2, exec_lo
	v_cndmask_b32_e64 v111, 0, 1, s0
	s_and_b32 s0, vcc_lo, s21
	v_cndmask_b32_e64 v112, 0, 1, s0
                                        ; implicit-def: $sgpr0
	v_cmpx_ne_u32_e32 0, v0
	s_cbranch_execz .LBB1159_466
; %bb.328:
	v_add_nc_u32_e32 v61, -8, v63
	s_or_b32 s23, s23, exec_lo
	ds_load_b64 v[63:64], v61
	v_mul_u32_u24_e32 v61, 15, v0
	s_delay_alu instid0(VALU_DEP_1) | instskip(SKIP_2) | instid1(VALU_DEP_1)
	v_cmp_gt_u64_e32 vcc_lo, s[30:31], v[61:62]
	s_waitcnt lgkmcnt(0)
	v_cmp_ne_u64_e64 s0, v[63:64], v[25:26]
	s_and_b32 s0, vcc_lo, s0
	s_delay_alu instid0(SALU_CYCLE_1)
	s_and_b32 s0, s0, exec_lo
	s_or_b32 exec_lo, exec_lo, s2
.LBB1159_329:
	v_mov_b32_e32 v113, s1
	s_and_saveexec_b32 s1, s23
.LBB1159_330:
	v_cndmask_b32_e64 v113, 0, 1, s0
.LBB1159_331:
	s_or_b32 exec_lo, exec_lo, s1
	s_delay_alu instid0(VALU_DEP_1)
	v_add3_u32 v61, v112, v113, v111
	v_dual_mov_b32 v95, v53 :: v_dual_mov_b32 v96, v54
	v_cmp_eq_u32_e64 s12, 0, v112
	v_cmp_eq_u32_e64 s11, 0, v111
	;; [unrolled: 1-line block ×3, first 2 shown]
	v_add3_u32 v116, v61, v110, v109
	v_cmp_eq_u32_e64 s9, 0, v109
	v_cmp_eq_u32_e64 s8, 0, v108
	;; [unrolled: 1-line block ×10, first 2 shown]
	v_cmp_eq_u32_e32 vcc_lo, 0, v105
	v_mbcnt_lo_u32_b32 v115, -1, 0
	s_cmp_eq_u64 s[58:59], 0
	s_cselect_b32 s14, -1, 0
	s_cmp_lg_u32 s15, 0
	s_cbranch_scc0 .LBB1159_398
; %bb.332:
	v_cndmask_b32_e64 v61, 0, v53, s12
	v_cndmask_b32_e64 v62, 0, v54, s12
	v_add3_u32 v63, v116, v108, v107
	s_delay_alu instid0(VALU_DEP_3) | instskip(NEXT) | instid1(VALU_DEP_1)
	v_add_co_u32 v61, s13, v61, v55
	v_add_co_ci_u32_e64 v62, s13, v62, v56, s13
	s_delay_alu instid0(VALU_DEP_3) | instskip(NEXT) | instid1(VALU_DEP_3)
	v_add3_u32 v63, v63, v106, v104
	v_cndmask_b32_e64 v61, 0, v61, s11
	s_delay_alu instid0(VALU_DEP_3) | instskip(NEXT) | instid1(VALU_DEP_3)
	v_cndmask_b32_e64 v62, 0, v62, s11
	v_add3_u32 v63, v63, v103, v102
	s_delay_alu instid0(VALU_DEP_3) | instskip(NEXT) | instid1(VALU_DEP_1)
	v_add_co_u32 v61, s13, v61, v49
	v_add_co_ci_u32_e64 v62, s13, v62, v50, s13
	s_delay_alu instid0(VALU_DEP_3) | instskip(NEXT) | instid1(VALU_DEP_3)
	v_add3_u32 v63, v63, v101, v100
	v_cndmask_b32_e64 v61, 0, v61, s10
	s_delay_alu instid0(VALU_DEP_3) | instskip(NEXT) | instid1(VALU_DEP_3)
	v_cndmask_b32_e64 v62, 0, v62, s10
	v_add3_u32 v65, v63, v99, v105
	s_delay_alu instid0(VALU_DEP_3) | instskip(NEXT) | instid1(VALU_DEP_1)
	v_add_co_u32 v61, s13, v61, v51
	v_add_co_ci_u32_e64 v62, s13, v62, v52, s13
	s_delay_alu instid0(VALU_DEP_2) | instskip(NEXT) | instid1(VALU_DEP_2)
	v_cndmask_b32_e64 v61, 0, v61, s9
	v_cndmask_b32_e64 v62, 0, v62, s9
	s_delay_alu instid0(VALU_DEP_2) | instskip(NEXT) | instid1(VALU_DEP_1)
	v_add_co_u32 v61, s13, v61, v45
	v_add_co_ci_u32_e64 v62, s13, v62, v46, s13
	s_delay_alu instid0(VALU_DEP_2) | instskip(NEXT) | instid1(VALU_DEP_2)
	v_cndmask_b32_e64 v61, 0, v61, s8
	v_cndmask_b32_e64 v62, 0, v62, s8
	s_delay_alu instid0(VALU_DEP_2) | instskip(NEXT) | instid1(VALU_DEP_1)
	;; [unrolled: 6-line block ×10, first 2 shown]
	v_add_co_u32 v61, s13, v61, v31
	v_add_co_ci_u32_e64 v62, s13, v62, v32, s13
	s_mov_b32 s13, exec_lo
	s_delay_alu instid0(VALU_DEP_1) | instskip(NEXT) | instid1(VALU_DEP_1)
	v_dual_cndmask_b32 v61, 0, v61 :: v_dual_cndmask_b32 v62, 0, v62
	v_add_co_u32 v63, vcc_lo, v61, v59
	s_delay_alu instid0(VALU_DEP_2) | instskip(SKIP_2) | instid1(VALU_DEP_4)
	v_add_co_ci_u32_e32 v64, vcc_lo, v62, v60, vcc_lo
	v_and_b32_e32 v61, 15, v115
	v_mov_b32_dpp v62, v65 row_shr:1 row_mask:0xf bank_mask:0xf
	v_mov_b32_dpp v66, v63 row_shr:1 row_mask:0xf bank_mask:0xf
	s_delay_alu instid0(VALU_DEP_4) | instskip(NEXT) | instid1(VALU_DEP_4)
	v_mov_b32_dpp v67, v64 row_shr:1 row_mask:0xf bank_mask:0xf
	v_cmpx_ne_u32_e32 0, v61
; %bb.333:
	v_cmp_eq_u32_e32 vcc_lo, 0, v65
	v_add_nc_u32_e32 v65, v62, v65
	s_delay_alu instid0(VALU_DEP_4) | instskip(NEXT) | instid1(VALU_DEP_1)
	v_dual_cndmask_b32 v67, 0, v67 :: v_dual_cndmask_b32 v66, 0, v66
	v_add_co_u32 v63, vcc_lo, v66, v63
	s_delay_alu instid0(VALU_DEP_2)
	v_add_co_ci_u32_e32 v64, vcc_lo, v67, v64, vcc_lo
; %bb.334:
	s_or_b32 exec_lo, exec_lo, s13
	v_mov_b32_dpp v62, v65 row_shr:2 row_mask:0xf bank_mask:0xf
	s_delay_alu instid0(VALU_DEP_3) | instskip(NEXT) | instid1(VALU_DEP_3)
	v_mov_b32_dpp v66, v63 row_shr:2 row_mask:0xf bank_mask:0xf
	v_mov_b32_dpp v67, v64 row_shr:2 row_mask:0xf bank_mask:0xf
	s_mov_b32 s13, exec_lo
	v_cmpx_lt_u32_e32 1, v61
; %bb.335:
	v_cmp_eq_u32_e32 vcc_lo, 0, v65
	v_add_nc_u32_e32 v65, v62, v65
	v_dual_cndmask_b32 v67, 0, v67 :: v_dual_cndmask_b32 v66, 0, v66
	s_delay_alu instid0(VALU_DEP_1) | instskip(NEXT) | instid1(VALU_DEP_2)
	v_add_co_u32 v63, vcc_lo, v66, v63
	v_add_co_ci_u32_e32 v64, vcc_lo, v67, v64, vcc_lo
; %bb.336:
	s_or_b32 exec_lo, exec_lo, s13
	v_mov_b32_dpp v62, v65 row_shr:4 row_mask:0xf bank_mask:0xf
	s_delay_alu instid0(VALU_DEP_3) | instskip(NEXT) | instid1(VALU_DEP_3)
	v_mov_b32_dpp v66, v63 row_shr:4 row_mask:0xf bank_mask:0xf
	v_mov_b32_dpp v67, v64 row_shr:4 row_mask:0xf bank_mask:0xf
	s_mov_b32 s13, exec_lo
	v_cmpx_lt_u32_e32 3, v61
; %bb.337:
	v_cmp_eq_u32_e32 vcc_lo, 0, v65
	v_add_nc_u32_e32 v65, v62, v65
	v_dual_cndmask_b32 v67, 0, v67 :: v_dual_cndmask_b32 v66, 0, v66
	s_delay_alu instid0(VALU_DEP_1) | instskip(NEXT) | instid1(VALU_DEP_2)
	v_add_co_u32 v63, vcc_lo, v66, v63
	;; [unrolled: 15-line block ×3, first 2 shown]
	v_add_co_ci_u32_e32 v64, vcc_lo, v61, v64, vcc_lo
; %bb.340:
	s_or_b32 exec_lo, exec_lo, s13
	ds_swizzle_b32 v61, v65 offset:swizzle(BROADCAST,32,15)
	ds_swizzle_b32 v62, v63 offset:swizzle(BROADCAST,32,15)
	;; [unrolled: 1-line block ×3, first 2 shown]
	v_and_b32_e32 v67, 16, v115
	s_mov_b32 s13, exec_lo
	s_delay_alu instid0(VALU_DEP_1)
	v_cmpx_ne_u32_e32 0, v67
	s_cbranch_execz .LBB1159_342
; %bb.341:
	v_cmp_eq_u32_e32 vcc_lo, 0, v65
	s_waitcnt lgkmcnt(1)
	v_dual_cndmask_b32 v62, 0, v62 :: v_dual_add_nc_u32 v65, v61, v65
	s_waitcnt lgkmcnt(0)
	v_cndmask_b32_e32 v66, 0, v66, vcc_lo
	s_delay_alu instid0(VALU_DEP_2) | instskip(NEXT) | instid1(VALU_DEP_2)
	v_add_co_u32 v63, vcc_lo, v62, v63
	v_add_co_ci_u32_e32 v64, vcc_lo, v66, v64, vcc_lo
.LBB1159_342:
	s_or_b32 exec_lo, exec_lo, s13
	s_waitcnt lgkmcnt(1)
	v_lshrrev_b32_e32 v62, 5, v0
	v_or_b32_e32 v61, 31, v0
	s_mov_b32 s13, exec_lo
	s_waitcnt lgkmcnt(0)
	s_delay_alu instid0(VALU_DEP_2) | instskip(NEXT) | instid1(VALU_DEP_2)
	v_lshlrev_b32_e32 v66, 4, v62
	v_cmpx_eq_u32_e64 v61, v0
	s_cbranch_execz .LBB1159_344
; %bb.343:
	ds_store_b32 v66, v65 offset:4128
	ds_store_b64 v66, v[63:64] offset:4136
.LBB1159_344:
	s_or_b32 exec_lo, exec_lo, s13
	s_delay_alu instid0(SALU_CYCLE_1)
	s_mov_b32 s13, exec_lo
	s_waitcnt lgkmcnt(0)
	s_barrier
	buffer_gl0_inv
	v_cmpx_gt_u32_e32 8, v0
	s_cbranch_execz .LBB1159_352
; %bb.345:
	v_lshlrev_b32_e32 v67, 4, v0
	v_and_b32_e32 v69, 7, v115
	s_mov_b32 s16, exec_lo
	ds_load_b32 v68, v67 offset:4128
	ds_load_b64 v[61:62], v67 offset:4136
	s_waitcnt lgkmcnt(1)
	v_mov_b32_dpp v70, v68 row_shr:1 row_mask:0xf bank_mask:0xf
	s_waitcnt lgkmcnt(0)
	v_mov_b32_dpp v71, v61 row_shr:1 row_mask:0xf bank_mask:0xf
	v_mov_b32_dpp v72, v62 row_shr:1 row_mask:0xf bank_mask:0xf
	v_cmpx_ne_u32_e32 0, v69
; %bb.346:
	v_cmp_eq_u32_e32 vcc_lo, 0, v68
	v_add_nc_u32_e32 v68, v70, v68
	s_delay_alu instid0(VALU_DEP_4) | instskip(NEXT) | instid1(VALU_DEP_1)
	v_dual_cndmask_b32 v72, 0, v72 :: v_dual_cndmask_b32 v71, 0, v71
	v_add_co_u32 v61, vcc_lo, v71, v61
	s_delay_alu instid0(VALU_DEP_2)
	v_add_co_ci_u32_e32 v62, vcc_lo, v72, v62, vcc_lo
; %bb.347:
	s_or_b32 exec_lo, exec_lo, s16
	v_mov_b32_dpp v70, v68 row_shr:2 row_mask:0xf bank_mask:0xf
	s_delay_alu instid0(VALU_DEP_3) | instskip(NEXT) | instid1(VALU_DEP_3)
	v_mov_b32_dpp v71, v61 row_shr:2 row_mask:0xf bank_mask:0xf
	v_mov_b32_dpp v72, v62 row_shr:2 row_mask:0xf bank_mask:0xf
	s_mov_b32 s16, exec_lo
	v_cmpx_lt_u32_e32 1, v69
; %bb.348:
	v_cmp_eq_u32_e32 vcc_lo, 0, v68
	v_add_nc_u32_e32 v68, v70, v68
	v_dual_cndmask_b32 v72, 0, v72 :: v_dual_cndmask_b32 v71, 0, v71
	s_delay_alu instid0(VALU_DEP_1) | instskip(NEXT) | instid1(VALU_DEP_2)
	v_add_co_u32 v61, vcc_lo, v71, v61
	v_add_co_ci_u32_e32 v62, vcc_lo, v72, v62, vcc_lo
; %bb.349:
	s_or_b32 exec_lo, exec_lo, s16
	v_mov_b32_dpp v70, v68 row_shr:4 row_mask:0xf bank_mask:0xf
	s_delay_alu instid0(VALU_DEP_3) | instskip(NEXT) | instid1(VALU_DEP_3)
	v_mov_b32_dpp v71, v61 row_shr:4 row_mask:0xf bank_mask:0xf
	v_mov_b32_dpp v72, v62 row_shr:4 row_mask:0xf bank_mask:0xf
	s_mov_b32 s16, exec_lo
	v_cmpx_lt_u32_e32 3, v69
; %bb.350:
	v_cmp_eq_u32_e32 vcc_lo, 0, v68
	v_dual_cndmask_b32 v71, 0, v71 :: v_dual_add_nc_u32 v68, v70, v68
	v_cndmask_b32_e32 v69, 0, v72, vcc_lo
	s_delay_alu instid0(VALU_DEP_2) | instskip(NEXT) | instid1(VALU_DEP_2)
	v_add_co_u32 v61, vcc_lo, v71, v61
	v_add_co_ci_u32_e32 v62, vcc_lo, v69, v62, vcc_lo
; %bb.351:
	s_or_b32 exec_lo, exec_lo, s16
	ds_store_b32 v67, v68 offset:4128
	ds_store_b64 v67, v[61:62] offset:4136
.LBB1159_352:
	s_or_b32 exec_lo, exec_lo, s13
	v_mov_b32_e32 v61, 0
	v_cmp_gt_u32_e32 vcc_lo, 32, v0
	v_dual_mov_b32 v62, 0 :: v_dual_mov_b32 v71, 0
	s_mov_b32 s16, exec_lo
	s_waitcnt lgkmcnt(0)
	s_barrier
	buffer_gl0_inv
	v_cmpx_lt_u32_e32 31, v0
	s_cbranch_execz .LBB1159_354
; %bb.353:
	ds_load_b64 v[61:62], v66 offset:4120
	ds_load_b32 v71, v66 offset:4112
	v_cmp_eq_u32_e64 s13, 0, v65
	s_waitcnt lgkmcnt(1)
	s_delay_alu instid0(VALU_DEP_1) | instskip(SKIP_3) | instid1(VALU_DEP_3)
	v_cndmask_b32_e64 v67, 0, v61, s13
	v_cndmask_b32_e64 v66, 0, v62, s13
	s_waitcnt lgkmcnt(0)
	v_add_nc_u32_e32 v65, v71, v65
	v_add_co_u32 v63, s13, v67, v63
	s_delay_alu instid0(VALU_DEP_1)
	v_add_co_ci_u32_e64 v64, s13, v66, v64, s13
.LBB1159_354:
	s_or_b32 exec_lo, exec_lo, s16
	v_add_nc_u32_e32 v66, -1, v115
	s_delay_alu instid0(VALU_DEP_1) | instskip(NEXT) | instid1(VALU_DEP_1)
	v_cmp_gt_i32_e64 s13, 0, v66
	v_cndmask_b32_e64 v66, v66, v115, s13
	v_cmp_eq_u32_e64 s13, 0, v115
	s_delay_alu instid0(VALU_DEP_2)
	v_lshlrev_b32_e32 v66, 2, v66
	ds_bpermute_b32 v74, v66, v65
	ds_bpermute_b32 v73, v66, v63
	;; [unrolled: 1-line block ×3, first 2 shown]
	s_and_saveexec_b32 s16, vcc_lo
	s_cbranch_execz .LBB1159_397
; %bb.355:
	v_mov_b32_e32 v67, 0
	ds_load_b32 v75, v67 offset:4240
	ds_load_b64 v[63:64], v67 offset:4248
	s_and_saveexec_b32 s17, s13
	s_cbranch_execz .LBB1159_357
; %bb.356:
	s_add_i32 s18, s15, 32
	s_mov_b32 s19, 0
	v_dual_mov_b32 v65, s18 :: v_dual_mov_b32 v66, 1
	s_lshl_b64 s[20:21], s[18:19], 4
	s_delay_alu instid0(SALU_CYCLE_1)
	s_add_u32 s18, s52, s20
	s_addc_u32 s19, s53, s21
	s_waitcnt lgkmcnt(1)
	global_store_b32 v67, v75, s[18:19]
	s_waitcnt lgkmcnt(0)
	global_store_b64 v67, v[63:64], s[18:19] offset:8
	s_waitcnt_vscnt null, 0x0
	buffer_gl1_inv
	buffer_gl0_inv
	global_store_b8 v65, v66, s[56:57]
.LBB1159_357:
	s_or_b32 exec_lo, exec_lo, s17
	v_xad_u32 v65, v115, -1, s15
	s_mov_b32 s18, 0
	s_mov_b32 s17, exec_lo
	s_delay_alu instid0(VALU_DEP_1)
	v_add_nc_u32_e32 v66, 32, v65
	global_load_u8 v76, v66, s[56:57] glc
	s_waitcnt vmcnt(0)
	v_cmpx_eq_u16_e32 0, v76
	s_cbranch_execz .LBB1159_363
; %bb.358:
	v_add_co_u32 v68, s19, s56, v66
	s_delay_alu instid0(VALU_DEP_1)
	v_add_co_ci_u32_e64 v69, null, s57, 0, s19
	s_mov_b32 s19, 1
.LBB1159_359:                           ; =>This Loop Header: Depth=1
                                        ;     Child Loop BB1159_360 Depth 2
	s_delay_alu instid0(SALU_CYCLE_1)
	s_max_u32 s20, s19, 1
.LBB1159_360:                           ;   Parent Loop BB1159_359 Depth=1
                                        ; =>  This Inner Loop Header: Depth=2
	s_delay_alu instid0(SALU_CYCLE_1)
	s_add_i32 s20, s20, -1
	s_sleep 1
	s_cmp_eq_u32 s20, 0
	s_cbranch_scc0 .LBB1159_360
; %bb.361:                              ;   in Loop: Header=BB1159_359 Depth=1
	global_load_u8 v76, v[68:69], off glc
	s_cmp_lt_u32 s19, 32
	s_cselect_b32 s20, -1, 0
	s_delay_alu instid0(SALU_CYCLE_1) | instskip(SKIP_4) | instid1(SALU_CYCLE_1)
	s_cmp_lg_u32 s20, 0
	s_addc_u32 s19, s19, 0
	s_waitcnt vmcnt(0)
	v_cmp_ne_u16_e32 vcc_lo, 0, v76
	s_or_b32 s18, vcc_lo, s18
	s_and_not1_b32 exec_lo, exec_lo, s18
	s_cbranch_execnz .LBB1159_359
; %bb.362:
	s_or_b32 exec_lo, exec_lo, s18
.LBB1159_363:
	s_delay_alu instid0(SALU_CYCLE_1)
	s_or_b32 exec_lo, exec_lo, s17
	v_dual_mov_b32 v68, s53 :: v_dual_mov_b32 v69, s52
	v_cmp_eq_u16_e32 vcc_lo, 1, v76
	v_lshlrev_b64 v[66:67], 4, v[66:67]
	s_waitcnt lgkmcnt(0)
	s_waitcnt_vscnt null, 0x0
	buffer_gl1_inv
	buffer_gl0_inv
	v_lshlrev_b32_e64 v78, v115, -1
	s_mov_b32 s17, exec_lo
	v_cndmask_b32_e32 v69, s54, v69, vcc_lo
	v_cndmask_b32_e32 v68, s55, v68, vcc_lo
	s_delay_alu instid0(VALU_DEP_2) | instskip(NEXT) | instid1(VALU_DEP_2)
	v_add_co_u32 v66, vcc_lo, v69, v66
	v_add_co_ci_u32_e32 v67, vcc_lo, v68, v67, vcc_lo
	v_cmp_ne_u32_e32 vcc_lo, 31, v115
	s_clause 0x1
	global_load_b32 v88, v[66:67], off
	global_load_b64 v[69:70], v[66:67], off offset:8
	v_add_co_ci_u32_e32 v66, vcc_lo, 0, v115, vcc_lo
	v_cmp_eq_u16_e32 vcc_lo, 2, v76
	s_delay_alu instid0(VALU_DEP_2) | instskip(SKIP_1) | instid1(VALU_DEP_1)
	v_lshlrev_b32_e32 v77, 2, v66
	v_and_or_b32 v66, vcc_lo, v78, 0x80000000
	v_ctz_i32_b32_e32 v66, v66
	s_waitcnt vmcnt(1)
	ds_bpermute_b32 v67, v77, v88
	s_waitcnt vmcnt(0)
	ds_bpermute_b32 v68, v77, v69
	ds_bpermute_b32 v79, v77, v70
	v_cmpx_lt_u32_e64 v115, v66
	s_cbranch_execz .LBB1159_365
; %bb.364:
	v_cmp_eq_u32_e32 vcc_lo, 0, v88
	s_waitcnt lgkmcnt(0)
	v_dual_cndmask_b32 v79, 0, v79 :: v_dual_add_nc_u32 v88, v67, v88
	v_cndmask_b32_e32 v68, 0, v68, vcc_lo
	s_delay_alu instid0(VALU_DEP_1) | instskip(NEXT) | instid1(VALU_DEP_3)
	v_add_co_u32 v69, vcc_lo, v68, v69
	v_add_co_ci_u32_e32 v70, vcc_lo, v79, v70, vcc_lo
.LBB1159_365:
	s_or_b32 exec_lo, exec_lo, s17
	v_cmp_gt_u32_e32 vcc_lo, 30, v115
	v_add_nc_u32_e32 v80, 2, v115
	s_mov_b32 s17, exec_lo
	s_waitcnt lgkmcnt(2)
	v_cndmask_b32_e64 v67, 0, 1, vcc_lo
	s_delay_alu instid0(VALU_DEP_1) | instskip(SKIP_1) | instid1(VALU_DEP_1)
	v_lshlrev_b32_e32 v67, 1, v67
	s_waitcnt lgkmcnt(0)
	v_add_lshl_u32 v79, v67, v115, 2
	ds_bpermute_b32 v67, v79, v88
	ds_bpermute_b32 v68, v79, v69
	ds_bpermute_b32 v81, v79, v70
	v_cmpx_le_u32_e64 v80, v66
	s_cbranch_execz .LBB1159_367
; %bb.366:
	v_cmp_eq_u32_e32 vcc_lo, 0, v88
	s_waitcnt lgkmcnt(0)
	v_dual_cndmask_b32 v81, 0, v81 :: v_dual_add_nc_u32 v88, v67, v88
	v_cndmask_b32_e32 v68, 0, v68, vcc_lo
	s_delay_alu instid0(VALU_DEP_1) | instskip(NEXT) | instid1(VALU_DEP_3)
	v_add_co_u32 v69, vcc_lo, v68, v69
	v_add_co_ci_u32_e32 v70, vcc_lo, v81, v70, vcc_lo
.LBB1159_367:
	s_or_b32 exec_lo, exec_lo, s17
	v_cmp_gt_u32_e32 vcc_lo, 28, v115
	v_add_nc_u32_e32 v82, 4, v115
	s_mov_b32 s17, exec_lo
	s_waitcnt lgkmcnt(2)
	v_cndmask_b32_e64 v67, 0, 1, vcc_lo
	s_delay_alu instid0(VALU_DEP_1) | instskip(SKIP_1) | instid1(VALU_DEP_1)
	v_lshlrev_b32_e32 v67, 2, v67
	s_waitcnt lgkmcnt(0)
	v_add_lshl_u32 v81, v67, v115, 2
	ds_bpermute_b32 v67, v81, v88
	ds_bpermute_b32 v68, v81, v69
	ds_bpermute_b32 v83, v81, v70
	v_cmpx_le_u32_e64 v82, v66
	s_cbranch_execz .LBB1159_369
; %bb.368:
	v_cmp_eq_u32_e32 vcc_lo, 0, v88
	s_waitcnt lgkmcnt(0)
	v_dual_cndmask_b32 v83, 0, v83 :: v_dual_add_nc_u32 v88, v67, v88
	v_cndmask_b32_e32 v68, 0, v68, vcc_lo
	s_delay_alu instid0(VALU_DEP_1) | instskip(NEXT) | instid1(VALU_DEP_3)
	v_add_co_u32 v69, vcc_lo, v68, v69
	v_add_co_ci_u32_e32 v70, vcc_lo, v83, v70, vcc_lo
.LBB1159_369:
	s_or_b32 exec_lo, exec_lo, s17
	v_cmp_gt_u32_e32 vcc_lo, 24, v115
	v_add_nc_u32_e32 v84, 8, v115
	s_mov_b32 s17, exec_lo
	s_waitcnt lgkmcnt(2)
	v_cndmask_b32_e64 v67, 0, 1, vcc_lo
	s_delay_alu instid0(VALU_DEP_1) | instskip(SKIP_1) | instid1(VALU_DEP_1)
	v_lshlrev_b32_e32 v67, 3, v67
	s_waitcnt lgkmcnt(0)
	v_add_lshl_u32 v83, v67, v115, 2
	ds_bpermute_b32 v67, v83, v88
	ds_bpermute_b32 v68, v83, v69
	ds_bpermute_b32 v85, v83, v70
	v_cmpx_le_u32_e64 v84, v66
	s_cbranch_execz .LBB1159_371
; %bb.370:
	v_cmp_eq_u32_e32 vcc_lo, 0, v88
	s_waitcnt lgkmcnt(0)
	v_dual_cndmask_b32 v85, 0, v85 :: v_dual_add_nc_u32 v88, v67, v88
	v_cndmask_b32_e32 v68, 0, v68, vcc_lo
	s_delay_alu instid0(VALU_DEP_1) | instskip(NEXT) | instid1(VALU_DEP_3)
	v_add_co_u32 v69, vcc_lo, v68, v69
	v_add_co_ci_u32_e32 v70, vcc_lo, v85, v70, vcc_lo
.LBB1159_371:
	s_or_b32 exec_lo, exec_lo, s17
	v_cmp_gt_u32_e32 vcc_lo, 16, v115
	v_add_nc_u32_e32 v87, 16, v115
	s_mov_b32 s17, exec_lo
	s_waitcnt lgkmcnt(2)
	v_cndmask_b32_e64 v67, 0, 1, vcc_lo
	s_delay_alu instid0(VALU_DEP_1) | instskip(NEXT) | instid1(VALU_DEP_1)
	v_lshlrev_b32_e32 v67, 4, v67
	v_add_lshl_u32 v86, v67, v115, 2
	ds_bpermute_b32 v67, v86, v88
	s_waitcnt lgkmcnt(2)
	ds_bpermute_b32 v68, v86, v69
	s_waitcnt lgkmcnt(2)
	ds_bpermute_b32 v85, v86, v70
	v_cmpx_le_u32_e64 v87, v66
	s_cbranch_execz .LBB1159_373
; %bb.372:
	v_cmp_eq_u32_e32 vcc_lo, 0, v88
	s_waitcnt lgkmcnt(2)
	v_add_nc_u32_e32 v88, v67, v88
	s_waitcnt lgkmcnt(1)
	v_cndmask_b32_e32 v68, 0, v68, vcc_lo
	s_waitcnt lgkmcnt(0)
	v_cndmask_b32_e32 v66, 0, v85, vcc_lo
	s_delay_alu instid0(VALU_DEP_2) | instskip(NEXT) | instid1(VALU_DEP_2)
	v_add_co_u32 v69, vcc_lo, v68, v69
	v_add_co_ci_u32_e32 v70, vcc_lo, v66, v70, vcc_lo
.LBB1159_373:
	s_or_b32 exec_lo, exec_lo, s17
	v_mov_b32_e32 v66, 0
	s_branch .LBB1159_375
.LBB1159_374:                           ;   in Loop: Header=BB1159_375 Depth=1
	s_or_b32 exec_lo, exec_lo, s17
	v_cmp_eq_u32_e32 vcc_lo, 0, v85
	v_subrev_nc_u32_e32 v65, 32, v65
	v_add_nc_u32_e32 v88, v88, v85
	v_dual_cndmask_b32 v70, 0, v70 :: v_dual_cndmask_b32 v69, 0, v69
	s_delay_alu instid0(VALU_DEP_1) | instskip(NEXT) | instid1(VALU_DEP_2)
	v_add_co_u32 v69, vcc_lo, v69, v67
	v_add_co_ci_u32_e32 v70, vcc_lo, v70, v68, vcc_lo
.LBB1159_375:                           ; =>This Loop Header: Depth=1
                                        ;     Child Loop BB1159_378 Depth 2
                                        ;       Child Loop BB1159_379 Depth 3
	s_waitcnt lgkmcnt(2)
	v_and_b32_e32 v67, 0xff, v76
	s_waitcnt lgkmcnt(0)
	v_mov_b32_e32 v85, v88
	s_delay_alu instid0(VALU_DEP_2) | instskip(SKIP_2) | instid1(VALU_DEP_1)
	v_cmp_ne_u16_e32 vcc_lo, 2, v67
	v_cndmask_b32_e64 v67, 0, 1, vcc_lo
	;;#ASMSTART
	;;#ASMEND
	v_cmp_ne_u32_e32 vcc_lo, 0, v67
	v_dual_mov_b32 v67, v69 :: v_dual_mov_b32 v68, v70
	s_cmp_lg_u32 vcc_lo, exec_lo
	s_cbranch_scc1 .LBB1159_392
; %bb.376:                              ;   in Loop: Header=BB1159_375 Depth=1
	global_load_u8 v76, v65, s[56:57] glc
	s_mov_b32 s17, exec_lo
	s_waitcnt vmcnt(0)
	v_cmpx_eq_u16_e32 0, v76
	s_cbranch_execz .LBB1159_382
; %bb.377:                              ;   in Loop: Header=BB1159_375 Depth=1
	v_add_co_u32 v69, s18, s56, v65
	s_delay_alu instid0(VALU_DEP_1)
	v_add_co_ci_u32_e64 v70, null, s57, 0, s18
	s_mov_b32 s19, 1
	s_mov_b32 s18, 0
.LBB1159_378:                           ;   Parent Loop BB1159_375 Depth=1
                                        ; =>  This Loop Header: Depth=2
                                        ;       Child Loop BB1159_379 Depth 3
	s_max_u32 s20, s19, 1
.LBB1159_379:                           ;   Parent Loop BB1159_375 Depth=1
                                        ;     Parent Loop BB1159_378 Depth=2
                                        ; =>    This Inner Loop Header: Depth=3
	s_delay_alu instid0(SALU_CYCLE_1)
	s_add_i32 s20, s20, -1
	s_sleep 1
	s_cmp_eq_u32 s20, 0
	s_cbranch_scc0 .LBB1159_379
; %bb.380:                              ;   in Loop: Header=BB1159_378 Depth=2
	global_load_u8 v76, v[69:70], off glc
	s_cmp_lt_u32 s19, 32
	s_cselect_b32 s20, -1, 0
	s_delay_alu instid0(SALU_CYCLE_1) | instskip(SKIP_4) | instid1(SALU_CYCLE_1)
	s_cmp_lg_u32 s20, 0
	s_addc_u32 s19, s19, 0
	s_waitcnt vmcnt(0)
	v_cmp_ne_u16_e32 vcc_lo, 0, v76
	s_or_b32 s18, vcc_lo, s18
	s_and_not1_b32 exec_lo, exec_lo, s18
	s_cbranch_execnz .LBB1159_378
; %bb.381:                              ;   in Loop: Header=BB1159_375 Depth=1
	s_or_b32 exec_lo, exec_lo, s18
.LBB1159_382:                           ;   in Loop: Header=BB1159_375 Depth=1
	s_delay_alu instid0(SALU_CYCLE_1)
	s_or_b32 exec_lo, exec_lo, s17
	v_dual_mov_b32 v88, s53 :: v_dual_mov_b32 v89, s52
	v_cmp_eq_u16_e32 vcc_lo, 1, v76
	v_lshlrev_b64 v[69:70], 4, v[65:66]
	buffer_gl1_inv
	buffer_gl0_inv
	s_mov_b32 s17, exec_lo
	v_cndmask_b32_e32 v89, s54, v89, vcc_lo
	v_cndmask_b32_e32 v88, s55, v88, vcc_lo
	s_delay_alu instid0(VALU_DEP_2) | instskip(NEXT) | instid1(VALU_DEP_2)
	v_add_co_u32 v69, vcc_lo, v89, v69
	v_add_co_ci_u32_e32 v70, vcc_lo, v88, v70, vcc_lo
	v_cmp_eq_u16_e32 vcc_lo, 2, v76
	s_clause 0x1
	global_load_b32 v88, v[69:70], off
	global_load_b64 v[69:70], v[69:70], off offset:8
	v_and_or_b32 v89, vcc_lo, v78, 0x80000000
	s_delay_alu instid0(VALU_DEP_1)
	v_ctz_i32_b32_e32 v89, v89
	s_waitcnt vmcnt(1)
	ds_bpermute_b32 v90, v77, v88
	s_waitcnt vmcnt(0)
	ds_bpermute_b32 v91, v77, v69
	ds_bpermute_b32 v92, v77, v70
	v_cmpx_lt_u32_e64 v115, v89
	s_cbranch_execz .LBB1159_384
; %bb.383:                              ;   in Loop: Header=BB1159_375 Depth=1
	v_cmp_eq_u32_e32 vcc_lo, 0, v88
	s_waitcnt lgkmcnt(2)
	v_add_nc_u32_e32 v88, v90, v88
	s_waitcnt lgkmcnt(0)
	v_dual_cndmask_b32 v92, 0, v92 :: v_dual_cndmask_b32 v91, 0, v91
	s_delay_alu instid0(VALU_DEP_1) | instskip(NEXT) | instid1(VALU_DEP_2)
	v_add_co_u32 v69, vcc_lo, v91, v69
	v_add_co_ci_u32_e32 v70, vcc_lo, v92, v70, vcc_lo
.LBB1159_384:                           ;   in Loop: Header=BB1159_375 Depth=1
	s_or_b32 exec_lo, exec_lo, s17
	s_waitcnt lgkmcnt(2)
	ds_bpermute_b32 v90, v79, v88
	s_waitcnt lgkmcnt(2)
	ds_bpermute_b32 v91, v79, v69
	s_waitcnt lgkmcnt(2)
	ds_bpermute_b32 v92, v79, v70
	s_mov_b32 s17, exec_lo
	v_cmpx_le_u32_e64 v80, v89
	s_cbranch_execz .LBB1159_386
; %bb.385:                              ;   in Loop: Header=BB1159_375 Depth=1
	v_cmp_eq_u32_e32 vcc_lo, 0, v88
	s_waitcnt lgkmcnt(2)
	v_add_nc_u32_e32 v88, v90, v88
	s_waitcnt lgkmcnt(0)
	v_dual_cndmask_b32 v92, 0, v92 :: v_dual_cndmask_b32 v91, 0, v91
	s_delay_alu instid0(VALU_DEP_1) | instskip(NEXT) | instid1(VALU_DEP_2)
	v_add_co_u32 v69, vcc_lo, v91, v69
	v_add_co_ci_u32_e32 v70, vcc_lo, v92, v70, vcc_lo
.LBB1159_386:                           ;   in Loop: Header=BB1159_375 Depth=1
	s_or_b32 exec_lo, exec_lo, s17
	s_waitcnt lgkmcnt(2)
	ds_bpermute_b32 v90, v81, v88
	s_waitcnt lgkmcnt(2)
	ds_bpermute_b32 v91, v81, v69
	s_waitcnt lgkmcnt(2)
	ds_bpermute_b32 v92, v81, v70
	s_mov_b32 s17, exec_lo
	v_cmpx_le_u32_e64 v82, v89
	;; [unrolled: 20-line block ×4, first 2 shown]
	s_cbranch_execz .LBB1159_374
; %bb.391:                              ;   in Loop: Header=BB1159_375 Depth=1
	v_cmp_eq_u32_e32 vcc_lo, 0, v88
	s_waitcnt lgkmcnt(1)
	v_dual_cndmask_b32 v91, 0, v91 :: v_dual_add_nc_u32 v88, v90, v88
	s_waitcnt lgkmcnt(0)
	v_cndmask_b32_e32 v89, 0, v92, vcc_lo
	s_delay_alu instid0(VALU_DEP_2) | instskip(NEXT) | instid1(VALU_DEP_2)
	v_add_co_u32 v69, vcc_lo, v91, v69
	v_add_co_ci_u32_e32 v70, vcc_lo, v89, v70, vcc_lo
	s_branch .LBB1159_374
.LBB1159_392:                           ;   in Loop: Header=BB1159_375 Depth=1
                                        ; implicit-def: $vgpr69_vgpr70
                                        ; implicit-def: $vgpr88
                                        ; implicit-def: $vgpr76
	s_cbranch_execz .LBB1159_375
; %bb.393:
	s_and_saveexec_b32 s17, s13
	s_cbranch_execz .LBB1159_395
; %bb.394:
	v_cmp_eq_u32_e32 vcc_lo, 0, v75
	s_mov_b32 s19, 0
	s_add_i32 s18, s15, 32
	v_dual_mov_b32 v70, 0 :: v_dual_add_nc_u32 v69, v85, v75
	v_dual_cndmask_b32 v66, 0, v68 :: v_dual_cndmask_b32 v65, 0, v67
	s_lshl_b64 s[20:21], s[18:19], 4
	v_dual_mov_b32 v76, s18 :: v_dual_mov_b32 v77, 2
	s_add_u32 s20, s54, s20
	s_delay_alu instid0(VALU_DEP_2)
	v_add_co_u32 v65, vcc_lo, v65, v63
	v_add_co_ci_u32_e32 v66, vcc_lo, v66, v64, vcc_lo
	s_addc_u32 s21, s55, s21
	s_clause 0x1
	global_store_b32 v70, v69, s[20:21]
	global_store_b64 v70, v[65:66], s[20:21] offset:8
	s_waitcnt lgkmcnt(0)
	s_waitcnt_vscnt null, 0x0
	buffer_gl1_inv
	buffer_gl0_inv
	global_store_b8 v76, v77, s[56:57]
	ds_store_b32 v70, v75 offset:4096
	ds_store_b64 v70, v[63:64] offset:4104
	ds_store_b32 v70, v85 offset:4112
	ds_store_b64 v70, v[67:68] offset:4120
.LBB1159_395:
	s_or_b32 exec_lo, exec_lo, s17
	v_cmp_eq_u32_e32 vcc_lo, 0, v0
	s_and_b32 exec_lo, exec_lo, vcc_lo
	s_cbranch_execz .LBB1159_397
; %bb.396:
	v_mov_b32_e32 v63, 0
	ds_store_b32 v63, v85 offset:4240
	ds_store_b64 v63, v[67:68] offset:4248
.LBB1159_397:
	s_or_b32 exec_lo, exec_lo, s16
	s_waitcnt lgkmcnt(2)
	v_cndmask_b32_e64 v66, v74, v71, s13
	s_waitcnt lgkmcnt(0)
	s_waitcnt_vscnt null, 0x0
	s_barrier
	buffer_gl0_inv
	v_cndmask_b32_e64 v61, v73, v61, s13
	v_cmp_eq_u32_e32 vcc_lo, 0, v66
	v_mov_b32_e32 v65, 0
	v_cndmask_b32_e64 v62, v72, v62, s13
	ds_load_b64 v[63:64], v65 offset:4248
	s_waitcnt lgkmcnt(0)
	v_dual_cndmask_b32 v68, 0, v63 :: v_dual_cndmask_b32 v67, 0, v64
	s_delay_alu instid0(VALU_DEP_1) | instskip(NEXT) | instid1(VALU_DEP_2)
	v_add_co_u32 v61, vcc_lo, v68, v61
	v_add_co_ci_u32_e32 v62, vcc_lo, v67, v62, vcc_lo
	v_cmp_eq_u32_e32 vcc_lo, 0, v0
	v_cndmask_b32_e64 v66, v66, 0, vcc_lo
	s_delay_alu instid0(VALU_DEP_3)
	v_dual_cndmask_b32 v78, v62, v64 :: v_dual_cndmask_b32 v77, v61, v63
	v_cmp_eq_u32_e32 vcc_lo, 0, v113
	ds_load_b32 v64, v65 offset:4240
	s_waitcnt lgkmcnt(0)
	s_barrier
	buffer_gl0_inv
	v_dual_cndmask_b32 v62, 0, v77 :: v_dual_cndmask_b32 v61, 0, v78
	ds_load_b64 v[117:118], v65 offset:4104
	v_add_co_u32 v75, vcc_lo, v62, v53
	v_add_co_ci_u32_e32 v76, vcc_lo, v61, v54, vcc_lo
	s_delay_alu instid0(VALU_DEP_2) | instskip(NEXT) | instid1(VALU_DEP_2)
	v_cndmask_b32_e64 v61, 0, v75, s12
	v_cndmask_b32_e64 v62, 0, v76, s12
	s_delay_alu instid0(VALU_DEP_2) | instskip(NEXT) | instid1(VALU_DEP_2)
	v_add_co_u32 v81, vcc_lo, v61, v55
	v_add_co_ci_u32_e32 v82, vcc_lo, v62, v56, vcc_lo
	v_add_nc_u32_e32 v114, v64, v66
	s_delay_alu instid0(VALU_DEP_3) | instskip(NEXT) | instid1(VALU_DEP_3)
	v_cndmask_b32_e64 v61, 0, v81, s11
	v_cndmask_b32_e64 v62, 0, v82, s11
	s_delay_alu instid0(VALU_DEP_2) | instskip(NEXT) | instid1(VALU_DEP_2)
	v_add_co_u32 v85, vcc_lo, v61, v49
	v_add_co_ci_u32_e32 v86, vcc_lo, v62, v50, vcc_lo
	s_delay_alu instid0(VALU_DEP_2) | instskip(NEXT) | instid1(VALU_DEP_2)
	v_cndmask_b32_e64 v61, 0, v85, s10
	v_cndmask_b32_e64 v62, 0, v86, s10
	s_delay_alu instid0(VALU_DEP_2) | instskip(NEXT) | instid1(VALU_DEP_2)
	v_add_co_u32 v67, vcc_lo, v61, v51
	v_add_co_ci_u32_e32 v68, vcc_lo, v62, v52, vcc_lo
	s_delay_alu instid0(VALU_DEP_2) | instskip(NEXT) | instid1(VALU_DEP_2)
	;; [unrolled: 6-line block ×7, first 2 shown]
	v_cndmask_b32_e64 v61, 0, v69, s4
	v_cndmask_b32_e64 v62, 0, v70, s4
	s_delay_alu instid0(VALU_DEP_2) | instskip(NEXT) | instid1(VALU_DEP_2)
	v_add_co_u32 v73, vcc_lo, v61, v39
	v_add_co_ci_u32_e32 v74, vcc_lo, v62, v40, vcc_lo
	ds_load_b32 v61, v65 offset:4096
	v_cndmask_b32_e64 v62, 0, v73, s3
	v_cndmask_b32_e64 v63, 0, v74, s3
	s_delay_alu instid0(VALU_DEP_2) | instskip(NEXT) | instid1(VALU_DEP_2)
	v_add_co_u32 v89, vcc_lo, v62, v33
	v_add_co_ci_u32_e32 v90, vcc_lo, v63, v34, vcc_lo
	ds_load_b64 v[62:63], v65 offset:4120
	v_cndmask_b32_e64 v91, 0, v89, s2
	ds_load_b32 v65, v65 offset:4112
	v_cndmask_b32_e64 v92, 0, v90, s2
	v_add_co_u32 v93, vcc_lo, v91, v35
	s_delay_alu instid0(VALU_DEP_2) | instskip(SKIP_2) | instid1(VALU_DEP_3)
	v_add_co_ci_u32_e32 v94, vcc_lo, v92, v36, vcc_lo
	s_waitcnt lgkmcnt(2)
	v_cmp_eq_u32_e32 vcc_lo, 0, v61
	v_cndmask_b32_e64 v91, 0, v93, s1
	s_delay_alu instid0(VALU_DEP_3) | instskip(NEXT) | instid1(VALU_DEP_2)
	v_cndmask_b32_e64 v92, 0, v94, s1
	v_add_co_u32 v91, s1, v91, v29
	s_delay_alu instid0(VALU_DEP_1) | instskip(SKIP_2) | instid1(VALU_DEP_3)
	v_add_co_ci_u32_e64 v92, s1, v92, v30, s1
	s_waitcnt lgkmcnt(1)
	v_dual_cndmask_b32 v119, 0, v63 :: v_dual_cndmask_b32 v62, 0, v62
	v_cndmask_b32_e64 v97, 0, v91, s0
	s_delay_alu instid0(VALU_DEP_3) | instskip(NEXT) | instid1(VALU_DEP_3)
	v_cndmask_b32_e64 v98, 0, v92, s0
	v_add_co_u32 v63, vcc_lo, v62, v117
	s_delay_alu instid0(VALU_DEP_4)
	v_add_co_ci_u32_e32 v64, vcc_lo, v119, v118, vcc_lo
	s_branch .LBB1159_426
.LBB1159_398:
                                        ; implicit-def: $vgpr61
                                        ; implicit-def: $vgpr63_vgpr64
                                        ; implicit-def: $vgpr65
                                        ; implicit-def: $vgpr77_vgpr78
                                        ; implicit-def: $vgpr75_vgpr76
                                        ; implicit-def: $vgpr81_vgpr82
                                        ; implicit-def: $vgpr85_vgpr86
                                        ; implicit-def: $vgpr67_vgpr68
                                        ; implicit-def: $vgpr71_vgpr72
                                        ; implicit-def: $vgpr79_vgpr80
                                        ; implicit-def: $vgpr83_vgpr84
                                        ; implicit-def: $vgpr87_vgpr88
                                        ; implicit-def: $vgpr69_vgpr70
                                        ; implicit-def: $vgpr73_vgpr74
                                        ; implicit-def: $vgpr89_vgpr90
                                        ; implicit-def: $vgpr93_vgpr94
                                        ; implicit-def: $vgpr91_vgpr92
                                        ; implicit-def: $vgpr97_vgpr98
                                        ; implicit-def: $vgpr114
	s_cbranch_execz .LBB1159_426
; %bb.399:
	s_and_b32 s0, s14, exec_lo
	s_cselect_b32 s1, 0, s29
	s_cselect_b32 s0, 0, s28
	s_delay_alu instid0(SALU_CYCLE_1)
	s_cmp_eq_u64 s[0:1], 0
	s_cbranch_scc1 .LBB1159_401
; %bb.400:
	v_mov_b32_e32 v61, 0
	global_load_b64 v[95:96], v61, s[0:1]
.LBB1159_401:
	v_cmp_eq_u32_e64 s11, 0, v112
	v_cmp_eq_u32_e64 s10, 0, v111
	;; [unrolled: 1-line block ×5, first 2 shown]
	v_cndmask_b32_e64 v62, 0, v53, s11
	v_cndmask_b32_e64 v61, 0, v54, s11
	v_cmp_eq_u32_e64 s6, 0, v107
	v_cmp_eq_u32_e64 s5, 0, v106
	;; [unrolled: 1-line block ×3, first 2 shown]
	v_add_co_u32 v62, vcc_lo, v62, v55
	v_add_co_ci_u32_e32 v61, vcc_lo, v61, v56, vcc_lo
	v_cmp_eq_u32_e64 s3, 0, v103
	s_delay_alu instid0(VALU_DEP_3) | instskip(SKIP_1) | instid1(VALU_DEP_4)
	v_cndmask_b32_e64 v62, 0, v62, s10
	v_cmp_eq_u32_e64 s2, 0, v102
	v_cndmask_b32_e64 v61, 0, v61, s10
	v_cmp_eq_u32_e64 s1, 0, v100
	v_add3_u32 v63, v116, v108, v107
	v_add_co_u32 v62, vcc_lo, v62, v49
	s_delay_alu instid0(VALU_DEP_4) | instskip(NEXT) | instid1(VALU_DEP_3)
	v_add_co_ci_u32_e32 v61, vcc_lo, v61, v50, vcc_lo
	v_add3_u32 v63, v63, v106, v104
	s_delay_alu instid0(VALU_DEP_3) | instskip(SKIP_1) | instid1(VALU_DEP_3)
	v_cndmask_b32_e64 v62, 0, v62, s9
	s_mov_b32 s13, exec_lo
	v_cndmask_b32_e64 v61, 0, v61, s9
	s_delay_alu instid0(VALU_DEP_3) | instskip(NEXT) | instid1(VALU_DEP_3)
	v_add3_u32 v63, v63, v103, v102
	v_add_co_u32 v62, vcc_lo, v62, v51
	s_delay_alu instid0(VALU_DEP_3) | instskip(NEXT) | instid1(VALU_DEP_3)
	v_add_co_ci_u32_e32 v61, vcc_lo, v61, v52, vcc_lo
	v_add3_u32 v63, v63, v101, v100
	s_delay_alu instid0(VALU_DEP_3) | instskip(NEXT) | instid1(VALU_DEP_3)
	v_cndmask_b32_e64 v62, 0, v62, s8
	v_cndmask_b32_e64 v61, 0, v61, s8
	s_delay_alu instid0(VALU_DEP_3) | instskip(NEXT) | instid1(VALU_DEP_3)
	v_add3_u32 v63, v63, v99, v105
	v_add_co_u32 v62, vcc_lo, v62, v45
	s_delay_alu instid0(VALU_DEP_3) | instskip(NEXT) | instid1(VALU_DEP_2)
	v_add_co_ci_u32_e32 v61, vcc_lo, v61, v46, vcc_lo
	v_cndmask_b32_e64 v62, 0, v62, s7
	s_delay_alu instid0(VALU_DEP_2) | instskip(NEXT) | instid1(VALU_DEP_2)
	v_cndmask_b32_e64 v61, 0, v61, s7
	v_add_co_u32 v62, vcc_lo, v62, v47
	s_delay_alu instid0(VALU_DEP_2) | instskip(NEXT) | instid1(VALU_DEP_2)
	v_add_co_ci_u32_e32 v61, vcc_lo, v61, v48, vcc_lo
	v_cndmask_b32_e64 v62, 0, v62, s6
	s_delay_alu instid0(VALU_DEP_2) | instskip(NEXT) | instid1(VALU_DEP_2)
	v_cndmask_b32_e64 v61, 0, v61, s6
	v_add_co_u32 v62, vcc_lo, v62, v41
	s_delay_alu instid0(VALU_DEP_2) | instskip(NEXT) | instid1(VALU_DEP_2)
	;; [unrolled: 6-line block ×5, first 2 shown]
	v_add_co_ci_u32_e32 v61, vcc_lo, v61, v40, vcc_lo
	v_cndmask_b32_e64 v62, 0, v62, s2
	s_delay_alu instid0(VALU_DEP_2) | instskip(NEXT) | instid1(VALU_DEP_2)
	v_cndmask_b32_e64 v61, 0, v61, s2
	v_add_co_u32 v62, vcc_lo, v62, v33
	s_delay_alu instid0(VALU_DEP_2) | instskip(SKIP_1) | instid1(VALU_DEP_2)
	v_add_co_ci_u32_e32 v61, vcc_lo, v61, v34, vcc_lo
	v_cmp_eq_u32_e32 vcc_lo, 0, v101
	v_dual_cndmask_b32 v61, 0, v61 :: v_dual_cndmask_b32 v62, 0, v62
	s_delay_alu instid0(VALU_DEP_1) | instskip(NEXT) | instid1(VALU_DEP_1)
	v_add_co_u32 v62, s0, v62, v35
	v_add_co_ci_u32_e64 v61, s0, v61, v36, s0
	s_delay_alu instid0(VALU_DEP_2) | instskip(NEXT) | instid1(VALU_DEP_2)
	v_cndmask_b32_e64 v62, 0, v62, s1
	v_cndmask_b32_e64 v61, 0, v61, s1
	s_delay_alu instid0(VALU_DEP_2) | instskip(NEXT) | instid1(VALU_DEP_1)
	v_add_co_u32 v62, s0, v62, v29
	v_add_co_ci_u32_e64 v61, s0, v61, v30, s0
	v_cmp_eq_u32_e64 s0, 0, v99
	s_delay_alu instid0(VALU_DEP_1) | instskip(NEXT) | instid1(VALU_DEP_3)
	v_cndmask_b32_e64 v62, 0, v62, s0
	v_cndmask_b32_e64 v61, 0, v61, s0
	s_delay_alu instid0(VALU_DEP_2) | instskip(NEXT) | instid1(VALU_DEP_1)
	v_add_co_u32 v62, s12, v62, v31
	v_add_co_ci_u32_e64 v61, s12, v61, v32, s12
	v_cmp_eq_u32_e64 s12, 0, v105
	s_delay_alu instid0(VALU_DEP_1) | instskip(NEXT) | instid1(VALU_DEP_3)
	v_cndmask_b32_e64 v62, 0, v62, s12
	v_cndmask_b32_e64 v61, 0, v61, s12
	s_delay_alu instid0(VALU_DEP_2) | instskip(NEXT) | instid1(VALU_DEP_1)
	v_add_co_u32 v59, s12, v62, v59
	v_add_co_ci_u32_e64 v60, s12, v61, v60, s12
	v_and_b32_e32 v61, 15, v115
	v_mov_b32_dpp v62, v63 row_shr:1 row_mask:0xf bank_mask:0xf
	s_delay_alu instid0(VALU_DEP_4)
	v_mov_b32_dpp v64, v59 row_shr:1 row_mask:0xf bank_mask:0xf
	s_waitcnt lgkmcnt(0)
	v_mov_b32_dpp v65, v60 row_shr:1 row_mask:0xf bank_mask:0xf
	v_cmpx_ne_u32_e32 0, v61
; %bb.402:
	v_cmp_eq_u32_e64 s12, 0, v63
	v_add_nc_u32_e32 v63, v62, v63
	s_delay_alu instid0(VALU_DEP_2) | instskip(SKIP_1) | instid1(VALU_DEP_2)
	v_cndmask_b32_e64 v64, 0, v64, s12
	v_cndmask_b32_e64 v65, 0, v65, s12
	v_add_co_u32 v59, s12, v64, v59
	s_delay_alu instid0(VALU_DEP_1)
	v_add_co_ci_u32_e64 v60, s12, v65, v60, s12
; %bb.403:
	s_or_b32 exec_lo, exec_lo, s13
	v_mov_b32_dpp v62, v63 row_shr:2 row_mask:0xf bank_mask:0xf
	s_delay_alu instid0(VALU_DEP_3) | instskip(NEXT) | instid1(VALU_DEP_3)
	v_mov_b32_dpp v64, v59 row_shr:2 row_mask:0xf bank_mask:0xf
	v_mov_b32_dpp v65, v60 row_shr:2 row_mask:0xf bank_mask:0xf
	s_mov_b32 s13, exec_lo
	v_cmpx_lt_u32_e32 1, v61
; %bb.404:
	v_cmp_eq_u32_e64 s12, 0, v63
	v_add_nc_u32_e32 v63, v62, v63
	s_delay_alu instid0(VALU_DEP_2) | instskip(SKIP_1) | instid1(VALU_DEP_2)
	v_cndmask_b32_e64 v64, 0, v64, s12
	v_cndmask_b32_e64 v65, 0, v65, s12
	v_add_co_u32 v59, s12, v64, v59
	s_delay_alu instid0(VALU_DEP_1)
	v_add_co_ci_u32_e64 v60, s12, v65, v60, s12
; %bb.405:
	s_or_b32 exec_lo, exec_lo, s13
	v_mov_b32_dpp v62, v63 row_shr:4 row_mask:0xf bank_mask:0xf
	s_delay_alu instid0(VALU_DEP_3) | instskip(NEXT) | instid1(VALU_DEP_3)
	v_mov_b32_dpp v64, v59 row_shr:4 row_mask:0xf bank_mask:0xf
	v_mov_b32_dpp v65, v60 row_shr:4 row_mask:0xf bank_mask:0xf
	s_mov_b32 s13, exec_lo
	v_cmpx_lt_u32_e32 3, v61
	;; [unrolled: 17-line block ×3, first 2 shown]
; %bb.408:
	v_cmp_eq_u32_e64 s12, 0, v63
	v_add_nc_u32_e32 v63, v62, v63
	s_delay_alu instid0(VALU_DEP_2) | instskip(SKIP_1) | instid1(VALU_DEP_2)
	v_cndmask_b32_e64 v64, 0, v64, s12
	v_cndmask_b32_e64 v61, 0, v65, s12
	v_add_co_u32 v59, s12, v64, v59
	s_delay_alu instid0(VALU_DEP_1)
	v_add_co_ci_u32_e64 v60, s12, v61, v60, s12
; %bb.409:
	s_or_b32 exec_lo, exec_lo, s13
	ds_swizzle_b32 v61, v63 offset:swizzle(BROADCAST,32,15)
	ds_swizzle_b32 v62, v59 offset:swizzle(BROADCAST,32,15)
	;; [unrolled: 1-line block ×3, first 2 shown]
	v_and_b32_e32 v65, 16, v115
	s_mov_b32 s13, exec_lo
	s_delay_alu instid0(VALU_DEP_1)
	v_cmpx_ne_u32_e32 0, v65
	s_cbranch_execz .LBB1159_411
; %bb.410:
	v_cmp_eq_u32_e64 s12, 0, v63
	s_waitcnt lgkmcnt(2)
	v_add_nc_u32_e32 v63, v61, v63
	s_waitcnt lgkmcnt(1)
	s_delay_alu instid0(VALU_DEP_2) | instskip(SKIP_2) | instid1(VALU_DEP_2)
	v_cndmask_b32_e64 v62, 0, v62, s12
	s_waitcnt lgkmcnt(0)
	v_cndmask_b32_e64 v64, 0, v64, s12
	v_add_co_u32 v59, s12, v62, v59
	s_delay_alu instid0(VALU_DEP_1)
	v_add_co_ci_u32_e64 v60, s12, v64, v60, s12
.LBB1159_411:
	s_or_b32 exec_lo, exec_lo, s13
	s_waitcnt lgkmcnt(2)
	v_or_b32_e32 v61, 31, v0
	s_waitcnt lgkmcnt(0)
	v_lshrrev_b32_e32 v64, 5, v0
	s_mov_b32 s13, exec_lo
	s_delay_alu instid0(VALU_DEP_2)
	v_cmpx_eq_u32_e64 v61, v0
	s_cbranch_execz .LBB1159_413
; %bb.412:
	s_delay_alu instid0(VALU_DEP_2)
	v_lshlrev_b32_e32 v61, 4, v64
	ds_store_b32 v61, v63 offset:4128
	ds_store_b64 v61, v[59:60] offset:4136
.LBB1159_413:
	s_or_b32 exec_lo, exec_lo, s13
	s_delay_alu instid0(SALU_CYCLE_1)
	s_mov_b32 s13, exec_lo
	s_waitcnt vmcnt(0) lgkmcnt(0)
	s_barrier
	buffer_gl0_inv
	v_cmpx_gt_u32_e32 8, v0
	s_cbranch_execz .LBB1159_421
; %bb.414:
	v_lshlrev_b32_e32 v65, 4, v0
	v_and_b32_e32 v67, 7, v115
	s_mov_b32 s15, exec_lo
	ds_load_b32 v66, v65 offset:4128
	ds_load_b64 v[61:62], v65 offset:4136
	s_waitcnt lgkmcnt(1)
	v_mov_b32_dpp v68, v66 row_shr:1 row_mask:0xf bank_mask:0xf
	s_waitcnt lgkmcnt(0)
	v_mov_b32_dpp v69, v61 row_shr:1 row_mask:0xf bank_mask:0xf
	v_mov_b32_dpp v70, v62 row_shr:1 row_mask:0xf bank_mask:0xf
	v_cmpx_ne_u32_e32 0, v67
; %bb.415:
	v_cmp_eq_u32_e64 s12, 0, v66
	v_add_nc_u32_e32 v66, v68, v66
	s_delay_alu instid0(VALU_DEP_2) | instskip(SKIP_1) | instid1(VALU_DEP_2)
	v_cndmask_b32_e64 v69, 0, v69, s12
	v_cndmask_b32_e64 v70, 0, v70, s12
	v_add_co_u32 v61, s12, v69, v61
	s_delay_alu instid0(VALU_DEP_1)
	v_add_co_ci_u32_e64 v62, s12, v70, v62, s12
; %bb.416:
	s_or_b32 exec_lo, exec_lo, s15
	v_mov_b32_dpp v68, v66 row_shr:2 row_mask:0xf bank_mask:0xf
	s_delay_alu instid0(VALU_DEP_3) | instskip(NEXT) | instid1(VALU_DEP_3)
	v_mov_b32_dpp v69, v61 row_shr:2 row_mask:0xf bank_mask:0xf
	v_mov_b32_dpp v70, v62 row_shr:2 row_mask:0xf bank_mask:0xf
	s_mov_b32 s15, exec_lo
	v_cmpx_lt_u32_e32 1, v67
; %bb.417:
	v_cmp_eq_u32_e64 s12, 0, v66
	v_add_nc_u32_e32 v66, v68, v66
	s_delay_alu instid0(VALU_DEP_2) | instskip(SKIP_1) | instid1(VALU_DEP_2)
	v_cndmask_b32_e64 v69, 0, v69, s12
	v_cndmask_b32_e64 v70, 0, v70, s12
	v_add_co_u32 v61, s12, v69, v61
	s_delay_alu instid0(VALU_DEP_1)
	v_add_co_ci_u32_e64 v62, s12, v70, v62, s12
; %bb.418:
	s_or_b32 exec_lo, exec_lo, s15
	v_mov_b32_dpp v68, v66 row_shr:4 row_mask:0xf bank_mask:0xf
	s_delay_alu instid0(VALU_DEP_3) | instskip(NEXT) | instid1(VALU_DEP_3)
	v_mov_b32_dpp v69, v61 row_shr:4 row_mask:0xf bank_mask:0xf
	v_mov_b32_dpp v70, v62 row_shr:4 row_mask:0xf bank_mask:0xf
	s_mov_b32 s15, exec_lo
	v_cmpx_lt_u32_e32 3, v67
; %bb.419:
	v_cmp_eq_u32_e64 s12, 0, v66
	v_add_nc_u32_e32 v66, v68, v66
	s_delay_alu instid0(VALU_DEP_2) | instskip(SKIP_1) | instid1(VALU_DEP_2)
	v_cndmask_b32_e64 v69, 0, v69, s12
	v_cndmask_b32_e64 v67, 0, v70, s12
	v_add_co_u32 v61, s12, v69, v61
	s_delay_alu instid0(VALU_DEP_1)
	v_add_co_ci_u32_e64 v62, s12, v67, v62, s12
; %bb.420:
	s_or_b32 exec_lo, exec_lo, s15
	ds_store_b32 v65, v66 offset:4128
	ds_store_b64 v65, v[61:62] offset:4136
.LBB1159_421:
	s_or_b32 exec_lo, exec_lo, s13
	v_dual_mov_b32 v65, 0 :: v_dual_mov_b32 v66, 0
	v_dual_mov_b32 v61, v95 :: v_dual_mov_b32 v62, v96
	s_mov_b32 s13, exec_lo
	s_waitcnt lgkmcnt(0)
	s_barrier
	buffer_gl0_inv
	v_cmpx_lt_u32_e32 31, v0
	s_cbranch_execz .LBB1159_423
; %bb.422:
	v_lshlrev_b32_e32 v61, 4, v64
	ds_load_b32 v66, v61 offset:4112
	ds_load_b64 v[61:62], v61 offset:4120
	s_waitcnt lgkmcnt(1)
	v_cmp_eq_u32_e64 s12, 0, v66
	s_delay_alu instid0(VALU_DEP_1) | instskip(SKIP_2) | instid1(VALU_DEP_2)
	v_cndmask_b32_e64 v67, 0, v95, s12
	v_cndmask_b32_e64 v64, 0, v96, s12
	s_waitcnt lgkmcnt(0)
	v_add_co_u32 v61, s12, v67, v61
	s_delay_alu instid0(VALU_DEP_1)
	v_add_co_ci_u32_e64 v62, s12, v64, v62, s12
.LBB1159_423:
	s_or_b32 exec_lo, exec_lo, s13
	v_add_nc_u32_e32 v64, -1, v115
	v_cmp_eq_u32_e64 s12, 0, v63
	v_add_nc_u32_e32 v63, v66, v63
	s_delay_alu instid0(VALU_DEP_3) | instskip(NEXT) | instid1(VALU_DEP_3)
	v_cmp_gt_i32_e64 s13, 0, v64
	v_cndmask_b32_e64 v68, 0, v61, s12
	v_cndmask_b32_e64 v67, 0, v62, s12
	s_delay_alu instid0(VALU_DEP_3) | instskip(NEXT) | instid1(VALU_DEP_3)
	v_cndmask_b32_e64 v64, v64, v115, s13
	v_add_co_u32 v59, s12, v68, v59
	s_delay_alu instid0(VALU_DEP_1) | instskip(NEXT) | instid1(VALU_DEP_3)
	v_add_co_ci_u32_e64 v60, s12, v67, v60, s12
	v_lshlrev_b32_e32 v64, 2, v64
	v_cmp_eq_u32_e64 s12, 0, v115
	v_cmp_eq_u32_e64 s13, 0, v113
	ds_bpermute_b32 v63, v64, v63
	ds_bpermute_b32 v60, v64, v60
	;; [unrolled: 1-line block ×3, first 2 shown]
	s_waitcnt lgkmcnt(2)
	v_cndmask_b32_e64 v114, v63, v66, s12
	s_waitcnt lgkmcnt(1)
	v_cndmask_b32_e64 v78, v60, v62, s12
	;; [unrolled: 2-line block ×3, first 2 shown]
	v_cmp_eq_u32_e64 s12, 0, v0
	ds_load_b32 v61, v65 offset:4240
	v_cndmask_b32_e64 v59, v77, v95, s12
	v_cndmask_b32_e64 v60, v78, v96, s12
	s_delay_alu instid0(VALU_DEP_2) | instskip(NEXT) | instid1(VALU_DEP_2)
	v_cndmask_b32_e64 v59, 0, v59, s13
	v_cndmask_b32_e64 v60, 0, v60, s13
	s_delay_alu instid0(VALU_DEP_2) | instskip(NEXT) | instid1(VALU_DEP_1)
	v_add_co_u32 v75, s13, v59, v53
	v_add_co_ci_u32_e64 v76, s13, v60, v54, s13
	s_delay_alu instid0(VALU_DEP_2) | instskip(NEXT) | instid1(VALU_DEP_2)
	v_cndmask_b32_e64 v53, 0, v75, s11
	v_cndmask_b32_e64 v54, 0, v76, s11
	s_delay_alu instid0(VALU_DEP_2) | instskip(NEXT) | instid1(VALU_DEP_1)
	v_add_co_u32 v81, s11, v53, v55
	v_add_co_ci_u32_e64 v82, s11, v54, v56, s11
	;; [unrolled: 6-line block ×11, first 2 shown]
	ds_load_b64 v[33:34], v65 offset:4248
	v_dual_cndmask_b32 v37, 0, v89 :: v_dual_cndmask_b32 v38, 0, v90
	s_delay_alu instid0(VALU_DEP_1) | instskip(NEXT) | instid1(VALU_DEP_2)
	v_add_co_u32 v93, vcc_lo, v37, v35
	v_add_co_ci_u32_e32 v94, vcc_lo, v38, v36, vcc_lo
	s_waitcnt lgkmcnt(1)
	v_cmp_eq_u32_e32 vcc_lo, 0, v61
	s_delay_alu instid0(VALU_DEP_3) | instskip(NEXT) | instid1(VALU_DEP_3)
	v_cndmask_b32_e64 v35, 0, v93, s1
	v_cndmask_b32_e64 v36, 0, v94, s1
	s_delay_alu instid0(VALU_DEP_2) | instskip(NEXT) | instid1(VALU_DEP_1)
	v_add_co_u32 v91, s1, v35, v29
	v_add_co_ci_u32_e64 v92, s1, v36, v30, s1
	v_dual_cndmask_b32 v29, 0, v96 :: v_dual_cndmask_b32 v30, 0, v95
	s_delay_alu instid0(VALU_DEP_3) | instskip(NEXT) | instid1(VALU_DEP_3)
	v_cndmask_b32_e64 v97, 0, v91, s0
	v_cndmask_b32_e64 v98, 0, v92, s0
	s_waitcnt lgkmcnt(0)
	s_delay_alu instid0(VALU_DEP_3)
	v_add_co_u32 v63, vcc_lo, v30, v33
	v_add_co_ci_u32_e32 v64, vcc_lo, v29, v34, vcc_lo
	s_and_saveexec_b32 s0, s12
	s_cbranch_execz .LBB1159_425
; %bb.424:
	v_dual_mov_b32 v114, 0 :: v_dual_mov_b32 v29, 2
	v_dual_mov_b32 v77, v95 :: v_dual_mov_b32 v78, v96
	s_clause 0x1
	global_store_b32 v114, v61, s[54:55] offset:512
	global_store_b64 v114, v[63:64], s[54:55] offset:520
	s_waitcnt_vscnt null, 0x0
	buffer_gl1_inv
	buffer_gl0_inv
	global_store_b8 v114, v29, s[56:57] offset:32
.LBB1159_425:
	s_or_b32 exec_lo, exec_lo, s0
	v_mov_b32_e32 v65, 0
.LBB1159_426:
	v_mov_b32_e32 v29, 0
	s_and_b32 s0, s14, exec_lo
	v_mov_b32_e32 v30, 0
	s_cselect_b32 s1, 0, s67
	s_cselect_b32 s0, 0, s66
	s_waitcnt lgkmcnt(0)
	s_waitcnt_vscnt null, 0x0
	s_cmp_eq_u64 s[0:1], 0
	s_barrier
	buffer_gl0_inv
	s_cbranch_scc1 .LBB1159_428
; %bb.427:
	v_mov_b32_e32 v29, 0
	global_load_b64 v[29:30], v29, s[0:1]
.LBB1159_428:
	v_cmp_eq_u32_e32 vcc_lo, 0, v113
	v_add_nc_u32_e32 v48, v114, v113
	v_cmp_ne_u32_e64 s12, 0, v113
	v_cmp_ne_u32_e64 s11, 0, v112
	v_cmp_ne_u32_e64 s9, 0, v111
	v_cndmask_b32_e64 v33, 1, 2, vcc_lo
	v_cmp_eq_u32_e32 vcc_lo, 0, v112
	v_add_nc_u32_e32 v50, v48, v112
	v_cmp_ne_u32_e64 s8, 0, v110
	v_cmp_ne_u32_e64 s14, 0, v109
	;; [unrolled: 1-line block ×3, first 2 shown]
	v_cndmask_b32_e64 v34, 1, 2, vcc_lo
	v_cmp_eq_u32_e32 vcc_lo, 0, v111
	v_add_nc_u32_e32 v49, v50, v111
	v_cmp_ne_u32_e64 s10, 0, v107
	s_delay_alu instid0(VALU_DEP_4)
	v_dual_mov_b32 v66, 0 :: v_dual_and_b32 v33, v34, v33
	v_cndmask_b32_e64 v35, 1, 2, vcc_lo
	v_cmp_eq_u32_e32 vcc_lo, 0, v110
	v_add_nc_u32_e32 v47, v49, v110
	v_cmp_ne_u32_e64 s7, 0, v106
	v_cmp_ne_u32_e64 s6, 0, v104
	v_and_b32_e32 v35, v33, v35
	v_cndmask_b32_e64 v36, 1, 2, vcc_lo
	v_cmp_eq_u32_e32 vcc_lo, 0, v109
	v_add_nc_u32_e32 v46, v47, v109
	s_waitcnt vmcnt(0)
	v_lshlrev_b64 v[33:34], 3, v[29:30]
	v_cmp_ne_u32_e64 s5, 0, v103
	v_and_b32_e32 v35, v35, v36
	v_cndmask_b32_e64 v37, 1, 2, vcc_lo
	v_cmp_eq_u32_e32 vcc_lo, 0, v108
	v_add_nc_u32_e32 v45, v46, v108
	v_cmp_ne_u32_e64 s4, 0, v102
	v_cmp_ne_u32_e64 s3, 0, v101
	v_and_b32_e32 v35, v35, v37
	v_cndmask_b32_e64 v36, 1, 2, vcc_lo
	v_cmp_eq_u32_e32 vcc_lo, 0, v107
	v_add_nc_u32_e32 v44, v45, v107
	v_cmp_ne_u32_e64 s2, 0, v100
	;; [unrolled: 6-line block ×3, first 2 shown]
	s_mov_b32 s16, -1
	v_and_b32_e32 v35, v35, v37
	v_cndmask_b32_e64 v36, 1, 2, vcc_lo
	v_cmp_eq_u32_e32 vcc_lo, 0, v104
	v_add_nc_u32_e32 v42, v43, v104
	s_delay_alu instid0(VALU_DEP_3) | instskip(SKIP_2) | instid1(VALU_DEP_4)
	v_and_b32_e32 v35, v35, v36
	v_cndmask_b32_e64 v37, 1, 2, vcc_lo
	v_cmp_eq_u32_e32 vcc_lo, 0, v103
	v_add_nc_u32_e32 v41, v42, v103
	s_delay_alu instid0(VALU_DEP_3) | instskip(SKIP_2) | instid1(VALU_DEP_4)
	v_and_b32_e32 v35, v35, v37
	v_cndmask_b32_e64 v36, 1, 2, vcc_lo
	v_cmp_eq_u32_e32 vcc_lo, 0, v102
	v_add_nc_u32_e32 v40, v41, v102
	s_delay_alu instid0(VALU_DEP_3) | instskip(SKIP_3) | instid1(VALU_DEP_3)
	v_and_b32_e32 v39, v35, v36
	v_cndmask_b32_e64 v37, 1, 2, vcc_lo
	v_cmp_eq_u32_e32 vcc_lo, 0, v101
	v_lshlrev_b64 v[35:36], 3, v[65:66]
	v_and_b32_e32 v37, v39, v37
	v_cndmask_b32_e64 v38, 1, 2, vcc_lo
	v_cmp_eq_u32_e32 vcc_lo, 0, v100
	v_add_nc_u32_e32 v39, v40, v101
	s_delay_alu instid0(VALU_DEP_3) | instskip(SKIP_3) | instid1(VALU_DEP_3)
	v_and_b32_e32 v54, v37, v38
	v_cndmask_b32_e64 v53, 1, 2, vcc_lo
	v_add_co_u32 v51, vcc_lo, s46, v33
	v_add_co_ci_u32_e32 v52, vcc_lo, s47, v34, vcc_lo
	v_and_b32_e32 v53, v54, v53
	s_delay_alu instid0(VALU_DEP_3) | instskip(NEXT) | instid1(VALU_DEP_3)
	v_add_co_u32 v51, vcc_lo, v51, v35
	v_add_co_ci_u32_e32 v52, vcc_lo, v52, v36, vcc_lo
	v_cmp_eq_u32_e32 vcc_lo, 0, v99
	v_add_nc_u32_e32 v38, v39, v100
	v_cndmask_b32_e64 v54, 1, 2, vcc_lo
	v_cmp_eq_u32_e32 vcc_lo, 0, v105
	s_delay_alu instid0(VALU_DEP_3) | instskip(NEXT) | instid1(VALU_DEP_3)
	v_add_nc_u32_e32 v37, v38, v99
	v_and_b32_e32 v53, v53, v54
	v_cndmask_b32_e64 v54, 1, 2, vcc_lo
	v_cmp_gt_u32_e32 vcc_lo, 0x100, v61
	s_delay_alu instid0(VALU_DEP_2) | instskip(NEXT) | instid1(VALU_DEP_1)
	v_and_b32_e32 v53, v53, v54
	v_cmp_gt_i16_e64 s15, 2, v53
	s_cbranch_vccz .LBB1159_435
; %bb.429:
	s_delay_alu instid0(VALU_DEP_1)
	s_and_saveexec_b32 s16, s15
	s_cbranch_execz .LBB1159_434
; %bb.430:
	s_mov_b32 s17, 0
	s_mov_b32 s15, exec_lo
	v_cmpx_ne_u16_e32 1, v53
	s_xor_b32 s15, exec_lo, s15
	s_cbranch_execnz .LBB1159_467
; %bb.431:
	s_and_not1_saveexec_b32 s15, s15
	s_cbranch_execnz .LBB1159_483
.LBB1159_432:
	s_or_b32 exec_lo, exec_lo, s15
	s_delay_alu instid0(SALU_CYCLE_1)
	s_and_b32 exec_lo, exec_lo, s17
	s_cbranch_execz .LBB1159_434
.LBB1159_433:
	v_sub_nc_u32_e32 v54, v37, v65
	v_mov_b32_e32 v55, 0
	s_delay_alu instid0(VALU_DEP_1) | instskip(NEXT) | instid1(VALU_DEP_1)
	v_lshlrev_b64 v[54:55], 3, v[54:55]
	v_add_co_u32 v54, vcc_lo, v51, v54
	s_delay_alu instid0(VALU_DEP_2)
	v_add_co_ci_u32_e32 v55, vcc_lo, v52, v55, vcc_lo
	global_store_b64 v[54:55], v[57:58], off
.LBB1159_434:
	s_or_b32 exec_lo, exec_lo, s16
	s_mov_b32 s16, 0
.LBB1159_435:
	s_delay_alu instid0(SALU_CYCLE_1)
	s_and_b32 vcc_lo, exec_lo, s16
	s_cbranch_vccz .LBB1159_445
; %bb.436:
	s_mov_b32 s15, exec_lo
	v_cmpx_gt_i16_e32 2, v53
	s_cbranch_execz .LBB1159_441
; %bb.437:
	s_mov_b32 s17, 0
	s_mov_b32 s16, exec_lo
	v_cmpx_ne_u16_e32 1, v53
	s_xor_b32 s16, exec_lo, s16
	s_cbranch_execnz .LBB1159_484
; %bb.438:
	s_and_not1_saveexec_b32 s0, s16
	s_cbranch_execnz .LBB1159_500
.LBB1159_439:
	s_or_b32 exec_lo, exec_lo, s0
	s_delay_alu instid0(SALU_CYCLE_1)
	s_and_b32 exec_lo, exec_lo, s17
	s_cbranch_execz .LBB1159_441
.LBB1159_440:
	v_sub_nc_u32_e32 v1, v37, v65
	s_delay_alu instid0(VALU_DEP_1)
	v_lshlrev_b32_e32 v1, 3, v1
	ds_store_b64 v1, v[57:58]
.LBB1159_441:
	s_or_b32 exec_lo, exec_lo, s15
	s_delay_alu instid0(SALU_CYCLE_1)
	s_mov_b32 s1, exec_lo
	s_waitcnt lgkmcnt(0)
	s_waitcnt_vscnt null, 0x0
	s_barrier
	buffer_gl0_inv
	v_cmpx_lt_u32_e64 v0, v61
	s_cbranch_execz .LBB1159_444
; %bb.442:
	v_dual_mov_b32 v2, 0 :: v_dual_lshlrev_b32 v3, 3, v0
	v_mov_b32_e32 v1, v0
	s_mov_b32 s2, 0
	.p2align	6
.LBB1159_443:                           ; =>This Inner Loop Header: Depth=1
	ds_load_b64 v[4:5], v3
	v_lshlrev_b64 v[6:7], 3, v[1:2]
	v_add_nc_u32_e32 v1, 0x100, v1
	v_add_nc_u32_e32 v3, 0x800, v3
	s_delay_alu instid0(VALU_DEP_2) | instskip(NEXT) | instid1(VALU_DEP_4)
	v_cmp_ge_u32_e32 vcc_lo, v1, v61
	v_add_co_u32 v6, s0, v51, v6
	s_delay_alu instid0(VALU_DEP_1)
	v_add_co_ci_u32_e64 v7, s0, v52, v7, s0
	s_or_b32 s2, vcc_lo, s2
	s_waitcnt lgkmcnt(0)
	global_store_b64 v[6:7], v[4:5], off
	s_and_not1_b32 exec_lo, exec_lo, s2
	s_cbranch_execnz .LBB1159_443
.LBB1159_444:
	s_or_b32 exec_lo, exec_lo, s1
.LBB1159_445:
	v_add_co_u32 v1, vcc_lo, v97, v31
	s_cmpk_lg_i32 s33, 0xf00
	v_add_co_ci_u32_e32 v2, vcc_lo, v98, v32, vcc_lo
	s_cselect_b32 s0, -1, 0
	v_cmp_eq_u32_e32 vcc_lo, 0, v0
	s_and_b32 s0, s27, s0
	v_cndmask_b32_e64 v8, 0, 1, s34
	v_mad_i32_i24 v5, v0, -15, s33
	v_cndmask_b32_e64 v4, 0, 1, s0
	s_mul_hi_u32 s0, s33, 0x88888889
	s_and_b32 s1, vcc_lo, s34
	s_lshr_b32 s0, s0, 3
	v_sub_nc_u32_e32 v3, v61, v8
	v_cndmask_b32_e64 v6, v113, 0, s1
	v_cmp_eq_u32_e32 vcc_lo, s0, v0
	v_cmp_ne_u32_e64 s0, 0, v5
	s_mov_b32 s16, -1
	s_waitcnt_vscnt null, 0x0
	s_barrier
	s_and_b32 vcc_lo, s27, vcc_lo
	v_add_nc_u32_e32 v3, v3, v4
	v_cndmask_b32_e64 v4, 1, v6, s0
	v_cmp_ne_u32_e64 s0, 1, v5
	buffer_gl0_inv
	v_cndmask_b32_e64 v7, 1, v112, s0
	v_cmp_ne_u32_e64 s0, 14, v5
	s_delay_alu instid0(VALU_DEP_1) | instskip(SKIP_1) | instid1(VALU_DEP_2)
	v_cndmask_b32_e64 v9, 1, v105, s0
	v_cmp_ne_u32_e64 s0, 2, v5
	v_cndmask_b32_e32 v12, v105, v9, vcc_lo
	s_delay_alu instid0(VALU_DEP_2) | instskip(SKIP_1) | instid1(VALU_DEP_2)
	v_cndmask_b32_e64 v10, 1, v111, s0
	v_cmp_ne_u32_e64 s0, 3, v5
	v_dual_cndmask_b32 v9, v6, v4 :: v_dual_cndmask_b32 v10, v111, v10
	s_delay_alu instid0(VALU_DEP_2) | instskip(SKIP_1) | instid1(VALU_DEP_3)
	v_cndmask_b32_e64 v11, 1, v110, s0
	v_cmp_ne_u32_e64 s0, 4, v5
	v_cmp_ne_u32_e64 s14, 0, v9
	s_delay_alu instid0(VALU_DEP_4) | instskip(NEXT) | instid1(VALU_DEP_3)
	v_cmp_ne_u32_e64 s12, 0, v10
	v_cndmask_b32_e64 v4, 1, v109, s0
	v_cmp_ne_u32_e64 s0, 5, v5
	s_delay_alu instid0(VALU_DEP_2) | instskip(NEXT) | instid1(VALU_DEP_2)
	v_dual_cndmask_b32 v13, v112, v7 :: v_dual_cndmask_b32 v18, v109, v4
	v_cndmask_b32_e64 v6, 1, v108, s0
	v_cmp_eq_u32_e64 s0, 0, v9
	s_delay_alu instid0(VALU_DEP_3) | instskip(NEXT) | instid1(VALU_DEP_4)
	v_cmp_ne_u32_e64 s13, 0, v13
	v_cmp_ne_u32_e64 s10, 0, v18
	s_delay_alu instid0(VALU_DEP_4) | instskip(NEXT) | instid1(VALU_DEP_4)
	v_cndmask_b32_e32 v19, v108, v6, vcc_lo
	v_cndmask_b32_e64 v7, 1, 2, s0
	v_cmp_eq_u32_e64 s0, 0, v13
	s_delay_alu instid0(VALU_DEP_1) | instskip(SKIP_1) | instid1(VALU_DEP_2)
	v_cndmask_b32_e64 v14, 1, 2, s0
	v_cmp_ne_u32_e64 s0, 6, v5
	v_and_b32_e32 v7, v14, v7
	s_delay_alu instid0(VALU_DEP_2) | instskip(SKIP_1) | instid1(VALU_DEP_2)
	v_cndmask_b32_e64 v15, 1, v107, s0
	v_cmp_eq_u32_e64 s0, 0, v10
	v_cndmask_b32_e32 v15, v107, v15, vcc_lo
	s_delay_alu instid0(VALU_DEP_2) | instskip(SKIP_1) | instid1(VALU_DEP_1)
	v_cndmask_b32_e64 v14, 1, 2, s0
	v_cmp_ne_u32_e64 s0, 7, v5
	v_cndmask_b32_e64 v16, 1, v106, s0
	v_cmp_ne_u32_e64 s0, 8, v5
	s_delay_alu instid0(VALU_DEP_2) | instskip(SKIP_1) | instid1(VALU_DEP_3)
	v_dual_cndmask_b32 v16, v106, v16 :: v_dual_and_b32 v7, v7, v14
	v_cndmask_b32_e32 v11, v110, v11, vcc_lo
	v_cndmask_b32_e64 v17, 1, v104, s0
	s_delay_alu instid0(VALU_DEP_3) | instskip(NEXT) | instid1(VALU_DEP_3)
	v_cmp_ne_u32_e64 s7, 0, v16
	v_cmp_eq_u32_e64 s0, 0, v11
	s_delay_alu instid0(VALU_DEP_3) | instskip(NEXT) | instid1(VALU_DEP_2)
	v_cndmask_b32_e32 v17, v104, v17, vcc_lo
	v_cndmask_b32_e64 v14, 1, 2, s0
	v_cmp_ne_u32_e64 s0, 9, v5
	s_delay_alu instid0(VALU_DEP_3) | instskip(NEXT) | instid1(VALU_DEP_3)
	v_cmp_ne_u32_e64 s6, 0, v17
	v_and_b32_e32 v6, v7, v14
	s_delay_alu instid0(VALU_DEP_3) | instskip(SKIP_2) | instid1(VALU_DEP_3)
	v_cndmask_b32_e64 v4, 1, v103, s0
	v_cmp_eq_u32_e64 s0, 0, v18
	v_cmp_ne_u32_e64 s11, 0, v11
	v_cndmask_b32_e32 v23, v103, v4, vcc_lo
	s_delay_alu instid0(VALU_DEP_3) | instskip(SKIP_1) | instid1(VALU_DEP_3)
	v_cndmask_b32_e64 v7, 1, 2, s0
	v_cmp_ne_u32_e64 s0, 10, v5
	v_cmp_ne_u32_e64 s5, 0, v23
	s_delay_alu instid0(VALU_DEP_3) | instskip(NEXT) | instid1(VALU_DEP_3)
	v_and_b32_e32 v6, v6, v7
	v_cndmask_b32_e64 v14, 1, v102, s0
	v_cmp_ne_u32_e64 s0, 12, v5
	v_cmp_ne_u32_e64 s9, 0, v19
	s_delay_alu instid0(VALU_DEP_3) | instskip(NEXT) | instid1(VALU_DEP_3)
	v_cndmask_b32_e32 v14, v102, v14, vcc_lo
	v_cndmask_b32_e64 v20, 1, v100, s0
	v_cmp_eq_u32_e64 s0, 0, v19
	s_delay_alu instid0(VALU_DEP_3) | instskip(NEXT) | instid1(VALU_DEP_3)
	v_cmp_ne_u32_e64 s4, 0, v14
	v_cndmask_b32_e32 v20, v100, v20, vcc_lo
	s_delay_alu instid0(VALU_DEP_3) | instskip(SKIP_1) | instid1(VALU_DEP_3)
	v_cndmask_b32_e64 v7, 1, 2, s0
	v_cmp_ne_u32_e64 s0, 13, v5
	v_cmp_ne_u32_e64 s2, 0, v20
	s_delay_alu instid0(VALU_DEP_2) | instskip(SKIP_1) | instid1(VALU_DEP_2)
	v_cndmask_b32_e64 v21, 1, v99, s0
	v_cmp_eq_u32_e64 s0, 0, v15
	v_dual_cndmask_b32 v21, v99, v21 :: v_dual_and_b32 v6, v6, v7
	s_delay_alu instid0(VALU_DEP_2) | instskip(SKIP_1) | instid1(VALU_DEP_3)
	v_cndmask_b32_e64 v7, 1, 2, s0
	v_cmp_ne_u32_e64 s0, 11, v5
	v_cmp_ne_u32_e64 s1, 0, v21
	s_delay_alu instid0(VALU_DEP_3) | instskip(NEXT) | instid1(VALU_DEP_3)
	v_and_b32_e32 v6, v6, v7
	v_cndmask_b32_e64 v5, 1, v101, s0
	v_cmp_eq_u32_e64 s0, 0, v16
	s_delay_alu instid0(VALU_DEP_2) | instskip(NEXT) | instid1(VALU_DEP_2)
	v_cndmask_b32_e32 v22, v101, v5, vcc_lo
	v_cndmask_b32_e64 v7, 1, 2, s0
	v_cmp_eq_u32_e32 vcc_lo, 0, v17
	v_cmp_ne_u32_e64 s8, 0, v15
	v_cmp_ne_u32_e64 s0, 0, v12
	;; [unrolled: 1-line block ×3, first 2 shown]
	v_and_b32_e32 v4, v6, v7
	v_cndmask_b32_e64 v5, 1, 2, vcc_lo
	v_add_co_u32 v6, vcc_lo, s48, v33
	v_add_co_ci_u32_e32 v7, vcc_lo, s49, v34, vcc_lo
	v_cmp_eq_u32_e32 vcc_lo, 0, v23
	s_delay_alu instid0(VALU_DEP_4)
	v_and_b32_e32 v24, v4, v5
	v_cndmask_b32_e64 v25, 1, 2, vcc_lo
	v_add_co_u32 v4, vcc_lo, v6, v35
	v_add_co_ci_u32_e32 v5, vcc_lo, v7, v36, vcc_lo
	v_lshlrev_b32_e32 v6, 3, v8
	v_cmp_eq_u32_e32 vcc_lo, 0, v14
	v_and_b32_e32 v7, v24, v25
	v_add_nc_u32_e32 v8, v65, v8
	v_cndmask_b32_e64 v24, 1, 2, vcc_lo
	v_add_co_u32 v6, vcc_lo, v6, v4
	v_add_co_ci_u32_e32 v25, vcc_lo, 0, v5, vcc_lo
	v_cmp_eq_u32_e32 vcc_lo, 0, v22
	s_delay_alu instid0(VALU_DEP_4) | instskip(SKIP_4) | instid1(VALU_DEP_4)
	v_and_b32_e32 v24, v7, v24
	v_cndmask_b32_e64 v26, 1, 2, vcc_lo
	v_add_co_u32 v6, vcc_lo, v6, -8
	v_add_co_ci_u32_e32 v7, vcc_lo, -1, v25, vcc_lo
	v_cmp_eq_u32_e32 vcc_lo, 0, v20
	v_and_b32_e32 v24, v24, v26
	v_cndmask_b32_e64 v25, 1, 2, vcc_lo
	v_cmp_eq_u32_e32 vcc_lo, 0, v21
	s_delay_alu instid0(VALU_DEP_2) | instskip(SKIP_2) | instid1(VALU_DEP_2)
	v_and_b32_e32 v9, v24, v25
	v_cndmask_b32_e64 v10, 1, 2, vcc_lo
	v_cmp_eq_u32_e32 vcc_lo, 0, v12
	v_and_b32_e32 v9, v9, v10
	v_cndmask_b32_e64 v10, 1, 2, vcc_lo
	v_cmp_gt_u32_e32 vcc_lo, 0x100, v3
	s_delay_alu instid0(VALU_DEP_2) | instskip(NEXT) | instid1(VALU_DEP_1)
	v_and_b32_e32 v9, v9, v10
	v_cmp_gt_i16_e64 s15, 2, v9
	s_cbranch_vccnz .LBB1159_449
; %bb.446:
	s_and_b32 vcc_lo, exec_lo, s16
	s_cbranch_vccnz .LBB1159_455
.LBB1159_447:
	v_cmp_eq_u32_e32 vcc_lo, 0xff, v0
	s_and_b32 s0, vcc_lo, s27
	s_delay_alu instid0(SALU_CYCLE_1)
	s_and_saveexec_b32 s1, s0
	s_cbranch_execnz .LBB1159_464
.LBB1159_448:
	s_nop 0
	s_sendmsg sendmsg(MSG_DEALLOC_VGPRS)
	s_endpgm
.LBB1159_449:
	s_delay_alu instid0(VALU_DEP_1)
	s_and_saveexec_b32 s16, s15
	s_cbranch_execz .LBB1159_454
; %bb.450:
	s_mov_b32 s17, 0
	s_mov_b32 s15, exec_lo
	v_cmpx_ne_u16_e32 1, v9
	s_xor_b32 s15, exec_lo, s15
	s_cbranch_execnz .LBB1159_501
; %bb.451:
	s_and_not1_saveexec_b32 s15, s15
	s_cbranch_execnz .LBB1159_517
.LBB1159_452:
	s_or_b32 exec_lo, exec_lo, s15
	s_delay_alu instid0(SALU_CYCLE_1)
	s_and_b32 exec_lo, exec_lo, s17
	s_cbranch_execz .LBB1159_454
.LBB1159_453:
	v_sub_nc_u32_e32 v10, v37, v8
	v_mov_b32_e32 v11, 0
	s_delay_alu instid0(VALU_DEP_1) | instskip(NEXT) | instid1(VALU_DEP_1)
	v_lshlrev_b64 v[10:11], 3, v[10:11]
	v_add_co_u32 v10, vcc_lo, v6, v10
	s_delay_alu instid0(VALU_DEP_2)
	v_add_co_ci_u32_e32 v11, vcc_lo, v7, v11, vcc_lo
	global_store_b64 v[10:11], v[1:2], off
.LBB1159_454:
	s_or_b32 exec_lo, exec_lo, s16
	s_branch .LBB1159_447
.LBB1159_455:
	s_mov_b32 s15, exec_lo
	v_cmpx_gt_i16_e32 2, v9
	s_cbranch_execz .LBB1159_460
; %bb.456:
	s_mov_b32 s17, 0
	s_mov_b32 s16, exec_lo
	v_cmpx_ne_u16_e32 1, v9
	s_xor_b32 s16, exec_lo, s16
	s_cbranch_execnz .LBB1159_518
; %bb.457:
	s_and_not1_saveexec_b32 s0, s16
	s_cbranch_execnz .LBB1159_534
.LBB1159_458:
	s_or_b32 exec_lo, exec_lo, s0
	s_delay_alu instid0(SALU_CYCLE_1)
	s_and_b32 exec_lo, exec_lo, s17
	s_cbranch_execz .LBB1159_460
.LBB1159_459:
	v_sub_nc_u32_e32 v8, v37, v8
	s_delay_alu instid0(VALU_DEP_1)
	v_lshlrev_b32_e32 v8, 3, v8
	ds_store_b64 v8, v[1:2]
.LBB1159_460:
	s_or_b32 exec_lo, exec_lo, s15
	s_delay_alu instid0(SALU_CYCLE_1)
	s_mov_b32 s1, exec_lo
	s_waitcnt lgkmcnt(0)
	s_waitcnt_vscnt null, 0x0
	s_barrier
	buffer_gl0_inv
	v_cmpx_lt_u32_e64 v0, v3
	s_cbranch_execz .LBB1159_463
; %bb.461:
	v_dual_mov_b32 v1, v0 :: v_dual_lshlrev_b32 v8, 3, v0
	v_mov_b32_e32 v2, 0
	s_mov_b32 s2, 0
	.p2align	6
.LBB1159_462:                           ; =>This Inner Loop Header: Depth=1
	ds_load_b64 v[9:10], v8
	v_lshlrev_b64 v[11:12], 3, v[1:2]
	v_add_nc_u32_e32 v1, 0x100, v1
	v_add_nc_u32_e32 v8, 0x800, v8
	s_delay_alu instid0(VALU_DEP_2) | instskip(NEXT) | instid1(VALU_DEP_4)
	v_cmp_ge_u32_e32 vcc_lo, v1, v3
	v_add_co_u32 v11, s0, v6, v11
	s_delay_alu instid0(VALU_DEP_1)
	v_add_co_ci_u32_e64 v12, s0, v7, v12, s0
	s_or_b32 s2, vcc_lo, s2
	s_waitcnt lgkmcnt(0)
	global_store_b64 v[11:12], v[9:10], off
	s_and_not1_b32 exec_lo, exec_lo, s2
	s_cbranch_execnz .LBB1159_462
.LBB1159_463:
	s_or_b32 exec_lo, exec_lo, s1
	v_cmp_eq_u32_e32 vcc_lo, 0xff, v0
	s_and_b32 s0, vcc_lo, s27
	s_delay_alu instid0(SALU_CYCLE_1)
	s_and_saveexec_b32 s1, s0
	s_cbranch_execz .LBB1159_448
.LBB1159_464:
	v_add_co_u32 v0, s0, v61, v65
	s_delay_alu instid0(VALU_DEP_1) | instskip(SKIP_1) | instid1(VALU_DEP_3)
	v_add_co_ci_u32_e64 v1, null, 0, 0, s0
	v_mov_b32_e32 v62, 0
	v_add_co_u32 v0, vcc_lo, v0, v29
	s_delay_alu instid0(VALU_DEP_3)
	v_add_co_ci_u32_e32 v1, vcc_lo, v1, v30, vcc_lo
	s_cmpk_lg_i32 s33, 0xf00
	global_store_b64 v62, v[0:1], s[50:51]
	s_cbranch_scc1 .LBB1159_448
; %bb.465:
	v_lshlrev_b64 v[0:1], 3, v[61:62]
	s_delay_alu instid0(VALU_DEP_1) | instskip(NEXT) | instid1(VALU_DEP_2)
	v_add_co_u32 v0, vcc_lo, v4, v0
	v_add_co_ci_u32_e32 v1, vcc_lo, v5, v1, vcc_lo
	global_store_b64 v[0:1], v[63:64], off offset:-8
	s_nop 0
	s_sendmsg sendmsg(MSG_DEALLOC_VGPRS)
	s_endpgm
.LBB1159_466:
	s_or_b32 exec_lo, exec_lo, s2
	v_mov_b32_e32 v113, s1
	s_and_saveexec_b32 s1, s23
	s_cbranch_execnz .LBB1159_330
	s_branch .LBB1159_331
.LBB1159_467:
	s_and_saveexec_b32 s17, s12
	s_cbranch_execnz .LBB1159_537
; %bb.468:
	s_or_b32 exec_lo, exec_lo, s17
	s_and_saveexec_b32 s17, s11
	s_cbranch_execnz .LBB1159_538
.LBB1159_469:
	s_or_b32 exec_lo, exec_lo, s17
	s_and_saveexec_b32 s17, s9
	s_cbranch_execnz .LBB1159_539
.LBB1159_470:
	s_or_b32 exec_lo, exec_lo, s17
	s_and_saveexec_b32 s17, s8
	s_cbranch_execnz .LBB1159_540
.LBB1159_471:
	s_or_b32 exec_lo, exec_lo, s17
	s_and_saveexec_b32 s17, s14
	s_cbranch_execnz .LBB1159_541
.LBB1159_472:
	s_or_b32 exec_lo, exec_lo, s17
	s_and_saveexec_b32 s17, s13
	s_cbranch_execnz .LBB1159_542
.LBB1159_473:
	s_or_b32 exec_lo, exec_lo, s17
	s_and_saveexec_b32 s17, s10
	s_cbranch_execnz .LBB1159_543
.LBB1159_474:
	s_or_b32 exec_lo, exec_lo, s17
	s_and_saveexec_b32 s17, s7
	s_cbranch_execnz .LBB1159_544
.LBB1159_475:
	s_or_b32 exec_lo, exec_lo, s17
	s_and_saveexec_b32 s17, s6
	s_cbranch_execnz .LBB1159_545
.LBB1159_476:
	s_or_b32 exec_lo, exec_lo, s17
	s_and_saveexec_b32 s17, s5
	s_cbranch_execnz .LBB1159_546
.LBB1159_477:
	s_or_b32 exec_lo, exec_lo, s17
	s_and_saveexec_b32 s17, s4
	s_cbranch_execnz .LBB1159_547
.LBB1159_478:
	s_or_b32 exec_lo, exec_lo, s17
	s_and_saveexec_b32 s17, s3
	s_cbranch_execnz .LBB1159_548
.LBB1159_479:
	s_or_b32 exec_lo, exec_lo, s17
	s_and_saveexec_b32 s17, s2
	s_cbranch_execnz .LBB1159_549
.LBB1159_480:
	s_or_b32 exec_lo, exec_lo, s17
	s_and_saveexec_b32 s17, s1
	s_cbranch_execz .LBB1159_482
.LBB1159_481:
	v_sub_nc_u32_e32 v54, v38, v65
	v_mov_b32_e32 v55, 0
	s_delay_alu instid0(VALU_DEP_1) | instskip(NEXT) | instid1(VALU_DEP_1)
	v_lshlrev_b64 v[54:55], 3, v[54:55]
	v_add_co_u32 v54, vcc_lo, v51, v54
	s_delay_alu instid0(VALU_DEP_2)
	v_add_co_ci_u32_e32 v55, vcc_lo, v52, v55, vcc_lo
	global_store_b64 v[54:55], v[3:4], off
.LBB1159_482:
	s_or_b32 exec_lo, exec_lo, s17
	s_delay_alu instid0(SALU_CYCLE_1)
	s_and_b32 s17, s0, exec_lo
	s_and_not1_saveexec_b32 s15, s15
	s_cbranch_execz .LBB1159_432
.LBB1159_483:
	v_sub_nc_u32_e32 v54, v114, v65
	v_mov_b32_e32 v55, 0
	s_or_b32 s17, s17, exec_lo
	s_delay_alu instid0(VALU_DEP_1) | instskip(SKIP_1) | instid1(VALU_DEP_1)
	v_lshlrev_b64 v[59:60], 3, v[54:55]
	v_sub_nc_u32_e32 v54, v48, v65
	v_lshlrev_b64 v[95:96], 3, v[54:55]
	v_sub_nc_u32_e32 v54, v50, v65
	s_delay_alu instid0(VALU_DEP_4) | instskip(SKIP_1) | instid1(VALU_DEP_3)
	v_add_co_u32 v59, vcc_lo, v51, v59
	v_add_co_ci_u32_e32 v60, vcc_lo, v52, v60, vcc_lo
	v_lshlrev_b64 v[115:116], 3, v[54:55]
	v_sub_nc_u32_e32 v54, v49, v65
	v_add_co_u32 v95, vcc_lo, v51, v95
	v_add_co_ci_u32_e32 v96, vcc_lo, v52, v96, vcc_lo
	global_store_b64 v[59:60], v[25:26], off
	v_lshlrev_b64 v[59:60], 3, v[54:55]
	v_sub_nc_u32_e32 v54, v47, v65
	global_store_b64 v[95:96], v[27:28], off
	v_add_co_u32 v95, vcc_lo, v51, v115
	v_add_co_ci_u32_e32 v96, vcc_lo, v52, v116, vcc_lo
	v_lshlrev_b64 v[115:116], 3, v[54:55]
	v_sub_nc_u32_e32 v54, v46, v65
	v_add_co_u32 v59, vcc_lo, v51, v59
	v_add_co_ci_u32_e32 v60, vcc_lo, v52, v60, vcc_lo
	s_delay_alu instid0(VALU_DEP_3) | instskip(SKIP_3) | instid1(VALU_DEP_3)
	v_lshlrev_b64 v[117:118], 3, v[54:55]
	v_sub_nc_u32_e32 v54, v45, v65
	v_add_co_u32 v115, vcc_lo, v51, v115
	v_add_co_ci_u32_e32 v116, vcc_lo, v52, v116, vcc_lo
	v_lshlrev_b64 v[119:120], 3, v[54:55]
	v_sub_nc_u32_e32 v54, v44, v65
	v_add_co_u32 v117, vcc_lo, v51, v117
	v_add_co_ci_u32_e32 v118, vcc_lo, v52, v118, vcc_lo
	s_clause 0x3
	global_store_b64 v[95:96], v[21:22], off
	global_store_b64 v[59:60], v[23:24], off
	;; [unrolled: 1-line block ×4, first 2 shown]
	v_lshlrev_b64 v[59:60], 3, v[54:55]
	v_sub_nc_u32_e32 v54, v43, v65
	v_add_co_u32 v95, vcc_lo, v51, v119
	v_add_co_ci_u32_e32 v96, vcc_lo, v52, v120, vcc_lo
	s_delay_alu instid0(VALU_DEP_3) | instskip(SKIP_3) | instid1(VALU_DEP_3)
	v_lshlrev_b64 v[115:116], 3, v[54:55]
	v_sub_nc_u32_e32 v54, v42, v65
	v_add_co_u32 v59, vcc_lo, v51, v59
	v_add_co_ci_u32_e32 v60, vcc_lo, v52, v60, vcc_lo
	v_lshlrev_b64 v[117:118], 3, v[54:55]
	v_sub_nc_u32_e32 v54, v41, v65
	v_add_co_u32 v115, vcc_lo, v51, v115
	v_add_co_ci_u32_e32 v116, vcc_lo, v52, v116, vcc_lo
	s_delay_alu instid0(VALU_DEP_3)
	v_lshlrev_b64 v[119:120], 3, v[54:55]
	v_sub_nc_u32_e32 v54, v40, v65
	v_add_co_u32 v117, vcc_lo, v51, v117
	v_add_co_ci_u32_e32 v118, vcc_lo, v52, v118, vcc_lo
	s_clause 0x3
	global_store_b64 v[95:96], v[13:14], off
	global_store_b64 v[59:60], v[15:16], off
	;; [unrolled: 1-line block ×4, first 2 shown]
	v_lshlrev_b64 v[59:60], 3, v[54:55]
	v_sub_nc_u32_e32 v54, v39, v65
	v_add_co_u32 v95, vcc_lo, v51, v119
	v_add_co_ci_u32_e32 v96, vcc_lo, v52, v120, vcc_lo
	s_delay_alu instid0(VALU_DEP_3) | instskip(SKIP_3) | instid1(VALU_DEP_3)
	v_lshlrev_b64 v[115:116], 3, v[54:55]
	v_sub_nc_u32_e32 v54, v38, v65
	v_add_co_u32 v59, vcc_lo, v51, v59
	v_add_co_ci_u32_e32 v60, vcc_lo, v52, v60, vcc_lo
	v_lshlrev_b64 v[54:55], 3, v[54:55]
	v_add_co_u32 v115, vcc_lo, v51, v115
	v_add_co_ci_u32_e32 v116, vcc_lo, v52, v116, vcc_lo
	s_clause 0x2
	global_store_b64 v[95:96], v[5:6], off
	global_store_b64 v[59:60], v[7:8], off
	;; [unrolled: 1-line block ×3, first 2 shown]
	v_add_co_u32 v54, vcc_lo, v51, v54
	v_add_co_ci_u32_e32 v55, vcc_lo, v52, v55, vcc_lo
	global_store_b64 v[54:55], v[3:4], off
	s_or_b32 exec_lo, exec_lo, s15
	s_delay_alu instid0(SALU_CYCLE_1)
	s_and_b32 exec_lo, exec_lo, s17
	s_cbranch_execnz .LBB1159_433
	s_branch .LBB1159_434
.LBB1159_484:
	s_and_saveexec_b32 s17, s12
	s_cbranch_execnz .LBB1159_550
; %bb.485:
	s_or_b32 exec_lo, exec_lo, s17
	s_and_saveexec_b32 s12, s11
	s_cbranch_execnz .LBB1159_551
.LBB1159_486:
	s_or_b32 exec_lo, exec_lo, s12
	s_and_saveexec_b32 s11, s9
	s_cbranch_execnz .LBB1159_552
.LBB1159_487:
	s_or_b32 exec_lo, exec_lo, s11
	s_and_saveexec_b32 s9, s8
	s_cbranch_execnz .LBB1159_553
.LBB1159_488:
	s_or_b32 exec_lo, exec_lo, s9
	s_and_saveexec_b32 s8, s14
	s_cbranch_execnz .LBB1159_554
.LBB1159_489:
	s_or_b32 exec_lo, exec_lo, s8
	s_and_saveexec_b32 s8, s13
	s_cbranch_execnz .LBB1159_555
.LBB1159_490:
	s_or_b32 exec_lo, exec_lo, s8
	s_and_saveexec_b32 s8, s10
	s_cbranch_execnz .LBB1159_556
.LBB1159_491:
	s_or_b32 exec_lo, exec_lo, s8
	s_and_saveexec_b32 s8, s7
	s_cbranch_execnz .LBB1159_557
.LBB1159_492:
	s_or_b32 exec_lo, exec_lo, s8
	s_and_saveexec_b32 s7, s6
	s_cbranch_execnz .LBB1159_558
.LBB1159_493:
	s_or_b32 exec_lo, exec_lo, s7
	s_and_saveexec_b32 s6, s5
	s_cbranch_execnz .LBB1159_559
.LBB1159_494:
	s_or_b32 exec_lo, exec_lo, s6
	s_and_saveexec_b32 s5, s4
	s_cbranch_execnz .LBB1159_560
.LBB1159_495:
	s_or_b32 exec_lo, exec_lo, s5
	s_and_saveexec_b32 s4, s3
	s_cbranch_execnz .LBB1159_561
.LBB1159_496:
	s_or_b32 exec_lo, exec_lo, s4
	s_and_saveexec_b32 s3, s2
	s_cbranch_execnz .LBB1159_562
.LBB1159_497:
	s_or_b32 exec_lo, exec_lo, s3
	s_and_saveexec_b32 s2, s1
	s_cbranch_execz .LBB1159_499
.LBB1159_498:
	v_sub_nc_u32_e32 v1, v38, v65
	s_delay_alu instid0(VALU_DEP_1)
	v_lshlrev_b32_e32 v1, 3, v1
	ds_store_b64 v1, v[3:4]
.LBB1159_499:
	s_or_b32 exec_lo, exec_lo, s2
	s_delay_alu instid0(SALU_CYCLE_1)
	s_and_b32 s17, s0, exec_lo
                                        ; implicit-def: $vgpr25_vgpr26
                                        ; implicit-def: $vgpr21_vgpr22
                                        ; implicit-def: $vgpr17_vgpr18
                                        ; implicit-def: $vgpr13_vgpr14
                                        ; implicit-def: $vgpr9_vgpr10
                                        ; implicit-def: $vgpr5_vgpr6
                                        ; implicit-def: $vgpr1_vgpr2
	s_and_not1_saveexec_b32 s0, s16
	s_cbranch_execz .LBB1159_439
.LBB1159_500:
	v_sub_nc_u32_e32 v53, v114, v65
	v_sub_nc_u32_e32 v54, v48, v65
	;; [unrolled: 1-line block ×4, first 2 shown]
	s_or_b32 s17, s17, exec_lo
	v_lshlrev_b32_e32 v53, 3, v53
	v_lshlrev_b32_e32 v54, 3, v54
	;; [unrolled: 1-line block ×4, first 2 shown]
	ds_store_b64 v53, v[25:26]
	ds_store_b64 v54, v[27:28]
	;; [unrolled: 1-line block ×3, first 2 shown]
	v_sub_nc_u32_e32 v21, v47, v65
	v_sub_nc_u32_e32 v22, v46, v65
	ds_store_b64 v56, v[23:24]
	v_sub_nc_u32_e32 v23, v45, v65
	v_sub_nc_u32_e32 v24, v44, v65
	v_lshlrev_b32_e32 v21, 3, v21
	v_sub_nc_u32_e32 v25, v43, v65
	v_lshlrev_b32_e32 v22, 3, v22
	v_lshlrev_b32_e32 v23, 3, v23
	;; [unrolled: 1-line block ×3, first 2 shown]
	ds_store_b64 v21, v[17:18]
	v_lshlrev_b32_e32 v17, 3, v25
	ds_store_b64 v22, v[19:20]
	ds_store_b64 v23, v[13:14]
	;; [unrolled: 1-line block ×3, first 2 shown]
	v_sub_nc_u32_e32 v13, v42, v65
	v_sub_nc_u32_e32 v15, v38, v65
	;; [unrolled: 1-line block ×3, first 2 shown]
	ds_store_b64 v17, v[9:10]
	v_sub_nc_u32_e32 v9, v41, v65
	v_lshlrev_b32_e32 v13, 3, v13
	v_sub_nc_u32_e32 v10, v40, v65
	v_lshlrev_b32_e32 v14, 3, v14
	s_delay_alu instid0(VALU_DEP_4)
	v_lshlrev_b32_e32 v9, 3, v9
	ds_store_b64 v13, v[11:12]
	v_lshlrev_b32_e32 v11, 3, v15
	v_lshlrev_b32_e32 v10, 3, v10
	ds_store_b64 v9, v[5:6]
	ds_store_b64 v10, v[7:8]
	;; [unrolled: 1-line block ×4, first 2 shown]
	s_or_b32 exec_lo, exec_lo, s0
	s_delay_alu instid0(SALU_CYCLE_1)
	s_and_b32 exec_lo, exec_lo, s17
	s_cbranch_execnz .LBB1159_440
	s_branch .LBB1159_441
.LBB1159_501:
	s_and_saveexec_b32 s17, s14
	s_cbranch_execnz .LBB1159_563
; %bb.502:
	s_or_b32 exec_lo, exec_lo, s17
	s_and_saveexec_b32 s17, s13
	s_cbranch_execnz .LBB1159_564
.LBB1159_503:
	s_or_b32 exec_lo, exec_lo, s17
	s_and_saveexec_b32 s17, s12
	s_cbranch_execnz .LBB1159_565
.LBB1159_504:
	s_or_b32 exec_lo, exec_lo, s17
	s_and_saveexec_b32 s17, s11
	s_cbranch_execnz .LBB1159_566
.LBB1159_505:
	s_or_b32 exec_lo, exec_lo, s17
	s_and_saveexec_b32 s17, s10
	s_cbranch_execnz .LBB1159_567
.LBB1159_506:
	s_or_b32 exec_lo, exec_lo, s17
	s_and_saveexec_b32 s17, s9
	s_cbranch_execnz .LBB1159_568
.LBB1159_507:
	s_or_b32 exec_lo, exec_lo, s17
	s_and_saveexec_b32 s17, s8
	s_cbranch_execnz .LBB1159_569
.LBB1159_508:
	s_or_b32 exec_lo, exec_lo, s17
	s_and_saveexec_b32 s17, s7
	s_cbranch_execnz .LBB1159_570
.LBB1159_509:
	s_or_b32 exec_lo, exec_lo, s17
	s_and_saveexec_b32 s17, s6
	s_cbranch_execnz .LBB1159_571
.LBB1159_510:
	s_or_b32 exec_lo, exec_lo, s17
	s_and_saveexec_b32 s17, s5
	s_cbranch_execnz .LBB1159_572
.LBB1159_511:
	s_or_b32 exec_lo, exec_lo, s17
	s_and_saveexec_b32 s17, s4
	s_cbranch_execnz .LBB1159_573
.LBB1159_512:
	s_or_b32 exec_lo, exec_lo, s17
	s_and_saveexec_b32 s17, s3
	s_cbranch_execnz .LBB1159_574
.LBB1159_513:
	s_or_b32 exec_lo, exec_lo, s17
	s_and_saveexec_b32 s17, s2
	s_cbranch_execnz .LBB1159_575
.LBB1159_514:
	s_or_b32 exec_lo, exec_lo, s17
	s_and_saveexec_b32 s17, s1
	s_cbranch_execz .LBB1159_516
.LBB1159_515:
	v_sub_nc_u32_e32 v10, v38, v8
	v_mov_b32_e32 v11, 0
	s_delay_alu instid0(VALU_DEP_1) | instskip(NEXT) | instid1(VALU_DEP_1)
	v_lshlrev_b64 v[10:11], 3, v[10:11]
	v_add_co_u32 v10, vcc_lo, v6, v10
	s_delay_alu instid0(VALU_DEP_2)
	v_add_co_ci_u32_e32 v11, vcc_lo, v7, v11, vcc_lo
	global_store_b64 v[10:11], v[91:92], off
.LBB1159_516:
	s_or_b32 exec_lo, exec_lo, s17
	s_delay_alu instid0(SALU_CYCLE_1)
	s_and_b32 s17, s0, exec_lo
	s_and_not1_saveexec_b32 s15, s15
	s_cbranch_execz .LBB1159_452
.LBB1159_517:
	v_sub_nc_u32_e32 v10, v114, v8
	v_mov_b32_e32 v11, 0
	s_or_b32 s17, s17, exec_lo
	s_delay_alu instid0(VALU_DEP_1) | instskip(SKIP_1) | instid1(VALU_DEP_1)
	v_lshlrev_b64 v[12:13], 3, v[10:11]
	v_sub_nc_u32_e32 v10, v48, v8
	v_lshlrev_b64 v[14:15], 3, v[10:11]
	v_sub_nc_u32_e32 v10, v50, v8
	s_delay_alu instid0(VALU_DEP_4) | instskip(SKIP_1) | instid1(VALU_DEP_3)
	v_add_co_u32 v12, vcc_lo, v6, v12
	v_add_co_ci_u32_e32 v13, vcc_lo, v7, v13, vcc_lo
	v_lshlrev_b64 v[16:17], 3, v[10:11]
	v_sub_nc_u32_e32 v10, v49, v8
	v_add_co_u32 v14, vcc_lo, v6, v14
	v_add_co_ci_u32_e32 v15, vcc_lo, v7, v15, vcc_lo
	global_store_b64 v[12:13], v[77:78], off
	v_lshlrev_b64 v[12:13], 3, v[10:11]
	v_sub_nc_u32_e32 v10, v47, v8
	global_store_b64 v[14:15], v[75:76], off
	v_add_co_u32 v14, vcc_lo, v6, v16
	v_add_co_ci_u32_e32 v15, vcc_lo, v7, v17, vcc_lo
	v_lshlrev_b64 v[16:17], 3, v[10:11]
	v_sub_nc_u32_e32 v10, v46, v8
	v_add_co_u32 v12, vcc_lo, v6, v12
	v_add_co_ci_u32_e32 v13, vcc_lo, v7, v13, vcc_lo
	s_delay_alu instid0(VALU_DEP_3) | instskip(SKIP_3) | instid1(VALU_DEP_3)
	v_lshlrev_b64 v[18:19], 3, v[10:11]
	v_sub_nc_u32_e32 v10, v45, v8
	v_add_co_u32 v16, vcc_lo, v6, v16
	v_add_co_ci_u32_e32 v17, vcc_lo, v7, v17, vcc_lo
	v_lshlrev_b64 v[20:21], 3, v[10:11]
	v_sub_nc_u32_e32 v10, v44, v8
	v_add_co_u32 v18, vcc_lo, v6, v18
	v_add_co_ci_u32_e32 v19, vcc_lo, v7, v19, vcc_lo
	s_clause 0x3
	global_store_b64 v[14:15], v[81:82], off
	global_store_b64 v[12:13], v[85:86], off
	;; [unrolled: 1-line block ×4, first 2 shown]
	v_lshlrev_b64 v[12:13], 3, v[10:11]
	v_sub_nc_u32_e32 v10, v43, v8
	v_add_co_u32 v14, vcc_lo, v6, v20
	v_add_co_ci_u32_e32 v15, vcc_lo, v7, v21, vcc_lo
	s_delay_alu instid0(VALU_DEP_3) | instskip(SKIP_3) | instid1(VALU_DEP_3)
	v_lshlrev_b64 v[16:17], 3, v[10:11]
	v_sub_nc_u32_e32 v10, v42, v8
	v_add_co_u32 v12, vcc_lo, v6, v12
	v_add_co_ci_u32_e32 v13, vcc_lo, v7, v13, vcc_lo
	v_lshlrev_b64 v[18:19], 3, v[10:11]
	v_sub_nc_u32_e32 v10, v41, v8
	v_add_co_u32 v16, vcc_lo, v6, v16
	v_add_co_ci_u32_e32 v17, vcc_lo, v7, v17, vcc_lo
	s_delay_alu instid0(VALU_DEP_3)
	v_lshlrev_b64 v[20:21], 3, v[10:11]
	v_sub_nc_u32_e32 v10, v40, v8
	v_add_co_u32 v18, vcc_lo, v6, v18
	v_add_co_ci_u32_e32 v19, vcc_lo, v7, v19, vcc_lo
	s_clause 0x3
	global_store_b64 v[14:15], v[79:80], off
	global_store_b64 v[12:13], v[83:84], off
	;; [unrolled: 1-line block ×4, first 2 shown]
	v_lshlrev_b64 v[12:13], 3, v[10:11]
	v_sub_nc_u32_e32 v10, v39, v8
	v_add_co_u32 v14, vcc_lo, v6, v20
	v_add_co_ci_u32_e32 v15, vcc_lo, v7, v21, vcc_lo
	s_delay_alu instid0(VALU_DEP_3) | instskip(SKIP_3) | instid1(VALU_DEP_3)
	v_lshlrev_b64 v[16:17], 3, v[10:11]
	v_sub_nc_u32_e32 v10, v38, v8
	v_add_co_u32 v12, vcc_lo, v6, v12
	v_add_co_ci_u32_e32 v13, vcc_lo, v7, v13, vcc_lo
	v_lshlrev_b64 v[10:11], 3, v[10:11]
	v_add_co_u32 v16, vcc_lo, v6, v16
	v_add_co_ci_u32_e32 v17, vcc_lo, v7, v17, vcc_lo
	s_clause 0x2
	global_store_b64 v[14:15], v[73:74], off
	global_store_b64 v[12:13], v[89:90], off
	;; [unrolled: 1-line block ×3, first 2 shown]
	v_add_co_u32 v10, vcc_lo, v6, v10
	v_add_co_ci_u32_e32 v11, vcc_lo, v7, v11, vcc_lo
	global_store_b64 v[10:11], v[91:92], off
	s_or_b32 exec_lo, exec_lo, s15
	s_delay_alu instid0(SALU_CYCLE_1)
	s_and_b32 exec_lo, exec_lo, s17
	s_cbranch_execnz .LBB1159_453
	s_branch .LBB1159_454
.LBB1159_518:
	s_and_saveexec_b32 s17, s14
	s_cbranch_execnz .LBB1159_576
; %bb.519:
	s_or_b32 exec_lo, exec_lo, s17
	s_and_saveexec_b32 s14, s13
	s_cbranch_execnz .LBB1159_577
.LBB1159_520:
	s_or_b32 exec_lo, exec_lo, s14
	s_and_saveexec_b32 s13, s12
	s_cbranch_execnz .LBB1159_578
.LBB1159_521:
	s_or_b32 exec_lo, exec_lo, s13
	s_and_saveexec_b32 s12, s11
	s_cbranch_execnz .LBB1159_579
.LBB1159_522:
	s_or_b32 exec_lo, exec_lo, s12
	s_and_saveexec_b32 s11, s10
	s_cbranch_execnz .LBB1159_580
.LBB1159_523:
	s_or_b32 exec_lo, exec_lo, s11
	s_and_saveexec_b32 s10, s9
	s_cbranch_execnz .LBB1159_581
.LBB1159_524:
	s_or_b32 exec_lo, exec_lo, s10
	s_and_saveexec_b32 s9, s8
	s_cbranch_execnz .LBB1159_582
.LBB1159_525:
	s_or_b32 exec_lo, exec_lo, s9
	s_and_saveexec_b32 s8, s7
	s_cbranch_execnz .LBB1159_583
.LBB1159_526:
	s_or_b32 exec_lo, exec_lo, s8
	s_and_saveexec_b32 s7, s6
	s_cbranch_execnz .LBB1159_584
.LBB1159_527:
	s_or_b32 exec_lo, exec_lo, s7
	s_and_saveexec_b32 s6, s5
	s_cbranch_execnz .LBB1159_585
.LBB1159_528:
	s_or_b32 exec_lo, exec_lo, s6
	s_and_saveexec_b32 s5, s4
	s_cbranch_execnz .LBB1159_586
.LBB1159_529:
	s_or_b32 exec_lo, exec_lo, s5
	s_and_saveexec_b32 s4, s3
	s_cbranch_execnz .LBB1159_587
.LBB1159_530:
	s_or_b32 exec_lo, exec_lo, s4
	s_and_saveexec_b32 s3, s2
	s_cbranch_execnz .LBB1159_588
.LBB1159_531:
	s_or_b32 exec_lo, exec_lo, s3
	s_and_saveexec_b32 s2, s1
	s_cbranch_execz .LBB1159_533
.LBB1159_532:
	v_sub_nc_u32_e32 v9, v38, v8
	s_delay_alu instid0(VALU_DEP_1)
	v_lshlrev_b32_e32 v9, 3, v9
	ds_store_b64 v9, v[91:92]
.LBB1159_533:
	s_or_b32 exec_lo, exec_lo, s2
	s_delay_alu instid0(SALU_CYCLE_1)
	s_and_b32 s17, s0, exec_lo
                                        ; implicit-def: $vgpr77_vgpr78
                                        ; implicit-def: $vgpr75_vgpr76
                                        ; implicit-def: $vgpr81_vgpr82
                                        ; implicit-def: $vgpr85_vgpr86
                                        ; implicit-def: $vgpr67_vgpr68
                                        ; implicit-def: $vgpr71_vgpr72
                                        ; implicit-def: $vgpr79_vgpr80
                                        ; implicit-def: $vgpr83_vgpr84
                                        ; implicit-def: $vgpr87_vgpr88
                                        ; implicit-def: $vgpr69_vgpr70
                                        ; implicit-def: $vgpr73_vgpr74
                                        ; implicit-def: $vgpr89_vgpr90
                                        ; implicit-def: $vgpr93_vgpr94
                                        ; implicit-def: $vgpr91_vgpr92
                                        ; implicit-def: $vgpr114
                                        ; implicit-def: $vgpr48
                                        ; implicit-def: $vgpr50
                                        ; implicit-def: $vgpr49
                                        ; implicit-def: $vgpr47
                                        ; implicit-def: $vgpr46
                                        ; implicit-def: $vgpr45
                                        ; implicit-def: $vgpr44
                                        ; implicit-def: $vgpr43
                                        ; implicit-def: $vgpr42
                                        ; implicit-def: $vgpr41
                                        ; implicit-def: $vgpr40
                                        ; implicit-def: $vgpr39
                                        ; implicit-def: $vgpr38
	s_and_not1_saveexec_b32 s0, s16
	s_cbranch_execz .LBB1159_458
.LBB1159_534:
	v_sub_nc_u32_e32 v9, v114, v8
	v_sub_nc_u32_e32 v10, v48, v8
	;; [unrolled: 1-line block ×5, first 2 shown]
	v_lshlrev_b32_e32 v9, 3, v9
	v_lshlrev_b32_e32 v10, 3, v10
	;; [unrolled: 1-line block ×4, first 2 shown]
	s_or_b32 s17, s17, exec_lo
	ds_store_b64 v9, v[77:78]
	ds_store_b64 v10, v[75:76]
	;; [unrolled: 1-line block ×3, first 2 shown]
	v_sub_nc_u32_e32 v9, v47, v8
	v_sub_nc_u32_e32 v10, v46, v8
	;; [unrolled: 1-line block ×3, first 2 shown]
	ds_store_b64 v12, v[85:86]
	v_sub_nc_u32_e32 v12, v44, v8
	v_lshlrev_b32_e32 v9, 3, v9
	v_lshlrev_b32_e32 v10, 3, v10
	;; [unrolled: 1-line block ×3, first 2 shown]
	s_delay_alu instid0(VALU_DEP_4)
	v_lshlrev_b32_e32 v12, 3, v12
	ds_store_b64 v9, v[67:68]
	v_lshlrev_b32_e32 v9, 3, v13
	ds_store_b64 v10, v[71:72]
	ds_store_b64 v11, v[79:80]
	;; [unrolled: 1-line block ×3, first 2 shown]
	v_sub_nc_u32_e32 v10, v42, v8
	v_sub_nc_u32_e32 v13, v38, v8
	v_sub_nc_u32_e32 v11, v40, v8
	ds_store_b64 v9, v[87:88]
	v_sub_nc_u32_e32 v9, v41, v8
	v_lshlrev_b32_e32 v10, 3, v10
	v_sub_nc_u32_e32 v12, v39, v8
	v_lshlrev_b32_e32 v11, 3, v11
	s_delay_alu instid0(VALU_DEP_4)
	v_lshlrev_b32_e32 v9, 3, v9
	ds_store_b64 v10, v[69:70]
	v_lshlrev_b32_e32 v10, 3, v13
	v_lshlrev_b32_e32 v12, 3, v12
	ds_store_b64 v9, v[73:74]
	ds_store_b64 v11, v[89:90]
	;; [unrolled: 1-line block ×4, first 2 shown]
	s_or_b32 exec_lo, exec_lo, s0
	s_delay_alu instid0(SALU_CYCLE_1)
	s_and_b32 exec_lo, exec_lo, s17
	s_cbranch_execnz .LBB1159_459
	s_branch .LBB1159_460
.LBB1159_535:
                                        ; implicit-def: $vgpr61_vgpr62
	s_branch .LBB1159_308
.LBB1159_536:
                                        ; implicit-def: $vgpr61_vgpr62
	s_branch .LBB1159_321
.LBB1159_537:
	v_sub_nc_u32_e32 v54, v114, v65
	v_mov_b32_e32 v55, 0
	s_delay_alu instid0(VALU_DEP_1) | instskip(NEXT) | instid1(VALU_DEP_1)
	v_lshlrev_b64 v[54:55], 3, v[54:55]
	v_add_co_u32 v54, vcc_lo, v51, v54
	s_delay_alu instid0(VALU_DEP_2)
	v_add_co_ci_u32_e32 v55, vcc_lo, v52, v55, vcc_lo
	global_store_b64 v[54:55], v[25:26], off
	s_or_b32 exec_lo, exec_lo, s17
	s_and_saveexec_b32 s17, s11
	s_cbranch_execz .LBB1159_469
.LBB1159_538:
	v_sub_nc_u32_e32 v54, v48, v65
	v_mov_b32_e32 v55, 0
	s_delay_alu instid0(VALU_DEP_1) | instskip(NEXT) | instid1(VALU_DEP_1)
	v_lshlrev_b64 v[54:55], 3, v[54:55]
	v_add_co_u32 v54, vcc_lo, v51, v54
	s_delay_alu instid0(VALU_DEP_2)
	v_add_co_ci_u32_e32 v55, vcc_lo, v52, v55, vcc_lo
	global_store_b64 v[54:55], v[27:28], off
	s_or_b32 exec_lo, exec_lo, s17
	s_and_saveexec_b32 s17, s9
	s_cbranch_execz .LBB1159_470
.LBB1159_539:
	v_sub_nc_u32_e32 v54, v50, v65
	v_mov_b32_e32 v55, 0
	s_delay_alu instid0(VALU_DEP_1) | instskip(NEXT) | instid1(VALU_DEP_1)
	v_lshlrev_b64 v[54:55], 3, v[54:55]
	v_add_co_u32 v54, vcc_lo, v51, v54
	s_delay_alu instid0(VALU_DEP_2)
	v_add_co_ci_u32_e32 v55, vcc_lo, v52, v55, vcc_lo
	global_store_b64 v[54:55], v[21:22], off
	s_or_b32 exec_lo, exec_lo, s17
	s_and_saveexec_b32 s17, s8
	s_cbranch_execz .LBB1159_471
.LBB1159_540:
	v_sub_nc_u32_e32 v54, v49, v65
	v_mov_b32_e32 v55, 0
	s_delay_alu instid0(VALU_DEP_1) | instskip(NEXT) | instid1(VALU_DEP_1)
	v_lshlrev_b64 v[54:55], 3, v[54:55]
	v_add_co_u32 v54, vcc_lo, v51, v54
	s_delay_alu instid0(VALU_DEP_2)
	v_add_co_ci_u32_e32 v55, vcc_lo, v52, v55, vcc_lo
	global_store_b64 v[54:55], v[23:24], off
	s_or_b32 exec_lo, exec_lo, s17
	s_and_saveexec_b32 s17, s14
	s_cbranch_execz .LBB1159_472
.LBB1159_541:
	v_sub_nc_u32_e32 v54, v47, v65
	v_mov_b32_e32 v55, 0
	s_delay_alu instid0(VALU_DEP_1) | instskip(NEXT) | instid1(VALU_DEP_1)
	v_lshlrev_b64 v[54:55], 3, v[54:55]
	v_add_co_u32 v54, vcc_lo, v51, v54
	s_delay_alu instid0(VALU_DEP_2)
	v_add_co_ci_u32_e32 v55, vcc_lo, v52, v55, vcc_lo
	global_store_b64 v[54:55], v[17:18], off
	s_or_b32 exec_lo, exec_lo, s17
	s_and_saveexec_b32 s17, s13
	s_cbranch_execz .LBB1159_473
.LBB1159_542:
	v_sub_nc_u32_e32 v54, v46, v65
	v_mov_b32_e32 v55, 0
	s_delay_alu instid0(VALU_DEP_1) | instskip(NEXT) | instid1(VALU_DEP_1)
	v_lshlrev_b64 v[54:55], 3, v[54:55]
	v_add_co_u32 v54, vcc_lo, v51, v54
	s_delay_alu instid0(VALU_DEP_2)
	v_add_co_ci_u32_e32 v55, vcc_lo, v52, v55, vcc_lo
	global_store_b64 v[54:55], v[19:20], off
	s_or_b32 exec_lo, exec_lo, s17
	s_and_saveexec_b32 s17, s10
	s_cbranch_execz .LBB1159_474
.LBB1159_543:
	v_sub_nc_u32_e32 v54, v45, v65
	v_mov_b32_e32 v55, 0
	s_delay_alu instid0(VALU_DEP_1) | instskip(NEXT) | instid1(VALU_DEP_1)
	v_lshlrev_b64 v[54:55], 3, v[54:55]
	v_add_co_u32 v54, vcc_lo, v51, v54
	s_delay_alu instid0(VALU_DEP_2)
	v_add_co_ci_u32_e32 v55, vcc_lo, v52, v55, vcc_lo
	global_store_b64 v[54:55], v[13:14], off
	s_or_b32 exec_lo, exec_lo, s17
	s_and_saveexec_b32 s17, s7
	s_cbranch_execz .LBB1159_475
.LBB1159_544:
	v_sub_nc_u32_e32 v54, v44, v65
	v_mov_b32_e32 v55, 0
	s_delay_alu instid0(VALU_DEP_1) | instskip(NEXT) | instid1(VALU_DEP_1)
	v_lshlrev_b64 v[54:55], 3, v[54:55]
	v_add_co_u32 v54, vcc_lo, v51, v54
	s_delay_alu instid0(VALU_DEP_2)
	v_add_co_ci_u32_e32 v55, vcc_lo, v52, v55, vcc_lo
	global_store_b64 v[54:55], v[15:16], off
	s_or_b32 exec_lo, exec_lo, s17
	s_and_saveexec_b32 s17, s6
	s_cbranch_execz .LBB1159_476
.LBB1159_545:
	v_sub_nc_u32_e32 v54, v43, v65
	v_mov_b32_e32 v55, 0
	s_delay_alu instid0(VALU_DEP_1) | instskip(NEXT) | instid1(VALU_DEP_1)
	v_lshlrev_b64 v[54:55], 3, v[54:55]
	v_add_co_u32 v54, vcc_lo, v51, v54
	s_delay_alu instid0(VALU_DEP_2)
	v_add_co_ci_u32_e32 v55, vcc_lo, v52, v55, vcc_lo
	global_store_b64 v[54:55], v[9:10], off
	s_or_b32 exec_lo, exec_lo, s17
	s_and_saveexec_b32 s17, s5
	s_cbranch_execz .LBB1159_477
.LBB1159_546:
	v_sub_nc_u32_e32 v54, v42, v65
	v_mov_b32_e32 v55, 0
	s_delay_alu instid0(VALU_DEP_1) | instskip(NEXT) | instid1(VALU_DEP_1)
	v_lshlrev_b64 v[54:55], 3, v[54:55]
	v_add_co_u32 v54, vcc_lo, v51, v54
	s_delay_alu instid0(VALU_DEP_2)
	v_add_co_ci_u32_e32 v55, vcc_lo, v52, v55, vcc_lo
	global_store_b64 v[54:55], v[11:12], off
	s_or_b32 exec_lo, exec_lo, s17
	s_and_saveexec_b32 s17, s4
	s_cbranch_execz .LBB1159_478
.LBB1159_547:
	v_sub_nc_u32_e32 v54, v41, v65
	v_mov_b32_e32 v55, 0
	s_delay_alu instid0(VALU_DEP_1) | instskip(NEXT) | instid1(VALU_DEP_1)
	v_lshlrev_b64 v[54:55], 3, v[54:55]
	v_add_co_u32 v54, vcc_lo, v51, v54
	s_delay_alu instid0(VALU_DEP_2)
	v_add_co_ci_u32_e32 v55, vcc_lo, v52, v55, vcc_lo
	global_store_b64 v[54:55], v[5:6], off
	s_or_b32 exec_lo, exec_lo, s17
	s_and_saveexec_b32 s17, s3
	s_cbranch_execz .LBB1159_479
.LBB1159_548:
	v_sub_nc_u32_e32 v54, v40, v65
	v_mov_b32_e32 v55, 0
	s_delay_alu instid0(VALU_DEP_1) | instskip(NEXT) | instid1(VALU_DEP_1)
	v_lshlrev_b64 v[54:55], 3, v[54:55]
	v_add_co_u32 v54, vcc_lo, v51, v54
	s_delay_alu instid0(VALU_DEP_2)
	v_add_co_ci_u32_e32 v55, vcc_lo, v52, v55, vcc_lo
	global_store_b64 v[54:55], v[7:8], off
	s_or_b32 exec_lo, exec_lo, s17
	s_and_saveexec_b32 s17, s2
	s_cbranch_execz .LBB1159_480
.LBB1159_549:
	v_sub_nc_u32_e32 v54, v39, v65
	v_mov_b32_e32 v55, 0
	s_delay_alu instid0(VALU_DEP_1) | instskip(NEXT) | instid1(VALU_DEP_1)
	v_lshlrev_b64 v[54:55], 3, v[54:55]
	v_add_co_u32 v54, vcc_lo, v51, v54
	s_delay_alu instid0(VALU_DEP_2)
	v_add_co_ci_u32_e32 v55, vcc_lo, v52, v55, vcc_lo
	global_store_b64 v[54:55], v[1:2], off
	s_or_b32 exec_lo, exec_lo, s17
	s_and_saveexec_b32 s17, s1
	s_cbranch_execnz .LBB1159_481
	s_branch .LBB1159_482
.LBB1159_550:
	v_sub_nc_u32_e32 v53, v114, v65
	s_delay_alu instid0(VALU_DEP_1)
	v_lshlrev_b32_e32 v53, 3, v53
	ds_store_b64 v53, v[25:26]
	s_or_b32 exec_lo, exec_lo, s17
	s_and_saveexec_b32 s12, s11
	s_cbranch_execz .LBB1159_486
.LBB1159_551:
	v_sub_nc_u32_e32 v25, v48, v65
	s_delay_alu instid0(VALU_DEP_1)
	v_lshlrev_b32_e32 v25, 3, v25
	ds_store_b64 v25, v[27:28]
	s_or_b32 exec_lo, exec_lo, s12
	s_and_saveexec_b32 s11, s9
	s_cbranch_execz .LBB1159_487
.LBB1159_552:
	v_sub_nc_u32_e32 v25, v50, v65
	s_delay_alu instid0(VALU_DEP_1)
	v_lshlrev_b32_e32 v25, 3, v25
	ds_store_b64 v25, v[21:22]
	s_or_b32 exec_lo, exec_lo, s11
	s_and_saveexec_b32 s9, s8
	s_cbranch_execz .LBB1159_488
.LBB1159_553:
	v_sub_nc_u32_e32 v21, v49, v65
	s_delay_alu instid0(VALU_DEP_1)
	v_lshlrev_b32_e32 v21, 3, v21
	ds_store_b64 v21, v[23:24]
	s_or_b32 exec_lo, exec_lo, s9
	s_and_saveexec_b32 s8, s14
	s_cbranch_execz .LBB1159_489
.LBB1159_554:
	v_sub_nc_u32_e32 v21, v47, v65
	s_delay_alu instid0(VALU_DEP_1)
	v_lshlrev_b32_e32 v21, 3, v21
	ds_store_b64 v21, v[17:18]
	s_or_b32 exec_lo, exec_lo, s8
	s_and_saveexec_b32 s8, s13
	s_cbranch_execz .LBB1159_490
.LBB1159_555:
	v_sub_nc_u32_e32 v17, v46, v65
	s_delay_alu instid0(VALU_DEP_1)
	v_lshlrev_b32_e32 v17, 3, v17
	ds_store_b64 v17, v[19:20]
	s_or_b32 exec_lo, exec_lo, s8
	s_and_saveexec_b32 s8, s10
	s_cbranch_execz .LBB1159_491
.LBB1159_556:
	v_sub_nc_u32_e32 v17, v45, v65
	s_delay_alu instid0(VALU_DEP_1)
	v_lshlrev_b32_e32 v17, 3, v17
	ds_store_b64 v17, v[13:14]
	s_or_b32 exec_lo, exec_lo, s8
	s_and_saveexec_b32 s8, s7
	s_cbranch_execz .LBB1159_492
.LBB1159_557:
	v_sub_nc_u32_e32 v13, v44, v65
	s_delay_alu instid0(VALU_DEP_1)
	v_lshlrev_b32_e32 v13, 3, v13
	ds_store_b64 v13, v[15:16]
	s_or_b32 exec_lo, exec_lo, s8
	s_and_saveexec_b32 s7, s6
	s_cbranch_execz .LBB1159_493
.LBB1159_558:
	v_sub_nc_u32_e32 v13, v43, v65
	s_delay_alu instid0(VALU_DEP_1)
	v_lshlrev_b32_e32 v13, 3, v13
	ds_store_b64 v13, v[9:10]
	s_or_b32 exec_lo, exec_lo, s7
	s_and_saveexec_b32 s6, s5
	s_cbranch_execz .LBB1159_494
.LBB1159_559:
	v_sub_nc_u32_e32 v9, v42, v65
	s_delay_alu instid0(VALU_DEP_1)
	v_lshlrev_b32_e32 v9, 3, v9
	ds_store_b64 v9, v[11:12]
	s_or_b32 exec_lo, exec_lo, s6
	s_and_saveexec_b32 s5, s4
	s_cbranch_execz .LBB1159_495
.LBB1159_560:
	v_sub_nc_u32_e32 v9, v41, v65
	s_delay_alu instid0(VALU_DEP_1)
	v_lshlrev_b32_e32 v9, 3, v9
	ds_store_b64 v9, v[5:6]
	s_or_b32 exec_lo, exec_lo, s5
	s_and_saveexec_b32 s4, s3
	s_cbranch_execz .LBB1159_496
.LBB1159_561:
	v_sub_nc_u32_e32 v5, v40, v65
	s_delay_alu instid0(VALU_DEP_1)
	v_lshlrev_b32_e32 v5, 3, v5
	ds_store_b64 v5, v[7:8]
	s_or_b32 exec_lo, exec_lo, s4
	s_and_saveexec_b32 s3, s2
	s_cbranch_execz .LBB1159_497
.LBB1159_562:
	v_sub_nc_u32_e32 v5, v39, v65
	s_delay_alu instid0(VALU_DEP_1)
	v_lshlrev_b32_e32 v5, 3, v5
	ds_store_b64 v5, v[1:2]
	s_or_b32 exec_lo, exec_lo, s3
	s_and_saveexec_b32 s2, s1
	s_cbranch_execnz .LBB1159_498
	s_branch .LBB1159_499
.LBB1159_563:
	v_sub_nc_u32_e32 v10, v114, v8
	v_mov_b32_e32 v11, 0
	s_delay_alu instid0(VALU_DEP_1) | instskip(NEXT) | instid1(VALU_DEP_1)
	v_lshlrev_b64 v[10:11], 3, v[10:11]
	v_add_co_u32 v10, vcc_lo, v6, v10
	s_delay_alu instid0(VALU_DEP_2)
	v_add_co_ci_u32_e32 v11, vcc_lo, v7, v11, vcc_lo
	global_store_b64 v[10:11], v[77:78], off
	s_or_b32 exec_lo, exec_lo, s17
	s_and_saveexec_b32 s17, s13
	s_cbranch_execz .LBB1159_503
.LBB1159_564:
	v_sub_nc_u32_e32 v10, v48, v8
	v_mov_b32_e32 v11, 0
	s_delay_alu instid0(VALU_DEP_1) | instskip(NEXT) | instid1(VALU_DEP_1)
	v_lshlrev_b64 v[10:11], 3, v[10:11]
	v_add_co_u32 v10, vcc_lo, v6, v10
	s_delay_alu instid0(VALU_DEP_2)
	v_add_co_ci_u32_e32 v11, vcc_lo, v7, v11, vcc_lo
	global_store_b64 v[10:11], v[75:76], off
	s_or_b32 exec_lo, exec_lo, s17
	s_and_saveexec_b32 s17, s12
	s_cbranch_execz .LBB1159_504
.LBB1159_565:
	v_sub_nc_u32_e32 v10, v50, v8
	v_mov_b32_e32 v11, 0
	s_delay_alu instid0(VALU_DEP_1) | instskip(NEXT) | instid1(VALU_DEP_1)
	v_lshlrev_b64 v[10:11], 3, v[10:11]
	v_add_co_u32 v10, vcc_lo, v6, v10
	s_delay_alu instid0(VALU_DEP_2)
	v_add_co_ci_u32_e32 v11, vcc_lo, v7, v11, vcc_lo
	global_store_b64 v[10:11], v[81:82], off
	s_or_b32 exec_lo, exec_lo, s17
	s_and_saveexec_b32 s17, s11
	s_cbranch_execz .LBB1159_505
.LBB1159_566:
	v_sub_nc_u32_e32 v10, v49, v8
	v_mov_b32_e32 v11, 0
	s_delay_alu instid0(VALU_DEP_1) | instskip(NEXT) | instid1(VALU_DEP_1)
	v_lshlrev_b64 v[10:11], 3, v[10:11]
	v_add_co_u32 v10, vcc_lo, v6, v10
	s_delay_alu instid0(VALU_DEP_2)
	v_add_co_ci_u32_e32 v11, vcc_lo, v7, v11, vcc_lo
	global_store_b64 v[10:11], v[85:86], off
	s_or_b32 exec_lo, exec_lo, s17
	s_and_saveexec_b32 s17, s10
	s_cbranch_execz .LBB1159_506
.LBB1159_567:
	v_sub_nc_u32_e32 v10, v47, v8
	v_mov_b32_e32 v11, 0
	s_delay_alu instid0(VALU_DEP_1) | instskip(NEXT) | instid1(VALU_DEP_1)
	v_lshlrev_b64 v[10:11], 3, v[10:11]
	v_add_co_u32 v10, vcc_lo, v6, v10
	s_delay_alu instid0(VALU_DEP_2)
	v_add_co_ci_u32_e32 v11, vcc_lo, v7, v11, vcc_lo
	global_store_b64 v[10:11], v[67:68], off
	s_or_b32 exec_lo, exec_lo, s17
	s_and_saveexec_b32 s17, s9
	s_cbranch_execz .LBB1159_507
.LBB1159_568:
	v_sub_nc_u32_e32 v10, v46, v8
	v_mov_b32_e32 v11, 0
	s_delay_alu instid0(VALU_DEP_1) | instskip(NEXT) | instid1(VALU_DEP_1)
	v_lshlrev_b64 v[10:11], 3, v[10:11]
	v_add_co_u32 v10, vcc_lo, v6, v10
	s_delay_alu instid0(VALU_DEP_2)
	v_add_co_ci_u32_e32 v11, vcc_lo, v7, v11, vcc_lo
	global_store_b64 v[10:11], v[71:72], off
	s_or_b32 exec_lo, exec_lo, s17
	s_and_saveexec_b32 s17, s8
	s_cbranch_execz .LBB1159_508
.LBB1159_569:
	v_sub_nc_u32_e32 v10, v45, v8
	v_mov_b32_e32 v11, 0
	s_delay_alu instid0(VALU_DEP_1) | instskip(NEXT) | instid1(VALU_DEP_1)
	v_lshlrev_b64 v[10:11], 3, v[10:11]
	v_add_co_u32 v10, vcc_lo, v6, v10
	s_delay_alu instid0(VALU_DEP_2)
	v_add_co_ci_u32_e32 v11, vcc_lo, v7, v11, vcc_lo
	global_store_b64 v[10:11], v[79:80], off
	s_or_b32 exec_lo, exec_lo, s17
	s_and_saveexec_b32 s17, s7
	s_cbranch_execz .LBB1159_509
.LBB1159_570:
	v_sub_nc_u32_e32 v10, v44, v8
	v_mov_b32_e32 v11, 0
	s_delay_alu instid0(VALU_DEP_1) | instskip(NEXT) | instid1(VALU_DEP_1)
	v_lshlrev_b64 v[10:11], 3, v[10:11]
	v_add_co_u32 v10, vcc_lo, v6, v10
	s_delay_alu instid0(VALU_DEP_2)
	v_add_co_ci_u32_e32 v11, vcc_lo, v7, v11, vcc_lo
	global_store_b64 v[10:11], v[83:84], off
	s_or_b32 exec_lo, exec_lo, s17
	s_and_saveexec_b32 s17, s6
	s_cbranch_execz .LBB1159_510
.LBB1159_571:
	v_sub_nc_u32_e32 v10, v43, v8
	v_mov_b32_e32 v11, 0
	s_delay_alu instid0(VALU_DEP_1) | instskip(NEXT) | instid1(VALU_DEP_1)
	v_lshlrev_b64 v[10:11], 3, v[10:11]
	v_add_co_u32 v10, vcc_lo, v6, v10
	s_delay_alu instid0(VALU_DEP_2)
	v_add_co_ci_u32_e32 v11, vcc_lo, v7, v11, vcc_lo
	global_store_b64 v[10:11], v[87:88], off
	s_or_b32 exec_lo, exec_lo, s17
	s_and_saveexec_b32 s17, s5
	s_cbranch_execz .LBB1159_511
.LBB1159_572:
	v_sub_nc_u32_e32 v10, v42, v8
	v_mov_b32_e32 v11, 0
	s_delay_alu instid0(VALU_DEP_1) | instskip(NEXT) | instid1(VALU_DEP_1)
	v_lshlrev_b64 v[10:11], 3, v[10:11]
	v_add_co_u32 v10, vcc_lo, v6, v10
	s_delay_alu instid0(VALU_DEP_2)
	v_add_co_ci_u32_e32 v11, vcc_lo, v7, v11, vcc_lo
	global_store_b64 v[10:11], v[69:70], off
	s_or_b32 exec_lo, exec_lo, s17
	s_and_saveexec_b32 s17, s4
	s_cbranch_execz .LBB1159_512
.LBB1159_573:
	v_sub_nc_u32_e32 v10, v41, v8
	v_mov_b32_e32 v11, 0
	s_delay_alu instid0(VALU_DEP_1) | instskip(NEXT) | instid1(VALU_DEP_1)
	v_lshlrev_b64 v[10:11], 3, v[10:11]
	v_add_co_u32 v10, vcc_lo, v6, v10
	s_delay_alu instid0(VALU_DEP_2)
	v_add_co_ci_u32_e32 v11, vcc_lo, v7, v11, vcc_lo
	global_store_b64 v[10:11], v[73:74], off
	s_or_b32 exec_lo, exec_lo, s17
	s_and_saveexec_b32 s17, s3
	s_cbranch_execz .LBB1159_513
.LBB1159_574:
	v_sub_nc_u32_e32 v10, v40, v8
	v_mov_b32_e32 v11, 0
	s_delay_alu instid0(VALU_DEP_1) | instskip(NEXT) | instid1(VALU_DEP_1)
	v_lshlrev_b64 v[10:11], 3, v[10:11]
	v_add_co_u32 v10, vcc_lo, v6, v10
	s_delay_alu instid0(VALU_DEP_2)
	v_add_co_ci_u32_e32 v11, vcc_lo, v7, v11, vcc_lo
	global_store_b64 v[10:11], v[89:90], off
	s_or_b32 exec_lo, exec_lo, s17
	s_and_saveexec_b32 s17, s2
	s_cbranch_execz .LBB1159_514
.LBB1159_575:
	v_sub_nc_u32_e32 v10, v39, v8
	v_mov_b32_e32 v11, 0
	s_delay_alu instid0(VALU_DEP_1) | instskip(NEXT) | instid1(VALU_DEP_1)
	v_lshlrev_b64 v[10:11], 3, v[10:11]
	v_add_co_u32 v10, vcc_lo, v6, v10
	s_delay_alu instid0(VALU_DEP_2)
	v_add_co_ci_u32_e32 v11, vcc_lo, v7, v11, vcc_lo
	global_store_b64 v[10:11], v[93:94], off
	s_or_b32 exec_lo, exec_lo, s17
	s_and_saveexec_b32 s17, s1
	s_cbranch_execnz .LBB1159_515
	s_branch .LBB1159_516
.LBB1159_576:
	v_sub_nc_u32_e32 v9, v114, v8
	s_delay_alu instid0(VALU_DEP_1)
	v_lshlrev_b32_e32 v9, 3, v9
	ds_store_b64 v9, v[77:78]
	s_or_b32 exec_lo, exec_lo, s17
	s_and_saveexec_b32 s14, s13
	s_cbranch_execz .LBB1159_520
.LBB1159_577:
	v_sub_nc_u32_e32 v9, v48, v8
	s_delay_alu instid0(VALU_DEP_1)
	v_lshlrev_b32_e32 v9, 3, v9
	ds_store_b64 v9, v[75:76]
	s_or_b32 exec_lo, exec_lo, s14
	s_and_saveexec_b32 s13, s12
	s_cbranch_execz .LBB1159_521
.LBB1159_578:
	v_sub_nc_u32_e32 v9, v50, v8
	s_delay_alu instid0(VALU_DEP_1)
	v_lshlrev_b32_e32 v9, 3, v9
	ds_store_b64 v9, v[81:82]
	s_or_b32 exec_lo, exec_lo, s13
	s_and_saveexec_b32 s12, s11
	s_cbranch_execz .LBB1159_522
.LBB1159_579:
	v_sub_nc_u32_e32 v9, v49, v8
	s_delay_alu instid0(VALU_DEP_1)
	v_lshlrev_b32_e32 v9, 3, v9
	ds_store_b64 v9, v[85:86]
	s_or_b32 exec_lo, exec_lo, s12
	s_and_saveexec_b32 s11, s10
	s_cbranch_execz .LBB1159_523
.LBB1159_580:
	v_sub_nc_u32_e32 v9, v47, v8
	s_delay_alu instid0(VALU_DEP_1)
	v_lshlrev_b32_e32 v9, 3, v9
	ds_store_b64 v9, v[67:68]
	s_or_b32 exec_lo, exec_lo, s11
	s_and_saveexec_b32 s10, s9
	s_cbranch_execz .LBB1159_524
.LBB1159_581:
	v_sub_nc_u32_e32 v9, v46, v8
	s_delay_alu instid0(VALU_DEP_1)
	v_lshlrev_b32_e32 v9, 3, v9
	ds_store_b64 v9, v[71:72]
	s_or_b32 exec_lo, exec_lo, s10
	s_and_saveexec_b32 s9, s8
	s_cbranch_execz .LBB1159_525
.LBB1159_582:
	v_sub_nc_u32_e32 v9, v45, v8
	s_delay_alu instid0(VALU_DEP_1)
	v_lshlrev_b32_e32 v9, 3, v9
	ds_store_b64 v9, v[79:80]
	s_or_b32 exec_lo, exec_lo, s9
	s_and_saveexec_b32 s8, s7
	s_cbranch_execz .LBB1159_526
.LBB1159_583:
	v_sub_nc_u32_e32 v9, v44, v8
	s_delay_alu instid0(VALU_DEP_1)
	v_lshlrev_b32_e32 v9, 3, v9
	ds_store_b64 v9, v[83:84]
	s_or_b32 exec_lo, exec_lo, s8
	s_and_saveexec_b32 s7, s6
	s_cbranch_execz .LBB1159_527
.LBB1159_584:
	v_sub_nc_u32_e32 v9, v43, v8
	s_delay_alu instid0(VALU_DEP_1)
	v_lshlrev_b32_e32 v9, 3, v9
	ds_store_b64 v9, v[87:88]
	s_or_b32 exec_lo, exec_lo, s7
	s_and_saveexec_b32 s6, s5
	s_cbranch_execz .LBB1159_528
.LBB1159_585:
	v_sub_nc_u32_e32 v9, v42, v8
	s_delay_alu instid0(VALU_DEP_1)
	v_lshlrev_b32_e32 v9, 3, v9
	ds_store_b64 v9, v[69:70]
	s_or_b32 exec_lo, exec_lo, s6
	s_and_saveexec_b32 s5, s4
	s_cbranch_execz .LBB1159_529
.LBB1159_586:
	v_sub_nc_u32_e32 v9, v41, v8
	s_delay_alu instid0(VALU_DEP_1)
	v_lshlrev_b32_e32 v9, 3, v9
	ds_store_b64 v9, v[73:74]
	s_or_b32 exec_lo, exec_lo, s5
	s_and_saveexec_b32 s4, s3
	s_cbranch_execz .LBB1159_530
.LBB1159_587:
	v_sub_nc_u32_e32 v9, v40, v8
	s_delay_alu instid0(VALU_DEP_1)
	v_lshlrev_b32_e32 v9, 3, v9
	ds_store_b64 v9, v[89:90]
	s_or_b32 exec_lo, exec_lo, s4
	s_and_saveexec_b32 s3, s2
	s_cbranch_execz .LBB1159_531
.LBB1159_588:
	v_sub_nc_u32_e32 v9, v39, v8
	s_delay_alu instid0(VALU_DEP_1)
	v_lshlrev_b32_e32 v9, 3, v9
	ds_store_b64 v9, v[93:94]
	s_or_b32 exec_lo, exec_lo, s3
	s_and_saveexec_b32 s2, s1
	s_cbranch_execnz .LBB1159_532
	s_branch .LBB1159_533
	.section	.rodata,"a",@progbits
	.p2align	6, 0x0
	.amdhsa_kernel _ZN7rocprim17ROCPRIM_400000_NS6detail17trampoline_kernelINS0_14default_configENS1_29reduce_by_key_config_selectorIllN6thrust23THRUST_200600_302600_NS4plusIlEEEEZZNS1_33reduce_by_key_impl_wrapped_configILNS1_25lookback_scan_determinismE0ES3_S9_NS6_18transform_iteratorI6div_opNS6_17counting_iteratorIlNS6_11use_defaultESF_SF_EESF_SF_EENSC_I6mod_opSG_SF_SF_EENS6_6detail15normal_iteratorINS6_10device_ptrIlEEEESO_PmS8_NS6_8equal_toIlEEEE10hipError_tPvRmT2_T3_mT4_T5_T6_T7_T8_P12ihipStream_tbENKUlT_T0_E_clISt17integral_constantIbLb1EES18_IbLb0EEEEDaS14_S15_EUlS14_E_NS1_11comp_targetILNS1_3genE9ELNS1_11target_archE1100ELNS1_3gpuE3ELNS1_3repE0EEENS1_30default_config_static_selectorELNS0_4arch9wavefront6targetE0EEEvT1_
		.amdhsa_group_segment_fixed_size 30720
		.amdhsa_private_segment_fixed_size 0
		.amdhsa_kernarg_size 152
		.amdhsa_user_sgpr_count 15
		.amdhsa_user_sgpr_dispatch_ptr 0
		.amdhsa_user_sgpr_queue_ptr 0
		.amdhsa_user_sgpr_kernarg_segment_ptr 1
		.amdhsa_user_sgpr_dispatch_id 0
		.amdhsa_user_sgpr_private_segment_size 0
		.amdhsa_wavefront_size32 1
		.amdhsa_uses_dynamic_stack 0
		.amdhsa_enable_private_segment 0
		.amdhsa_system_sgpr_workgroup_id_x 1
		.amdhsa_system_sgpr_workgroup_id_y 0
		.amdhsa_system_sgpr_workgroup_id_z 0
		.amdhsa_system_sgpr_workgroup_info 0
		.amdhsa_system_vgpr_workitem_id 0
		.amdhsa_next_free_vgpr 121
		.amdhsa_next_free_sgpr 68
		.amdhsa_reserve_vcc 1
		.amdhsa_float_round_mode_32 0
		.amdhsa_float_round_mode_16_64 0
		.amdhsa_float_denorm_mode_32 3
		.amdhsa_float_denorm_mode_16_64 3
		.amdhsa_dx10_clamp 1
		.amdhsa_ieee_mode 1
		.amdhsa_fp16_overflow 0
		.amdhsa_workgroup_processor_mode 1
		.amdhsa_memory_ordered 1
		.amdhsa_forward_progress 0
		.amdhsa_shared_vgpr_count 0
		.amdhsa_exception_fp_ieee_invalid_op 0
		.amdhsa_exception_fp_denorm_src 0
		.amdhsa_exception_fp_ieee_div_zero 0
		.amdhsa_exception_fp_ieee_overflow 0
		.amdhsa_exception_fp_ieee_underflow 0
		.amdhsa_exception_fp_ieee_inexact 0
		.amdhsa_exception_int_div_zero 0
	.end_amdhsa_kernel
	.section	.text._ZN7rocprim17ROCPRIM_400000_NS6detail17trampoline_kernelINS0_14default_configENS1_29reduce_by_key_config_selectorIllN6thrust23THRUST_200600_302600_NS4plusIlEEEEZZNS1_33reduce_by_key_impl_wrapped_configILNS1_25lookback_scan_determinismE0ES3_S9_NS6_18transform_iteratorI6div_opNS6_17counting_iteratorIlNS6_11use_defaultESF_SF_EESF_SF_EENSC_I6mod_opSG_SF_SF_EENS6_6detail15normal_iteratorINS6_10device_ptrIlEEEESO_PmS8_NS6_8equal_toIlEEEE10hipError_tPvRmT2_T3_mT4_T5_T6_T7_T8_P12ihipStream_tbENKUlT_T0_E_clISt17integral_constantIbLb1EES18_IbLb0EEEEDaS14_S15_EUlS14_E_NS1_11comp_targetILNS1_3genE9ELNS1_11target_archE1100ELNS1_3gpuE3ELNS1_3repE0EEENS1_30default_config_static_selectorELNS0_4arch9wavefront6targetE0EEEvT1_,"axG",@progbits,_ZN7rocprim17ROCPRIM_400000_NS6detail17trampoline_kernelINS0_14default_configENS1_29reduce_by_key_config_selectorIllN6thrust23THRUST_200600_302600_NS4plusIlEEEEZZNS1_33reduce_by_key_impl_wrapped_configILNS1_25lookback_scan_determinismE0ES3_S9_NS6_18transform_iteratorI6div_opNS6_17counting_iteratorIlNS6_11use_defaultESF_SF_EESF_SF_EENSC_I6mod_opSG_SF_SF_EENS6_6detail15normal_iteratorINS6_10device_ptrIlEEEESO_PmS8_NS6_8equal_toIlEEEE10hipError_tPvRmT2_T3_mT4_T5_T6_T7_T8_P12ihipStream_tbENKUlT_T0_E_clISt17integral_constantIbLb1EES18_IbLb0EEEEDaS14_S15_EUlS14_E_NS1_11comp_targetILNS1_3genE9ELNS1_11target_archE1100ELNS1_3gpuE3ELNS1_3repE0EEENS1_30default_config_static_selectorELNS0_4arch9wavefront6targetE0EEEvT1_,comdat
.Lfunc_end1159:
	.size	_ZN7rocprim17ROCPRIM_400000_NS6detail17trampoline_kernelINS0_14default_configENS1_29reduce_by_key_config_selectorIllN6thrust23THRUST_200600_302600_NS4plusIlEEEEZZNS1_33reduce_by_key_impl_wrapped_configILNS1_25lookback_scan_determinismE0ES3_S9_NS6_18transform_iteratorI6div_opNS6_17counting_iteratorIlNS6_11use_defaultESF_SF_EESF_SF_EENSC_I6mod_opSG_SF_SF_EENS6_6detail15normal_iteratorINS6_10device_ptrIlEEEESO_PmS8_NS6_8equal_toIlEEEE10hipError_tPvRmT2_T3_mT4_T5_T6_T7_T8_P12ihipStream_tbENKUlT_T0_E_clISt17integral_constantIbLb1EES18_IbLb0EEEEDaS14_S15_EUlS14_E_NS1_11comp_targetILNS1_3genE9ELNS1_11target_archE1100ELNS1_3gpuE3ELNS1_3repE0EEENS1_30default_config_static_selectorELNS0_4arch9wavefront6targetE0EEEvT1_, .Lfunc_end1159-_ZN7rocprim17ROCPRIM_400000_NS6detail17trampoline_kernelINS0_14default_configENS1_29reduce_by_key_config_selectorIllN6thrust23THRUST_200600_302600_NS4plusIlEEEEZZNS1_33reduce_by_key_impl_wrapped_configILNS1_25lookback_scan_determinismE0ES3_S9_NS6_18transform_iteratorI6div_opNS6_17counting_iteratorIlNS6_11use_defaultESF_SF_EESF_SF_EENSC_I6mod_opSG_SF_SF_EENS6_6detail15normal_iteratorINS6_10device_ptrIlEEEESO_PmS8_NS6_8equal_toIlEEEE10hipError_tPvRmT2_T3_mT4_T5_T6_T7_T8_P12ihipStream_tbENKUlT_T0_E_clISt17integral_constantIbLb1EES18_IbLb0EEEEDaS14_S15_EUlS14_E_NS1_11comp_targetILNS1_3genE9ELNS1_11target_archE1100ELNS1_3gpuE3ELNS1_3repE0EEENS1_30default_config_static_selectorELNS0_4arch9wavefront6targetE0EEEvT1_
                                        ; -- End function
	.section	.AMDGPU.csdata,"",@progbits
; Kernel info:
; codeLenInByte = 82272
; NumSgprs: 70
; NumVgprs: 121
; ScratchSize: 0
; MemoryBound: 0
; FloatMode: 240
; IeeeMode: 1
; LDSByteSize: 30720 bytes/workgroup (compile time only)
; SGPRBlocks: 8
; VGPRBlocks: 15
; NumSGPRsForWavesPerEU: 70
; NumVGPRsForWavesPerEU: 121
; Occupancy: 8
; WaveLimiterHint : 1
; COMPUTE_PGM_RSRC2:SCRATCH_EN: 0
; COMPUTE_PGM_RSRC2:USER_SGPR: 15
; COMPUTE_PGM_RSRC2:TRAP_HANDLER: 0
; COMPUTE_PGM_RSRC2:TGID_X_EN: 1
; COMPUTE_PGM_RSRC2:TGID_Y_EN: 0
; COMPUTE_PGM_RSRC2:TGID_Z_EN: 0
; COMPUTE_PGM_RSRC2:TIDIG_COMP_CNT: 0
	.section	.text._ZN7rocprim17ROCPRIM_400000_NS6detail17trampoline_kernelINS0_14default_configENS1_29reduce_by_key_config_selectorIllN6thrust23THRUST_200600_302600_NS4plusIlEEEEZZNS1_33reduce_by_key_impl_wrapped_configILNS1_25lookback_scan_determinismE0ES3_S9_NS6_18transform_iteratorI6div_opNS6_17counting_iteratorIlNS6_11use_defaultESF_SF_EESF_SF_EENSC_I6mod_opSG_SF_SF_EENS6_6detail15normal_iteratorINS6_10device_ptrIlEEEESO_PmS8_NS6_8equal_toIlEEEE10hipError_tPvRmT2_T3_mT4_T5_T6_T7_T8_P12ihipStream_tbENKUlT_T0_E_clISt17integral_constantIbLb1EES18_IbLb0EEEEDaS14_S15_EUlS14_E_NS1_11comp_targetILNS1_3genE8ELNS1_11target_archE1030ELNS1_3gpuE2ELNS1_3repE0EEENS1_30default_config_static_selectorELNS0_4arch9wavefront6targetE0EEEvT1_,"axG",@progbits,_ZN7rocprim17ROCPRIM_400000_NS6detail17trampoline_kernelINS0_14default_configENS1_29reduce_by_key_config_selectorIllN6thrust23THRUST_200600_302600_NS4plusIlEEEEZZNS1_33reduce_by_key_impl_wrapped_configILNS1_25lookback_scan_determinismE0ES3_S9_NS6_18transform_iteratorI6div_opNS6_17counting_iteratorIlNS6_11use_defaultESF_SF_EESF_SF_EENSC_I6mod_opSG_SF_SF_EENS6_6detail15normal_iteratorINS6_10device_ptrIlEEEESO_PmS8_NS6_8equal_toIlEEEE10hipError_tPvRmT2_T3_mT4_T5_T6_T7_T8_P12ihipStream_tbENKUlT_T0_E_clISt17integral_constantIbLb1EES18_IbLb0EEEEDaS14_S15_EUlS14_E_NS1_11comp_targetILNS1_3genE8ELNS1_11target_archE1030ELNS1_3gpuE2ELNS1_3repE0EEENS1_30default_config_static_selectorELNS0_4arch9wavefront6targetE0EEEvT1_,comdat
	.protected	_ZN7rocprim17ROCPRIM_400000_NS6detail17trampoline_kernelINS0_14default_configENS1_29reduce_by_key_config_selectorIllN6thrust23THRUST_200600_302600_NS4plusIlEEEEZZNS1_33reduce_by_key_impl_wrapped_configILNS1_25lookback_scan_determinismE0ES3_S9_NS6_18transform_iteratorI6div_opNS6_17counting_iteratorIlNS6_11use_defaultESF_SF_EESF_SF_EENSC_I6mod_opSG_SF_SF_EENS6_6detail15normal_iteratorINS6_10device_ptrIlEEEESO_PmS8_NS6_8equal_toIlEEEE10hipError_tPvRmT2_T3_mT4_T5_T6_T7_T8_P12ihipStream_tbENKUlT_T0_E_clISt17integral_constantIbLb1EES18_IbLb0EEEEDaS14_S15_EUlS14_E_NS1_11comp_targetILNS1_3genE8ELNS1_11target_archE1030ELNS1_3gpuE2ELNS1_3repE0EEENS1_30default_config_static_selectorELNS0_4arch9wavefront6targetE0EEEvT1_ ; -- Begin function _ZN7rocprim17ROCPRIM_400000_NS6detail17trampoline_kernelINS0_14default_configENS1_29reduce_by_key_config_selectorIllN6thrust23THRUST_200600_302600_NS4plusIlEEEEZZNS1_33reduce_by_key_impl_wrapped_configILNS1_25lookback_scan_determinismE0ES3_S9_NS6_18transform_iteratorI6div_opNS6_17counting_iteratorIlNS6_11use_defaultESF_SF_EESF_SF_EENSC_I6mod_opSG_SF_SF_EENS6_6detail15normal_iteratorINS6_10device_ptrIlEEEESO_PmS8_NS6_8equal_toIlEEEE10hipError_tPvRmT2_T3_mT4_T5_T6_T7_T8_P12ihipStream_tbENKUlT_T0_E_clISt17integral_constantIbLb1EES18_IbLb0EEEEDaS14_S15_EUlS14_E_NS1_11comp_targetILNS1_3genE8ELNS1_11target_archE1030ELNS1_3gpuE2ELNS1_3repE0EEENS1_30default_config_static_selectorELNS0_4arch9wavefront6targetE0EEEvT1_
	.globl	_ZN7rocprim17ROCPRIM_400000_NS6detail17trampoline_kernelINS0_14default_configENS1_29reduce_by_key_config_selectorIllN6thrust23THRUST_200600_302600_NS4plusIlEEEEZZNS1_33reduce_by_key_impl_wrapped_configILNS1_25lookback_scan_determinismE0ES3_S9_NS6_18transform_iteratorI6div_opNS6_17counting_iteratorIlNS6_11use_defaultESF_SF_EESF_SF_EENSC_I6mod_opSG_SF_SF_EENS6_6detail15normal_iteratorINS6_10device_ptrIlEEEESO_PmS8_NS6_8equal_toIlEEEE10hipError_tPvRmT2_T3_mT4_T5_T6_T7_T8_P12ihipStream_tbENKUlT_T0_E_clISt17integral_constantIbLb1EES18_IbLb0EEEEDaS14_S15_EUlS14_E_NS1_11comp_targetILNS1_3genE8ELNS1_11target_archE1030ELNS1_3gpuE2ELNS1_3repE0EEENS1_30default_config_static_selectorELNS0_4arch9wavefront6targetE0EEEvT1_
	.p2align	8
	.type	_ZN7rocprim17ROCPRIM_400000_NS6detail17trampoline_kernelINS0_14default_configENS1_29reduce_by_key_config_selectorIllN6thrust23THRUST_200600_302600_NS4plusIlEEEEZZNS1_33reduce_by_key_impl_wrapped_configILNS1_25lookback_scan_determinismE0ES3_S9_NS6_18transform_iteratorI6div_opNS6_17counting_iteratorIlNS6_11use_defaultESF_SF_EESF_SF_EENSC_I6mod_opSG_SF_SF_EENS6_6detail15normal_iteratorINS6_10device_ptrIlEEEESO_PmS8_NS6_8equal_toIlEEEE10hipError_tPvRmT2_T3_mT4_T5_T6_T7_T8_P12ihipStream_tbENKUlT_T0_E_clISt17integral_constantIbLb1EES18_IbLb0EEEEDaS14_S15_EUlS14_E_NS1_11comp_targetILNS1_3genE8ELNS1_11target_archE1030ELNS1_3gpuE2ELNS1_3repE0EEENS1_30default_config_static_selectorELNS0_4arch9wavefront6targetE0EEEvT1_,@function
_ZN7rocprim17ROCPRIM_400000_NS6detail17trampoline_kernelINS0_14default_configENS1_29reduce_by_key_config_selectorIllN6thrust23THRUST_200600_302600_NS4plusIlEEEEZZNS1_33reduce_by_key_impl_wrapped_configILNS1_25lookback_scan_determinismE0ES3_S9_NS6_18transform_iteratorI6div_opNS6_17counting_iteratorIlNS6_11use_defaultESF_SF_EESF_SF_EENSC_I6mod_opSG_SF_SF_EENS6_6detail15normal_iteratorINS6_10device_ptrIlEEEESO_PmS8_NS6_8equal_toIlEEEE10hipError_tPvRmT2_T3_mT4_T5_T6_T7_T8_P12ihipStream_tbENKUlT_T0_E_clISt17integral_constantIbLb1EES18_IbLb0EEEEDaS14_S15_EUlS14_E_NS1_11comp_targetILNS1_3genE8ELNS1_11target_archE1030ELNS1_3gpuE2ELNS1_3repE0EEENS1_30default_config_static_selectorELNS0_4arch9wavefront6targetE0EEEvT1_: ; @_ZN7rocprim17ROCPRIM_400000_NS6detail17trampoline_kernelINS0_14default_configENS1_29reduce_by_key_config_selectorIllN6thrust23THRUST_200600_302600_NS4plusIlEEEEZZNS1_33reduce_by_key_impl_wrapped_configILNS1_25lookback_scan_determinismE0ES3_S9_NS6_18transform_iteratorI6div_opNS6_17counting_iteratorIlNS6_11use_defaultESF_SF_EESF_SF_EENSC_I6mod_opSG_SF_SF_EENS6_6detail15normal_iteratorINS6_10device_ptrIlEEEESO_PmS8_NS6_8equal_toIlEEEE10hipError_tPvRmT2_T3_mT4_T5_T6_T7_T8_P12ihipStream_tbENKUlT_T0_E_clISt17integral_constantIbLb1EES18_IbLb0EEEEDaS14_S15_EUlS14_E_NS1_11comp_targetILNS1_3genE8ELNS1_11target_archE1030ELNS1_3gpuE2ELNS1_3repE0EEENS1_30default_config_static_selectorELNS0_4arch9wavefront6targetE0EEEvT1_
; %bb.0:
	.section	.rodata,"a",@progbits
	.p2align	6, 0x0
	.amdhsa_kernel _ZN7rocprim17ROCPRIM_400000_NS6detail17trampoline_kernelINS0_14default_configENS1_29reduce_by_key_config_selectorIllN6thrust23THRUST_200600_302600_NS4plusIlEEEEZZNS1_33reduce_by_key_impl_wrapped_configILNS1_25lookback_scan_determinismE0ES3_S9_NS6_18transform_iteratorI6div_opNS6_17counting_iteratorIlNS6_11use_defaultESF_SF_EESF_SF_EENSC_I6mod_opSG_SF_SF_EENS6_6detail15normal_iteratorINS6_10device_ptrIlEEEESO_PmS8_NS6_8equal_toIlEEEE10hipError_tPvRmT2_T3_mT4_T5_T6_T7_T8_P12ihipStream_tbENKUlT_T0_E_clISt17integral_constantIbLb1EES18_IbLb0EEEEDaS14_S15_EUlS14_E_NS1_11comp_targetILNS1_3genE8ELNS1_11target_archE1030ELNS1_3gpuE2ELNS1_3repE0EEENS1_30default_config_static_selectorELNS0_4arch9wavefront6targetE0EEEvT1_
		.amdhsa_group_segment_fixed_size 0
		.amdhsa_private_segment_fixed_size 0
		.amdhsa_kernarg_size 152
		.amdhsa_user_sgpr_count 15
		.amdhsa_user_sgpr_dispatch_ptr 0
		.amdhsa_user_sgpr_queue_ptr 0
		.amdhsa_user_sgpr_kernarg_segment_ptr 1
		.amdhsa_user_sgpr_dispatch_id 0
		.amdhsa_user_sgpr_private_segment_size 0
		.amdhsa_wavefront_size32 1
		.amdhsa_uses_dynamic_stack 0
		.amdhsa_enable_private_segment 0
		.amdhsa_system_sgpr_workgroup_id_x 1
		.amdhsa_system_sgpr_workgroup_id_y 0
		.amdhsa_system_sgpr_workgroup_id_z 0
		.amdhsa_system_sgpr_workgroup_info 0
		.amdhsa_system_vgpr_workitem_id 0
		.amdhsa_next_free_vgpr 1
		.amdhsa_next_free_sgpr 1
		.amdhsa_reserve_vcc 0
		.amdhsa_float_round_mode_32 0
		.amdhsa_float_round_mode_16_64 0
		.amdhsa_float_denorm_mode_32 3
		.amdhsa_float_denorm_mode_16_64 3
		.amdhsa_dx10_clamp 1
		.amdhsa_ieee_mode 1
		.amdhsa_fp16_overflow 0
		.amdhsa_workgroup_processor_mode 1
		.amdhsa_memory_ordered 1
		.amdhsa_forward_progress 0
		.amdhsa_shared_vgpr_count 0
		.amdhsa_exception_fp_ieee_invalid_op 0
		.amdhsa_exception_fp_denorm_src 0
		.amdhsa_exception_fp_ieee_div_zero 0
		.amdhsa_exception_fp_ieee_overflow 0
		.amdhsa_exception_fp_ieee_underflow 0
		.amdhsa_exception_fp_ieee_inexact 0
		.amdhsa_exception_int_div_zero 0
	.end_amdhsa_kernel
	.section	.text._ZN7rocprim17ROCPRIM_400000_NS6detail17trampoline_kernelINS0_14default_configENS1_29reduce_by_key_config_selectorIllN6thrust23THRUST_200600_302600_NS4plusIlEEEEZZNS1_33reduce_by_key_impl_wrapped_configILNS1_25lookback_scan_determinismE0ES3_S9_NS6_18transform_iteratorI6div_opNS6_17counting_iteratorIlNS6_11use_defaultESF_SF_EESF_SF_EENSC_I6mod_opSG_SF_SF_EENS6_6detail15normal_iteratorINS6_10device_ptrIlEEEESO_PmS8_NS6_8equal_toIlEEEE10hipError_tPvRmT2_T3_mT4_T5_T6_T7_T8_P12ihipStream_tbENKUlT_T0_E_clISt17integral_constantIbLb1EES18_IbLb0EEEEDaS14_S15_EUlS14_E_NS1_11comp_targetILNS1_3genE8ELNS1_11target_archE1030ELNS1_3gpuE2ELNS1_3repE0EEENS1_30default_config_static_selectorELNS0_4arch9wavefront6targetE0EEEvT1_,"axG",@progbits,_ZN7rocprim17ROCPRIM_400000_NS6detail17trampoline_kernelINS0_14default_configENS1_29reduce_by_key_config_selectorIllN6thrust23THRUST_200600_302600_NS4plusIlEEEEZZNS1_33reduce_by_key_impl_wrapped_configILNS1_25lookback_scan_determinismE0ES3_S9_NS6_18transform_iteratorI6div_opNS6_17counting_iteratorIlNS6_11use_defaultESF_SF_EESF_SF_EENSC_I6mod_opSG_SF_SF_EENS6_6detail15normal_iteratorINS6_10device_ptrIlEEEESO_PmS8_NS6_8equal_toIlEEEE10hipError_tPvRmT2_T3_mT4_T5_T6_T7_T8_P12ihipStream_tbENKUlT_T0_E_clISt17integral_constantIbLb1EES18_IbLb0EEEEDaS14_S15_EUlS14_E_NS1_11comp_targetILNS1_3genE8ELNS1_11target_archE1030ELNS1_3gpuE2ELNS1_3repE0EEENS1_30default_config_static_selectorELNS0_4arch9wavefront6targetE0EEEvT1_,comdat
.Lfunc_end1160:
	.size	_ZN7rocprim17ROCPRIM_400000_NS6detail17trampoline_kernelINS0_14default_configENS1_29reduce_by_key_config_selectorIllN6thrust23THRUST_200600_302600_NS4plusIlEEEEZZNS1_33reduce_by_key_impl_wrapped_configILNS1_25lookback_scan_determinismE0ES3_S9_NS6_18transform_iteratorI6div_opNS6_17counting_iteratorIlNS6_11use_defaultESF_SF_EESF_SF_EENSC_I6mod_opSG_SF_SF_EENS6_6detail15normal_iteratorINS6_10device_ptrIlEEEESO_PmS8_NS6_8equal_toIlEEEE10hipError_tPvRmT2_T3_mT4_T5_T6_T7_T8_P12ihipStream_tbENKUlT_T0_E_clISt17integral_constantIbLb1EES18_IbLb0EEEEDaS14_S15_EUlS14_E_NS1_11comp_targetILNS1_3genE8ELNS1_11target_archE1030ELNS1_3gpuE2ELNS1_3repE0EEENS1_30default_config_static_selectorELNS0_4arch9wavefront6targetE0EEEvT1_, .Lfunc_end1160-_ZN7rocprim17ROCPRIM_400000_NS6detail17trampoline_kernelINS0_14default_configENS1_29reduce_by_key_config_selectorIllN6thrust23THRUST_200600_302600_NS4plusIlEEEEZZNS1_33reduce_by_key_impl_wrapped_configILNS1_25lookback_scan_determinismE0ES3_S9_NS6_18transform_iteratorI6div_opNS6_17counting_iteratorIlNS6_11use_defaultESF_SF_EESF_SF_EENSC_I6mod_opSG_SF_SF_EENS6_6detail15normal_iteratorINS6_10device_ptrIlEEEESO_PmS8_NS6_8equal_toIlEEEE10hipError_tPvRmT2_T3_mT4_T5_T6_T7_T8_P12ihipStream_tbENKUlT_T0_E_clISt17integral_constantIbLb1EES18_IbLb0EEEEDaS14_S15_EUlS14_E_NS1_11comp_targetILNS1_3genE8ELNS1_11target_archE1030ELNS1_3gpuE2ELNS1_3repE0EEENS1_30default_config_static_selectorELNS0_4arch9wavefront6targetE0EEEvT1_
                                        ; -- End function
	.section	.AMDGPU.csdata,"",@progbits
; Kernel info:
; codeLenInByte = 0
; NumSgprs: 0
; NumVgprs: 0
; ScratchSize: 0
; MemoryBound: 0
; FloatMode: 240
; IeeeMode: 1
; LDSByteSize: 0 bytes/workgroup (compile time only)
; SGPRBlocks: 0
; VGPRBlocks: 0
; NumSGPRsForWavesPerEU: 1
; NumVGPRsForWavesPerEU: 1
; Occupancy: 16
; WaveLimiterHint : 0
; COMPUTE_PGM_RSRC2:SCRATCH_EN: 0
; COMPUTE_PGM_RSRC2:USER_SGPR: 15
; COMPUTE_PGM_RSRC2:TRAP_HANDLER: 0
; COMPUTE_PGM_RSRC2:TGID_X_EN: 1
; COMPUTE_PGM_RSRC2:TGID_Y_EN: 0
; COMPUTE_PGM_RSRC2:TGID_Z_EN: 0
; COMPUTE_PGM_RSRC2:TIDIG_COMP_CNT: 0
	.section	.text._ZN7rocprim17ROCPRIM_400000_NS6detail25reduce_by_key_init_kernelINS1_19lookback_scan_stateINS0_5tupleIJjlEEELb0ELb0EEElNS1_16block_id_wrapperIjLb1EEEEEvT_jbjPmPT0_T1_,"axG",@progbits,_ZN7rocprim17ROCPRIM_400000_NS6detail25reduce_by_key_init_kernelINS1_19lookback_scan_stateINS0_5tupleIJjlEEELb0ELb0EEElNS1_16block_id_wrapperIjLb1EEEEEvT_jbjPmPT0_T1_,comdat
	.protected	_ZN7rocprim17ROCPRIM_400000_NS6detail25reduce_by_key_init_kernelINS1_19lookback_scan_stateINS0_5tupleIJjlEEELb0ELb0EEElNS1_16block_id_wrapperIjLb1EEEEEvT_jbjPmPT0_T1_ ; -- Begin function _ZN7rocprim17ROCPRIM_400000_NS6detail25reduce_by_key_init_kernelINS1_19lookback_scan_stateINS0_5tupleIJjlEEELb0ELb0EEElNS1_16block_id_wrapperIjLb1EEEEEvT_jbjPmPT0_T1_
	.globl	_ZN7rocprim17ROCPRIM_400000_NS6detail25reduce_by_key_init_kernelINS1_19lookback_scan_stateINS0_5tupleIJjlEEELb0ELb0EEElNS1_16block_id_wrapperIjLb1EEEEEvT_jbjPmPT0_T1_
	.p2align	8
	.type	_ZN7rocprim17ROCPRIM_400000_NS6detail25reduce_by_key_init_kernelINS1_19lookback_scan_stateINS0_5tupleIJjlEEELb0ELb0EEElNS1_16block_id_wrapperIjLb1EEEEEvT_jbjPmPT0_T1_,@function
_ZN7rocprim17ROCPRIM_400000_NS6detail25reduce_by_key_init_kernelINS1_19lookback_scan_stateINS0_5tupleIJjlEEELb0ELb0EEElNS1_16block_id_wrapperIjLb1EEEEEvT_jbjPmPT0_T1_: ; @_ZN7rocprim17ROCPRIM_400000_NS6detail25reduce_by_key_init_kernelINS1_19lookback_scan_stateINS0_5tupleIJjlEEELb0ELb0EEElNS1_16block_id_wrapperIjLb1EEEEEvT_jbjPmPT0_T1_
; %bb.0:
	s_clause 0x3
	s_load_b32 s2, s[0:1], 0x4c
	s_load_b256 s[4:11], s[0:1], 0x18
	s_load_b64 s[16:17], s[0:1], 0x38
	s_load_b64 s[12:13], s[0:1], 0x10
	s_waitcnt lgkmcnt(0)
	s_and_b32 s2, s2, 0xffff
	s_delay_alu instid0(SALU_CYCLE_1) | instskip(SKIP_1) | instid1(SALU_CYCLE_1)
	v_mad_u64_u32 v[1:2], null, s15, s2, v[0:1]
	s_and_b32 s2, s5, 1
	s_cmp_eq_u32 s2, 0
	s_mov_b32 s2, -1
	s_cbranch_scc0 .LBB1161_7
; %bb.1:
	s_cmp_lt_u32 s6, s4
	s_mov_b32 s5, exec_lo
	s_cselect_b32 s2, s6, 0
	s_delay_alu instid0(SALU_CYCLE_1)
	v_cmpx_eq_u32_e64 s2, v1
	s_cbranch_execz .LBB1161_6
; %bb.2:
	s_add_i32 s6, s6, 32
	s_load_b128 s[0:3], s[0:1], 0x0
	v_mov_b32_e32 v0, s6
	s_add_u32 s14, s12, s6
	s_addc_u32 s15, s13, 0
	s_mov_b32 s7, 0
	global_load_u8 v0, v0, s[12:13] glc
	s_waitcnt vmcnt(0)
	v_cmp_ne_u16_e32 vcc_lo, 0, v0
	v_readfirstlane_b32 s18, v0
	s_cbranch_vccnz .LBB1161_5
; %bb.3:
	v_mov_b32_e32 v0, 0
.LBB1161_4:                             ; =>This Inner Loop Header: Depth=1
	global_load_u8 v2, v0, s[14:15] glc
	s_waitcnt vmcnt(0)
	v_cmp_eq_u16_e32 vcc_lo, 0, v2
	v_readfirstlane_b32 s18, v2
	s_cbranch_vccnz .LBB1161_4
.LBB1161_5:
	s_delay_alu instid0(VALU_DEP_1)
	s_and_b32 s14, 0xffff, s18
	v_mov_b32_e32 v0, 0
	s_cmp_eq_u32 s14, 1
	s_waitcnt lgkmcnt(0)
	buffer_gl1_inv
	buffer_gl0_inv
	s_cselect_b32 s3, s1, s3
	s_cselect_b32 s2, s0, s2
	s_lshl_b64 s[0:1], s[6:7], 4
	s_delay_alu instid0(SALU_CYCLE_1)
	s_add_u32 s0, s2, s0
	s_addc_u32 s1, s3, s1
	s_clause 0x2
	global_load_b64 v[2:3], v0, s[8:9]
	global_load_b32 v6, v0, s[0:1]
	global_load_b64 v[4:5], v0, s[0:1] offset:8
	s_waitcnt vmcnt(1)
	v_add_co_u32 v2, vcc_lo, v2, v6
	v_add_co_ci_u32_e32 v3, vcc_lo, 0, v3, vcc_lo
	global_store_b64 v0, v[2:3], s[8:9]
	s_waitcnt vmcnt(0)
	global_store_b64 v0, v[4:5], s[10:11]
.LBB1161_6:
	s_or_b32 exec_lo, exec_lo, s5
	s_mov_b32 s2, 0
.LBB1161_7:
	s_delay_alu instid0(VALU_DEP_1)
	v_cmp_eq_u32_e64 s0, 0, v1
	s_and_not1_b32 vcc_lo, exec_lo, s2
	s_cbranch_vccnz .LBB1161_11
; %bb.8:
	s_cmp_lg_u64 s[8:9], 0
	s_cselect_b32 s1, -1, 0
	s_delay_alu instid0(SALU_CYCLE_1) | instskip(NEXT) | instid1(SALU_CYCLE_1)
	s_and_b32 s1, s1, s0
	s_and_saveexec_b32 s0, s1
	s_cbranch_execz .LBB1161_10
; %bb.9:
	v_mov_b32_e32 v2, 0
	s_delay_alu instid0(VALU_DEP_1)
	v_mov_b32_e32 v3, v2
	global_store_b64 v2, v[2:3], s[8:9]
.LBB1161_10:
	s_or_b32 exec_lo, exec_lo, s0
.LBB1161_11:
	s_delay_alu instid0(SALU_CYCLE_1)
	s_mov_b32 s0, exec_lo
	v_cmpx_eq_u32_e32 0, v1
	s_cbranch_execz .LBB1161_13
; %bb.12:
	v_mov_b32_e32 v0, 0
	global_store_b32 v0, v0, s[16:17]
.LBB1161_13:
	s_or_b32 exec_lo, exec_lo, s0
	s_delay_alu instid0(SALU_CYCLE_1)
	s_mov_b32 s0, exec_lo
	v_cmpx_gt_u32_e64 s4, v1
	s_cbranch_execz .LBB1161_15
; %bb.14:
	v_add_nc_u32_e32 v0, 32, v1
	v_mov_b32_e32 v2, 0
	global_store_b8 v0, v2, s[12:13]
.LBB1161_15:
	s_or_b32 exec_lo, exec_lo, s0
	s_delay_alu instid0(SALU_CYCLE_1)
	s_mov_b32 s0, exec_lo
	v_cmpx_gt_u32_e32 32, v1
	s_cbranch_execz .LBB1161_17
; %bb.16:
	v_mov_b32_e32 v0, 0xff
	global_store_b8 v1, v0, s[12:13]
.LBB1161_17:
	s_nop 0
	s_sendmsg sendmsg(MSG_DEALLOC_VGPRS)
	s_endpgm
	.section	.rodata,"a",@progbits
	.p2align	6, 0x0
	.amdhsa_kernel _ZN7rocprim17ROCPRIM_400000_NS6detail25reduce_by_key_init_kernelINS1_19lookback_scan_stateINS0_5tupleIJjlEEELb0ELb0EEElNS1_16block_id_wrapperIjLb1EEEEEvT_jbjPmPT0_T1_
		.amdhsa_group_segment_fixed_size 0
		.amdhsa_private_segment_fixed_size 0
		.amdhsa_kernarg_size 320
		.amdhsa_user_sgpr_count 15
		.amdhsa_user_sgpr_dispatch_ptr 0
		.amdhsa_user_sgpr_queue_ptr 0
		.amdhsa_user_sgpr_kernarg_segment_ptr 1
		.amdhsa_user_sgpr_dispatch_id 0
		.amdhsa_user_sgpr_private_segment_size 0
		.amdhsa_wavefront_size32 1
		.amdhsa_uses_dynamic_stack 0
		.amdhsa_enable_private_segment 0
		.amdhsa_system_sgpr_workgroup_id_x 1
		.amdhsa_system_sgpr_workgroup_id_y 0
		.amdhsa_system_sgpr_workgroup_id_z 0
		.amdhsa_system_sgpr_workgroup_info 0
		.amdhsa_system_vgpr_workitem_id 0
		.amdhsa_next_free_vgpr 7
		.amdhsa_next_free_sgpr 19
		.amdhsa_reserve_vcc 1
		.amdhsa_float_round_mode_32 0
		.amdhsa_float_round_mode_16_64 0
		.amdhsa_float_denorm_mode_32 3
		.amdhsa_float_denorm_mode_16_64 3
		.amdhsa_dx10_clamp 1
		.amdhsa_ieee_mode 1
		.amdhsa_fp16_overflow 0
		.amdhsa_workgroup_processor_mode 1
		.amdhsa_memory_ordered 1
		.amdhsa_forward_progress 0
		.amdhsa_shared_vgpr_count 0
		.amdhsa_exception_fp_ieee_invalid_op 0
		.amdhsa_exception_fp_denorm_src 0
		.amdhsa_exception_fp_ieee_div_zero 0
		.amdhsa_exception_fp_ieee_overflow 0
		.amdhsa_exception_fp_ieee_underflow 0
		.amdhsa_exception_fp_ieee_inexact 0
		.amdhsa_exception_int_div_zero 0
	.end_amdhsa_kernel
	.section	.text._ZN7rocprim17ROCPRIM_400000_NS6detail25reduce_by_key_init_kernelINS1_19lookback_scan_stateINS0_5tupleIJjlEEELb0ELb0EEElNS1_16block_id_wrapperIjLb1EEEEEvT_jbjPmPT0_T1_,"axG",@progbits,_ZN7rocprim17ROCPRIM_400000_NS6detail25reduce_by_key_init_kernelINS1_19lookback_scan_stateINS0_5tupleIJjlEEELb0ELb0EEElNS1_16block_id_wrapperIjLb1EEEEEvT_jbjPmPT0_T1_,comdat
.Lfunc_end1161:
	.size	_ZN7rocprim17ROCPRIM_400000_NS6detail25reduce_by_key_init_kernelINS1_19lookback_scan_stateINS0_5tupleIJjlEEELb0ELb0EEElNS1_16block_id_wrapperIjLb1EEEEEvT_jbjPmPT0_T1_, .Lfunc_end1161-_ZN7rocprim17ROCPRIM_400000_NS6detail25reduce_by_key_init_kernelINS1_19lookback_scan_stateINS0_5tupleIJjlEEELb0ELb0EEElNS1_16block_id_wrapperIjLb1EEEEEvT_jbjPmPT0_T1_
                                        ; -- End function
	.section	.AMDGPU.csdata,"",@progbits
; Kernel info:
; codeLenInByte = 504
; NumSgprs: 21
; NumVgprs: 7
; ScratchSize: 0
; MemoryBound: 0
; FloatMode: 240
; IeeeMode: 1
; LDSByteSize: 0 bytes/workgroup (compile time only)
; SGPRBlocks: 2
; VGPRBlocks: 0
; NumSGPRsForWavesPerEU: 21
; NumVGPRsForWavesPerEU: 7
; Occupancy: 16
; WaveLimiterHint : 0
; COMPUTE_PGM_RSRC2:SCRATCH_EN: 0
; COMPUTE_PGM_RSRC2:USER_SGPR: 15
; COMPUTE_PGM_RSRC2:TRAP_HANDLER: 0
; COMPUTE_PGM_RSRC2:TGID_X_EN: 1
; COMPUTE_PGM_RSRC2:TGID_Y_EN: 0
; COMPUTE_PGM_RSRC2:TGID_Z_EN: 0
; COMPUTE_PGM_RSRC2:TIDIG_COMP_CNT: 0
	.section	.text._ZN7rocprim17ROCPRIM_400000_NS6detail17trampoline_kernelINS0_14default_configENS1_29reduce_by_key_config_selectorIllN6thrust23THRUST_200600_302600_NS4plusIlEEEEZZNS1_33reduce_by_key_impl_wrapped_configILNS1_25lookback_scan_determinismE0ES3_S9_NS6_18transform_iteratorI6div_opNS6_17counting_iteratorIlNS6_11use_defaultESF_SF_EESF_SF_EENSC_I6mod_opSG_SF_SF_EENS6_6detail15normal_iteratorINS6_10device_ptrIlEEEESO_PmS8_NS6_8equal_toIlEEEE10hipError_tPvRmT2_T3_mT4_T5_T6_T7_T8_P12ihipStream_tbENKUlT_T0_E_clISt17integral_constantIbLb0EES18_IbLb1EEEEDaS14_S15_EUlS14_E_NS1_11comp_targetILNS1_3genE0ELNS1_11target_archE4294967295ELNS1_3gpuE0ELNS1_3repE0EEENS1_30default_config_static_selectorELNS0_4arch9wavefront6targetE0EEEvT1_,"axG",@progbits,_ZN7rocprim17ROCPRIM_400000_NS6detail17trampoline_kernelINS0_14default_configENS1_29reduce_by_key_config_selectorIllN6thrust23THRUST_200600_302600_NS4plusIlEEEEZZNS1_33reduce_by_key_impl_wrapped_configILNS1_25lookback_scan_determinismE0ES3_S9_NS6_18transform_iteratorI6div_opNS6_17counting_iteratorIlNS6_11use_defaultESF_SF_EESF_SF_EENSC_I6mod_opSG_SF_SF_EENS6_6detail15normal_iteratorINS6_10device_ptrIlEEEESO_PmS8_NS6_8equal_toIlEEEE10hipError_tPvRmT2_T3_mT4_T5_T6_T7_T8_P12ihipStream_tbENKUlT_T0_E_clISt17integral_constantIbLb0EES18_IbLb1EEEEDaS14_S15_EUlS14_E_NS1_11comp_targetILNS1_3genE0ELNS1_11target_archE4294967295ELNS1_3gpuE0ELNS1_3repE0EEENS1_30default_config_static_selectorELNS0_4arch9wavefront6targetE0EEEvT1_,comdat
	.protected	_ZN7rocprim17ROCPRIM_400000_NS6detail17trampoline_kernelINS0_14default_configENS1_29reduce_by_key_config_selectorIllN6thrust23THRUST_200600_302600_NS4plusIlEEEEZZNS1_33reduce_by_key_impl_wrapped_configILNS1_25lookback_scan_determinismE0ES3_S9_NS6_18transform_iteratorI6div_opNS6_17counting_iteratorIlNS6_11use_defaultESF_SF_EESF_SF_EENSC_I6mod_opSG_SF_SF_EENS6_6detail15normal_iteratorINS6_10device_ptrIlEEEESO_PmS8_NS6_8equal_toIlEEEE10hipError_tPvRmT2_T3_mT4_T5_T6_T7_T8_P12ihipStream_tbENKUlT_T0_E_clISt17integral_constantIbLb0EES18_IbLb1EEEEDaS14_S15_EUlS14_E_NS1_11comp_targetILNS1_3genE0ELNS1_11target_archE4294967295ELNS1_3gpuE0ELNS1_3repE0EEENS1_30default_config_static_selectorELNS0_4arch9wavefront6targetE0EEEvT1_ ; -- Begin function _ZN7rocprim17ROCPRIM_400000_NS6detail17trampoline_kernelINS0_14default_configENS1_29reduce_by_key_config_selectorIllN6thrust23THRUST_200600_302600_NS4plusIlEEEEZZNS1_33reduce_by_key_impl_wrapped_configILNS1_25lookback_scan_determinismE0ES3_S9_NS6_18transform_iteratorI6div_opNS6_17counting_iteratorIlNS6_11use_defaultESF_SF_EESF_SF_EENSC_I6mod_opSG_SF_SF_EENS6_6detail15normal_iteratorINS6_10device_ptrIlEEEESO_PmS8_NS6_8equal_toIlEEEE10hipError_tPvRmT2_T3_mT4_T5_T6_T7_T8_P12ihipStream_tbENKUlT_T0_E_clISt17integral_constantIbLb0EES18_IbLb1EEEEDaS14_S15_EUlS14_E_NS1_11comp_targetILNS1_3genE0ELNS1_11target_archE4294967295ELNS1_3gpuE0ELNS1_3repE0EEENS1_30default_config_static_selectorELNS0_4arch9wavefront6targetE0EEEvT1_
	.globl	_ZN7rocprim17ROCPRIM_400000_NS6detail17trampoline_kernelINS0_14default_configENS1_29reduce_by_key_config_selectorIllN6thrust23THRUST_200600_302600_NS4plusIlEEEEZZNS1_33reduce_by_key_impl_wrapped_configILNS1_25lookback_scan_determinismE0ES3_S9_NS6_18transform_iteratorI6div_opNS6_17counting_iteratorIlNS6_11use_defaultESF_SF_EESF_SF_EENSC_I6mod_opSG_SF_SF_EENS6_6detail15normal_iteratorINS6_10device_ptrIlEEEESO_PmS8_NS6_8equal_toIlEEEE10hipError_tPvRmT2_T3_mT4_T5_T6_T7_T8_P12ihipStream_tbENKUlT_T0_E_clISt17integral_constantIbLb0EES18_IbLb1EEEEDaS14_S15_EUlS14_E_NS1_11comp_targetILNS1_3genE0ELNS1_11target_archE4294967295ELNS1_3gpuE0ELNS1_3repE0EEENS1_30default_config_static_selectorELNS0_4arch9wavefront6targetE0EEEvT1_
	.p2align	8
	.type	_ZN7rocprim17ROCPRIM_400000_NS6detail17trampoline_kernelINS0_14default_configENS1_29reduce_by_key_config_selectorIllN6thrust23THRUST_200600_302600_NS4plusIlEEEEZZNS1_33reduce_by_key_impl_wrapped_configILNS1_25lookback_scan_determinismE0ES3_S9_NS6_18transform_iteratorI6div_opNS6_17counting_iteratorIlNS6_11use_defaultESF_SF_EESF_SF_EENSC_I6mod_opSG_SF_SF_EENS6_6detail15normal_iteratorINS6_10device_ptrIlEEEESO_PmS8_NS6_8equal_toIlEEEE10hipError_tPvRmT2_T3_mT4_T5_T6_T7_T8_P12ihipStream_tbENKUlT_T0_E_clISt17integral_constantIbLb0EES18_IbLb1EEEEDaS14_S15_EUlS14_E_NS1_11comp_targetILNS1_3genE0ELNS1_11target_archE4294967295ELNS1_3gpuE0ELNS1_3repE0EEENS1_30default_config_static_selectorELNS0_4arch9wavefront6targetE0EEEvT1_,@function
_ZN7rocprim17ROCPRIM_400000_NS6detail17trampoline_kernelINS0_14default_configENS1_29reduce_by_key_config_selectorIllN6thrust23THRUST_200600_302600_NS4plusIlEEEEZZNS1_33reduce_by_key_impl_wrapped_configILNS1_25lookback_scan_determinismE0ES3_S9_NS6_18transform_iteratorI6div_opNS6_17counting_iteratorIlNS6_11use_defaultESF_SF_EESF_SF_EENSC_I6mod_opSG_SF_SF_EENS6_6detail15normal_iteratorINS6_10device_ptrIlEEEESO_PmS8_NS6_8equal_toIlEEEE10hipError_tPvRmT2_T3_mT4_T5_T6_T7_T8_P12ihipStream_tbENKUlT_T0_E_clISt17integral_constantIbLb0EES18_IbLb1EEEEDaS14_S15_EUlS14_E_NS1_11comp_targetILNS1_3genE0ELNS1_11target_archE4294967295ELNS1_3gpuE0ELNS1_3repE0EEENS1_30default_config_static_selectorELNS0_4arch9wavefront6targetE0EEEvT1_: ; @_ZN7rocprim17ROCPRIM_400000_NS6detail17trampoline_kernelINS0_14default_configENS1_29reduce_by_key_config_selectorIllN6thrust23THRUST_200600_302600_NS4plusIlEEEEZZNS1_33reduce_by_key_impl_wrapped_configILNS1_25lookback_scan_determinismE0ES3_S9_NS6_18transform_iteratorI6div_opNS6_17counting_iteratorIlNS6_11use_defaultESF_SF_EESF_SF_EENSC_I6mod_opSG_SF_SF_EENS6_6detail15normal_iteratorINS6_10device_ptrIlEEEESO_PmS8_NS6_8equal_toIlEEEE10hipError_tPvRmT2_T3_mT4_T5_T6_T7_T8_P12ihipStream_tbENKUlT_T0_E_clISt17integral_constantIbLb0EES18_IbLb1EEEEDaS14_S15_EUlS14_E_NS1_11comp_targetILNS1_3genE0ELNS1_11target_archE4294967295ELNS1_3gpuE0ELNS1_3repE0EEENS1_30default_config_static_selectorELNS0_4arch9wavefront6targetE0EEEvT1_
; %bb.0:
	.section	.rodata,"a",@progbits
	.p2align	6, 0x0
	.amdhsa_kernel _ZN7rocprim17ROCPRIM_400000_NS6detail17trampoline_kernelINS0_14default_configENS1_29reduce_by_key_config_selectorIllN6thrust23THRUST_200600_302600_NS4plusIlEEEEZZNS1_33reduce_by_key_impl_wrapped_configILNS1_25lookback_scan_determinismE0ES3_S9_NS6_18transform_iteratorI6div_opNS6_17counting_iteratorIlNS6_11use_defaultESF_SF_EESF_SF_EENSC_I6mod_opSG_SF_SF_EENS6_6detail15normal_iteratorINS6_10device_ptrIlEEEESO_PmS8_NS6_8equal_toIlEEEE10hipError_tPvRmT2_T3_mT4_T5_T6_T7_T8_P12ihipStream_tbENKUlT_T0_E_clISt17integral_constantIbLb0EES18_IbLb1EEEEDaS14_S15_EUlS14_E_NS1_11comp_targetILNS1_3genE0ELNS1_11target_archE4294967295ELNS1_3gpuE0ELNS1_3repE0EEENS1_30default_config_static_selectorELNS0_4arch9wavefront6targetE0EEEvT1_
		.amdhsa_group_segment_fixed_size 0
		.amdhsa_private_segment_fixed_size 0
		.amdhsa_kernarg_size 152
		.amdhsa_user_sgpr_count 15
		.amdhsa_user_sgpr_dispatch_ptr 0
		.amdhsa_user_sgpr_queue_ptr 0
		.amdhsa_user_sgpr_kernarg_segment_ptr 1
		.amdhsa_user_sgpr_dispatch_id 0
		.amdhsa_user_sgpr_private_segment_size 0
		.amdhsa_wavefront_size32 1
		.amdhsa_uses_dynamic_stack 0
		.amdhsa_enable_private_segment 0
		.amdhsa_system_sgpr_workgroup_id_x 1
		.amdhsa_system_sgpr_workgroup_id_y 0
		.amdhsa_system_sgpr_workgroup_id_z 0
		.amdhsa_system_sgpr_workgroup_info 0
		.amdhsa_system_vgpr_workitem_id 0
		.amdhsa_next_free_vgpr 1
		.amdhsa_next_free_sgpr 1
		.amdhsa_reserve_vcc 0
		.amdhsa_float_round_mode_32 0
		.amdhsa_float_round_mode_16_64 0
		.amdhsa_float_denorm_mode_32 3
		.amdhsa_float_denorm_mode_16_64 3
		.amdhsa_dx10_clamp 1
		.amdhsa_ieee_mode 1
		.amdhsa_fp16_overflow 0
		.amdhsa_workgroup_processor_mode 1
		.amdhsa_memory_ordered 1
		.amdhsa_forward_progress 0
		.amdhsa_shared_vgpr_count 0
		.amdhsa_exception_fp_ieee_invalid_op 0
		.amdhsa_exception_fp_denorm_src 0
		.amdhsa_exception_fp_ieee_div_zero 0
		.amdhsa_exception_fp_ieee_overflow 0
		.amdhsa_exception_fp_ieee_underflow 0
		.amdhsa_exception_fp_ieee_inexact 0
		.amdhsa_exception_int_div_zero 0
	.end_amdhsa_kernel
	.section	.text._ZN7rocprim17ROCPRIM_400000_NS6detail17trampoline_kernelINS0_14default_configENS1_29reduce_by_key_config_selectorIllN6thrust23THRUST_200600_302600_NS4plusIlEEEEZZNS1_33reduce_by_key_impl_wrapped_configILNS1_25lookback_scan_determinismE0ES3_S9_NS6_18transform_iteratorI6div_opNS6_17counting_iteratorIlNS6_11use_defaultESF_SF_EESF_SF_EENSC_I6mod_opSG_SF_SF_EENS6_6detail15normal_iteratorINS6_10device_ptrIlEEEESO_PmS8_NS6_8equal_toIlEEEE10hipError_tPvRmT2_T3_mT4_T5_T6_T7_T8_P12ihipStream_tbENKUlT_T0_E_clISt17integral_constantIbLb0EES18_IbLb1EEEEDaS14_S15_EUlS14_E_NS1_11comp_targetILNS1_3genE0ELNS1_11target_archE4294967295ELNS1_3gpuE0ELNS1_3repE0EEENS1_30default_config_static_selectorELNS0_4arch9wavefront6targetE0EEEvT1_,"axG",@progbits,_ZN7rocprim17ROCPRIM_400000_NS6detail17trampoline_kernelINS0_14default_configENS1_29reduce_by_key_config_selectorIllN6thrust23THRUST_200600_302600_NS4plusIlEEEEZZNS1_33reduce_by_key_impl_wrapped_configILNS1_25lookback_scan_determinismE0ES3_S9_NS6_18transform_iteratorI6div_opNS6_17counting_iteratorIlNS6_11use_defaultESF_SF_EESF_SF_EENSC_I6mod_opSG_SF_SF_EENS6_6detail15normal_iteratorINS6_10device_ptrIlEEEESO_PmS8_NS6_8equal_toIlEEEE10hipError_tPvRmT2_T3_mT4_T5_T6_T7_T8_P12ihipStream_tbENKUlT_T0_E_clISt17integral_constantIbLb0EES18_IbLb1EEEEDaS14_S15_EUlS14_E_NS1_11comp_targetILNS1_3genE0ELNS1_11target_archE4294967295ELNS1_3gpuE0ELNS1_3repE0EEENS1_30default_config_static_selectorELNS0_4arch9wavefront6targetE0EEEvT1_,comdat
.Lfunc_end1162:
	.size	_ZN7rocprim17ROCPRIM_400000_NS6detail17trampoline_kernelINS0_14default_configENS1_29reduce_by_key_config_selectorIllN6thrust23THRUST_200600_302600_NS4plusIlEEEEZZNS1_33reduce_by_key_impl_wrapped_configILNS1_25lookback_scan_determinismE0ES3_S9_NS6_18transform_iteratorI6div_opNS6_17counting_iteratorIlNS6_11use_defaultESF_SF_EESF_SF_EENSC_I6mod_opSG_SF_SF_EENS6_6detail15normal_iteratorINS6_10device_ptrIlEEEESO_PmS8_NS6_8equal_toIlEEEE10hipError_tPvRmT2_T3_mT4_T5_T6_T7_T8_P12ihipStream_tbENKUlT_T0_E_clISt17integral_constantIbLb0EES18_IbLb1EEEEDaS14_S15_EUlS14_E_NS1_11comp_targetILNS1_3genE0ELNS1_11target_archE4294967295ELNS1_3gpuE0ELNS1_3repE0EEENS1_30default_config_static_selectorELNS0_4arch9wavefront6targetE0EEEvT1_, .Lfunc_end1162-_ZN7rocprim17ROCPRIM_400000_NS6detail17trampoline_kernelINS0_14default_configENS1_29reduce_by_key_config_selectorIllN6thrust23THRUST_200600_302600_NS4plusIlEEEEZZNS1_33reduce_by_key_impl_wrapped_configILNS1_25lookback_scan_determinismE0ES3_S9_NS6_18transform_iteratorI6div_opNS6_17counting_iteratorIlNS6_11use_defaultESF_SF_EESF_SF_EENSC_I6mod_opSG_SF_SF_EENS6_6detail15normal_iteratorINS6_10device_ptrIlEEEESO_PmS8_NS6_8equal_toIlEEEE10hipError_tPvRmT2_T3_mT4_T5_T6_T7_T8_P12ihipStream_tbENKUlT_T0_E_clISt17integral_constantIbLb0EES18_IbLb1EEEEDaS14_S15_EUlS14_E_NS1_11comp_targetILNS1_3genE0ELNS1_11target_archE4294967295ELNS1_3gpuE0ELNS1_3repE0EEENS1_30default_config_static_selectorELNS0_4arch9wavefront6targetE0EEEvT1_
                                        ; -- End function
	.section	.AMDGPU.csdata,"",@progbits
; Kernel info:
; codeLenInByte = 0
; NumSgprs: 0
; NumVgprs: 0
; ScratchSize: 0
; MemoryBound: 0
; FloatMode: 240
; IeeeMode: 1
; LDSByteSize: 0 bytes/workgroup (compile time only)
; SGPRBlocks: 0
; VGPRBlocks: 0
; NumSGPRsForWavesPerEU: 1
; NumVGPRsForWavesPerEU: 1
; Occupancy: 16
; WaveLimiterHint : 0
; COMPUTE_PGM_RSRC2:SCRATCH_EN: 0
; COMPUTE_PGM_RSRC2:USER_SGPR: 15
; COMPUTE_PGM_RSRC2:TRAP_HANDLER: 0
; COMPUTE_PGM_RSRC2:TGID_X_EN: 1
; COMPUTE_PGM_RSRC2:TGID_Y_EN: 0
; COMPUTE_PGM_RSRC2:TGID_Z_EN: 0
; COMPUTE_PGM_RSRC2:TIDIG_COMP_CNT: 0
	.section	.text._ZN7rocprim17ROCPRIM_400000_NS6detail17trampoline_kernelINS0_14default_configENS1_29reduce_by_key_config_selectorIllN6thrust23THRUST_200600_302600_NS4plusIlEEEEZZNS1_33reduce_by_key_impl_wrapped_configILNS1_25lookback_scan_determinismE0ES3_S9_NS6_18transform_iteratorI6div_opNS6_17counting_iteratorIlNS6_11use_defaultESF_SF_EESF_SF_EENSC_I6mod_opSG_SF_SF_EENS6_6detail15normal_iteratorINS6_10device_ptrIlEEEESO_PmS8_NS6_8equal_toIlEEEE10hipError_tPvRmT2_T3_mT4_T5_T6_T7_T8_P12ihipStream_tbENKUlT_T0_E_clISt17integral_constantIbLb0EES18_IbLb1EEEEDaS14_S15_EUlS14_E_NS1_11comp_targetILNS1_3genE5ELNS1_11target_archE942ELNS1_3gpuE9ELNS1_3repE0EEENS1_30default_config_static_selectorELNS0_4arch9wavefront6targetE0EEEvT1_,"axG",@progbits,_ZN7rocprim17ROCPRIM_400000_NS6detail17trampoline_kernelINS0_14default_configENS1_29reduce_by_key_config_selectorIllN6thrust23THRUST_200600_302600_NS4plusIlEEEEZZNS1_33reduce_by_key_impl_wrapped_configILNS1_25lookback_scan_determinismE0ES3_S9_NS6_18transform_iteratorI6div_opNS6_17counting_iteratorIlNS6_11use_defaultESF_SF_EESF_SF_EENSC_I6mod_opSG_SF_SF_EENS6_6detail15normal_iteratorINS6_10device_ptrIlEEEESO_PmS8_NS6_8equal_toIlEEEE10hipError_tPvRmT2_T3_mT4_T5_T6_T7_T8_P12ihipStream_tbENKUlT_T0_E_clISt17integral_constantIbLb0EES18_IbLb1EEEEDaS14_S15_EUlS14_E_NS1_11comp_targetILNS1_3genE5ELNS1_11target_archE942ELNS1_3gpuE9ELNS1_3repE0EEENS1_30default_config_static_selectorELNS0_4arch9wavefront6targetE0EEEvT1_,comdat
	.protected	_ZN7rocprim17ROCPRIM_400000_NS6detail17trampoline_kernelINS0_14default_configENS1_29reduce_by_key_config_selectorIllN6thrust23THRUST_200600_302600_NS4plusIlEEEEZZNS1_33reduce_by_key_impl_wrapped_configILNS1_25lookback_scan_determinismE0ES3_S9_NS6_18transform_iteratorI6div_opNS6_17counting_iteratorIlNS6_11use_defaultESF_SF_EESF_SF_EENSC_I6mod_opSG_SF_SF_EENS6_6detail15normal_iteratorINS6_10device_ptrIlEEEESO_PmS8_NS6_8equal_toIlEEEE10hipError_tPvRmT2_T3_mT4_T5_T6_T7_T8_P12ihipStream_tbENKUlT_T0_E_clISt17integral_constantIbLb0EES18_IbLb1EEEEDaS14_S15_EUlS14_E_NS1_11comp_targetILNS1_3genE5ELNS1_11target_archE942ELNS1_3gpuE9ELNS1_3repE0EEENS1_30default_config_static_selectorELNS0_4arch9wavefront6targetE0EEEvT1_ ; -- Begin function _ZN7rocprim17ROCPRIM_400000_NS6detail17trampoline_kernelINS0_14default_configENS1_29reduce_by_key_config_selectorIllN6thrust23THRUST_200600_302600_NS4plusIlEEEEZZNS1_33reduce_by_key_impl_wrapped_configILNS1_25lookback_scan_determinismE0ES3_S9_NS6_18transform_iteratorI6div_opNS6_17counting_iteratorIlNS6_11use_defaultESF_SF_EESF_SF_EENSC_I6mod_opSG_SF_SF_EENS6_6detail15normal_iteratorINS6_10device_ptrIlEEEESO_PmS8_NS6_8equal_toIlEEEE10hipError_tPvRmT2_T3_mT4_T5_T6_T7_T8_P12ihipStream_tbENKUlT_T0_E_clISt17integral_constantIbLb0EES18_IbLb1EEEEDaS14_S15_EUlS14_E_NS1_11comp_targetILNS1_3genE5ELNS1_11target_archE942ELNS1_3gpuE9ELNS1_3repE0EEENS1_30default_config_static_selectorELNS0_4arch9wavefront6targetE0EEEvT1_
	.globl	_ZN7rocprim17ROCPRIM_400000_NS6detail17trampoline_kernelINS0_14default_configENS1_29reduce_by_key_config_selectorIllN6thrust23THRUST_200600_302600_NS4plusIlEEEEZZNS1_33reduce_by_key_impl_wrapped_configILNS1_25lookback_scan_determinismE0ES3_S9_NS6_18transform_iteratorI6div_opNS6_17counting_iteratorIlNS6_11use_defaultESF_SF_EESF_SF_EENSC_I6mod_opSG_SF_SF_EENS6_6detail15normal_iteratorINS6_10device_ptrIlEEEESO_PmS8_NS6_8equal_toIlEEEE10hipError_tPvRmT2_T3_mT4_T5_T6_T7_T8_P12ihipStream_tbENKUlT_T0_E_clISt17integral_constantIbLb0EES18_IbLb1EEEEDaS14_S15_EUlS14_E_NS1_11comp_targetILNS1_3genE5ELNS1_11target_archE942ELNS1_3gpuE9ELNS1_3repE0EEENS1_30default_config_static_selectorELNS0_4arch9wavefront6targetE0EEEvT1_
	.p2align	8
	.type	_ZN7rocprim17ROCPRIM_400000_NS6detail17trampoline_kernelINS0_14default_configENS1_29reduce_by_key_config_selectorIllN6thrust23THRUST_200600_302600_NS4plusIlEEEEZZNS1_33reduce_by_key_impl_wrapped_configILNS1_25lookback_scan_determinismE0ES3_S9_NS6_18transform_iteratorI6div_opNS6_17counting_iteratorIlNS6_11use_defaultESF_SF_EESF_SF_EENSC_I6mod_opSG_SF_SF_EENS6_6detail15normal_iteratorINS6_10device_ptrIlEEEESO_PmS8_NS6_8equal_toIlEEEE10hipError_tPvRmT2_T3_mT4_T5_T6_T7_T8_P12ihipStream_tbENKUlT_T0_E_clISt17integral_constantIbLb0EES18_IbLb1EEEEDaS14_S15_EUlS14_E_NS1_11comp_targetILNS1_3genE5ELNS1_11target_archE942ELNS1_3gpuE9ELNS1_3repE0EEENS1_30default_config_static_selectorELNS0_4arch9wavefront6targetE0EEEvT1_,@function
_ZN7rocprim17ROCPRIM_400000_NS6detail17trampoline_kernelINS0_14default_configENS1_29reduce_by_key_config_selectorIllN6thrust23THRUST_200600_302600_NS4plusIlEEEEZZNS1_33reduce_by_key_impl_wrapped_configILNS1_25lookback_scan_determinismE0ES3_S9_NS6_18transform_iteratorI6div_opNS6_17counting_iteratorIlNS6_11use_defaultESF_SF_EESF_SF_EENSC_I6mod_opSG_SF_SF_EENS6_6detail15normal_iteratorINS6_10device_ptrIlEEEESO_PmS8_NS6_8equal_toIlEEEE10hipError_tPvRmT2_T3_mT4_T5_T6_T7_T8_P12ihipStream_tbENKUlT_T0_E_clISt17integral_constantIbLb0EES18_IbLb1EEEEDaS14_S15_EUlS14_E_NS1_11comp_targetILNS1_3genE5ELNS1_11target_archE942ELNS1_3gpuE9ELNS1_3repE0EEENS1_30default_config_static_selectorELNS0_4arch9wavefront6targetE0EEEvT1_: ; @_ZN7rocprim17ROCPRIM_400000_NS6detail17trampoline_kernelINS0_14default_configENS1_29reduce_by_key_config_selectorIllN6thrust23THRUST_200600_302600_NS4plusIlEEEEZZNS1_33reduce_by_key_impl_wrapped_configILNS1_25lookback_scan_determinismE0ES3_S9_NS6_18transform_iteratorI6div_opNS6_17counting_iteratorIlNS6_11use_defaultESF_SF_EESF_SF_EENSC_I6mod_opSG_SF_SF_EENS6_6detail15normal_iteratorINS6_10device_ptrIlEEEESO_PmS8_NS6_8equal_toIlEEEE10hipError_tPvRmT2_T3_mT4_T5_T6_T7_T8_P12ihipStream_tbENKUlT_T0_E_clISt17integral_constantIbLb0EES18_IbLb1EEEEDaS14_S15_EUlS14_E_NS1_11comp_targetILNS1_3genE5ELNS1_11target_archE942ELNS1_3gpuE9ELNS1_3repE0EEENS1_30default_config_static_selectorELNS0_4arch9wavefront6targetE0EEEvT1_
; %bb.0:
	.section	.rodata,"a",@progbits
	.p2align	6, 0x0
	.amdhsa_kernel _ZN7rocprim17ROCPRIM_400000_NS6detail17trampoline_kernelINS0_14default_configENS1_29reduce_by_key_config_selectorIllN6thrust23THRUST_200600_302600_NS4plusIlEEEEZZNS1_33reduce_by_key_impl_wrapped_configILNS1_25lookback_scan_determinismE0ES3_S9_NS6_18transform_iteratorI6div_opNS6_17counting_iteratorIlNS6_11use_defaultESF_SF_EESF_SF_EENSC_I6mod_opSG_SF_SF_EENS6_6detail15normal_iteratorINS6_10device_ptrIlEEEESO_PmS8_NS6_8equal_toIlEEEE10hipError_tPvRmT2_T3_mT4_T5_T6_T7_T8_P12ihipStream_tbENKUlT_T0_E_clISt17integral_constantIbLb0EES18_IbLb1EEEEDaS14_S15_EUlS14_E_NS1_11comp_targetILNS1_3genE5ELNS1_11target_archE942ELNS1_3gpuE9ELNS1_3repE0EEENS1_30default_config_static_selectorELNS0_4arch9wavefront6targetE0EEEvT1_
		.amdhsa_group_segment_fixed_size 0
		.amdhsa_private_segment_fixed_size 0
		.amdhsa_kernarg_size 152
		.amdhsa_user_sgpr_count 15
		.amdhsa_user_sgpr_dispatch_ptr 0
		.amdhsa_user_sgpr_queue_ptr 0
		.amdhsa_user_sgpr_kernarg_segment_ptr 1
		.amdhsa_user_sgpr_dispatch_id 0
		.amdhsa_user_sgpr_private_segment_size 0
		.amdhsa_wavefront_size32 1
		.amdhsa_uses_dynamic_stack 0
		.amdhsa_enable_private_segment 0
		.amdhsa_system_sgpr_workgroup_id_x 1
		.amdhsa_system_sgpr_workgroup_id_y 0
		.amdhsa_system_sgpr_workgroup_id_z 0
		.amdhsa_system_sgpr_workgroup_info 0
		.amdhsa_system_vgpr_workitem_id 0
		.amdhsa_next_free_vgpr 1
		.amdhsa_next_free_sgpr 1
		.amdhsa_reserve_vcc 0
		.amdhsa_float_round_mode_32 0
		.amdhsa_float_round_mode_16_64 0
		.amdhsa_float_denorm_mode_32 3
		.amdhsa_float_denorm_mode_16_64 3
		.amdhsa_dx10_clamp 1
		.amdhsa_ieee_mode 1
		.amdhsa_fp16_overflow 0
		.amdhsa_workgroup_processor_mode 1
		.amdhsa_memory_ordered 1
		.amdhsa_forward_progress 0
		.amdhsa_shared_vgpr_count 0
		.amdhsa_exception_fp_ieee_invalid_op 0
		.amdhsa_exception_fp_denorm_src 0
		.amdhsa_exception_fp_ieee_div_zero 0
		.amdhsa_exception_fp_ieee_overflow 0
		.amdhsa_exception_fp_ieee_underflow 0
		.amdhsa_exception_fp_ieee_inexact 0
		.amdhsa_exception_int_div_zero 0
	.end_amdhsa_kernel
	.section	.text._ZN7rocprim17ROCPRIM_400000_NS6detail17trampoline_kernelINS0_14default_configENS1_29reduce_by_key_config_selectorIllN6thrust23THRUST_200600_302600_NS4plusIlEEEEZZNS1_33reduce_by_key_impl_wrapped_configILNS1_25lookback_scan_determinismE0ES3_S9_NS6_18transform_iteratorI6div_opNS6_17counting_iteratorIlNS6_11use_defaultESF_SF_EESF_SF_EENSC_I6mod_opSG_SF_SF_EENS6_6detail15normal_iteratorINS6_10device_ptrIlEEEESO_PmS8_NS6_8equal_toIlEEEE10hipError_tPvRmT2_T3_mT4_T5_T6_T7_T8_P12ihipStream_tbENKUlT_T0_E_clISt17integral_constantIbLb0EES18_IbLb1EEEEDaS14_S15_EUlS14_E_NS1_11comp_targetILNS1_3genE5ELNS1_11target_archE942ELNS1_3gpuE9ELNS1_3repE0EEENS1_30default_config_static_selectorELNS0_4arch9wavefront6targetE0EEEvT1_,"axG",@progbits,_ZN7rocprim17ROCPRIM_400000_NS6detail17trampoline_kernelINS0_14default_configENS1_29reduce_by_key_config_selectorIllN6thrust23THRUST_200600_302600_NS4plusIlEEEEZZNS1_33reduce_by_key_impl_wrapped_configILNS1_25lookback_scan_determinismE0ES3_S9_NS6_18transform_iteratorI6div_opNS6_17counting_iteratorIlNS6_11use_defaultESF_SF_EESF_SF_EENSC_I6mod_opSG_SF_SF_EENS6_6detail15normal_iteratorINS6_10device_ptrIlEEEESO_PmS8_NS6_8equal_toIlEEEE10hipError_tPvRmT2_T3_mT4_T5_T6_T7_T8_P12ihipStream_tbENKUlT_T0_E_clISt17integral_constantIbLb0EES18_IbLb1EEEEDaS14_S15_EUlS14_E_NS1_11comp_targetILNS1_3genE5ELNS1_11target_archE942ELNS1_3gpuE9ELNS1_3repE0EEENS1_30default_config_static_selectorELNS0_4arch9wavefront6targetE0EEEvT1_,comdat
.Lfunc_end1163:
	.size	_ZN7rocprim17ROCPRIM_400000_NS6detail17trampoline_kernelINS0_14default_configENS1_29reduce_by_key_config_selectorIllN6thrust23THRUST_200600_302600_NS4plusIlEEEEZZNS1_33reduce_by_key_impl_wrapped_configILNS1_25lookback_scan_determinismE0ES3_S9_NS6_18transform_iteratorI6div_opNS6_17counting_iteratorIlNS6_11use_defaultESF_SF_EESF_SF_EENSC_I6mod_opSG_SF_SF_EENS6_6detail15normal_iteratorINS6_10device_ptrIlEEEESO_PmS8_NS6_8equal_toIlEEEE10hipError_tPvRmT2_T3_mT4_T5_T6_T7_T8_P12ihipStream_tbENKUlT_T0_E_clISt17integral_constantIbLb0EES18_IbLb1EEEEDaS14_S15_EUlS14_E_NS1_11comp_targetILNS1_3genE5ELNS1_11target_archE942ELNS1_3gpuE9ELNS1_3repE0EEENS1_30default_config_static_selectorELNS0_4arch9wavefront6targetE0EEEvT1_, .Lfunc_end1163-_ZN7rocprim17ROCPRIM_400000_NS6detail17trampoline_kernelINS0_14default_configENS1_29reduce_by_key_config_selectorIllN6thrust23THRUST_200600_302600_NS4plusIlEEEEZZNS1_33reduce_by_key_impl_wrapped_configILNS1_25lookback_scan_determinismE0ES3_S9_NS6_18transform_iteratorI6div_opNS6_17counting_iteratorIlNS6_11use_defaultESF_SF_EESF_SF_EENSC_I6mod_opSG_SF_SF_EENS6_6detail15normal_iteratorINS6_10device_ptrIlEEEESO_PmS8_NS6_8equal_toIlEEEE10hipError_tPvRmT2_T3_mT4_T5_T6_T7_T8_P12ihipStream_tbENKUlT_T0_E_clISt17integral_constantIbLb0EES18_IbLb1EEEEDaS14_S15_EUlS14_E_NS1_11comp_targetILNS1_3genE5ELNS1_11target_archE942ELNS1_3gpuE9ELNS1_3repE0EEENS1_30default_config_static_selectorELNS0_4arch9wavefront6targetE0EEEvT1_
                                        ; -- End function
	.section	.AMDGPU.csdata,"",@progbits
; Kernel info:
; codeLenInByte = 0
; NumSgprs: 0
; NumVgprs: 0
; ScratchSize: 0
; MemoryBound: 0
; FloatMode: 240
; IeeeMode: 1
; LDSByteSize: 0 bytes/workgroup (compile time only)
; SGPRBlocks: 0
; VGPRBlocks: 0
; NumSGPRsForWavesPerEU: 1
; NumVGPRsForWavesPerEU: 1
; Occupancy: 16
; WaveLimiterHint : 0
; COMPUTE_PGM_RSRC2:SCRATCH_EN: 0
; COMPUTE_PGM_RSRC2:USER_SGPR: 15
; COMPUTE_PGM_RSRC2:TRAP_HANDLER: 0
; COMPUTE_PGM_RSRC2:TGID_X_EN: 1
; COMPUTE_PGM_RSRC2:TGID_Y_EN: 0
; COMPUTE_PGM_RSRC2:TGID_Z_EN: 0
; COMPUTE_PGM_RSRC2:TIDIG_COMP_CNT: 0
	.section	.text._ZN7rocprim17ROCPRIM_400000_NS6detail17trampoline_kernelINS0_14default_configENS1_29reduce_by_key_config_selectorIllN6thrust23THRUST_200600_302600_NS4plusIlEEEEZZNS1_33reduce_by_key_impl_wrapped_configILNS1_25lookback_scan_determinismE0ES3_S9_NS6_18transform_iteratorI6div_opNS6_17counting_iteratorIlNS6_11use_defaultESF_SF_EESF_SF_EENSC_I6mod_opSG_SF_SF_EENS6_6detail15normal_iteratorINS6_10device_ptrIlEEEESO_PmS8_NS6_8equal_toIlEEEE10hipError_tPvRmT2_T3_mT4_T5_T6_T7_T8_P12ihipStream_tbENKUlT_T0_E_clISt17integral_constantIbLb0EES18_IbLb1EEEEDaS14_S15_EUlS14_E_NS1_11comp_targetILNS1_3genE4ELNS1_11target_archE910ELNS1_3gpuE8ELNS1_3repE0EEENS1_30default_config_static_selectorELNS0_4arch9wavefront6targetE0EEEvT1_,"axG",@progbits,_ZN7rocprim17ROCPRIM_400000_NS6detail17trampoline_kernelINS0_14default_configENS1_29reduce_by_key_config_selectorIllN6thrust23THRUST_200600_302600_NS4plusIlEEEEZZNS1_33reduce_by_key_impl_wrapped_configILNS1_25lookback_scan_determinismE0ES3_S9_NS6_18transform_iteratorI6div_opNS6_17counting_iteratorIlNS6_11use_defaultESF_SF_EESF_SF_EENSC_I6mod_opSG_SF_SF_EENS6_6detail15normal_iteratorINS6_10device_ptrIlEEEESO_PmS8_NS6_8equal_toIlEEEE10hipError_tPvRmT2_T3_mT4_T5_T6_T7_T8_P12ihipStream_tbENKUlT_T0_E_clISt17integral_constantIbLb0EES18_IbLb1EEEEDaS14_S15_EUlS14_E_NS1_11comp_targetILNS1_3genE4ELNS1_11target_archE910ELNS1_3gpuE8ELNS1_3repE0EEENS1_30default_config_static_selectorELNS0_4arch9wavefront6targetE0EEEvT1_,comdat
	.protected	_ZN7rocprim17ROCPRIM_400000_NS6detail17trampoline_kernelINS0_14default_configENS1_29reduce_by_key_config_selectorIllN6thrust23THRUST_200600_302600_NS4plusIlEEEEZZNS1_33reduce_by_key_impl_wrapped_configILNS1_25lookback_scan_determinismE0ES3_S9_NS6_18transform_iteratorI6div_opNS6_17counting_iteratorIlNS6_11use_defaultESF_SF_EESF_SF_EENSC_I6mod_opSG_SF_SF_EENS6_6detail15normal_iteratorINS6_10device_ptrIlEEEESO_PmS8_NS6_8equal_toIlEEEE10hipError_tPvRmT2_T3_mT4_T5_T6_T7_T8_P12ihipStream_tbENKUlT_T0_E_clISt17integral_constantIbLb0EES18_IbLb1EEEEDaS14_S15_EUlS14_E_NS1_11comp_targetILNS1_3genE4ELNS1_11target_archE910ELNS1_3gpuE8ELNS1_3repE0EEENS1_30default_config_static_selectorELNS0_4arch9wavefront6targetE0EEEvT1_ ; -- Begin function _ZN7rocprim17ROCPRIM_400000_NS6detail17trampoline_kernelINS0_14default_configENS1_29reduce_by_key_config_selectorIllN6thrust23THRUST_200600_302600_NS4plusIlEEEEZZNS1_33reduce_by_key_impl_wrapped_configILNS1_25lookback_scan_determinismE0ES3_S9_NS6_18transform_iteratorI6div_opNS6_17counting_iteratorIlNS6_11use_defaultESF_SF_EESF_SF_EENSC_I6mod_opSG_SF_SF_EENS6_6detail15normal_iteratorINS6_10device_ptrIlEEEESO_PmS8_NS6_8equal_toIlEEEE10hipError_tPvRmT2_T3_mT4_T5_T6_T7_T8_P12ihipStream_tbENKUlT_T0_E_clISt17integral_constantIbLb0EES18_IbLb1EEEEDaS14_S15_EUlS14_E_NS1_11comp_targetILNS1_3genE4ELNS1_11target_archE910ELNS1_3gpuE8ELNS1_3repE0EEENS1_30default_config_static_selectorELNS0_4arch9wavefront6targetE0EEEvT1_
	.globl	_ZN7rocprim17ROCPRIM_400000_NS6detail17trampoline_kernelINS0_14default_configENS1_29reduce_by_key_config_selectorIllN6thrust23THRUST_200600_302600_NS4plusIlEEEEZZNS1_33reduce_by_key_impl_wrapped_configILNS1_25lookback_scan_determinismE0ES3_S9_NS6_18transform_iteratorI6div_opNS6_17counting_iteratorIlNS6_11use_defaultESF_SF_EESF_SF_EENSC_I6mod_opSG_SF_SF_EENS6_6detail15normal_iteratorINS6_10device_ptrIlEEEESO_PmS8_NS6_8equal_toIlEEEE10hipError_tPvRmT2_T3_mT4_T5_T6_T7_T8_P12ihipStream_tbENKUlT_T0_E_clISt17integral_constantIbLb0EES18_IbLb1EEEEDaS14_S15_EUlS14_E_NS1_11comp_targetILNS1_3genE4ELNS1_11target_archE910ELNS1_3gpuE8ELNS1_3repE0EEENS1_30default_config_static_selectorELNS0_4arch9wavefront6targetE0EEEvT1_
	.p2align	8
	.type	_ZN7rocprim17ROCPRIM_400000_NS6detail17trampoline_kernelINS0_14default_configENS1_29reduce_by_key_config_selectorIllN6thrust23THRUST_200600_302600_NS4plusIlEEEEZZNS1_33reduce_by_key_impl_wrapped_configILNS1_25lookback_scan_determinismE0ES3_S9_NS6_18transform_iteratorI6div_opNS6_17counting_iteratorIlNS6_11use_defaultESF_SF_EESF_SF_EENSC_I6mod_opSG_SF_SF_EENS6_6detail15normal_iteratorINS6_10device_ptrIlEEEESO_PmS8_NS6_8equal_toIlEEEE10hipError_tPvRmT2_T3_mT4_T5_T6_T7_T8_P12ihipStream_tbENKUlT_T0_E_clISt17integral_constantIbLb0EES18_IbLb1EEEEDaS14_S15_EUlS14_E_NS1_11comp_targetILNS1_3genE4ELNS1_11target_archE910ELNS1_3gpuE8ELNS1_3repE0EEENS1_30default_config_static_selectorELNS0_4arch9wavefront6targetE0EEEvT1_,@function
_ZN7rocprim17ROCPRIM_400000_NS6detail17trampoline_kernelINS0_14default_configENS1_29reduce_by_key_config_selectorIllN6thrust23THRUST_200600_302600_NS4plusIlEEEEZZNS1_33reduce_by_key_impl_wrapped_configILNS1_25lookback_scan_determinismE0ES3_S9_NS6_18transform_iteratorI6div_opNS6_17counting_iteratorIlNS6_11use_defaultESF_SF_EESF_SF_EENSC_I6mod_opSG_SF_SF_EENS6_6detail15normal_iteratorINS6_10device_ptrIlEEEESO_PmS8_NS6_8equal_toIlEEEE10hipError_tPvRmT2_T3_mT4_T5_T6_T7_T8_P12ihipStream_tbENKUlT_T0_E_clISt17integral_constantIbLb0EES18_IbLb1EEEEDaS14_S15_EUlS14_E_NS1_11comp_targetILNS1_3genE4ELNS1_11target_archE910ELNS1_3gpuE8ELNS1_3repE0EEENS1_30default_config_static_selectorELNS0_4arch9wavefront6targetE0EEEvT1_: ; @_ZN7rocprim17ROCPRIM_400000_NS6detail17trampoline_kernelINS0_14default_configENS1_29reduce_by_key_config_selectorIllN6thrust23THRUST_200600_302600_NS4plusIlEEEEZZNS1_33reduce_by_key_impl_wrapped_configILNS1_25lookback_scan_determinismE0ES3_S9_NS6_18transform_iteratorI6div_opNS6_17counting_iteratorIlNS6_11use_defaultESF_SF_EESF_SF_EENSC_I6mod_opSG_SF_SF_EENS6_6detail15normal_iteratorINS6_10device_ptrIlEEEESO_PmS8_NS6_8equal_toIlEEEE10hipError_tPvRmT2_T3_mT4_T5_T6_T7_T8_P12ihipStream_tbENKUlT_T0_E_clISt17integral_constantIbLb0EES18_IbLb1EEEEDaS14_S15_EUlS14_E_NS1_11comp_targetILNS1_3genE4ELNS1_11target_archE910ELNS1_3gpuE8ELNS1_3repE0EEENS1_30default_config_static_selectorELNS0_4arch9wavefront6targetE0EEEvT1_
; %bb.0:
	.section	.rodata,"a",@progbits
	.p2align	6, 0x0
	.amdhsa_kernel _ZN7rocprim17ROCPRIM_400000_NS6detail17trampoline_kernelINS0_14default_configENS1_29reduce_by_key_config_selectorIllN6thrust23THRUST_200600_302600_NS4plusIlEEEEZZNS1_33reduce_by_key_impl_wrapped_configILNS1_25lookback_scan_determinismE0ES3_S9_NS6_18transform_iteratorI6div_opNS6_17counting_iteratorIlNS6_11use_defaultESF_SF_EESF_SF_EENSC_I6mod_opSG_SF_SF_EENS6_6detail15normal_iteratorINS6_10device_ptrIlEEEESO_PmS8_NS6_8equal_toIlEEEE10hipError_tPvRmT2_T3_mT4_T5_T6_T7_T8_P12ihipStream_tbENKUlT_T0_E_clISt17integral_constantIbLb0EES18_IbLb1EEEEDaS14_S15_EUlS14_E_NS1_11comp_targetILNS1_3genE4ELNS1_11target_archE910ELNS1_3gpuE8ELNS1_3repE0EEENS1_30default_config_static_selectorELNS0_4arch9wavefront6targetE0EEEvT1_
		.amdhsa_group_segment_fixed_size 0
		.amdhsa_private_segment_fixed_size 0
		.amdhsa_kernarg_size 152
		.amdhsa_user_sgpr_count 15
		.amdhsa_user_sgpr_dispatch_ptr 0
		.amdhsa_user_sgpr_queue_ptr 0
		.amdhsa_user_sgpr_kernarg_segment_ptr 1
		.amdhsa_user_sgpr_dispatch_id 0
		.amdhsa_user_sgpr_private_segment_size 0
		.amdhsa_wavefront_size32 1
		.amdhsa_uses_dynamic_stack 0
		.amdhsa_enable_private_segment 0
		.amdhsa_system_sgpr_workgroup_id_x 1
		.amdhsa_system_sgpr_workgroup_id_y 0
		.amdhsa_system_sgpr_workgroup_id_z 0
		.amdhsa_system_sgpr_workgroup_info 0
		.amdhsa_system_vgpr_workitem_id 0
		.amdhsa_next_free_vgpr 1
		.amdhsa_next_free_sgpr 1
		.amdhsa_reserve_vcc 0
		.amdhsa_float_round_mode_32 0
		.amdhsa_float_round_mode_16_64 0
		.amdhsa_float_denorm_mode_32 3
		.amdhsa_float_denorm_mode_16_64 3
		.amdhsa_dx10_clamp 1
		.amdhsa_ieee_mode 1
		.amdhsa_fp16_overflow 0
		.amdhsa_workgroup_processor_mode 1
		.amdhsa_memory_ordered 1
		.amdhsa_forward_progress 0
		.amdhsa_shared_vgpr_count 0
		.amdhsa_exception_fp_ieee_invalid_op 0
		.amdhsa_exception_fp_denorm_src 0
		.amdhsa_exception_fp_ieee_div_zero 0
		.amdhsa_exception_fp_ieee_overflow 0
		.amdhsa_exception_fp_ieee_underflow 0
		.amdhsa_exception_fp_ieee_inexact 0
		.amdhsa_exception_int_div_zero 0
	.end_amdhsa_kernel
	.section	.text._ZN7rocprim17ROCPRIM_400000_NS6detail17trampoline_kernelINS0_14default_configENS1_29reduce_by_key_config_selectorIllN6thrust23THRUST_200600_302600_NS4plusIlEEEEZZNS1_33reduce_by_key_impl_wrapped_configILNS1_25lookback_scan_determinismE0ES3_S9_NS6_18transform_iteratorI6div_opNS6_17counting_iteratorIlNS6_11use_defaultESF_SF_EESF_SF_EENSC_I6mod_opSG_SF_SF_EENS6_6detail15normal_iteratorINS6_10device_ptrIlEEEESO_PmS8_NS6_8equal_toIlEEEE10hipError_tPvRmT2_T3_mT4_T5_T6_T7_T8_P12ihipStream_tbENKUlT_T0_E_clISt17integral_constantIbLb0EES18_IbLb1EEEEDaS14_S15_EUlS14_E_NS1_11comp_targetILNS1_3genE4ELNS1_11target_archE910ELNS1_3gpuE8ELNS1_3repE0EEENS1_30default_config_static_selectorELNS0_4arch9wavefront6targetE0EEEvT1_,"axG",@progbits,_ZN7rocprim17ROCPRIM_400000_NS6detail17trampoline_kernelINS0_14default_configENS1_29reduce_by_key_config_selectorIllN6thrust23THRUST_200600_302600_NS4plusIlEEEEZZNS1_33reduce_by_key_impl_wrapped_configILNS1_25lookback_scan_determinismE0ES3_S9_NS6_18transform_iteratorI6div_opNS6_17counting_iteratorIlNS6_11use_defaultESF_SF_EESF_SF_EENSC_I6mod_opSG_SF_SF_EENS6_6detail15normal_iteratorINS6_10device_ptrIlEEEESO_PmS8_NS6_8equal_toIlEEEE10hipError_tPvRmT2_T3_mT4_T5_T6_T7_T8_P12ihipStream_tbENKUlT_T0_E_clISt17integral_constantIbLb0EES18_IbLb1EEEEDaS14_S15_EUlS14_E_NS1_11comp_targetILNS1_3genE4ELNS1_11target_archE910ELNS1_3gpuE8ELNS1_3repE0EEENS1_30default_config_static_selectorELNS0_4arch9wavefront6targetE0EEEvT1_,comdat
.Lfunc_end1164:
	.size	_ZN7rocprim17ROCPRIM_400000_NS6detail17trampoline_kernelINS0_14default_configENS1_29reduce_by_key_config_selectorIllN6thrust23THRUST_200600_302600_NS4plusIlEEEEZZNS1_33reduce_by_key_impl_wrapped_configILNS1_25lookback_scan_determinismE0ES3_S9_NS6_18transform_iteratorI6div_opNS6_17counting_iteratorIlNS6_11use_defaultESF_SF_EESF_SF_EENSC_I6mod_opSG_SF_SF_EENS6_6detail15normal_iteratorINS6_10device_ptrIlEEEESO_PmS8_NS6_8equal_toIlEEEE10hipError_tPvRmT2_T3_mT4_T5_T6_T7_T8_P12ihipStream_tbENKUlT_T0_E_clISt17integral_constantIbLb0EES18_IbLb1EEEEDaS14_S15_EUlS14_E_NS1_11comp_targetILNS1_3genE4ELNS1_11target_archE910ELNS1_3gpuE8ELNS1_3repE0EEENS1_30default_config_static_selectorELNS0_4arch9wavefront6targetE0EEEvT1_, .Lfunc_end1164-_ZN7rocprim17ROCPRIM_400000_NS6detail17trampoline_kernelINS0_14default_configENS1_29reduce_by_key_config_selectorIllN6thrust23THRUST_200600_302600_NS4plusIlEEEEZZNS1_33reduce_by_key_impl_wrapped_configILNS1_25lookback_scan_determinismE0ES3_S9_NS6_18transform_iteratorI6div_opNS6_17counting_iteratorIlNS6_11use_defaultESF_SF_EESF_SF_EENSC_I6mod_opSG_SF_SF_EENS6_6detail15normal_iteratorINS6_10device_ptrIlEEEESO_PmS8_NS6_8equal_toIlEEEE10hipError_tPvRmT2_T3_mT4_T5_T6_T7_T8_P12ihipStream_tbENKUlT_T0_E_clISt17integral_constantIbLb0EES18_IbLb1EEEEDaS14_S15_EUlS14_E_NS1_11comp_targetILNS1_3genE4ELNS1_11target_archE910ELNS1_3gpuE8ELNS1_3repE0EEENS1_30default_config_static_selectorELNS0_4arch9wavefront6targetE0EEEvT1_
                                        ; -- End function
	.section	.AMDGPU.csdata,"",@progbits
; Kernel info:
; codeLenInByte = 0
; NumSgprs: 0
; NumVgprs: 0
; ScratchSize: 0
; MemoryBound: 0
; FloatMode: 240
; IeeeMode: 1
; LDSByteSize: 0 bytes/workgroup (compile time only)
; SGPRBlocks: 0
; VGPRBlocks: 0
; NumSGPRsForWavesPerEU: 1
; NumVGPRsForWavesPerEU: 1
; Occupancy: 16
; WaveLimiterHint : 0
; COMPUTE_PGM_RSRC2:SCRATCH_EN: 0
; COMPUTE_PGM_RSRC2:USER_SGPR: 15
; COMPUTE_PGM_RSRC2:TRAP_HANDLER: 0
; COMPUTE_PGM_RSRC2:TGID_X_EN: 1
; COMPUTE_PGM_RSRC2:TGID_Y_EN: 0
; COMPUTE_PGM_RSRC2:TGID_Z_EN: 0
; COMPUTE_PGM_RSRC2:TIDIG_COMP_CNT: 0
	.section	.text._ZN7rocprim17ROCPRIM_400000_NS6detail17trampoline_kernelINS0_14default_configENS1_29reduce_by_key_config_selectorIllN6thrust23THRUST_200600_302600_NS4plusIlEEEEZZNS1_33reduce_by_key_impl_wrapped_configILNS1_25lookback_scan_determinismE0ES3_S9_NS6_18transform_iteratorI6div_opNS6_17counting_iteratorIlNS6_11use_defaultESF_SF_EESF_SF_EENSC_I6mod_opSG_SF_SF_EENS6_6detail15normal_iteratorINS6_10device_ptrIlEEEESO_PmS8_NS6_8equal_toIlEEEE10hipError_tPvRmT2_T3_mT4_T5_T6_T7_T8_P12ihipStream_tbENKUlT_T0_E_clISt17integral_constantIbLb0EES18_IbLb1EEEEDaS14_S15_EUlS14_E_NS1_11comp_targetILNS1_3genE3ELNS1_11target_archE908ELNS1_3gpuE7ELNS1_3repE0EEENS1_30default_config_static_selectorELNS0_4arch9wavefront6targetE0EEEvT1_,"axG",@progbits,_ZN7rocprim17ROCPRIM_400000_NS6detail17trampoline_kernelINS0_14default_configENS1_29reduce_by_key_config_selectorIllN6thrust23THRUST_200600_302600_NS4plusIlEEEEZZNS1_33reduce_by_key_impl_wrapped_configILNS1_25lookback_scan_determinismE0ES3_S9_NS6_18transform_iteratorI6div_opNS6_17counting_iteratorIlNS6_11use_defaultESF_SF_EESF_SF_EENSC_I6mod_opSG_SF_SF_EENS6_6detail15normal_iteratorINS6_10device_ptrIlEEEESO_PmS8_NS6_8equal_toIlEEEE10hipError_tPvRmT2_T3_mT4_T5_T6_T7_T8_P12ihipStream_tbENKUlT_T0_E_clISt17integral_constantIbLb0EES18_IbLb1EEEEDaS14_S15_EUlS14_E_NS1_11comp_targetILNS1_3genE3ELNS1_11target_archE908ELNS1_3gpuE7ELNS1_3repE0EEENS1_30default_config_static_selectorELNS0_4arch9wavefront6targetE0EEEvT1_,comdat
	.protected	_ZN7rocprim17ROCPRIM_400000_NS6detail17trampoline_kernelINS0_14default_configENS1_29reduce_by_key_config_selectorIllN6thrust23THRUST_200600_302600_NS4plusIlEEEEZZNS1_33reduce_by_key_impl_wrapped_configILNS1_25lookback_scan_determinismE0ES3_S9_NS6_18transform_iteratorI6div_opNS6_17counting_iteratorIlNS6_11use_defaultESF_SF_EESF_SF_EENSC_I6mod_opSG_SF_SF_EENS6_6detail15normal_iteratorINS6_10device_ptrIlEEEESO_PmS8_NS6_8equal_toIlEEEE10hipError_tPvRmT2_T3_mT4_T5_T6_T7_T8_P12ihipStream_tbENKUlT_T0_E_clISt17integral_constantIbLb0EES18_IbLb1EEEEDaS14_S15_EUlS14_E_NS1_11comp_targetILNS1_3genE3ELNS1_11target_archE908ELNS1_3gpuE7ELNS1_3repE0EEENS1_30default_config_static_selectorELNS0_4arch9wavefront6targetE0EEEvT1_ ; -- Begin function _ZN7rocprim17ROCPRIM_400000_NS6detail17trampoline_kernelINS0_14default_configENS1_29reduce_by_key_config_selectorIllN6thrust23THRUST_200600_302600_NS4plusIlEEEEZZNS1_33reduce_by_key_impl_wrapped_configILNS1_25lookback_scan_determinismE0ES3_S9_NS6_18transform_iteratorI6div_opNS6_17counting_iteratorIlNS6_11use_defaultESF_SF_EESF_SF_EENSC_I6mod_opSG_SF_SF_EENS6_6detail15normal_iteratorINS6_10device_ptrIlEEEESO_PmS8_NS6_8equal_toIlEEEE10hipError_tPvRmT2_T3_mT4_T5_T6_T7_T8_P12ihipStream_tbENKUlT_T0_E_clISt17integral_constantIbLb0EES18_IbLb1EEEEDaS14_S15_EUlS14_E_NS1_11comp_targetILNS1_3genE3ELNS1_11target_archE908ELNS1_3gpuE7ELNS1_3repE0EEENS1_30default_config_static_selectorELNS0_4arch9wavefront6targetE0EEEvT1_
	.globl	_ZN7rocprim17ROCPRIM_400000_NS6detail17trampoline_kernelINS0_14default_configENS1_29reduce_by_key_config_selectorIllN6thrust23THRUST_200600_302600_NS4plusIlEEEEZZNS1_33reduce_by_key_impl_wrapped_configILNS1_25lookback_scan_determinismE0ES3_S9_NS6_18transform_iteratorI6div_opNS6_17counting_iteratorIlNS6_11use_defaultESF_SF_EESF_SF_EENSC_I6mod_opSG_SF_SF_EENS6_6detail15normal_iteratorINS6_10device_ptrIlEEEESO_PmS8_NS6_8equal_toIlEEEE10hipError_tPvRmT2_T3_mT4_T5_T6_T7_T8_P12ihipStream_tbENKUlT_T0_E_clISt17integral_constantIbLb0EES18_IbLb1EEEEDaS14_S15_EUlS14_E_NS1_11comp_targetILNS1_3genE3ELNS1_11target_archE908ELNS1_3gpuE7ELNS1_3repE0EEENS1_30default_config_static_selectorELNS0_4arch9wavefront6targetE0EEEvT1_
	.p2align	8
	.type	_ZN7rocprim17ROCPRIM_400000_NS6detail17trampoline_kernelINS0_14default_configENS1_29reduce_by_key_config_selectorIllN6thrust23THRUST_200600_302600_NS4plusIlEEEEZZNS1_33reduce_by_key_impl_wrapped_configILNS1_25lookback_scan_determinismE0ES3_S9_NS6_18transform_iteratorI6div_opNS6_17counting_iteratorIlNS6_11use_defaultESF_SF_EESF_SF_EENSC_I6mod_opSG_SF_SF_EENS6_6detail15normal_iteratorINS6_10device_ptrIlEEEESO_PmS8_NS6_8equal_toIlEEEE10hipError_tPvRmT2_T3_mT4_T5_T6_T7_T8_P12ihipStream_tbENKUlT_T0_E_clISt17integral_constantIbLb0EES18_IbLb1EEEEDaS14_S15_EUlS14_E_NS1_11comp_targetILNS1_3genE3ELNS1_11target_archE908ELNS1_3gpuE7ELNS1_3repE0EEENS1_30default_config_static_selectorELNS0_4arch9wavefront6targetE0EEEvT1_,@function
_ZN7rocprim17ROCPRIM_400000_NS6detail17trampoline_kernelINS0_14default_configENS1_29reduce_by_key_config_selectorIllN6thrust23THRUST_200600_302600_NS4plusIlEEEEZZNS1_33reduce_by_key_impl_wrapped_configILNS1_25lookback_scan_determinismE0ES3_S9_NS6_18transform_iteratorI6div_opNS6_17counting_iteratorIlNS6_11use_defaultESF_SF_EESF_SF_EENSC_I6mod_opSG_SF_SF_EENS6_6detail15normal_iteratorINS6_10device_ptrIlEEEESO_PmS8_NS6_8equal_toIlEEEE10hipError_tPvRmT2_T3_mT4_T5_T6_T7_T8_P12ihipStream_tbENKUlT_T0_E_clISt17integral_constantIbLb0EES18_IbLb1EEEEDaS14_S15_EUlS14_E_NS1_11comp_targetILNS1_3genE3ELNS1_11target_archE908ELNS1_3gpuE7ELNS1_3repE0EEENS1_30default_config_static_selectorELNS0_4arch9wavefront6targetE0EEEvT1_: ; @_ZN7rocprim17ROCPRIM_400000_NS6detail17trampoline_kernelINS0_14default_configENS1_29reduce_by_key_config_selectorIllN6thrust23THRUST_200600_302600_NS4plusIlEEEEZZNS1_33reduce_by_key_impl_wrapped_configILNS1_25lookback_scan_determinismE0ES3_S9_NS6_18transform_iteratorI6div_opNS6_17counting_iteratorIlNS6_11use_defaultESF_SF_EESF_SF_EENSC_I6mod_opSG_SF_SF_EENS6_6detail15normal_iteratorINS6_10device_ptrIlEEEESO_PmS8_NS6_8equal_toIlEEEE10hipError_tPvRmT2_T3_mT4_T5_T6_T7_T8_P12ihipStream_tbENKUlT_T0_E_clISt17integral_constantIbLb0EES18_IbLb1EEEEDaS14_S15_EUlS14_E_NS1_11comp_targetILNS1_3genE3ELNS1_11target_archE908ELNS1_3gpuE7ELNS1_3repE0EEENS1_30default_config_static_selectorELNS0_4arch9wavefront6targetE0EEEvT1_
; %bb.0:
	.section	.rodata,"a",@progbits
	.p2align	6, 0x0
	.amdhsa_kernel _ZN7rocprim17ROCPRIM_400000_NS6detail17trampoline_kernelINS0_14default_configENS1_29reduce_by_key_config_selectorIllN6thrust23THRUST_200600_302600_NS4plusIlEEEEZZNS1_33reduce_by_key_impl_wrapped_configILNS1_25lookback_scan_determinismE0ES3_S9_NS6_18transform_iteratorI6div_opNS6_17counting_iteratorIlNS6_11use_defaultESF_SF_EESF_SF_EENSC_I6mod_opSG_SF_SF_EENS6_6detail15normal_iteratorINS6_10device_ptrIlEEEESO_PmS8_NS6_8equal_toIlEEEE10hipError_tPvRmT2_T3_mT4_T5_T6_T7_T8_P12ihipStream_tbENKUlT_T0_E_clISt17integral_constantIbLb0EES18_IbLb1EEEEDaS14_S15_EUlS14_E_NS1_11comp_targetILNS1_3genE3ELNS1_11target_archE908ELNS1_3gpuE7ELNS1_3repE0EEENS1_30default_config_static_selectorELNS0_4arch9wavefront6targetE0EEEvT1_
		.amdhsa_group_segment_fixed_size 0
		.amdhsa_private_segment_fixed_size 0
		.amdhsa_kernarg_size 152
		.amdhsa_user_sgpr_count 15
		.amdhsa_user_sgpr_dispatch_ptr 0
		.amdhsa_user_sgpr_queue_ptr 0
		.amdhsa_user_sgpr_kernarg_segment_ptr 1
		.amdhsa_user_sgpr_dispatch_id 0
		.amdhsa_user_sgpr_private_segment_size 0
		.amdhsa_wavefront_size32 1
		.amdhsa_uses_dynamic_stack 0
		.amdhsa_enable_private_segment 0
		.amdhsa_system_sgpr_workgroup_id_x 1
		.amdhsa_system_sgpr_workgroup_id_y 0
		.amdhsa_system_sgpr_workgroup_id_z 0
		.amdhsa_system_sgpr_workgroup_info 0
		.amdhsa_system_vgpr_workitem_id 0
		.amdhsa_next_free_vgpr 1
		.amdhsa_next_free_sgpr 1
		.amdhsa_reserve_vcc 0
		.amdhsa_float_round_mode_32 0
		.amdhsa_float_round_mode_16_64 0
		.amdhsa_float_denorm_mode_32 3
		.amdhsa_float_denorm_mode_16_64 3
		.amdhsa_dx10_clamp 1
		.amdhsa_ieee_mode 1
		.amdhsa_fp16_overflow 0
		.amdhsa_workgroup_processor_mode 1
		.amdhsa_memory_ordered 1
		.amdhsa_forward_progress 0
		.amdhsa_shared_vgpr_count 0
		.amdhsa_exception_fp_ieee_invalid_op 0
		.amdhsa_exception_fp_denorm_src 0
		.amdhsa_exception_fp_ieee_div_zero 0
		.amdhsa_exception_fp_ieee_overflow 0
		.amdhsa_exception_fp_ieee_underflow 0
		.amdhsa_exception_fp_ieee_inexact 0
		.amdhsa_exception_int_div_zero 0
	.end_amdhsa_kernel
	.section	.text._ZN7rocprim17ROCPRIM_400000_NS6detail17trampoline_kernelINS0_14default_configENS1_29reduce_by_key_config_selectorIllN6thrust23THRUST_200600_302600_NS4plusIlEEEEZZNS1_33reduce_by_key_impl_wrapped_configILNS1_25lookback_scan_determinismE0ES3_S9_NS6_18transform_iteratorI6div_opNS6_17counting_iteratorIlNS6_11use_defaultESF_SF_EESF_SF_EENSC_I6mod_opSG_SF_SF_EENS6_6detail15normal_iteratorINS6_10device_ptrIlEEEESO_PmS8_NS6_8equal_toIlEEEE10hipError_tPvRmT2_T3_mT4_T5_T6_T7_T8_P12ihipStream_tbENKUlT_T0_E_clISt17integral_constantIbLb0EES18_IbLb1EEEEDaS14_S15_EUlS14_E_NS1_11comp_targetILNS1_3genE3ELNS1_11target_archE908ELNS1_3gpuE7ELNS1_3repE0EEENS1_30default_config_static_selectorELNS0_4arch9wavefront6targetE0EEEvT1_,"axG",@progbits,_ZN7rocprim17ROCPRIM_400000_NS6detail17trampoline_kernelINS0_14default_configENS1_29reduce_by_key_config_selectorIllN6thrust23THRUST_200600_302600_NS4plusIlEEEEZZNS1_33reduce_by_key_impl_wrapped_configILNS1_25lookback_scan_determinismE0ES3_S9_NS6_18transform_iteratorI6div_opNS6_17counting_iteratorIlNS6_11use_defaultESF_SF_EESF_SF_EENSC_I6mod_opSG_SF_SF_EENS6_6detail15normal_iteratorINS6_10device_ptrIlEEEESO_PmS8_NS6_8equal_toIlEEEE10hipError_tPvRmT2_T3_mT4_T5_T6_T7_T8_P12ihipStream_tbENKUlT_T0_E_clISt17integral_constantIbLb0EES18_IbLb1EEEEDaS14_S15_EUlS14_E_NS1_11comp_targetILNS1_3genE3ELNS1_11target_archE908ELNS1_3gpuE7ELNS1_3repE0EEENS1_30default_config_static_selectorELNS0_4arch9wavefront6targetE0EEEvT1_,comdat
.Lfunc_end1165:
	.size	_ZN7rocprim17ROCPRIM_400000_NS6detail17trampoline_kernelINS0_14default_configENS1_29reduce_by_key_config_selectorIllN6thrust23THRUST_200600_302600_NS4plusIlEEEEZZNS1_33reduce_by_key_impl_wrapped_configILNS1_25lookback_scan_determinismE0ES3_S9_NS6_18transform_iteratorI6div_opNS6_17counting_iteratorIlNS6_11use_defaultESF_SF_EESF_SF_EENSC_I6mod_opSG_SF_SF_EENS6_6detail15normal_iteratorINS6_10device_ptrIlEEEESO_PmS8_NS6_8equal_toIlEEEE10hipError_tPvRmT2_T3_mT4_T5_T6_T7_T8_P12ihipStream_tbENKUlT_T0_E_clISt17integral_constantIbLb0EES18_IbLb1EEEEDaS14_S15_EUlS14_E_NS1_11comp_targetILNS1_3genE3ELNS1_11target_archE908ELNS1_3gpuE7ELNS1_3repE0EEENS1_30default_config_static_selectorELNS0_4arch9wavefront6targetE0EEEvT1_, .Lfunc_end1165-_ZN7rocprim17ROCPRIM_400000_NS6detail17trampoline_kernelINS0_14default_configENS1_29reduce_by_key_config_selectorIllN6thrust23THRUST_200600_302600_NS4plusIlEEEEZZNS1_33reduce_by_key_impl_wrapped_configILNS1_25lookback_scan_determinismE0ES3_S9_NS6_18transform_iteratorI6div_opNS6_17counting_iteratorIlNS6_11use_defaultESF_SF_EESF_SF_EENSC_I6mod_opSG_SF_SF_EENS6_6detail15normal_iteratorINS6_10device_ptrIlEEEESO_PmS8_NS6_8equal_toIlEEEE10hipError_tPvRmT2_T3_mT4_T5_T6_T7_T8_P12ihipStream_tbENKUlT_T0_E_clISt17integral_constantIbLb0EES18_IbLb1EEEEDaS14_S15_EUlS14_E_NS1_11comp_targetILNS1_3genE3ELNS1_11target_archE908ELNS1_3gpuE7ELNS1_3repE0EEENS1_30default_config_static_selectorELNS0_4arch9wavefront6targetE0EEEvT1_
                                        ; -- End function
	.section	.AMDGPU.csdata,"",@progbits
; Kernel info:
; codeLenInByte = 0
; NumSgprs: 0
; NumVgprs: 0
; ScratchSize: 0
; MemoryBound: 0
; FloatMode: 240
; IeeeMode: 1
; LDSByteSize: 0 bytes/workgroup (compile time only)
; SGPRBlocks: 0
; VGPRBlocks: 0
; NumSGPRsForWavesPerEU: 1
; NumVGPRsForWavesPerEU: 1
; Occupancy: 16
; WaveLimiterHint : 0
; COMPUTE_PGM_RSRC2:SCRATCH_EN: 0
; COMPUTE_PGM_RSRC2:USER_SGPR: 15
; COMPUTE_PGM_RSRC2:TRAP_HANDLER: 0
; COMPUTE_PGM_RSRC2:TGID_X_EN: 1
; COMPUTE_PGM_RSRC2:TGID_Y_EN: 0
; COMPUTE_PGM_RSRC2:TGID_Z_EN: 0
; COMPUTE_PGM_RSRC2:TIDIG_COMP_CNT: 0
	.section	.text._ZN7rocprim17ROCPRIM_400000_NS6detail17trampoline_kernelINS0_14default_configENS1_29reduce_by_key_config_selectorIllN6thrust23THRUST_200600_302600_NS4plusIlEEEEZZNS1_33reduce_by_key_impl_wrapped_configILNS1_25lookback_scan_determinismE0ES3_S9_NS6_18transform_iteratorI6div_opNS6_17counting_iteratorIlNS6_11use_defaultESF_SF_EESF_SF_EENSC_I6mod_opSG_SF_SF_EENS6_6detail15normal_iteratorINS6_10device_ptrIlEEEESO_PmS8_NS6_8equal_toIlEEEE10hipError_tPvRmT2_T3_mT4_T5_T6_T7_T8_P12ihipStream_tbENKUlT_T0_E_clISt17integral_constantIbLb0EES18_IbLb1EEEEDaS14_S15_EUlS14_E_NS1_11comp_targetILNS1_3genE2ELNS1_11target_archE906ELNS1_3gpuE6ELNS1_3repE0EEENS1_30default_config_static_selectorELNS0_4arch9wavefront6targetE0EEEvT1_,"axG",@progbits,_ZN7rocprim17ROCPRIM_400000_NS6detail17trampoline_kernelINS0_14default_configENS1_29reduce_by_key_config_selectorIllN6thrust23THRUST_200600_302600_NS4plusIlEEEEZZNS1_33reduce_by_key_impl_wrapped_configILNS1_25lookback_scan_determinismE0ES3_S9_NS6_18transform_iteratorI6div_opNS6_17counting_iteratorIlNS6_11use_defaultESF_SF_EESF_SF_EENSC_I6mod_opSG_SF_SF_EENS6_6detail15normal_iteratorINS6_10device_ptrIlEEEESO_PmS8_NS6_8equal_toIlEEEE10hipError_tPvRmT2_T3_mT4_T5_T6_T7_T8_P12ihipStream_tbENKUlT_T0_E_clISt17integral_constantIbLb0EES18_IbLb1EEEEDaS14_S15_EUlS14_E_NS1_11comp_targetILNS1_3genE2ELNS1_11target_archE906ELNS1_3gpuE6ELNS1_3repE0EEENS1_30default_config_static_selectorELNS0_4arch9wavefront6targetE0EEEvT1_,comdat
	.protected	_ZN7rocprim17ROCPRIM_400000_NS6detail17trampoline_kernelINS0_14default_configENS1_29reduce_by_key_config_selectorIllN6thrust23THRUST_200600_302600_NS4plusIlEEEEZZNS1_33reduce_by_key_impl_wrapped_configILNS1_25lookback_scan_determinismE0ES3_S9_NS6_18transform_iteratorI6div_opNS6_17counting_iteratorIlNS6_11use_defaultESF_SF_EESF_SF_EENSC_I6mod_opSG_SF_SF_EENS6_6detail15normal_iteratorINS6_10device_ptrIlEEEESO_PmS8_NS6_8equal_toIlEEEE10hipError_tPvRmT2_T3_mT4_T5_T6_T7_T8_P12ihipStream_tbENKUlT_T0_E_clISt17integral_constantIbLb0EES18_IbLb1EEEEDaS14_S15_EUlS14_E_NS1_11comp_targetILNS1_3genE2ELNS1_11target_archE906ELNS1_3gpuE6ELNS1_3repE0EEENS1_30default_config_static_selectorELNS0_4arch9wavefront6targetE0EEEvT1_ ; -- Begin function _ZN7rocprim17ROCPRIM_400000_NS6detail17trampoline_kernelINS0_14default_configENS1_29reduce_by_key_config_selectorIllN6thrust23THRUST_200600_302600_NS4plusIlEEEEZZNS1_33reduce_by_key_impl_wrapped_configILNS1_25lookback_scan_determinismE0ES3_S9_NS6_18transform_iteratorI6div_opNS6_17counting_iteratorIlNS6_11use_defaultESF_SF_EESF_SF_EENSC_I6mod_opSG_SF_SF_EENS6_6detail15normal_iteratorINS6_10device_ptrIlEEEESO_PmS8_NS6_8equal_toIlEEEE10hipError_tPvRmT2_T3_mT4_T5_T6_T7_T8_P12ihipStream_tbENKUlT_T0_E_clISt17integral_constantIbLb0EES18_IbLb1EEEEDaS14_S15_EUlS14_E_NS1_11comp_targetILNS1_3genE2ELNS1_11target_archE906ELNS1_3gpuE6ELNS1_3repE0EEENS1_30default_config_static_selectorELNS0_4arch9wavefront6targetE0EEEvT1_
	.globl	_ZN7rocprim17ROCPRIM_400000_NS6detail17trampoline_kernelINS0_14default_configENS1_29reduce_by_key_config_selectorIllN6thrust23THRUST_200600_302600_NS4plusIlEEEEZZNS1_33reduce_by_key_impl_wrapped_configILNS1_25lookback_scan_determinismE0ES3_S9_NS6_18transform_iteratorI6div_opNS6_17counting_iteratorIlNS6_11use_defaultESF_SF_EESF_SF_EENSC_I6mod_opSG_SF_SF_EENS6_6detail15normal_iteratorINS6_10device_ptrIlEEEESO_PmS8_NS6_8equal_toIlEEEE10hipError_tPvRmT2_T3_mT4_T5_T6_T7_T8_P12ihipStream_tbENKUlT_T0_E_clISt17integral_constantIbLb0EES18_IbLb1EEEEDaS14_S15_EUlS14_E_NS1_11comp_targetILNS1_3genE2ELNS1_11target_archE906ELNS1_3gpuE6ELNS1_3repE0EEENS1_30default_config_static_selectorELNS0_4arch9wavefront6targetE0EEEvT1_
	.p2align	8
	.type	_ZN7rocprim17ROCPRIM_400000_NS6detail17trampoline_kernelINS0_14default_configENS1_29reduce_by_key_config_selectorIllN6thrust23THRUST_200600_302600_NS4plusIlEEEEZZNS1_33reduce_by_key_impl_wrapped_configILNS1_25lookback_scan_determinismE0ES3_S9_NS6_18transform_iteratorI6div_opNS6_17counting_iteratorIlNS6_11use_defaultESF_SF_EESF_SF_EENSC_I6mod_opSG_SF_SF_EENS6_6detail15normal_iteratorINS6_10device_ptrIlEEEESO_PmS8_NS6_8equal_toIlEEEE10hipError_tPvRmT2_T3_mT4_T5_T6_T7_T8_P12ihipStream_tbENKUlT_T0_E_clISt17integral_constantIbLb0EES18_IbLb1EEEEDaS14_S15_EUlS14_E_NS1_11comp_targetILNS1_3genE2ELNS1_11target_archE906ELNS1_3gpuE6ELNS1_3repE0EEENS1_30default_config_static_selectorELNS0_4arch9wavefront6targetE0EEEvT1_,@function
_ZN7rocprim17ROCPRIM_400000_NS6detail17trampoline_kernelINS0_14default_configENS1_29reduce_by_key_config_selectorIllN6thrust23THRUST_200600_302600_NS4plusIlEEEEZZNS1_33reduce_by_key_impl_wrapped_configILNS1_25lookback_scan_determinismE0ES3_S9_NS6_18transform_iteratorI6div_opNS6_17counting_iteratorIlNS6_11use_defaultESF_SF_EESF_SF_EENSC_I6mod_opSG_SF_SF_EENS6_6detail15normal_iteratorINS6_10device_ptrIlEEEESO_PmS8_NS6_8equal_toIlEEEE10hipError_tPvRmT2_T3_mT4_T5_T6_T7_T8_P12ihipStream_tbENKUlT_T0_E_clISt17integral_constantIbLb0EES18_IbLb1EEEEDaS14_S15_EUlS14_E_NS1_11comp_targetILNS1_3genE2ELNS1_11target_archE906ELNS1_3gpuE6ELNS1_3repE0EEENS1_30default_config_static_selectorELNS0_4arch9wavefront6targetE0EEEvT1_: ; @_ZN7rocprim17ROCPRIM_400000_NS6detail17trampoline_kernelINS0_14default_configENS1_29reduce_by_key_config_selectorIllN6thrust23THRUST_200600_302600_NS4plusIlEEEEZZNS1_33reduce_by_key_impl_wrapped_configILNS1_25lookback_scan_determinismE0ES3_S9_NS6_18transform_iteratorI6div_opNS6_17counting_iteratorIlNS6_11use_defaultESF_SF_EESF_SF_EENSC_I6mod_opSG_SF_SF_EENS6_6detail15normal_iteratorINS6_10device_ptrIlEEEESO_PmS8_NS6_8equal_toIlEEEE10hipError_tPvRmT2_T3_mT4_T5_T6_T7_T8_P12ihipStream_tbENKUlT_T0_E_clISt17integral_constantIbLb0EES18_IbLb1EEEEDaS14_S15_EUlS14_E_NS1_11comp_targetILNS1_3genE2ELNS1_11target_archE906ELNS1_3gpuE6ELNS1_3repE0EEENS1_30default_config_static_selectorELNS0_4arch9wavefront6targetE0EEEvT1_
; %bb.0:
	.section	.rodata,"a",@progbits
	.p2align	6, 0x0
	.amdhsa_kernel _ZN7rocprim17ROCPRIM_400000_NS6detail17trampoline_kernelINS0_14default_configENS1_29reduce_by_key_config_selectorIllN6thrust23THRUST_200600_302600_NS4plusIlEEEEZZNS1_33reduce_by_key_impl_wrapped_configILNS1_25lookback_scan_determinismE0ES3_S9_NS6_18transform_iteratorI6div_opNS6_17counting_iteratorIlNS6_11use_defaultESF_SF_EESF_SF_EENSC_I6mod_opSG_SF_SF_EENS6_6detail15normal_iteratorINS6_10device_ptrIlEEEESO_PmS8_NS6_8equal_toIlEEEE10hipError_tPvRmT2_T3_mT4_T5_T6_T7_T8_P12ihipStream_tbENKUlT_T0_E_clISt17integral_constantIbLb0EES18_IbLb1EEEEDaS14_S15_EUlS14_E_NS1_11comp_targetILNS1_3genE2ELNS1_11target_archE906ELNS1_3gpuE6ELNS1_3repE0EEENS1_30default_config_static_selectorELNS0_4arch9wavefront6targetE0EEEvT1_
		.amdhsa_group_segment_fixed_size 0
		.amdhsa_private_segment_fixed_size 0
		.amdhsa_kernarg_size 152
		.amdhsa_user_sgpr_count 15
		.amdhsa_user_sgpr_dispatch_ptr 0
		.amdhsa_user_sgpr_queue_ptr 0
		.amdhsa_user_sgpr_kernarg_segment_ptr 1
		.amdhsa_user_sgpr_dispatch_id 0
		.amdhsa_user_sgpr_private_segment_size 0
		.amdhsa_wavefront_size32 1
		.amdhsa_uses_dynamic_stack 0
		.amdhsa_enable_private_segment 0
		.amdhsa_system_sgpr_workgroup_id_x 1
		.amdhsa_system_sgpr_workgroup_id_y 0
		.amdhsa_system_sgpr_workgroup_id_z 0
		.amdhsa_system_sgpr_workgroup_info 0
		.amdhsa_system_vgpr_workitem_id 0
		.amdhsa_next_free_vgpr 1
		.amdhsa_next_free_sgpr 1
		.amdhsa_reserve_vcc 0
		.amdhsa_float_round_mode_32 0
		.amdhsa_float_round_mode_16_64 0
		.amdhsa_float_denorm_mode_32 3
		.amdhsa_float_denorm_mode_16_64 3
		.amdhsa_dx10_clamp 1
		.amdhsa_ieee_mode 1
		.amdhsa_fp16_overflow 0
		.amdhsa_workgroup_processor_mode 1
		.amdhsa_memory_ordered 1
		.amdhsa_forward_progress 0
		.amdhsa_shared_vgpr_count 0
		.amdhsa_exception_fp_ieee_invalid_op 0
		.amdhsa_exception_fp_denorm_src 0
		.amdhsa_exception_fp_ieee_div_zero 0
		.amdhsa_exception_fp_ieee_overflow 0
		.amdhsa_exception_fp_ieee_underflow 0
		.amdhsa_exception_fp_ieee_inexact 0
		.amdhsa_exception_int_div_zero 0
	.end_amdhsa_kernel
	.section	.text._ZN7rocprim17ROCPRIM_400000_NS6detail17trampoline_kernelINS0_14default_configENS1_29reduce_by_key_config_selectorIllN6thrust23THRUST_200600_302600_NS4plusIlEEEEZZNS1_33reduce_by_key_impl_wrapped_configILNS1_25lookback_scan_determinismE0ES3_S9_NS6_18transform_iteratorI6div_opNS6_17counting_iteratorIlNS6_11use_defaultESF_SF_EESF_SF_EENSC_I6mod_opSG_SF_SF_EENS6_6detail15normal_iteratorINS6_10device_ptrIlEEEESO_PmS8_NS6_8equal_toIlEEEE10hipError_tPvRmT2_T3_mT4_T5_T6_T7_T8_P12ihipStream_tbENKUlT_T0_E_clISt17integral_constantIbLb0EES18_IbLb1EEEEDaS14_S15_EUlS14_E_NS1_11comp_targetILNS1_3genE2ELNS1_11target_archE906ELNS1_3gpuE6ELNS1_3repE0EEENS1_30default_config_static_selectorELNS0_4arch9wavefront6targetE0EEEvT1_,"axG",@progbits,_ZN7rocprim17ROCPRIM_400000_NS6detail17trampoline_kernelINS0_14default_configENS1_29reduce_by_key_config_selectorIllN6thrust23THRUST_200600_302600_NS4plusIlEEEEZZNS1_33reduce_by_key_impl_wrapped_configILNS1_25lookback_scan_determinismE0ES3_S9_NS6_18transform_iteratorI6div_opNS6_17counting_iteratorIlNS6_11use_defaultESF_SF_EESF_SF_EENSC_I6mod_opSG_SF_SF_EENS6_6detail15normal_iteratorINS6_10device_ptrIlEEEESO_PmS8_NS6_8equal_toIlEEEE10hipError_tPvRmT2_T3_mT4_T5_T6_T7_T8_P12ihipStream_tbENKUlT_T0_E_clISt17integral_constantIbLb0EES18_IbLb1EEEEDaS14_S15_EUlS14_E_NS1_11comp_targetILNS1_3genE2ELNS1_11target_archE906ELNS1_3gpuE6ELNS1_3repE0EEENS1_30default_config_static_selectorELNS0_4arch9wavefront6targetE0EEEvT1_,comdat
.Lfunc_end1166:
	.size	_ZN7rocprim17ROCPRIM_400000_NS6detail17trampoline_kernelINS0_14default_configENS1_29reduce_by_key_config_selectorIllN6thrust23THRUST_200600_302600_NS4plusIlEEEEZZNS1_33reduce_by_key_impl_wrapped_configILNS1_25lookback_scan_determinismE0ES3_S9_NS6_18transform_iteratorI6div_opNS6_17counting_iteratorIlNS6_11use_defaultESF_SF_EESF_SF_EENSC_I6mod_opSG_SF_SF_EENS6_6detail15normal_iteratorINS6_10device_ptrIlEEEESO_PmS8_NS6_8equal_toIlEEEE10hipError_tPvRmT2_T3_mT4_T5_T6_T7_T8_P12ihipStream_tbENKUlT_T0_E_clISt17integral_constantIbLb0EES18_IbLb1EEEEDaS14_S15_EUlS14_E_NS1_11comp_targetILNS1_3genE2ELNS1_11target_archE906ELNS1_3gpuE6ELNS1_3repE0EEENS1_30default_config_static_selectorELNS0_4arch9wavefront6targetE0EEEvT1_, .Lfunc_end1166-_ZN7rocprim17ROCPRIM_400000_NS6detail17trampoline_kernelINS0_14default_configENS1_29reduce_by_key_config_selectorIllN6thrust23THRUST_200600_302600_NS4plusIlEEEEZZNS1_33reduce_by_key_impl_wrapped_configILNS1_25lookback_scan_determinismE0ES3_S9_NS6_18transform_iteratorI6div_opNS6_17counting_iteratorIlNS6_11use_defaultESF_SF_EESF_SF_EENSC_I6mod_opSG_SF_SF_EENS6_6detail15normal_iteratorINS6_10device_ptrIlEEEESO_PmS8_NS6_8equal_toIlEEEE10hipError_tPvRmT2_T3_mT4_T5_T6_T7_T8_P12ihipStream_tbENKUlT_T0_E_clISt17integral_constantIbLb0EES18_IbLb1EEEEDaS14_S15_EUlS14_E_NS1_11comp_targetILNS1_3genE2ELNS1_11target_archE906ELNS1_3gpuE6ELNS1_3repE0EEENS1_30default_config_static_selectorELNS0_4arch9wavefront6targetE0EEEvT1_
                                        ; -- End function
	.section	.AMDGPU.csdata,"",@progbits
; Kernel info:
; codeLenInByte = 0
; NumSgprs: 0
; NumVgprs: 0
; ScratchSize: 0
; MemoryBound: 0
; FloatMode: 240
; IeeeMode: 1
; LDSByteSize: 0 bytes/workgroup (compile time only)
; SGPRBlocks: 0
; VGPRBlocks: 0
; NumSGPRsForWavesPerEU: 1
; NumVGPRsForWavesPerEU: 1
; Occupancy: 16
; WaveLimiterHint : 0
; COMPUTE_PGM_RSRC2:SCRATCH_EN: 0
; COMPUTE_PGM_RSRC2:USER_SGPR: 15
; COMPUTE_PGM_RSRC2:TRAP_HANDLER: 0
; COMPUTE_PGM_RSRC2:TGID_X_EN: 1
; COMPUTE_PGM_RSRC2:TGID_Y_EN: 0
; COMPUTE_PGM_RSRC2:TGID_Z_EN: 0
; COMPUTE_PGM_RSRC2:TIDIG_COMP_CNT: 0
	.section	.text._ZN7rocprim17ROCPRIM_400000_NS6detail17trampoline_kernelINS0_14default_configENS1_29reduce_by_key_config_selectorIllN6thrust23THRUST_200600_302600_NS4plusIlEEEEZZNS1_33reduce_by_key_impl_wrapped_configILNS1_25lookback_scan_determinismE0ES3_S9_NS6_18transform_iteratorI6div_opNS6_17counting_iteratorIlNS6_11use_defaultESF_SF_EESF_SF_EENSC_I6mod_opSG_SF_SF_EENS6_6detail15normal_iteratorINS6_10device_ptrIlEEEESO_PmS8_NS6_8equal_toIlEEEE10hipError_tPvRmT2_T3_mT4_T5_T6_T7_T8_P12ihipStream_tbENKUlT_T0_E_clISt17integral_constantIbLb0EES18_IbLb1EEEEDaS14_S15_EUlS14_E_NS1_11comp_targetILNS1_3genE10ELNS1_11target_archE1201ELNS1_3gpuE5ELNS1_3repE0EEENS1_30default_config_static_selectorELNS0_4arch9wavefront6targetE0EEEvT1_,"axG",@progbits,_ZN7rocprim17ROCPRIM_400000_NS6detail17trampoline_kernelINS0_14default_configENS1_29reduce_by_key_config_selectorIllN6thrust23THRUST_200600_302600_NS4plusIlEEEEZZNS1_33reduce_by_key_impl_wrapped_configILNS1_25lookback_scan_determinismE0ES3_S9_NS6_18transform_iteratorI6div_opNS6_17counting_iteratorIlNS6_11use_defaultESF_SF_EESF_SF_EENSC_I6mod_opSG_SF_SF_EENS6_6detail15normal_iteratorINS6_10device_ptrIlEEEESO_PmS8_NS6_8equal_toIlEEEE10hipError_tPvRmT2_T3_mT4_T5_T6_T7_T8_P12ihipStream_tbENKUlT_T0_E_clISt17integral_constantIbLb0EES18_IbLb1EEEEDaS14_S15_EUlS14_E_NS1_11comp_targetILNS1_3genE10ELNS1_11target_archE1201ELNS1_3gpuE5ELNS1_3repE0EEENS1_30default_config_static_selectorELNS0_4arch9wavefront6targetE0EEEvT1_,comdat
	.protected	_ZN7rocprim17ROCPRIM_400000_NS6detail17trampoline_kernelINS0_14default_configENS1_29reduce_by_key_config_selectorIllN6thrust23THRUST_200600_302600_NS4plusIlEEEEZZNS1_33reduce_by_key_impl_wrapped_configILNS1_25lookback_scan_determinismE0ES3_S9_NS6_18transform_iteratorI6div_opNS6_17counting_iteratorIlNS6_11use_defaultESF_SF_EESF_SF_EENSC_I6mod_opSG_SF_SF_EENS6_6detail15normal_iteratorINS6_10device_ptrIlEEEESO_PmS8_NS6_8equal_toIlEEEE10hipError_tPvRmT2_T3_mT4_T5_T6_T7_T8_P12ihipStream_tbENKUlT_T0_E_clISt17integral_constantIbLb0EES18_IbLb1EEEEDaS14_S15_EUlS14_E_NS1_11comp_targetILNS1_3genE10ELNS1_11target_archE1201ELNS1_3gpuE5ELNS1_3repE0EEENS1_30default_config_static_selectorELNS0_4arch9wavefront6targetE0EEEvT1_ ; -- Begin function _ZN7rocprim17ROCPRIM_400000_NS6detail17trampoline_kernelINS0_14default_configENS1_29reduce_by_key_config_selectorIllN6thrust23THRUST_200600_302600_NS4plusIlEEEEZZNS1_33reduce_by_key_impl_wrapped_configILNS1_25lookback_scan_determinismE0ES3_S9_NS6_18transform_iteratorI6div_opNS6_17counting_iteratorIlNS6_11use_defaultESF_SF_EESF_SF_EENSC_I6mod_opSG_SF_SF_EENS6_6detail15normal_iteratorINS6_10device_ptrIlEEEESO_PmS8_NS6_8equal_toIlEEEE10hipError_tPvRmT2_T3_mT4_T5_T6_T7_T8_P12ihipStream_tbENKUlT_T0_E_clISt17integral_constantIbLb0EES18_IbLb1EEEEDaS14_S15_EUlS14_E_NS1_11comp_targetILNS1_3genE10ELNS1_11target_archE1201ELNS1_3gpuE5ELNS1_3repE0EEENS1_30default_config_static_selectorELNS0_4arch9wavefront6targetE0EEEvT1_
	.globl	_ZN7rocprim17ROCPRIM_400000_NS6detail17trampoline_kernelINS0_14default_configENS1_29reduce_by_key_config_selectorIllN6thrust23THRUST_200600_302600_NS4plusIlEEEEZZNS1_33reduce_by_key_impl_wrapped_configILNS1_25lookback_scan_determinismE0ES3_S9_NS6_18transform_iteratorI6div_opNS6_17counting_iteratorIlNS6_11use_defaultESF_SF_EESF_SF_EENSC_I6mod_opSG_SF_SF_EENS6_6detail15normal_iteratorINS6_10device_ptrIlEEEESO_PmS8_NS6_8equal_toIlEEEE10hipError_tPvRmT2_T3_mT4_T5_T6_T7_T8_P12ihipStream_tbENKUlT_T0_E_clISt17integral_constantIbLb0EES18_IbLb1EEEEDaS14_S15_EUlS14_E_NS1_11comp_targetILNS1_3genE10ELNS1_11target_archE1201ELNS1_3gpuE5ELNS1_3repE0EEENS1_30default_config_static_selectorELNS0_4arch9wavefront6targetE0EEEvT1_
	.p2align	8
	.type	_ZN7rocprim17ROCPRIM_400000_NS6detail17trampoline_kernelINS0_14default_configENS1_29reduce_by_key_config_selectorIllN6thrust23THRUST_200600_302600_NS4plusIlEEEEZZNS1_33reduce_by_key_impl_wrapped_configILNS1_25lookback_scan_determinismE0ES3_S9_NS6_18transform_iteratorI6div_opNS6_17counting_iteratorIlNS6_11use_defaultESF_SF_EESF_SF_EENSC_I6mod_opSG_SF_SF_EENS6_6detail15normal_iteratorINS6_10device_ptrIlEEEESO_PmS8_NS6_8equal_toIlEEEE10hipError_tPvRmT2_T3_mT4_T5_T6_T7_T8_P12ihipStream_tbENKUlT_T0_E_clISt17integral_constantIbLb0EES18_IbLb1EEEEDaS14_S15_EUlS14_E_NS1_11comp_targetILNS1_3genE10ELNS1_11target_archE1201ELNS1_3gpuE5ELNS1_3repE0EEENS1_30default_config_static_selectorELNS0_4arch9wavefront6targetE0EEEvT1_,@function
_ZN7rocprim17ROCPRIM_400000_NS6detail17trampoline_kernelINS0_14default_configENS1_29reduce_by_key_config_selectorIllN6thrust23THRUST_200600_302600_NS4plusIlEEEEZZNS1_33reduce_by_key_impl_wrapped_configILNS1_25lookback_scan_determinismE0ES3_S9_NS6_18transform_iteratorI6div_opNS6_17counting_iteratorIlNS6_11use_defaultESF_SF_EESF_SF_EENSC_I6mod_opSG_SF_SF_EENS6_6detail15normal_iteratorINS6_10device_ptrIlEEEESO_PmS8_NS6_8equal_toIlEEEE10hipError_tPvRmT2_T3_mT4_T5_T6_T7_T8_P12ihipStream_tbENKUlT_T0_E_clISt17integral_constantIbLb0EES18_IbLb1EEEEDaS14_S15_EUlS14_E_NS1_11comp_targetILNS1_3genE10ELNS1_11target_archE1201ELNS1_3gpuE5ELNS1_3repE0EEENS1_30default_config_static_selectorELNS0_4arch9wavefront6targetE0EEEvT1_: ; @_ZN7rocprim17ROCPRIM_400000_NS6detail17trampoline_kernelINS0_14default_configENS1_29reduce_by_key_config_selectorIllN6thrust23THRUST_200600_302600_NS4plusIlEEEEZZNS1_33reduce_by_key_impl_wrapped_configILNS1_25lookback_scan_determinismE0ES3_S9_NS6_18transform_iteratorI6div_opNS6_17counting_iteratorIlNS6_11use_defaultESF_SF_EESF_SF_EENSC_I6mod_opSG_SF_SF_EENS6_6detail15normal_iteratorINS6_10device_ptrIlEEEESO_PmS8_NS6_8equal_toIlEEEE10hipError_tPvRmT2_T3_mT4_T5_T6_T7_T8_P12ihipStream_tbENKUlT_T0_E_clISt17integral_constantIbLb0EES18_IbLb1EEEEDaS14_S15_EUlS14_E_NS1_11comp_targetILNS1_3genE10ELNS1_11target_archE1201ELNS1_3gpuE5ELNS1_3repE0EEENS1_30default_config_static_selectorELNS0_4arch9wavefront6targetE0EEEvT1_
; %bb.0:
	.section	.rodata,"a",@progbits
	.p2align	6, 0x0
	.amdhsa_kernel _ZN7rocprim17ROCPRIM_400000_NS6detail17trampoline_kernelINS0_14default_configENS1_29reduce_by_key_config_selectorIllN6thrust23THRUST_200600_302600_NS4plusIlEEEEZZNS1_33reduce_by_key_impl_wrapped_configILNS1_25lookback_scan_determinismE0ES3_S9_NS6_18transform_iteratorI6div_opNS6_17counting_iteratorIlNS6_11use_defaultESF_SF_EESF_SF_EENSC_I6mod_opSG_SF_SF_EENS6_6detail15normal_iteratorINS6_10device_ptrIlEEEESO_PmS8_NS6_8equal_toIlEEEE10hipError_tPvRmT2_T3_mT4_T5_T6_T7_T8_P12ihipStream_tbENKUlT_T0_E_clISt17integral_constantIbLb0EES18_IbLb1EEEEDaS14_S15_EUlS14_E_NS1_11comp_targetILNS1_3genE10ELNS1_11target_archE1201ELNS1_3gpuE5ELNS1_3repE0EEENS1_30default_config_static_selectorELNS0_4arch9wavefront6targetE0EEEvT1_
		.amdhsa_group_segment_fixed_size 0
		.amdhsa_private_segment_fixed_size 0
		.amdhsa_kernarg_size 152
		.amdhsa_user_sgpr_count 15
		.amdhsa_user_sgpr_dispatch_ptr 0
		.amdhsa_user_sgpr_queue_ptr 0
		.amdhsa_user_sgpr_kernarg_segment_ptr 1
		.amdhsa_user_sgpr_dispatch_id 0
		.amdhsa_user_sgpr_private_segment_size 0
		.amdhsa_wavefront_size32 1
		.amdhsa_uses_dynamic_stack 0
		.amdhsa_enable_private_segment 0
		.amdhsa_system_sgpr_workgroup_id_x 1
		.amdhsa_system_sgpr_workgroup_id_y 0
		.amdhsa_system_sgpr_workgroup_id_z 0
		.amdhsa_system_sgpr_workgroup_info 0
		.amdhsa_system_vgpr_workitem_id 0
		.amdhsa_next_free_vgpr 1
		.amdhsa_next_free_sgpr 1
		.amdhsa_reserve_vcc 0
		.amdhsa_float_round_mode_32 0
		.amdhsa_float_round_mode_16_64 0
		.amdhsa_float_denorm_mode_32 3
		.amdhsa_float_denorm_mode_16_64 3
		.amdhsa_dx10_clamp 1
		.amdhsa_ieee_mode 1
		.amdhsa_fp16_overflow 0
		.amdhsa_workgroup_processor_mode 1
		.amdhsa_memory_ordered 1
		.amdhsa_forward_progress 0
		.amdhsa_shared_vgpr_count 0
		.amdhsa_exception_fp_ieee_invalid_op 0
		.amdhsa_exception_fp_denorm_src 0
		.amdhsa_exception_fp_ieee_div_zero 0
		.amdhsa_exception_fp_ieee_overflow 0
		.amdhsa_exception_fp_ieee_underflow 0
		.amdhsa_exception_fp_ieee_inexact 0
		.amdhsa_exception_int_div_zero 0
	.end_amdhsa_kernel
	.section	.text._ZN7rocprim17ROCPRIM_400000_NS6detail17trampoline_kernelINS0_14default_configENS1_29reduce_by_key_config_selectorIllN6thrust23THRUST_200600_302600_NS4plusIlEEEEZZNS1_33reduce_by_key_impl_wrapped_configILNS1_25lookback_scan_determinismE0ES3_S9_NS6_18transform_iteratorI6div_opNS6_17counting_iteratorIlNS6_11use_defaultESF_SF_EESF_SF_EENSC_I6mod_opSG_SF_SF_EENS6_6detail15normal_iteratorINS6_10device_ptrIlEEEESO_PmS8_NS6_8equal_toIlEEEE10hipError_tPvRmT2_T3_mT4_T5_T6_T7_T8_P12ihipStream_tbENKUlT_T0_E_clISt17integral_constantIbLb0EES18_IbLb1EEEEDaS14_S15_EUlS14_E_NS1_11comp_targetILNS1_3genE10ELNS1_11target_archE1201ELNS1_3gpuE5ELNS1_3repE0EEENS1_30default_config_static_selectorELNS0_4arch9wavefront6targetE0EEEvT1_,"axG",@progbits,_ZN7rocprim17ROCPRIM_400000_NS6detail17trampoline_kernelINS0_14default_configENS1_29reduce_by_key_config_selectorIllN6thrust23THRUST_200600_302600_NS4plusIlEEEEZZNS1_33reduce_by_key_impl_wrapped_configILNS1_25lookback_scan_determinismE0ES3_S9_NS6_18transform_iteratorI6div_opNS6_17counting_iteratorIlNS6_11use_defaultESF_SF_EESF_SF_EENSC_I6mod_opSG_SF_SF_EENS6_6detail15normal_iteratorINS6_10device_ptrIlEEEESO_PmS8_NS6_8equal_toIlEEEE10hipError_tPvRmT2_T3_mT4_T5_T6_T7_T8_P12ihipStream_tbENKUlT_T0_E_clISt17integral_constantIbLb0EES18_IbLb1EEEEDaS14_S15_EUlS14_E_NS1_11comp_targetILNS1_3genE10ELNS1_11target_archE1201ELNS1_3gpuE5ELNS1_3repE0EEENS1_30default_config_static_selectorELNS0_4arch9wavefront6targetE0EEEvT1_,comdat
.Lfunc_end1167:
	.size	_ZN7rocprim17ROCPRIM_400000_NS6detail17trampoline_kernelINS0_14default_configENS1_29reduce_by_key_config_selectorIllN6thrust23THRUST_200600_302600_NS4plusIlEEEEZZNS1_33reduce_by_key_impl_wrapped_configILNS1_25lookback_scan_determinismE0ES3_S9_NS6_18transform_iteratorI6div_opNS6_17counting_iteratorIlNS6_11use_defaultESF_SF_EESF_SF_EENSC_I6mod_opSG_SF_SF_EENS6_6detail15normal_iteratorINS6_10device_ptrIlEEEESO_PmS8_NS6_8equal_toIlEEEE10hipError_tPvRmT2_T3_mT4_T5_T6_T7_T8_P12ihipStream_tbENKUlT_T0_E_clISt17integral_constantIbLb0EES18_IbLb1EEEEDaS14_S15_EUlS14_E_NS1_11comp_targetILNS1_3genE10ELNS1_11target_archE1201ELNS1_3gpuE5ELNS1_3repE0EEENS1_30default_config_static_selectorELNS0_4arch9wavefront6targetE0EEEvT1_, .Lfunc_end1167-_ZN7rocprim17ROCPRIM_400000_NS6detail17trampoline_kernelINS0_14default_configENS1_29reduce_by_key_config_selectorIllN6thrust23THRUST_200600_302600_NS4plusIlEEEEZZNS1_33reduce_by_key_impl_wrapped_configILNS1_25lookback_scan_determinismE0ES3_S9_NS6_18transform_iteratorI6div_opNS6_17counting_iteratorIlNS6_11use_defaultESF_SF_EESF_SF_EENSC_I6mod_opSG_SF_SF_EENS6_6detail15normal_iteratorINS6_10device_ptrIlEEEESO_PmS8_NS6_8equal_toIlEEEE10hipError_tPvRmT2_T3_mT4_T5_T6_T7_T8_P12ihipStream_tbENKUlT_T0_E_clISt17integral_constantIbLb0EES18_IbLb1EEEEDaS14_S15_EUlS14_E_NS1_11comp_targetILNS1_3genE10ELNS1_11target_archE1201ELNS1_3gpuE5ELNS1_3repE0EEENS1_30default_config_static_selectorELNS0_4arch9wavefront6targetE0EEEvT1_
                                        ; -- End function
	.section	.AMDGPU.csdata,"",@progbits
; Kernel info:
; codeLenInByte = 0
; NumSgprs: 0
; NumVgprs: 0
; ScratchSize: 0
; MemoryBound: 0
; FloatMode: 240
; IeeeMode: 1
; LDSByteSize: 0 bytes/workgroup (compile time only)
; SGPRBlocks: 0
; VGPRBlocks: 0
; NumSGPRsForWavesPerEU: 1
; NumVGPRsForWavesPerEU: 1
; Occupancy: 16
; WaveLimiterHint : 0
; COMPUTE_PGM_RSRC2:SCRATCH_EN: 0
; COMPUTE_PGM_RSRC2:USER_SGPR: 15
; COMPUTE_PGM_RSRC2:TRAP_HANDLER: 0
; COMPUTE_PGM_RSRC2:TGID_X_EN: 1
; COMPUTE_PGM_RSRC2:TGID_Y_EN: 0
; COMPUTE_PGM_RSRC2:TGID_Z_EN: 0
; COMPUTE_PGM_RSRC2:TIDIG_COMP_CNT: 0
	.section	.text._ZN7rocprim17ROCPRIM_400000_NS6detail17trampoline_kernelINS0_14default_configENS1_29reduce_by_key_config_selectorIllN6thrust23THRUST_200600_302600_NS4plusIlEEEEZZNS1_33reduce_by_key_impl_wrapped_configILNS1_25lookback_scan_determinismE0ES3_S9_NS6_18transform_iteratorI6div_opNS6_17counting_iteratorIlNS6_11use_defaultESF_SF_EESF_SF_EENSC_I6mod_opSG_SF_SF_EENS6_6detail15normal_iteratorINS6_10device_ptrIlEEEESO_PmS8_NS6_8equal_toIlEEEE10hipError_tPvRmT2_T3_mT4_T5_T6_T7_T8_P12ihipStream_tbENKUlT_T0_E_clISt17integral_constantIbLb0EES18_IbLb1EEEEDaS14_S15_EUlS14_E_NS1_11comp_targetILNS1_3genE10ELNS1_11target_archE1200ELNS1_3gpuE4ELNS1_3repE0EEENS1_30default_config_static_selectorELNS0_4arch9wavefront6targetE0EEEvT1_,"axG",@progbits,_ZN7rocprim17ROCPRIM_400000_NS6detail17trampoline_kernelINS0_14default_configENS1_29reduce_by_key_config_selectorIllN6thrust23THRUST_200600_302600_NS4plusIlEEEEZZNS1_33reduce_by_key_impl_wrapped_configILNS1_25lookback_scan_determinismE0ES3_S9_NS6_18transform_iteratorI6div_opNS6_17counting_iteratorIlNS6_11use_defaultESF_SF_EESF_SF_EENSC_I6mod_opSG_SF_SF_EENS6_6detail15normal_iteratorINS6_10device_ptrIlEEEESO_PmS8_NS6_8equal_toIlEEEE10hipError_tPvRmT2_T3_mT4_T5_T6_T7_T8_P12ihipStream_tbENKUlT_T0_E_clISt17integral_constantIbLb0EES18_IbLb1EEEEDaS14_S15_EUlS14_E_NS1_11comp_targetILNS1_3genE10ELNS1_11target_archE1200ELNS1_3gpuE4ELNS1_3repE0EEENS1_30default_config_static_selectorELNS0_4arch9wavefront6targetE0EEEvT1_,comdat
	.protected	_ZN7rocprim17ROCPRIM_400000_NS6detail17trampoline_kernelINS0_14default_configENS1_29reduce_by_key_config_selectorIllN6thrust23THRUST_200600_302600_NS4plusIlEEEEZZNS1_33reduce_by_key_impl_wrapped_configILNS1_25lookback_scan_determinismE0ES3_S9_NS6_18transform_iteratorI6div_opNS6_17counting_iteratorIlNS6_11use_defaultESF_SF_EESF_SF_EENSC_I6mod_opSG_SF_SF_EENS6_6detail15normal_iteratorINS6_10device_ptrIlEEEESO_PmS8_NS6_8equal_toIlEEEE10hipError_tPvRmT2_T3_mT4_T5_T6_T7_T8_P12ihipStream_tbENKUlT_T0_E_clISt17integral_constantIbLb0EES18_IbLb1EEEEDaS14_S15_EUlS14_E_NS1_11comp_targetILNS1_3genE10ELNS1_11target_archE1200ELNS1_3gpuE4ELNS1_3repE0EEENS1_30default_config_static_selectorELNS0_4arch9wavefront6targetE0EEEvT1_ ; -- Begin function _ZN7rocprim17ROCPRIM_400000_NS6detail17trampoline_kernelINS0_14default_configENS1_29reduce_by_key_config_selectorIllN6thrust23THRUST_200600_302600_NS4plusIlEEEEZZNS1_33reduce_by_key_impl_wrapped_configILNS1_25lookback_scan_determinismE0ES3_S9_NS6_18transform_iteratorI6div_opNS6_17counting_iteratorIlNS6_11use_defaultESF_SF_EESF_SF_EENSC_I6mod_opSG_SF_SF_EENS6_6detail15normal_iteratorINS6_10device_ptrIlEEEESO_PmS8_NS6_8equal_toIlEEEE10hipError_tPvRmT2_T3_mT4_T5_T6_T7_T8_P12ihipStream_tbENKUlT_T0_E_clISt17integral_constantIbLb0EES18_IbLb1EEEEDaS14_S15_EUlS14_E_NS1_11comp_targetILNS1_3genE10ELNS1_11target_archE1200ELNS1_3gpuE4ELNS1_3repE0EEENS1_30default_config_static_selectorELNS0_4arch9wavefront6targetE0EEEvT1_
	.globl	_ZN7rocprim17ROCPRIM_400000_NS6detail17trampoline_kernelINS0_14default_configENS1_29reduce_by_key_config_selectorIllN6thrust23THRUST_200600_302600_NS4plusIlEEEEZZNS1_33reduce_by_key_impl_wrapped_configILNS1_25lookback_scan_determinismE0ES3_S9_NS6_18transform_iteratorI6div_opNS6_17counting_iteratorIlNS6_11use_defaultESF_SF_EESF_SF_EENSC_I6mod_opSG_SF_SF_EENS6_6detail15normal_iteratorINS6_10device_ptrIlEEEESO_PmS8_NS6_8equal_toIlEEEE10hipError_tPvRmT2_T3_mT4_T5_T6_T7_T8_P12ihipStream_tbENKUlT_T0_E_clISt17integral_constantIbLb0EES18_IbLb1EEEEDaS14_S15_EUlS14_E_NS1_11comp_targetILNS1_3genE10ELNS1_11target_archE1200ELNS1_3gpuE4ELNS1_3repE0EEENS1_30default_config_static_selectorELNS0_4arch9wavefront6targetE0EEEvT1_
	.p2align	8
	.type	_ZN7rocprim17ROCPRIM_400000_NS6detail17trampoline_kernelINS0_14default_configENS1_29reduce_by_key_config_selectorIllN6thrust23THRUST_200600_302600_NS4plusIlEEEEZZNS1_33reduce_by_key_impl_wrapped_configILNS1_25lookback_scan_determinismE0ES3_S9_NS6_18transform_iteratorI6div_opNS6_17counting_iteratorIlNS6_11use_defaultESF_SF_EESF_SF_EENSC_I6mod_opSG_SF_SF_EENS6_6detail15normal_iteratorINS6_10device_ptrIlEEEESO_PmS8_NS6_8equal_toIlEEEE10hipError_tPvRmT2_T3_mT4_T5_T6_T7_T8_P12ihipStream_tbENKUlT_T0_E_clISt17integral_constantIbLb0EES18_IbLb1EEEEDaS14_S15_EUlS14_E_NS1_11comp_targetILNS1_3genE10ELNS1_11target_archE1200ELNS1_3gpuE4ELNS1_3repE0EEENS1_30default_config_static_selectorELNS0_4arch9wavefront6targetE0EEEvT1_,@function
_ZN7rocprim17ROCPRIM_400000_NS6detail17trampoline_kernelINS0_14default_configENS1_29reduce_by_key_config_selectorIllN6thrust23THRUST_200600_302600_NS4plusIlEEEEZZNS1_33reduce_by_key_impl_wrapped_configILNS1_25lookback_scan_determinismE0ES3_S9_NS6_18transform_iteratorI6div_opNS6_17counting_iteratorIlNS6_11use_defaultESF_SF_EESF_SF_EENSC_I6mod_opSG_SF_SF_EENS6_6detail15normal_iteratorINS6_10device_ptrIlEEEESO_PmS8_NS6_8equal_toIlEEEE10hipError_tPvRmT2_T3_mT4_T5_T6_T7_T8_P12ihipStream_tbENKUlT_T0_E_clISt17integral_constantIbLb0EES18_IbLb1EEEEDaS14_S15_EUlS14_E_NS1_11comp_targetILNS1_3genE10ELNS1_11target_archE1200ELNS1_3gpuE4ELNS1_3repE0EEENS1_30default_config_static_selectorELNS0_4arch9wavefront6targetE0EEEvT1_: ; @_ZN7rocprim17ROCPRIM_400000_NS6detail17trampoline_kernelINS0_14default_configENS1_29reduce_by_key_config_selectorIllN6thrust23THRUST_200600_302600_NS4plusIlEEEEZZNS1_33reduce_by_key_impl_wrapped_configILNS1_25lookback_scan_determinismE0ES3_S9_NS6_18transform_iteratorI6div_opNS6_17counting_iteratorIlNS6_11use_defaultESF_SF_EESF_SF_EENSC_I6mod_opSG_SF_SF_EENS6_6detail15normal_iteratorINS6_10device_ptrIlEEEESO_PmS8_NS6_8equal_toIlEEEE10hipError_tPvRmT2_T3_mT4_T5_T6_T7_T8_P12ihipStream_tbENKUlT_T0_E_clISt17integral_constantIbLb0EES18_IbLb1EEEEDaS14_S15_EUlS14_E_NS1_11comp_targetILNS1_3genE10ELNS1_11target_archE1200ELNS1_3gpuE4ELNS1_3repE0EEENS1_30default_config_static_selectorELNS0_4arch9wavefront6targetE0EEEvT1_
; %bb.0:
	.section	.rodata,"a",@progbits
	.p2align	6, 0x0
	.amdhsa_kernel _ZN7rocprim17ROCPRIM_400000_NS6detail17trampoline_kernelINS0_14default_configENS1_29reduce_by_key_config_selectorIllN6thrust23THRUST_200600_302600_NS4plusIlEEEEZZNS1_33reduce_by_key_impl_wrapped_configILNS1_25lookback_scan_determinismE0ES3_S9_NS6_18transform_iteratorI6div_opNS6_17counting_iteratorIlNS6_11use_defaultESF_SF_EESF_SF_EENSC_I6mod_opSG_SF_SF_EENS6_6detail15normal_iteratorINS6_10device_ptrIlEEEESO_PmS8_NS6_8equal_toIlEEEE10hipError_tPvRmT2_T3_mT4_T5_T6_T7_T8_P12ihipStream_tbENKUlT_T0_E_clISt17integral_constantIbLb0EES18_IbLb1EEEEDaS14_S15_EUlS14_E_NS1_11comp_targetILNS1_3genE10ELNS1_11target_archE1200ELNS1_3gpuE4ELNS1_3repE0EEENS1_30default_config_static_selectorELNS0_4arch9wavefront6targetE0EEEvT1_
		.amdhsa_group_segment_fixed_size 0
		.amdhsa_private_segment_fixed_size 0
		.amdhsa_kernarg_size 152
		.amdhsa_user_sgpr_count 15
		.amdhsa_user_sgpr_dispatch_ptr 0
		.amdhsa_user_sgpr_queue_ptr 0
		.amdhsa_user_sgpr_kernarg_segment_ptr 1
		.amdhsa_user_sgpr_dispatch_id 0
		.amdhsa_user_sgpr_private_segment_size 0
		.amdhsa_wavefront_size32 1
		.amdhsa_uses_dynamic_stack 0
		.amdhsa_enable_private_segment 0
		.amdhsa_system_sgpr_workgroup_id_x 1
		.amdhsa_system_sgpr_workgroup_id_y 0
		.amdhsa_system_sgpr_workgroup_id_z 0
		.amdhsa_system_sgpr_workgroup_info 0
		.amdhsa_system_vgpr_workitem_id 0
		.amdhsa_next_free_vgpr 1
		.amdhsa_next_free_sgpr 1
		.amdhsa_reserve_vcc 0
		.amdhsa_float_round_mode_32 0
		.amdhsa_float_round_mode_16_64 0
		.amdhsa_float_denorm_mode_32 3
		.amdhsa_float_denorm_mode_16_64 3
		.amdhsa_dx10_clamp 1
		.amdhsa_ieee_mode 1
		.amdhsa_fp16_overflow 0
		.amdhsa_workgroup_processor_mode 1
		.amdhsa_memory_ordered 1
		.amdhsa_forward_progress 0
		.amdhsa_shared_vgpr_count 0
		.amdhsa_exception_fp_ieee_invalid_op 0
		.amdhsa_exception_fp_denorm_src 0
		.amdhsa_exception_fp_ieee_div_zero 0
		.amdhsa_exception_fp_ieee_overflow 0
		.amdhsa_exception_fp_ieee_underflow 0
		.amdhsa_exception_fp_ieee_inexact 0
		.amdhsa_exception_int_div_zero 0
	.end_amdhsa_kernel
	.section	.text._ZN7rocprim17ROCPRIM_400000_NS6detail17trampoline_kernelINS0_14default_configENS1_29reduce_by_key_config_selectorIllN6thrust23THRUST_200600_302600_NS4plusIlEEEEZZNS1_33reduce_by_key_impl_wrapped_configILNS1_25lookback_scan_determinismE0ES3_S9_NS6_18transform_iteratorI6div_opNS6_17counting_iteratorIlNS6_11use_defaultESF_SF_EESF_SF_EENSC_I6mod_opSG_SF_SF_EENS6_6detail15normal_iteratorINS6_10device_ptrIlEEEESO_PmS8_NS6_8equal_toIlEEEE10hipError_tPvRmT2_T3_mT4_T5_T6_T7_T8_P12ihipStream_tbENKUlT_T0_E_clISt17integral_constantIbLb0EES18_IbLb1EEEEDaS14_S15_EUlS14_E_NS1_11comp_targetILNS1_3genE10ELNS1_11target_archE1200ELNS1_3gpuE4ELNS1_3repE0EEENS1_30default_config_static_selectorELNS0_4arch9wavefront6targetE0EEEvT1_,"axG",@progbits,_ZN7rocprim17ROCPRIM_400000_NS6detail17trampoline_kernelINS0_14default_configENS1_29reduce_by_key_config_selectorIllN6thrust23THRUST_200600_302600_NS4plusIlEEEEZZNS1_33reduce_by_key_impl_wrapped_configILNS1_25lookback_scan_determinismE0ES3_S9_NS6_18transform_iteratorI6div_opNS6_17counting_iteratorIlNS6_11use_defaultESF_SF_EESF_SF_EENSC_I6mod_opSG_SF_SF_EENS6_6detail15normal_iteratorINS6_10device_ptrIlEEEESO_PmS8_NS6_8equal_toIlEEEE10hipError_tPvRmT2_T3_mT4_T5_T6_T7_T8_P12ihipStream_tbENKUlT_T0_E_clISt17integral_constantIbLb0EES18_IbLb1EEEEDaS14_S15_EUlS14_E_NS1_11comp_targetILNS1_3genE10ELNS1_11target_archE1200ELNS1_3gpuE4ELNS1_3repE0EEENS1_30default_config_static_selectorELNS0_4arch9wavefront6targetE0EEEvT1_,comdat
.Lfunc_end1168:
	.size	_ZN7rocprim17ROCPRIM_400000_NS6detail17trampoline_kernelINS0_14default_configENS1_29reduce_by_key_config_selectorIllN6thrust23THRUST_200600_302600_NS4plusIlEEEEZZNS1_33reduce_by_key_impl_wrapped_configILNS1_25lookback_scan_determinismE0ES3_S9_NS6_18transform_iteratorI6div_opNS6_17counting_iteratorIlNS6_11use_defaultESF_SF_EESF_SF_EENSC_I6mod_opSG_SF_SF_EENS6_6detail15normal_iteratorINS6_10device_ptrIlEEEESO_PmS8_NS6_8equal_toIlEEEE10hipError_tPvRmT2_T3_mT4_T5_T6_T7_T8_P12ihipStream_tbENKUlT_T0_E_clISt17integral_constantIbLb0EES18_IbLb1EEEEDaS14_S15_EUlS14_E_NS1_11comp_targetILNS1_3genE10ELNS1_11target_archE1200ELNS1_3gpuE4ELNS1_3repE0EEENS1_30default_config_static_selectorELNS0_4arch9wavefront6targetE0EEEvT1_, .Lfunc_end1168-_ZN7rocprim17ROCPRIM_400000_NS6detail17trampoline_kernelINS0_14default_configENS1_29reduce_by_key_config_selectorIllN6thrust23THRUST_200600_302600_NS4plusIlEEEEZZNS1_33reduce_by_key_impl_wrapped_configILNS1_25lookback_scan_determinismE0ES3_S9_NS6_18transform_iteratorI6div_opNS6_17counting_iteratorIlNS6_11use_defaultESF_SF_EESF_SF_EENSC_I6mod_opSG_SF_SF_EENS6_6detail15normal_iteratorINS6_10device_ptrIlEEEESO_PmS8_NS6_8equal_toIlEEEE10hipError_tPvRmT2_T3_mT4_T5_T6_T7_T8_P12ihipStream_tbENKUlT_T0_E_clISt17integral_constantIbLb0EES18_IbLb1EEEEDaS14_S15_EUlS14_E_NS1_11comp_targetILNS1_3genE10ELNS1_11target_archE1200ELNS1_3gpuE4ELNS1_3repE0EEENS1_30default_config_static_selectorELNS0_4arch9wavefront6targetE0EEEvT1_
                                        ; -- End function
	.section	.AMDGPU.csdata,"",@progbits
; Kernel info:
; codeLenInByte = 0
; NumSgprs: 0
; NumVgprs: 0
; ScratchSize: 0
; MemoryBound: 0
; FloatMode: 240
; IeeeMode: 1
; LDSByteSize: 0 bytes/workgroup (compile time only)
; SGPRBlocks: 0
; VGPRBlocks: 0
; NumSGPRsForWavesPerEU: 1
; NumVGPRsForWavesPerEU: 1
; Occupancy: 16
; WaveLimiterHint : 0
; COMPUTE_PGM_RSRC2:SCRATCH_EN: 0
; COMPUTE_PGM_RSRC2:USER_SGPR: 15
; COMPUTE_PGM_RSRC2:TRAP_HANDLER: 0
; COMPUTE_PGM_RSRC2:TGID_X_EN: 1
; COMPUTE_PGM_RSRC2:TGID_Y_EN: 0
; COMPUTE_PGM_RSRC2:TGID_Z_EN: 0
; COMPUTE_PGM_RSRC2:TIDIG_COMP_CNT: 0
	.section	.text._ZN7rocprim17ROCPRIM_400000_NS6detail17trampoline_kernelINS0_14default_configENS1_29reduce_by_key_config_selectorIllN6thrust23THRUST_200600_302600_NS4plusIlEEEEZZNS1_33reduce_by_key_impl_wrapped_configILNS1_25lookback_scan_determinismE0ES3_S9_NS6_18transform_iteratorI6div_opNS6_17counting_iteratorIlNS6_11use_defaultESF_SF_EESF_SF_EENSC_I6mod_opSG_SF_SF_EENS6_6detail15normal_iteratorINS6_10device_ptrIlEEEESO_PmS8_NS6_8equal_toIlEEEE10hipError_tPvRmT2_T3_mT4_T5_T6_T7_T8_P12ihipStream_tbENKUlT_T0_E_clISt17integral_constantIbLb0EES18_IbLb1EEEEDaS14_S15_EUlS14_E_NS1_11comp_targetILNS1_3genE9ELNS1_11target_archE1100ELNS1_3gpuE3ELNS1_3repE0EEENS1_30default_config_static_selectorELNS0_4arch9wavefront6targetE0EEEvT1_,"axG",@progbits,_ZN7rocprim17ROCPRIM_400000_NS6detail17trampoline_kernelINS0_14default_configENS1_29reduce_by_key_config_selectorIllN6thrust23THRUST_200600_302600_NS4plusIlEEEEZZNS1_33reduce_by_key_impl_wrapped_configILNS1_25lookback_scan_determinismE0ES3_S9_NS6_18transform_iteratorI6div_opNS6_17counting_iteratorIlNS6_11use_defaultESF_SF_EESF_SF_EENSC_I6mod_opSG_SF_SF_EENS6_6detail15normal_iteratorINS6_10device_ptrIlEEEESO_PmS8_NS6_8equal_toIlEEEE10hipError_tPvRmT2_T3_mT4_T5_T6_T7_T8_P12ihipStream_tbENKUlT_T0_E_clISt17integral_constantIbLb0EES18_IbLb1EEEEDaS14_S15_EUlS14_E_NS1_11comp_targetILNS1_3genE9ELNS1_11target_archE1100ELNS1_3gpuE3ELNS1_3repE0EEENS1_30default_config_static_selectorELNS0_4arch9wavefront6targetE0EEEvT1_,comdat
	.protected	_ZN7rocprim17ROCPRIM_400000_NS6detail17trampoline_kernelINS0_14default_configENS1_29reduce_by_key_config_selectorIllN6thrust23THRUST_200600_302600_NS4plusIlEEEEZZNS1_33reduce_by_key_impl_wrapped_configILNS1_25lookback_scan_determinismE0ES3_S9_NS6_18transform_iteratorI6div_opNS6_17counting_iteratorIlNS6_11use_defaultESF_SF_EESF_SF_EENSC_I6mod_opSG_SF_SF_EENS6_6detail15normal_iteratorINS6_10device_ptrIlEEEESO_PmS8_NS6_8equal_toIlEEEE10hipError_tPvRmT2_T3_mT4_T5_T6_T7_T8_P12ihipStream_tbENKUlT_T0_E_clISt17integral_constantIbLb0EES18_IbLb1EEEEDaS14_S15_EUlS14_E_NS1_11comp_targetILNS1_3genE9ELNS1_11target_archE1100ELNS1_3gpuE3ELNS1_3repE0EEENS1_30default_config_static_selectorELNS0_4arch9wavefront6targetE0EEEvT1_ ; -- Begin function _ZN7rocprim17ROCPRIM_400000_NS6detail17trampoline_kernelINS0_14default_configENS1_29reduce_by_key_config_selectorIllN6thrust23THRUST_200600_302600_NS4plusIlEEEEZZNS1_33reduce_by_key_impl_wrapped_configILNS1_25lookback_scan_determinismE0ES3_S9_NS6_18transform_iteratorI6div_opNS6_17counting_iteratorIlNS6_11use_defaultESF_SF_EESF_SF_EENSC_I6mod_opSG_SF_SF_EENS6_6detail15normal_iteratorINS6_10device_ptrIlEEEESO_PmS8_NS6_8equal_toIlEEEE10hipError_tPvRmT2_T3_mT4_T5_T6_T7_T8_P12ihipStream_tbENKUlT_T0_E_clISt17integral_constantIbLb0EES18_IbLb1EEEEDaS14_S15_EUlS14_E_NS1_11comp_targetILNS1_3genE9ELNS1_11target_archE1100ELNS1_3gpuE3ELNS1_3repE0EEENS1_30default_config_static_selectorELNS0_4arch9wavefront6targetE0EEEvT1_
	.globl	_ZN7rocprim17ROCPRIM_400000_NS6detail17trampoline_kernelINS0_14default_configENS1_29reduce_by_key_config_selectorIllN6thrust23THRUST_200600_302600_NS4plusIlEEEEZZNS1_33reduce_by_key_impl_wrapped_configILNS1_25lookback_scan_determinismE0ES3_S9_NS6_18transform_iteratorI6div_opNS6_17counting_iteratorIlNS6_11use_defaultESF_SF_EESF_SF_EENSC_I6mod_opSG_SF_SF_EENS6_6detail15normal_iteratorINS6_10device_ptrIlEEEESO_PmS8_NS6_8equal_toIlEEEE10hipError_tPvRmT2_T3_mT4_T5_T6_T7_T8_P12ihipStream_tbENKUlT_T0_E_clISt17integral_constantIbLb0EES18_IbLb1EEEEDaS14_S15_EUlS14_E_NS1_11comp_targetILNS1_3genE9ELNS1_11target_archE1100ELNS1_3gpuE3ELNS1_3repE0EEENS1_30default_config_static_selectorELNS0_4arch9wavefront6targetE0EEEvT1_
	.p2align	8
	.type	_ZN7rocprim17ROCPRIM_400000_NS6detail17trampoline_kernelINS0_14default_configENS1_29reduce_by_key_config_selectorIllN6thrust23THRUST_200600_302600_NS4plusIlEEEEZZNS1_33reduce_by_key_impl_wrapped_configILNS1_25lookback_scan_determinismE0ES3_S9_NS6_18transform_iteratorI6div_opNS6_17counting_iteratorIlNS6_11use_defaultESF_SF_EESF_SF_EENSC_I6mod_opSG_SF_SF_EENS6_6detail15normal_iteratorINS6_10device_ptrIlEEEESO_PmS8_NS6_8equal_toIlEEEE10hipError_tPvRmT2_T3_mT4_T5_T6_T7_T8_P12ihipStream_tbENKUlT_T0_E_clISt17integral_constantIbLb0EES18_IbLb1EEEEDaS14_S15_EUlS14_E_NS1_11comp_targetILNS1_3genE9ELNS1_11target_archE1100ELNS1_3gpuE3ELNS1_3repE0EEENS1_30default_config_static_selectorELNS0_4arch9wavefront6targetE0EEEvT1_,@function
_ZN7rocprim17ROCPRIM_400000_NS6detail17trampoline_kernelINS0_14default_configENS1_29reduce_by_key_config_selectorIllN6thrust23THRUST_200600_302600_NS4plusIlEEEEZZNS1_33reduce_by_key_impl_wrapped_configILNS1_25lookback_scan_determinismE0ES3_S9_NS6_18transform_iteratorI6div_opNS6_17counting_iteratorIlNS6_11use_defaultESF_SF_EESF_SF_EENSC_I6mod_opSG_SF_SF_EENS6_6detail15normal_iteratorINS6_10device_ptrIlEEEESO_PmS8_NS6_8equal_toIlEEEE10hipError_tPvRmT2_T3_mT4_T5_T6_T7_T8_P12ihipStream_tbENKUlT_T0_E_clISt17integral_constantIbLb0EES18_IbLb1EEEEDaS14_S15_EUlS14_E_NS1_11comp_targetILNS1_3genE9ELNS1_11target_archE1100ELNS1_3gpuE3ELNS1_3repE0EEENS1_30default_config_static_selectorELNS0_4arch9wavefront6targetE0EEEvT1_: ; @_ZN7rocprim17ROCPRIM_400000_NS6detail17trampoline_kernelINS0_14default_configENS1_29reduce_by_key_config_selectorIllN6thrust23THRUST_200600_302600_NS4plusIlEEEEZZNS1_33reduce_by_key_impl_wrapped_configILNS1_25lookback_scan_determinismE0ES3_S9_NS6_18transform_iteratorI6div_opNS6_17counting_iteratorIlNS6_11use_defaultESF_SF_EESF_SF_EENSC_I6mod_opSG_SF_SF_EENS6_6detail15normal_iteratorINS6_10device_ptrIlEEEESO_PmS8_NS6_8equal_toIlEEEE10hipError_tPvRmT2_T3_mT4_T5_T6_T7_T8_P12ihipStream_tbENKUlT_T0_E_clISt17integral_constantIbLb0EES18_IbLb1EEEEDaS14_S15_EUlS14_E_NS1_11comp_targetILNS1_3genE9ELNS1_11target_archE1100ELNS1_3gpuE3ELNS1_3repE0EEENS1_30default_config_static_selectorELNS0_4arch9wavefront6targetE0EEEvT1_
; %bb.0:
	s_load_b64 s[28:29], s[0:1], 0x88
	v_cmp_ne_u32_e64 s3, 0, v0
	v_cmp_eq_u32_e64 s2, 0, v0
	s_delay_alu instid0(VALU_DEP_1)
	s_and_saveexec_b32 s4, s2
	s_cbranch_execz .LBB1169_4
; %bb.1:
	s_mov_b32 s6, exec_lo
	s_mov_b32 s5, exec_lo
	v_mbcnt_lo_u32_b32 v1, s6, 0
                                        ; implicit-def: $vgpr2
	s_delay_alu instid0(VALU_DEP_1)
	v_cmpx_eq_u32_e32 0, v1
	s_cbranch_execz .LBB1169_3
; %bb.2:
	s_load_b64 s[8:9], s[0:1], 0x90
	s_bcnt1_i32_b32 s6, s6
	s_delay_alu instid0(SALU_CYCLE_1)
	v_dual_mov_b32 v2, 0 :: v_dual_mov_b32 v3, s6
	s_waitcnt lgkmcnt(0)
	global_atomic_add_u32 v2, v2, v3, s[8:9] glc
.LBB1169_3:
	s_or_b32 exec_lo, exec_lo, s5
	s_waitcnt vmcnt(0)
	v_readfirstlane_b32 s5, v2
	s_delay_alu instid0(VALU_DEP_1)
	v_dual_mov_b32 v2, 0 :: v_dual_add_nc_u32 v1, s5, v1
	ds_store_b32 v2, v1
.LBB1169_4:
	s_or_b32 exec_lo, exec_lo, s4
	v_mov_b32_e32 v1, 0
	s_clause 0x1
	s_load_b512 s[36:51], s[0:1], 0x0
	s_load_b512 s[52:67], s[0:1], 0x48
	s_waitcnt lgkmcnt(0)
	s_barrier
	buffer_gl0_inv
	ds_load_b32 v2, v1
	s_waitcnt lgkmcnt(0)
	s_barrier
	buffer_gl0_inv
	s_add_u32 s0, s40, s36
	s_mul_i32 s1, s60, s59
	s_mul_hi_u32 s4, s60, s58
	s_addc_u32 s7, s41, s37
	s_add_u32 s8, s42, s40
	v_readfirstlane_b32 s33, v2
	s_mul_i32 s5, s61, s58
	s_addc_u32 s9, s43, s41
	s_add_i32 s1, s4, s1
	s_mul_i32 s6, s60, s58
	s_mul_i32 s4, s33, 0xf00
	s_add_i32 s1, s1, s5
	s_add_u32 s24, s0, s4
	s_addc_u32 s25, s7, 0
	s_add_u32 s30, s8, s4
	s_addc_u32 s31, s9, 0
	;; [unrolled: 2-line block ×3, first 2 shown]
	s_add_u32 s0, s62, -1
	s_addc_u32 s1, s63, -1
	s_mul_i32 s34, s0, 0xfffff100
	s_cmp_eq_u64 s[18:19], s[0:1]
	s_cselect_b32 s27, -1, 0
	s_cmp_lg_u64 s[18:19], s[0:1]
	s_cselect_b32 s26, -1, 0
	s_and_b32 vcc_lo, exec_lo, s27
	s_cbranch_vccnz .LBB1169_126
; %bb.5:
	v_add_co_u32 v29, s0, s24, v0
	s_delay_alu instid0(VALU_DEP_1) | instskip(NEXT) | instid1(VALU_DEP_1)
	v_add_co_ci_u32_e64 v30, null, s25, 0, s0
	v_or_b32_e32 v2, s39, v30
	s_delay_alu instid0(VALU_DEP_1) | instskip(SKIP_1) | instid1(SALU_CYCLE_1)
	v_cmp_ne_u64_e32 vcc_lo, 0, v[1:2]
                                        ; implicit-def: $vgpr1_vgpr2
	s_and_saveexec_b32 s0, vcc_lo
	s_xor_b32 s1, exec_lo, s0
	s_cbranch_execz .LBB1169_7
; %bb.6:
	s_ashr_i32 s4, s39, 31
	s_delay_alu instid0(SALU_CYCLE_1) | instskip(SKIP_2) | instid1(SALU_CYCLE_1)
	s_add_u32 s6, s38, s4
	s_mov_b32 s5, s4
	s_addc_u32 s7, s39, s4
	s_xor_b64 s[6:7], s[6:7], s[4:5]
	s_delay_alu instid0(SALU_CYCLE_1) | instskip(SKIP_3) | instid1(VALU_DEP_1)
	v_cvt_f32_u32_e32 v1, s6
	v_cvt_f32_u32_e32 v2, s7
	s_sub_u32 s0, 0, s6
	s_subb_u32 s5, 0, s7
	v_fmamk_f32 v1, v2, 0x4f800000, v1
	s_delay_alu instid0(VALU_DEP_1) | instskip(SKIP_2) | instid1(VALU_DEP_1)
	v_rcp_f32_e32 v1, v1
	s_waitcnt_depctr 0xfff
	v_mul_f32_e32 v1, 0x5f7ffffc, v1
	v_mul_f32_e32 v2, 0x2f800000, v1
	s_delay_alu instid0(VALU_DEP_1) | instskip(NEXT) | instid1(VALU_DEP_1)
	v_trunc_f32_e32 v2, v2
	v_fmamk_f32 v1, v2, 0xcf800000, v1
	v_cvt_u32_f32_e32 v2, v2
	s_delay_alu instid0(VALU_DEP_2) | instskip(NEXT) | instid1(VALU_DEP_2)
	v_cvt_u32_f32_e32 v1, v1
	v_mul_lo_u32 v3, s0, v2
	s_delay_alu instid0(VALU_DEP_2) | instskip(SKIP_1) | instid1(VALU_DEP_2)
	v_mul_hi_u32 v4, s0, v1
	v_mul_lo_u32 v5, s5, v1
	v_add_nc_u32_e32 v3, v4, v3
	v_mul_lo_u32 v4, s0, v1
	s_delay_alu instid0(VALU_DEP_2) | instskip(NEXT) | instid1(VALU_DEP_2)
	v_add_nc_u32_e32 v3, v3, v5
	v_mul_hi_u32 v5, v1, v4
	s_delay_alu instid0(VALU_DEP_2)
	v_mul_lo_u32 v6, v1, v3
	v_mul_hi_u32 v7, v1, v3
	v_mul_hi_u32 v8, v2, v4
	v_mul_lo_u32 v4, v2, v4
	v_mul_hi_u32 v9, v2, v3
	v_mul_lo_u32 v3, v2, v3
	v_add_co_u32 v5, vcc_lo, v5, v6
	v_add_co_ci_u32_e32 v6, vcc_lo, 0, v7, vcc_lo
	s_delay_alu instid0(VALU_DEP_2) | instskip(NEXT) | instid1(VALU_DEP_2)
	v_add_co_u32 v4, vcc_lo, v5, v4
	v_add_co_ci_u32_e32 v4, vcc_lo, v6, v8, vcc_lo
	v_add_co_ci_u32_e32 v5, vcc_lo, 0, v9, vcc_lo
	v_ashrrev_i32_e32 v8, 31, v30
	s_delay_alu instid0(VALU_DEP_3) | instskip(NEXT) | instid1(VALU_DEP_3)
	v_add_co_u32 v3, vcc_lo, v4, v3
	v_add_co_ci_u32_e32 v4, vcc_lo, 0, v5, vcc_lo
	s_delay_alu instid0(VALU_DEP_2) | instskip(NEXT) | instid1(VALU_DEP_2)
	v_add_co_u32 v1, vcc_lo, v1, v3
	v_add_co_ci_u32_e32 v2, vcc_lo, v2, v4, vcc_lo
	s_delay_alu instid0(VALU_DEP_2) | instskip(SKIP_1) | instid1(VALU_DEP_3)
	v_mul_hi_u32 v3, s0, v1
	v_mul_lo_u32 v5, s5, v1
	v_mul_lo_u32 v4, s0, v2
	s_delay_alu instid0(VALU_DEP_1) | instskip(SKIP_1) | instid1(VALU_DEP_2)
	v_add_nc_u32_e32 v3, v3, v4
	v_mul_lo_u32 v4, s0, v1
	v_add_nc_u32_e32 v3, v3, v5
	s_delay_alu instid0(VALU_DEP_2) | instskip(NEXT) | instid1(VALU_DEP_2)
	v_mul_hi_u32 v5, v1, v4
	v_mul_lo_u32 v6, v1, v3
	v_mul_hi_u32 v7, v1, v3
	v_mul_hi_u32 v9, v2, v4
	v_mul_lo_u32 v4, v2, v4
	v_mul_hi_u32 v10, v2, v3
	v_mul_lo_u32 v3, v2, v3
	v_add_co_u32 v5, vcc_lo, v5, v6
	v_add_co_ci_u32_e32 v6, vcc_lo, 0, v7, vcc_lo
	s_delay_alu instid0(VALU_DEP_2) | instskip(NEXT) | instid1(VALU_DEP_2)
	v_add_co_u32 v4, vcc_lo, v5, v4
	v_add_co_ci_u32_e32 v4, vcc_lo, v6, v9, vcc_lo
	v_add_co_ci_u32_e32 v5, vcc_lo, 0, v10, vcc_lo
	v_add_co_u32 v6, vcc_lo, v29, v8
	v_add_co_ci_u32_e32 v7, vcc_lo, v30, v8, vcc_lo
	s_delay_alu instid0(VALU_DEP_4) | instskip(NEXT) | instid1(VALU_DEP_4)
	v_add_co_u32 v3, vcc_lo, v4, v3
	v_add_co_ci_u32_e32 v4, vcc_lo, 0, v5, vcc_lo
	s_delay_alu instid0(VALU_DEP_4) | instskip(NEXT) | instid1(VALU_DEP_3)
	v_xor_b32_e32 v9, v6, v8
	v_add_co_u32 v5, vcc_lo, v1, v3
	s_delay_alu instid0(VALU_DEP_3) | instskip(SKIP_1) | instid1(VALU_DEP_3)
	v_add_co_ci_u32_e32 v10, vcc_lo, v2, v4, vcc_lo
	v_xor_b32_e32 v7, v7, v8
	v_mul_hi_u32 v11, v9, v5
	s_delay_alu instid0(VALU_DEP_3) | instskip(NEXT) | instid1(VALU_DEP_3)
	v_mad_u64_u32 v[1:2], null, v9, v10, 0
	v_mad_u64_u32 v[3:4], null, v7, v5, 0
	;; [unrolled: 1-line block ×3, first 2 shown]
	s_delay_alu instid0(VALU_DEP_3) | instskip(NEXT) | instid1(VALU_DEP_4)
	v_add_co_u32 v1, vcc_lo, v11, v1
	v_add_co_ci_u32_e32 v2, vcc_lo, 0, v2, vcc_lo
	s_delay_alu instid0(VALU_DEP_2) | instskip(NEXT) | instid1(VALU_DEP_2)
	v_add_co_u32 v1, vcc_lo, v1, v3
	v_add_co_ci_u32_e32 v1, vcc_lo, v2, v4, vcc_lo
	v_add_co_ci_u32_e32 v2, vcc_lo, 0, v6, vcc_lo
	s_delay_alu instid0(VALU_DEP_2) | instskip(NEXT) | instid1(VALU_DEP_2)
	v_add_co_u32 v3, vcc_lo, v1, v5
	v_add_co_ci_u32_e32 v4, vcc_lo, 0, v2, vcc_lo
	s_delay_alu instid0(VALU_DEP_2) | instskip(SKIP_1) | instid1(VALU_DEP_3)
	v_mul_lo_u32 v5, s7, v3
	v_mad_u64_u32 v[1:2], null, s6, v3, 0
	v_mul_lo_u32 v6, s6, v4
	s_delay_alu instid0(VALU_DEP_2) | instskip(NEXT) | instid1(VALU_DEP_2)
	v_sub_co_u32 v1, vcc_lo, v9, v1
	v_add3_u32 v2, v2, v6, v5
	s_delay_alu instid0(VALU_DEP_1) | instskip(NEXT) | instid1(VALU_DEP_1)
	v_sub_nc_u32_e32 v5, v7, v2
	v_subrev_co_ci_u32_e64 v5, s0, s7, v5, vcc_lo
	v_add_co_u32 v6, s0, v3, 2
	s_delay_alu instid0(VALU_DEP_1) | instskip(SKIP_3) | instid1(VALU_DEP_3)
	v_add_co_ci_u32_e64 v9, s0, 0, v4, s0
	v_sub_co_u32 v10, s0, v1, s6
	v_sub_co_ci_u32_e32 v2, vcc_lo, v7, v2, vcc_lo
	v_subrev_co_ci_u32_e64 v5, s0, 0, v5, s0
	v_cmp_le_u32_e32 vcc_lo, s6, v10
	s_delay_alu instid0(VALU_DEP_3) | instskip(SKIP_1) | instid1(VALU_DEP_4)
	v_cmp_eq_u32_e64 s0, s7, v2
	v_cndmask_b32_e64 v7, 0, -1, vcc_lo
	v_cmp_le_u32_e32 vcc_lo, s7, v5
	v_cndmask_b32_e64 v10, 0, -1, vcc_lo
	v_cmp_le_u32_e32 vcc_lo, s6, v1
	;; [unrolled: 2-line block ×3, first 2 shown]
	v_cndmask_b32_e64 v11, 0, -1, vcc_lo
	v_cmp_eq_u32_e32 vcc_lo, s7, v5
	s_delay_alu instid0(VALU_DEP_2) | instskip(SKIP_3) | instid1(VALU_DEP_3)
	v_cndmask_b32_e64 v1, v11, v1, s0
	v_cndmask_b32_e32 v5, v10, v7, vcc_lo
	v_add_co_u32 v7, vcc_lo, v3, 1
	v_add_co_ci_u32_e32 v10, vcc_lo, 0, v4, vcc_lo
	v_cmp_ne_u32_e32 vcc_lo, 0, v5
	s_delay_alu instid0(VALU_DEP_2) | instskip(SKIP_2) | instid1(VALU_DEP_3)
	v_dual_cndmask_b32 v2, v10, v9 :: v_dual_cndmask_b32 v5, v7, v6
	v_cmp_ne_u32_e32 vcc_lo, 0, v1
	v_xor_b32_e32 v6, s4, v8
	v_dual_cndmask_b32 v1, v4, v2 :: v_dual_cndmask_b32 v2, v3, v5
	s_delay_alu instid0(VALU_DEP_1) | instskip(NEXT) | instid1(VALU_DEP_2)
	v_xor_b32_e32 v3, v1, v6
	v_xor_b32_e32 v2, v2, v6
	s_delay_alu instid0(VALU_DEP_1) | instskip(NEXT) | instid1(VALU_DEP_3)
	v_sub_co_u32 v1, vcc_lo, v2, v6
	v_sub_co_ci_u32_e32 v2, vcc_lo, v3, v6, vcc_lo
.LBB1169_7:
	s_and_not1_saveexec_b32 s0, s1
	s_cbranch_execz .LBB1169_9
; %bb.8:
	v_cvt_f32_u32_e32 v1, s38
	s_sub_i32 s1, 0, s38
	s_delay_alu instid0(VALU_DEP_1) | instskip(SKIP_2) | instid1(VALU_DEP_1)
	v_rcp_iflag_f32_e32 v1, v1
	s_waitcnt_depctr 0xfff
	v_mul_f32_e32 v1, 0x4f7ffffe, v1
	v_cvt_u32_f32_e32 v1, v1
	s_delay_alu instid0(VALU_DEP_1) | instskip(NEXT) | instid1(VALU_DEP_1)
	v_mul_lo_u32 v2, s1, v1
	v_mul_hi_u32 v2, v1, v2
	s_delay_alu instid0(VALU_DEP_1) | instskip(NEXT) | instid1(VALU_DEP_1)
	v_add_nc_u32_e32 v1, v1, v2
	v_mul_hi_u32 v1, v29, v1
	s_delay_alu instid0(VALU_DEP_1) | instskip(SKIP_1) | instid1(VALU_DEP_2)
	v_mul_lo_u32 v2, v1, s38
	v_add_nc_u32_e32 v3, 1, v1
	v_sub_nc_u32_e32 v2, v29, v2
	s_delay_alu instid0(VALU_DEP_1) | instskip(SKIP_1) | instid1(VALU_DEP_2)
	v_subrev_nc_u32_e32 v4, s38, v2
	v_cmp_le_u32_e32 vcc_lo, s38, v2
	v_dual_cndmask_b32 v2, v2, v4 :: v_dual_cndmask_b32 v1, v1, v3
	s_delay_alu instid0(VALU_DEP_1) | instskip(NEXT) | instid1(VALU_DEP_2)
	v_cmp_le_u32_e32 vcc_lo, s38, v2
	v_dual_mov_b32 v2, 0 :: v_dual_add_nc_u32 v3, 1, v1
	s_delay_alu instid0(VALU_DEP_1)
	v_cndmask_b32_e32 v1, v1, v3, vcc_lo
.LBB1169_9:
	s_or_b32 exec_lo, exec_lo, s0
	v_add_co_u32 v5, vcc_lo, 0x100, v29
	v_add_co_ci_u32_e32 v6, vcc_lo, 0, v30, vcc_lo
	v_mov_b32_e32 v3, 0
	s_delay_alu instid0(VALU_DEP_2) | instskip(NEXT) | instid1(VALU_DEP_1)
	v_or_b32_e32 v4, s39, v6
	v_cmp_ne_u64_e32 vcc_lo, 0, v[3:4]
                                        ; implicit-def: $vgpr3_vgpr4
	s_and_saveexec_b32 s0, vcc_lo
	s_delay_alu instid0(SALU_CYCLE_1)
	s_xor_b32 s1, exec_lo, s0
	s_cbranch_execz .LBB1169_11
; %bb.10:
	s_ashr_i32 s4, s39, 31
	s_delay_alu instid0(SALU_CYCLE_1) | instskip(SKIP_2) | instid1(SALU_CYCLE_1)
	s_add_u32 s6, s38, s4
	s_mov_b32 s5, s4
	s_addc_u32 s7, s39, s4
	s_xor_b64 s[6:7], s[6:7], s[4:5]
	s_delay_alu instid0(SALU_CYCLE_1) | instskip(SKIP_3) | instid1(VALU_DEP_1)
	v_cvt_f32_u32_e32 v3, s6
	v_cvt_f32_u32_e32 v4, s7
	s_sub_u32 s0, 0, s6
	s_subb_u32 s5, 0, s7
	v_fmamk_f32 v3, v4, 0x4f800000, v3
	s_delay_alu instid0(VALU_DEP_1) | instskip(SKIP_2) | instid1(VALU_DEP_1)
	v_rcp_f32_e32 v3, v3
	s_waitcnt_depctr 0xfff
	v_mul_f32_e32 v3, 0x5f7ffffc, v3
	v_mul_f32_e32 v4, 0x2f800000, v3
	s_delay_alu instid0(VALU_DEP_1) | instskip(NEXT) | instid1(VALU_DEP_1)
	v_trunc_f32_e32 v4, v4
	v_fmamk_f32 v3, v4, 0xcf800000, v3
	v_cvt_u32_f32_e32 v4, v4
	s_delay_alu instid0(VALU_DEP_2) | instskip(NEXT) | instid1(VALU_DEP_2)
	v_cvt_u32_f32_e32 v3, v3
	v_mul_lo_u32 v7, s0, v4
	s_delay_alu instid0(VALU_DEP_2) | instskip(SKIP_1) | instid1(VALU_DEP_2)
	v_mul_hi_u32 v8, s0, v3
	v_mul_lo_u32 v9, s5, v3
	v_add_nc_u32_e32 v7, v8, v7
	v_mul_lo_u32 v8, s0, v3
	s_delay_alu instid0(VALU_DEP_2) | instskip(NEXT) | instid1(VALU_DEP_2)
	v_add_nc_u32_e32 v7, v7, v9
	v_mul_hi_u32 v9, v3, v8
	s_delay_alu instid0(VALU_DEP_2)
	v_mul_lo_u32 v10, v3, v7
	v_mul_hi_u32 v11, v3, v7
	v_mul_hi_u32 v12, v4, v8
	v_mul_lo_u32 v8, v4, v8
	v_mul_hi_u32 v13, v4, v7
	v_mul_lo_u32 v7, v4, v7
	v_add_co_u32 v9, vcc_lo, v9, v10
	v_add_co_ci_u32_e32 v10, vcc_lo, 0, v11, vcc_lo
	s_delay_alu instid0(VALU_DEP_2) | instskip(NEXT) | instid1(VALU_DEP_2)
	v_add_co_u32 v8, vcc_lo, v9, v8
	v_add_co_ci_u32_e32 v8, vcc_lo, v10, v12, vcc_lo
	v_add_co_ci_u32_e32 v9, vcc_lo, 0, v13, vcc_lo
	v_ashrrev_i32_e32 v12, 31, v6
	s_delay_alu instid0(VALU_DEP_3) | instskip(NEXT) | instid1(VALU_DEP_3)
	v_add_co_u32 v7, vcc_lo, v8, v7
	v_add_co_ci_u32_e32 v8, vcc_lo, 0, v9, vcc_lo
	s_delay_alu instid0(VALU_DEP_2) | instskip(NEXT) | instid1(VALU_DEP_2)
	v_add_co_u32 v3, vcc_lo, v3, v7
	v_add_co_ci_u32_e32 v4, vcc_lo, v4, v8, vcc_lo
	s_delay_alu instid0(VALU_DEP_2) | instskip(SKIP_1) | instid1(VALU_DEP_3)
	v_mul_hi_u32 v7, s0, v3
	v_mul_lo_u32 v9, s5, v3
	v_mul_lo_u32 v8, s0, v4
	s_delay_alu instid0(VALU_DEP_1) | instskip(SKIP_1) | instid1(VALU_DEP_2)
	v_add_nc_u32_e32 v7, v7, v8
	v_mul_lo_u32 v8, s0, v3
	v_add_nc_u32_e32 v7, v7, v9
	s_delay_alu instid0(VALU_DEP_2) | instskip(NEXT) | instid1(VALU_DEP_2)
	v_mul_hi_u32 v9, v3, v8
	v_mul_lo_u32 v10, v3, v7
	v_mul_hi_u32 v11, v3, v7
	v_mul_hi_u32 v13, v4, v8
	v_mul_lo_u32 v8, v4, v8
	v_mul_hi_u32 v14, v4, v7
	v_mul_lo_u32 v7, v4, v7
	v_add_co_u32 v9, vcc_lo, v9, v10
	v_add_co_ci_u32_e32 v10, vcc_lo, 0, v11, vcc_lo
	s_delay_alu instid0(VALU_DEP_2) | instskip(NEXT) | instid1(VALU_DEP_2)
	v_add_co_u32 v8, vcc_lo, v9, v8
	v_add_co_ci_u32_e32 v8, vcc_lo, v10, v13, vcc_lo
	v_add_co_ci_u32_e32 v9, vcc_lo, 0, v14, vcc_lo
	v_add_co_u32 v5, vcc_lo, v5, v12
	v_add_co_ci_u32_e32 v6, vcc_lo, v6, v12, vcc_lo
	s_delay_alu instid0(VALU_DEP_4) | instskip(NEXT) | instid1(VALU_DEP_4)
	v_add_co_u32 v7, vcc_lo, v8, v7
	v_add_co_ci_u32_e32 v8, vcc_lo, 0, v9, vcc_lo
	s_delay_alu instid0(VALU_DEP_4) | instskip(NEXT) | instid1(VALU_DEP_3)
	v_xor_b32_e32 v9, v5, v12
	v_add_co_u32 v7, vcc_lo, v3, v7
	s_delay_alu instid0(VALU_DEP_3) | instskip(SKIP_1) | instid1(VALU_DEP_3)
	v_add_co_ci_u32_e32 v10, vcc_lo, v4, v8, vcc_lo
	v_xor_b32_e32 v11, v6, v12
	v_mul_hi_u32 v13, v9, v7
	s_delay_alu instid0(VALU_DEP_3) | instskip(NEXT) | instid1(VALU_DEP_3)
	v_mad_u64_u32 v[3:4], null, v9, v10, 0
	v_mad_u64_u32 v[5:6], null, v11, v7, 0
	;; [unrolled: 1-line block ×3, first 2 shown]
	s_delay_alu instid0(VALU_DEP_3) | instskip(NEXT) | instid1(VALU_DEP_4)
	v_add_co_u32 v3, vcc_lo, v13, v3
	v_add_co_ci_u32_e32 v4, vcc_lo, 0, v4, vcc_lo
	s_delay_alu instid0(VALU_DEP_2) | instskip(NEXT) | instid1(VALU_DEP_2)
	v_add_co_u32 v3, vcc_lo, v3, v5
	v_add_co_ci_u32_e32 v3, vcc_lo, v4, v6, vcc_lo
	v_add_co_ci_u32_e32 v4, vcc_lo, 0, v8, vcc_lo
	s_delay_alu instid0(VALU_DEP_2) | instskip(NEXT) | instid1(VALU_DEP_2)
	v_add_co_u32 v5, vcc_lo, v3, v7
	v_add_co_ci_u32_e32 v6, vcc_lo, 0, v4, vcc_lo
	s_delay_alu instid0(VALU_DEP_2) | instskip(SKIP_1) | instid1(VALU_DEP_3)
	v_mul_lo_u32 v7, s7, v5
	v_mad_u64_u32 v[3:4], null, s6, v5, 0
	v_mul_lo_u32 v8, s6, v6
	s_delay_alu instid0(VALU_DEP_2) | instskip(NEXT) | instid1(VALU_DEP_2)
	v_sub_co_u32 v3, vcc_lo, v9, v3
	v_add3_u32 v4, v4, v8, v7
	s_delay_alu instid0(VALU_DEP_1) | instskip(NEXT) | instid1(VALU_DEP_1)
	v_sub_nc_u32_e32 v7, v11, v4
	v_subrev_co_ci_u32_e64 v7, s0, s7, v7, vcc_lo
	v_add_co_u32 v8, s0, v5, 2
	s_delay_alu instid0(VALU_DEP_1) | instskip(SKIP_3) | instid1(VALU_DEP_3)
	v_add_co_ci_u32_e64 v9, s0, 0, v6, s0
	v_sub_co_u32 v10, s0, v3, s6
	v_sub_co_ci_u32_e32 v4, vcc_lo, v11, v4, vcc_lo
	v_subrev_co_ci_u32_e64 v7, s0, 0, v7, s0
	v_cmp_le_u32_e32 vcc_lo, s6, v10
	s_delay_alu instid0(VALU_DEP_3) | instskip(SKIP_1) | instid1(VALU_DEP_4)
	v_cmp_eq_u32_e64 s0, s7, v4
	v_cndmask_b32_e64 v10, 0, -1, vcc_lo
	v_cmp_le_u32_e32 vcc_lo, s7, v7
	v_cndmask_b32_e64 v11, 0, -1, vcc_lo
	v_cmp_le_u32_e32 vcc_lo, s6, v3
	;; [unrolled: 2-line block ×3, first 2 shown]
	v_cndmask_b32_e64 v13, 0, -1, vcc_lo
	v_cmp_eq_u32_e32 vcc_lo, s7, v7
	s_delay_alu instid0(VALU_DEP_2) | instskip(SKIP_3) | instid1(VALU_DEP_3)
	v_cndmask_b32_e64 v3, v13, v3, s0
	v_cndmask_b32_e32 v7, v11, v10, vcc_lo
	v_add_co_u32 v10, vcc_lo, v5, 1
	v_add_co_ci_u32_e32 v11, vcc_lo, 0, v6, vcc_lo
	v_cmp_ne_u32_e32 vcc_lo, 0, v7
	s_delay_alu instid0(VALU_DEP_2) | instskip(SKIP_2) | instid1(VALU_DEP_3)
	v_dual_cndmask_b32 v4, v11, v9 :: v_dual_cndmask_b32 v7, v10, v8
	v_cmp_ne_u32_e32 vcc_lo, 0, v3
	v_xor_b32_e32 v8, s4, v12
	v_dual_cndmask_b32 v3, v6, v4 :: v_dual_cndmask_b32 v4, v5, v7
	s_delay_alu instid0(VALU_DEP_1) | instskip(NEXT) | instid1(VALU_DEP_2)
	v_xor_b32_e32 v5, v3, v8
	v_xor_b32_e32 v4, v4, v8
	s_delay_alu instid0(VALU_DEP_1) | instskip(NEXT) | instid1(VALU_DEP_3)
	v_sub_co_u32 v3, vcc_lo, v4, v8
	v_sub_co_ci_u32_e32 v4, vcc_lo, v5, v8, vcc_lo
                                        ; implicit-def: $vgpr5
.LBB1169_11:
	s_and_not1_saveexec_b32 s0, s1
	s_cbranch_execz .LBB1169_13
; %bb.12:
	v_cvt_f32_u32_e32 v3, s38
	s_sub_i32 s1, 0, s38
	s_delay_alu instid0(VALU_DEP_1) | instskip(SKIP_2) | instid1(VALU_DEP_1)
	v_rcp_iflag_f32_e32 v3, v3
	s_waitcnt_depctr 0xfff
	v_mul_f32_e32 v3, 0x4f7ffffe, v3
	v_cvt_u32_f32_e32 v3, v3
	s_delay_alu instid0(VALU_DEP_1) | instskip(NEXT) | instid1(VALU_DEP_1)
	v_mul_lo_u32 v4, s1, v3
	v_mul_hi_u32 v4, v3, v4
	s_delay_alu instid0(VALU_DEP_1) | instskip(NEXT) | instid1(VALU_DEP_1)
	v_add_nc_u32_e32 v3, v3, v4
	v_mul_hi_u32 v3, v5, v3
	s_delay_alu instid0(VALU_DEP_1) | instskip(NEXT) | instid1(VALU_DEP_1)
	v_mul_lo_u32 v4, v3, s38
	v_sub_nc_u32_e32 v4, v5, v4
	v_add_nc_u32_e32 v5, 1, v3
	s_delay_alu instid0(VALU_DEP_2) | instskip(SKIP_1) | instid1(VALU_DEP_2)
	v_subrev_nc_u32_e32 v6, s38, v4
	v_cmp_le_u32_e32 vcc_lo, s38, v4
	v_dual_cndmask_b32 v4, v4, v6 :: v_dual_cndmask_b32 v3, v3, v5
	s_delay_alu instid0(VALU_DEP_1) | instskip(NEXT) | instid1(VALU_DEP_2)
	v_cmp_le_u32_e32 vcc_lo, s38, v4
	v_dual_mov_b32 v4, 0 :: v_dual_add_nc_u32 v5, 1, v3
	s_delay_alu instid0(VALU_DEP_1)
	v_cndmask_b32_e32 v3, v3, v5, vcc_lo
.LBB1169_13:
	s_or_b32 exec_lo, exec_lo, s0
	v_add_co_u32 v7, vcc_lo, 0x200, v29
	v_add_co_ci_u32_e32 v8, vcc_lo, 0, v30, vcc_lo
	v_mov_b32_e32 v5, 0
	s_delay_alu instid0(VALU_DEP_2) | instskip(NEXT) | instid1(VALU_DEP_1)
	v_or_b32_e32 v6, s39, v8
	v_cmp_ne_u64_e32 vcc_lo, 0, v[5:6]
                                        ; implicit-def: $vgpr5_vgpr6
	s_and_saveexec_b32 s0, vcc_lo
	s_delay_alu instid0(SALU_CYCLE_1)
	s_xor_b32 s1, exec_lo, s0
	s_cbranch_execz .LBB1169_15
; %bb.14:
	s_ashr_i32 s4, s39, 31
	s_delay_alu instid0(SALU_CYCLE_1) | instskip(SKIP_2) | instid1(SALU_CYCLE_1)
	s_add_u32 s6, s38, s4
	s_mov_b32 s5, s4
	s_addc_u32 s7, s39, s4
	s_xor_b64 s[6:7], s[6:7], s[4:5]
	s_delay_alu instid0(SALU_CYCLE_1) | instskip(SKIP_3) | instid1(VALU_DEP_1)
	v_cvt_f32_u32_e32 v5, s6
	v_cvt_f32_u32_e32 v6, s7
	s_sub_u32 s0, 0, s6
	s_subb_u32 s5, 0, s7
	v_fmamk_f32 v5, v6, 0x4f800000, v5
	s_delay_alu instid0(VALU_DEP_1) | instskip(SKIP_2) | instid1(VALU_DEP_1)
	v_rcp_f32_e32 v5, v5
	s_waitcnt_depctr 0xfff
	v_mul_f32_e32 v5, 0x5f7ffffc, v5
	v_mul_f32_e32 v6, 0x2f800000, v5
	s_delay_alu instid0(VALU_DEP_1) | instskip(NEXT) | instid1(VALU_DEP_1)
	v_trunc_f32_e32 v6, v6
	v_fmamk_f32 v5, v6, 0xcf800000, v5
	v_cvt_u32_f32_e32 v6, v6
	s_delay_alu instid0(VALU_DEP_2) | instskip(NEXT) | instid1(VALU_DEP_2)
	v_cvt_u32_f32_e32 v5, v5
	v_mul_lo_u32 v9, s0, v6
	s_delay_alu instid0(VALU_DEP_2) | instskip(SKIP_1) | instid1(VALU_DEP_2)
	v_mul_hi_u32 v10, s0, v5
	v_mul_lo_u32 v11, s5, v5
	v_add_nc_u32_e32 v9, v10, v9
	v_mul_lo_u32 v10, s0, v5
	s_delay_alu instid0(VALU_DEP_2) | instskip(NEXT) | instid1(VALU_DEP_2)
	v_add_nc_u32_e32 v9, v9, v11
	v_mul_hi_u32 v11, v5, v10
	s_delay_alu instid0(VALU_DEP_2)
	v_mul_lo_u32 v12, v5, v9
	v_mul_hi_u32 v13, v5, v9
	v_mul_hi_u32 v14, v6, v10
	v_mul_lo_u32 v10, v6, v10
	v_mul_hi_u32 v15, v6, v9
	v_mul_lo_u32 v9, v6, v9
	v_add_co_u32 v11, vcc_lo, v11, v12
	v_add_co_ci_u32_e32 v12, vcc_lo, 0, v13, vcc_lo
	s_delay_alu instid0(VALU_DEP_2) | instskip(NEXT) | instid1(VALU_DEP_2)
	v_add_co_u32 v10, vcc_lo, v11, v10
	v_add_co_ci_u32_e32 v10, vcc_lo, v12, v14, vcc_lo
	v_add_co_ci_u32_e32 v11, vcc_lo, 0, v15, vcc_lo
	v_ashrrev_i32_e32 v14, 31, v8
	s_delay_alu instid0(VALU_DEP_3) | instskip(NEXT) | instid1(VALU_DEP_3)
	v_add_co_u32 v9, vcc_lo, v10, v9
	v_add_co_ci_u32_e32 v10, vcc_lo, 0, v11, vcc_lo
	s_delay_alu instid0(VALU_DEP_2) | instskip(NEXT) | instid1(VALU_DEP_2)
	v_add_co_u32 v5, vcc_lo, v5, v9
	v_add_co_ci_u32_e32 v6, vcc_lo, v6, v10, vcc_lo
	s_delay_alu instid0(VALU_DEP_2) | instskip(SKIP_1) | instid1(VALU_DEP_3)
	v_mul_hi_u32 v9, s0, v5
	v_mul_lo_u32 v11, s5, v5
	v_mul_lo_u32 v10, s0, v6
	s_delay_alu instid0(VALU_DEP_1) | instskip(SKIP_1) | instid1(VALU_DEP_2)
	v_add_nc_u32_e32 v9, v9, v10
	v_mul_lo_u32 v10, s0, v5
	v_add_nc_u32_e32 v9, v9, v11
	s_delay_alu instid0(VALU_DEP_2) | instskip(NEXT) | instid1(VALU_DEP_2)
	v_mul_hi_u32 v11, v5, v10
	v_mul_lo_u32 v12, v5, v9
	v_mul_hi_u32 v13, v5, v9
	v_mul_hi_u32 v15, v6, v10
	v_mul_lo_u32 v10, v6, v10
	v_mul_hi_u32 v16, v6, v9
	v_mul_lo_u32 v9, v6, v9
	v_add_co_u32 v11, vcc_lo, v11, v12
	v_add_co_ci_u32_e32 v12, vcc_lo, 0, v13, vcc_lo
	s_delay_alu instid0(VALU_DEP_2) | instskip(NEXT) | instid1(VALU_DEP_2)
	v_add_co_u32 v10, vcc_lo, v11, v10
	v_add_co_ci_u32_e32 v10, vcc_lo, v12, v15, vcc_lo
	v_add_co_ci_u32_e32 v11, vcc_lo, 0, v16, vcc_lo
	v_add_co_u32 v7, vcc_lo, v7, v14
	v_add_co_ci_u32_e32 v8, vcc_lo, v8, v14, vcc_lo
	s_delay_alu instid0(VALU_DEP_4) | instskip(NEXT) | instid1(VALU_DEP_4)
	v_add_co_u32 v9, vcc_lo, v10, v9
	v_add_co_ci_u32_e32 v10, vcc_lo, 0, v11, vcc_lo
	s_delay_alu instid0(VALU_DEP_4) | instskip(NEXT) | instid1(VALU_DEP_3)
	v_xor_b32_e32 v11, v7, v14
	v_add_co_u32 v9, vcc_lo, v5, v9
	s_delay_alu instid0(VALU_DEP_3) | instskip(SKIP_1) | instid1(VALU_DEP_3)
	v_add_co_ci_u32_e32 v12, vcc_lo, v6, v10, vcc_lo
	v_xor_b32_e32 v13, v8, v14
	v_mul_hi_u32 v15, v11, v9
	s_delay_alu instid0(VALU_DEP_3) | instskip(NEXT) | instid1(VALU_DEP_3)
	v_mad_u64_u32 v[5:6], null, v11, v12, 0
	v_mad_u64_u32 v[7:8], null, v13, v9, 0
	;; [unrolled: 1-line block ×3, first 2 shown]
	s_delay_alu instid0(VALU_DEP_3) | instskip(NEXT) | instid1(VALU_DEP_4)
	v_add_co_u32 v5, vcc_lo, v15, v5
	v_add_co_ci_u32_e32 v6, vcc_lo, 0, v6, vcc_lo
	s_delay_alu instid0(VALU_DEP_2) | instskip(NEXT) | instid1(VALU_DEP_2)
	v_add_co_u32 v5, vcc_lo, v5, v7
	v_add_co_ci_u32_e32 v5, vcc_lo, v6, v8, vcc_lo
	v_add_co_ci_u32_e32 v6, vcc_lo, 0, v10, vcc_lo
	s_delay_alu instid0(VALU_DEP_2) | instskip(NEXT) | instid1(VALU_DEP_2)
	v_add_co_u32 v7, vcc_lo, v5, v9
	v_add_co_ci_u32_e32 v8, vcc_lo, 0, v6, vcc_lo
	s_delay_alu instid0(VALU_DEP_2) | instskip(SKIP_1) | instid1(VALU_DEP_3)
	v_mul_lo_u32 v9, s7, v7
	v_mad_u64_u32 v[5:6], null, s6, v7, 0
	v_mul_lo_u32 v10, s6, v8
	s_delay_alu instid0(VALU_DEP_2) | instskip(NEXT) | instid1(VALU_DEP_2)
	v_sub_co_u32 v5, vcc_lo, v11, v5
	v_add3_u32 v6, v6, v10, v9
	s_delay_alu instid0(VALU_DEP_1) | instskip(NEXT) | instid1(VALU_DEP_1)
	v_sub_nc_u32_e32 v9, v13, v6
	v_subrev_co_ci_u32_e64 v9, s0, s7, v9, vcc_lo
	v_add_co_u32 v10, s0, v7, 2
	s_delay_alu instid0(VALU_DEP_1) | instskip(SKIP_3) | instid1(VALU_DEP_3)
	v_add_co_ci_u32_e64 v11, s0, 0, v8, s0
	v_sub_co_u32 v12, s0, v5, s6
	v_sub_co_ci_u32_e32 v6, vcc_lo, v13, v6, vcc_lo
	v_subrev_co_ci_u32_e64 v9, s0, 0, v9, s0
	v_cmp_le_u32_e32 vcc_lo, s6, v12
	s_delay_alu instid0(VALU_DEP_3) | instskip(SKIP_1) | instid1(VALU_DEP_4)
	v_cmp_eq_u32_e64 s0, s7, v6
	v_cndmask_b32_e64 v12, 0, -1, vcc_lo
	v_cmp_le_u32_e32 vcc_lo, s7, v9
	v_cndmask_b32_e64 v13, 0, -1, vcc_lo
	v_cmp_le_u32_e32 vcc_lo, s6, v5
	;; [unrolled: 2-line block ×3, first 2 shown]
	v_cndmask_b32_e64 v15, 0, -1, vcc_lo
	v_cmp_eq_u32_e32 vcc_lo, s7, v9
	s_delay_alu instid0(VALU_DEP_2) | instskip(SKIP_3) | instid1(VALU_DEP_3)
	v_cndmask_b32_e64 v5, v15, v5, s0
	v_cndmask_b32_e32 v9, v13, v12, vcc_lo
	v_add_co_u32 v12, vcc_lo, v7, 1
	v_add_co_ci_u32_e32 v13, vcc_lo, 0, v8, vcc_lo
	v_cmp_ne_u32_e32 vcc_lo, 0, v9
	s_delay_alu instid0(VALU_DEP_2) | instskip(SKIP_2) | instid1(VALU_DEP_3)
	v_dual_cndmask_b32 v6, v13, v11 :: v_dual_cndmask_b32 v9, v12, v10
	v_cmp_ne_u32_e32 vcc_lo, 0, v5
	v_xor_b32_e32 v10, s4, v14
	v_dual_cndmask_b32 v5, v8, v6 :: v_dual_cndmask_b32 v6, v7, v9
	s_delay_alu instid0(VALU_DEP_1) | instskip(NEXT) | instid1(VALU_DEP_2)
	v_xor_b32_e32 v7, v5, v10
	v_xor_b32_e32 v6, v6, v10
	s_delay_alu instid0(VALU_DEP_1) | instskip(NEXT) | instid1(VALU_DEP_3)
	v_sub_co_u32 v5, vcc_lo, v6, v10
	v_sub_co_ci_u32_e32 v6, vcc_lo, v7, v10, vcc_lo
                                        ; implicit-def: $vgpr7
.LBB1169_15:
	s_and_not1_saveexec_b32 s0, s1
	s_cbranch_execz .LBB1169_17
; %bb.16:
	v_cvt_f32_u32_e32 v5, s38
	s_sub_i32 s1, 0, s38
	s_delay_alu instid0(VALU_DEP_1) | instskip(SKIP_2) | instid1(VALU_DEP_1)
	v_rcp_iflag_f32_e32 v5, v5
	s_waitcnt_depctr 0xfff
	v_mul_f32_e32 v5, 0x4f7ffffe, v5
	v_cvt_u32_f32_e32 v5, v5
	s_delay_alu instid0(VALU_DEP_1) | instskip(NEXT) | instid1(VALU_DEP_1)
	v_mul_lo_u32 v6, s1, v5
	v_mul_hi_u32 v6, v5, v6
	s_delay_alu instid0(VALU_DEP_1) | instskip(NEXT) | instid1(VALU_DEP_1)
	v_add_nc_u32_e32 v5, v5, v6
	v_mul_hi_u32 v5, v7, v5
	s_delay_alu instid0(VALU_DEP_1) | instskip(NEXT) | instid1(VALU_DEP_1)
	v_mul_lo_u32 v6, v5, s38
	v_sub_nc_u32_e32 v6, v7, v6
	v_add_nc_u32_e32 v7, 1, v5
	s_delay_alu instid0(VALU_DEP_2) | instskip(SKIP_1) | instid1(VALU_DEP_2)
	v_subrev_nc_u32_e32 v8, s38, v6
	v_cmp_le_u32_e32 vcc_lo, s38, v6
	v_dual_cndmask_b32 v6, v6, v8 :: v_dual_cndmask_b32 v5, v5, v7
	s_delay_alu instid0(VALU_DEP_1) | instskip(NEXT) | instid1(VALU_DEP_2)
	v_cmp_le_u32_e32 vcc_lo, s38, v6
	v_dual_mov_b32 v6, 0 :: v_dual_add_nc_u32 v7, 1, v5
	s_delay_alu instid0(VALU_DEP_1)
	v_cndmask_b32_e32 v5, v5, v7, vcc_lo
.LBB1169_17:
	s_or_b32 exec_lo, exec_lo, s0
	v_add_co_u32 v9, vcc_lo, 0x300, v29
	v_add_co_ci_u32_e32 v10, vcc_lo, 0, v30, vcc_lo
	v_mov_b32_e32 v7, 0
	s_delay_alu instid0(VALU_DEP_2) | instskip(NEXT) | instid1(VALU_DEP_1)
	v_or_b32_e32 v8, s39, v10
	v_cmp_ne_u64_e32 vcc_lo, 0, v[7:8]
                                        ; implicit-def: $vgpr7_vgpr8
	s_and_saveexec_b32 s0, vcc_lo
	s_delay_alu instid0(SALU_CYCLE_1)
	s_xor_b32 s1, exec_lo, s0
	s_cbranch_execz .LBB1169_19
; %bb.18:
	s_ashr_i32 s4, s39, 31
	s_delay_alu instid0(SALU_CYCLE_1) | instskip(SKIP_2) | instid1(SALU_CYCLE_1)
	s_add_u32 s6, s38, s4
	s_mov_b32 s5, s4
	s_addc_u32 s7, s39, s4
	s_xor_b64 s[6:7], s[6:7], s[4:5]
	s_delay_alu instid0(SALU_CYCLE_1) | instskip(SKIP_3) | instid1(VALU_DEP_1)
	v_cvt_f32_u32_e32 v7, s6
	v_cvt_f32_u32_e32 v8, s7
	s_sub_u32 s0, 0, s6
	s_subb_u32 s5, 0, s7
	v_fmamk_f32 v7, v8, 0x4f800000, v7
	s_delay_alu instid0(VALU_DEP_1) | instskip(SKIP_2) | instid1(VALU_DEP_1)
	v_rcp_f32_e32 v7, v7
	s_waitcnt_depctr 0xfff
	v_mul_f32_e32 v7, 0x5f7ffffc, v7
	v_mul_f32_e32 v8, 0x2f800000, v7
	s_delay_alu instid0(VALU_DEP_1) | instskip(NEXT) | instid1(VALU_DEP_1)
	v_trunc_f32_e32 v8, v8
	v_fmamk_f32 v7, v8, 0xcf800000, v7
	v_cvt_u32_f32_e32 v8, v8
	s_delay_alu instid0(VALU_DEP_2) | instskip(NEXT) | instid1(VALU_DEP_2)
	v_cvt_u32_f32_e32 v7, v7
	v_mul_lo_u32 v11, s0, v8
	s_delay_alu instid0(VALU_DEP_2) | instskip(SKIP_1) | instid1(VALU_DEP_2)
	v_mul_hi_u32 v12, s0, v7
	v_mul_lo_u32 v13, s5, v7
	v_add_nc_u32_e32 v11, v12, v11
	v_mul_lo_u32 v12, s0, v7
	s_delay_alu instid0(VALU_DEP_2) | instskip(NEXT) | instid1(VALU_DEP_2)
	v_add_nc_u32_e32 v11, v11, v13
	v_mul_hi_u32 v13, v7, v12
	s_delay_alu instid0(VALU_DEP_2)
	v_mul_lo_u32 v14, v7, v11
	v_mul_hi_u32 v15, v7, v11
	v_mul_hi_u32 v16, v8, v12
	v_mul_lo_u32 v12, v8, v12
	v_mul_hi_u32 v17, v8, v11
	v_mul_lo_u32 v11, v8, v11
	v_add_co_u32 v13, vcc_lo, v13, v14
	v_add_co_ci_u32_e32 v14, vcc_lo, 0, v15, vcc_lo
	s_delay_alu instid0(VALU_DEP_2) | instskip(NEXT) | instid1(VALU_DEP_2)
	v_add_co_u32 v12, vcc_lo, v13, v12
	v_add_co_ci_u32_e32 v12, vcc_lo, v14, v16, vcc_lo
	v_add_co_ci_u32_e32 v13, vcc_lo, 0, v17, vcc_lo
	v_ashrrev_i32_e32 v16, 31, v10
	s_delay_alu instid0(VALU_DEP_3) | instskip(NEXT) | instid1(VALU_DEP_3)
	v_add_co_u32 v11, vcc_lo, v12, v11
	v_add_co_ci_u32_e32 v12, vcc_lo, 0, v13, vcc_lo
	s_delay_alu instid0(VALU_DEP_2) | instskip(NEXT) | instid1(VALU_DEP_2)
	v_add_co_u32 v7, vcc_lo, v7, v11
	v_add_co_ci_u32_e32 v8, vcc_lo, v8, v12, vcc_lo
	s_delay_alu instid0(VALU_DEP_2) | instskip(SKIP_1) | instid1(VALU_DEP_3)
	v_mul_hi_u32 v11, s0, v7
	v_mul_lo_u32 v13, s5, v7
	v_mul_lo_u32 v12, s0, v8
	s_delay_alu instid0(VALU_DEP_1) | instskip(SKIP_1) | instid1(VALU_DEP_2)
	v_add_nc_u32_e32 v11, v11, v12
	v_mul_lo_u32 v12, s0, v7
	v_add_nc_u32_e32 v11, v11, v13
	s_delay_alu instid0(VALU_DEP_2) | instskip(NEXT) | instid1(VALU_DEP_2)
	v_mul_hi_u32 v13, v7, v12
	v_mul_lo_u32 v14, v7, v11
	v_mul_hi_u32 v15, v7, v11
	v_mul_hi_u32 v17, v8, v12
	v_mul_lo_u32 v12, v8, v12
	v_mul_hi_u32 v18, v8, v11
	v_mul_lo_u32 v11, v8, v11
	v_add_co_u32 v13, vcc_lo, v13, v14
	v_add_co_ci_u32_e32 v14, vcc_lo, 0, v15, vcc_lo
	s_delay_alu instid0(VALU_DEP_2) | instskip(NEXT) | instid1(VALU_DEP_2)
	v_add_co_u32 v12, vcc_lo, v13, v12
	v_add_co_ci_u32_e32 v12, vcc_lo, v14, v17, vcc_lo
	v_add_co_ci_u32_e32 v13, vcc_lo, 0, v18, vcc_lo
	v_add_co_u32 v9, vcc_lo, v9, v16
	v_add_co_ci_u32_e32 v10, vcc_lo, v10, v16, vcc_lo
	s_delay_alu instid0(VALU_DEP_4) | instskip(NEXT) | instid1(VALU_DEP_4)
	v_add_co_u32 v11, vcc_lo, v12, v11
	v_add_co_ci_u32_e32 v12, vcc_lo, 0, v13, vcc_lo
	s_delay_alu instid0(VALU_DEP_4) | instskip(NEXT) | instid1(VALU_DEP_3)
	v_xor_b32_e32 v13, v9, v16
	v_add_co_u32 v11, vcc_lo, v7, v11
	s_delay_alu instid0(VALU_DEP_3) | instskip(SKIP_1) | instid1(VALU_DEP_3)
	v_add_co_ci_u32_e32 v14, vcc_lo, v8, v12, vcc_lo
	v_xor_b32_e32 v15, v10, v16
	v_mul_hi_u32 v17, v13, v11
	s_delay_alu instid0(VALU_DEP_3) | instskip(NEXT) | instid1(VALU_DEP_3)
	v_mad_u64_u32 v[7:8], null, v13, v14, 0
	v_mad_u64_u32 v[9:10], null, v15, v11, 0
	;; [unrolled: 1-line block ×3, first 2 shown]
	s_delay_alu instid0(VALU_DEP_3) | instskip(NEXT) | instid1(VALU_DEP_4)
	v_add_co_u32 v7, vcc_lo, v17, v7
	v_add_co_ci_u32_e32 v8, vcc_lo, 0, v8, vcc_lo
	s_delay_alu instid0(VALU_DEP_2) | instskip(NEXT) | instid1(VALU_DEP_2)
	v_add_co_u32 v7, vcc_lo, v7, v9
	v_add_co_ci_u32_e32 v7, vcc_lo, v8, v10, vcc_lo
	v_add_co_ci_u32_e32 v8, vcc_lo, 0, v12, vcc_lo
	s_delay_alu instid0(VALU_DEP_2) | instskip(NEXT) | instid1(VALU_DEP_2)
	v_add_co_u32 v9, vcc_lo, v7, v11
	v_add_co_ci_u32_e32 v10, vcc_lo, 0, v8, vcc_lo
	s_delay_alu instid0(VALU_DEP_2) | instskip(SKIP_1) | instid1(VALU_DEP_3)
	v_mul_lo_u32 v11, s7, v9
	v_mad_u64_u32 v[7:8], null, s6, v9, 0
	v_mul_lo_u32 v12, s6, v10
	s_delay_alu instid0(VALU_DEP_2) | instskip(NEXT) | instid1(VALU_DEP_2)
	v_sub_co_u32 v7, vcc_lo, v13, v7
	v_add3_u32 v8, v8, v12, v11
	s_delay_alu instid0(VALU_DEP_1) | instskip(NEXT) | instid1(VALU_DEP_1)
	v_sub_nc_u32_e32 v11, v15, v8
	v_subrev_co_ci_u32_e64 v11, s0, s7, v11, vcc_lo
	v_add_co_u32 v12, s0, v9, 2
	s_delay_alu instid0(VALU_DEP_1) | instskip(SKIP_3) | instid1(VALU_DEP_3)
	v_add_co_ci_u32_e64 v13, s0, 0, v10, s0
	v_sub_co_u32 v14, s0, v7, s6
	v_sub_co_ci_u32_e32 v8, vcc_lo, v15, v8, vcc_lo
	v_subrev_co_ci_u32_e64 v11, s0, 0, v11, s0
	v_cmp_le_u32_e32 vcc_lo, s6, v14
	s_delay_alu instid0(VALU_DEP_3) | instskip(SKIP_1) | instid1(VALU_DEP_4)
	v_cmp_eq_u32_e64 s0, s7, v8
	v_cndmask_b32_e64 v14, 0, -1, vcc_lo
	v_cmp_le_u32_e32 vcc_lo, s7, v11
	v_cndmask_b32_e64 v15, 0, -1, vcc_lo
	v_cmp_le_u32_e32 vcc_lo, s6, v7
	;; [unrolled: 2-line block ×3, first 2 shown]
	v_cndmask_b32_e64 v17, 0, -1, vcc_lo
	v_cmp_eq_u32_e32 vcc_lo, s7, v11
	s_delay_alu instid0(VALU_DEP_2) | instskip(SKIP_3) | instid1(VALU_DEP_3)
	v_cndmask_b32_e64 v7, v17, v7, s0
	v_cndmask_b32_e32 v11, v15, v14, vcc_lo
	v_add_co_u32 v14, vcc_lo, v9, 1
	v_add_co_ci_u32_e32 v15, vcc_lo, 0, v10, vcc_lo
	v_cmp_ne_u32_e32 vcc_lo, 0, v11
	s_delay_alu instid0(VALU_DEP_2) | instskip(SKIP_2) | instid1(VALU_DEP_3)
	v_dual_cndmask_b32 v8, v15, v13 :: v_dual_cndmask_b32 v11, v14, v12
	v_cmp_ne_u32_e32 vcc_lo, 0, v7
	v_xor_b32_e32 v12, s4, v16
	v_dual_cndmask_b32 v7, v10, v8 :: v_dual_cndmask_b32 v8, v9, v11
	s_delay_alu instid0(VALU_DEP_1) | instskip(NEXT) | instid1(VALU_DEP_2)
	v_xor_b32_e32 v9, v7, v12
	v_xor_b32_e32 v8, v8, v12
	s_delay_alu instid0(VALU_DEP_1) | instskip(NEXT) | instid1(VALU_DEP_3)
	v_sub_co_u32 v7, vcc_lo, v8, v12
	v_sub_co_ci_u32_e32 v8, vcc_lo, v9, v12, vcc_lo
                                        ; implicit-def: $vgpr9
.LBB1169_19:
	s_and_not1_saveexec_b32 s0, s1
	s_cbranch_execz .LBB1169_21
; %bb.20:
	v_cvt_f32_u32_e32 v7, s38
	s_sub_i32 s1, 0, s38
	s_delay_alu instid0(VALU_DEP_1) | instskip(SKIP_2) | instid1(VALU_DEP_1)
	v_rcp_iflag_f32_e32 v7, v7
	s_waitcnt_depctr 0xfff
	v_mul_f32_e32 v7, 0x4f7ffffe, v7
	v_cvt_u32_f32_e32 v7, v7
	s_delay_alu instid0(VALU_DEP_1) | instskip(NEXT) | instid1(VALU_DEP_1)
	v_mul_lo_u32 v8, s1, v7
	v_mul_hi_u32 v8, v7, v8
	s_delay_alu instid0(VALU_DEP_1) | instskip(NEXT) | instid1(VALU_DEP_1)
	v_add_nc_u32_e32 v7, v7, v8
	v_mul_hi_u32 v7, v9, v7
	s_delay_alu instid0(VALU_DEP_1) | instskip(NEXT) | instid1(VALU_DEP_1)
	v_mul_lo_u32 v8, v7, s38
	v_sub_nc_u32_e32 v8, v9, v8
	v_add_nc_u32_e32 v9, 1, v7
	s_delay_alu instid0(VALU_DEP_2) | instskip(SKIP_1) | instid1(VALU_DEP_2)
	v_subrev_nc_u32_e32 v10, s38, v8
	v_cmp_le_u32_e32 vcc_lo, s38, v8
	v_dual_cndmask_b32 v8, v8, v10 :: v_dual_cndmask_b32 v7, v7, v9
	s_delay_alu instid0(VALU_DEP_1) | instskip(NEXT) | instid1(VALU_DEP_2)
	v_cmp_le_u32_e32 vcc_lo, s38, v8
	v_dual_mov_b32 v8, 0 :: v_dual_add_nc_u32 v9, 1, v7
	s_delay_alu instid0(VALU_DEP_1)
	v_cndmask_b32_e32 v7, v7, v9, vcc_lo
.LBB1169_21:
	s_or_b32 exec_lo, exec_lo, s0
	v_add_co_u32 v11, vcc_lo, 0x400, v29
	v_add_co_ci_u32_e32 v12, vcc_lo, 0, v30, vcc_lo
	v_mov_b32_e32 v9, 0
	s_delay_alu instid0(VALU_DEP_2) | instskip(NEXT) | instid1(VALU_DEP_1)
	v_or_b32_e32 v10, s39, v12
	v_cmp_ne_u64_e32 vcc_lo, 0, v[9:10]
                                        ; implicit-def: $vgpr9_vgpr10
	s_and_saveexec_b32 s0, vcc_lo
	s_delay_alu instid0(SALU_CYCLE_1)
	s_xor_b32 s1, exec_lo, s0
	s_cbranch_execz .LBB1169_23
; %bb.22:
	s_ashr_i32 s4, s39, 31
	s_delay_alu instid0(SALU_CYCLE_1) | instskip(SKIP_2) | instid1(SALU_CYCLE_1)
	s_add_u32 s6, s38, s4
	s_mov_b32 s5, s4
	s_addc_u32 s7, s39, s4
	s_xor_b64 s[6:7], s[6:7], s[4:5]
	s_delay_alu instid0(SALU_CYCLE_1) | instskip(SKIP_3) | instid1(VALU_DEP_1)
	v_cvt_f32_u32_e32 v9, s6
	v_cvt_f32_u32_e32 v10, s7
	s_sub_u32 s0, 0, s6
	s_subb_u32 s5, 0, s7
	v_fmamk_f32 v9, v10, 0x4f800000, v9
	s_delay_alu instid0(VALU_DEP_1) | instskip(SKIP_2) | instid1(VALU_DEP_1)
	v_rcp_f32_e32 v9, v9
	s_waitcnt_depctr 0xfff
	v_mul_f32_e32 v9, 0x5f7ffffc, v9
	v_mul_f32_e32 v10, 0x2f800000, v9
	s_delay_alu instid0(VALU_DEP_1) | instskip(NEXT) | instid1(VALU_DEP_1)
	v_trunc_f32_e32 v10, v10
	v_fmamk_f32 v9, v10, 0xcf800000, v9
	v_cvt_u32_f32_e32 v10, v10
	s_delay_alu instid0(VALU_DEP_2) | instskip(NEXT) | instid1(VALU_DEP_2)
	v_cvt_u32_f32_e32 v9, v9
	v_mul_lo_u32 v13, s0, v10
	s_delay_alu instid0(VALU_DEP_2) | instskip(SKIP_1) | instid1(VALU_DEP_2)
	v_mul_hi_u32 v14, s0, v9
	v_mul_lo_u32 v15, s5, v9
	v_add_nc_u32_e32 v13, v14, v13
	v_mul_lo_u32 v14, s0, v9
	s_delay_alu instid0(VALU_DEP_2) | instskip(NEXT) | instid1(VALU_DEP_2)
	v_add_nc_u32_e32 v13, v13, v15
	v_mul_hi_u32 v15, v9, v14
	s_delay_alu instid0(VALU_DEP_2)
	v_mul_lo_u32 v16, v9, v13
	v_mul_hi_u32 v17, v9, v13
	v_mul_hi_u32 v18, v10, v14
	v_mul_lo_u32 v14, v10, v14
	v_mul_hi_u32 v19, v10, v13
	v_mul_lo_u32 v13, v10, v13
	v_add_co_u32 v15, vcc_lo, v15, v16
	v_add_co_ci_u32_e32 v16, vcc_lo, 0, v17, vcc_lo
	s_delay_alu instid0(VALU_DEP_2) | instskip(NEXT) | instid1(VALU_DEP_2)
	v_add_co_u32 v14, vcc_lo, v15, v14
	v_add_co_ci_u32_e32 v14, vcc_lo, v16, v18, vcc_lo
	v_add_co_ci_u32_e32 v15, vcc_lo, 0, v19, vcc_lo
	v_ashrrev_i32_e32 v18, 31, v12
	s_delay_alu instid0(VALU_DEP_3) | instskip(NEXT) | instid1(VALU_DEP_3)
	v_add_co_u32 v13, vcc_lo, v14, v13
	v_add_co_ci_u32_e32 v14, vcc_lo, 0, v15, vcc_lo
	s_delay_alu instid0(VALU_DEP_2) | instskip(NEXT) | instid1(VALU_DEP_2)
	v_add_co_u32 v9, vcc_lo, v9, v13
	v_add_co_ci_u32_e32 v10, vcc_lo, v10, v14, vcc_lo
	s_delay_alu instid0(VALU_DEP_2) | instskip(SKIP_1) | instid1(VALU_DEP_3)
	v_mul_hi_u32 v13, s0, v9
	v_mul_lo_u32 v15, s5, v9
	v_mul_lo_u32 v14, s0, v10
	s_delay_alu instid0(VALU_DEP_1) | instskip(SKIP_1) | instid1(VALU_DEP_2)
	v_add_nc_u32_e32 v13, v13, v14
	v_mul_lo_u32 v14, s0, v9
	v_add_nc_u32_e32 v13, v13, v15
	s_delay_alu instid0(VALU_DEP_2) | instskip(NEXT) | instid1(VALU_DEP_2)
	v_mul_hi_u32 v15, v9, v14
	v_mul_lo_u32 v16, v9, v13
	v_mul_hi_u32 v17, v9, v13
	v_mul_hi_u32 v19, v10, v14
	v_mul_lo_u32 v14, v10, v14
	v_mul_hi_u32 v20, v10, v13
	v_mul_lo_u32 v13, v10, v13
	v_add_co_u32 v15, vcc_lo, v15, v16
	v_add_co_ci_u32_e32 v16, vcc_lo, 0, v17, vcc_lo
	s_delay_alu instid0(VALU_DEP_2) | instskip(NEXT) | instid1(VALU_DEP_2)
	v_add_co_u32 v14, vcc_lo, v15, v14
	v_add_co_ci_u32_e32 v14, vcc_lo, v16, v19, vcc_lo
	v_add_co_ci_u32_e32 v15, vcc_lo, 0, v20, vcc_lo
	v_add_co_u32 v11, vcc_lo, v11, v18
	v_add_co_ci_u32_e32 v12, vcc_lo, v12, v18, vcc_lo
	s_delay_alu instid0(VALU_DEP_4) | instskip(NEXT) | instid1(VALU_DEP_4)
	v_add_co_u32 v13, vcc_lo, v14, v13
	v_add_co_ci_u32_e32 v14, vcc_lo, 0, v15, vcc_lo
	s_delay_alu instid0(VALU_DEP_4) | instskip(NEXT) | instid1(VALU_DEP_3)
	v_xor_b32_e32 v15, v11, v18
	v_add_co_u32 v13, vcc_lo, v9, v13
	s_delay_alu instid0(VALU_DEP_3) | instskip(SKIP_1) | instid1(VALU_DEP_3)
	v_add_co_ci_u32_e32 v16, vcc_lo, v10, v14, vcc_lo
	v_xor_b32_e32 v17, v12, v18
	v_mul_hi_u32 v19, v15, v13
	s_delay_alu instid0(VALU_DEP_3) | instskip(NEXT) | instid1(VALU_DEP_3)
	v_mad_u64_u32 v[9:10], null, v15, v16, 0
	v_mad_u64_u32 v[11:12], null, v17, v13, 0
	;; [unrolled: 1-line block ×3, first 2 shown]
	s_delay_alu instid0(VALU_DEP_3) | instskip(NEXT) | instid1(VALU_DEP_4)
	v_add_co_u32 v9, vcc_lo, v19, v9
	v_add_co_ci_u32_e32 v10, vcc_lo, 0, v10, vcc_lo
	s_delay_alu instid0(VALU_DEP_2) | instskip(NEXT) | instid1(VALU_DEP_2)
	v_add_co_u32 v9, vcc_lo, v9, v11
	v_add_co_ci_u32_e32 v9, vcc_lo, v10, v12, vcc_lo
	v_add_co_ci_u32_e32 v10, vcc_lo, 0, v14, vcc_lo
	s_delay_alu instid0(VALU_DEP_2) | instskip(NEXT) | instid1(VALU_DEP_2)
	v_add_co_u32 v11, vcc_lo, v9, v13
	v_add_co_ci_u32_e32 v12, vcc_lo, 0, v10, vcc_lo
	s_delay_alu instid0(VALU_DEP_2) | instskip(SKIP_1) | instid1(VALU_DEP_3)
	v_mul_lo_u32 v13, s7, v11
	v_mad_u64_u32 v[9:10], null, s6, v11, 0
	v_mul_lo_u32 v14, s6, v12
	s_delay_alu instid0(VALU_DEP_2) | instskip(NEXT) | instid1(VALU_DEP_2)
	v_sub_co_u32 v9, vcc_lo, v15, v9
	v_add3_u32 v10, v10, v14, v13
	s_delay_alu instid0(VALU_DEP_1) | instskip(NEXT) | instid1(VALU_DEP_1)
	v_sub_nc_u32_e32 v13, v17, v10
	v_subrev_co_ci_u32_e64 v13, s0, s7, v13, vcc_lo
	v_add_co_u32 v14, s0, v11, 2
	s_delay_alu instid0(VALU_DEP_1) | instskip(SKIP_3) | instid1(VALU_DEP_3)
	v_add_co_ci_u32_e64 v15, s0, 0, v12, s0
	v_sub_co_u32 v16, s0, v9, s6
	v_sub_co_ci_u32_e32 v10, vcc_lo, v17, v10, vcc_lo
	v_subrev_co_ci_u32_e64 v13, s0, 0, v13, s0
	v_cmp_le_u32_e32 vcc_lo, s6, v16
	s_delay_alu instid0(VALU_DEP_3) | instskip(SKIP_1) | instid1(VALU_DEP_4)
	v_cmp_eq_u32_e64 s0, s7, v10
	v_cndmask_b32_e64 v16, 0, -1, vcc_lo
	v_cmp_le_u32_e32 vcc_lo, s7, v13
	v_cndmask_b32_e64 v17, 0, -1, vcc_lo
	v_cmp_le_u32_e32 vcc_lo, s6, v9
	;; [unrolled: 2-line block ×3, first 2 shown]
	v_cndmask_b32_e64 v19, 0, -1, vcc_lo
	v_cmp_eq_u32_e32 vcc_lo, s7, v13
	s_delay_alu instid0(VALU_DEP_2) | instskip(SKIP_3) | instid1(VALU_DEP_3)
	v_cndmask_b32_e64 v9, v19, v9, s0
	v_cndmask_b32_e32 v13, v17, v16, vcc_lo
	v_add_co_u32 v16, vcc_lo, v11, 1
	v_add_co_ci_u32_e32 v17, vcc_lo, 0, v12, vcc_lo
	v_cmp_ne_u32_e32 vcc_lo, 0, v13
	s_delay_alu instid0(VALU_DEP_2) | instskip(SKIP_2) | instid1(VALU_DEP_3)
	v_dual_cndmask_b32 v10, v17, v15 :: v_dual_cndmask_b32 v13, v16, v14
	v_cmp_ne_u32_e32 vcc_lo, 0, v9
	v_xor_b32_e32 v14, s4, v18
	v_dual_cndmask_b32 v9, v12, v10 :: v_dual_cndmask_b32 v10, v11, v13
	s_delay_alu instid0(VALU_DEP_1) | instskip(NEXT) | instid1(VALU_DEP_2)
	v_xor_b32_e32 v11, v9, v14
	v_xor_b32_e32 v10, v10, v14
	s_delay_alu instid0(VALU_DEP_1) | instskip(NEXT) | instid1(VALU_DEP_3)
	v_sub_co_u32 v9, vcc_lo, v10, v14
	v_sub_co_ci_u32_e32 v10, vcc_lo, v11, v14, vcc_lo
                                        ; implicit-def: $vgpr11
.LBB1169_23:
	s_and_not1_saveexec_b32 s0, s1
	s_cbranch_execz .LBB1169_25
; %bb.24:
	v_cvt_f32_u32_e32 v9, s38
	s_sub_i32 s1, 0, s38
	s_delay_alu instid0(VALU_DEP_1) | instskip(SKIP_2) | instid1(VALU_DEP_1)
	v_rcp_iflag_f32_e32 v9, v9
	s_waitcnt_depctr 0xfff
	v_mul_f32_e32 v9, 0x4f7ffffe, v9
	v_cvt_u32_f32_e32 v9, v9
	s_delay_alu instid0(VALU_DEP_1) | instskip(NEXT) | instid1(VALU_DEP_1)
	v_mul_lo_u32 v10, s1, v9
	v_mul_hi_u32 v10, v9, v10
	s_delay_alu instid0(VALU_DEP_1) | instskip(NEXT) | instid1(VALU_DEP_1)
	v_add_nc_u32_e32 v9, v9, v10
	v_mul_hi_u32 v9, v11, v9
	s_delay_alu instid0(VALU_DEP_1) | instskip(NEXT) | instid1(VALU_DEP_1)
	v_mul_lo_u32 v10, v9, s38
	v_sub_nc_u32_e32 v10, v11, v10
	v_add_nc_u32_e32 v11, 1, v9
	s_delay_alu instid0(VALU_DEP_2) | instskip(SKIP_1) | instid1(VALU_DEP_2)
	v_subrev_nc_u32_e32 v12, s38, v10
	v_cmp_le_u32_e32 vcc_lo, s38, v10
	v_dual_cndmask_b32 v10, v10, v12 :: v_dual_cndmask_b32 v9, v9, v11
	s_delay_alu instid0(VALU_DEP_1) | instskip(NEXT) | instid1(VALU_DEP_2)
	v_cmp_le_u32_e32 vcc_lo, s38, v10
	v_dual_mov_b32 v10, 0 :: v_dual_add_nc_u32 v11, 1, v9
	s_delay_alu instid0(VALU_DEP_1)
	v_cndmask_b32_e32 v9, v9, v11, vcc_lo
.LBB1169_25:
	s_or_b32 exec_lo, exec_lo, s0
	v_add_co_u32 v13, vcc_lo, 0x500, v29
	v_add_co_ci_u32_e32 v14, vcc_lo, 0, v30, vcc_lo
	v_mov_b32_e32 v11, 0
	s_delay_alu instid0(VALU_DEP_2) | instskip(NEXT) | instid1(VALU_DEP_1)
	v_or_b32_e32 v12, s39, v14
	v_cmp_ne_u64_e32 vcc_lo, 0, v[11:12]
                                        ; implicit-def: $vgpr11_vgpr12
	s_and_saveexec_b32 s0, vcc_lo
	s_delay_alu instid0(SALU_CYCLE_1)
	s_xor_b32 s1, exec_lo, s0
	s_cbranch_execz .LBB1169_27
; %bb.26:
	s_ashr_i32 s4, s39, 31
	s_delay_alu instid0(SALU_CYCLE_1) | instskip(SKIP_2) | instid1(SALU_CYCLE_1)
	s_add_u32 s6, s38, s4
	s_mov_b32 s5, s4
	s_addc_u32 s7, s39, s4
	s_xor_b64 s[6:7], s[6:7], s[4:5]
	s_delay_alu instid0(SALU_CYCLE_1) | instskip(SKIP_3) | instid1(VALU_DEP_1)
	v_cvt_f32_u32_e32 v11, s6
	v_cvt_f32_u32_e32 v12, s7
	s_sub_u32 s0, 0, s6
	s_subb_u32 s5, 0, s7
	v_fmamk_f32 v11, v12, 0x4f800000, v11
	s_delay_alu instid0(VALU_DEP_1) | instskip(SKIP_2) | instid1(VALU_DEP_1)
	v_rcp_f32_e32 v11, v11
	s_waitcnt_depctr 0xfff
	v_mul_f32_e32 v11, 0x5f7ffffc, v11
	v_mul_f32_e32 v12, 0x2f800000, v11
	s_delay_alu instid0(VALU_DEP_1) | instskip(NEXT) | instid1(VALU_DEP_1)
	v_trunc_f32_e32 v12, v12
	v_fmamk_f32 v11, v12, 0xcf800000, v11
	v_cvt_u32_f32_e32 v12, v12
	s_delay_alu instid0(VALU_DEP_2) | instskip(NEXT) | instid1(VALU_DEP_2)
	v_cvt_u32_f32_e32 v11, v11
	v_mul_lo_u32 v15, s0, v12
	s_delay_alu instid0(VALU_DEP_2) | instskip(SKIP_1) | instid1(VALU_DEP_2)
	v_mul_hi_u32 v16, s0, v11
	v_mul_lo_u32 v17, s5, v11
	v_add_nc_u32_e32 v15, v16, v15
	v_mul_lo_u32 v16, s0, v11
	s_delay_alu instid0(VALU_DEP_2) | instskip(NEXT) | instid1(VALU_DEP_2)
	v_add_nc_u32_e32 v15, v15, v17
	v_mul_hi_u32 v17, v11, v16
	s_delay_alu instid0(VALU_DEP_2)
	v_mul_lo_u32 v18, v11, v15
	v_mul_hi_u32 v19, v11, v15
	v_mul_hi_u32 v20, v12, v16
	v_mul_lo_u32 v16, v12, v16
	v_mul_hi_u32 v21, v12, v15
	v_mul_lo_u32 v15, v12, v15
	v_add_co_u32 v17, vcc_lo, v17, v18
	v_add_co_ci_u32_e32 v18, vcc_lo, 0, v19, vcc_lo
	s_delay_alu instid0(VALU_DEP_2) | instskip(NEXT) | instid1(VALU_DEP_2)
	v_add_co_u32 v16, vcc_lo, v17, v16
	v_add_co_ci_u32_e32 v16, vcc_lo, v18, v20, vcc_lo
	v_add_co_ci_u32_e32 v17, vcc_lo, 0, v21, vcc_lo
	v_ashrrev_i32_e32 v20, 31, v14
	s_delay_alu instid0(VALU_DEP_3) | instskip(NEXT) | instid1(VALU_DEP_3)
	v_add_co_u32 v15, vcc_lo, v16, v15
	v_add_co_ci_u32_e32 v16, vcc_lo, 0, v17, vcc_lo
	s_delay_alu instid0(VALU_DEP_2) | instskip(NEXT) | instid1(VALU_DEP_2)
	v_add_co_u32 v11, vcc_lo, v11, v15
	v_add_co_ci_u32_e32 v12, vcc_lo, v12, v16, vcc_lo
	s_delay_alu instid0(VALU_DEP_2) | instskip(SKIP_1) | instid1(VALU_DEP_3)
	v_mul_hi_u32 v15, s0, v11
	v_mul_lo_u32 v17, s5, v11
	v_mul_lo_u32 v16, s0, v12
	s_delay_alu instid0(VALU_DEP_1) | instskip(SKIP_1) | instid1(VALU_DEP_2)
	v_add_nc_u32_e32 v15, v15, v16
	v_mul_lo_u32 v16, s0, v11
	v_add_nc_u32_e32 v15, v15, v17
	s_delay_alu instid0(VALU_DEP_2) | instskip(NEXT) | instid1(VALU_DEP_2)
	v_mul_hi_u32 v17, v11, v16
	v_mul_lo_u32 v18, v11, v15
	v_mul_hi_u32 v19, v11, v15
	v_mul_hi_u32 v21, v12, v16
	v_mul_lo_u32 v16, v12, v16
	v_mul_hi_u32 v22, v12, v15
	v_mul_lo_u32 v15, v12, v15
	v_add_co_u32 v17, vcc_lo, v17, v18
	v_add_co_ci_u32_e32 v18, vcc_lo, 0, v19, vcc_lo
	s_delay_alu instid0(VALU_DEP_2) | instskip(NEXT) | instid1(VALU_DEP_2)
	v_add_co_u32 v16, vcc_lo, v17, v16
	v_add_co_ci_u32_e32 v16, vcc_lo, v18, v21, vcc_lo
	v_add_co_ci_u32_e32 v17, vcc_lo, 0, v22, vcc_lo
	v_add_co_u32 v13, vcc_lo, v13, v20
	v_add_co_ci_u32_e32 v14, vcc_lo, v14, v20, vcc_lo
	s_delay_alu instid0(VALU_DEP_4) | instskip(NEXT) | instid1(VALU_DEP_4)
	v_add_co_u32 v15, vcc_lo, v16, v15
	v_add_co_ci_u32_e32 v16, vcc_lo, 0, v17, vcc_lo
	s_delay_alu instid0(VALU_DEP_4) | instskip(NEXT) | instid1(VALU_DEP_3)
	v_xor_b32_e32 v17, v13, v20
	v_add_co_u32 v15, vcc_lo, v11, v15
	s_delay_alu instid0(VALU_DEP_3) | instskip(SKIP_1) | instid1(VALU_DEP_3)
	v_add_co_ci_u32_e32 v18, vcc_lo, v12, v16, vcc_lo
	v_xor_b32_e32 v19, v14, v20
	v_mul_hi_u32 v21, v17, v15
	s_delay_alu instid0(VALU_DEP_3) | instskip(NEXT) | instid1(VALU_DEP_3)
	v_mad_u64_u32 v[11:12], null, v17, v18, 0
	v_mad_u64_u32 v[13:14], null, v19, v15, 0
	;; [unrolled: 1-line block ×3, first 2 shown]
	s_delay_alu instid0(VALU_DEP_3) | instskip(NEXT) | instid1(VALU_DEP_4)
	v_add_co_u32 v11, vcc_lo, v21, v11
	v_add_co_ci_u32_e32 v12, vcc_lo, 0, v12, vcc_lo
	s_delay_alu instid0(VALU_DEP_2) | instskip(NEXT) | instid1(VALU_DEP_2)
	v_add_co_u32 v11, vcc_lo, v11, v13
	v_add_co_ci_u32_e32 v11, vcc_lo, v12, v14, vcc_lo
	v_add_co_ci_u32_e32 v12, vcc_lo, 0, v16, vcc_lo
	s_delay_alu instid0(VALU_DEP_2) | instskip(NEXT) | instid1(VALU_DEP_2)
	v_add_co_u32 v13, vcc_lo, v11, v15
	v_add_co_ci_u32_e32 v14, vcc_lo, 0, v12, vcc_lo
	s_delay_alu instid0(VALU_DEP_2) | instskip(SKIP_1) | instid1(VALU_DEP_3)
	v_mul_lo_u32 v15, s7, v13
	v_mad_u64_u32 v[11:12], null, s6, v13, 0
	v_mul_lo_u32 v16, s6, v14
	s_delay_alu instid0(VALU_DEP_2) | instskip(NEXT) | instid1(VALU_DEP_2)
	v_sub_co_u32 v11, vcc_lo, v17, v11
	v_add3_u32 v12, v12, v16, v15
	s_delay_alu instid0(VALU_DEP_1) | instskip(NEXT) | instid1(VALU_DEP_1)
	v_sub_nc_u32_e32 v15, v19, v12
	v_subrev_co_ci_u32_e64 v15, s0, s7, v15, vcc_lo
	v_add_co_u32 v16, s0, v13, 2
	s_delay_alu instid0(VALU_DEP_1) | instskip(SKIP_3) | instid1(VALU_DEP_3)
	v_add_co_ci_u32_e64 v17, s0, 0, v14, s0
	v_sub_co_u32 v18, s0, v11, s6
	v_sub_co_ci_u32_e32 v12, vcc_lo, v19, v12, vcc_lo
	v_subrev_co_ci_u32_e64 v15, s0, 0, v15, s0
	v_cmp_le_u32_e32 vcc_lo, s6, v18
	s_delay_alu instid0(VALU_DEP_3) | instskip(SKIP_1) | instid1(VALU_DEP_4)
	v_cmp_eq_u32_e64 s0, s7, v12
	v_cndmask_b32_e64 v18, 0, -1, vcc_lo
	v_cmp_le_u32_e32 vcc_lo, s7, v15
	v_cndmask_b32_e64 v19, 0, -1, vcc_lo
	v_cmp_le_u32_e32 vcc_lo, s6, v11
	;; [unrolled: 2-line block ×3, first 2 shown]
	v_cndmask_b32_e64 v21, 0, -1, vcc_lo
	v_cmp_eq_u32_e32 vcc_lo, s7, v15
	s_delay_alu instid0(VALU_DEP_2) | instskip(SKIP_3) | instid1(VALU_DEP_3)
	v_cndmask_b32_e64 v11, v21, v11, s0
	v_cndmask_b32_e32 v15, v19, v18, vcc_lo
	v_add_co_u32 v18, vcc_lo, v13, 1
	v_add_co_ci_u32_e32 v19, vcc_lo, 0, v14, vcc_lo
	v_cmp_ne_u32_e32 vcc_lo, 0, v15
	s_delay_alu instid0(VALU_DEP_2) | instskip(SKIP_2) | instid1(VALU_DEP_3)
	v_dual_cndmask_b32 v12, v19, v17 :: v_dual_cndmask_b32 v15, v18, v16
	v_cmp_ne_u32_e32 vcc_lo, 0, v11
	v_xor_b32_e32 v16, s4, v20
	v_dual_cndmask_b32 v11, v14, v12 :: v_dual_cndmask_b32 v12, v13, v15
	s_delay_alu instid0(VALU_DEP_1) | instskip(NEXT) | instid1(VALU_DEP_2)
	v_xor_b32_e32 v13, v11, v16
	v_xor_b32_e32 v12, v12, v16
	s_delay_alu instid0(VALU_DEP_1) | instskip(NEXT) | instid1(VALU_DEP_3)
	v_sub_co_u32 v11, vcc_lo, v12, v16
	v_sub_co_ci_u32_e32 v12, vcc_lo, v13, v16, vcc_lo
                                        ; implicit-def: $vgpr13
.LBB1169_27:
	s_and_not1_saveexec_b32 s0, s1
	s_cbranch_execz .LBB1169_29
; %bb.28:
	v_cvt_f32_u32_e32 v11, s38
	s_sub_i32 s1, 0, s38
	s_delay_alu instid0(VALU_DEP_1) | instskip(SKIP_2) | instid1(VALU_DEP_1)
	v_rcp_iflag_f32_e32 v11, v11
	s_waitcnt_depctr 0xfff
	v_mul_f32_e32 v11, 0x4f7ffffe, v11
	v_cvt_u32_f32_e32 v11, v11
	s_delay_alu instid0(VALU_DEP_1) | instskip(NEXT) | instid1(VALU_DEP_1)
	v_mul_lo_u32 v12, s1, v11
	v_mul_hi_u32 v12, v11, v12
	s_delay_alu instid0(VALU_DEP_1) | instskip(NEXT) | instid1(VALU_DEP_1)
	v_add_nc_u32_e32 v11, v11, v12
	v_mul_hi_u32 v11, v13, v11
	s_delay_alu instid0(VALU_DEP_1) | instskip(NEXT) | instid1(VALU_DEP_1)
	v_mul_lo_u32 v12, v11, s38
	v_sub_nc_u32_e32 v12, v13, v12
	v_add_nc_u32_e32 v13, 1, v11
	s_delay_alu instid0(VALU_DEP_2) | instskip(SKIP_1) | instid1(VALU_DEP_2)
	v_subrev_nc_u32_e32 v14, s38, v12
	v_cmp_le_u32_e32 vcc_lo, s38, v12
	v_dual_cndmask_b32 v12, v12, v14 :: v_dual_cndmask_b32 v11, v11, v13
	s_delay_alu instid0(VALU_DEP_1) | instskip(NEXT) | instid1(VALU_DEP_2)
	v_cmp_le_u32_e32 vcc_lo, s38, v12
	v_dual_mov_b32 v12, 0 :: v_dual_add_nc_u32 v13, 1, v11
	s_delay_alu instid0(VALU_DEP_1)
	v_cndmask_b32_e32 v11, v11, v13, vcc_lo
.LBB1169_29:
	s_or_b32 exec_lo, exec_lo, s0
	v_add_co_u32 v15, vcc_lo, 0x600, v29
	v_add_co_ci_u32_e32 v16, vcc_lo, 0, v30, vcc_lo
	v_mov_b32_e32 v13, 0
	s_delay_alu instid0(VALU_DEP_2) | instskip(NEXT) | instid1(VALU_DEP_1)
	v_or_b32_e32 v14, s39, v16
	v_cmp_ne_u64_e32 vcc_lo, 0, v[13:14]
                                        ; implicit-def: $vgpr13_vgpr14
	s_and_saveexec_b32 s0, vcc_lo
	s_delay_alu instid0(SALU_CYCLE_1)
	s_xor_b32 s1, exec_lo, s0
	s_cbranch_execz .LBB1169_31
; %bb.30:
	s_ashr_i32 s4, s39, 31
	s_delay_alu instid0(SALU_CYCLE_1) | instskip(SKIP_2) | instid1(SALU_CYCLE_1)
	s_add_u32 s6, s38, s4
	s_mov_b32 s5, s4
	s_addc_u32 s7, s39, s4
	s_xor_b64 s[6:7], s[6:7], s[4:5]
	s_delay_alu instid0(SALU_CYCLE_1) | instskip(SKIP_3) | instid1(VALU_DEP_1)
	v_cvt_f32_u32_e32 v13, s6
	v_cvt_f32_u32_e32 v14, s7
	s_sub_u32 s0, 0, s6
	s_subb_u32 s5, 0, s7
	v_fmamk_f32 v13, v14, 0x4f800000, v13
	s_delay_alu instid0(VALU_DEP_1) | instskip(SKIP_2) | instid1(VALU_DEP_1)
	v_rcp_f32_e32 v13, v13
	s_waitcnt_depctr 0xfff
	v_mul_f32_e32 v13, 0x5f7ffffc, v13
	v_mul_f32_e32 v14, 0x2f800000, v13
	s_delay_alu instid0(VALU_DEP_1) | instskip(NEXT) | instid1(VALU_DEP_1)
	v_trunc_f32_e32 v14, v14
	v_fmamk_f32 v13, v14, 0xcf800000, v13
	v_cvt_u32_f32_e32 v14, v14
	s_delay_alu instid0(VALU_DEP_2) | instskip(NEXT) | instid1(VALU_DEP_2)
	v_cvt_u32_f32_e32 v13, v13
	v_mul_lo_u32 v17, s0, v14
	s_delay_alu instid0(VALU_DEP_2) | instskip(SKIP_1) | instid1(VALU_DEP_2)
	v_mul_hi_u32 v18, s0, v13
	v_mul_lo_u32 v19, s5, v13
	v_add_nc_u32_e32 v17, v18, v17
	v_mul_lo_u32 v18, s0, v13
	s_delay_alu instid0(VALU_DEP_2) | instskip(NEXT) | instid1(VALU_DEP_2)
	v_add_nc_u32_e32 v17, v17, v19
	v_mul_hi_u32 v19, v13, v18
	s_delay_alu instid0(VALU_DEP_2)
	v_mul_lo_u32 v20, v13, v17
	v_mul_hi_u32 v21, v13, v17
	v_mul_hi_u32 v22, v14, v18
	v_mul_lo_u32 v18, v14, v18
	v_mul_hi_u32 v23, v14, v17
	v_mul_lo_u32 v17, v14, v17
	v_add_co_u32 v19, vcc_lo, v19, v20
	v_add_co_ci_u32_e32 v20, vcc_lo, 0, v21, vcc_lo
	s_delay_alu instid0(VALU_DEP_2) | instskip(NEXT) | instid1(VALU_DEP_2)
	v_add_co_u32 v18, vcc_lo, v19, v18
	v_add_co_ci_u32_e32 v18, vcc_lo, v20, v22, vcc_lo
	v_add_co_ci_u32_e32 v19, vcc_lo, 0, v23, vcc_lo
	v_ashrrev_i32_e32 v22, 31, v16
	s_delay_alu instid0(VALU_DEP_3) | instskip(NEXT) | instid1(VALU_DEP_3)
	v_add_co_u32 v17, vcc_lo, v18, v17
	v_add_co_ci_u32_e32 v18, vcc_lo, 0, v19, vcc_lo
	s_delay_alu instid0(VALU_DEP_2) | instskip(NEXT) | instid1(VALU_DEP_2)
	v_add_co_u32 v13, vcc_lo, v13, v17
	v_add_co_ci_u32_e32 v14, vcc_lo, v14, v18, vcc_lo
	s_delay_alu instid0(VALU_DEP_2) | instskip(SKIP_1) | instid1(VALU_DEP_3)
	v_mul_hi_u32 v17, s0, v13
	v_mul_lo_u32 v19, s5, v13
	v_mul_lo_u32 v18, s0, v14
	s_delay_alu instid0(VALU_DEP_1) | instskip(SKIP_1) | instid1(VALU_DEP_2)
	v_add_nc_u32_e32 v17, v17, v18
	v_mul_lo_u32 v18, s0, v13
	v_add_nc_u32_e32 v17, v17, v19
	s_delay_alu instid0(VALU_DEP_2) | instskip(NEXT) | instid1(VALU_DEP_2)
	v_mul_hi_u32 v19, v13, v18
	v_mul_lo_u32 v20, v13, v17
	v_mul_hi_u32 v21, v13, v17
	v_mul_hi_u32 v23, v14, v18
	v_mul_lo_u32 v18, v14, v18
	v_mul_hi_u32 v24, v14, v17
	v_mul_lo_u32 v17, v14, v17
	v_add_co_u32 v19, vcc_lo, v19, v20
	v_add_co_ci_u32_e32 v20, vcc_lo, 0, v21, vcc_lo
	s_delay_alu instid0(VALU_DEP_2) | instskip(NEXT) | instid1(VALU_DEP_2)
	v_add_co_u32 v18, vcc_lo, v19, v18
	v_add_co_ci_u32_e32 v18, vcc_lo, v20, v23, vcc_lo
	v_add_co_ci_u32_e32 v19, vcc_lo, 0, v24, vcc_lo
	v_add_co_u32 v15, vcc_lo, v15, v22
	v_add_co_ci_u32_e32 v16, vcc_lo, v16, v22, vcc_lo
	s_delay_alu instid0(VALU_DEP_4) | instskip(NEXT) | instid1(VALU_DEP_4)
	v_add_co_u32 v17, vcc_lo, v18, v17
	v_add_co_ci_u32_e32 v18, vcc_lo, 0, v19, vcc_lo
	s_delay_alu instid0(VALU_DEP_4) | instskip(NEXT) | instid1(VALU_DEP_3)
	v_xor_b32_e32 v19, v15, v22
	v_add_co_u32 v17, vcc_lo, v13, v17
	s_delay_alu instid0(VALU_DEP_3) | instskip(SKIP_1) | instid1(VALU_DEP_3)
	v_add_co_ci_u32_e32 v20, vcc_lo, v14, v18, vcc_lo
	v_xor_b32_e32 v21, v16, v22
	v_mul_hi_u32 v23, v19, v17
	s_delay_alu instid0(VALU_DEP_3) | instskip(NEXT) | instid1(VALU_DEP_3)
	v_mad_u64_u32 v[13:14], null, v19, v20, 0
	v_mad_u64_u32 v[15:16], null, v21, v17, 0
	;; [unrolled: 1-line block ×3, first 2 shown]
	s_delay_alu instid0(VALU_DEP_3) | instskip(NEXT) | instid1(VALU_DEP_4)
	v_add_co_u32 v13, vcc_lo, v23, v13
	v_add_co_ci_u32_e32 v14, vcc_lo, 0, v14, vcc_lo
	s_delay_alu instid0(VALU_DEP_2) | instskip(NEXT) | instid1(VALU_DEP_2)
	v_add_co_u32 v13, vcc_lo, v13, v15
	v_add_co_ci_u32_e32 v13, vcc_lo, v14, v16, vcc_lo
	v_add_co_ci_u32_e32 v14, vcc_lo, 0, v18, vcc_lo
	s_delay_alu instid0(VALU_DEP_2) | instskip(NEXT) | instid1(VALU_DEP_2)
	v_add_co_u32 v15, vcc_lo, v13, v17
	v_add_co_ci_u32_e32 v16, vcc_lo, 0, v14, vcc_lo
	s_delay_alu instid0(VALU_DEP_2) | instskip(SKIP_1) | instid1(VALU_DEP_3)
	v_mul_lo_u32 v17, s7, v15
	v_mad_u64_u32 v[13:14], null, s6, v15, 0
	v_mul_lo_u32 v18, s6, v16
	s_delay_alu instid0(VALU_DEP_2) | instskip(NEXT) | instid1(VALU_DEP_2)
	v_sub_co_u32 v13, vcc_lo, v19, v13
	v_add3_u32 v14, v14, v18, v17
	s_delay_alu instid0(VALU_DEP_1) | instskip(NEXT) | instid1(VALU_DEP_1)
	v_sub_nc_u32_e32 v17, v21, v14
	v_subrev_co_ci_u32_e64 v17, s0, s7, v17, vcc_lo
	v_add_co_u32 v18, s0, v15, 2
	s_delay_alu instid0(VALU_DEP_1) | instskip(SKIP_3) | instid1(VALU_DEP_3)
	v_add_co_ci_u32_e64 v19, s0, 0, v16, s0
	v_sub_co_u32 v20, s0, v13, s6
	v_sub_co_ci_u32_e32 v14, vcc_lo, v21, v14, vcc_lo
	v_subrev_co_ci_u32_e64 v17, s0, 0, v17, s0
	v_cmp_le_u32_e32 vcc_lo, s6, v20
	s_delay_alu instid0(VALU_DEP_3) | instskip(SKIP_1) | instid1(VALU_DEP_4)
	v_cmp_eq_u32_e64 s0, s7, v14
	v_cndmask_b32_e64 v20, 0, -1, vcc_lo
	v_cmp_le_u32_e32 vcc_lo, s7, v17
	v_cndmask_b32_e64 v21, 0, -1, vcc_lo
	v_cmp_le_u32_e32 vcc_lo, s6, v13
	;; [unrolled: 2-line block ×3, first 2 shown]
	v_cndmask_b32_e64 v23, 0, -1, vcc_lo
	v_cmp_eq_u32_e32 vcc_lo, s7, v17
	s_delay_alu instid0(VALU_DEP_2) | instskip(SKIP_3) | instid1(VALU_DEP_3)
	v_cndmask_b32_e64 v13, v23, v13, s0
	v_cndmask_b32_e32 v17, v21, v20, vcc_lo
	v_add_co_u32 v20, vcc_lo, v15, 1
	v_add_co_ci_u32_e32 v21, vcc_lo, 0, v16, vcc_lo
	v_cmp_ne_u32_e32 vcc_lo, 0, v17
	s_delay_alu instid0(VALU_DEP_2) | instskip(SKIP_2) | instid1(VALU_DEP_3)
	v_dual_cndmask_b32 v14, v21, v19 :: v_dual_cndmask_b32 v17, v20, v18
	v_cmp_ne_u32_e32 vcc_lo, 0, v13
	v_xor_b32_e32 v18, s4, v22
	v_dual_cndmask_b32 v13, v16, v14 :: v_dual_cndmask_b32 v14, v15, v17
	s_delay_alu instid0(VALU_DEP_1) | instskip(NEXT) | instid1(VALU_DEP_2)
	v_xor_b32_e32 v15, v13, v18
	v_xor_b32_e32 v14, v14, v18
	s_delay_alu instid0(VALU_DEP_1) | instskip(NEXT) | instid1(VALU_DEP_3)
	v_sub_co_u32 v13, vcc_lo, v14, v18
	v_sub_co_ci_u32_e32 v14, vcc_lo, v15, v18, vcc_lo
                                        ; implicit-def: $vgpr15
.LBB1169_31:
	s_and_not1_saveexec_b32 s0, s1
	s_cbranch_execz .LBB1169_33
; %bb.32:
	v_cvt_f32_u32_e32 v13, s38
	s_sub_i32 s1, 0, s38
	s_delay_alu instid0(VALU_DEP_1) | instskip(SKIP_2) | instid1(VALU_DEP_1)
	v_rcp_iflag_f32_e32 v13, v13
	s_waitcnt_depctr 0xfff
	v_mul_f32_e32 v13, 0x4f7ffffe, v13
	v_cvt_u32_f32_e32 v13, v13
	s_delay_alu instid0(VALU_DEP_1) | instskip(NEXT) | instid1(VALU_DEP_1)
	v_mul_lo_u32 v14, s1, v13
	v_mul_hi_u32 v14, v13, v14
	s_delay_alu instid0(VALU_DEP_1) | instskip(NEXT) | instid1(VALU_DEP_1)
	v_add_nc_u32_e32 v13, v13, v14
	v_mul_hi_u32 v13, v15, v13
	s_delay_alu instid0(VALU_DEP_1) | instskip(NEXT) | instid1(VALU_DEP_1)
	v_mul_lo_u32 v14, v13, s38
	v_sub_nc_u32_e32 v14, v15, v14
	v_add_nc_u32_e32 v15, 1, v13
	s_delay_alu instid0(VALU_DEP_2) | instskip(SKIP_1) | instid1(VALU_DEP_2)
	v_subrev_nc_u32_e32 v16, s38, v14
	v_cmp_le_u32_e32 vcc_lo, s38, v14
	v_dual_cndmask_b32 v14, v14, v16 :: v_dual_cndmask_b32 v13, v13, v15
	s_delay_alu instid0(VALU_DEP_1) | instskip(NEXT) | instid1(VALU_DEP_2)
	v_cmp_le_u32_e32 vcc_lo, s38, v14
	v_dual_mov_b32 v14, 0 :: v_dual_add_nc_u32 v15, 1, v13
	s_delay_alu instid0(VALU_DEP_1)
	v_cndmask_b32_e32 v13, v13, v15, vcc_lo
.LBB1169_33:
	s_or_b32 exec_lo, exec_lo, s0
	v_add_co_u32 v17, vcc_lo, 0x700, v29
	v_add_co_ci_u32_e32 v18, vcc_lo, 0, v30, vcc_lo
	v_mov_b32_e32 v15, 0
	s_delay_alu instid0(VALU_DEP_2) | instskip(NEXT) | instid1(VALU_DEP_1)
	v_or_b32_e32 v16, s39, v18
	v_cmp_ne_u64_e32 vcc_lo, 0, v[15:16]
                                        ; implicit-def: $vgpr15_vgpr16
	s_and_saveexec_b32 s0, vcc_lo
	s_delay_alu instid0(SALU_CYCLE_1)
	s_xor_b32 s1, exec_lo, s0
	s_cbranch_execz .LBB1169_35
; %bb.34:
	s_ashr_i32 s4, s39, 31
	s_delay_alu instid0(SALU_CYCLE_1) | instskip(SKIP_2) | instid1(SALU_CYCLE_1)
	s_add_u32 s6, s38, s4
	s_mov_b32 s5, s4
	s_addc_u32 s7, s39, s4
	s_xor_b64 s[6:7], s[6:7], s[4:5]
	s_delay_alu instid0(SALU_CYCLE_1) | instskip(SKIP_3) | instid1(VALU_DEP_1)
	v_cvt_f32_u32_e32 v15, s6
	v_cvt_f32_u32_e32 v16, s7
	s_sub_u32 s0, 0, s6
	s_subb_u32 s5, 0, s7
	v_fmamk_f32 v15, v16, 0x4f800000, v15
	s_delay_alu instid0(VALU_DEP_1) | instskip(SKIP_2) | instid1(VALU_DEP_1)
	v_rcp_f32_e32 v15, v15
	s_waitcnt_depctr 0xfff
	v_mul_f32_e32 v15, 0x5f7ffffc, v15
	v_mul_f32_e32 v16, 0x2f800000, v15
	s_delay_alu instid0(VALU_DEP_1) | instskip(NEXT) | instid1(VALU_DEP_1)
	v_trunc_f32_e32 v16, v16
	v_fmamk_f32 v15, v16, 0xcf800000, v15
	v_cvt_u32_f32_e32 v16, v16
	s_delay_alu instid0(VALU_DEP_2) | instskip(NEXT) | instid1(VALU_DEP_2)
	v_cvt_u32_f32_e32 v15, v15
	v_mul_lo_u32 v19, s0, v16
	s_delay_alu instid0(VALU_DEP_2) | instskip(SKIP_1) | instid1(VALU_DEP_2)
	v_mul_hi_u32 v20, s0, v15
	v_mul_lo_u32 v21, s5, v15
	v_add_nc_u32_e32 v19, v20, v19
	v_mul_lo_u32 v20, s0, v15
	s_delay_alu instid0(VALU_DEP_2) | instskip(NEXT) | instid1(VALU_DEP_2)
	v_add_nc_u32_e32 v19, v19, v21
	v_mul_hi_u32 v21, v15, v20
	s_delay_alu instid0(VALU_DEP_2)
	v_mul_lo_u32 v22, v15, v19
	v_mul_hi_u32 v23, v15, v19
	v_mul_hi_u32 v24, v16, v20
	v_mul_lo_u32 v20, v16, v20
	v_mul_hi_u32 v25, v16, v19
	v_mul_lo_u32 v19, v16, v19
	v_add_co_u32 v21, vcc_lo, v21, v22
	v_add_co_ci_u32_e32 v22, vcc_lo, 0, v23, vcc_lo
	s_delay_alu instid0(VALU_DEP_2) | instskip(NEXT) | instid1(VALU_DEP_2)
	v_add_co_u32 v20, vcc_lo, v21, v20
	v_add_co_ci_u32_e32 v20, vcc_lo, v22, v24, vcc_lo
	v_add_co_ci_u32_e32 v21, vcc_lo, 0, v25, vcc_lo
	v_ashrrev_i32_e32 v24, 31, v18
	s_delay_alu instid0(VALU_DEP_3) | instskip(NEXT) | instid1(VALU_DEP_3)
	v_add_co_u32 v19, vcc_lo, v20, v19
	v_add_co_ci_u32_e32 v20, vcc_lo, 0, v21, vcc_lo
	s_delay_alu instid0(VALU_DEP_2) | instskip(NEXT) | instid1(VALU_DEP_2)
	v_add_co_u32 v15, vcc_lo, v15, v19
	v_add_co_ci_u32_e32 v16, vcc_lo, v16, v20, vcc_lo
	s_delay_alu instid0(VALU_DEP_2) | instskip(SKIP_1) | instid1(VALU_DEP_3)
	v_mul_hi_u32 v19, s0, v15
	v_mul_lo_u32 v21, s5, v15
	v_mul_lo_u32 v20, s0, v16
	s_delay_alu instid0(VALU_DEP_1) | instskip(SKIP_1) | instid1(VALU_DEP_2)
	v_add_nc_u32_e32 v19, v19, v20
	v_mul_lo_u32 v20, s0, v15
	v_add_nc_u32_e32 v19, v19, v21
	s_delay_alu instid0(VALU_DEP_2) | instskip(NEXT) | instid1(VALU_DEP_2)
	v_mul_hi_u32 v21, v15, v20
	v_mul_lo_u32 v22, v15, v19
	v_mul_hi_u32 v23, v15, v19
	v_mul_hi_u32 v25, v16, v20
	v_mul_lo_u32 v20, v16, v20
	v_mul_hi_u32 v26, v16, v19
	v_mul_lo_u32 v19, v16, v19
	v_add_co_u32 v21, vcc_lo, v21, v22
	v_add_co_ci_u32_e32 v22, vcc_lo, 0, v23, vcc_lo
	s_delay_alu instid0(VALU_DEP_2) | instskip(NEXT) | instid1(VALU_DEP_2)
	v_add_co_u32 v20, vcc_lo, v21, v20
	v_add_co_ci_u32_e32 v20, vcc_lo, v22, v25, vcc_lo
	v_add_co_ci_u32_e32 v21, vcc_lo, 0, v26, vcc_lo
	v_add_co_u32 v17, vcc_lo, v17, v24
	v_add_co_ci_u32_e32 v18, vcc_lo, v18, v24, vcc_lo
	s_delay_alu instid0(VALU_DEP_4) | instskip(NEXT) | instid1(VALU_DEP_4)
	v_add_co_u32 v19, vcc_lo, v20, v19
	v_add_co_ci_u32_e32 v20, vcc_lo, 0, v21, vcc_lo
	s_delay_alu instid0(VALU_DEP_4) | instskip(NEXT) | instid1(VALU_DEP_3)
	v_xor_b32_e32 v21, v17, v24
	v_add_co_u32 v19, vcc_lo, v15, v19
	s_delay_alu instid0(VALU_DEP_3) | instskip(SKIP_1) | instid1(VALU_DEP_3)
	v_add_co_ci_u32_e32 v22, vcc_lo, v16, v20, vcc_lo
	v_xor_b32_e32 v23, v18, v24
	v_mul_hi_u32 v25, v21, v19
	s_delay_alu instid0(VALU_DEP_3) | instskip(NEXT) | instid1(VALU_DEP_3)
	v_mad_u64_u32 v[15:16], null, v21, v22, 0
	v_mad_u64_u32 v[17:18], null, v23, v19, 0
	;; [unrolled: 1-line block ×3, first 2 shown]
	s_delay_alu instid0(VALU_DEP_3) | instskip(NEXT) | instid1(VALU_DEP_4)
	v_add_co_u32 v15, vcc_lo, v25, v15
	v_add_co_ci_u32_e32 v16, vcc_lo, 0, v16, vcc_lo
	s_delay_alu instid0(VALU_DEP_2) | instskip(NEXT) | instid1(VALU_DEP_2)
	v_add_co_u32 v15, vcc_lo, v15, v17
	v_add_co_ci_u32_e32 v15, vcc_lo, v16, v18, vcc_lo
	v_add_co_ci_u32_e32 v16, vcc_lo, 0, v20, vcc_lo
	s_delay_alu instid0(VALU_DEP_2) | instskip(NEXT) | instid1(VALU_DEP_2)
	v_add_co_u32 v17, vcc_lo, v15, v19
	v_add_co_ci_u32_e32 v18, vcc_lo, 0, v16, vcc_lo
	s_delay_alu instid0(VALU_DEP_2) | instskip(SKIP_1) | instid1(VALU_DEP_3)
	v_mul_lo_u32 v19, s7, v17
	v_mad_u64_u32 v[15:16], null, s6, v17, 0
	v_mul_lo_u32 v20, s6, v18
	s_delay_alu instid0(VALU_DEP_2) | instskip(NEXT) | instid1(VALU_DEP_2)
	v_sub_co_u32 v15, vcc_lo, v21, v15
	v_add3_u32 v16, v16, v20, v19
	s_delay_alu instid0(VALU_DEP_1) | instskip(NEXT) | instid1(VALU_DEP_1)
	v_sub_nc_u32_e32 v19, v23, v16
	v_subrev_co_ci_u32_e64 v19, s0, s7, v19, vcc_lo
	v_add_co_u32 v20, s0, v17, 2
	s_delay_alu instid0(VALU_DEP_1) | instskip(SKIP_3) | instid1(VALU_DEP_3)
	v_add_co_ci_u32_e64 v21, s0, 0, v18, s0
	v_sub_co_u32 v22, s0, v15, s6
	v_sub_co_ci_u32_e32 v16, vcc_lo, v23, v16, vcc_lo
	v_subrev_co_ci_u32_e64 v19, s0, 0, v19, s0
	v_cmp_le_u32_e32 vcc_lo, s6, v22
	s_delay_alu instid0(VALU_DEP_3) | instskip(SKIP_1) | instid1(VALU_DEP_4)
	v_cmp_eq_u32_e64 s0, s7, v16
	v_cndmask_b32_e64 v22, 0, -1, vcc_lo
	v_cmp_le_u32_e32 vcc_lo, s7, v19
	v_cndmask_b32_e64 v23, 0, -1, vcc_lo
	v_cmp_le_u32_e32 vcc_lo, s6, v15
	v_cndmask_b32_e64 v15, 0, -1, vcc_lo
	v_cmp_le_u32_e32 vcc_lo, s7, v16
	v_cndmask_b32_e64 v25, 0, -1, vcc_lo
	v_cmp_eq_u32_e32 vcc_lo, s7, v19
	s_delay_alu instid0(VALU_DEP_2) | instskip(SKIP_3) | instid1(VALU_DEP_3)
	v_cndmask_b32_e64 v15, v25, v15, s0
	v_cndmask_b32_e32 v19, v23, v22, vcc_lo
	v_add_co_u32 v22, vcc_lo, v17, 1
	v_add_co_ci_u32_e32 v23, vcc_lo, 0, v18, vcc_lo
	v_cmp_ne_u32_e32 vcc_lo, 0, v19
	s_delay_alu instid0(VALU_DEP_2) | instskip(SKIP_2) | instid1(VALU_DEP_3)
	v_dual_cndmask_b32 v16, v23, v21 :: v_dual_cndmask_b32 v19, v22, v20
	v_cmp_ne_u32_e32 vcc_lo, 0, v15
	v_xor_b32_e32 v20, s4, v24
	v_dual_cndmask_b32 v15, v18, v16 :: v_dual_cndmask_b32 v16, v17, v19
	s_delay_alu instid0(VALU_DEP_1) | instskip(NEXT) | instid1(VALU_DEP_2)
	v_xor_b32_e32 v17, v15, v20
	v_xor_b32_e32 v16, v16, v20
	s_delay_alu instid0(VALU_DEP_1) | instskip(NEXT) | instid1(VALU_DEP_3)
	v_sub_co_u32 v15, vcc_lo, v16, v20
	v_sub_co_ci_u32_e32 v16, vcc_lo, v17, v20, vcc_lo
                                        ; implicit-def: $vgpr17
.LBB1169_35:
	s_and_not1_saveexec_b32 s0, s1
	s_cbranch_execz .LBB1169_37
; %bb.36:
	v_cvt_f32_u32_e32 v15, s38
	s_sub_i32 s1, 0, s38
	s_delay_alu instid0(VALU_DEP_1) | instskip(SKIP_2) | instid1(VALU_DEP_1)
	v_rcp_iflag_f32_e32 v15, v15
	s_waitcnt_depctr 0xfff
	v_mul_f32_e32 v15, 0x4f7ffffe, v15
	v_cvt_u32_f32_e32 v15, v15
	s_delay_alu instid0(VALU_DEP_1) | instskip(NEXT) | instid1(VALU_DEP_1)
	v_mul_lo_u32 v16, s1, v15
	v_mul_hi_u32 v16, v15, v16
	s_delay_alu instid0(VALU_DEP_1) | instskip(NEXT) | instid1(VALU_DEP_1)
	v_add_nc_u32_e32 v15, v15, v16
	v_mul_hi_u32 v15, v17, v15
	s_delay_alu instid0(VALU_DEP_1) | instskip(NEXT) | instid1(VALU_DEP_1)
	v_mul_lo_u32 v16, v15, s38
	v_sub_nc_u32_e32 v16, v17, v16
	v_add_nc_u32_e32 v17, 1, v15
	s_delay_alu instid0(VALU_DEP_2) | instskip(SKIP_1) | instid1(VALU_DEP_2)
	v_subrev_nc_u32_e32 v18, s38, v16
	v_cmp_le_u32_e32 vcc_lo, s38, v16
	v_dual_cndmask_b32 v16, v16, v18 :: v_dual_cndmask_b32 v15, v15, v17
	s_delay_alu instid0(VALU_DEP_1) | instskip(NEXT) | instid1(VALU_DEP_2)
	v_cmp_le_u32_e32 vcc_lo, s38, v16
	v_dual_mov_b32 v16, 0 :: v_dual_add_nc_u32 v17, 1, v15
	s_delay_alu instid0(VALU_DEP_1)
	v_cndmask_b32_e32 v15, v15, v17, vcc_lo
.LBB1169_37:
	s_or_b32 exec_lo, exec_lo, s0
	v_add_co_u32 v19, vcc_lo, 0x800, v29
	v_add_co_ci_u32_e32 v20, vcc_lo, 0, v30, vcc_lo
	v_mov_b32_e32 v17, 0
	s_delay_alu instid0(VALU_DEP_2) | instskip(NEXT) | instid1(VALU_DEP_1)
	v_or_b32_e32 v18, s39, v20
	v_cmp_ne_u64_e32 vcc_lo, 0, v[17:18]
                                        ; implicit-def: $vgpr17_vgpr18
	s_and_saveexec_b32 s0, vcc_lo
	s_delay_alu instid0(SALU_CYCLE_1)
	s_xor_b32 s1, exec_lo, s0
	s_cbranch_execz .LBB1169_39
; %bb.38:
	s_ashr_i32 s4, s39, 31
	s_delay_alu instid0(SALU_CYCLE_1) | instskip(SKIP_2) | instid1(SALU_CYCLE_1)
	s_add_u32 s6, s38, s4
	s_mov_b32 s5, s4
	s_addc_u32 s7, s39, s4
	s_xor_b64 s[6:7], s[6:7], s[4:5]
	s_delay_alu instid0(SALU_CYCLE_1) | instskip(SKIP_3) | instid1(VALU_DEP_1)
	v_cvt_f32_u32_e32 v17, s6
	v_cvt_f32_u32_e32 v18, s7
	s_sub_u32 s0, 0, s6
	s_subb_u32 s5, 0, s7
	v_fmamk_f32 v17, v18, 0x4f800000, v17
	s_delay_alu instid0(VALU_DEP_1) | instskip(SKIP_2) | instid1(VALU_DEP_1)
	v_rcp_f32_e32 v17, v17
	s_waitcnt_depctr 0xfff
	v_mul_f32_e32 v17, 0x5f7ffffc, v17
	v_mul_f32_e32 v18, 0x2f800000, v17
	s_delay_alu instid0(VALU_DEP_1) | instskip(NEXT) | instid1(VALU_DEP_1)
	v_trunc_f32_e32 v18, v18
	v_fmamk_f32 v17, v18, 0xcf800000, v17
	v_cvt_u32_f32_e32 v18, v18
	s_delay_alu instid0(VALU_DEP_2) | instskip(NEXT) | instid1(VALU_DEP_2)
	v_cvt_u32_f32_e32 v17, v17
	v_mul_lo_u32 v21, s0, v18
	s_delay_alu instid0(VALU_DEP_2) | instskip(SKIP_1) | instid1(VALU_DEP_2)
	v_mul_hi_u32 v22, s0, v17
	v_mul_lo_u32 v23, s5, v17
	v_add_nc_u32_e32 v21, v22, v21
	v_mul_lo_u32 v22, s0, v17
	s_delay_alu instid0(VALU_DEP_2) | instskip(NEXT) | instid1(VALU_DEP_2)
	v_add_nc_u32_e32 v21, v21, v23
	v_mul_hi_u32 v23, v17, v22
	s_delay_alu instid0(VALU_DEP_2)
	v_mul_lo_u32 v24, v17, v21
	v_mul_hi_u32 v25, v17, v21
	v_mul_hi_u32 v26, v18, v22
	v_mul_lo_u32 v22, v18, v22
	v_mul_hi_u32 v27, v18, v21
	v_mul_lo_u32 v21, v18, v21
	v_add_co_u32 v23, vcc_lo, v23, v24
	v_add_co_ci_u32_e32 v24, vcc_lo, 0, v25, vcc_lo
	s_delay_alu instid0(VALU_DEP_2) | instskip(NEXT) | instid1(VALU_DEP_2)
	v_add_co_u32 v22, vcc_lo, v23, v22
	v_add_co_ci_u32_e32 v22, vcc_lo, v24, v26, vcc_lo
	v_add_co_ci_u32_e32 v23, vcc_lo, 0, v27, vcc_lo
	v_ashrrev_i32_e32 v26, 31, v20
	s_delay_alu instid0(VALU_DEP_3) | instskip(NEXT) | instid1(VALU_DEP_3)
	v_add_co_u32 v21, vcc_lo, v22, v21
	v_add_co_ci_u32_e32 v22, vcc_lo, 0, v23, vcc_lo
	s_delay_alu instid0(VALU_DEP_2) | instskip(NEXT) | instid1(VALU_DEP_2)
	v_add_co_u32 v17, vcc_lo, v17, v21
	v_add_co_ci_u32_e32 v18, vcc_lo, v18, v22, vcc_lo
	s_delay_alu instid0(VALU_DEP_2) | instskip(SKIP_1) | instid1(VALU_DEP_3)
	v_mul_hi_u32 v21, s0, v17
	v_mul_lo_u32 v23, s5, v17
	v_mul_lo_u32 v22, s0, v18
	s_delay_alu instid0(VALU_DEP_1) | instskip(SKIP_1) | instid1(VALU_DEP_2)
	v_add_nc_u32_e32 v21, v21, v22
	v_mul_lo_u32 v22, s0, v17
	v_add_nc_u32_e32 v21, v21, v23
	s_delay_alu instid0(VALU_DEP_2) | instskip(NEXT) | instid1(VALU_DEP_2)
	v_mul_hi_u32 v23, v17, v22
	v_mul_lo_u32 v24, v17, v21
	v_mul_hi_u32 v25, v17, v21
	v_mul_hi_u32 v27, v18, v22
	v_mul_lo_u32 v22, v18, v22
	v_mul_hi_u32 v28, v18, v21
	v_mul_lo_u32 v21, v18, v21
	v_add_co_u32 v23, vcc_lo, v23, v24
	v_add_co_ci_u32_e32 v24, vcc_lo, 0, v25, vcc_lo
	s_delay_alu instid0(VALU_DEP_2) | instskip(NEXT) | instid1(VALU_DEP_2)
	v_add_co_u32 v22, vcc_lo, v23, v22
	v_add_co_ci_u32_e32 v22, vcc_lo, v24, v27, vcc_lo
	v_add_co_ci_u32_e32 v23, vcc_lo, 0, v28, vcc_lo
	v_add_co_u32 v19, vcc_lo, v19, v26
	v_add_co_ci_u32_e32 v20, vcc_lo, v20, v26, vcc_lo
	s_delay_alu instid0(VALU_DEP_4) | instskip(NEXT) | instid1(VALU_DEP_4)
	v_add_co_u32 v21, vcc_lo, v22, v21
	v_add_co_ci_u32_e32 v22, vcc_lo, 0, v23, vcc_lo
	s_delay_alu instid0(VALU_DEP_4) | instskip(NEXT) | instid1(VALU_DEP_3)
	v_xor_b32_e32 v23, v19, v26
	v_add_co_u32 v21, vcc_lo, v17, v21
	s_delay_alu instid0(VALU_DEP_3) | instskip(SKIP_1) | instid1(VALU_DEP_3)
	v_add_co_ci_u32_e32 v24, vcc_lo, v18, v22, vcc_lo
	v_xor_b32_e32 v25, v20, v26
	v_mul_hi_u32 v27, v23, v21
	s_delay_alu instid0(VALU_DEP_3) | instskip(NEXT) | instid1(VALU_DEP_3)
	v_mad_u64_u32 v[17:18], null, v23, v24, 0
	v_mad_u64_u32 v[19:20], null, v25, v21, 0
	;; [unrolled: 1-line block ×3, first 2 shown]
	s_delay_alu instid0(VALU_DEP_3) | instskip(NEXT) | instid1(VALU_DEP_4)
	v_add_co_u32 v17, vcc_lo, v27, v17
	v_add_co_ci_u32_e32 v18, vcc_lo, 0, v18, vcc_lo
	s_delay_alu instid0(VALU_DEP_2) | instskip(NEXT) | instid1(VALU_DEP_2)
	v_add_co_u32 v17, vcc_lo, v17, v19
	v_add_co_ci_u32_e32 v17, vcc_lo, v18, v20, vcc_lo
	v_add_co_ci_u32_e32 v18, vcc_lo, 0, v22, vcc_lo
	s_delay_alu instid0(VALU_DEP_2) | instskip(NEXT) | instid1(VALU_DEP_2)
	v_add_co_u32 v19, vcc_lo, v17, v21
	v_add_co_ci_u32_e32 v20, vcc_lo, 0, v18, vcc_lo
	s_delay_alu instid0(VALU_DEP_2) | instskip(SKIP_1) | instid1(VALU_DEP_3)
	v_mul_lo_u32 v21, s7, v19
	v_mad_u64_u32 v[17:18], null, s6, v19, 0
	v_mul_lo_u32 v22, s6, v20
	s_delay_alu instid0(VALU_DEP_2) | instskip(NEXT) | instid1(VALU_DEP_2)
	v_sub_co_u32 v17, vcc_lo, v23, v17
	v_add3_u32 v18, v18, v22, v21
	s_delay_alu instid0(VALU_DEP_1) | instskip(NEXT) | instid1(VALU_DEP_1)
	v_sub_nc_u32_e32 v21, v25, v18
	v_subrev_co_ci_u32_e64 v21, s0, s7, v21, vcc_lo
	v_add_co_u32 v22, s0, v19, 2
	s_delay_alu instid0(VALU_DEP_1) | instskip(SKIP_3) | instid1(VALU_DEP_3)
	v_add_co_ci_u32_e64 v23, s0, 0, v20, s0
	v_sub_co_u32 v24, s0, v17, s6
	v_sub_co_ci_u32_e32 v18, vcc_lo, v25, v18, vcc_lo
	v_subrev_co_ci_u32_e64 v21, s0, 0, v21, s0
	v_cmp_le_u32_e32 vcc_lo, s6, v24
	s_delay_alu instid0(VALU_DEP_3) | instskip(SKIP_1) | instid1(VALU_DEP_4)
	v_cmp_eq_u32_e64 s0, s7, v18
	v_cndmask_b32_e64 v24, 0, -1, vcc_lo
	v_cmp_le_u32_e32 vcc_lo, s7, v21
	v_cndmask_b32_e64 v25, 0, -1, vcc_lo
	v_cmp_le_u32_e32 vcc_lo, s6, v17
	;; [unrolled: 2-line block ×3, first 2 shown]
	v_cndmask_b32_e64 v27, 0, -1, vcc_lo
	v_cmp_eq_u32_e32 vcc_lo, s7, v21
	s_delay_alu instid0(VALU_DEP_2) | instskip(SKIP_3) | instid1(VALU_DEP_3)
	v_cndmask_b32_e64 v17, v27, v17, s0
	v_cndmask_b32_e32 v21, v25, v24, vcc_lo
	v_add_co_u32 v24, vcc_lo, v19, 1
	v_add_co_ci_u32_e32 v25, vcc_lo, 0, v20, vcc_lo
	v_cmp_ne_u32_e32 vcc_lo, 0, v21
	s_delay_alu instid0(VALU_DEP_2) | instskip(SKIP_2) | instid1(VALU_DEP_3)
	v_dual_cndmask_b32 v18, v25, v23 :: v_dual_cndmask_b32 v21, v24, v22
	v_cmp_ne_u32_e32 vcc_lo, 0, v17
	v_xor_b32_e32 v22, s4, v26
	v_dual_cndmask_b32 v17, v20, v18 :: v_dual_cndmask_b32 v18, v19, v21
	s_delay_alu instid0(VALU_DEP_1) | instskip(NEXT) | instid1(VALU_DEP_2)
	v_xor_b32_e32 v19, v17, v22
	v_xor_b32_e32 v18, v18, v22
	s_delay_alu instid0(VALU_DEP_1) | instskip(NEXT) | instid1(VALU_DEP_3)
	v_sub_co_u32 v17, vcc_lo, v18, v22
	v_sub_co_ci_u32_e32 v18, vcc_lo, v19, v22, vcc_lo
                                        ; implicit-def: $vgpr19
.LBB1169_39:
	s_and_not1_saveexec_b32 s0, s1
	s_cbranch_execz .LBB1169_41
; %bb.40:
	v_cvt_f32_u32_e32 v17, s38
	s_sub_i32 s1, 0, s38
	s_delay_alu instid0(VALU_DEP_1) | instskip(SKIP_2) | instid1(VALU_DEP_1)
	v_rcp_iflag_f32_e32 v17, v17
	s_waitcnt_depctr 0xfff
	v_mul_f32_e32 v17, 0x4f7ffffe, v17
	v_cvt_u32_f32_e32 v17, v17
	s_delay_alu instid0(VALU_DEP_1) | instskip(NEXT) | instid1(VALU_DEP_1)
	v_mul_lo_u32 v18, s1, v17
	v_mul_hi_u32 v18, v17, v18
	s_delay_alu instid0(VALU_DEP_1) | instskip(NEXT) | instid1(VALU_DEP_1)
	v_add_nc_u32_e32 v17, v17, v18
	v_mul_hi_u32 v17, v19, v17
	s_delay_alu instid0(VALU_DEP_1) | instskip(NEXT) | instid1(VALU_DEP_1)
	v_mul_lo_u32 v18, v17, s38
	v_sub_nc_u32_e32 v18, v19, v18
	v_add_nc_u32_e32 v19, 1, v17
	s_delay_alu instid0(VALU_DEP_2) | instskip(SKIP_1) | instid1(VALU_DEP_2)
	v_subrev_nc_u32_e32 v20, s38, v18
	v_cmp_le_u32_e32 vcc_lo, s38, v18
	v_dual_cndmask_b32 v18, v18, v20 :: v_dual_cndmask_b32 v17, v17, v19
	s_delay_alu instid0(VALU_DEP_1) | instskip(NEXT) | instid1(VALU_DEP_2)
	v_cmp_le_u32_e32 vcc_lo, s38, v18
	v_dual_mov_b32 v18, 0 :: v_dual_add_nc_u32 v19, 1, v17
	s_delay_alu instid0(VALU_DEP_1)
	v_cndmask_b32_e32 v17, v17, v19, vcc_lo
.LBB1169_41:
	s_or_b32 exec_lo, exec_lo, s0
	v_add_co_u32 v21, vcc_lo, 0x900, v29
	v_add_co_ci_u32_e32 v22, vcc_lo, 0, v30, vcc_lo
	v_mov_b32_e32 v19, 0
	s_delay_alu instid0(VALU_DEP_2) | instskip(NEXT) | instid1(VALU_DEP_1)
	v_or_b32_e32 v20, s39, v22
	v_cmp_ne_u64_e32 vcc_lo, 0, v[19:20]
                                        ; implicit-def: $vgpr19_vgpr20
	s_and_saveexec_b32 s0, vcc_lo
	s_delay_alu instid0(SALU_CYCLE_1)
	s_xor_b32 s1, exec_lo, s0
	s_cbranch_execz .LBB1169_43
; %bb.42:
	s_ashr_i32 s4, s39, 31
	s_delay_alu instid0(SALU_CYCLE_1) | instskip(SKIP_2) | instid1(SALU_CYCLE_1)
	s_add_u32 s6, s38, s4
	s_mov_b32 s5, s4
	s_addc_u32 s7, s39, s4
	s_xor_b64 s[6:7], s[6:7], s[4:5]
	s_delay_alu instid0(SALU_CYCLE_1) | instskip(SKIP_3) | instid1(VALU_DEP_1)
	v_cvt_f32_u32_e32 v19, s6
	v_cvt_f32_u32_e32 v20, s7
	s_sub_u32 s0, 0, s6
	s_subb_u32 s5, 0, s7
	v_fmamk_f32 v19, v20, 0x4f800000, v19
	s_delay_alu instid0(VALU_DEP_1) | instskip(SKIP_2) | instid1(VALU_DEP_1)
	v_rcp_f32_e32 v19, v19
	s_waitcnt_depctr 0xfff
	v_mul_f32_e32 v19, 0x5f7ffffc, v19
	v_mul_f32_e32 v20, 0x2f800000, v19
	s_delay_alu instid0(VALU_DEP_1) | instskip(NEXT) | instid1(VALU_DEP_1)
	v_trunc_f32_e32 v20, v20
	v_fmamk_f32 v19, v20, 0xcf800000, v19
	v_cvt_u32_f32_e32 v20, v20
	s_delay_alu instid0(VALU_DEP_2) | instskip(NEXT) | instid1(VALU_DEP_2)
	v_cvt_u32_f32_e32 v19, v19
	v_mul_lo_u32 v23, s0, v20
	s_delay_alu instid0(VALU_DEP_2) | instskip(SKIP_1) | instid1(VALU_DEP_2)
	v_mul_hi_u32 v24, s0, v19
	v_mul_lo_u32 v25, s5, v19
	v_add_nc_u32_e32 v23, v24, v23
	v_mul_lo_u32 v24, s0, v19
	s_delay_alu instid0(VALU_DEP_2) | instskip(NEXT) | instid1(VALU_DEP_2)
	v_add_nc_u32_e32 v23, v23, v25
	v_mul_hi_u32 v25, v19, v24
	s_delay_alu instid0(VALU_DEP_2)
	v_mul_lo_u32 v26, v19, v23
	v_mul_hi_u32 v27, v19, v23
	v_mul_hi_u32 v28, v20, v24
	v_mul_lo_u32 v24, v20, v24
	v_mul_hi_u32 v31, v20, v23
	v_mul_lo_u32 v23, v20, v23
	v_add_co_u32 v25, vcc_lo, v25, v26
	v_add_co_ci_u32_e32 v26, vcc_lo, 0, v27, vcc_lo
	s_delay_alu instid0(VALU_DEP_2) | instskip(NEXT) | instid1(VALU_DEP_2)
	v_add_co_u32 v24, vcc_lo, v25, v24
	v_add_co_ci_u32_e32 v24, vcc_lo, v26, v28, vcc_lo
	v_add_co_ci_u32_e32 v25, vcc_lo, 0, v31, vcc_lo
	v_ashrrev_i32_e32 v28, 31, v22
	s_delay_alu instid0(VALU_DEP_3) | instskip(NEXT) | instid1(VALU_DEP_3)
	v_add_co_u32 v23, vcc_lo, v24, v23
	v_add_co_ci_u32_e32 v24, vcc_lo, 0, v25, vcc_lo
	s_delay_alu instid0(VALU_DEP_2) | instskip(NEXT) | instid1(VALU_DEP_2)
	v_add_co_u32 v19, vcc_lo, v19, v23
	v_add_co_ci_u32_e32 v20, vcc_lo, v20, v24, vcc_lo
	s_delay_alu instid0(VALU_DEP_2) | instskip(SKIP_1) | instid1(VALU_DEP_3)
	v_mul_hi_u32 v23, s0, v19
	v_mul_lo_u32 v25, s5, v19
	v_mul_lo_u32 v24, s0, v20
	s_delay_alu instid0(VALU_DEP_1) | instskip(SKIP_1) | instid1(VALU_DEP_2)
	v_add_nc_u32_e32 v23, v23, v24
	v_mul_lo_u32 v24, s0, v19
	v_add_nc_u32_e32 v23, v23, v25
	s_delay_alu instid0(VALU_DEP_2) | instskip(NEXT) | instid1(VALU_DEP_2)
	v_mul_hi_u32 v25, v19, v24
	v_mul_lo_u32 v26, v19, v23
	v_mul_hi_u32 v27, v19, v23
	v_mul_hi_u32 v31, v20, v24
	v_mul_lo_u32 v24, v20, v24
	v_mul_hi_u32 v32, v20, v23
	v_mul_lo_u32 v23, v20, v23
	v_add_co_u32 v25, vcc_lo, v25, v26
	v_add_co_ci_u32_e32 v26, vcc_lo, 0, v27, vcc_lo
	s_delay_alu instid0(VALU_DEP_2) | instskip(NEXT) | instid1(VALU_DEP_2)
	v_add_co_u32 v24, vcc_lo, v25, v24
	v_add_co_ci_u32_e32 v24, vcc_lo, v26, v31, vcc_lo
	v_add_co_ci_u32_e32 v25, vcc_lo, 0, v32, vcc_lo
	v_add_co_u32 v21, vcc_lo, v21, v28
	v_add_co_ci_u32_e32 v22, vcc_lo, v22, v28, vcc_lo
	s_delay_alu instid0(VALU_DEP_4) | instskip(NEXT) | instid1(VALU_DEP_4)
	v_add_co_u32 v23, vcc_lo, v24, v23
	v_add_co_ci_u32_e32 v24, vcc_lo, 0, v25, vcc_lo
	s_delay_alu instid0(VALU_DEP_4) | instskip(NEXT) | instid1(VALU_DEP_3)
	v_xor_b32_e32 v25, v21, v28
	v_add_co_u32 v23, vcc_lo, v19, v23
	s_delay_alu instid0(VALU_DEP_3) | instskip(SKIP_1) | instid1(VALU_DEP_3)
	v_add_co_ci_u32_e32 v26, vcc_lo, v20, v24, vcc_lo
	v_xor_b32_e32 v27, v22, v28
	v_mul_hi_u32 v31, v25, v23
	s_delay_alu instid0(VALU_DEP_3) | instskip(NEXT) | instid1(VALU_DEP_3)
	v_mad_u64_u32 v[19:20], null, v25, v26, 0
	v_mad_u64_u32 v[21:22], null, v27, v23, 0
	v_mad_u64_u32 v[23:24], null, v27, v26, 0
	s_delay_alu instid0(VALU_DEP_3) | instskip(NEXT) | instid1(VALU_DEP_4)
	v_add_co_u32 v19, vcc_lo, v31, v19
	v_add_co_ci_u32_e32 v20, vcc_lo, 0, v20, vcc_lo
	s_delay_alu instid0(VALU_DEP_2) | instskip(NEXT) | instid1(VALU_DEP_2)
	v_add_co_u32 v19, vcc_lo, v19, v21
	v_add_co_ci_u32_e32 v19, vcc_lo, v20, v22, vcc_lo
	v_add_co_ci_u32_e32 v20, vcc_lo, 0, v24, vcc_lo
	s_delay_alu instid0(VALU_DEP_2) | instskip(NEXT) | instid1(VALU_DEP_2)
	v_add_co_u32 v21, vcc_lo, v19, v23
	v_add_co_ci_u32_e32 v22, vcc_lo, 0, v20, vcc_lo
	s_delay_alu instid0(VALU_DEP_2) | instskip(SKIP_1) | instid1(VALU_DEP_3)
	v_mul_lo_u32 v23, s7, v21
	v_mad_u64_u32 v[19:20], null, s6, v21, 0
	v_mul_lo_u32 v24, s6, v22
	s_delay_alu instid0(VALU_DEP_2) | instskip(NEXT) | instid1(VALU_DEP_2)
	v_sub_co_u32 v19, vcc_lo, v25, v19
	v_add3_u32 v20, v20, v24, v23
	s_delay_alu instid0(VALU_DEP_1) | instskip(NEXT) | instid1(VALU_DEP_1)
	v_sub_nc_u32_e32 v23, v27, v20
	v_subrev_co_ci_u32_e64 v23, s0, s7, v23, vcc_lo
	v_add_co_u32 v24, s0, v21, 2
	s_delay_alu instid0(VALU_DEP_1) | instskip(SKIP_3) | instid1(VALU_DEP_3)
	v_add_co_ci_u32_e64 v25, s0, 0, v22, s0
	v_sub_co_u32 v26, s0, v19, s6
	v_sub_co_ci_u32_e32 v20, vcc_lo, v27, v20, vcc_lo
	v_subrev_co_ci_u32_e64 v23, s0, 0, v23, s0
	v_cmp_le_u32_e32 vcc_lo, s6, v26
	s_delay_alu instid0(VALU_DEP_3) | instskip(SKIP_1) | instid1(VALU_DEP_4)
	v_cmp_eq_u32_e64 s0, s7, v20
	v_cndmask_b32_e64 v26, 0, -1, vcc_lo
	v_cmp_le_u32_e32 vcc_lo, s7, v23
	v_cndmask_b32_e64 v27, 0, -1, vcc_lo
	v_cmp_le_u32_e32 vcc_lo, s6, v19
	;; [unrolled: 2-line block ×3, first 2 shown]
	v_cndmask_b32_e64 v31, 0, -1, vcc_lo
	v_cmp_eq_u32_e32 vcc_lo, s7, v23
	s_delay_alu instid0(VALU_DEP_2) | instskip(SKIP_3) | instid1(VALU_DEP_3)
	v_cndmask_b32_e64 v19, v31, v19, s0
	v_cndmask_b32_e32 v23, v27, v26, vcc_lo
	v_add_co_u32 v26, vcc_lo, v21, 1
	v_add_co_ci_u32_e32 v27, vcc_lo, 0, v22, vcc_lo
	v_cmp_ne_u32_e32 vcc_lo, 0, v23
	s_delay_alu instid0(VALU_DEP_2) | instskip(SKIP_2) | instid1(VALU_DEP_3)
	v_dual_cndmask_b32 v20, v27, v25 :: v_dual_cndmask_b32 v23, v26, v24
	v_cmp_ne_u32_e32 vcc_lo, 0, v19
	v_xor_b32_e32 v24, s4, v28
	v_dual_cndmask_b32 v19, v22, v20 :: v_dual_cndmask_b32 v20, v21, v23
	s_delay_alu instid0(VALU_DEP_1) | instskip(NEXT) | instid1(VALU_DEP_2)
	v_xor_b32_e32 v21, v19, v24
	v_xor_b32_e32 v20, v20, v24
	s_delay_alu instid0(VALU_DEP_1) | instskip(NEXT) | instid1(VALU_DEP_3)
	v_sub_co_u32 v19, vcc_lo, v20, v24
	v_sub_co_ci_u32_e32 v20, vcc_lo, v21, v24, vcc_lo
                                        ; implicit-def: $vgpr21
.LBB1169_43:
	s_and_not1_saveexec_b32 s0, s1
	s_cbranch_execz .LBB1169_45
; %bb.44:
	v_cvt_f32_u32_e32 v19, s38
	s_sub_i32 s1, 0, s38
	s_delay_alu instid0(VALU_DEP_1) | instskip(SKIP_2) | instid1(VALU_DEP_1)
	v_rcp_iflag_f32_e32 v19, v19
	s_waitcnt_depctr 0xfff
	v_mul_f32_e32 v19, 0x4f7ffffe, v19
	v_cvt_u32_f32_e32 v19, v19
	s_delay_alu instid0(VALU_DEP_1) | instskip(NEXT) | instid1(VALU_DEP_1)
	v_mul_lo_u32 v20, s1, v19
	v_mul_hi_u32 v20, v19, v20
	s_delay_alu instid0(VALU_DEP_1) | instskip(NEXT) | instid1(VALU_DEP_1)
	v_add_nc_u32_e32 v19, v19, v20
	v_mul_hi_u32 v19, v21, v19
	s_delay_alu instid0(VALU_DEP_1) | instskip(NEXT) | instid1(VALU_DEP_1)
	v_mul_lo_u32 v20, v19, s38
	v_sub_nc_u32_e32 v20, v21, v20
	v_add_nc_u32_e32 v21, 1, v19
	s_delay_alu instid0(VALU_DEP_2) | instskip(SKIP_1) | instid1(VALU_DEP_2)
	v_subrev_nc_u32_e32 v22, s38, v20
	v_cmp_le_u32_e32 vcc_lo, s38, v20
	v_dual_cndmask_b32 v20, v20, v22 :: v_dual_cndmask_b32 v19, v19, v21
	s_delay_alu instid0(VALU_DEP_1) | instskip(NEXT) | instid1(VALU_DEP_2)
	v_cmp_le_u32_e32 vcc_lo, s38, v20
	v_dual_mov_b32 v20, 0 :: v_dual_add_nc_u32 v21, 1, v19
	s_delay_alu instid0(VALU_DEP_1)
	v_cndmask_b32_e32 v19, v19, v21, vcc_lo
.LBB1169_45:
	s_or_b32 exec_lo, exec_lo, s0
	v_add_co_u32 v23, vcc_lo, 0xa00, v29
	v_add_co_ci_u32_e32 v24, vcc_lo, 0, v30, vcc_lo
	v_mov_b32_e32 v21, 0
	s_delay_alu instid0(VALU_DEP_2) | instskip(NEXT) | instid1(VALU_DEP_1)
	v_or_b32_e32 v22, s39, v24
	v_cmp_ne_u64_e32 vcc_lo, 0, v[21:22]
                                        ; implicit-def: $vgpr21_vgpr22
	s_and_saveexec_b32 s0, vcc_lo
	s_delay_alu instid0(SALU_CYCLE_1)
	s_xor_b32 s1, exec_lo, s0
	s_cbranch_execz .LBB1169_47
; %bb.46:
	s_ashr_i32 s4, s39, 31
	s_delay_alu instid0(SALU_CYCLE_1) | instskip(SKIP_2) | instid1(SALU_CYCLE_1)
	s_add_u32 s6, s38, s4
	s_mov_b32 s5, s4
	s_addc_u32 s7, s39, s4
	s_xor_b64 s[6:7], s[6:7], s[4:5]
	s_delay_alu instid0(SALU_CYCLE_1) | instskip(SKIP_3) | instid1(VALU_DEP_1)
	v_cvt_f32_u32_e32 v21, s6
	v_cvt_f32_u32_e32 v22, s7
	s_sub_u32 s0, 0, s6
	s_subb_u32 s5, 0, s7
	v_fmamk_f32 v21, v22, 0x4f800000, v21
	s_delay_alu instid0(VALU_DEP_1) | instskip(SKIP_2) | instid1(VALU_DEP_1)
	v_rcp_f32_e32 v21, v21
	s_waitcnt_depctr 0xfff
	v_mul_f32_e32 v21, 0x5f7ffffc, v21
	v_mul_f32_e32 v22, 0x2f800000, v21
	s_delay_alu instid0(VALU_DEP_1) | instskip(NEXT) | instid1(VALU_DEP_1)
	v_trunc_f32_e32 v22, v22
	v_fmamk_f32 v21, v22, 0xcf800000, v21
	v_cvt_u32_f32_e32 v22, v22
	s_delay_alu instid0(VALU_DEP_2) | instskip(NEXT) | instid1(VALU_DEP_2)
	v_cvt_u32_f32_e32 v21, v21
	v_mul_lo_u32 v25, s0, v22
	s_delay_alu instid0(VALU_DEP_2) | instskip(SKIP_1) | instid1(VALU_DEP_2)
	v_mul_hi_u32 v26, s0, v21
	v_mul_lo_u32 v27, s5, v21
	v_add_nc_u32_e32 v25, v26, v25
	v_mul_lo_u32 v26, s0, v21
	s_delay_alu instid0(VALU_DEP_2) | instskip(NEXT) | instid1(VALU_DEP_2)
	v_add_nc_u32_e32 v25, v25, v27
	v_mul_hi_u32 v27, v21, v26
	s_delay_alu instid0(VALU_DEP_2)
	v_mul_lo_u32 v28, v21, v25
	v_mul_hi_u32 v31, v21, v25
	v_mul_hi_u32 v32, v22, v26
	v_mul_lo_u32 v26, v22, v26
	v_mul_hi_u32 v33, v22, v25
	v_mul_lo_u32 v25, v22, v25
	v_add_co_u32 v27, vcc_lo, v27, v28
	v_add_co_ci_u32_e32 v28, vcc_lo, 0, v31, vcc_lo
	s_delay_alu instid0(VALU_DEP_2) | instskip(NEXT) | instid1(VALU_DEP_2)
	v_add_co_u32 v26, vcc_lo, v27, v26
	v_add_co_ci_u32_e32 v26, vcc_lo, v28, v32, vcc_lo
	v_add_co_ci_u32_e32 v27, vcc_lo, 0, v33, vcc_lo
	v_ashrrev_i32_e32 v32, 31, v24
	s_delay_alu instid0(VALU_DEP_3) | instskip(NEXT) | instid1(VALU_DEP_3)
	v_add_co_u32 v25, vcc_lo, v26, v25
	v_add_co_ci_u32_e32 v26, vcc_lo, 0, v27, vcc_lo
	s_delay_alu instid0(VALU_DEP_2) | instskip(NEXT) | instid1(VALU_DEP_2)
	v_add_co_u32 v21, vcc_lo, v21, v25
	v_add_co_ci_u32_e32 v22, vcc_lo, v22, v26, vcc_lo
	s_delay_alu instid0(VALU_DEP_2) | instskip(SKIP_1) | instid1(VALU_DEP_3)
	v_mul_hi_u32 v25, s0, v21
	v_mul_lo_u32 v27, s5, v21
	v_mul_lo_u32 v26, s0, v22
	s_delay_alu instid0(VALU_DEP_1) | instskip(SKIP_1) | instid1(VALU_DEP_2)
	v_add_nc_u32_e32 v25, v25, v26
	v_mul_lo_u32 v26, s0, v21
	v_add_nc_u32_e32 v25, v25, v27
	s_delay_alu instid0(VALU_DEP_2) | instskip(NEXT) | instid1(VALU_DEP_2)
	v_mul_hi_u32 v27, v21, v26
	v_mul_lo_u32 v28, v21, v25
	v_mul_hi_u32 v31, v21, v25
	v_mul_hi_u32 v33, v22, v26
	v_mul_lo_u32 v26, v22, v26
	v_mul_hi_u32 v34, v22, v25
	v_mul_lo_u32 v25, v22, v25
	v_add_co_u32 v27, vcc_lo, v27, v28
	v_add_co_ci_u32_e32 v28, vcc_lo, 0, v31, vcc_lo
	s_delay_alu instid0(VALU_DEP_2) | instskip(NEXT) | instid1(VALU_DEP_2)
	v_add_co_u32 v26, vcc_lo, v27, v26
	v_add_co_ci_u32_e32 v26, vcc_lo, v28, v33, vcc_lo
	v_add_co_ci_u32_e32 v27, vcc_lo, 0, v34, vcc_lo
	v_add_co_u32 v23, vcc_lo, v23, v32
	v_add_co_ci_u32_e32 v24, vcc_lo, v24, v32, vcc_lo
	s_delay_alu instid0(VALU_DEP_4) | instskip(NEXT) | instid1(VALU_DEP_4)
	v_add_co_u32 v25, vcc_lo, v26, v25
	v_add_co_ci_u32_e32 v26, vcc_lo, 0, v27, vcc_lo
	s_delay_alu instid0(VALU_DEP_4) | instskip(NEXT) | instid1(VALU_DEP_3)
	v_xor_b32_e32 v27, v23, v32
	v_add_co_u32 v25, vcc_lo, v21, v25
	s_delay_alu instid0(VALU_DEP_3) | instskip(SKIP_1) | instid1(VALU_DEP_3)
	v_add_co_ci_u32_e32 v28, vcc_lo, v22, v26, vcc_lo
	v_xor_b32_e32 v31, v24, v32
	v_mul_hi_u32 v33, v27, v25
	s_delay_alu instid0(VALU_DEP_3) | instskip(NEXT) | instid1(VALU_DEP_3)
	v_mad_u64_u32 v[21:22], null, v27, v28, 0
	v_mad_u64_u32 v[23:24], null, v31, v25, 0
	;; [unrolled: 1-line block ×3, first 2 shown]
	s_delay_alu instid0(VALU_DEP_3) | instskip(NEXT) | instid1(VALU_DEP_4)
	v_add_co_u32 v21, vcc_lo, v33, v21
	v_add_co_ci_u32_e32 v22, vcc_lo, 0, v22, vcc_lo
	s_delay_alu instid0(VALU_DEP_2) | instskip(NEXT) | instid1(VALU_DEP_2)
	v_add_co_u32 v21, vcc_lo, v21, v23
	v_add_co_ci_u32_e32 v21, vcc_lo, v22, v24, vcc_lo
	v_add_co_ci_u32_e32 v22, vcc_lo, 0, v26, vcc_lo
	s_delay_alu instid0(VALU_DEP_2) | instskip(NEXT) | instid1(VALU_DEP_2)
	v_add_co_u32 v23, vcc_lo, v21, v25
	v_add_co_ci_u32_e32 v24, vcc_lo, 0, v22, vcc_lo
	s_delay_alu instid0(VALU_DEP_2) | instskip(SKIP_1) | instid1(VALU_DEP_3)
	v_mul_lo_u32 v25, s7, v23
	v_mad_u64_u32 v[21:22], null, s6, v23, 0
	v_mul_lo_u32 v26, s6, v24
	s_delay_alu instid0(VALU_DEP_2) | instskip(NEXT) | instid1(VALU_DEP_2)
	v_sub_co_u32 v21, vcc_lo, v27, v21
	v_add3_u32 v22, v22, v26, v25
	s_delay_alu instid0(VALU_DEP_1) | instskip(NEXT) | instid1(VALU_DEP_1)
	v_sub_nc_u32_e32 v25, v31, v22
	v_subrev_co_ci_u32_e64 v25, s0, s7, v25, vcc_lo
	v_add_co_u32 v26, s0, v23, 2
	s_delay_alu instid0(VALU_DEP_1) | instskip(SKIP_3) | instid1(VALU_DEP_3)
	v_add_co_ci_u32_e64 v27, s0, 0, v24, s0
	v_sub_co_u32 v28, s0, v21, s6
	v_sub_co_ci_u32_e32 v22, vcc_lo, v31, v22, vcc_lo
	v_subrev_co_ci_u32_e64 v25, s0, 0, v25, s0
	v_cmp_le_u32_e32 vcc_lo, s6, v28
	s_delay_alu instid0(VALU_DEP_3) | instskip(SKIP_1) | instid1(VALU_DEP_4)
	v_cmp_eq_u32_e64 s0, s7, v22
	v_cndmask_b32_e64 v28, 0, -1, vcc_lo
	v_cmp_le_u32_e32 vcc_lo, s7, v25
	v_cndmask_b32_e64 v31, 0, -1, vcc_lo
	v_cmp_le_u32_e32 vcc_lo, s6, v21
	;; [unrolled: 2-line block ×3, first 2 shown]
	v_cndmask_b32_e64 v33, 0, -1, vcc_lo
	v_cmp_eq_u32_e32 vcc_lo, s7, v25
	s_delay_alu instid0(VALU_DEP_2) | instskip(SKIP_3) | instid1(VALU_DEP_3)
	v_cndmask_b32_e64 v21, v33, v21, s0
	v_cndmask_b32_e32 v25, v31, v28, vcc_lo
	v_add_co_u32 v28, vcc_lo, v23, 1
	v_add_co_ci_u32_e32 v31, vcc_lo, 0, v24, vcc_lo
	v_cmp_ne_u32_e32 vcc_lo, 0, v25
	s_delay_alu instid0(VALU_DEP_2) | instskip(SKIP_2) | instid1(VALU_DEP_3)
	v_dual_cndmask_b32 v22, v31, v27 :: v_dual_cndmask_b32 v25, v28, v26
	v_cmp_ne_u32_e32 vcc_lo, 0, v21
	v_xor_b32_e32 v26, s4, v32
	v_dual_cndmask_b32 v21, v24, v22 :: v_dual_cndmask_b32 v22, v23, v25
	s_delay_alu instid0(VALU_DEP_1) | instskip(NEXT) | instid1(VALU_DEP_2)
	v_xor_b32_e32 v23, v21, v26
	v_xor_b32_e32 v22, v22, v26
	s_delay_alu instid0(VALU_DEP_1) | instskip(NEXT) | instid1(VALU_DEP_3)
	v_sub_co_u32 v21, vcc_lo, v22, v26
	v_sub_co_ci_u32_e32 v22, vcc_lo, v23, v26, vcc_lo
                                        ; implicit-def: $vgpr23
.LBB1169_47:
	s_and_not1_saveexec_b32 s0, s1
	s_cbranch_execz .LBB1169_49
; %bb.48:
	v_cvt_f32_u32_e32 v21, s38
	s_sub_i32 s1, 0, s38
	s_delay_alu instid0(VALU_DEP_1) | instskip(SKIP_2) | instid1(VALU_DEP_1)
	v_rcp_iflag_f32_e32 v21, v21
	s_waitcnt_depctr 0xfff
	v_mul_f32_e32 v21, 0x4f7ffffe, v21
	v_cvt_u32_f32_e32 v21, v21
	s_delay_alu instid0(VALU_DEP_1) | instskip(NEXT) | instid1(VALU_DEP_1)
	v_mul_lo_u32 v22, s1, v21
	v_mul_hi_u32 v22, v21, v22
	s_delay_alu instid0(VALU_DEP_1) | instskip(NEXT) | instid1(VALU_DEP_1)
	v_add_nc_u32_e32 v21, v21, v22
	v_mul_hi_u32 v21, v23, v21
	s_delay_alu instid0(VALU_DEP_1) | instskip(NEXT) | instid1(VALU_DEP_1)
	v_mul_lo_u32 v22, v21, s38
	v_sub_nc_u32_e32 v22, v23, v22
	v_add_nc_u32_e32 v23, 1, v21
	s_delay_alu instid0(VALU_DEP_2) | instskip(SKIP_1) | instid1(VALU_DEP_2)
	v_subrev_nc_u32_e32 v24, s38, v22
	v_cmp_le_u32_e32 vcc_lo, s38, v22
	v_dual_cndmask_b32 v22, v22, v24 :: v_dual_cndmask_b32 v21, v21, v23
	s_delay_alu instid0(VALU_DEP_1) | instskip(NEXT) | instid1(VALU_DEP_2)
	v_cmp_le_u32_e32 vcc_lo, s38, v22
	v_dual_mov_b32 v22, 0 :: v_dual_add_nc_u32 v23, 1, v21
	s_delay_alu instid0(VALU_DEP_1)
	v_cndmask_b32_e32 v21, v21, v23, vcc_lo
.LBB1169_49:
	s_or_b32 exec_lo, exec_lo, s0
	v_add_co_u32 v25, vcc_lo, 0xb00, v29
	v_add_co_ci_u32_e32 v26, vcc_lo, 0, v30, vcc_lo
	v_mov_b32_e32 v23, 0
	s_delay_alu instid0(VALU_DEP_2) | instskip(NEXT) | instid1(VALU_DEP_1)
	v_or_b32_e32 v24, s39, v26
	v_cmp_ne_u64_e32 vcc_lo, 0, v[23:24]
                                        ; implicit-def: $vgpr23_vgpr24
	s_and_saveexec_b32 s0, vcc_lo
	s_delay_alu instid0(SALU_CYCLE_1)
	s_xor_b32 s1, exec_lo, s0
	s_cbranch_execz .LBB1169_51
; %bb.50:
	s_ashr_i32 s4, s39, 31
	s_delay_alu instid0(SALU_CYCLE_1) | instskip(SKIP_2) | instid1(SALU_CYCLE_1)
	s_add_u32 s6, s38, s4
	s_mov_b32 s5, s4
	s_addc_u32 s7, s39, s4
	s_xor_b64 s[6:7], s[6:7], s[4:5]
	s_delay_alu instid0(SALU_CYCLE_1) | instskip(SKIP_3) | instid1(VALU_DEP_1)
	v_cvt_f32_u32_e32 v23, s6
	v_cvt_f32_u32_e32 v24, s7
	s_sub_u32 s0, 0, s6
	s_subb_u32 s5, 0, s7
	v_fmamk_f32 v23, v24, 0x4f800000, v23
	s_delay_alu instid0(VALU_DEP_1) | instskip(SKIP_2) | instid1(VALU_DEP_1)
	v_rcp_f32_e32 v23, v23
	s_waitcnt_depctr 0xfff
	v_mul_f32_e32 v23, 0x5f7ffffc, v23
	v_mul_f32_e32 v24, 0x2f800000, v23
	s_delay_alu instid0(VALU_DEP_1) | instskip(NEXT) | instid1(VALU_DEP_1)
	v_trunc_f32_e32 v24, v24
	v_fmamk_f32 v23, v24, 0xcf800000, v23
	v_cvt_u32_f32_e32 v24, v24
	s_delay_alu instid0(VALU_DEP_2) | instskip(NEXT) | instid1(VALU_DEP_2)
	v_cvt_u32_f32_e32 v23, v23
	v_mul_lo_u32 v27, s0, v24
	s_delay_alu instid0(VALU_DEP_2) | instskip(SKIP_1) | instid1(VALU_DEP_2)
	v_mul_hi_u32 v28, s0, v23
	v_mul_lo_u32 v31, s5, v23
	v_add_nc_u32_e32 v27, v28, v27
	v_mul_lo_u32 v28, s0, v23
	s_delay_alu instid0(VALU_DEP_2) | instskip(NEXT) | instid1(VALU_DEP_2)
	v_add_nc_u32_e32 v27, v27, v31
	v_mul_hi_u32 v31, v23, v28
	s_delay_alu instid0(VALU_DEP_2)
	v_mul_lo_u32 v32, v23, v27
	v_mul_hi_u32 v33, v23, v27
	v_mul_hi_u32 v34, v24, v28
	v_mul_lo_u32 v28, v24, v28
	v_mul_hi_u32 v35, v24, v27
	v_mul_lo_u32 v27, v24, v27
	v_add_co_u32 v31, vcc_lo, v31, v32
	v_add_co_ci_u32_e32 v32, vcc_lo, 0, v33, vcc_lo
	s_delay_alu instid0(VALU_DEP_2) | instskip(NEXT) | instid1(VALU_DEP_2)
	v_add_co_u32 v28, vcc_lo, v31, v28
	v_add_co_ci_u32_e32 v28, vcc_lo, v32, v34, vcc_lo
	v_add_co_ci_u32_e32 v31, vcc_lo, 0, v35, vcc_lo
	v_ashrrev_i32_e32 v34, 31, v26
	s_delay_alu instid0(VALU_DEP_3) | instskip(NEXT) | instid1(VALU_DEP_3)
	v_add_co_u32 v27, vcc_lo, v28, v27
	v_add_co_ci_u32_e32 v28, vcc_lo, 0, v31, vcc_lo
	s_delay_alu instid0(VALU_DEP_2) | instskip(NEXT) | instid1(VALU_DEP_2)
	v_add_co_u32 v23, vcc_lo, v23, v27
	v_add_co_ci_u32_e32 v24, vcc_lo, v24, v28, vcc_lo
	s_delay_alu instid0(VALU_DEP_2) | instskip(SKIP_1) | instid1(VALU_DEP_3)
	v_mul_hi_u32 v27, s0, v23
	v_mul_lo_u32 v31, s5, v23
	v_mul_lo_u32 v28, s0, v24
	s_delay_alu instid0(VALU_DEP_1) | instskip(SKIP_1) | instid1(VALU_DEP_2)
	v_add_nc_u32_e32 v27, v27, v28
	v_mul_lo_u32 v28, s0, v23
	v_add_nc_u32_e32 v27, v27, v31
	s_delay_alu instid0(VALU_DEP_2) | instskip(NEXT) | instid1(VALU_DEP_2)
	v_mul_hi_u32 v31, v23, v28
	v_mul_lo_u32 v32, v23, v27
	v_mul_hi_u32 v33, v23, v27
	v_mul_hi_u32 v35, v24, v28
	v_mul_lo_u32 v28, v24, v28
	v_mul_hi_u32 v36, v24, v27
	v_mul_lo_u32 v27, v24, v27
	v_add_co_u32 v31, vcc_lo, v31, v32
	v_add_co_ci_u32_e32 v32, vcc_lo, 0, v33, vcc_lo
	s_delay_alu instid0(VALU_DEP_2) | instskip(NEXT) | instid1(VALU_DEP_2)
	v_add_co_u32 v28, vcc_lo, v31, v28
	v_add_co_ci_u32_e32 v28, vcc_lo, v32, v35, vcc_lo
	v_add_co_ci_u32_e32 v31, vcc_lo, 0, v36, vcc_lo
	v_add_co_u32 v25, vcc_lo, v25, v34
	v_add_co_ci_u32_e32 v26, vcc_lo, v26, v34, vcc_lo
	s_delay_alu instid0(VALU_DEP_4) | instskip(NEXT) | instid1(VALU_DEP_4)
	v_add_co_u32 v27, vcc_lo, v28, v27
	v_add_co_ci_u32_e32 v28, vcc_lo, 0, v31, vcc_lo
	s_delay_alu instid0(VALU_DEP_4) | instskip(NEXT) | instid1(VALU_DEP_3)
	v_xor_b32_e32 v31, v25, v34
	v_add_co_u32 v27, vcc_lo, v23, v27
	s_delay_alu instid0(VALU_DEP_3) | instskip(SKIP_1) | instid1(VALU_DEP_3)
	v_add_co_ci_u32_e32 v32, vcc_lo, v24, v28, vcc_lo
	v_xor_b32_e32 v33, v26, v34
	v_mul_hi_u32 v35, v31, v27
	s_delay_alu instid0(VALU_DEP_3) | instskip(NEXT) | instid1(VALU_DEP_3)
	v_mad_u64_u32 v[23:24], null, v31, v32, 0
	v_mad_u64_u32 v[25:26], null, v33, v27, 0
	;; [unrolled: 1-line block ×3, first 2 shown]
	s_delay_alu instid0(VALU_DEP_3) | instskip(NEXT) | instid1(VALU_DEP_4)
	v_add_co_u32 v23, vcc_lo, v35, v23
	v_add_co_ci_u32_e32 v24, vcc_lo, 0, v24, vcc_lo
	s_delay_alu instid0(VALU_DEP_2) | instskip(NEXT) | instid1(VALU_DEP_2)
	v_add_co_u32 v23, vcc_lo, v23, v25
	v_add_co_ci_u32_e32 v23, vcc_lo, v24, v26, vcc_lo
	v_add_co_ci_u32_e32 v24, vcc_lo, 0, v28, vcc_lo
	s_delay_alu instid0(VALU_DEP_2) | instskip(NEXT) | instid1(VALU_DEP_2)
	v_add_co_u32 v25, vcc_lo, v23, v27
	v_add_co_ci_u32_e32 v26, vcc_lo, 0, v24, vcc_lo
	s_delay_alu instid0(VALU_DEP_2) | instskip(SKIP_1) | instid1(VALU_DEP_3)
	v_mul_lo_u32 v27, s7, v25
	v_mad_u64_u32 v[23:24], null, s6, v25, 0
	v_mul_lo_u32 v28, s6, v26
	s_delay_alu instid0(VALU_DEP_2) | instskip(NEXT) | instid1(VALU_DEP_2)
	v_sub_co_u32 v23, vcc_lo, v31, v23
	v_add3_u32 v24, v24, v28, v27
	s_delay_alu instid0(VALU_DEP_1) | instskip(NEXT) | instid1(VALU_DEP_1)
	v_sub_nc_u32_e32 v27, v33, v24
	v_subrev_co_ci_u32_e64 v27, s0, s7, v27, vcc_lo
	v_add_co_u32 v28, s0, v25, 2
	s_delay_alu instid0(VALU_DEP_1) | instskip(SKIP_3) | instid1(VALU_DEP_3)
	v_add_co_ci_u32_e64 v31, s0, 0, v26, s0
	v_sub_co_u32 v32, s0, v23, s6
	v_sub_co_ci_u32_e32 v24, vcc_lo, v33, v24, vcc_lo
	v_subrev_co_ci_u32_e64 v27, s0, 0, v27, s0
	v_cmp_le_u32_e32 vcc_lo, s6, v32
	s_delay_alu instid0(VALU_DEP_3) | instskip(SKIP_1) | instid1(VALU_DEP_4)
	v_cmp_eq_u32_e64 s0, s7, v24
	v_cndmask_b32_e64 v32, 0, -1, vcc_lo
	v_cmp_le_u32_e32 vcc_lo, s7, v27
	v_cndmask_b32_e64 v33, 0, -1, vcc_lo
	v_cmp_le_u32_e32 vcc_lo, s6, v23
	;; [unrolled: 2-line block ×3, first 2 shown]
	v_cndmask_b32_e64 v35, 0, -1, vcc_lo
	v_cmp_eq_u32_e32 vcc_lo, s7, v27
	s_delay_alu instid0(VALU_DEP_2) | instskip(SKIP_3) | instid1(VALU_DEP_3)
	v_cndmask_b32_e64 v23, v35, v23, s0
	v_cndmask_b32_e32 v27, v33, v32, vcc_lo
	v_add_co_u32 v32, vcc_lo, v25, 1
	v_add_co_ci_u32_e32 v33, vcc_lo, 0, v26, vcc_lo
	v_cmp_ne_u32_e32 vcc_lo, 0, v27
	s_delay_alu instid0(VALU_DEP_2) | instskip(SKIP_2) | instid1(VALU_DEP_3)
	v_dual_cndmask_b32 v24, v33, v31 :: v_dual_cndmask_b32 v27, v32, v28
	v_cmp_ne_u32_e32 vcc_lo, 0, v23
	v_xor_b32_e32 v28, s4, v34
	v_dual_cndmask_b32 v23, v26, v24 :: v_dual_cndmask_b32 v24, v25, v27
	s_delay_alu instid0(VALU_DEP_1) | instskip(NEXT) | instid1(VALU_DEP_2)
	v_xor_b32_e32 v25, v23, v28
	v_xor_b32_e32 v24, v24, v28
	s_delay_alu instid0(VALU_DEP_1) | instskip(NEXT) | instid1(VALU_DEP_3)
	v_sub_co_u32 v23, vcc_lo, v24, v28
	v_sub_co_ci_u32_e32 v24, vcc_lo, v25, v28, vcc_lo
                                        ; implicit-def: $vgpr25
.LBB1169_51:
	s_and_not1_saveexec_b32 s0, s1
	s_cbranch_execz .LBB1169_53
; %bb.52:
	v_cvt_f32_u32_e32 v23, s38
	s_sub_i32 s1, 0, s38
	s_delay_alu instid0(VALU_DEP_1) | instskip(SKIP_2) | instid1(VALU_DEP_1)
	v_rcp_iflag_f32_e32 v23, v23
	s_waitcnt_depctr 0xfff
	v_mul_f32_e32 v23, 0x4f7ffffe, v23
	v_cvt_u32_f32_e32 v23, v23
	s_delay_alu instid0(VALU_DEP_1) | instskip(NEXT) | instid1(VALU_DEP_1)
	v_mul_lo_u32 v24, s1, v23
	v_mul_hi_u32 v24, v23, v24
	s_delay_alu instid0(VALU_DEP_1) | instskip(NEXT) | instid1(VALU_DEP_1)
	v_add_nc_u32_e32 v23, v23, v24
	v_mul_hi_u32 v23, v25, v23
	s_delay_alu instid0(VALU_DEP_1) | instskip(NEXT) | instid1(VALU_DEP_1)
	v_mul_lo_u32 v24, v23, s38
	v_sub_nc_u32_e32 v24, v25, v24
	v_add_nc_u32_e32 v25, 1, v23
	s_delay_alu instid0(VALU_DEP_2) | instskip(SKIP_1) | instid1(VALU_DEP_2)
	v_subrev_nc_u32_e32 v26, s38, v24
	v_cmp_le_u32_e32 vcc_lo, s38, v24
	v_dual_cndmask_b32 v24, v24, v26 :: v_dual_cndmask_b32 v23, v23, v25
	s_delay_alu instid0(VALU_DEP_1) | instskip(NEXT) | instid1(VALU_DEP_2)
	v_cmp_le_u32_e32 vcc_lo, s38, v24
	v_dual_mov_b32 v24, 0 :: v_dual_add_nc_u32 v25, 1, v23
	s_delay_alu instid0(VALU_DEP_1)
	v_cndmask_b32_e32 v23, v23, v25, vcc_lo
.LBB1169_53:
	s_or_b32 exec_lo, exec_lo, s0
	v_add_co_u32 v27, vcc_lo, 0xc00, v29
	v_add_co_ci_u32_e32 v28, vcc_lo, 0, v30, vcc_lo
	v_mov_b32_e32 v25, 0
	s_delay_alu instid0(VALU_DEP_2) | instskip(NEXT) | instid1(VALU_DEP_1)
	v_or_b32_e32 v26, s39, v28
	v_cmp_ne_u64_e32 vcc_lo, 0, v[25:26]
                                        ; implicit-def: $vgpr25_vgpr26
	s_and_saveexec_b32 s0, vcc_lo
	s_delay_alu instid0(SALU_CYCLE_1)
	s_xor_b32 s1, exec_lo, s0
	s_cbranch_execz .LBB1169_55
; %bb.54:
	s_ashr_i32 s4, s39, 31
	s_delay_alu instid0(SALU_CYCLE_1) | instskip(SKIP_2) | instid1(SALU_CYCLE_1)
	s_add_u32 s6, s38, s4
	s_mov_b32 s5, s4
	s_addc_u32 s7, s39, s4
	s_xor_b64 s[6:7], s[6:7], s[4:5]
	s_delay_alu instid0(SALU_CYCLE_1) | instskip(SKIP_3) | instid1(VALU_DEP_1)
	v_cvt_f32_u32_e32 v25, s6
	v_cvt_f32_u32_e32 v26, s7
	s_sub_u32 s0, 0, s6
	s_subb_u32 s5, 0, s7
	v_fmamk_f32 v25, v26, 0x4f800000, v25
	s_delay_alu instid0(VALU_DEP_1) | instskip(SKIP_2) | instid1(VALU_DEP_1)
	v_rcp_f32_e32 v25, v25
	s_waitcnt_depctr 0xfff
	v_mul_f32_e32 v25, 0x5f7ffffc, v25
	v_mul_f32_e32 v26, 0x2f800000, v25
	s_delay_alu instid0(VALU_DEP_1) | instskip(NEXT) | instid1(VALU_DEP_1)
	v_trunc_f32_e32 v26, v26
	v_fmamk_f32 v25, v26, 0xcf800000, v25
	v_cvt_u32_f32_e32 v26, v26
	s_delay_alu instid0(VALU_DEP_2) | instskip(NEXT) | instid1(VALU_DEP_2)
	v_cvt_u32_f32_e32 v25, v25
	v_mul_lo_u32 v31, s0, v26
	s_delay_alu instid0(VALU_DEP_2) | instskip(SKIP_1) | instid1(VALU_DEP_2)
	v_mul_hi_u32 v32, s0, v25
	v_mul_lo_u32 v33, s5, v25
	v_add_nc_u32_e32 v31, v32, v31
	v_mul_lo_u32 v32, s0, v25
	s_delay_alu instid0(VALU_DEP_2) | instskip(NEXT) | instid1(VALU_DEP_2)
	v_add_nc_u32_e32 v31, v31, v33
	v_mul_hi_u32 v33, v25, v32
	s_delay_alu instid0(VALU_DEP_2)
	v_mul_lo_u32 v34, v25, v31
	v_mul_hi_u32 v35, v25, v31
	v_mul_hi_u32 v36, v26, v32
	v_mul_lo_u32 v32, v26, v32
	v_mul_hi_u32 v37, v26, v31
	v_mul_lo_u32 v31, v26, v31
	v_add_co_u32 v33, vcc_lo, v33, v34
	v_add_co_ci_u32_e32 v34, vcc_lo, 0, v35, vcc_lo
	s_delay_alu instid0(VALU_DEP_2) | instskip(NEXT) | instid1(VALU_DEP_2)
	v_add_co_u32 v32, vcc_lo, v33, v32
	v_add_co_ci_u32_e32 v32, vcc_lo, v34, v36, vcc_lo
	v_add_co_ci_u32_e32 v33, vcc_lo, 0, v37, vcc_lo
	v_ashrrev_i32_e32 v36, 31, v28
	s_delay_alu instid0(VALU_DEP_3) | instskip(NEXT) | instid1(VALU_DEP_3)
	v_add_co_u32 v31, vcc_lo, v32, v31
	v_add_co_ci_u32_e32 v32, vcc_lo, 0, v33, vcc_lo
	s_delay_alu instid0(VALU_DEP_2) | instskip(NEXT) | instid1(VALU_DEP_2)
	v_add_co_u32 v25, vcc_lo, v25, v31
	v_add_co_ci_u32_e32 v26, vcc_lo, v26, v32, vcc_lo
	s_delay_alu instid0(VALU_DEP_2) | instskip(SKIP_1) | instid1(VALU_DEP_3)
	v_mul_hi_u32 v31, s0, v25
	v_mul_lo_u32 v33, s5, v25
	v_mul_lo_u32 v32, s0, v26
	s_delay_alu instid0(VALU_DEP_1) | instskip(SKIP_1) | instid1(VALU_DEP_2)
	v_add_nc_u32_e32 v31, v31, v32
	v_mul_lo_u32 v32, s0, v25
	v_add_nc_u32_e32 v31, v31, v33
	s_delay_alu instid0(VALU_DEP_2) | instskip(NEXT) | instid1(VALU_DEP_2)
	v_mul_hi_u32 v33, v25, v32
	v_mul_lo_u32 v34, v25, v31
	v_mul_hi_u32 v35, v25, v31
	v_mul_hi_u32 v37, v26, v32
	v_mul_lo_u32 v32, v26, v32
	v_mul_hi_u32 v38, v26, v31
	v_mul_lo_u32 v31, v26, v31
	v_add_co_u32 v33, vcc_lo, v33, v34
	v_add_co_ci_u32_e32 v34, vcc_lo, 0, v35, vcc_lo
	s_delay_alu instid0(VALU_DEP_2) | instskip(NEXT) | instid1(VALU_DEP_2)
	v_add_co_u32 v32, vcc_lo, v33, v32
	v_add_co_ci_u32_e32 v32, vcc_lo, v34, v37, vcc_lo
	v_add_co_ci_u32_e32 v33, vcc_lo, 0, v38, vcc_lo
	v_add_co_u32 v27, vcc_lo, v27, v36
	v_add_co_ci_u32_e32 v28, vcc_lo, v28, v36, vcc_lo
	s_delay_alu instid0(VALU_DEP_4) | instskip(NEXT) | instid1(VALU_DEP_4)
	v_add_co_u32 v31, vcc_lo, v32, v31
	v_add_co_ci_u32_e32 v32, vcc_lo, 0, v33, vcc_lo
	s_delay_alu instid0(VALU_DEP_4) | instskip(NEXT) | instid1(VALU_DEP_3)
	v_xor_b32_e32 v33, v27, v36
	v_add_co_u32 v31, vcc_lo, v25, v31
	s_delay_alu instid0(VALU_DEP_3) | instskip(SKIP_1) | instid1(VALU_DEP_3)
	v_add_co_ci_u32_e32 v34, vcc_lo, v26, v32, vcc_lo
	v_xor_b32_e32 v35, v28, v36
	v_mul_hi_u32 v37, v33, v31
	s_delay_alu instid0(VALU_DEP_3) | instskip(NEXT) | instid1(VALU_DEP_3)
	v_mad_u64_u32 v[25:26], null, v33, v34, 0
	v_mad_u64_u32 v[27:28], null, v35, v31, 0
	;; [unrolled: 1-line block ×3, first 2 shown]
	s_delay_alu instid0(VALU_DEP_3) | instskip(NEXT) | instid1(VALU_DEP_4)
	v_add_co_u32 v25, vcc_lo, v37, v25
	v_add_co_ci_u32_e32 v26, vcc_lo, 0, v26, vcc_lo
	s_delay_alu instid0(VALU_DEP_2) | instskip(NEXT) | instid1(VALU_DEP_2)
	v_add_co_u32 v25, vcc_lo, v25, v27
	v_add_co_ci_u32_e32 v25, vcc_lo, v26, v28, vcc_lo
	v_add_co_ci_u32_e32 v26, vcc_lo, 0, v32, vcc_lo
	s_delay_alu instid0(VALU_DEP_2) | instskip(NEXT) | instid1(VALU_DEP_2)
	v_add_co_u32 v27, vcc_lo, v25, v31
	v_add_co_ci_u32_e32 v28, vcc_lo, 0, v26, vcc_lo
	s_delay_alu instid0(VALU_DEP_2) | instskip(SKIP_1) | instid1(VALU_DEP_3)
	v_mul_lo_u32 v31, s7, v27
	v_mad_u64_u32 v[25:26], null, s6, v27, 0
	v_mul_lo_u32 v32, s6, v28
	s_delay_alu instid0(VALU_DEP_2) | instskip(NEXT) | instid1(VALU_DEP_2)
	v_sub_co_u32 v25, vcc_lo, v33, v25
	v_add3_u32 v26, v26, v32, v31
	s_delay_alu instid0(VALU_DEP_1) | instskip(NEXT) | instid1(VALU_DEP_1)
	v_sub_nc_u32_e32 v31, v35, v26
	v_subrev_co_ci_u32_e64 v31, s0, s7, v31, vcc_lo
	v_add_co_u32 v32, s0, v27, 2
	s_delay_alu instid0(VALU_DEP_1) | instskip(SKIP_3) | instid1(VALU_DEP_3)
	v_add_co_ci_u32_e64 v33, s0, 0, v28, s0
	v_sub_co_u32 v34, s0, v25, s6
	v_sub_co_ci_u32_e32 v26, vcc_lo, v35, v26, vcc_lo
	v_subrev_co_ci_u32_e64 v31, s0, 0, v31, s0
	v_cmp_le_u32_e32 vcc_lo, s6, v34
	s_delay_alu instid0(VALU_DEP_3) | instskip(SKIP_1) | instid1(VALU_DEP_4)
	v_cmp_eq_u32_e64 s0, s7, v26
	v_cndmask_b32_e64 v34, 0, -1, vcc_lo
	v_cmp_le_u32_e32 vcc_lo, s7, v31
	v_cndmask_b32_e64 v35, 0, -1, vcc_lo
	v_cmp_le_u32_e32 vcc_lo, s6, v25
	v_cndmask_b32_e64 v25, 0, -1, vcc_lo
	v_cmp_le_u32_e32 vcc_lo, s7, v26
	v_cndmask_b32_e64 v37, 0, -1, vcc_lo
	v_cmp_eq_u32_e32 vcc_lo, s7, v31
	s_delay_alu instid0(VALU_DEP_2) | instskip(SKIP_3) | instid1(VALU_DEP_3)
	v_cndmask_b32_e64 v25, v37, v25, s0
	v_cndmask_b32_e32 v31, v35, v34, vcc_lo
	v_add_co_u32 v34, vcc_lo, v27, 1
	v_add_co_ci_u32_e32 v35, vcc_lo, 0, v28, vcc_lo
	v_cmp_ne_u32_e32 vcc_lo, 0, v31
	s_delay_alu instid0(VALU_DEP_2) | instskip(SKIP_2) | instid1(VALU_DEP_3)
	v_dual_cndmask_b32 v26, v35, v33 :: v_dual_cndmask_b32 v31, v34, v32
	v_cmp_ne_u32_e32 vcc_lo, 0, v25
	v_xor_b32_e32 v32, s4, v36
	v_dual_cndmask_b32 v25, v28, v26 :: v_dual_cndmask_b32 v26, v27, v31
	s_delay_alu instid0(VALU_DEP_1) | instskip(NEXT) | instid1(VALU_DEP_2)
	v_xor_b32_e32 v27, v25, v32
	v_xor_b32_e32 v26, v26, v32
	s_delay_alu instid0(VALU_DEP_1) | instskip(NEXT) | instid1(VALU_DEP_3)
	v_sub_co_u32 v25, vcc_lo, v26, v32
	v_sub_co_ci_u32_e32 v26, vcc_lo, v27, v32, vcc_lo
                                        ; implicit-def: $vgpr27
.LBB1169_55:
	s_and_not1_saveexec_b32 s0, s1
	s_cbranch_execz .LBB1169_57
; %bb.56:
	v_cvt_f32_u32_e32 v25, s38
	s_sub_i32 s1, 0, s38
	s_delay_alu instid0(VALU_DEP_1) | instskip(SKIP_2) | instid1(VALU_DEP_1)
	v_rcp_iflag_f32_e32 v25, v25
	s_waitcnt_depctr 0xfff
	v_mul_f32_e32 v25, 0x4f7ffffe, v25
	v_cvt_u32_f32_e32 v25, v25
	s_delay_alu instid0(VALU_DEP_1) | instskip(NEXT) | instid1(VALU_DEP_1)
	v_mul_lo_u32 v26, s1, v25
	v_mul_hi_u32 v26, v25, v26
	s_delay_alu instid0(VALU_DEP_1) | instskip(NEXT) | instid1(VALU_DEP_1)
	v_add_nc_u32_e32 v25, v25, v26
	v_mul_hi_u32 v25, v27, v25
	s_delay_alu instid0(VALU_DEP_1) | instskip(NEXT) | instid1(VALU_DEP_1)
	v_mul_lo_u32 v26, v25, s38
	v_sub_nc_u32_e32 v26, v27, v26
	v_add_nc_u32_e32 v27, 1, v25
	s_delay_alu instid0(VALU_DEP_2) | instskip(SKIP_1) | instid1(VALU_DEP_2)
	v_subrev_nc_u32_e32 v28, s38, v26
	v_cmp_le_u32_e32 vcc_lo, s38, v26
	v_dual_cndmask_b32 v26, v26, v28 :: v_dual_cndmask_b32 v25, v25, v27
	s_delay_alu instid0(VALU_DEP_1) | instskip(NEXT) | instid1(VALU_DEP_2)
	v_cmp_le_u32_e32 vcc_lo, s38, v26
	v_dual_mov_b32 v26, 0 :: v_dual_add_nc_u32 v27, 1, v25
	s_delay_alu instid0(VALU_DEP_1)
	v_cndmask_b32_e32 v25, v25, v27, vcc_lo
.LBB1169_57:
	s_or_b32 exec_lo, exec_lo, s0
	v_add_co_u32 v31, vcc_lo, 0xd00, v29
	v_add_co_ci_u32_e32 v32, vcc_lo, 0, v30, vcc_lo
	v_mov_b32_e32 v27, 0
	s_delay_alu instid0(VALU_DEP_2) | instskip(NEXT) | instid1(VALU_DEP_1)
	v_or_b32_e32 v28, s39, v32
	v_cmp_ne_u64_e32 vcc_lo, 0, v[27:28]
                                        ; implicit-def: $vgpr27_vgpr28
	s_and_saveexec_b32 s0, vcc_lo
	s_delay_alu instid0(SALU_CYCLE_1)
	s_xor_b32 s1, exec_lo, s0
	s_cbranch_execz .LBB1169_59
; %bb.58:
	s_ashr_i32 s4, s39, 31
	s_delay_alu instid0(SALU_CYCLE_1) | instskip(SKIP_2) | instid1(SALU_CYCLE_1)
	s_add_u32 s6, s38, s4
	s_mov_b32 s5, s4
	s_addc_u32 s7, s39, s4
	s_xor_b64 s[6:7], s[6:7], s[4:5]
	s_delay_alu instid0(SALU_CYCLE_1) | instskip(SKIP_3) | instid1(VALU_DEP_1)
	v_cvt_f32_u32_e32 v27, s6
	v_cvt_f32_u32_e32 v28, s7
	s_sub_u32 s0, 0, s6
	s_subb_u32 s5, 0, s7
	v_fmamk_f32 v27, v28, 0x4f800000, v27
	s_delay_alu instid0(VALU_DEP_1) | instskip(SKIP_2) | instid1(VALU_DEP_1)
	v_rcp_f32_e32 v27, v27
	s_waitcnt_depctr 0xfff
	v_mul_f32_e32 v27, 0x5f7ffffc, v27
	v_mul_f32_e32 v28, 0x2f800000, v27
	s_delay_alu instid0(VALU_DEP_1) | instskip(NEXT) | instid1(VALU_DEP_1)
	v_trunc_f32_e32 v28, v28
	v_fmamk_f32 v27, v28, 0xcf800000, v27
	v_cvt_u32_f32_e32 v28, v28
	s_delay_alu instid0(VALU_DEP_2) | instskip(NEXT) | instid1(VALU_DEP_2)
	v_cvt_u32_f32_e32 v27, v27
	v_mul_lo_u32 v33, s0, v28
	s_delay_alu instid0(VALU_DEP_2) | instskip(SKIP_1) | instid1(VALU_DEP_2)
	v_mul_hi_u32 v34, s0, v27
	v_mul_lo_u32 v35, s5, v27
	v_add_nc_u32_e32 v33, v34, v33
	v_mul_lo_u32 v34, s0, v27
	s_delay_alu instid0(VALU_DEP_2) | instskip(NEXT) | instid1(VALU_DEP_2)
	v_add_nc_u32_e32 v33, v33, v35
	v_mul_hi_u32 v35, v27, v34
	s_delay_alu instid0(VALU_DEP_2)
	v_mul_lo_u32 v36, v27, v33
	v_mul_hi_u32 v37, v27, v33
	v_mul_hi_u32 v38, v28, v34
	v_mul_lo_u32 v34, v28, v34
	v_mul_hi_u32 v39, v28, v33
	v_mul_lo_u32 v33, v28, v33
	v_add_co_u32 v35, vcc_lo, v35, v36
	v_add_co_ci_u32_e32 v36, vcc_lo, 0, v37, vcc_lo
	s_delay_alu instid0(VALU_DEP_2) | instskip(NEXT) | instid1(VALU_DEP_2)
	v_add_co_u32 v34, vcc_lo, v35, v34
	v_add_co_ci_u32_e32 v34, vcc_lo, v36, v38, vcc_lo
	v_add_co_ci_u32_e32 v35, vcc_lo, 0, v39, vcc_lo
	v_ashrrev_i32_e32 v38, 31, v32
	s_delay_alu instid0(VALU_DEP_3) | instskip(NEXT) | instid1(VALU_DEP_3)
	v_add_co_u32 v33, vcc_lo, v34, v33
	v_add_co_ci_u32_e32 v34, vcc_lo, 0, v35, vcc_lo
	s_delay_alu instid0(VALU_DEP_2) | instskip(NEXT) | instid1(VALU_DEP_2)
	v_add_co_u32 v27, vcc_lo, v27, v33
	v_add_co_ci_u32_e32 v28, vcc_lo, v28, v34, vcc_lo
	s_delay_alu instid0(VALU_DEP_2) | instskip(SKIP_1) | instid1(VALU_DEP_3)
	v_mul_hi_u32 v33, s0, v27
	v_mul_lo_u32 v35, s5, v27
	v_mul_lo_u32 v34, s0, v28
	s_delay_alu instid0(VALU_DEP_1) | instskip(SKIP_1) | instid1(VALU_DEP_2)
	v_add_nc_u32_e32 v33, v33, v34
	v_mul_lo_u32 v34, s0, v27
	v_add_nc_u32_e32 v33, v33, v35
	s_delay_alu instid0(VALU_DEP_2) | instskip(NEXT) | instid1(VALU_DEP_2)
	v_mul_hi_u32 v35, v27, v34
	v_mul_lo_u32 v36, v27, v33
	v_mul_hi_u32 v37, v27, v33
	v_mul_hi_u32 v39, v28, v34
	v_mul_lo_u32 v34, v28, v34
	v_mul_hi_u32 v40, v28, v33
	v_mul_lo_u32 v33, v28, v33
	v_add_co_u32 v35, vcc_lo, v35, v36
	v_add_co_ci_u32_e32 v36, vcc_lo, 0, v37, vcc_lo
	s_delay_alu instid0(VALU_DEP_2) | instskip(NEXT) | instid1(VALU_DEP_2)
	v_add_co_u32 v34, vcc_lo, v35, v34
	v_add_co_ci_u32_e32 v34, vcc_lo, v36, v39, vcc_lo
	v_add_co_ci_u32_e32 v35, vcc_lo, 0, v40, vcc_lo
	v_add_co_u32 v31, vcc_lo, v31, v38
	v_add_co_ci_u32_e32 v32, vcc_lo, v32, v38, vcc_lo
	s_delay_alu instid0(VALU_DEP_4) | instskip(NEXT) | instid1(VALU_DEP_4)
	v_add_co_u32 v33, vcc_lo, v34, v33
	v_add_co_ci_u32_e32 v34, vcc_lo, 0, v35, vcc_lo
	s_delay_alu instid0(VALU_DEP_4) | instskip(NEXT) | instid1(VALU_DEP_3)
	v_xor_b32_e32 v35, v31, v38
	v_add_co_u32 v33, vcc_lo, v27, v33
	s_delay_alu instid0(VALU_DEP_3) | instskip(SKIP_1) | instid1(VALU_DEP_3)
	v_add_co_ci_u32_e32 v36, vcc_lo, v28, v34, vcc_lo
	v_xor_b32_e32 v37, v32, v38
	v_mul_hi_u32 v39, v35, v33
	s_delay_alu instid0(VALU_DEP_3) | instskip(NEXT) | instid1(VALU_DEP_3)
	v_mad_u64_u32 v[27:28], null, v35, v36, 0
	v_mad_u64_u32 v[31:32], null, v37, v33, 0
	;; [unrolled: 1-line block ×3, first 2 shown]
	s_delay_alu instid0(VALU_DEP_3) | instskip(NEXT) | instid1(VALU_DEP_4)
	v_add_co_u32 v27, vcc_lo, v39, v27
	v_add_co_ci_u32_e32 v28, vcc_lo, 0, v28, vcc_lo
	s_delay_alu instid0(VALU_DEP_2) | instskip(NEXT) | instid1(VALU_DEP_2)
	v_add_co_u32 v27, vcc_lo, v27, v31
	v_add_co_ci_u32_e32 v27, vcc_lo, v28, v32, vcc_lo
	v_add_co_ci_u32_e32 v28, vcc_lo, 0, v34, vcc_lo
	s_delay_alu instid0(VALU_DEP_2) | instskip(NEXT) | instid1(VALU_DEP_2)
	v_add_co_u32 v31, vcc_lo, v27, v33
	v_add_co_ci_u32_e32 v32, vcc_lo, 0, v28, vcc_lo
	s_delay_alu instid0(VALU_DEP_2) | instskip(SKIP_1) | instid1(VALU_DEP_3)
	v_mul_lo_u32 v33, s7, v31
	v_mad_u64_u32 v[27:28], null, s6, v31, 0
	v_mul_lo_u32 v34, s6, v32
	s_delay_alu instid0(VALU_DEP_2) | instskip(NEXT) | instid1(VALU_DEP_2)
	v_sub_co_u32 v27, vcc_lo, v35, v27
	v_add3_u32 v28, v28, v34, v33
	s_delay_alu instid0(VALU_DEP_1) | instskip(NEXT) | instid1(VALU_DEP_1)
	v_sub_nc_u32_e32 v33, v37, v28
	v_subrev_co_ci_u32_e64 v33, s0, s7, v33, vcc_lo
	v_add_co_u32 v34, s0, v31, 2
	s_delay_alu instid0(VALU_DEP_1) | instskip(SKIP_3) | instid1(VALU_DEP_3)
	v_add_co_ci_u32_e64 v35, s0, 0, v32, s0
	v_sub_co_u32 v36, s0, v27, s6
	v_sub_co_ci_u32_e32 v28, vcc_lo, v37, v28, vcc_lo
	v_subrev_co_ci_u32_e64 v33, s0, 0, v33, s0
	v_cmp_le_u32_e32 vcc_lo, s6, v36
	s_delay_alu instid0(VALU_DEP_3) | instskip(SKIP_1) | instid1(VALU_DEP_4)
	v_cmp_eq_u32_e64 s0, s7, v28
	v_cndmask_b32_e64 v36, 0, -1, vcc_lo
	v_cmp_le_u32_e32 vcc_lo, s7, v33
	v_cndmask_b32_e64 v37, 0, -1, vcc_lo
	v_cmp_le_u32_e32 vcc_lo, s6, v27
	;; [unrolled: 2-line block ×3, first 2 shown]
	v_cndmask_b32_e64 v39, 0, -1, vcc_lo
	v_cmp_eq_u32_e32 vcc_lo, s7, v33
	s_delay_alu instid0(VALU_DEP_2) | instskip(SKIP_3) | instid1(VALU_DEP_3)
	v_cndmask_b32_e64 v27, v39, v27, s0
	v_cndmask_b32_e32 v33, v37, v36, vcc_lo
	v_add_co_u32 v36, vcc_lo, v31, 1
	v_add_co_ci_u32_e32 v37, vcc_lo, 0, v32, vcc_lo
	v_cmp_ne_u32_e32 vcc_lo, 0, v33
	s_delay_alu instid0(VALU_DEP_2) | instskip(SKIP_2) | instid1(VALU_DEP_3)
	v_dual_cndmask_b32 v28, v37, v35 :: v_dual_cndmask_b32 v33, v36, v34
	v_cmp_ne_u32_e32 vcc_lo, 0, v27
	v_xor_b32_e32 v34, s4, v38
	v_dual_cndmask_b32 v27, v32, v28 :: v_dual_cndmask_b32 v28, v31, v33
	s_delay_alu instid0(VALU_DEP_1) | instskip(NEXT) | instid1(VALU_DEP_2)
	v_xor_b32_e32 v31, v27, v34
	v_xor_b32_e32 v28, v28, v34
	s_delay_alu instid0(VALU_DEP_1) | instskip(NEXT) | instid1(VALU_DEP_3)
	v_sub_co_u32 v27, vcc_lo, v28, v34
	v_sub_co_ci_u32_e32 v28, vcc_lo, v31, v34, vcc_lo
                                        ; implicit-def: $vgpr31
.LBB1169_59:
	s_and_not1_saveexec_b32 s0, s1
	s_cbranch_execz .LBB1169_61
; %bb.60:
	v_cvt_f32_u32_e32 v27, s38
	s_sub_i32 s1, 0, s38
	s_delay_alu instid0(VALU_DEP_1) | instskip(SKIP_2) | instid1(VALU_DEP_1)
	v_rcp_iflag_f32_e32 v27, v27
	s_waitcnt_depctr 0xfff
	v_mul_f32_e32 v27, 0x4f7ffffe, v27
	v_cvt_u32_f32_e32 v27, v27
	s_delay_alu instid0(VALU_DEP_1) | instskip(NEXT) | instid1(VALU_DEP_1)
	v_mul_lo_u32 v28, s1, v27
	v_mul_hi_u32 v28, v27, v28
	s_delay_alu instid0(VALU_DEP_1) | instskip(NEXT) | instid1(VALU_DEP_1)
	v_add_nc_u32_e32 v27, v27, v28
	v_mul_hi_u32 v27, v31, v27
	s_delay_alu instid0(VALU_DEP_1) | instskip(NEXT) | instid1(VALU_DEP_1)
	v_mul_lo_u32 v28, v27, s38
	v_sub_nc_u32_e32 v28, v31, v28
	v_add_nc_u32_e32 v31, 1, v27
	s_delay_alu instid0(VALU_DEP_2) | instskip(SKIP_1) | instid1(VALU_DEP_2)
	v_subrev_nc_u32_e32 v32, s38, v28
	v_cmp_le_u32_e32 vcc_lo, s38, v28
	v_dual_cndmask_b32 v28, v28, v32 :: v_dual_cndmask_b32 v27, v27, v31
	s_delay_alu instid0(VALU_DEP_1) | instskip(NEXT) | instid1(VALU_DEP_2)
	v_cmp_le_u32_e32 vcc_lo, s38, v28
	v_dual_mov_b32 v28, 0 :: v_dual_add_nc_u32 v31, 1, v27
	s_delay_alu instid0(VALU_DEP_1)
	v_cndmask_b32_e32 v27, v27, v31, vcc_lo
.LBB1169_61:
	s_or_b32 exec_lo, exec_lo, s0
	v_add_co_u32 v31, vcc_lo, 0xe00, v29
	v_add_co_ci_u32_e32 v32, vcc_lo, 0, v30, vcc_lo
	v_mov_b32_e32 v29, 0
	s_delay_alu instid0(VALU_DEP_2) | instskip(NEXT) | instid1(VALU_DEP_1)
	v_or_b32_e32 v30, s39, v32
	v_cmp_ne_u64_e32 vcc_lo, 0, v[29:30]
                                        ; implicit-def: $vgpr29_vgpr30
	s_and_saveexec_b32 s0, vcc_lo
	s_delay_alu instid0(SALU_CYCLE_1)
	s_xor_b32 s1, exec_lo, s0
	s_cbranch_execz .LBB1169_63
; %bb.62:
	s_ashr_i32 s4, s39, 31
	s_delay_alu instid0(SALU_CYCLE_1) | instskip(SKIP_2) | instid1(SALU_CYCLE_1)
	s_add_u32 s6, s38, s4
	s_mov_b32 s5, s4
	s_addc_u32 s7, s39, s4
	s_xor_b64 s[6:7], s[6:7], s[4:5]
	s_delay_alu instid0(SALU_CYCLE_1) | instskip(SKIP_3) | instid1(VALU_DEP_1)
	v_cvt_f32_u32_e32 v29, s6
	v_cvt_f32_u32_e32 v30, s7
	s_sub_u32 s0, 0, s6
	s_subb_u32 s5, 0, s7
	v_fmamk_f32 v29, v30, 0x4f800000, v29
	s_delay_alu instid0(VALU_DEP_1) | instskip(SKIP_2) | instid1(VALU_DEP_1)
	v_rcp_f32_e32 v29, v29
	s_waitcnt_depctr 0xfff
	v_mul_f32_e32 v29, 0x5f7ffffc, v29
	v_mul_f32_e32 v30, 0x2f800000, v29
	s_delay_alu instid0(VALU_DEP_1) | instskip(NEXT) | instid1(VALU_DEP_1)
	v_trunc_f32_e32 v30, v30
	v_fmamk_f32 v29, v30, 0xcf800000, v29
	v_cvt_u32_f32_e32 v30, v30
	s_delay_alu instid0(VALU_DEP_2) | instskip(NEXT) | instid1(VALU_DEP_2)
	v_cvt_u32_f32_e32 v29, v29
	v_mul_lo_u32 v33, s0, v30
	s_delay_alu instid0(VALU_DEP_2) | instskip(SKIP_1) | instid1(VALU_DEP_2)
	v_mul_hi_u32 v34, s0, v29
	v_mul_lo_u32 v35, s5, v29
	v_add_nc_u32_e32 v33, v34, v33
	v_mul_lo_u32 v34, s0, v29
	s_delay_alu instid0(VALU_DEP_2) | instskip(NEXT) | instid1(VALU_DEP_2)
	v_add_nc_u32_e32 v33, v33, v35
	v_mul_hi_u32 v35, v29, v34
	s_delay_alu instid0(VALU_DEP_2)
	v_mul_lo_u32 v36, v29, v33
	v_mul_hi_u32 v37, v29, v33
	v_mul_hi_u32 v38, v30, v34
	v_mul_lo_u32 v34, v30, v34
	v_mul_hi_u32 v39, v30, v33
	v_mul_lo_u32 v33, v30, v33
	v_add_co_u32 v35, vcc_lo, v35, v36
	v_add_co_ci_u32_e32 v36, vcc_lo, 0, v37, vcc_lo
	s_delay_alu instid0(VALU_DEP_2) | instskip(NEXT) | instid1(VALU_DEP_2)
	v_add_co_u32 v34, vcc_lo, v35, v34
	v_add_co_ci_u32_e32 v34, vcc_lo, v36, v38, vcc_lo
	v_add_co_ci_u32_e32 v35, vcc_lo, 0, v39, vcc_lo
	v_ashrrev_i32_e32 v38, 31, v32
	s_delay_alu instid0(VALU_DEP_3) | instskip(NEXT) | instid1(VALU_DEP_3)
	v_add_co_u32 v33, vcc_lo, v34, v33
	v_add_co_ci_u32_e32 v34, vcc_lo, 0, v35, vcc_lo
	s_delay_alu instid0(VALU_DEP_2) | instskip(NEXT) | instid1(VALU_DEP_2)
	v_add_co_u32 v29, vcc_lo, v29, v33
	v_add_co_ci_u32_e32 v30, vcc_lo, v30, v34, vcc_lo
	s_delay_alu instid0(VALU_DEP_2) | instskip(SKIP_1) | instid1(VALU_DEP_3)
	v_mul_hi_u32 v33, s0, v29
	v_mul_lo_u32 v35, s5, v29
	v_mul_lo_u32 v34, s0, v30
	s_delay_alu instid0(VALU_DEP_1) | instskip(SKIP_1) | instid1(VALU_DEP_2)
	v_add_nc_u32_e32 v33, v33, v34
	v_mul_lo_u32 v34, s0, v29
	v_add_nc_u32_e32 v33, v33, v35
	s_delay_alu instid0(VALU_DEP_2) | instskip(NEXT) | instid1(VALU_DEP_2)
	v_mul_hi_u32 v35, v29, v34
	v_mul_lo_u32 v36, v29, v33
	v_mul_hi_u32 v37, v29, v33
	v_mul_hi_u32 v39, v30, v34
	v_mul_lo_u32 v34, v30, v34
	v_mul_hi_u32 v40, v30, v33
	v_mul_lo_u32 v33, v30, v33
	v_add_co_u32 v35, vcc_lo, v35, v36
	v_add_co_ci_u32_e32 v36, vcc_lo, 0, v37, vcc_lo
	s_delay_alu instid0(VALU_DEP_2) | instskip(NEXT) | instid1(VALU_DEP_2)
	v_add_co_u32 v34, vcc_lo, v35, v34
	v_add_co_ci_u32_e32 v34, vcc_lo, v36, v39, vcc_lo
	v_add_co_ci_u32_e32 v35, vcc_lo, 0, v40, vcc_lo
	v_add_co_u32 v31, vcc_lo, v31, v38
	v_add_co_ci_u32_e32 v32, vcc_lo, v32, v38, vcc_lo
	s_delay_alu instid0(VALU_DEP_4) | instskip(NEXT) | instid1(VALU_DEP_4)
	v_add_co_u32 v33, vcc_lo, v34, v33
	v_add_co_ci_u32_e32 v34, vcc_lo, 0, v35, vcc_lo
	s_delay_alu instid0(VALU_DEP_4) | instskip(NEXT) | instid1(VALU_DEP_3)
	v_xor_b32_e32 v35, v31, v38
	v_add_co_u32 v33, vcc_lo, v29, v33
	s_delay_alu instid0(VALU_DEP_3) | instskip(SKIP_1) | instid1(VALU_DEP_3)
	v_add_co_ci_u32_e32 v36, vcc_lo, v30, v34, vcc_lo
	v_xor_b32_e32 v37, v32, v38
	v_mul_hi_u32 v39, v35, v33
	s_delay_alu instid0(VALU_DEP_3) | instskip(NEXT) | instid1(VALU_DEP_3)
	v_mad_u64_u32 v[29:30], null, v35, v36, 0
	v_mad_u64_u32 v[31:32], null, v37, v33, 0
	;; [unrolled: 1-line block ×3, first 2 shown]
	s_delay_alu instid0(VALU_DEP_3) | instskip(NEXT) | instid1(VALU_DEP_4)
	v_add_co_u32 v29, vcc_lo, v39, v29
	v_add_co_ci_u32_e32 v30, vcc_lo, 0, v30, vcc_lo
	s_delay_alu instid0(VALU_DEP_2) | instskip(NEXT) | instid1(VALU_DEP_2)
	v_add_co_u32 v29, vcc_lo, v29, v31
	v_add_co_ci_u32_e32 v29, vcc_lo, v30, v32, vcc_lo
	v_add_co_ci_u32_e32 v30, vcc_lo, 0, v34, vcc_lo
	s_delay_alu instid0(VALU_DEP_2) | instskip(NEXT) | instid1(VALU_DEP_2)
	v_add_co_u32 v31, vcc_lo, v29, v33
	v_add_co_ci_u32_e32 v32, vcc_lo, 0, v30, vcc_lo
	s_delay_alu instid0(VALU_DEP_2) | instskip(SKIP_1) | instid1(VALU_DEP_3)
	v_mul_lo_u32 v33, s7, v31
	v_mad_u64_u32 v[29:30], null, s6, v31, 0
	v_mul_lo_u32 v34, s6, v32
	s_delay_alu instid0(VALU_DEP_2) | instskip(NEXT) | instid1(VALU_DEP_2)
	v_sub_co_u32 v29, vcc_lo, v35, v29
	v_add3_u32 v30, v30, v34, v33
	s_delay_alu instid0(VALU_DEP_1) | instskip(NEXT) | instid1(VALU_DEP_1)
	v_sub_nc_u32_e32 v33, v37, v30
	v_subrev_co_ci_u32_e64 v33, s0, s7, v33, vcc_lo
	v_add_co_u32 v34, s0, v31, 2
	s_delay_alu instid0(VALU_DEP_1) | instskip(SKIP_3) | instid1(VALU_DEP_3)
	v_add_co_ci_u32_e64 v35, s0, 0, v32, s0
	v_sub_co_u32 v36, s0, v29, s6
	v_sub_co_ci_u32_e32 v30, vcc_lo, v37, v30, vcc_lo
	v_subrev_co_ci_u32_e64 v33, s0, 0, v33, s0
	v_cmp_le_u32_e32 vcc_lo, s6, v36
	s_delay_alu instid0(VALU_DEP_3) | instskip(SKIP_1) | instid1(VALU_DEP_4)
	v_cmp_eq_u32_e64 s0, s7, v30
	v_cndmask_b32_e64 v36, 0, -1, vcc_lo
	v_cmp_le_u32_e32 vcc_lo, s7, v33
	v_cndmask_b32_e64 v37, 0, -1, vcc_lo
	v_cmp_le_u32_e32 vcc_lo, s6, v29
	;; [unrolled: 2-line block ×3, first 2 shown]
	v_cndmask_b32_e64 v39, 0, -1, vcc_lo
	v_cmp_eq_u32_e32 vcc_lo, s7, v33
	s_delay_alu instid0(VALU_DEP_2) | instskip(SKIP_3) | instid1(VALU_DEP_3)
	v_cndmask_b32_e64 v29, v39, v29, s0
	v_cndmask_b32_e32 v33, v37, v36, vcc_lo
	v_add_co_u32 v36, vcc_lo, v31, 1
	v_add_co_ci_u32_e32 v37, vcc_lo, 0, v32, vcc_lo
	v_cmp_ne_u32_e32 vcc_lo, 0, v33
	s_delay_alu instid0(VALU_DEP_2) | instskip(SKIP_2) | instid1(VALU_DEP_3)
	v_dual_cndmask_b32 v30, v37, v35 :: v_dual_cndmask_b32 v33, v36, v34
	v_cmp_ne_u32_e32 vcc_lo, 0, v29
	v_xor_b32_e32 v34, s4, v38
	v_dual_cndmask_b32 v29, v32, v30 :: v_dual_cndmask_b32 v30, v31, v33
	s_delay_alu instid0(VALU_DEP_1) | instskip(NEXT) | instid1(VALU_DEP_2)
	v_xor_b32_e32 v31, v29, v34
	v_xor_b32_e32 v30, v30, v34
	s_delay_alu instid0(VALU_DEP_1) | instskip(NEXT) | instid1(VALU_DEP_3)
	v_sub_co_u32 v29, vcc_lo, v30, v34
	v_sub_co_ci_u32_e32 v30, vcc_lo, v31, v34, vcc_lo
                                        ; implicit-def: $vgpr31
.LBB1169_63:
	s_and_not1_saveexec_b32 s0, s1
	s_cbranch_execz .LBB1169_65
; %bb.64:
	v_cvt_f32_u32_e32 v29, s38
	s_sub_i32 s1, 0, s38
	s_delay_alu instid0(VALU_DEP_1) | instskip(SKIP_2) | instid1(VALU_DEP_1)
	v_rcp_iflag_f32_e32 v29, v29
	s_waitcnt_depctr 0xfff
	v_mul_f32_e32 v29, 0x4f7ffffe, v29
	v_cvt_u32_f32_e32 v29, v29
	s_delay_alu instid0(VALU_DEP_1) | instskip(NEXT) | instid1(VALU_DEP_1)
	v_mul_lo_u32 v30, s1, v29
	v_mul_hi_u32 v30, v29, v30
	s_delay_alu instid0(VALU_DEP_1) | instskip(NEXT) | instid1(VALU_DEP_1)
	v_add_nc_u32_e32 v29, v29, v30
	v_mul_hi_u32 v29, v31, v29
	s_delay_alu instid0(VALU_DEP_1) | instskip(NEXT) | instid1(VALU_DEP_1)
	v_mul_lo_u32 v30, v29, s38
	v_sub_nc_u32_e32 v30, v31, v30
	v_add_nc_u32_e32 v31, 1, v29
	s_delay_alu instid0(VALU_DEP_2) | instskip(SKIP_1) | instid1(VALU_DEP_2)
	v_subrev_nc_u32_e32 v32, s38, v30
	v_cmp_le_u32_e32 vcc_lo, s38, v30
	v_dual_cndmask_b32 v30, v30, v32 :: v_dual_cndmask_b32 v29, v29, v31
	s_delay_alu instid0(VALU_DEP_1) | instskip(NEXT) | instid1(VALU_DEP_2)
	v_cmp_le_u32_e32 vcc_lo, s38, v30
	v_dual_mov_b32 v30, 0 :: v_dual_add_nc_u32 v31, 1, v29
	s_delay_alu instid0(VALU_DEP_1)
	v_cndmask_b32_e32 v29, v29, v31, vcc_lo
.LBB1169_65:
	s_or_b32 exec_lo, exec_lo, s0
	v_lshlrev_b32_e32 v62, 3, v0
	v_add_co_u32 v63, s0, s30, v0
	s_delay_alu instid0(VALU_DEP_1)
	v_add_co_ci_u32_e64 v64, null, s31, 0, s0
	ds_store_2addr_stride64_b64 v62, v[1:2], v[3:4] offset1:4
	ds_store_2addr_stride64_b64 v62, v[5:6], v[7:8] offset0:8 offset1:12
	ds_store_2addr_stride64_b64 v62, v[9:10], v[11:12] offset0:16 offset1:20
	;; [unrolled: 1-line block ×6, first 2 shown]
	ds_store_b64 v62, v[29:30] offset:28672
	v_mov_b32_e32 v29, 0
	v_mad_u32_u24 v61, 0x70, v0, v62
	s_waitcnt lgkmcnt(0)
	s_barrier
	buffer_gl0_inv
	ds_load_2addr_b64 v[25:28], v61 offset1:1
	ds_load_2addr_b64 v[21:24], v61 offset0:2 offset1:3
	ds_load_2addr_b64 v[17:20], v61 offset0:4 offset1:5
	;; [unrolled: 1-line block ×6, first 2 shown]
	ds_load_b64 v[57:58], v61 offset:112
	v_or_b32_e32 v30, s45, v64
	s_waitcnt lgkmcnt(0)
	s_barrier
	buffer_gl0_inv
	v_cmp_ne_u64_e32 vcc_lo, 0, v[29:30]
                                        ; implicit-def: $vgpr29_vgpr30
	s_and_saveexec_b32 s0, vcc_lo
	s_delay_alu instid0(SALU_CYCLE_1)
	s_xor_b32 s1, exec_lo, s0
	s_cbranch_execz .LBB1169_67
; %bb.66:
	s_ashr_i32 s4, s45, 31
	s_delay_alu instid0(SALU_CYCLE_1) | instskip(SKIP_2) | instid1(SALU_CYCLE_1)
	s_add_u32 s6, s44, s4
	s_mov_b32 s5, s4
	s_addc_u32 s7, s45, s4
	s_xor_b64 s[6:7], s[6:7], s[4:5]
	s_delay_alu instid0(SALU_CYCLE_1) | instskip(SKIP_3) | instid1(VALU_DEP_1)
	v_cvt_f32_u32_e32 v29, s6
	v_cvt_f32_u32_e32 v30, s7
	s_sub_u32 s0, 0, s6
	s_subb_u32 s5, 0, s7
	v_fmamk_f32 v29, v30, 0x4f800000, v29
	s_delay_alu instid0(VALU_DEP_1) | instskip(SKIP_2) | instid1(VALU_DEP_1)
	v_rcp_f32_e32 v29, v29
	s_waitcnt_depctr 0xfff
	v_mul_f32_e32 v29, 0x5f7ffffc, v29
	v_mul_f32_e32 v30, 0x2f800000, v29
	s_delay_alu instid0(VALU_DEP_1) | instskip(NEXT) | instid1(VALU_DEP_1)
	v_trunc_f32_e32 v30, v30
	v_fmamk_f32 v29, v30, 0xcf800000, v29
	v_cvt_u32_f32_e32 v30, v30
	s_delay_alu instid0(VALU_DEP_2) | instskip(NEXT) | instid1(VALU_DEP_2)
	v_cvt_u32_f32_e32 v29, v29
	v_mul_lo_u32 v31, s0, v30
	s_delay_alu instid0(VALU_DEP_2) | instskip(SKIP_1) | instid1(VALU_DEP_2)
	v_mul_hi_u32 v32, s0, v29
	v_mul_lo_u32 v33, s5, v29
	v_add_nc_u32_e32 v31, v32, v31
	v_mul_lo_u32 v32, s0, v29
	s_delay_alu instid0(VALU_DEP_2) | instskip(NEXT) | instid1(VALU_DEP_2)
	v_add_nc_u32_e32 v31, v31, v33
	v_mul_hi_u32 v33, v29, v32
	s_delay_alu instid0(VALU_DEP_2)
	v_mul_lo_u32 v34, v29, v31
	v_mul_hi_u32 v35, v29, v31
	v_mul_hi_u32 v36, v30, v32
	v_mul_lo_u32 v32, v30, v32
	v_mul_hi_u32 v37, v30, v31
	v_mul_lo_u32 v31, v30, v31
	v_add_co_u32 v33, vcc_lo, v33, v34
	v_add_co_ci_u32_e32 v34, vcc_lo, 0, v35, vcc_lo
	s_delay_alu instid0(VALU_DEP_2) | instskip(NEXT) | instid1(VALU_DEP_2)
	v_add_co_u32 v32, vcc_lo, v33, v32
	v_add_co_ci_u32_e32 v32, vcc_lo, v34, v36, vcc_lo
	v_add_co_ci_u32_e32 v33, vcc_lo, 0, v37, vcc_lo
	v_ashrrev_i32_e32 v36, 31, v64
	s_delay_alu instid0(VALU_DEP_3) | instskip(NEXT) | instid1(VALU_DEP_3)
	v_add_co_u32 v31, vcc_lo, v32, v31
	v_add_co_ci_u32_e32 v32, vcc_lo, 0, v33, vcc_lo
	s_delay_alu instid0(VALU_DEP_2) | instskip(NEXT) | instid1(VALU_DEP_2)
	v_add_co_u32 v29, vcc_lo, v29, v31
	v_add_co_ci_u32_e32 v30, vcc_lo, v30, v32, vcc_lo
	s_delay_alu instid0(VALU_DEP_2) | instskip(SKIP_1) | instid1(VALU_DEP_3)
	v_mul_hi_u32 v31, s0, v29
	v_mul_lo_u32 v33, s5, v29
	v_mul_lo_u32 v32, s0, v30
	s_delay_alu instid0(VALU_DEP_1) | instskip(SKIP_1) | instid1(VALU_DEP_2)
	v_add_nc_u32_e32 v31, v31, v32
	v_mul_lo_u32 v32, s0, v29
	v_add_nc_u32_e32 v31, v31, v33
	s_delay_alu instid0(VALU_DEP_2) | instskip(NEXT) | instid1(VALU_DEP_2)
	v_mul_hi_u32 v33, v29, v32
	v_mul_lo_u32 v34, v29, v31
	v_mul_hi_u32 v35, v29, v31
	v_mul_hi_u32 v37, v30, v32
	v_mul_lo_u32 v32, v30, v32
	v_mul_hi_u32 v38, v30, v31
	v_mul_lo_u32 v31, v30, v31
	v_add_co_u32 v33, vcc_lo, v33, v34
	v_add_co_ci_u32_e32 v34, vcc_lo, 0, v35, vcc_lo
	s_delay_alu instid0(VALU_DEP_2) | instskip(NEXT) | instid1(VALU_DEP_2)
	v_add_co_u32 v32, vcc_lo, v33, v32
	v_add_co_ci_u32_e32 v32, vcc_lo, v34, v37, vcc_lo
	v_add_co_ci_u32_e32 v33, vcc_lo, 0, v38, vcc_lo
	v_add_co_u32 v34, vcc_lo, v63, v36
	v_add_co_ci_u32_e32 v35, vcc_lo, v64, v36, vcc_lo
	s_delay_alu instid0(VALU_DEP_4) | instskip(NEXT) | instid1(VALU_DEP_4)
	v_add_co_u32 v31, vcc_lo, v32, v31
	v_add_co_ci_u32_e32 v32, vcc_lo, 0, v33, vcc_lo
	s_delay_alu instid0(VALU_DEP_4) | instskip(NEXT) | instid1(VALU_DEP_3)
	v_xor_b32_e32 v37, v34, v36
	v_add_co_u32 v33, vcc_lo, v29, v31
	s_delay_alu instid0(VALU_DEP_3) | instskip(SKIP_1) | instid1(VALU_DEP_3)
	v_add_co_ci_u32_e32 v38, vcc_lo, v30, v32, vcc_lo
	v_xor_b32_e32 v35, v35, v36
	v_mul_hi_u32 v39, v37, v33
	s_delay_alu instid0(VALU_DEP_3) | instskip(NEXT) | instid1(VALU_DEP_3)
	v_mad_u64_u32 v[29:30], null, v37, v38, 0
	v_mad_u64_u32 v[31:32], null, v35, v33, 0
	;; [unrolled: 1-line block ×3, first 2 shown]
	s_delay_alu instid0(VALU_DEP_3) | instskip(NEXT) | instid1(VALU_DEP_4)
	v_add_co_u32 v29, vcc_lo, v39, v29
	v_add_co_ci_u32_e32 v30, vcc_lo, 0, v30, vcc_lo
	s_delay_alu instid0(VALU_DEP_2) | instskip(NEXT) | instid1(VALU_DEP_2)
	v_add_co_u32 v29, vcc_lo, v29, v31
	v_add_co_ci_u32_e32 v29, vcc_lo, v30, v32, vcc_lo
	v_add_co_ci_u32_e32 v30, vcc_lo, 0, v34, vcc_lo
	s_delay_alu instid0(VALU_DEP_2) | instskip(NEXT) | instid1(VALU_DEP_2)
	v_add_co_u32 v31, vcc_lo, v29, v33
	v_add_co_ci_u32_e32 v32, vcc_lo, 0, v30, vcc_lo
	s_delay_alu instid0(VALU_DEP_2) | instskip(SKIP_1) | instid1(VALU_DEP_3)
	v_mul_lo_u32 v33, s7, v31
	v_mad_u64_u32 v[29:30], null, s6, v31, 0
	v_mul_lo_u32 v34, s6, v32
	s_delay_alu instid0(VALU_DEP_2) | instskip(NEXT) | instid1(VALU_DEP_2)
	v_sub_co_u32 v29, vcc_lo, v37, v29
	v_add3_u32 v30, v30, v34, v33
	s_delay_alu instid0(VALU_DEP_1) | instskip(NEXT) | instid1(VALU_DEP_1)
	v_sub_nc_u32_e32 v33, v35, v30
	v_subrev_co_ci_u32_e64 v33, s0, s7, v33, vcc_lo
	v_add_co_u32 v34, s0, v31, 2
	s_delay_alu instid0(VALU_DEP_1) | instskip(SKIP_3) | instid1(VALU_DEP_3)
	v_add_co_ci_u32_e64 v37, s0, 0, v32, s0
	v_sub_co_u32 v38, s0, v29, s6
	v_sub_co_ci_u32_e32 v30, vcc_lo, v35, v30, vcc_lo
	v_subrev_co_ci_u32_e64 v33, s0, 0, v33, s0
	v_cmp_le_u32_e32 vcc_lo, s6, v38
	s_delay_alu instid0(VALU_DEP_3) | instskip(SKIP_1) | instid1(VALU_DEP_4)
	v_cmp_eq_u32_e64 s0, s7, v30
	v_cndmask_b32_e64 v35, 0, -1, vcc_lo
	v_cmp_le_u32_e32 vcc_lo, s7, v33
	v_cndmask_b32_e64 v38, 0, -1, vcc_lo
	v_cmp_le_u32_e32 vcc_lo, s6, v29
	;; [unrolled: 2-line block ×3, first 2 shown]
	v_cndmask_b32_e64 v39, 0, -1, vcc_lo
	v_cmp_eq_u32_e32 vcc_lo, s7, v33
	s_delay_alu instid0(VALU_DEP_2) | instskip(SKIP_3) | instid1(VALU_DEP_3)
	v_cndmask_b32_e64 v29, v39, v29, s0
	v_cndmask_b32_e32 v33, v38, v35, vcc_lo
	v_add_co_u32 v35, vcc_lo, v31, 1
	v_add_co_ci_u32_e32 v38, vcc_lo, 0, v32, vcc_lo
	v_cmp_ne_u32_e32 vcc_lo, 0, v33
	s_delay_alu instid0(VALU_DEP_2) | instskip(SKIP_2) | instid1(VALU_DEP_3)
	v_dual_cndmask_b32 v30, v38, v37 :: v_dual_cndmask_b32 v33, v35, v34
	v_cmp_ne_u32_e32 vcc_lo, 0, v29
	v_xor_b32_e32 v34, s4, v36
	v_dual_cndmask_b32 v29, v32, v30 :: v_dual_cndmask_b32 v30, v31, v33
	s_delay_alu instid0(VALU_DEP_1) | instskip(NEXT) | instid1(VALU_DEP_2)
	v_xor_b32_e32 v31, v29, v34
	v_xor_b32_e32 v30, v30, v34
	s_delay_alu instid0(VALU_DEP_1) | instskip(NEXT) | instid1(VALU_DEP_3)
	v_sub_co_u32 v29, vcc_lo, v30, v34
	v_sub_co_ci_u32_e32 v30, vcc_lo, v31, v34, vcc_lo
.LBB1169_67:
	s_or_saveexec_b32 s0, s1
	v_cvt_f32_u32_e32 v69, s44
	s_xor_b32 exec_lo, exec_lo, s0
	s_cbranch_execz .LBB1169_69
; %bb.68:
	s_delay_alu instid0(VALU_DEP_1) | instskip(SKIP_3) | instid1(VALU_DEP_1)
	v_rcp_iflag_f32_e32 v29, v69
	s_sub_i32 s1, 0, s44
	s_waitcnt_depctr 0xfff
	v_mul_f32_e32 v29, 0x4f7ffffe, v29
	v_cvt_u32_f32_e32 v29, v29
	s_delay_alu instid0(VALU_DEP_1) | instskip(NEXT) | instid1(VALU_DEP_1)
	v_mul_lo_u32 v30, s1, v29
	v_mul_hi_u32 v30, v29, v30
	s_delay_alu instid0(VALU_DEP_1) | instskip(NEXT) | instid1(VALU_DEP_1)
	v_add_nc_u32_e32 v29, v29, v30
	v_mul_hi_u32 v29, v63, v29
	s_delay_alu instid0(VALU_DEP_1) | instskip(SKIP_1) | instid1(VALU_DEP_2)
	v_mul_lo_u32 v30, v29, s44
	v_add_nc_u32_e32 v31, 1, v29
	v_sub_nc_u32_e32 v30, v63, v30
	s_delay_alu instid0(VALU_DEP_1) | instskip(SKIP_1) | instid1(VALU_DEP_2)
	v_subrev_nc_u32_e32 v32, s44, v30
	v_cmp_le_u32_e32 vcc_lo, s44, v30
	v_dual_cndmask_b32 v30, v30, v32 :: v_dual_cndmask_b32 v29, v29, v31
	s_delay_alu instid0(VALU_DEP_1) | instskip(NEXT) | instid1(VALU_DEP_2)
	v_cmp_le_u32_e32 vcc_lo, s44, v30
	v_dual_mov_b32 v30, 0 :: v_dual_add_nc_u32 v31, 1, v29
	s_delay_alu instid0(VALU_DEP_1)
	v_cndmask_b32_e32 v29, v29, v31, vcc_lo
.LBB1169_69:
	s_or_b32 exec_lo, exec_lo, s0
	v_add_co_u32 v65, vcc_lo, 0x100, v63
	v_add_co_ci_u32_e32 v66, vcc_lo, 0, v64, vcc_lo
	v_mov_b32_e32 v31, 0
	s_delay_alu instid0(VALU_DEP_2) | instskip(NEXT) | instid1(VALU_DEP_1)
	v_or_b32_e32 v32, s45, v66
	v_cmp_ne_u64_e32 vcc_lo, 0, v[31:32]
                                        ; implicit-def: $vgpr31_vgpr32
	s_and_saveexec_b32 s0, vcc_lo
	s_delay_alu instid0(SALU_CYCLE_1)
	s_xor_b32 s1, exec_lo, s0
	s_cbranch_execz .LBB1169_71
; %bb.70:
	s_ashr_i32 s4, s45, 31
	s_delay_alu instid0(SALU_CYCLE_1) | instskip(SKIP_2) | instid1(SALU_CYCLE_1)
	s_add_u32 s6, s44, s4
	s_mov_b32 s5, s4
	s_addc_u32 s7, s45, s4
	s_xor_b64 s[6:7], s[6:7], s[4:5]
	s_delay_alu instid0(SALU_CYCLE_1) | instskip(SKIP_3) | instid1(VALU_DEP_1)
	v_cvt_f32_u32_e32 v31, s6
	v_cvt_f32_u32_e32 v32, s7
	s_sub_u32 s0, 0, s6
	s_subb_u32 s5, 0, s7
	v_fmamk_f32 v31, v32, 0x4f800000, v31
	s_delay_alu instid0(VALU_DEP_1) | instskip(SKIP_2) | instid1(VALU_DEP_1)
	v_rcp_f32_e32 v31, v31
	s_waitcnt_depctr 0xfff
	v_mul_f32_e32 v31, 0x5f7ffffc, v31
	v_mul_f32_e32 v32, 0x2f800000, v31
	s_delay_alu instid0(VALU_DEP_1) | instskip(NEXT) | instid1(VALU_DEP_1)
	v_trunc_f32_e32 v32, v32
	v_fmamk_f32 v31, v32, 0xcf800000, v31
	v_cvt_u32_f32_e32 v32, v32
	s_delay_alu instid0(VALU_DEP_2) | instskip(NEXT) | instid1(VALU_DEP_2)
	v_cvt_u32_f32_e32 v31, v31
	v_mul_lo_u32 v33, s0, v32
	s_delay_alu instid0(VALU_DEP_2) | instskip(SKIP_1) | instid1(VALU_DEP_2)
	v_mul_hi_u32 v34, s0, v31
	v_mul_lo_u32 v35, s5, v31
	v_add_nc_u32_e32 v33, v34, v33
	v_mul_lo_u32 v34, s0, v31
	s_delay_alu instid0(VALU_DEP_2) | instskip(NEXT) | instid1(VALU_DEP_2)
	v_add_nc_u32_e32 v33, v33, v35
	v_mul_hi_u32 v35, v31, v34
	s_delay_alu instid0(VALU_DEP_2)
	v_mul_lo_u32 v36, v31, v33
	v_mul_hi_u32 v37, v31, v33
	v_mul_hi_u32 v38, v32, v34
	v_mul_lo_u32 v34, v32, v34
	v_mul_hi_u32 v39, v32, v33
	v_mul_lo_u32 v33, v32, v33
	v_add_co_u32 v35, vcc_lo, v35, v36
	v_add_co_ci_u32_e32 v36, vcc_lo, 0, v37, vcc_lo
	s_delay_alu instid0(VALU_DEP_2) | instskip(NEXT) | instid1(VALU_DEP_2)
	v_add_co_u32 v34, vcc_lo, v35, v34
	v_add_co_ci_u32_e32 v34, vcc_lo, v36, v38, vcc_lo
	v_add_co_ci_u32_e32 v35, vcc_lo, 0, v39, vcc_lo
	v_ashrrev_i32_e32 v38, 31, v66
	s_delay_alu instid0(VALU_DEP_3) | instskip(NEXT) | instid1(VALU_DEP_3)
	v_add_co_u32 v33, vcc_lo, v34, v33
	v_add_co_ci_u32_e32 v34, vcc_lo, 0, v35, vcc_lo
	s_delay_alu instid0(VALU_DEP_2) | instskip(NEXT) | instid1(VALU_DEP_2)
	v_add_co_u32 v31, vcc_lo, v31, v33
	v_add_co_ci_u32_e32 v32, vcc_lo, v32, v34, vcc_lo
	s_delay_alu instid0(VALU_DEP_2) | instskip(SKIP_1) | instid1(VALU_DEP_3)
	v_mul_hi_u32 v33, s0, v31
	v_mul_lo_u32 v35, s5, v31
	v_mul_lo_u32 v34, s0, v32
	s_delay_alu instid0(VALU_DEP_1) | instskip(SKIP_1) | instid1(VALU_DEP_2)
	v_add_nc_u32_e32 v33, v33, v34
	v_mul_lo_u32 v34, s0, v31
	v_add_nc_u32_e32 v33, v33, v35
	s_delay_alu instid0(VALU_DEP_2) | instskip(NEXT) | instid1(VALU_DEP_2)
	v_mul_hi_u32 v35, v31, v34
	v_mul_lo_u32 v36, v31, v33
	v_mul_hi_u32 v37, v31, v33
	v_mul_hi_u32 v39, v32, v34
	v_mul_lo_u32 v34, v32, v34
	v_mul_hi_u32 v40, v32, v33
	v_mul_lo_u32 v33, v32, v33
	v_add_co_u32 v35, vcc_lo, v35, v36
	v_add_co_ci_u32_e32 v36, vcc_lo, 0, v37, vcc_lo
	s_delay_alu instid0(VALU_DEP_2) | instskip(NEXT) | instid1(VALU_DEP_2)
	v_add_co_u32 v34, vcc_lo, v35, v34
	v_add_co_ci_u32_e32 v34, vcc_lo, v36, v39, vcc_lo
	v_add_co_ci_u32_e32 v35, vcc_lo, 0, v40, vcc_lo
	v_add_co_u32 v36, vcc_lo, v65, v38
	v_add_co_ci_u32_e32 v37, vcc_lo, v66, v38, vcc_lo
	s_delay_alu instid0(VALU_DEP_4) | instskip(NEXT) | instid1(VALU_DEP_4)
	v_add_co_u32 v33, vcc_lo, v34, v33
	v_add_co_ci_u32_e32 v34, vcc_lo, 0, v35, vcc_lo
	s_delay_alu instid0(VALU_DEP_4) | instskip(NEXT) | instid1(VALU_DEP_3)
	v_xor_b32_e32 v39, v36, v38
	v_add_co_u32 v35, vcc_lo, v31, v33
	s_delay_alu instid0(VALU_DEP_3) | instskip(SKIP_1) | instid1(VALU_DEP_3)
	v_add_co_ci_u32_e32 v40, vcc_lo, v32, v34, vcc_lo
	v_xor_b32_e32 v37, v37, v38
	v_mul_hi_u32 v41, v39, v35
	s_delay_alu instid0(VALU_DEP_3) | instskip(NEXT) | instid1(VALU_DEP_3)
	v_mad_u64_u32 v[31:32], null, v39, v40, 0
	v_mad_u64_u32 v[33:34], null, v37, v35, 0
	;; [unrolled: 1-line block ×3, first 2 shown]
	s_delay_alu instid0(VALU_DEP_3) | instskip(NEXT) | instid1(VALU_DEP_4)
	v_add_co_u32 v31, vcc_lo, v41, v31
	v_add_co_ci_u32_e32 v32, vcc_lo, 0, v32, vcc_lo
	s_delay_alu instid0(VALU_DEP_2) | instskip(NEXT) | instid1(VALU_DEP_2)
	v_add_co_u32 v31, vcc_lo, v31, v33
	v_add_co_ci_u32_e32 v31, vcc_lo, v32, v34, vcc_lo
	v_add_co_ci_u32_e32 v32, vcc_lo, 0, v36, vcc_lo
	s_delay_alu instid0(VALU_DEP_2) | instskip(NEXT) | instid1(VALU_DEP_2)
	v_add_co_u32 v33, vcc_lo, v31, v35
	v_add_co_ci_u32_e32 v34, vcc_lo, 0, v32, vcc_lo
	s_delay_alu instid0(VALU_DEP_2) | instskip(SKIP_1) | instid1(VALU_DEP_3)
	v_mul_lo_u32 v35, s7, v33
	v_mad_u64_u32 v[31:32], null, s6, v33, 0
	v_mul_lo_u32 v36, s6, v34
	s_delay_alu instid0(VALU_DEP_2) | instskip(NEXT) | instid1(VALU_DEP_2)
	v_sub_co_u32 v31, vcc_lo, v39, v31
	v_add3_u32 v32, v32, v36, v35
	s_delay_alu instid0(VALU_DEP_1) | instskip(NEXT) | instid1(VALU_DEP_1)
	v_sub_nc_u32_e32 v35, v37, v32
	v_subrev_co_ci_u32_e64 v35, s0, s7, v35, vcc_lo
	v_add_co_u32 v36, s0, v33, 2
	s_delay_alu instid0(VALU_DEP_1) | instskip(SKIP_3) | instid1(VALU_DEP_3)
	v_add_co_ci_u32_e64 v39, s0, 0, v34, s0
	v_sub_co_u32 v40, s0, v31, s6
	v_sub_co_ci_u32_e32 v32, vcc_lo, v37, v32, vcc_lo
	v_subrev_co_ci_u32_e64 v35, s0, 0, v35, s0
	v_cmp_le_u32_e32 vcc_lo, s6, v40
	s_delay_alu instid0(VALU_DEP_3) | instskip(SKIP_1) | instid1(VALU_DEP_4)
	v_cmp_eq_u32_e64 s0, s7, v32
	v_cndmask_b32_e64 v37, 0, -1, vcc_lo
	v_cmp_le_u32_e32 vcc_lo, s7, v35
	v_cndmask_b32_e64 v40, 0, -1, vcc_lo
	v_cmp_le_u32_e32 vcc_lo, s6, v31
	;; [unrolled: 2-line block ×3, first 2 shown]
	v_cndmask_b32_e64 v41, 0, -1, vcc_lo
	v_cmp_eq_u32_e32 vcc_lo, s7, v35
	s_delay_alu instid0(VALU_DEP_2) | instskip(SKIP_3) | instid1(VALU_DEP_3)
	v_cndmask_b32_e64 v31, v41, v31, s0
	v_cndmask_b32_e32 v35, v40, v37, vcc_lo
	v_add_co_u32 v37, vcc_lo, v33, 1
	v_add_co_ci_u32_e32 v40, vcc_lo, 0, v34, vcc_lo
	v_cmp_ne_u32_e32 vcc_lo, 0, v35
	s_delay_alu instid0(VALU_DEP_2) | instskip(SKIP_2) | instid1(VALU_DEP_3)
	v_dual_cndmask_b32 v32, v40, v39 :: v_dual_cndmask_b32 v35, v37, v36
	v_cmp_ne_u32_e32 vcc_lo, 0, v31
	v_xor_b32_e32 v36, s4, v38
	v_dual_cndmask_b32 v31, v34, v32 :: v_dual_cndmask_b32 v32, v33, v35
	s_delay_alu instid0(VALU_DEP_1) | instskip(NEXT) | instid1(VALU_DEP_2)
	v_xor_b32_e32 v33, v31, v36
	v_xor_b32_e32 v32, v32, v36
	s_delay_alu instid0(VALU_DEP_1) | instskip(NEXT) | instid1(VALU_DEP_3)
	v_sub_co_u32 v31, vcc_lo, v32, v36
	v_sub_co_ci_u32_e32 v32, vcc_lo, v33, v36, vcc_lo
.LBB1169_71:
	s_and_not1_saveexec_b32 s0, s1
	s_cbranch_execz .LBB1169_73
; %bb.72:
	v_rcp_iflag_f32_e32 v31, v69
	s_sub_i32 s1, 0, s44
	s_waitcnt_depctr 0xfff
	v_mul_f32_e32 v31, 0x4f7ffffe, v31
	s_delay_alu instid0(VALU_DEP_1) | instskip(NEXT) | instid1(VALU_DEP_1)
	v_cvt_u32_f32_e32 v31, v31
	v_mul_lo_u32 v32, s1, v31
	s_delay_alu instid0(VALU_DEP_1) | instskip(NEXT) | instid1(VALU_DEP_1)
	v_mul_hi_u32 v32, v31, v32
	v_add_nc_u32_e32 v31, v31, v32
	s_delay_alu instid0(VALU_DEP_1) | instskip(NEXT) | instid1(VALU_DEP_1)
	v_mul_hi_u32 v31, v65, v31
	v_mul_lo_u32 v32, v31, s44
	v_add_nc_u32_e32 v33, 1, v31
	s_delay_alu instid0(VALU_DEP_2) | instskip(NEXT) | instid1(VALU_DEP_1)
	v_sub_nc_u32_e32 v32, v65, v32
	v_subrev_nc_u32_e32 v34, s44, v32
	v_cmp_le_u32_e32 vcc_lo, s44, v32
	s_delay_alu instid0(VALU_DEP_2) | instskip(NEXT) | instid1(VALU_DEP_1)
	v_dual_cndmask_b32 v32, v32, v34 :: v_dual_cndmask_b32 v31, v31, v33
	v_cmp_le_u32_e32 vcc_lo, s44, v32
	s_delay_alu instid0(VALU_DEP_2) | instskip(NEXT) | instid1(VALU_DEP_1)
	v_dual_mov_b32 v32, 0 :: v_dual_add_nc_u32 v33, 1, v31
	v_cndmask_b32_e32 v31, v31, v33, vcc_lo
.LBB1169_73:
	s_or_b32 exec_lo, exec_lo, s0
	v_add_co_u32 v67, vcc_lo, 0x200, v63
	v_add_co_ci_u32_e32 v68, vcc_lo, 0, v64, vcc_lo
	v_mov_b32_e32 v33, 0
	s_delay_alu instid0(VALU_DEP_2) | instskip(NEXT) | instid1(VALU_DEP_1)
	v_or_b32_e32 v34, s45, v68
	v_cmp_ne_u64_e32 vcc_lo, 0, v[33:34]
                                        ; implicit-def: $vgpr33_vgpr34
	s_and_saveexec_b32 s0, vcc_lo
	s_delay_alu instid0(SALU_CYCLE_1)
	s_xor_b32 s1, exec_lo, s0
	s_cbranch_execz .LBB1169_75
; %bb.74:
	s_ashr_i32 s4, s45, 31
	s_delay_alu instid0(SALU_CYCLE_1) | instskip(SKIP_2) | instid1(SALU_CYCLE_1)
	s_add_u32 s6, s44, s4
	s_mov_b32 s5, s4
	s_addc_u32 s7, s45, s4
	s_xor_b64 s[6:7], s[6:7], s[4:5]
	s_delay_alu instid0(SALU_CYCLE_1) | instskip(SKIP_3) | instid1(VALU_DEP_1)
	v_cvt_f32_u32_e32 v33, s6
	v_cvt_f32_u32_e32 v34, s7
	s_sub_u32 s0, 0, s6
	s_subb_u32 s5, 0, s7
	v_fmamk_f32 v33, v34, 0x4f800000, v33
	s_delay_alu instid0(VALU_DEP_1) | instskip(SKIP_2) | instid1(VALU_DEP_1)
	v_rcp_f32_e32 v33, v33
	s_waitcnt_depctr 0xfff
	v_mul_f32_e32 v33, 0x5f7ffffc, v33
	v_mul_f32_e32 v34, 0x2f800000, v33
	s_delay_alu instid0(VALU_DEP_1) | instskip(NEXT) | instid1(VALU_DEP_1)
	v_trunc_f32_e32 v34, v34
	v_fmamk_f32 v33, v34, 0xcf800000, v33
	v_cvt_u32_f32_e32 v34, v34
	s_delay_alu instid0(VALU_DEP_2) | instskip(NEXT) | instid1(VALU_DEP_2)
	v_cvt_u32_f32_e32 v33, v33
	v_mul_lo_u32 v35, s0, v34
	s_delay_alu instid0(VALU_DEP_2) | instskip(SKIP_1) | instid1(VALU_DEP_2)
	v_mul_hi_u32 v36, s0, v33
	v_mul_lo_u32 v37, s5, v33
	v_add_nc_u32_e32 v35, v36, v35
	v_mul_lo_u32 v36, s0, v33
	s_delay_alu instid0(VALU_DEP_2) | instskip(NEXT) | instid1(VALU_DEP_2)
	v_add_nc_u32_e32 v35, v35, v37
	v_mul_hi_u32 v37, v33, v36
	s_delay_alu instid0(VALU_DEP_2)
	v_mul_lo_u32 v38, v33, v35
	v_mul_hi_u32 v39, v33, v35
	v_mul_hi_u32 v40, v34, v36
	v_mul_lo_u32 v36, v34, v36
	v_mul_hi_u32 v41, v34, v35
	v_mul_lo_u32 v35, v34, v35
	v_add_co_u32 v37, vcc_lo, v37, v38
	v_add_co_ci_u32_e32 v38, vcc_lo, 0, v39, vcc_lo
	s_delay_alu instid0(VALU_DEP_2) | instskip(NEXT) | instid1(VALU_DEP_2)
	v_add_co_u32 v36, vcc_lo, v37, v36
	v_add_co_ci_u32_e32 v36, vcc_lo, v38, v40, vcc_lo
	v_add_co_ci_u32_e32 v37, vcc_lo, 0, v41, vcc_lo
	v_ashrrev_i32_e32 v40, 31, v68
	s_delay_alu instid0(VALU_DEP_3) | instskip(NEXT) | instid1(VALU_DEP_3)
	v_add_co_u32 v35, vcc_lo, v36, v35
	v_add_co_ci_u32_e32 v36, vcc_lo, 0, v37, vcc_lo
	s_delay_alu instid0(VALU_DEP_2) | instskip(NEXT) | instid1(VALU_DEP_2)
	v_add_co_u32 v33, vcc_lo, v33, v35
	v_add_co_ci_u32_e32 v34, vcc_lo, v34, v36, vcc_lo
	s_delay_alu instid0(VALU_DEP_2) | instskip(SKIP_1) | instid1(VALU_DEP_3)
	v_mul_hi_u32 v35, s0, v33
	v_mul_lo_u32 v37, s5, v33
	v_mul_lo_u32 v36, s0, v34
	s_delay_alu instid0(VALU_DEP_1) | instskip(SKIP_1) | instid1(VALU_DEP_2)
	v_add_nc_u32_e32 v35, v35, v36
	v_mul_lo_u32 v36, s0, v33
	v_add_nc_u32_e32 v35, v35, v37
	s_delay_alu instid0(VALU_DEP_2) | instskip(NEXT) | instid1(VALU_DEP_2)
	v_mul_hi_u32 v37, v33, v36
	v_mul_lo_u32 v38, v33, v35
	v_mul_hi_u32 v39, v33, v35
	v_mul_hi_u32 v41, v34, v36
	v_mul_lo_u32 v36, v34, v36
	v_mul_hi_u32 v42, v34, v35
	v_mul_lo_u32 v35, v34, v35
	v_add_co_u32 v37, vcc_lo, v37, v38
	v_add_co_ci_u32_e32 v38, vcc_lo, 0, v39, vcc_lo
	s_delay_alu instid0(VALU_DEP_2) | instskip(NEXT) | instid1(VALU_DEP_2)
	v_add_co_u32 v36, vcc_lo, v37, v36
	v_add_co_ci_u32_e32 v36, vcc_lo, v38, v41, vcc_lo
	v_add_co_ci_u32_e32 v37, vcc_lo, 0, v42, vcc_lo
	v_add_co_u32 v38, vcc_lo, v67, v40
	v_add_co_ci_u32_e32 v39, vcc_lo, v68, v40, vcc_lo
	s_delay_alu instid0(VALU_DEP_4) | instskip(NEXT) | instid1(VALU_DEP_4)
	v_add_co_u32 v35, vcc_lo, v36, v35
	v_add_co_ci_u32_e32 v36, vcc_lo, 0, v37, vcc_lo
	s_delay_alu instid0(VALU_DEP_4) | instskip(NEXT) | instid1(VALU_DEP_3)
	v_xor_b32_e32 v41, v38, v40
	v_add_co_u32 v37, vcc_lo, v33, v35
	s_delay_alu instid0(VALU_DEP_3) | instskip(SKIP_1) | instid1(VALU_DEP_3)
	v_add_co_ci_u32_e32 v42, vcc_lo, v34, v36, vcc_lo
	v_xor_b32_e32 v39, v39, v40
	v_mul_hi_u32 v43, v41, v37
	s_delay_alu instid0(VALU_DEP_3) | instskip(NEXT) | instid1(VALU_DEP_3)
	v_mad_u64_u32 v[33:34], null, v41, v42, 0
	v_mad_u64_u32 v[35:36], null, v39, v37, 0
	;; [unrolled: 1-line block ×3, first 2 shown]
	s_delay_alu instid0(VALU_DEP_3) | instskip(NEXT) | instid1(VALU_DEP_4)
	v_add_co_u32 v33, vcc_lo, v43, v33
	v_add_co_ci_u32_e32 v34, vcc_lo, 0, v34, vcc_lo
	s_delay_alu instid0(VALU_DEP_2) | instskip(NEXT) | instid1(VALU_DEP_2)
	v_add_co_u32 v33, vcc_lo, v33, v35
	v_add_co_ci_u32_e32 v33, vcc_lo, v34, v36, vcc_lo
	v_add_co_ci_u32_e32 v34, vcc_lo, 0, v38, vcc_lo
	s_delay_alu instid0(VALU_DEP_2) | instskip(NEXT) | instid1(VALU_DEP_2)
	v_add_co_u32 v35, vcc_lo, v33, v37
	v_add_co_ci_u32_e32 v36, vcc_lo, 0, v34, vcc_lo
	s_delay_alu instid0(VALU_DEP_2) | instskip(SKIP_1) | instid1(VALU_DEP_3)
	v_mul_lo_u32 v37, s7, v35
	v_mad_u64_u32 v[33:34], null, s6, v35, 0
	v_mul_lo_u32 v38, s6, v36
	s_delay_alu instid0(VALU_DEP_2) | instskip(NEXT) | instid1(VALU_DEP_2)
	v_sub_co_u32 v33, vcc_lo, v41, v33
	v_add3_u32 v34, v34, v38, v37
	s_delay_alu instid0(VALU_DEP_1) | instskip(NEXT) | instid1(VALU_DEP_1)
	v_sub_nc_u32_e32 v37, v39, v34
	v_subrev_co_ci_u32_e64 v37, s0, s7, v37, vcc_lo
	v_add_co_u32 v38, s0, v35, 2
	s_delay_alu instid0(VALU_DEP_1) | instskip(SKIP_3) | instid1(VALU_DEP_3)
	v_add_co_ci_u32_e64 v41, s0, 0, v36, s0
	v_sub_co_u32 v42, s0, v33, s6
	v_sub_co_ci_u32_e32 v34, vcc_lo, v39, v34, vcc_lo
	v_subrev_co_ci_u32_e64 v37, s0, 0, v37, s0
	v_cmp_le_u32_e32 vcc_lo, s6, v42
	s_delay_alu instid0(VALU_DEP_3) | instskip(SKIP_1) | instid1(VALU_DEP_4)
	v_cmp_eq_u32_e64 s0, s7, v34
	v_cndmask_b32_e64 v39, 0, -1, vcc_lo
	v_cmp_le_u32_e32 vcc_lo, s7, v37
	v_cndmask_b32_e64 v42, 0, -1, vcc_lo
	v_cmp_le_u32_e32 vcc_lo, s6, v33
	;; [unrolled: 2-line block ×3, first 2 shown]
	v_cndmask_b32_e64 v43, 0, -1, vcc_lo
	v_cmp_eq_u32_e32 vcc_lo, s7, v37
	s_delay_alu instid0(VALU_DEP_2) | instskip(SKIP_3) | instid1(VALU_DEP_3)
	v_cndmask_b32_e64 v33, v43, v33, s0
	v_cndmask_b32_e32 v37, v42, v39, vcc_lo
	v_add_co_u32 v39, vcc_lo, v35, 1
	v_add_co_ci_u32_e32 v42, vcc_lo, 0, v36, vcc_lo
	v_cmp_ne_u32_e32 vcc_lo, 0, v37
	s_delay_alu instid0(VALU_DEP_2) | instskip(SKIP_2) | instid1(VALU_DEP_3)
	v_dual_cndmask_b32 v34, v42, v41 :: v_dual_cndmask_b32 v37, v39, v38
	v_cmp_ne_u32_e32 vcc_lo, 0, v33
	v_xor_b32_e32 v38, s4, v40
	v_dual_cndmask_b32 v33, v36, v34 :: v_dual_cndmask_b32 v34, v35, v37
	s_delay_alu instid0(VALU_DEP_1) | instskip(NEXT) | instid1(VALU_DEP_2)
	v_xor_b32_e32 v35, v33, v38
	v_xor_b32_e32 v34, v34, v38
	s_delay_alu instid0(VALU_DEP_1) | instskip(NEXT) | instid1(VALU_DEP_3)
	v_sub_co_u32 v33, vcc_lo, v34, v38
	v_sub_co_ci_u32_e32 v34, vcc_lo, v35, v38, vcc_lo
.LBB1169_75:
	s_and_not1_saveexec_b32 s0, s1
	s_cbranch_execz .LBB1169_77
; %bb.76:
	v_rcp_iflag_f32_e32 v33, v69
	s_sub_i32 s1, 0, s44
	s_waitcnt_depctr 0xfff
	v_mul_f32_e32 v33, 0x4f7ffffe, v33
	s_delay_alu instid0(VALU_DEP_1) | instskip(NEXT) | instid1(VALU_DEP_1)
	v_cvt_u32_f32_e32 v33, v33
	v_mul_lo_u32 v34, s1, v33
	s_delay_alu instid0(VALU_DEP_1) | instskip(NEXT) | instid1(VALU_DEP_1)
	v_mul_hi_u32 v34, v33, v34
	v_add_nc_u32_e32 v33, v33, v34
	s_delay_alu instid0(VALU_DEP_1) | instskip(NEXT) | instid1(VALU_DEP_1)
	v_mul_hi_u32 v33, v67, v33
	v_mul_lo_u32 v34, v33, s44
	v_add_nc_u32_e32 v35, 1, v33
	s_delay_alu instid0(VALU_DEP_2) | instskip(NEXT) | instid1(VALU_DEP_1)
	v_sub_nc_u32_e32 v34, v67, v34
	v_subrev_nc_u32_e32 v36, s44, v34
	v_cmp_le_u32_e32 vcc_lo, s44, v34
	s_delay_alu instid0(VALU_DEP_2) | instskip(NEXT) | instid1(VALU_DEP_1)
	v_dual_cndmask_b32 v34, v34, v36 :: v_dual_cndmask_b32 v33, v33, v35
	v_cmp_le_u32_e32 vcc_lo, s44, v34
	s_delay_alu instid0(VALU_DEP_2) | instskip(NEXT) | instid1(VALU_DEP_1)
	v_dual_mov_b32 v34, 0 :: v_dual_add_nc_u32 v35, 1, v33
	v_cndmask_b32_e32 v33, v33, v35, vcc_lo
.LBB1169_77:
	s_or_b32 exec_lo, exec_lo, s0
	v_add_co_u32 v70, vcc_lo, 0x300, v63
	v_add_co_ci_u32_e32 v71, vcc_lo, 0, v64, vcc_lo
	v_mov_b32_e32 v35, 0
	s_delay_alu instid0(VALU_DEP_2) | instskip(NEXT) | instid1(VALU_DEP_1)
	v_or_b32_e32 v36, s45, v71
	v_cmp_ne_u64_e32 vcc_lo, 0, v[35:36]
                                        ; implicit-def: $vgpr35_vgpr36
	s_and_saveexec_b32 s0, vcc_lo
	s_delay_alu instid0(SALU_CYCLE_1)
	s_xor_b32 s1, exec_lo, s0
	s_cbranch_execz .LBB1169_79
; %bb.78:
	s_ashr_i32 s4, s45, 31
	s_delay_alu instid0(SALU_CYCLE_1) | instskip(SKIP_2) | instid1(SALU_CYCLE_1)
	s_add_u32 s6, s44, s4
	s_mov_b32 s5, s4
	s_addc_u32 s7, s45, s4
	s_xor_b64 s[6:7], s[6:7], s[4:5]
	s_delay_alu instid0(SALU_CYCLE_1) | instskip(SKIP_3) | instid1(VALU_DEP_1)
	v_cvt_f32_u32_e32 v35, s6
	v_cvt_f32_u32_e32 v36, s7
	s_sub_u32 s0, 0, s6
	s_subb_u32 s5, 0, s7
	v_fmamk_f32 v35, v36, 0x4f800000, v35
	s_delay_alu instid0(VALU_DEP_1) | instskip(SKIP_2) | instid1(VALU_DEP_1)
	v_rcp_f32_e32 v35, v35
	s_waitcnt_depctr 0xfff
	v_mul_f32_e32 v35, 0x5f7ffffc, v35
	v_mul_f32_e32 v36, 0x2f800000, v35
	s_delay_alu instid0(VALU_DEP_1) | instskip(NEXT) | instid1(VALU_DEP_1)
	v_trunc_f32_e32 v36, v36
	v_fmamk_f32 v35, v36, 0xcf800000, v35
	v_cvt_u32_f32_e32 v36, v36
	s_delay_alu instid0(VALU_DEP_2) | instskip(NEXT) | instid1(VALU_DEP_2)
	v_cvt_u32_f32_e32 v35, v35
	v_mul_lo_u32 v37, s0, v36
	s_delay_alu instid0(VALU_DEP_2) | instskip(SKIP_1) | instid1(VALU_DEP_2)
	v_mul_hi_u32 v38, s0, v35
	v_mul_lo_u32 v39, s5, v35
	v_add_nc_u32_e32 v37, v38, v37
	v_mul_lo_u32 v38, s0, v35
	s_delay_alu instid0(VALU_DEP_2) | instskip(NEXT) | instid1(VALU_DEP_2)
	v_add_nc_u32_e32 v37, v37, v39
	v_mul_hi_u32 v39, v35, v38
	s_delay_alu instid0(VALU_DEP_2)
	v_mul_lo_u32 v40, v35, v37
	v_mul_hi_u32 v41, v35, v37
	v_mul_hi_u32 v42, v36, v38
	v_mul_lo_u32 v38, v36, v38
	v_mul_hi_u32 v43, v36, v37
	v_mul_lo_u32 v37, v36, v37
	v_add_co_u32 v39, vcc_lo, v39, v40
	v_add_co_ci_u32_e32 v40, vcc_lo, 0, v41, vcc_lo
	s_delay_alu instid0(VALU_DEP_2) | instskip(NEXT) | instid1(VALU_DEP_2)
	v_add_co_u32 v38, vcc_lo, v39, v38
	v_add_co_ci_u32_e32 v38, vcc_lo, v40, v42, vcc_lo
	v_add_co_ci_u32_e32 v39, vcc_lo, 0, v43, vcc_lo
	v_ashrrev_i32_e32 v42, 31, v71
	s_delay_alu instid0(VALU_DEP_3) | instskip(NEXT) | instid1(VALU_DEP_3)
	v_add_co_u32 v37, vcc_lo, v38, v37
	v_add_co_ci_u32_e32 v38, vcc_lo, 0, v39, vcc_lo
	s_delay_alu instid0(VALU_DEP_2) | instskip(NEXT) | instid1(VALU_DEP_2)
	v_add_co_u32 v35, vcc_lo, v35, v37
	v_add_co_ci_u32_e32 v36, vcc_lo, v36, v38, vcc_lo
	s_delay_alu instid0(VALU_DEP_2) | instskip(SKIP_1) | instid1(VALU_DEP_3)
	v_mul_hi_u32 v37, s0, v35
	v_mul_lo_u32 v39, s5, v35
	v_mul_lo_u32 v38, s0, v36
	s_delay_alu instid0(VALU_DEP_1) | instskip(SKIP_1) | instid1(VALU_DEP_2)
	v_add_nc_u32_e32 v37, v37, v38
	v_mul_lo_u32 v38, s0, v35
	v_add_nc_u32_e32 v37, v37, v39
	s_delay_alu instid0(VALU_DEP_2) | instskip(NEXT) | instid1(VALU_DEP_2)
	v_mul_hi_u32 v39, v35, v38
	v_mul_lo_u32 v40, v35, v37
	v_mul_hi_u32 v41, v35, v37
	v_mul_hi_u32 v43, v36, v38
	v_mul_lo_u32 v38, v36, v38
	v_mul_hi_u32 v44, v36, v37
	v_mul_lo_u32 v37, v36, v37
	v_add_co_u32 v39, vcc_lo, v39, v40
	v_add_co_ci_u32_e32 v40, vcc_lo, 0, v41, vcc_lo
	s_delay_alu instid0(VALU_DEP_2) | instskip(NEXT) | instid1(VALU_DEP_2)
	v_add_co_u32 v38, vcc_lo, v39, v38
	v_add_co_ci_u32_e32 v38, vcc_lo, v40, v43, vcc_lo
	v_add_co_ci_u32_e32 v39, vcc_lo, 0, v44, vcc_lo
	v_add_co_u32 v40, vcc_lo, v70, v42
	v_add_co_ci_u32_e32 v41, vcc_lo, v71, v42, vcc_lo
	s_delay_alu instid0(VALU_DEP_4) | instskip(NEXT) | instid1(VALU_DEP_4)
	v_add_co_u32 v37, vcc_lo, v38, v37
	v_add_co_ci_u32_e32 v38, vcc_lo, 0, v39, vcc_lo
	s_delay_alu instid0(VALU_DEP_4) | instskip(NEXT) | instid1(VALU_DEP_3)
	v_xor_b32_e32 v43, v40, v42
	v_add_co_u32 v39, vcc_lo, v35, v37
	s_delay_alu instid0(VALU_DEP_3) | instskip(SKIP_1) | instid1(VALU_DEP_3)
	v_add_co_ci_u32_e32 v44, vcc_lo, v36, v38, vcc_lo
	v_xor_b32_e32 v41, v41, v42
	v_mul_hi_u32 v45, v43, v39
	s_delay_alu instid0(VALU_DEP_3) | instskip(NEXT) | instid1(VALU_DEP_3)
	v_mad_u64_u32 v[35:36], null, v43, v44, 0
	v_mad_u64_u32 v[37:38], null, v41, v39, 0
	;; [unrolled: 1-line block ×3, first 2 shown]
	s_delay_alu instid0(VALU_DEP_3) | instskip(NEXT) | instid1(VALU_DEP_4)
	v_add_co_u32 v35, vcc_lo, v45, v35
	v_add_co_ci_u32_e32 v36, vcc_lo, 0, v36, vcc_lo
	s_delay_alu instid0(VALU_DEP_2) | instskip(NEXT) | instid1(VALU_DEP_2)
	v_add_co_u32 v35, vcc_lo, v35, v37
	v_add_co_ci_u32_e32 v35, vcc_lo, v36, v38, vcc_lo
	v_add_co_ci_u32_e32 v36, vcc_lo, 0, v40, vcc_lo
	s_delay_alu instid0(VALU_DEP_2) | instskip(NEXT) | instid1(VALU_DEP_2)
	v_add_co_u32 v37, vcc_lo, v35, v39
	v_add_co_ci_u32_e32 v38, vcc_lo, 0, v36, vcc_lo
	s_delay_alu instid0(VALU_DEP_2) | instskip(SKIP_1) | instid1(VALU_DEP_3)
	v_mul_lo_u32 v39, s7, v37
	v_mad_u64_u32 v[35:36], null, s6, v37, 0
	v_mul_lo_u32 v40, s6, v38
	s_delay_alu instid0(VALU_DEP_2) | instskip(NEXT) | instid1(VALU_DEP_2)
	v_sub_co_u32 v35, vcc_lo, v43, v35
	v_add3_u32 v36, v36, v40, v39
	s_delay_alu instid0(VALU_DEP_1) | instskip(NEXT) | instid1(VALU_DEP_1)
	v_sub_nc_u32_e32 v39, v41, v36
	v_subrev_co_ci_u32_e64 v39, s0, s7, v39, vcc_lo
	v_add_co_u32 v40, s0, v37, 2
	s_delay_alu instid0(VALU_DEP_1) | instskip(SKIP_3) | instid1(VALU_DEP_3)
	v_add_co_ci_u32_e64 v43, s0, 0, v38, s0
	v_sub_co_u32 v44, s0, v35, s6
	v_sub_co_ci_u32_e32 v36, vcc_lo, v41, v36, vcc_lo
	v_subrev_co_ci_u32_e64 v39, s0, 0, v39, s0
	v_cmp_le_u32_e32 vcc_lo, s6, v44
	s_delay_alu instid0(VALU_DEP_3) | instskip(SKIP_1) | instid1(VALU_DEP_4)
	v_cmp_eq_u32_e64 s0, s7, v36
	v_cndmask_b32_e64 v41, 0, -1, vcc_lo
	v_cmp_le_u32_e32 vcc_lo, s7, v39
	v_cndmask_b32_e64 v44, 0, -1, vcc_lo
	v_cmp_le_u32_e32 vcc_lo, s6, v35
	;; [unrolled: 2-line block ×3, first 2 shown]
	v_cndmask_b32_e64 v45, 0, -1, vcc_lo
	v_cmp_eq_u32_e32 vcc_lo, s7, v39
	s_delay_alu instid0(VALU_DEP_2) | instskip(SKIP_3) | instid1(VALU_DEP_3)
	v_cndmask_b32_e64 v35, v45, v35, s0
	v_cndmask_b32_e32 v39, v44, v41, vcc_lo
	v_add_co_u32 v41, vcc_lo, v37, 1
	v_add_co_ci_u32_e32 v44, vcc_lo, 0, v38, vcc_lo
	v_cmp_ne_u32_e32 vcc_lo, 0, v39
	s_delay_alu instid0(VALU_DEP_2) | instskip(SKIP_2) | instid1(VALU_DEP_3)
	v_dual_cndmask_b32 v36, v44, v43 :: v_dual_cndmask_b32 v39, v41, v40
	v_cmp_ne_u32_e32 vcc_lo, 0, v35
	v_xor_b32_e32 v40, s4, v42
	v_dual_cndmask_b32 v35, v38, v36 :: v_dual_cndmask_b32 v36, v37, v39
	s_delay_alu instid0(VALU_DEP_1) | instskip(NEXT) | instid1(VALU_DEP_2)
	v_xor_b32_e32 v37, v35, v40
	v_xor_b32_e32 v36, v36, v40
	s_delay_alu instid0(VALU_DEP_1) | instskip(NEXT) | instid1(VALU_DEP_3)
	v_sub_co_u32 v35, vcc_lo, v36, v40
	v_sub_co_ci_u32_e32 v36, vcc_lo, v37, v40, vcc_lo
.LBB1169_79:
	s_and_not1_saveexec_b32 s0, s1
	s_cbranch_execz .LBB1169_81
; %bb.80:
	v_rcp_iflag_f32_e32 v35, v69
	s_sub_i32 s1, 0, s44
	s_waitcnt_depctr 0xfff
	v_mul_f32_e32 v35, 0x4f7ffffe, v35
	s_delay_alu instid0(VALU_DEP_1) | instskip(NEXT) | instid1(VALU_DEP_1)
	v_cvt_u32_f32_e32 v35, v35
	v_mul_lo_u32 v36, s1, v35
	s_delay_alu instid0(VALU_DEP_1) | instskip(NEXT) | instid1(VALU_DEP_1)
	v_mul_hi_u32 v36, v35, v36
	v_add_nc_u32_e32 v35, v35, v36
	s_delay_alu instid0(VALU_DEP_1) | instskip(NEXT) | instid1(VALU_DEP_1)
	v_mul_hi_u32 v35, v70, v35
	v_mul_lo_u32 v36, v35, s44
	v_add_nc_u32_e32 v37, 1, v35
	s_delay_alu instid0(VALU_DEP_2) | instskip(NEXT) | instid1(VALU_DEP_1)
	v_sub_nc_u32_e32 v36, v70, v36
	v_subrev_nc_u32_e32 v38, s44, v36
	v_cmp_le_u32_e32 vcc_lo, s44, v36
	s_delay_alu instid0(VALU_DEP_2) | instskip(NEXT) | instid1(VALU_DEP_1)
	v_dual_cndmask_b32 v36, v36, v38 :: v_dual_cndmask_b32 v35, v35, v37
	v_cmp_le_u32_e32 vcc_lo, s44, v36
	s_delay_alu instid0(VALU_DEP_2) | instskip(NEXT) | instid1(VALU_DEP_1)
	v_dual_mov_b32 v36, 0 :: v_dual_add_nc_u32 v37, 1, v35
	v_cndmask_b32_e32 v35, v35, v37, vcc_lo
.LBB1169_81:
	s_or_b32 exec_lo, exec_lo, s0
	v_add_co_u32 v72, vcc_lo, 0x400, v63
	v_add_co_ci_u32_e32 v73, vcc_lo, 0, v64, vcc_lo
	v_mov_b32_e32 v37, 0
	s_delay_alu instid0(VALU_DEP_2) | instskip(NEXT) | instid1(VALU_DEP_1)
	v_or_b32_e32 v38, s45, v73
	v_cmp_ne_u64_e32 vcc_lo, 0, v[37:38]
                                        ; implicit-def: $vgpr37_vgpr38
	s_and_saveexec_b32 s0, vcc_lo
	s_delay_alu instid0(SALU_CYCLE_1)
	s_xor_b32 s1, exec_lo, s0
	s_cbranch_execz .LBB1169_83
; %bb.82:
	s_ashr_i32 s4, s45, 31
	s_delay_alu instid0(SALU_CYCLE_1) | instskip(SKIP_2) | instid1(SALU_CYCLE_1)
	s_add_u32 s6, s44, s4
	s_mov_b32 s5, s4
	s_addc_u32 s7, s45, s4
	s_xor_b64 s[6:7], s[6:7], s[4:5]
	s_delay_alu instid0(SALU_CYCLE_1) | instskip(SKIP_3) | instid1(VALU_DEP_1)
	v_cvt_f32_u32_e32 v37, s6
	v_cvt_f32_u32_e32 v38, s7
	s_sub_u32 s0, 0, s6
	s_subb_u32 s5, 0, s7
	v_fmamk_f32 v37, v38, 0x4f800000, v37
	s_delay_alu instid0(VALU_DEP_1) | instskip(SKIP_2) | instid1(VALU_DEP_1)
	v_rcp_f32_e32 v37, v37
	s_waitcnt_depctr 0xfff
	v_mul_f32_e32 v37, 0x5f7ffffc, v37
	v_mul_f32_e32 v38, 0x2f800000, v37
	s_delay_alu instid0(VALU_DEP_1) | instskip(NEXT) | instid1(VALU_DEP_1)
	v_trunc_f32_e32 v38, v38
	v_fmamk_f32 v37, v38, 0xcf800000, v37
	v_cvt_u32_f32_e32 v38, v38
	s_delay_alu instid0(VALU_DEP_2) | instskip(NEXT) | instid1(VALU_DEP_2)
	v_cvt_u32_f32_e32 v37, v37
	v_mul_lo_u32 v39, s0, v38
	s_delay_alu instid0(VALU_DEP_2) | instskip(SKIP_1) | instid1(VALU_DEP_2)
	v_mul_hi_u32 v40, s0, v37
	v_mul_lo_u32 v41, s5, v37
	v_add_nc_u32_e32 v39, v40, v39
	v_mul_lo_u32 v40, s0, v37
	s_delay_alu instid0(VALU_DEP_2) | instskip(NEXT) | instid1(VALU_DEP_2)
	v_add_nc_u32_e32 v39, v39, v41
	v_mul_hi_u32 v41, v37, v40
	s_delay_alu instid0(VALU_DEP_2)
	v_mul_lo_u32 v42, v37, v39
	v_mul_hi_u32 v43, v37, v39
	v_mul_hi_u32 v44, v38, v40
	v_mul_lo_u32 v40, v38, v40
	v_mul_hi_u32 v45, v38, v39
	v_mul_lo_u32 v39, v38, v39
	v_add_co_u32 v41, vcc_lo, v41, v42
	v_add_co_ci_u32_e32 v42, vcc_lo, 0, v43, vcc_lo
	s_delay_alu instid0(VALU_DEP_2) | instskip(NEXT) | instid1(VALU_DEP_2)
	v_add_co_u32 v40, vcc_lo, v41, v40
	v_add_co_ci_u32_e32 v40, vcc_lo, v42, v44, vcc_lo
	v_add_co_ci_u32_e32 v41, vcc_lo, 0, v45, vcc_lo
	v_ashrrev_i32_e32 v44, 31, v73
	s_delay_alu instid0(VALU_DEP_3) | instskip(NEXT) | instid1(VALU_DEP_3)
	v_add_co_u32 v39, vcc_lo, v40, v39
	v_add_co_ci_u32_e32 v40, vcc_lo, 0, v41, vcc_lo
	s_delay_alu instid0(VALU_DEP_2) | instskip(NEXT) | instid1(VALU_DEP_2)
	v_add_co_u32 v37, vcc_lo, v37, v39
	v_add_co_ci_u32_e32 v38, vcc_lo, v38, v40, vcc_lo
	s_delay_alu instid0(VALU_DEP_2) | instskip(SKIP_1) | instid1(VALU_DEP_3)
	v_mul_hi_u32 v39, s0, v37
	v_mul_lo_u32 v41, s5, v37
	v_mul_lo_u32 v40, s0, v38
	s_delay_alu instid0(VALU_DEP_1) | instskip(SKIP_1) | instid1(VALU_DEP_2)
	v_add_nc_u32_e32 v39, v39, v40
	v_mul_lo_u32 v40, s0, v37
	v_add_nc_u32_e32 v39, v39, v41
	s_delay_alu instid0(VALU_DEP_2) | instskip(NEXT) | instid1(VALU_DEP_2)
	v_mul_hi_u32 v41, v37, v40
	v_mul_lo_u32 v42, v37, v39
	v_mul_hi_u32 v43, v37, v39
	v_mul_hi_u32 v45, v38, v40
	v_mul_lo_u32 v40, v38, v40
	v_mul_hi_u32 v46, v38, v39
	v_mul_lo_u32 v39, v38, v39
	v_add_co_u32 v41, vcc_lo, v41, v42
	v_add_co_ci_u32_e32 v42, vcc_lo, 0, v43, vcc_lo
	s_delay_alu instid0(VALU_DEP_2) | instskip(NEXT) | instid1(VALU_DEP_2)
	v_add_co_u32 v40, vcc_lo, v41, v40
	v_add_co_ci_u32_e32 v40, vcc_lo, v42, v45, vcc_lo
	v_add_co_ci_u32_e32 v41, vcc_lo, 0, v46, vcc_lo
	v_add_co_u32 v42, vcc_lo, v72, v44
	v_add_co_ci_u32_e32 v43, vcc_lo, v73, v44, vcc_lo
	s_delay_alu instid0(VALU_DEP_4) | instskip(NEXT) | instid1(VALU_DEP_4)
	v_add_co_u32 v39, vcc_lo, v40, v39
	v_add_co_ci_u32_e32 v40, vcc_lo, 0, v41, vcc_lo
	s_delay_alu instid0(VALU_DEP_4) | instskip(NEXT) | instid1(VALU_DEP_3)
	v_xor_b32_e32 v45, v42, v44
	v_add_co_u32 v41, vcc_lo, v37, v39
	s_delay_alu instid0(VALU_DEP_3) | instskip(SKIP_1) | instid1(VALU_DEP_3)
	v_add_co_ci_u32_e32 v46, vcc_lo, v38, v40, vcc_lo
	v_xor_b32_e32 v43, v43, v44
	v_mul_hi_u32 v47, v45, v41
	s_delay_alu instid0(VALU_DEP_3) | instskip(NEXT) | instid1(VALU_DEP_3)
	v_mad_u64_u32 v[37:38], null, v45, v46, 0
	v_mad_u64_u32 v[39:40], null, v43, v41, 0
	;; [unrolled: 1-line block ×3, first 2 shown]
	s_delay_alu instid0(VALU_DEP_3) | instskip(NEXT) | instid1(VALU_DEP_4)
	v_add_co_u32 v37, vcc_lo, v47, v37
	v_add_co_ci_u32_e32 v38, vcc_lo, 0, v38, vcc_lo
	s_delay_alu instid0(VALU_DEP_2) | instskip(NEXT) | instid1(VALU_DEP_2)
	v_add_co_u32 v37, vcc_lo, v37, v39
	v_add_co_ci_u32_e32 v37, vcc_lo, v38, v40, vcc_lo
	v_add_co_ci_u32_e32 v38, vcc_lo, 0, v42, vcc_lo
	s_delay_alu instid0(VALU_DEP_2) | instskip(NEXT) | instid1(VALU_DEP_2)
	v_add_co_u32 v39, vcc_lo, v37, v41
	v_add_co_ci_u32_e32 v40, vcc_lo, 0, v38, vcc_lo
	s_delay_alu instid0(VALU_DEP_2) | instskip(SKIP_1) | instid1(VALU_DEP_3)
	v_mul_lo_u32 v41, s7, v39
	v_mad_u64_u32 v[37:38], null, s6, v39, 0
	v_mul_lo_u32 v42, s6, v40
	s_delay_alu instid0(VALU_DEP_2) | instskip(NEXT) | instid1(VALU_DEP_2)
	v_sub_co_u32 v37, vcc_lo, v45, v37
	v_add3_u32 v38, v38, v42, v41
	s_delay_alu instid0(VALU_DEP_1) | instskip(NEXT) | instid1(VALU_DEP_1)
	v_sub_nc_u32_e32 v41, v43, v38
	v_subrev_co_ci_u32_e64 v41, s0, s7, v41, vcc_lo
	v_add_co_u32 v42, s0, v39, 2
	s_delay_alu instid0(VALU_DEP_1) | instskip(SKIP_3) | instid1(VALU_DEP_3)
	v_add_co_ci_u32_e64 v45, s0, 0, v40, s0
	v_sub_co_u32 v46, s0, v37, s6
	v_sub_co_ci_u32_e32 v38, vcc_lo, v43, v38, vcc_lo
	v_subrev_co_ci_u32_e64 v41, s0, 0, v41, s0
	v_cmp_le_u32_e32 vcc_lo, s6, v46
	s_delay_alu instid0(VALU_DEP_3) | instskip(SKIP_1) | instid1(VALU_DEP_4)
	v_cmp_eq_u32_e64 s0, s7, v38
	v_cndmask_b32_e64 v43, 0, -1, vcc_lo
	v_cmp_le_u32_e32 vcc_lo, s7, v41
	v_cndmask_b32_e64 v46, 0, -1, vcc_lo
	v_cmp_le_u32_e32 vcc_lo, s6, v37
	;; [unrolled: 2-line block ×3, first 2 shown]
	v_cndmask_b32_e64 v47, 0, -1, vcc_lo
	v_cmp_eq_u32_e32 vcc_lo, s7, v41
	s_delay_alu instid0(VALU_DEP_2) | instskip(SKIP_3) | instid1(VALU_DEP_3)
	v_cndmask_b32_e64 v37, v47, v37, s0
	v_cndmask_b32_e32 v41, v46, v43, vcc_lo
	v_add_co_u32 v43, vcc_lo, v39, 1
	v_add_co_ci_u32_e32 v46, vcc_lo, 0, v40, vcc_lo
	v_cmp_ne_u32_e32 vcc_lo, 0, v41
	s_delay_alu instid0(VALU_DEP_2) | instskip(SKIP_2) | instid1(VALU_DEP_3)
	v_dual_cndmask_b32 v38, v46, v45 :: v_dual_cndmask_b32 v41, v43, v42
	v_cmp_ne_u32_e32 vcc_lo, 0, v37
	v_xor_b32_e32 v42, s4, v44
	v_dual_cndmask_b32 v37, v40, v38 :: v_dual_cndmask_b32 v38, v39, v41
	s_delay_alu instid0(VALU_DEP_1) | instskip(NEXT) | instid1(VALU_DEP_2)
	v_xor_b32_e32 v39, v37, v42
	v_xor_b32_e32 v38, v38, v42
	s_delay_alu instid0(VALU_DEP_1) | instskip(NEXT) | instid1(VALU_DEP_3)
	v_sub_co_u32 v37, vcc_lo, v38, v42
	v_sub_co_ci_u32_e32 v38, vcc_lo, v39, v42, vcc_lo
.LBB1169_83:
	s_and_not1_saveexec_b32 s0, s1
	s_cbranch_execz .LBB1169_85
; %bb.84:
	v_rcp_iflag_f32_e32 v37, v69
	s_sub_i32 s1, 0, s44
	s_waitcnt_depctr 0xfff
	v_mul_f32_e32 v37, 0x4f7ffffe, v37
	s_delay_alu instid0(VALU_DEP_1) | instskip(NEXT) | instid1(VALU_DEP_1)
	v_cvt_u32_f32_e32 v37, v37
	v_mul_lo_u32 v38, s1, v37
	s_delay_alu instid0(VALU_DEP_1) | instskip(NEXT) | instid1(VALU_DEP_1)
	v_mul_hi_u32 v38, v37, v38
	v_add_nc_u32_e32 v37, v37, v38
	s_delay_alu instid0(VALU_DEP_1) | instskip(NEXT) | instid1(VALU_DEP_1)
	v_mul_hi_u32 v37, v72, v37
	v_mul_lo_u32 v38, v37, s44
	v_add_nc_u32_e32 v39, 1, v37
	s_delay_alu instid0(VALU_DEP_2) | instskip(NEXT) | instid1(VALU_DEP_1)
	v_sub_nc_u32_e32 v38, v72, v38
	v_subrev_nc_u32_e32 v40, s44, v38
	v_cmp_le_u32_e32 vcc_lo, s44, v38
	s_delay_alu instid0(VALU_DEP_2) | instskip(NEXT) | instid1(VALU_DEP_1)
	v_dual_cndmask_b32 v38, v38, v40 :: v_dual_cndmask_b32 v37, v37, v39
	v_cmp_le_u32_e32 vcc_lo, s44, v38
	s_delay_alu instid0(VALU_DEP_2) | instskip(NEXT) | instid1(VALU_DEP_1)
	v_dual_mov_b32 v38, 0 :: v_dual_add_nc_u32 v39, 1, v37
	v_cndmask_b32_e32 v37, v37, v39, vcc_lo
.LBB1169_85:
	s_or_b32 exec_lo, exec_lo, s0
	v_add_co_u32 v74, vcc_lo, 0x500, v63
	v_add_co_ci_u32_e32 v75, vcc_lo, 0, v64, vcc_lo
	v_mov_b32_e32 v39, 0
	s_delay_alu instid0(VALU_DEP_2) | instskip(NEXT) | instid1(VALU_DEP_1)
	v_or_b32_e32 v40, s45, v75
	v_cmp_ne_u64_e32 vcc_lo, 0, v[39:40]
                                        ; implicit-def: $vgpr39_vgpr40
	s_and_saveexec_b32 s0, vcc_lo
	s_delay_alu instid0(SALU_CYCLE_1)
	s_xor_b32 s1, exec_lo, s0
	s_cbranch_execz .LBB1169_87
; %bb.86:
	s_ashr_i32 s4, s45, 31
	s_delay_alu instid0(SALU_CYCLE_1) | instskip(SKIP_2) | instid1(SALU_CYCLE_1)
	s_add_u32 s6, s44, s4
	s_mov_b32 s5, s4
	s_addc_u32 s7, s45, s4
	s_xor_b64 s[6:7], s[6:7], s[4:5]
	s_delay_alu instid0(SALU_CYCLE_1) | instskip(SKIP_3) | instid1(VALU_DEP_1)
	v_cvt_f32_u32_e32 v39, s6
	v_cvt_f32_u32_e32 v40, s7
	s_sub_u32 s0, 0, s6
	s_subb_u32 s5, 0, s7
	v_fmamk_f32 v39, v40, 0x4f800000, v39
	s_delay_alu instid0(VALU_DEP_1) | instskip(SKIP_2) | instid1(VALU_DEP_1)
	v_rcp_f32_e32 v39, v39
	s_waitcnt_depctr 0xfff
	v_mul_f32_e32 v39, 0x5f7ffffc, v39
	v_mul_f32_e32 v40, 0x2f800000, v39
	s_delay_alu instid0(VALU_DEP_1) | instskip(NEXT) | instid1(VALU_DEP_1)
	v_trunc_f32_e32 v40, v40
	v_fmamk_f32 v39, v40, 0xcf800000, v39
	v_cvt_u32_f32_e32 v40, v40
	s_delay_alu instid0(VALU_DEP_2) | instskip(NEXT) | instid1(VALU_DEP_2)
	v_cvt_u32_f32_e32 v39, v39
	v_mul_lo_u32 v41, s0, v40
	s_delay_alu instid0(VALU_DEP_2) | instskip(SKIP_1) | instid1(VALU_DEP_2)
	v_mul_hi_u32 v42, s0, v39
	v_mul_lo_u32 v43, s5, v39
	v_add_nc_u32_e32 v41, v42, v41
	v_mul_lo_u32 v42, s0, v39
	s_delay_alu instid0(VALU_DEP_2) | instskip(NEXT) | instid1(VALU_DEP_2)
	v_add_nc_u32_e32 v41, v41, v43
	v_mul_hi_u32 v43, v39, v42
	s_delay_alu instid0(VALU_DEP_2)
	v_mul_lo_u32 v44, v39, v41
	v_mul_hi_u32 v45, v39, v41
	v_mul_hi_u32 v46, v40, v42
	v_mul_lo_u32 v42, v40, v42
	v_mul_hi_u32 v47, v40, v41
	v_mul_lo_u32 v41, v40, v41
	v_add_co_u32 v43, vcc_lo, v43, v44
	v_add_co_ci_u32_e32 v44, vcc_lo, 0, v45, vcc_lo
	s_delay_alu instid0(VALU_DEP_2) | instskip(NEXT) | instid1(VALU_DEP_2)
	v_add_co_u32 v42, vcc_lo, v43, v42
	v_add_co_ci_u32_e32 v42, vcc_lo, v44, v46, vcc_lo
	v_add_co_ci_u32_e32 v43, vcc_lo, 0, v47, vcc_lo
	v_ashrrev_i32_e32 v46, 31, v75
	s_delay_alu instid0(VALU_DEP_3) | instskip(NEXT) | instid1(VALU_DEP_3)
	v_add_co_u32 v41, vcc_lo, v42, v41
	v_add_co_ci_u32_e32 v42, vcc_lo, 0, v43, vcc_lo
	s_delay_alu instid0(VALU_DEP_2) | instskip(NEXT) | instid1(VALU_DEP_2)
	v_add_co_u32 v39, vcc_lo, v39, v41
	v_add_co_ci_u32_e32 v40, vcc_lo, v40, v42, vcc_lo
	s_delay_alu instid0(VALU_DEP_2) | instskip(SKIP_1) | instid1(VALU_DEP_3)
	v_mul_hi_u32 v41, s0, v39
	v_mul_lo_u32 v43, s5, v39
	v_mul_lo_u32 v42, s0, v40
	s_delay_alu instid0(VALU_DEP_1) | instskip(SKIP_1) | instid1(VALU_DEP_2)
	v_add_nc_u32_e32 v41, v41, v42
	v_mul_lo_u32 v42, s0, v39
	v_add_nc_u32_e32 v41, v41, v43
	s_delay_alu instid0(VALU_DEP_2) | instskip(NEXT) | instid1(VALU_DEP_2)
	v_mul_hi_u32 v43, v39, v42
	v_mul_lo_u32 v44, v39, v41
	v_mul_hi_u32 v45, v39, v41
	v_mul_hi_u32 v47, v40, v42
	v_mul_lo_u32 v42, v40, v42
	v_mul_hi_u32 v48, v40, v41
	v_mul_lo_u32 v41, v40, v41
	v_add_co_u32 v43, vcc_lo, v43, v44
	v_add_co_ci_u32_e32 v44, vcc_lo, 0, v45, vcc_lo
	s_delay_alu instid0(VALU_DEP_2) | instskip(NEXT) | instid1(VALU_DEP_2)
	v_add_co_u32 v42, vcc_lo, v43, v42
	v_add_co_ci_u32_e32 v42, vcc_lo, v44, v47, vcc_lo
	v_add_co_ci_u32_e32 v43, vcc_lo, 0, v48, vcc_lo
	v_add_co_u32 v44, vcc_lo, v74, v46
	v_add_co_ci_u32_e32 v45, vcc_lo, v75, v46, vcc_lo
	s_delay_alu instid0(VALU_DEP_4) | instskip(NEXT) | instid1(VALU_DEP_4)
	v_add_co_u32 v41, vcc_lo, v42, v41
	v_add_co_ci_u32_e32 v42, vcc_lo, 0, v43, vcc_lo
	s_delay_alu instid0(VALU_DEP_4) | instskip(NEXT) | instid1(VALU_DEP_3)
	v_xor_b32_e32 v47, v44, v46
	v_add_co_u32 v43, vcc_lo, v39, v41
	s_delay_alu instid0(VALU_DEP_3) | instskip(SKIP_1) | instid1(VALU_DEP_3)
	v_add_co_ci_u32_e32 v48, vcc_lo, v40, v42, vcc_lo
	v_xor_b32_e32 v45, v45, v46
	v_mul_hi_u32 v49, v47, v43
	s_delay_alu instid0(VALU_DEP_3) | instskip(NEXT) | instid1(VALU_DEP_3)
	v_mad_u64_u32 v[39:40], null, v47, v48, 0
	v_mad_u64_u32 v[41:42], null, v45, v43, 0
	;; [unrolled: 1-line block ×3, first 2 shown]
	s_delay_alu instid0(VALU_DEP_3) | instskip(NEXT) | instid1(VALU_DEP_4)
	v_add_co_u32 v39, vcc_lo, v49, v39
	v_add_co_ci_u32_e32 v40, vcc_lo, 0, v40, vcc_lo
	s_delay_alu instid0(VALU_DEP_2) | instskip(NEXT) | instid1(VALU_DEP_2)
	v_add_co_u32 v39, vcc_lo, v39, v41
	v_add_co_ci_u32_e32 v39, vcc_lo, v40, v42, vcc_lo
	v_add_co_ci_u32_e32 v40, vcc_lo, 0, v44, vcc_lo
	s_delay_alu instid0(VALU_DEP_2) | instskip(NEXT) | instid1(VALU_DEP_2)
	v_add_co_u32 v41, vcc_lo, v39, v43
	v_add_co_ci_u32_e32 v42, vcc_lo, 0, v40, vcc_lo
	s_delay_alu instid0(VALU_DEP_2) | instskip(SKIP_1) | instid1(VALU_DEP_3)
	v_mul_lo_u32 v43, s7, v41
	v_mad_u64_u32 v[39:40], null, s6, v41, 0
	v_mul_lo_u32 v44, s6, v42
	s_delay_alu instid0(VALU_DEP_2) | instskip(NEXT) | instid1(VALU_DEP_2)
	v_sub_co_u32 v39, vcc_lo, v47, v39
	v_add3_u32 v40, v40, v44, v43
	s_delay_alu instid0(VALU_DEP_1) | instskip(NEXT) | instid1(VALU_DEP_1)
	v_sub_nc_u32_e32 v43, v45, v40
	v_subrev_co_ci_u32_e64 v43, s0, s7, v43, vcc_lo
	v_add_co_u32 v44, s0, v41, 2
	s_delay_alu instid0(VALU_DEP_1) | instskip(SKIP_3) | instid1(VALU_DEP_3)
	v_add_co_ci_u32_e64 v47, s0, 0, v42, s0
	v_sub_co_u32 v48, s0, v39, s6
	v_sub_co_ci_u32_e32 v40, vcc_lo, v45, v40, vcc_lo
	v_subrev_co_ci_u32_e64 v43, s0, 0, v43, s0
	v_cmp_le_u32_e32 vcc_lo, s6, v48
	s_delay_alu instid0(VALU_DEP_3) | instskip(SKIP_1) | instid1(VALU_DEP_4)
	v_cmp_eq_u32_e64 s0, s7, v40
	v_cndmask_b32_e64 v45, 0, -1, vcc_lo
	v_cmp_le_u32_e32 vcc_lo, s7, v43
	v_cndmask_b32_e64 v48, 0, -1, vcc_lo
	v_cmp_le_u32_e32 vcc_lo, s6, v39
	;; [unrolled: 2-line block ×3, first 2 shown]
	v_cndmask_b32_e64 v49, 0, -1, vcc_lo
	v_cmp_eq_u32_e32 vcc_lo, s7, v43
	s_delay_alu instid0(VALU_DEP_2) | instskip(SKIP_3) | instid1(VALU_DEP_3)
	v_cndmask_b32_e64 v39, v49, v39, s0
	v_cndmask_b32_e32 v43, v48, v45, vcc_lo
	v_add_co_u32 v45, vcc_lo, v41, 1
	v_add_co_ci_u32_e32 v48, vcc_lo, 0, v42, vcc_lo
	v_cmp_ne_u32_e32 vcc_lo, 0, v43
	s_delay_alu instid0(VALU_DEP_2) | instskip(SKIP_2) | instid1(VALU_DEP_3)
	v_dual_cndmask_b32 v40, v48, v47 :: v_dual_cndmask_b32 v43, v45, v44
	v_cmp_ne_u32_e32 vcc_lo, 0, v39
	v_xor_b32_e32 v44, s4, v46
	v_dual_cndmask_b32 v39, v42, v40 :: v_dual_cndmask_b32 v40, v41, v43
	s_delay_alu instid0(VALU_DEP_1) | instskip(NEXT) | instid1(VALU_DEP_2)
	v_xor_b32_e32 v41, v39, v44
	v_xor_b32_e32 v40, v40, v44
	s_delay_alu instid0(VALU_DEP_1) | instskip(NEXT) | instid1(VALU_DEP_3)
	v_sub_co_u32 v39, vcc_lo, v40, v44
	v_sub_co_ci_u32_e32 v40, vcc_lo, v41, v44, vcc_lo
.LBB1169_87:
	s_and_not1_saveexec_b32 s0, s1
	s_cbranch_execz .LBB1169_89
; %bb.88:
	v_rcp_iflag_f32_e32 v39, v69
	s_sub_i32 s1, 0, s44
	s_waitcnt_depctr 0xfff
	v_mul_f32_e32 v39, 0x4f7ffffe, v39
	s_delay_alu instid0(VALU_DEP_1) | instskip(NEXT) | instid1(VALU_DEP_1)
	v_cvt_u32_f32_e32 v39, v39
	v_mul_lo_u32 v40, s1, v39
	s_delay_alu instid0(VALU_DEP_1) | instskip(NEXT) | instid1(VALU_DEP_1)
	v_mul_hi_u32 v40, v39, v40
	v_add_nc_u32_e32 v39, v39, v40
	s_delay_alu instid0(VALU_DEP_1) | instskip(NEXT) | instid1(VALU_DEP_1)
	v_mul_hi_u32 v39, v74, v39
	v_mul_lo_u32 v40, v39, s44
	v_add_nc_u32_e32 v41, 1, v39
	s_delay_alu instid0(VALU_DEP_2) | instskip(NEXT) | instid1(VALU_DEP_1)
	v_sub_nc_u32_e32 v40, v74, v40
	v_subrev_nc_u32_e32 v42, s44, v40
	v_cmp_le_u32_e32 vcc_lo, s44, v40
	s_delay_alu instid0(VALU_DEP_2) | instskip(NEXT) | instid1(VALU_DEP_1)
	v_dual_cndmask_b32 v40, v40, v42 :: v_dual_cndmask_b32 v39, v39, v41
	v_cmp_le_u32_e32 vcc_lo, s44, v40
	s_delay_alu instid0(VALU_DEP_2) | instskip(NEXT) | instid1(VALU_DEP_1)
	v_dual_mov_b32 v40, 0 :: v_dual_add_nc_u32 v41, 1, v39
	v_cndmask_b32_e32 v39, v39, v41, vcc_lo
.LBB1169_89:
	s_or_b32 exec_lo, exec_lo, s0
	v_add_co_u32 v76, vcc_lo, 0x600, v63
	v_add_co_ci_u32_e32 v77, vcc_lo, 0, v64, vcc_lo
	v_mov_b32_e32 v41, 0
	s_delay_alu instid0(VALU_DEP_2) | instskip(NEXT) | instid1(VALU_DEP_1)
	v_or_b32_e32 v42, s45, v77
	v_cmp_ne_u64_e32 vcc_lo, 0, v[41:42]
                                        ; implicit-def: $vgpr41_vgpr42
	s_and_saveexec_b32 s0, vcc_lo
	s_delay_alu instid0(SALU_CYCLE_1)
	s_xor_b32 s1, exec_lo, s0
	s_cbranch_execz .LBB1169_91
; %bb.90:
	s_ashr_i32 s4, s45, 31
	s_delay_alu instid0(SALU_CYCLE_1) | instskip(SKIP_2) | instid1(SALU_CYCLE_1)
	s_add_u32 s6, s44, s4
	s_mov_b32 s5, s4
	s_addc_u32 s7, s45, s4
	s_xor_b64 s[6:7], s[6:7], s[4:5]
	s_delay_alu instid0(SALU_CYCLE_1) | instskip(SKIP_3) | instid1(VALU_DEP_1)
	v_cvt_f32_u32_e32 v41, s6
	v_cvt_f32_u32_e32 v42, s7
	s_sub_u32 s0, 0, s6
	s_subb_u32 s5, 0, s7
	v_fmamk_f32 v41, v42, 0x4f800000, v41
	s_delay_alu instid0(VALU_DEP_1) | instskip(SKIP_2) | instid1(VALU_DEP_1)
	v_rcp_f32_e32 v41, v41
	s_waitcnt_depctr 0xfff
	v_mul_f32_e32 v41, 0x5f7ffffc, v41
	v_mul_f32_e32 v42, 0x2f800000, v41
	s_delay_alu instid0(VALU_DEP_1) | instskip(NEXT) | instid1(VALU_DEP_1)
	v_trunc_f32_e32 v42, v42
	v_fmamk_f32 v41, v42, 0xcf800000, v41
	v_cvt_u32_f32_e32 v42, v42
	s_delay_alu instid0(VALU_DEP_2) | instskip(NEXT) | instid1(VALU_DEP_2)
	v_cvt_u32_f32_e32 v41, v41
	v_mul_lo_u32 v43, s0, v42
	s_delay_alu instid0(VALU_DEP_2) | instskip(SKIP_1) | instid1(VALU_DEP_2)
	v_mul_hi_u32 v44, s0, v41
	v_mul_lo_u32 v45, s5, v41
	v_add_nc_u32_e32 v43, v44, v43
	v_mul_lo_u32 v44, s0, v41
	s_delay_alu instid0(VALU_DEP_2) | instskip(NEXT) | instid1(VALU_DEP_2)
	v_add_nc_u32_e32 v43, v43, v45
	v_mul_hi_u32 v45, v41, v44
	s_delay_alu instid0(VALU_DEP_2)
	v_mul_lo_u32 v46, v41, v43
	v_mul_hi_u32 v47, v41, v43
	v_mul_hi_u32 v48, v42, v44
	v_mul_lo_u32 v44, v42, v44
	v_mul_hi_u32 v49, v42, v43
	v_mul_lo_u32 v43, v42, v43
	v_add_co_u32 v45, vcc_lo, v45, v46
	v_add_co_ci_u32_e32 v46, vcc_lo, 0, v47, vcc_lo
	s_delay_alu instid0(VALU_DEP_2) | instskip(NEXT) | instid1(VALU_DEP_2)
	v_add_co_u32 v44, vcc_lo, v45, v44
	v_add_co_ci_u32_e32 v44, vcc_lo, v46, v48, vcc_lo
	v_add_co_ci_u32_e32 v45, vcc_lo, 0, v49, vcc_lo
	v_ashrrev_i32_e32 v48, 31, v77
	s_delay_alu instid0(VALU_DEP_3) | instskip(NEXT) | instid1(VALU_DEP_3)
	v_add_co_u32 v43, vcc_lo, v44, v43
	v_add_co_ci_u32_e32 v44, vcc_lo, 0, v45, vcc_lo
	s_delay_alu instid0(VALU_DEP_2) | instskip(NEXT) | instid1(VALU_DEP_2)
	v_add_co_u32 v41, vcc_lo, v41, v43
	v_add_co_ci_u32_e32 v42, vcc_lo, v42, v44, vcc_lo
	s_delay_alu instid0(VALU_DEP_2) | instskip(SKIP_1) | instid1(VALU_DEP_3)
	v_mul_hi_u32 v43, s0, v41
	v_mul_lo_u32 v45, s5, v41
	v_mul_lo_u32 v44, s0, v42
	s_delay_alu instid0(VALU_DEP_1) | instskip(SKIP_1) | instid1(VALU_DEP_2)
	v_add_nc_u32_e32 v43, v43, v44
	v_mul_lo_u32 v44, s0, v41
	v_add_nc_u32_e32 v43, v43, v45
	s_delay_alu instid0(VALU_DEP_2) | instskip(NEXT) | instid1(VALU_DEP_2)
	v_mul_hi_u32 v45, v41, v44
	v_mul_lo_u32 v46, v41, v43
	v_mul_hi_u32 v47, v41, v43
	v_mul_hi_u32 v49, v42, v44
	v_mul_lo_u32 v44, v42, v44
	v_mul_hi_u32 v50, v42, v43
	v_mul_lo_u32 v43, v42, v43
	v_add_co_u32 v45, vcc_lo, v45, v46
	v_add_co_ci_u32_e32 v46, vcc_lo, 0, v47, vcc_lo
	s_delay_alu instid0(VALU_DEP_2) | instskip(NEXT) | instid1(VALU_DEP_2)
	v_add_co_u32 v44, vcc_lo, v45, v44
	v_add_co_ci_u32_e32 v44, vcc_lo, v46, v49, vcc_lo
	v_add_co_ci_u32_e32 v45, vcc_lo, 0, v50, vcc_lo
	v_add_co_u32 v46, vcc_lo, v76, v48
	v_add_co_ci_u32_e32 v47, vcc_lo, v77, v48, vcc_lo
	s_delay_alu instid0(VALU_DEP_4) | instskip(NEXT) | instid1(VALU_DEP_4)
	v_add_co_u32 v43, vcc_lo, v44, v43
	v_add_co_ci_u32_e32 v44, vcc_lo, 0, v45, vcc_lo
	s_delay_alu instid0(VALU_DEP_4) | instskip(NEXT) | instid1(VALU_DEP_3)
	v_xor_b32_e32 v49, v46, v48
	v_add_co_u32 v45, vcc_lo, v41, v43
	s_delay_alu instid0(VALU_DEP_3) | instskip(SKIP_1) | instid1(VALU_DEP_3)
	v_add_co_ci_u32_e32 v50, vcc_lo, v42, v44, vcc_lo
	v_xor_b32_e32 v47, v47, v48
	v_mul_hi_u32 v51, v49, v45
	s_delay_alu instid0(VALU_DEP_3) | instskip(NEXT) | instid1(VALU_DEP_3)
	v_mad_u64_u32 v[41:42], null, v49, v50, 0
	v_mad_u64_u32 v[43:44], null, v47, v45, 0
	;; [unrolled: 1-line block ×3, first 2 shown]
	s_delay_alu instid0(VALU_DEP_3) | instskip(NEXT) | instid1(VALU_DEP_4)
	v_add_co_u32 v41, vcc_lo, v51, v41
	v_add_co_ci_u32_e32 v42, vcc_lo, 0, v42, vcc_lo
	s_delay_alu instid0(VALU_DEP_2) | instskip(NEXT) | instid1(VALU_DEP_2)
	v_add_co_u32 v41, vcc_lo, v41, v43
	v_add_co_ci_u32_e32 v41, vcc_lo, v42, v44, vcc_lo
	v_add_co_ci_u32_e32 v42, vcc_lo, 0, v46, vcc_lo
	s_delay_alu instid0(VALU_DEP_2) | instskip(NEXT) | instid1(VALU_DEP_2)
	v_add_co_u32 v43, vcc_lo, v41, v45
	v_add_co_ci_u32_e32 v44, vcc_lo, 0, v42, vcc_lo
	s_delay_alu instid0(VALU_DEP_2) | instskip(SKIP_1) | instid1(VALU_DEP_3)
	v_mul_lo_u32 v45, s7, v43
	v_mad_u64_u32 v[41:42], null, s6, v43, 0
	v_mul_lo_u32 v46, s6, v44
	s_delay_alu instid0(VALU_DEP_2) | instskip(NEXT) | instid1(VALU_DEP_2)
	v_sub_co_u32 v41, vcc_lo, v49, v41
	v_add3_u32 v42, v42, v46, v45
	s_delay_alu instid0(VALU_DEP_1) | instskip(NEXT) | instid1(VALU_DEP_1)
	v_sub_nc_u32_e32 v45, v47, v42
	v_subrev_co_ci_u32_e64 v45, s0, s7, v45, vcc_lo
	v_add_co_u32 v46, s0, v43, 2
	s_delay_alu instid0(VALU_DEP_1) | instskip(SKIP_3) | instid1(VALU_DEP_3)
	v_add_co_ci_u32_e64 v49, s0, 0, v44, s0
	v_sub_co_u32 v50, s0, v41, s6
	v_sub_co_ci_u32_e32 v42, vcc_lo, v47, v42, vcc_lo
	v_subrev_co_ci_u32_e64 v45, s0, 0, v45, s0
	v_cmp_le_u32_e32 vcc_lo, s6, v50
	s_delay_alu instid0(VALU_DEP_3) | instskip(SKIP_1) | instid1(VALU_DEP_4)
	v_cmp_eq_u32_e64 s0, s7, v42
	v_cndmask_b32_e64 v47, 0, -1, vcc_lo
	v_cmp_le_u32_e32 vcc_lo, s7, v45
	v_cndmask_b32_e64 v50, 0, -1, vcc_lo
	v_cmp_le_u32_e32 vcc_lo, s6, v41
	;; [unrolled: 2-line block ×3, first 2 shown]
	v_cndmask_b32_e64 v51, 0, -1, vcc_lo
	v_cmp_eq_u32_e32 vcc_lo, s7, v45
	s_delay_alu instid0(VALU_DEP_2) | instskip(SKIP_3) | instid1(VALU_DEP_3)
	v_cndmask_b32_e64 v41, v51, v41, s0
	v_cndmask_b32_e32 v45, v50, v47, vcc_lo
	v_add_co_u32 v47, vcc_lo, v43, 1
	v_add_co_ci_u32_e32 v50, vcc_lo, 0, v44, vcc_lo
	v_cmp_ne_u32_e32 vcc_lo, 0, v45
	s_delay_alu instid0(VALU_DEP_2) | instskip(SKIP_2) | instid1(VALU_DEP_3)
	v_dual_cndmask_b32 v42, v50, v49 :: v_dual_cndmask_b32 v45, v47, v46
	v_cmp_ne_u32_e32 vcc_lo, 0, v41
	v_xor_b32_e32 v46, s4, v48
	v_dual_cndmask_b32 v41, v44, v42 :: v_dual_cndmask_b32 v42, v43, v45
	s_delay_alu instid0(VALU_DEP_1) | instskip(NEXT) | instid1(VALU_DEP_2)
	v_xor_b32_e32 v43, v41, v46
	v_xor_b32_e32 v42, v42, v46
	s_delay_alu instid0(VALU_DEP_1) | instskip(NEXT) | instid1(VALU_DEP_3)
	v_sub_co_u32 v41, vcc_lo, v42, v46
	v_sub_co_ci_u32_e32 v42, vcc_lo, v43, v46, vcc_lo
.LBB1169_91:
	s_and_not1_saveexec_b32 s0, s1
	s_cbranch_execz .LBB1169_93
; %bb.92:
	v_rcp_iflag_f32_e32 v41, v69
	s_sub_i32 s1, 0, s44
	s_waitcnt_depctr 0xfff
	v_mul_f32_e32 v41, 0x4f7ffffe, v41
	s_delay_alu instid0(VALU_DEP_1) | instskip(NEXT) | instid1(VALU_DEP_1)
	v_cvt_u32_f32_e32 v41, v41
	v_mul_lo_u32 v42, s1, v41
	s_delay_alu instid0(VALU_DEP_1) | instskip(NEXT) | instid1(VALU_DEP_1)
	v_mul_hi_u32 v42, v41, v42
	v_add_nc_u32_e32 v41, v41, v42
	s_delay_alu instid0(VALU_DEP_1) | instskip(NEXT) | instid1(VALU_DEP_1)
	v_mul_hi_u32 v41, v76, v41
	v_mul_lo_u32 v42, v41, s44
	v_add_nc_u32_e32 v43, 1, v41
	s_delay_alu instid0(VALU_DEP_2) | instskip(NEXT) | instid1(VALU_DEP_1)
	v_sub_nc_u32_e32 v42, v76, v42
	v_subrev_nc_u32_e32 v44, s44, v42
	v_cmp_le_u32_e32 vcc_lo, s44, v42
	s_delay_alu instid0(VALU_DEP_2) | instskip(NEXT) | instid1(VALU_DEP_1)
	v_dual_cndmask_b32 v42, v42, v44 :: v_dual_cndmask_b32 v41, v41, v43
	v_cmp_le_u32_e32 vcc_lo, s44, v42
	s_delay_alu instid0(VALU_DEP_2) | instskip(NEXT) | instid1(VALU_DEP_1)
	v_dual_mov_b32 v42, 0 :: v_dual_add_nc_u32 v43, 1, v41
	v_cndmask_b32_e32 v41, v41, v43, vcc_lo
.LBB1169_93:
	s_or_b32 exec_lo, exec_lo, s0
	v_add_co_u32 v78, vcc_lo, 0x700, v63
	v_add_co_ci_u32_e32 v79, vcc_lo, 0, v64, vcc_lo
	v_mov_b32_e32 v43, 0
	s_delay_alu instid0(VALU_DEP_2) | instskip(NEXT) | instid1(VALU_DEP_1)
	v_or_b32_e32 v44, s45, v79
	v_cmp_ne_u64_e32 vcc_lo, 0, v[43:44]
                                        ; implicit-def: $vgpr43_vgpr44
	s_and_saveexec_b32 s0, vcc_lo
	s_delay_alu instid0(SALU_CYCLE_1)
	s_xor_b32 s1, exec_lo, s0
	s_cbranch_execz .LBB1169_95
; %bb.94:
	s_ashr_i32 s4, s45, 31
	s_delay_alu instid0(SALU_CYCLE_1) | instskip(SKIP_2) | instid1(SALU_CYCLE_1)
	s_add_u32 s6, s44, s4
	s_mov_b32 s5, s4
	s_addc_u32 s7, s45, s4
	s_xor_b64 s[6:7], s[6:7], s[4:5]
	s_delay_alu instid0(SALU_CYCLE_1) | instskip(SKIP_3) | instid1(VALU_DEP_1)
	v_cvt_f32_u32_e32 v43, s6
	v_cvt_f32_u32_e32 v44, s7
	s_sub_u32 s0, 0, s6
	s_subb_u32 s5, 0, s7
	v_fmamk_f32 v43, v44, 0x4f800000, v43
	s_delay_alu instid0(VALU_DEP_1) | instskip(SKIP_2) | instid1(VALU_DEP_1)
	v_rcp_f32_e32 v43, v43
	s_waitcnt_depctr 0xfff
	v_mul_f32_e32 v43, 0x5f7ffffc, v43
	v_mul_f32_e32 v44, 0x2f800000, v43
	s_delay_alu instid0(VALU_DEP_1) | instskip(NEXT) | instid1(VALU_DEP_1)
	v_trunc_f32_e32 v44, v44
	v_fmamk_f32 v43, v44, 0xcf800000, v43
	v_cvt_u32_f32_e32 v44, v44
	s_delay_alu instid0(VALU_DEP_2) | instskip(NEXT) | instid1(VALU_DEP_2)
	v_cvt_u32_f32_e32 v43, v43
	v_mul_lo_u32 v45, s0, v44
	s_delay_alu instid0(VALU_DEP_2) | instskip(SKIP_1) | instid1(VALU_DEP_2)
	v_mul_hi_u32 v46, s0, v43
	v_mul_lo_u32 v47, s5, v43
	v_add_nc_u32_e32 v45, v46, v45
	v_mul_lo_u32 v46, s0, v43
	s_delay_alu instid0(VALU_DEP_2) | instskip(NEXT) | instid1(VALU_DEP_2)
	v_add_nc_u32_e32 v45, v45, v47
	v_mul_hi_u32 v47, v43, v46
	s_delay_alu instid0(VALU_DEP_2)
	v_mul_lo_u32 v48, v43, v45
	v_mul_hi_u32 v49, v43, v45
	v_mul_hi_u32 v50, v44, v46
	v_mul_lo_u32 v46, v44, v46
	v_mul_hi_u32 v51, v44, v45
	v_mul_lo_u32 v45, v44, v45
	v_add_co_u32 v47, vcc_lo, v47, v48
	v_add_co_ci_u32_e32 v48, vcc_lo, 0, v49, vcc_lo
	s_delay_alu instid0(VALU_DEP_2) | instskip(NEXT) | instid1(VALU_DEP_2)
	v_add_co_u32 v46, vcc_lo, v47, v46
	v_add_co_ci_u32_e32 v46, vcc_lo, v48, v50, vcc_lo
	v_add_co_ci_u32_e32 v47, vcc_lo, 0, v51, vcc_lo
	v_ashrrev_i32_e32 v50, 31, v79
	s_delay_alu instid0(VALU_DEP_3) | instskip(NEXT) | instid1(VALU_DEP_3)
	v_add_co_u32 v45, vcc_lo, v46, v45
	v_add_co_ci_u32_e32 v46, vcc_lo, 0, v47, vcc_lo
	s_delay_alu instid0(VALU_DEP_2) | instskip(NEXT) | instid1(VALU_DEP_2)
	v_add_co_u32 v43, vcc_lo, v43, v45
	v_add_co_ci_u32_e32 v44, vcc_lo, v44, v46, vcc_lo
	s_delay_alu instid0(VALU_DEP_2) | instskip(SKIP_1) | instid1(VALU_DEP_3)
	v_mul_hi_u32 v45, s0, v43
	v_mul_lo_u32 v47, s5, v43
	v_mul_lo_u32 v46, s0, v44
	s_delay_alu instid0(VALU_DEP_1) | instskip(SKIP_1) | instid1(VALU_DEP_2)
	v_add_nc_u32_e32 v45, v45, v46
	v_mul_lo_u32 v46, s0, v43
	v_add_nc_u32_e32 v45, v45, v47
	s_delay_alu instid0(VALU_DEP_2) | instskip(NEXT) | instid1(VALU_DEP_2)
	v_mul_hi_u32 v47, v43, v46
	v_mul_lo_u32 v48, v43, v45
	v_mul_hi_u32 v49, v43, v45
	v_mul_hi_u32 v51, v44, v46
	v_mul_lo_u32 v46, v44, v46
	v_mul_hi_u32 v52, v44, v45
	v_mul_lo_u32 v45, v44, v45
	v_add_co_u32 v47, vcc_lo, v47, v48
	v_add_co_ci_u32_e32 v48, vcc_lo, 0, v49, vcc_lo
	s_delay_alu instid0(VALU_DEP_2) | instskip(NEXT) | instid1(VALU_DEP_2)
	v_add_co_u32 v46, vcc_lo, v47, v46
	v_add_co_ci_u32_e32 v46, vcc_lo, v48, v51, vcc_lo
	v_add_co_ci_u32_e32 v47, vcc_lo, 0, v52, vcc_lo
	v_add_co_u32 v48, vcc_lo, v78, v50
	v_add_co_ci_u32_e32 v49, vcc_lo, v79, v50, vcc_lo
	s_delay_alu instid0(VALU_DEP_4) | instskip(NEXT) | instid1(VALU_DEP_4)
	v_add_co_u32 v45, vcc_lo, v46, v45
	v_add_co_ci_u32_e32 v46, vcc_lo, 0, v47, vcc_lo
	s_delay_alu instid0(VALU_DEP_4) | instskip(NEXT) | instid1(VALU_DEP_3)
	v_xor_b32_e32 v51, v48, v50
	v_add_co_u32 v47, vcc_lo, v43, v45
	s_delay_alu instid0(VALU_DEP_3) | instskip(SKIP_1) | instid1(VALU_DEP_3)
	v_add_co_ci_u32_e32 v52, vcc_lo, v44, v46, vcc_lo
	v_xor_b32_e32 v49, v49, v50
	v_mul_hi_u32 v53, v51, v47
	s_delay_alu instid0(VALU_DEP_3) | instskip(NEXT) | instid1(VALU_DEP_3)
	v_mad_u64_u32 v[43:44], null, v51, v52, 0
	v_mad_u64_u32 v[45:46], null, v49, v47, 0
	;; [unrolled: 1-line block ×3, first 2 shown]
	s_delay_alu instid0(VALU_DEP_3) | instskip(NEXT) | instid1(VALU_DEP_4)
	v_add_co_u32 v43, vcc_lo, v53, v43
	v_add_co_ci_u32_e32 v44, vcc_lo, 0, v44, vcc_lo
	s_delay_alu instid0(VALU_DEP_2) | instskip(NEXT) | instid1(VALU_DEP_2)
	v_add_co_u32 v43, vcc_lo, v43, v45
	v_add_co_ci_u32_e32 v43, vcc_lo, v44, v46, vcc_lo
	v_add_co_ci_u32_e32 v44, vcc_lo, 0, v48, vcc_lo
	s_delay_alu instid0(VALU_DEP_2) | instskip(NEXT) | instid1(VALU_DEP_2)
	v_add_co_u32 v45, vcc_lo, v43, v47
	v_add_co_ci_u32_e32 v46, vcc_lo, 0, v44, vcc_lo
	s_delay_alu instid0(VALU_DEP_2) | instskip(SKIP_1) | instid1(VALU_DEP_3)
	v_mul_lo_u32 v47, s7, v45
	v_mad_u64_u32 v[43:44], null, s6, v45, 0
	v_mul_lo_u32 v48, s6, v46
	s_delay_alu instid0(VALU_DEP_2) | instskip(NEXT) | instid1(VALU_DEP_2)
	v_sub_co_u32 v43, vcc_lo, v51, v43
	v_add3_u32 v44, v44, v48, v47
	s_delay_alu instid0(VALU_DEP_1) | instskip(NEXT) | instid1(VALU_DEP_1)
	v_sub_nc_u32_e32 v47, v49, v44
	v_subrev_co_ci_u32_e64 v47, s0, s7, v47, vcc_lo
	v_add_co_u32 v48, s0, v45, 2
	s_delay_alu instid0(VALU_DEP_1) | instskip(SKIP_3) | instid1(VALU_DEP_3)
	v_add_co_ci_u32_e64 v51, s0, 0, v46, s0
	v_sub_co_u32 v52, s0, v43, s6
	v_sub_co_ci_u32_e32 v44, vcc_lo, v49, v44, vcc_lo
	v_subrev_co_ci_u32_e64 v47, s0, 0, v47, s0
	v_cmp_le_u32_e32 vcc_lo, s6, v52
	s_delay_alu instid0(VALU_DEP_3) | instskip(SKIP_1) | instid1(VALU_DEP_4)
	v_cmp_eq_u32_e64 s0, s7, v44
	v_cndmask_b32_e64 v49, 0, -1, vcc_lo
	v_cmp_le_u32_e32 vcc_lo, s7, v47
	v_cndmask_b32_e64 v52, 0, -1, vcc_lo
	v_cmp_le_u32_e32 vcc_lo, s6, v43
	;; [unrolled: 2-line block ×3, first 2 shown]
	v_cndmask_b32_e64 v53, 0, -1, vcc_lo
	v_cmp_eq_u32_e32 vcc_lo, s7, v47
	s_delay_alu instid0(VALU_DEP_2) | instskip(SKIP_3) | instid1(VALU_DEP_3)
	v_cndmask_b32_e64 v43, v53, v43, s0
	v_cndmask_b32_e32 v47, v52, v49, vcc_lo
	v_add_co_u32 v49, vcc_lo, v45, 1
	v_add_co_ci_u32_e32 v52, vcc_lo, 0, v46, vcc_lo
	v_cmp_ne_u32_e32 vcc_lo, 0, v47
	s_delay_alu instid0(VALU_DEP_2) | instskip(SKIP_2) | instid1(VALU_DEP_3)
	v_dual_cndmask_b32 v44, v52, v51 :: v_dual_cndmask_b32 v47, v49, v48
	v_cmp_ne_u32_e32 vcc_lo, 0, v43
	v_xor_b32_e32 v48, s4, v50
	v_dual_cndmask_b32 v43, v46, v44 :: v_dual_cndmask_b32 v44, v45, v47
	s_delay_alu instid0(VALU_DEP_1) | instskip(NEXT) | instid1(VALU_DEP_2)
	v_xor_b32_e32 v45, v43, v48
	v_xor_b32_e32 v44, v44, v48
	s_delay_alu instid0(VALU_DEP_1) | instskip(NEXT) | instid1(VALU_DEP_3)
	v_sub_co_u32 v43, vcc_lo, v44, v48
	v_sub_co_ci_u32_e32 v44, vcc_lo, v45, v48, vcc_lo
.LBB1169_95:
	s_and_not1_saveexec_b32 s0, s1
	s_cbranch_execz .LBB1169_97
; %bb.96:
	v_rcp_iflag_f32_e32 v43, v69
	s_sub_i32 s1, 0, s44
	s_waitcnt_depctr 0xfff
	v_mul_f32_e32 v43, 0x4f7ffffe, v43
	s_delay_alu instid0(VALU_DEP_1) | instskip(NEXT) | instid1(VALU_DEP_1)
	v_cvt_u32_f32_e32 v43, v43
	v_mul_lo_u32 v44, s1, v43
	s_delay_alu instid0(VALU_DEP_1) | instskip(NEXT) | instid1(VALU_DEP_1)
	v_mul_hi_u32 v44, v43, v44
	v_add_nc_u32_e32 v43, v43, v44
	s_delay_alu instid0(VALU_DEP_1) | instskip(NEXT) | instid1(VALU_DEP_1)
	v_mul_hi_u32 v43, v78, v43
	v_mul_lo_u32 v44, v43, s44
	v_add_nc_u32_e32 v45, 1, v43
	s_delay_alu instid0(VALU_DEP_2) | instskip(NEXT) | instid1(VALU_DEP_1)
	v_sub_nc_u32_e32 v44, v78, v44
	v_subrev_nc_u32_e32 v46, s44, v44
	v_cmp_le_u32_e32 vcc_lo, s44, v44
	s_delay_alu instid0(VALU_DEP_2) | instskip(NEXT) | instid1(VALU_DEP_1)
	v_dual_cndmask_b32 v44, v44, v46 :: v_dual_cndmask_b32 v43, v43, v45
	v_cmp_le_u32_e32 vcc_lo, s44, v44
	s_delay_alu instid0(VALU_DEP_2) | instskip(NEXT) | instid1(VALU_DEP_1)
	v_dual_mov_b32 v44, 0 :: v_dual_add_nc_u32 v45, 1, v43
	v_cndmask_b32_e32 v43, v43, v45, vcc_lo
.LBB1169_97:
	s_or_b32 exec_lo, exec_lo, s0
	v_add_co_u32 v80, vcc_lo, 0x800, v63
	v_add_co_ci_u32_e32 v81, vcc_lo, 0, v64, vcc_lo
	v_mov_b32_e32 v45, 0
	s_delay_alu instid0(VALU_DEP_2) | instskip(NEXT) | instid1(VALU_DEP_1)
	v_or_b32_e32 v46, s45, v81
	v_cmp_ne_u64_e32 vcc_lo, 0, v[45:46]
                                        ; implicit-def: $vgpr45_vgpr46
	s_and_saveexec_b32 s0, vcc_lo
	s_delay_alu instid0(SALU_CYCLE_1)
	s_xor_b32 s1, exec_lo, s0
	s_cbranch_execz .LBB1169_99
; %bb.98:
	s_ashr_i32 s4, s45, 31
	s_delay_alu instid0(SALU_CYCLE_1) | instskip(SKIP_2) | instid1(SALU_CYCLE_1)
	s_add_u32 s6, s44, s4
	s_mov_b32 s5, s4
	s_addc_u32 s7, s45, s4
	s_xor_b64 s[6:7], s[6:7], s[4:5]
	s_delay_alu instid0(SALU_CYCLE_1) | instskip(SKIP_3) | instid1(VALU_DEP_1)
	v_cvt_f32_u32_e32 v45, s6
	v_cvt_f32_u32_e32 v46, s7
	s_sub_u32 s0, 0, s6
	s_subb_u32 s5, 0, s7
	v_fmamk_f32 v45, v46, 0x4f800000, v45
	s_delay_alu instid0(VALU_DEP_1) | instskip(SKIP_2) | instid1(VALU_DEP_1)
	v_rcp_f32_e32 v45, v45
	s_waitcnt_depctr 0xfff
	v_mul_f32_e32 v45, 0x5f7ffffc, v45
	v_mul_f32_e32 v46, 0x2f800000, v45
	s_delay_alu instid0(VALU_DEP_1) | instskip(NEXT) | instid1(VALU_DEP_1)
	v_trunc_f32_e32 v46, v46
	v_fmamk_f32 v45, v46, 0xcf800000, v45
	v_cvt_u32_f32_e32 v46, v46
	s_delay_alu instid0(VALU_DEP_2) | instskip(NEXT) | instid1(VALU_DEP_2)
	v_cvt_u32_f32_e32 v45, v45
	v_mul_lo_u32 v47, s0, v46
	s_delay_alu instid0(VALU_DEP_2) | instskip(SKIP_1) | instid1(VALU_DEP_2)
	v_mul_hi_u32 v48, s0, v45
	v_mul_lo_u32 v49, s5, v45
	v_add_nc_u32_e32 v47, v48, v47
	v_mul_lo_u32 v48, s0, v45
	s_delay_alu instid0(VALU_DEP_2) | instskip(NEXT) | instid1(VALU_DEP_2)
	v_add_nc_u32_e32 v47, v47, v49
	v_mul_hi_u32 v49, v45, v48
	s_delay_alu instid0(VALU_DEP_2)
	v_mul_lo_u32 v50, v45, v47
	v_mul_hi_u32 v51, v45, v47
	v_mul_hi_u32 v52, v46, v48
	v_mul_lo_u32 v48, v46, v48
	v_mul_hi_u32 v53, v46, v47
	v_mul_lo_u32 v47, v46, v47
	v_add_co_u32 v49, vcc_lo, v49, v50
	v_add_co_ci_u32_e32 v50, vcc_lo, 0, v51, vcc_lo
	s_delay_alu instid0(VALU_DEP_2) | instskip(NEXT) | instid1(VALU_DEP_2)
	v_add_co_u32 v48, vcc_lo, v49, v48
	v_add_co_ci_u32_e32 v48, vcc_lo, v50, v52, vcc_lo
	v_add_co_ci_u32_e32 v49, vcc_lo, 0, v53, vcc_lo
	v_ashrrev_i32_e32 v52, 31, v81
	s_delay_alu instid0(VALU_DEP_3) | instskip(NEXT) | instid1(VALU_DEP_3)
	v_add_co_u32 v47, vcc_lo, v48, v47
	v_add_co_ci_u32_e32 v48, vcc_lo, 0, v49, vcc_lo
	s_delay_alu instid0(VALU_DEP_2) | instskip(NEXT) | instid1(VALU_DEP_2)
	v_add_co_u32 v45, vcc_lo, v45, v47
	v_add_co_ci_u32_e32 v46, vcc_lo, v46, v48, vcc_lo
	s_delay_alu instid0(VALU_DEP_2) | instskip(SKIP_1) | instid1(VALU_DEP_3)
	v_mul_hi_u32 v47, s0, v45
	v_mul_lo_u32 v49, s5, v45
	v_mul_lo_u32 v48, s0, v46
	s_delay_alu instid0(VALU_DEP_1) | instskip(SKIP_1) | instid1(VALU_DEP_2)
	v_add_nc_u32_e32 v47, v47, v48
	v_mul_lo_u32 v48, s0, v45
	v_add_nc_u32_e32 v47, v47, v49
	s_delay_alu instid0(VALU_DEP_2) | instskip(NEXT) | instid1(VALU_DEP_2)
	v_mul_hi_u32 v49, v45, v48
	v_mul_lo_u32 v50, v45, v47
	v_mul_hi_u32 v51, v45, v47
	v_mul_hi_u32 v53, v46, v48
	v_mul_lo_u32 v48, v46, v48
	v_mul_hi_u32 v54, v46, v47
	v_mul_lo_u32 v47, v46, v47
	v_add_co_u32 v49, vcc_lo, v49, v50
	v_add_co_ci_u32_e32 v50, vcc_lo, 0, v51, vcc_lo
	s_delay_alu instid0(VALU_DEP_2) | instskip(NEXT) | instid1(VALU_DEP_2)
	v_add_co_u32 v48, vcc_lo, v49, v48
	v_add_co_ci_u32_e32 v48, vcc_lo, v50, v53, vcc_lo
	v_add_co_ci_u32_e32 v49, vcc_lo, 0, v54, vcc_lo
	v_add_co_u32 v50, vcc_lo, v80, v52
	v_add_co_ci_u32_e32 v51, vcc_lo, v81, v52, vcc_lo
	s_delay_alu instid0(VALU_DEP_4) | instskip(NEXT) | instid1(VALU_DEP_4)
	v_add_co_u32 v47, vcc_lo, v48, v47
	v_add_co_ci_u32_e32 v48, vcc_lo, 0, v49, vcc_lo
	s_delay_alu instid0(VALU_DEP_4) | instskip(NEXT) | instid1(VALU_DEP_3)
	v_xor_b32_e32 v53, v50, v52
	v_add_co_u32 v49, vcc_lo, v45, v47
	s_delay_alu instid0(VALU_DEP_3) | instskip(SKIP_1) | instid1(VALU_DEP_3)
	v_add_co_ci_u32_e32 v54, vcc_lo, v46, v48, vcc_lo
	v_xor_b32_e32 v51, v51, v52
	v_mul_hi_u32 v55, v53, v49
	s_delay_alu instid0(VALU_DEP_3) | instskip(NEXT) | instid1(VALU_DEP_3)
	v_mad_u64_u32 v[45:46], null, v53, v54, 0
	v_mad_u64_u32 v[47:48], null, v51, v49, 0
	;; [unrolled: 1-line block ×3, first 2 shown]
	s_delay_alu instid0(VALU_DEP_3) | instskip(NEXT) | instid1(VALU_DEP_4)
	v_add_co_u32 v45, vcc_lo, v55, v45
	v_add_co_ci_u32_e32 v46, vcc_lo, 0, v46, vcc_lo
	s_delay_alu instid0(VALU_DEP_2) | instskip(NEXT) | instid1(VALU_DEP_2)
	v_add_co_u32 v45, vcc_lo, v45, v47
	v_add_co_ci_u32_e32 v45, vcc_lo, v46, v48, vcc_lo
	v_add_co_ci_u32_e32 v46, vcc_lo, 0, v50, vcc_lo
	s_delay_alu instid0(VALU_DEP_2) | instskip(NEXT) | instid1(VALU_DEP_2)
	v_add_co_u32 v47, vcc_lo, v45, v49
	v_add_co_ci_u32_e32 v48, vcc_lo, 0, v46, vcc_lo
	s_delay_alu instid0(VALU_DEP_2) | instskip(SKIP_1) | instid1(VALU_DEP_3)
	v_mul_lo_u32 v49, s7, v47
	v_mad_u64_u32 v[45:46], null, s6, v47, 0
	v_mul_lo_u32 v50, s6, v48
	s_delay_alu instid0(VALU_DEP_2) | instskip(NEXT) | instid1(VALU_DEP_2)
	v_sub_co_u32 v45, vcc_lo, v53, v45
	v_add3_u32 v46, v46, v50, v49
	s_delay_alu instid0(VALU_DEP_1) | instskip(NEXT) | instid1(VALU_DEP_1)
	v_sub_nc_u32_e32 v49, v51, v46
	v_subrev_co_ci_u32_e64 v49, s0, s7, v49, vcc_lo
	v_add_co_u32 v50, s0, v47, 2
	s_delay_alu instid0(VALU_DEP_1) | instskip(SKIP_3) | instid1(VALU_DEP_3)
	v_add_co_ci_u32_e64 v53, s0, 0, v48, s0
	v_sub_co_u32 v54, s0, v45, s6
	v_sub_co_ci_u32_e32 v46, vcc_lo, v51, v46, vcc_lo
	v_subrev_co_ci_u32_e64 v49, s0, 0, v49, s0
	v_cmp_le_u32_e32 vcc_lo, s6, v54
	s_delay_alu instid0(VALU_DEP_3) | instskip(SKIP_1) | instid1(VALU_DEP_4)
	v_cmp_eq_u32_e64 s0, s7, v46
	v_cndmask_b32_e64 v51, 0, -1, vcc_lo
	v_cmp_le_u32_e32 vcc_lo, s7, v49
	v_cndmask_b32_e64 v54, 0, -1, vcc_lo
	v_cmp_le_u32_e32 vcc_lo, s6, v45
	;; [unrolled: 2-line block ×3, first 2 shown]
	v_cndmask_b32_e64 v55, 0, -1, vcc_lo
	v_cmp_eq_u32_e32 vcc_lo, s7, v49
	s_delay_alu instid0(VALU_DEP_2) | instskip(SKIP_3) | instid1(VALU_DEP_3)
	v_cndmask_b32_e64 v45, v55, v45, s0
	v_cndmask_b32_e32 v49, v54, v51, vcc_lo
	v_add_co_u32 v51, vcc_lo, v47, 1
	v_add_co_ci_u32_e32 v54, vcc_lo, 0, v48, vcc_lo
	v_cmp_ne_u32_e32 vcc_lo, 0, v49
	s_delay_alu instid0(VALU_DEP_2) | instskip(SKIP_2) | instid1(VALU_DEP_3)
	v_dual_cndmask_b32 v46, v54, v53 :: v_dual_cndmask_b32 v49, v51, v50
	v_cmp_ne_u32_e32 vcc_lo, 0, v45
	v_xor_b32_e32 v50, s4, v52
	v_dual_cndmask_b32 v45, v48, v46 :: v_dual_cndmask_b32 v46, v47, v49
	s_delay_alu instid0(VALU_DEP_1) | instskip(NEXT) | instid1(VALU_DEP_2)
	v_xor_b32_e32 v47, v45, v50
	v_xor_b32_e32 v46, v46, v50
	s_delay_alu instid0(VALU_DEP_1) | instskip(NEXT) | instid1(VALU_DEP_3)
	v_sub_co_u32 v45, vcc_lo, v46, v50
	v_sub_co_ci_u32_e32 v46, vcc_lo, v47, v50, vcc_lo
.LBB1169_99:
	s_and_not1_saveexec_b32 s0, s1
	s_cbranch_execz .LBB1169_101
; %bb.100:
	v_rcp_iflag_f32_e32 v45, v69
	s_sub_i32 s1, 0, s44
	s_waitcnt_depctr 0xfff
	v_mul_f32_e32 v45, 0x4f7ffffe, v45
	s_delay_alu instid0(VALU_DEP_1) | instskip(NEXT) | instid1(VALU_DEP_1)
	v_cvt_u32_f32_e32 v45, v45
	v_mul_lo_u32 v46, s1, v45
	s_delay_alu instid0(VALU_DEP_1) | instskip(NEXT) | instid1(VALU_DEP_1)
	v_mul_hi_u32 v46, v45, v46
	v_add_nc_u32_e32 v45, v45, v46
	s_delay_alu instid0(VALU_DEP_1) | instskip(NEXT) | instid1(VALU_DEP_1)
	v_mul_hi_u32 v45, v80, v45
	v_mul_lo_u32 v46, v45, s44
	v_add_nc_u32_e32 v47, 1, v45
	s_delay_alu instid0(VALU_DEP_2) | instskip(NEXT) | instid1(VALU_DEP_1)
	v_sub_nc_u32_e32 v46, v80, v46
	v_subrev_nc_u32_e32 v48, s44, v46
	v_cmp_le_u32_e32 vcc_lo, s44, v46
	s_delay_alu instid0(VALU_DEP_2) | instskip(NEXT) | instid1(VALU_DEP_1)
	v_dual_cndmask_b32 v46, v46, v48 :: v_dual_cndmask_b32 v45, v45, v47
	v_cmp_le_u32_e32 vcc_lo, s44, v46
	s_delay_alu instid0(VALU_DEP_2) | instskip(NEXT) | instid1(VALU_DEP_1)
	v_dual_mov_b32 v46, 0 :: v_dual_add_nc_u32 v47, 1, v45
	v_cndmask_b32_e32 v45, v45, v47, vcc_lo
.LBB1169_101:
	s_or_b32 exec_lo, exec_lo, s0
	v_add_co_u32 v82, vcc_lo, 0x900, v63
	v_add_co_ci_u32_e32 v83, vcc_lo, 0, v64, vcc_lo
	v_mov_b32_e32 v47, 0
	s_delay_alu instid0(VALU_DEP_2) | instskip(NEXT) | instid1(VALU_DEP_1)
	v_or_b32_e32 v48, s45, v83
	v_cmp_ne_u64_e32 vcc_lo, 0, v[47:48]
                                        ; implicit-def: $vgpr47_vgpr48
	s_and_saveexec_b32 s0, vcc_lo
	s_delay_alu instid0(SALU_CYCLE_1)
	s_xor_b32 s1, exec_lo, s0
	s_cbranch_execz .LBB1169_103
; %bb.102:
	s_ashr_i32 s4, s45, 31
	s_delay_alu instid0(SALU_CYCLE_1) | instskip(SKIP_2) | instid1(SALU_CYCLE_1)
	s_add_u32 s6, s44, s4
	s_mov_b32 s5, s4
	s_addc_u32 s7, s45, s4
	s_xor_b64 s[6:7], s[6:7], s[4:5]
	s_delay_alu instid0(SALU_CYCLE_1) | instskip(SKIP_3) | instid1(VALU_DEP_1)
	v_cvt_f32_u32_e32 v47, s6
	v_cvt_f32_u32_e32 v48, s7
	s_sub_u32 s0, 0, s6
	s_subb_u32 s5, 0, s7
	v_fmamk_f32 v47, v48, 0x4f800000, v47
	s_delay_alu instid0(VALU_DEP_1) | instskip(SKIP_2) | instid1(VALU_DEP_1)
	v_rcp_f32_e32 v47, v47
	s_waitcnt_depctr 0xfff
	v_mul_f32_e32 v47, 0x5f7ffffc, v47
	v_mul_f32_e32 v48, 0x2f800000, v47
	s_delay_alu instid0(VALU_DEP_1) | instskip(NEXT) | instid1(VALU_DEP_1)
	v_trunc_f32_e32 v48, v48
	v_fmamk_f32 v47, v48, 0xcf800000, v47
	v_cvt_u32_f32_e32 v48, v48
	s_delay_alu instid0(VALU_DEP_2) | instskip(NEXT) | instid1(VALU_DEP_2)
	v_cvt_u32_f32_e32 v47, v47
	v_mul_lo_u32 v49, s0, v48
	s_delay_alu instid0(VALU_DEP_2) | instskip(SKIP_1) | instid1(VALU_DEP_2)
	v_mul_hi_u32 v50, s0, v47
	v_mul_lo_u32 v51, s5, v47
	v_add_nc_u32_e32 v49, v50, v49
	v_mul_lo_u32 v50, s0, v47
	s_delay_alu instid0(VALU_DEP_2) | instskip(NEXT) | instid1(VALU_DEP_2)
	v_add_nc_u32_e32 v49, v49, v51
	v_mul_hi_u32 v51, v47, v50
	s_delay_alu instid0(VALU_DEP_2)
	v_mul_lo_u32 v52, v47, v49
	v_mul_hi_u32 v53, v47, v49
	v_mul_hi_u32 v54, v48, v50
	v_mul_lo_u32 v50, v48, v50
	v_mul_hi_u32 v55, v48, v49
	v_mul_lo_u32 v49, v48, v49
	v_add_co_u32 v51, vcc_lo, v51, v52
	v_add_co_ci_u32_e32 v52, vcc_lo, 0, v53, vcc_lo
	s_delay_alu instid0(VALU_DEP_2) | instskip(NEXT) | instid1(VALU_DEP_2)
	v_add_co_u32 v50, vcc_lo, v51, v50
	v_add_co_ci_u32_e32 v50, vcc_lo, v52, v54, vcc_lo
	v_add_co_ci_u32_e32 v51, vcc_lo, 0, v55, vcc_lo
	v_ashrrev_i32_e32 v54, 31, v83
	s_delay_alu instid0(VALU_DEP_3) | instskip(NEXT) | instid1(VALU_DEP_3)
	v_add_co_u32 v49, vcc_lo, v50, v49
	v_add_co_ci_u32_e32 v50, vcc_lo, 0, v51, vcc_lo
	s_delay_alu instid0(VALU_DEP_2) | instskip(NEXT) | instid1(VALU_DEP_2)
	v_add_co_u32 v47, vcc_lo, v47, v49
	v_add_co_ci_u32_e32 v48, vcc_lo, v48, v50, vcc_lo
	s_delay_alu instid0(VALU_DEP_2) | instskip(SKIP_1) | instid1(VALU_DEP_3)
	v_mul_hi_u32 v49, s0, v47
	v_mul_lo_u32 v51, s5, v47
	v_mul_lo_u32 v50, s0, v48
	s_delay_alu instid0(VALU_DEP_1) | instskip(SKIP_1) | instid1(VALU_DEP_2)
	v_add_nc_u32_e32 v49, v49, v50
	v_mul_lo_u32 v50, s0, v47
	v_add_nc_u32_e32 v49, v49, v51
	s_delay_alu instid0(VALU_DEP_2) | instskip(NEXT) | instid1(VALU_DEP_2)
	v_mul_hi_u32 v51, v47, v50
	v_mul_lo_u32 v52, v47, v49
	v_mul_hi_u32 v53, v47, v49
	v_mul_hi_u32 v55, v48, v50
	v_mul_lo_u32 v50, v48, v50
	v_mul_hi_u32 v56, v48, v49
	v_mul_lo_u32 v49, v48, v49
	v_add_co_u32 v51, vcc_lo, v51, v52
	v_add_co_ci_u32_e32 v52, vcc_lo, 0, v53, vcc_lo
	s_delay_alu instid0(VALU_DEP_2) | instskip(NEXT) | instid1(VALU_DEP_2)
	v_add_co_u32 v50, vcc_lo, v51, v50
	v_add_co_ci_u32_e32 v50, vcc_lo, v52, v55, vcc_lo
	v_add_co_ci_u32_e32 v51, vcc_lo, 0, v56, vcc_lo
	v_add_co_u32 v52, vcc_lo, v82, v54
	v_add_co_ci_u32_e32 v53, vcc_lo, v83, v54, vcc_lo
	s_delay_alu instid0(VALU_DEP_4) | instskip(NEXT) | instid1(VALU_DEP_4)
	v_add_co_u32 v49, vcc_lo, v50, v49
	v_add_co_ci_u32_e32 v50, vcc_lo, 0, v51, vcc_lo
	s_delay_alu instid0(VALU_DEP_4) | instskip(NEXT) | instid1(VALU_DEP_3)
	v_xor_b32_e32 v55, v52, v54
	v_add_co_u32 v51, vcc_lo, v47, v49
	s_delay_alu instid0(VALU_DEP_3) | instskip(SKIP_1) | instid1(VALU_DEP_3)
	v_add_co_ci_u32_e32 v56, vcc_lo, v48, v50, vcc_lo
	v_xor_b32_e32 v53, v53, v54
	v_mul_hi_u32 v59, v55, v51
	s_delay_alu instid0(VALU_DEP_3) | instskip(NEXT) | instid1(VALU_DEP_3)
	v_mad_u64_u32 v[47:48], null, v55, v56, 0
	v_mad_u64_u32 v[49:50], null, v53, v51, 0
	;; [unrolled: 1-line block ×3, first 2 shown]
	s_delay_alu instid0(VALU_DEP_3) | instskip(NEXT) | instid1(VALU_DEP_4)
	v_add_co_u32 v47, vcc_lo, v59, v47
	v_add_co_ci_u32_e32 v48, vcc_lo, 0, v48, vcc_lo
	s_delay_alu instid0(VALU_DEP_2) | instskip(NEXT) | instid1(VALU_DEP_2)
	v_add_co_u32 v47, vcc_lo, v47, v49
	v_add_co_ci_u32_e32 v47, vcc_lo, v48, v50, vcc_lo
	v_add_co_ci_u32_e32 v48, vcc_lo, 0, v52, vcc_lo
	s_delay_alu instid0(VALU_DEP_2) | instskip(NEXT) | instid1(VALU_DEP_2)
	v_add_co_u32 v49, vcc_lo, v47, v51
	v_add_co_ci_u32_e32 v50, vcc_lo, 0, v48, vcc_lo
	s_delay_alu instid0(VALU_DEP_2) | instskip(SKIP_1) | instid1(VALU_DEP_3)
	v_mul_lo_u32 v51, s7, v49
	v_mad_u64_u32 v[47:48], null, s6, v49, 0
	v_mul_lo_u32 v52, s6, v50
	s_delay_alu instid0(VALU_DEP_2) | instskip(NEXT) | instid1(VALU_DEP_2)
	v_sub_co_u32 v47, vcc_lo, v55, v47
	v_add3_u32 v48, v48, v52, v51
	s_delay_alu instid0(VALU_DEP_1) | instskip(NEXT) | instid1(VALU_DEP_1)
	v_sub_nc_u32_e32 v51, v53, v48
	v_subrev_co_ci_u32_e64 v51, s0, s7, v51, vcc_lo
	v_add_co_u32 v52, s0, v49, 2
	s_delay_alu instid0(VALU_DEP_1) | instskip(SKIP_3) | instid1(VALU_DEP_3)
	v_add_co_ci_u32_e64 v55, s0, 0, v50, s0
	v_sub_co_u32 v56, s0, v47, s6
	v_sub_co_ci_u32_e32 v48, vcc_lo, v53, v48, vcc_lo
	v_subrev_co_ci_u32_e64 v51, s0, 0, v51, s0
	v_cmp_le_u32_e32 vcc_lo, s6, v56
	s_delay_alu instid0(VALU_DEP_3) | instskip(SKIP_1) | instid1(VALU_DEP_4)
	v_cmp_eq_u32_e64 s0, s7, v48
	v_cndmask_b32_e64 v53, 0, -1, vcc_lo
	v_cmp_le_u32_e32 vcc_lo, s7, v51
	v_cndmask_b32_e64 v56, 0, -1, vcc_lo
	v_cmp_le_u32_e32 vcc_lo, s6, v47
	;; [unrolled: 2-line block ×3, first 2 shown]
	v_cndmask_b32_e64 v59, 0, -1, vcc_lo
	v_cmp_eq_u32_e32 vcc_lo, s7, v51
	s_delay_alu instid0(VALU_DEP_2) | instskip(SKIP_3) | instid1(VALU_DEP_3)
	v_cndmask_b32_e64 v47, v59, v47, s0
	v_cndmask_b32_e32 v51, v56, v53, vcc_lo
	v_add_co_u32 v53, vcc_lo, v49, 1
	v_add_co_ci_u32_e32 v56, vcc_lo, 0, v50, vcc_lo
	v_cmp_ne_u32_e32 vcc_lo, 0, v51
	s_delay_alu instid0(VALU_DEP_2) | instskip(SKIP_2) | instid1(VALU_DEP_3)
	v_dual_cndmask_b32 v48, v56, v55 :: v_dual_cndmask_b32 v51, v53, v52
	v_cmp_ne_u32_e32 vcc_lo, 0, v47
	v_xor_b32_e32 v52, s4, v54
	v_dual_cndmask_b32 v47, v50, v48 :: v_dual_cndmask_b32 v48, v49, v51
	s_delay_alu instid0(VALU_DEP_1) | instskip(NEXT) | instid1(VALU_DEP_2)
	v_xor_b32_e32 v49, v47, v52
	v_xor_b32_e32 v48, v48, v52
	s_delay_alu instid0(VALU_DEP_1) | instskip(NEXT) | instid1(VALU_DEP_3)
	v_sub_co_u32 v47, vcc_lo, v48, v52
	v_sub_co_ci_u32_e32 v48, vcc_lo, v49, v52, vcc_lo
.LBB1169_103:
	s_and_not1_saveexec_b32 s0, s1
	s_cbranch_execz .LBB1169_105
; %bb.104:
	v_rcp_iflag_f32_e32 v47, v69
	s_sub_i32 s1, 0, s44
	s_waitcnt_depctr 0xfff
	v_mul_f32_e32 v47, 0x4f7ffffe, v47
	s_delay_alu instid0(VALU_DEP_1) | instskip(NEXT) | instid1(VALU_DEP_1)
	v_cvt_u32_f32_e32 v47, v47
	v_mul_lo_u32 v48, s1, v47
	s_delay_alu instid0(VALU_DEP_1) | instskip(NEXT) | instid1(VALU_DEP_1)
	v_mul_hi_u32 v48, v47, v48
	v_add_nc_u32_e32 v47, v47, v48
	s_delay_alu instid0(VALU_DEP_1) | instskip(NEXT) | instid1(VALU_DEP_1)
	v_mul_hi_u32 v47, v82, v47
	v_mul_lo_u32 v48, v47, s44
	v_add_nc_u32_e32 v49, 1, v47
	s_delay_alu instid0(VALU_DEP_2) | instskip(NEXT) | instid1(VALU_DEP_1)
	v_sub_nc_u32_e32 v48, v82, v48
	v_subrev_nc_u32_e32 v50, s44, v48
	v_cmp_le_u32_e32 vcc_lo, s44, v48
	s_delay_alu instid0(VALU_DEP_2) | instskip(NEXT) | instid1(VALU_DEP_1)
	v_dual_cndmask_b32 v48, v48, v50 :: v_dual_cndmask_b32 v47, v47, v49
	v_cmp_le_u32_e32 vcc_lo, s44, v48
	s_delay_alu instid0(VALU_DEP_2) | instskip(NEXT) | instid1(VALU_DEP_1)
	v_dual_mov_b32 v48, 0 :: v_dual_add_nc_u32 v49, 1, v47
	v_cndmask_b32_e32 v47, v47, v49, vcc_lo
.LBB1169_105:
	s_or_b32 exec_lo, exec_lo, s0
	v_add_co_u32 v84, vcc_lo, 0xa00, v63
	v_add_co_ci_u32_e32 v85, vcc_lo, 0, v64, vcc_lo
	v_mov_b32_e32 v49, 0
	s_delay_alu instid0(VALU_DEP_2) | instskip(NEXT) | instid1(VALU_DEP_1)
	v_or_b32_e32 v50, s45, v85
	v_cmp_ne_u64_e32 vcc_lo, 0, v[49:50]
                                        ; implicit-def: $vgpr49_vgpr50
	s_and_saveexec_b32 s0, vcc_lo
	s_delay_alu instid0(SALU_CYCLE_1)
	s_xor_b32 s1, exec_lo, s0
	s_cbranch_execz .LBB1169_107
; %bb.106:
	s_ashr_i32 s4, s45, 31
	s_delay_alu instid0(SALU_CYCLE_1) | instskip(SKIP_2) | instid1(SALU_CYCLE_1)
	s_add_u32 s6, s44, s4
	s_mov_b32 s5, s4
	s_addc_u32 s7, s45, s4
	s_xor_b64 s[6:7], s[6:7], s[4:5]
	s_delay_alu instid0(SALU_CYCLE_1) | instskip(SKIP_3) | instid1(VALU_DEP_1)
	v_cvt_f32_u32_e32 v49, s6
	v_cvt_f32_u32_e32 v50, s7
	s_sub_u32 s0, 0, s6
	s_subb_u32 s5, 0, s7
	v_fmamk_f32 v49, v50, 0x4f800000, v49
	s_delay_alu instid0(VALU_DEP_1) | instskip(SKIP_2) | instid1(VALU_DEP_1)
	v_rcp_f32_e32 v49, v49
	s_waitcnt_depctr 0xfff
	v_mul_f32_e32 v49, 0x5f7ffffc, v49
	v_mul_f32_e32 v50, 0x2f800000, v49
	s_delay_alu instid0(VALU_DEP_1) | instskip(NEXT) | instid1(VALU_DEP_1)
	v_trunc_f32_e32 v50, v50
	v_fmamk_f32 v49, v50, 0xcf800000, v49
	v_cvt_u32_f32_e32 v50, v50
	s_delay_alu instid0(VALU_DEP_2) | instskip(NEXT) | instid1(VALU_DEP_2)
	v_cvt_u32_f32_e32 v49, v49
	v_mul_lo_u32 v51, s0, v50
	s_delay_alu instid0(VALU_DEP_2) | instskip(SKIP_1) | instid1(VALU_DEP_2)
	v_mul_hi_u32 v52, s0, v49
	v_mul_lo_u32 v53, s5, v49
	v_add_nc_u32_e32 v51, v52, v51
	v_mul_lo_u32 v52, s0, v49
	s_delay_alu instid0(VALU_DEP_2) | instskip(NEXT) | instid1(VALU_DEP_2)
	v_add_nc_u32_e32 v51, v51, v53
	v_mul_hi_u32 v53, v49, v52
	s_delay_alu instid0(VALU_DEP_2)
	v_mul_lo_u32 v54, v49, v51
	v_mul_hi_u32 v55, v49, v51
	v_mul_hi_u32 v56, v50, v52
	v_mul_lo_u32 v52, v50, v52
	v_mul_hi_u32 v59, v50, v51
	v_mul_lo_u32 v51, v50, v51
	v_add_co_u32 v53, vcc_lo, v53, v54
	v_add_co_ci_u32_e32 v54, vcc_lo, 0, v55, vcc_lo
	s_delay_alu instid0(VALU_DEP_2) | instskip(NEXT) | instid1(VALU_DEP_2)
	v_add_co_u32 v52, vcc_lo, v53, v52
	v_add_co_ci_u32_e32 v52, vcc_lo, v54, v56, vcc_lo
	v_add_co_ci_u32_e32 v53, vcc_lo, 0, v59, vcc_lo
	v_ashrrev_i32_e32 v56, 31, v85
	s_delay_alu instid0(VALU_DEP_3) | instskip(NEXT) | instid1(VALU_DEP_3)
	v_add_co_u32 v51, vcc_lo, v52, v51
	v_add_co_ci_u32_e32 v52, vcc_lo, 0, v53, vcc_lo
	s_delay_alu instid0(VALU_DEP_2) | instskip(NEXT) | instid1(VALU_DEP_2)
	v_add_co_u32 v49, vcc_lo, v49, v51
	v_add_co_ci_u32_e32 v50, vcc_lo, v50, v52, vcc_lo
	s_delay_alu instid0(VALU_DEP_2) | instskip(SKIP_1) | instid1(VALU_DEP_3)
	v_mul_hi_u32 v51, s0, v49
	v_mul_lo_u32 v53, s5, v49
	v_mul_lo_u32 v52, s0, v50
	s_delay_alu instid0(VALU_DEP_1) | instskip(SKIP_1) | instid1(VALU_DEP_2)
	v_add_nc_u32_e32 v51, v51, v52
	v_mul_lo_u32 v52, s0, v49
	v_add_nc_u32_e32 v51, v51, v53
	s_delay_alu instid0(VALU_DEP_2) | instskip(NEXT) | instid1(VALU_DEP_2)
	v_mul_hi_u32 v53, v49, v52
	v_mul_lo_u32 v54, v49, v51
	v_mul_hi_u32 v55, v49, v51
	v_mul_hi_u32 v59, v50, v52
	v_mul_lo_u32 v52, v50, v52
	v_mul_hi_u32 v60, v50, v51
	v_mul_lo_u32 v51, v50, v51
	v_add_co_u32 v53, vcc_lo, v53, v54
	v_add_co_ci_u32_e32 v54, vcc_lo, 0, v55, vcc_lo
	s_delay_alu instid0(VALU_DEP_2) | instskip(NEXT) | instid1(VALU_DEP_2)
	v_add_co_u32 v52, vcc_lo, v53, v52
	v_add_co_ci_u32_e32 v52, vcc_lo, v54, v59, vcc_lo
	v_add_co_ci_u32_e32 v53, vcc_lo, 0, v60, vcc_lo
	v_add_co_u32 v54, vcc_lo, v84, v56
	v_add_co_ci_u32_e32 v55, vcc_lo, v85, v56, vcc_lo
	s_delay_alu instid0(VALU_DEP_4) | instskip(NEXT) | instid1(VALU_DEP_4)
	v_add_co_u32 v51, vcc_lo, v52, v51
	v_add_co_ci_u32_e32 v52, vcc_lo, 0, v53, vcc_lo
	s_delay_alu instid0(VALU_DEP_4) | instskip(NEXT) | instid1(VALU_DEP_3)
	v_xor_b32_e32 v59, v54, v56
	v_add_co_u32 v53, vcc_lo, v49, v51
	s_delay_alu instid0(VALU_DEP_3) | instskip(SKIP_1) | instid1(VALU_DEP_3)
	v_add_co_ci_u32_e32 v60, vcc_lo, v50, v52, vcc_lo
	v_xor_b32_e32 v55, v55, v56
	v_mul_hi_u32 v86, v59, v53
	s_delay_alu instid0(VALU_DEP_3) | instskip(NEXT) | instid1(VALU_DEP_3)
	v_mad_u64_u32 v[49:50], null, v59, v60, 0
	v_mad_u64_u32 v[51:52], null, v55, v53, 0
	;; [unrolled: 1-line block ×3, first 2 shown]
	s_delay_alu instid0(VALU_DEP_3) | instskip(NEXT) | instid1(VALU_DEP_4)
	v_add_co_u32 v49, vcc_lo, v86, v49
	v_add_co_ci_u32_e32 v50, vcc_lo, 0, v50, vcc_lo
	s_delay_alu instid0(VALU_DEP_2) | instskip(NEXT) | instid1(VALU_DEP_2)
	v_add_co_u32 v49, vcc_lo, v49, v51
	v_add_co_ci_u32_e32 v49, vcc_lo, v50, v52, vcc_lo
	v_add_co_ci_u32_e32 v50, vcc_lo, 0, v54, vcc_lo
	s_delay_alu instid0(VALU_DEP_2) | instskip(NEXT) | instid1(VALU_DEP_2)
	v_add_co_u32 v51, vcc_lo, v49, v53
	v_add_co_ci_u32_e32 v52, vcc_lo, 0, v50, vcc_lo
	s_delay_alu instid0(VALU_DEP_2) | instskip(SKIP_1) | instid1(VALU_DEP_3)
	v_mul_lo_u32 v53, s7, v51
	v_mad_u64_u32 v[49:50], null, s6, v51, 0
	v_mul_lo_u32 v54, s6, v52
	s_delay_alu instid0(VALU_DEP_2) | instskip(NEXT) | instid1(VALU_DEP_2)
	v_sub_co_u32 v49, vcc_lo, v59, v49
	v_add3_u32 v50, v50, v54, v53
	s_delay_alu instid0(VALU_DEP_1) | instskip(NEXT) | instid1(VALU_DEP_1)
	v_sub_nc_u32_e32 v53, v55, v50
	v_subrev_co_ci_u32_e64 v53, s0, s7, v53, vcc_lo
	v_add_co_u32 v54, s0, v51, 2
	s_delay_alu instid0(VALU_DEP_1) | instskip(SKIP_3) | instid1(VALU_DEP_3)
	v_add_co_ci_u32_e64 v59, s0, 0, v52, s0
	v_sub_co_u32 v60, s0, v49, s6
	v_sub_co_ci_u32_e32 v50, vcc_lo, v55, v50, vcc_lo
	v_subrev_co_ci_u32_e64 v53, s0, 0, v53, s0
	v_cmp_le_u32_e32 vcc_lo, s6, v60
	s_delay_alu instid0(VALU_DEP_3) | instskip(SKIP_1) | instid1(VALU_DEP_4)
	v_cmp_eq_u32_e64 s0, s7, v50
	v_cndmask_b32_e64 v55, 0, -1, vcc_lo
	v_cmp_le_u32_e32 vcc_lo, s7, v53
	v_cndmask_b32_e64 v60, 0, -1, vcc_lo
	v_cmp_le_u32_e32 vcc_lo, s6, v49
	v_cndmask_b32_e64 v49, 0, -1, vcc_lo
	v_cmp_le_u32_e32 vcc_lo, s7, v50
	v_cndmask_b32_e64 v86, 0, -1, vcc_lo
	v_cmp_eq_u32_e32 vcc_lo, s7, v53
	s_delay_alu instid0(VALU_DEP_2) | instskip(SKIP_3) | instid1(VALU_DEP_3)
	v_cndmask_b32_e64 v49, v86, v49, s0
	v_cndmask_b32_e32 v53, v60, v55, vcc_lo
	v_add_co_u32 v55, vcc_lo, v51, 1
	v_add_co_ci_u32_e32 v60, vcc_lo, 0, v52, vcc_lo
	v_cmp_ne_u32_e32 vcc_lo, 0, v53
	s_delay_alu instid0(VALU_DEP_2) | instskip(SKIP_2) | instid1(VALU_DEP_3)
	v_dual_cndmask_b32 v50, v60, v59 :: v_dual_cndmask_b32 v53, v55, v54
	v_cmp_ne_u32_e32 vcc_lo, 0, v49
	v_xor_b32_e32 v54, s4, v56
	v_dual_cndmask_b32 v49, v52, v50 :: v_dual_cndmask_b32 v50, v51, v53
	s_delay_alu instid0(VALU_DEP_1) | instskip(NEXT) | instid1(VALU_DEP_2)
	v_xor_b32_e32 v51, v49, v54
	v_xor_b32_e32 v50, v50, v54
	s_delay_alu instid0(VALU_DEP_1) | instskip(NEXT) | instid1(VALU_DEP_3)
	v_sub_co_u32 v49, vcc_lo, v50, v54
	v_sub_co_ci_u32_e32 v50, vcc_lo, v51, v54, vcc_lo
.LBB1169_107:
	s_and_not1_saveexec_b32 s0, s1
	s_cbranch_execz .LBB1169_109
; %bb.108:
	v_rcp_iflag_f32_e32 v49, v69
	s_sub_i32 s1, 0, s44
	s_waitcnt_depctr 0xfff
	v_mul_f32_e32 v49, 0x4f7ffffe, v49
	s_delay_alu instid0(VALU_DEP_1) | instskip(NEXT) | instid1(VALU_DEP_1)
	v_cvt_u32_f32_e32 v49, v49
	v_mul_lo_u32 v50, s1, v49
	s_delay_alu instid0(VALU_DEP_1) | instskip(NEXT) | instid1(VALU_DEP_1)
	v_mul_hi_u32 v50, v49, v50
	v_add_nc_u32_e32 v49, v49, v50
	s_delay_alu instid0(VALU_DEP_1) | instskip(NEXT) | instid1(VALU_DEP_1)
	v_mul_hi_u32 v49, v84, v49
	v_mul_lo_u32 v50, v49, s44
	v_add_nc_u32_e32 v51, 1, v49
	s_delay_alu instid0(VALU_DEP_2) | instskip(NEXT) | instid1(VALU_DEP_1)
	v_sub_nc_u32_e32 v50, v84, v50
	v_subrev_nc_u32_e32 v52, s44, v50
	v_cmp_le_u32_e32 vcc_lo, s44, v50
	s_delay_alu instid0(VALU_DEP_2) | instskip(NEXT) | instid1(VALU_DEP_1)
	v_dual_cndmask_b32 v50, v50, v52 :: v_dual_cndmask_b32 v49, v49, v51
	v_cmp_le_u32_e32 vcc_lo, s44, v50
	s_delay_alu instid0(VALU_DEP_2) | instskip(NEXT) | instid1(VALU_DEP_1)
	v_dual_mov_b32 v50, 0 :: v_dual_add_nc_u32 v51, 1, v49
	v_cndmask_b32_e32 v49, v49, v51, vcc_lo
.LBB1169_109:
	s_or_b32 exec_lo, exec_lo, s0
	v_add_co_u32 v86, vcc_lo, 0xb00, v63
	v_add_co_ci_u32_e32 v87, vcc_lo, 0, v64, vcc_lo
	v_mov_b32_e32 v51, 0
	s_delay_alu instid0(VALU_DEP_2) | instskip(NEXT) | instid1(VALU_DEP_1)
	v_or_b32_e32 v52, s45, v87
	v_cmp_ne_u64_e32 vcc_lo, 0, v[51:52]
                                        ; implicit-def: $vgpr51_vgpr52
	s_and_saveexec_b32 s0, vcc_lo
	s_delay_alu instid0(SALU_CYCLE_1)
	s_xor_b32 s1, exec_lo, s0
	s_cbranch_execz .LBB1169_111
; %bb.110:
	s_ashr_i32 s4, s45, 31
	s_delay_alu instid0(SALU_CYCLE_1) | instskip(SKIP_2) | instid1(SALU_CYCLE_1)
	s_add_u32 s6, s44, s4
	s_mov_b32 s5, s4
	s_addc_u32 s7, s45, s4
	s_xor_b64 s[6:7], s[6:7], s[4:5]
	s_delay_alu instid0(SALU_CYCLE_1) | instskip(SKIP_3) | instid1(VALU_DEP_1)
	v_cvt_f32_u32_e32 v51, s6
	v_cvt_f32_u32_e32 v52, s7
	s_sub_u32 s0, 0, s6
	s_subb_u32 s5, 0, s7
	v_fmamk_f32 v51, v52, 0x4f800000, v51
	s_delay_alu instid0(VALU_DEP_1) | instskip(SKIP_2) | instid1(VALU_DEP_1)
	v_rcp_f32_e32 v51, v51
	s_waitcnt_depctr 0xfff
	v_mul_f32_e32 v51, 0x5f7ffffc, v51
	v_mul_f32_e32 v52, 0x2f800000, v51
	s_delay_alu instid0(VALU_DEP_1) | instskip(NEXT) | instid1(VALU_DEP_1)
	v_trunc_f32_e32 v52, v52
	v_fmamk_f32 v51, v52, 0xcf800000, v51
	v_cvt_u32_f32_e32 v52, v52
	s_delay_alu instid0(VALU_DEP_2) | instskip(NEXT) | instid1(VALU_DEP_2)
	v_cvt_u32_f32_e32 v51, v51
	v_mul_lo_u32 v53, s0, v52
	s_delay_alu instid0(VALU_DEP_2) | instskip(SKIP_1) | instid1(VALU_DEP_2)
	v_mul_hi_u32 v54, s0, v51
	v_mul_lo_u32 v55, s5, v51
	v_add_nc_u32_e32 v53, v54, v53
	v_mul_lo_u32 v54, s0, v51
	s_delay_alu instid0(VALU_DEP_2) | instskip(NEXT) | instid1(VALU_DEP_2)
	v_add_nc_u32_e32 v53, v53, v55
	v_mul_hi_u32 v55, v51, v54
	s_delay_alu instid0(VALU_DEP_2)
	v_mul_lo_u32 v56, v51, v53
	v_mul_hi_u32 v59, v51, v53
	v_mul_hi_u32 v60, v52, v54
	v_mul_lo_u32 v54, v52, v54
	v_mul_hi_u32 v88, v52, v53
	v_mul_lo_u32 v53, v52, v53
	v_add_co_u32 v55, vcc_lo, v55, v56
	v_add_co_ci_u32_e32 v56, vcc_lo, 0, v59, vcc_lo
	s_delay_alu instid0(VALU_DEP_2) | instskip(NEXT) | instid1(VALU_DEP_2)
	v_add_co_u32 v54, vcc_lo, v55, v54
	v_add_co_ci_u32_e32 v54, vcc_lo, v56, v60, vcc_lo
	v_add_co_ci_u32_e32 v55, vcc_lo, 0, v88, vcc_lo
	v_ashrrev_i32_e32 v60, 31, v87
	s_delay_alu instid0(VALU_DEP_3) | instskip(NEXT) | instid1(VALU_DEP_3)
	v_add_co_u32 v53, vcc_lo, v54, v53
	v_add_co_ci_u32_e32 v54, vcc_lo, 0, v55, vcc_lo
	s_delay_alu instid0(VALU_DEP_2) | instskip(NEXT) | instid1(VALU_DEP_2)
	v_add_co_u32 v51, vcc_lo, v51, v53
	v_add_co_ci_u32_e32 v52, vcc_lo, v52, v54, vcc_lo
	s_delay_alu instid0(VALU_DEP_2) | instskip(SKIP_1) | instid1(VALU_DEP_3)
	v_mul_hi_u32 v53, s0, v51
	v_mul_lo_u32 v55, s5, v51
	v_mul_lo_u32 v54, s0, v52
	s_delay_alu instid0(VALU_DEP_1) | instskip(SKIP_1) | instid1(VALU_DEP_2)
	v_add_nc_u32_e32 v53, v53, v54
	v_mul_lo_u32 v54, s0, v51
	v_add_nc_u32_e32 v53, v53, v55
	s_delay_alu instid0(VALU_DEP_2) | instskip(NEXT) | instid1(VALU_DEP_2)
	v_mul_hi_u32 v55, v51, v54
	v_mul_lo_u32 v56, v51, v53
	v_mul_hi_u32 v59, v51, v53
	v_mul_hi_u32 v88, v52, v54
	v_mul_lo_u32 v54, v52, v54
	v_mul_hi_u32 v89, v52, v53
	v_mul_lo_u32 v53, v52, v53
	v_add_co_u32 v55, vcc_lo, v55, v56
	v_add_co_ci_u32_e32 v56, vcc_lo, 0, v59, vcc_lo
	s_delay_alu instid0(VALU_DEP_2) | instskip(NEXT) | instid1(VALU_DEP_2)
	v_add_co_u32 v54, vcc_lo, v55, v54
	v_add_co_ci_u32_e32 v54, vcc_lo, v56, v88, vcc_lo
	v_add_co_ci_u32_e32 v55, vcc_lo, 0, v89, vcc_lo
	v_add_co_u32 v56, vcc_lo, v86, v60
	v_add_co_ci_u32_e32 v59, vcc_lo, v87, v60, vcc_lo
	s_delay_alu instid0(VALU_DEP_4) | instskip(NEXT) | instid1(VALU_DEP_4)
	v_add_co_u32 v53, vcc_lo, v54, v53
	v_add_co_ci_u32_e32 v54, vcc_lo, 0, v55, vcc_lo
	s_delay_alu instid0(VALU_DEP_4) | instskip(NEXT) | instid1(VALU_DEP_3)
	v_xor_b32_e32 v88, v56, v60
	v_add_co_u32 v55, vcc_lo, v51, v53
	s_delay_alu instid0(VALU_DEP_3) | instskip(SKIP_1) | instid1(VALU_DEP_3)
	v_add_co_ci_u32_e32 v89, vcc_lo, v52, v54, vcc_lo
	v_xor_b32_e32 v59, v59, v60
	v_mul_hi_u32 v90, v88, v55
	s_delay_alu instid0(VALU_DEP_3) | instskip(NEXT) | instid1(VALU_DEP_3)
	v_mad_u64_u32 v[51:52], null, v88, v89, 0
	v_mad_u64_u32 v[53:54], null, v59, v55, 0
	;; [unrolled: 1-line block ×3, first 2 shown]
	s_delay_alu instid0(VALU_DEP_3) | instskip(NEXT) | instid1(VALU_DEP_4)
	v_add_co_u32 v51, vcc_lo, v90, v51
	v_add_co_ci_u32_e32 v52, vcc_lo, 0, v52, vcc_lo
	s_delay_alu instid0(VALU_DEP_2) | instskip(NEXT) | instid1(VALU_DEP_2)
	v_add_co_u32 v51, vcc_lo, v51, v53
	v_add_co_ci_u32_e32 v51, vcc_lo, v52, v54, vcc_lo
	v_add_co_ci_u32_e32 v52, vcc_lo, 0, v56, vcc_lo
	s_delay_alu instid0(VALU_DEP_2) | instskip(NEXT) | instid1(VALU_DEP_2)
	v_add_co_u32 v53, vcc_lo, v51, v55
	v_add_co_ci_u32_e32 v54, vcc_lo, 0, v52, vcc_lo
	s_delay_alu instid0(VALU_DEP_2) | instskip(SKIP_1) | instid1(VALU_DEP_3)
	v_mul_lo_u32 v55, s7, v53
	v_mad_u64_u32 v[51:52], null, s6, v53, 0
	v_mul_lo_u32 v56, s6, v54
	s_delay_alu instid0(VALU_DEP_2) | instskip(NEXT) | instid1(VALU_DEP_2)
	v_sub_co_u32 v51, vcc_lo, v88, v51
	v_add3_u32 v52, v52, v56, v55
	s_delay_alu instid0(VALU_DEP_1) | instskip(NEXT) | instid1(VALU_DEP_1)
	v_sub_nc_u32_e32 v55, v59, v52
	v_subrev_co_ci_u32_e64 v55, s0, s7, v55, vcc_lo
	v_add_co_u32 v56, s0, v53, 2
	s_delay_alu instid0(VALU_DEP_1) | instskip(SKIP_3) | instid1(VALU_DEP_3)
	v_add_co_ci_u32_e64 v88, s0, 0, v54, s0
	v_sub_co_u32 v89, s0, v51, s6
	v_sub_co_ci_u32_e32 v52, vcc_lo, v59, v52, vcc_lo
	v_subrev_co_ci_u32_e64 v55, s0, 0, v55, s0
	v_cmp_le_u32_e32 vcc_lo, s6, v89
	s_delay_alu instid0(VALU_DEP_3) | instskip(SKIP_1) | instid1(VALU_DEP_4)
	v_cmp_eq_u32_e64 s0, s7, v52
	v_cndmask_b32_e64 v59, 0, -1, vcc_lo
	v_cmp_le_u32_e32 vcc_lo, s7, v55
	v_cndmask_b32_e64 v89, 0, -1, vcc_lo
	v_cmp_le_u32_e32 vcc_lo, s6, v51
	;; [unrolled: 2-line block ×3, first 2 shown]
	v_cndmask_b32_e64 v90, 0, -1, vcc_lo
	v_cmp_eq_u32_e32 vcc_lo, s7, v55
	s_delay_alu instid0(VALU_DEP_2) | instskip(SKIP_3) | instid1(VALU_DEP_3)
	v_cndmask_b32_e64 v51, v90, v51, s0
	v_cndmask_b32_e32 v55, v89, v59, vcc_lo
	v_add_co_u32 v59, vcc_lo, v53, 1
	v_add_co_ci_u32_e32 v89, vcc_lo, 0, v54, vcc_lo
	v_cmp_ne_u32_e32 vcc_lo, 0, v55
	s_delay_alu instid0(VALU_DEP_2) | instskip(NEXT) | instid1(VALU_DEP_4)
	v_cndmask_b32_e32 v52, v89, v88, vcc_lo
	v_cndmask_b32_e32 v55, v59, v56, vcc_lo
	v_cmp_ne_u32_e32 vcc_lo, 0, v51
	v_xor_b32_e32 v56, s4, v60
	s_delay_alu instid0(VALU_DEP_3) | instskip(NEXT) | instid1(VALU_DEP_1)
	v_dual_cndmask_b32 v51, v54, v52 :: v_dual_cndmask_b32 v52, v53, v55
	v_xor_b32_e32 v53, v51, v56
	s_delay_alu instid0(VALU_DEP_2) | instskip(NEXT) | instid1(VALU_DEP_1)
	v_xor_b32_e32 v52, v52, v56
	v_sub_co_u32 v51, vcc_lo, v52, v56
	s_delay_alu instid0(VALU_DEP_3)
	v_sub_co_ci_u32_e32 v52, vcc_lo, v53, v56, vcc_lo
.LBB1169_111:
	s_and_not1_saveexec_b32 s0, s1
	s_cbranch_execz .LBB1169_113
; %bb.112:
	v_rcp_iflag_f32_e32 v51, v69
	s_sub_i32 s1, 0, s44
	s_waitcnt_depctr 0xfff
	v_mul_f32_e32 v51, 0x4f7ffffe, v51
	s_delay_alu instid0(VALU_DEP_1) | instskip(NEXT) | instid1(VALU_DEP_1)
	v_cvt_u32_f32_e32 v51, v51
	v_mul_lo_u32 v52, s1, v51
	s_delay_alu instid0(VALU_DEP_1) | instskip(NEXT) | instid1(VALU_DEP_1)
	v_mul_hi_u32 v52, v51, v52
	v_add_nc_u32_e32 v51, v51, v52
	s_delay_alu instid0(VALU_DEP_1) | instskip(NEXT) | instid1(VALU_DEP_1)
	v_mul_hi_u32 v51, v86, v51
	v_mul_lo_u32 v52, v51, s44
	v_add_nc_u32_e32 v53, 1, v51
	s_delay_alu instid0(VALU_DEP_2) | instskip(NEXT) | instid1(VALU_DEP_1)
	v_sub_nc_u32_e32 v52, v86, v52
	v_subrev_nc_u32_e32 v54, s44, v52
	v_cmp_le_u32_e32 vcc_lo, s44, v52
	s_delay_alu instid0(VALU_DEP_2) | instskip(NEXT) | instid1(VALU_DEP_1)
	v_dual_cndmask_b32 v52, v52, v54 :: v_dual_cndmask_b32 v51, v51, v53
	v_cmp_le_u32_e32 vcc_lo, s44, v52
	s_delay_alu instid0(VALU_DEP_2) | instskip(NEXT) | instid1(VALU_DEP_1)
	v_dual_mov_b32 v52, 0 :: v_dual_add_nc_u32 v53, 1, v51
	v_cndmask_b32_e32 v51, v51, v53, vcc_lo
.LBB1169_113:
	s_or_b32 exec_lo, exec_lo, s0
	v_add_co_u32 v88, vcc_lo, 0xc00, v63
	v_add_co_ci_u32_e32 v89, vcc_lo, 0, v64, vcc_lo
	v_mov_b32_e32 v53, 0
	s_delay_alu instid0(VALU_DEP_2) | instskip(NEXT) | instid1(VALU_DEP_1)
	v_or_b32_e32 v54, s45, v89
	v_cmp_ne_u64_e32 vcc_lo, 0, v[53:54]
                                        ; implicit-def: $vgpr53_vgpr54
	s_and_saveexec_b32 s0, vcc_lo
	s_delay_alu instid0(SALU_CYCLE_1)
	s_xor_b32 s1, exec_lo, s0
	s_cbranch_execz .LBB1169_115
; %bb.114:
	s_ashr_i32 s4, s45, 31
	s_delay_alu instid0(SALU_CYCLE_1) | instskip(SKIP_2) | instid1(SALU_CYCLE_1)
	s_add_u32 s6, s44, s4
	s_mov_b32 s5, s4
	s_addc_u32 s7, s45, s4
	s_xor_b64 s[6:7], s[6:7], s[4:5]
	s_delay_alu instid0(SALU_CYCLE_1) | instskip(SKIP_3) | instid1(VALU_DEP_1)
	v_cvt_f32_u32_e32 v53, s6
	v_cvt_f32_u32_e32 v54, s7
	s_sub_u32 s0, 0, s6
	s_subb_u32 s5, 0, s7
	v_fmamk_f32 v53, v54, 0x4f800000, v53
	s_delay_alu instid0(VALU_DEP_1) | instskip(SKIP_2) | instid1(VALU_DEP_1)
	v_rcp_f32_e32 v53, v53
	s_waitcnt_depctr 0xfff
	v_mul_f32_e32 v53, 0x5f7ffffc, v53
	v_mul_f32_e32 v54, 0x2f800000, v53
	s_delay_alu instid0(VALU_DEP_1) | instskip(NEXT) | instid1(VALU_DEP_1)
	v_trunc_f32_e32 v54, v54
	v_fmamk_f32 v53, v54, 0xcf800000, v53
	v_cvt_u32_f32_e32 v54, v54
	s_delay_alu instid0(VALU_DEP_2) | instskip(NEXT) | instid1(VALU_DEP_2)
	v_cvt_u32_f32_e32 v53, v53
	v_mul_lo_u32 v55, s0, v54
	s_delay_alu instid0(VALU_DEP_2) | instskip(SKIP_1) | instid1(VALU_DEP_2)
	v_mul_hi_u32 v56, s0, v53
	v_mul_lo_u32 v59, s5, v53
	v_add_nc_u32_e32 v55, v56, v55
	v_mul_lo_u32 v56, s0, v53
	s_delay_alu instid0(VALU_DEP_2) | instskip(NEXT) | instid1(VALU_DEP_2)
	v_add_nc_u32_e32 v55, v55, v59
	v_mul_hi_u32 v59, v53, v56
	s_delay_alu instid0(VALU_DEP_2)
	v_mul_lo_u32 v60, v53, v55
	v_mul_hi_u32 v90, v53, v55
	v_mul_hi_u32 v91, v54, v56
	v_mul_lo_u32 v56, v54, v56
	v_mul_hi_u32 v92, v54, v55
	v_mul_lo_u32 v55, v54, v55
	v_add_co_u32 v59, vcc_lo, v59, v60
	v_add_co_ci_u32_e32 v60, vcc_lo, 0, v90, vcc_lo
	s_delay_alu instid0(VALU_DEP_2) | instskip(NEXT) | instid1(VALU_DEP_2)
	v_add_co_u32 v56, vcc_lo, v59, v56
	v_add_co_ci_u32_e32 v56, vcc_lo, v60, v91, vcc_lo
	v_add_co_ci_u32_e32 v59, vcc_lo, 0, v92, vcc_lo
	v_ashrrev_i32_e32 v91, 31, v89
	s_delay_alu instid0(VALU_DEP_3) | instskip(NEXT) | instid1(VALU_DEP_3)
	v_add_co_u32 v55, vcc_lo, v56, v55
	v_add_co_ci_u32_e32 v56, vcc_lo, 0, v59, vcc_lo
	s_delay_alu instid0(VALU_DEP_2) | instskip(NEXT) | instid1(VALU_DEP_2)
	v_add_co_u32 v53, vcc_lo, v53, v55
	v_add_co_ci_u32_e32 v54, vcc_lo, v54, v56, vcc_lo
	s_delay_alu instid0(VALU_DEP_2) | instskip(SKIP_1) | instid1(VALU_DEP_3)
	v_mul_hi_u32 v55, s0, v53
	v_mul_lo_u32 v59, s5, v53
	v_mul_lo_u32 v56, s0, v54
	s_delay_alu instid0(VALU_DEP_1) | instskip(SKIP_1) | instid1(VALU_DEP_2)
	v_add_nc_u32_e32 v55, v55, v56
	v_mul_lo_u32 v56, s0, v53
	v_add_nc_u32_e32 v55, v55, v59
	s_delay_alu instid0(VALU_DEP_2) | instskip(NEXT) | instid1(VALU_DEP_2)
	v_mul_hi_u32 v59, v53, v56
	v_mul_lo_u32 v60, v53, v55
	v_mul_hi_u32 v90, v53, v55
	v_mul_hi_u32 v92, v54, v56
	v_mul_lo_u32 v56, v54, v56
	v_mul_hi_u32 v93, v54, v55
	v_mul_lo_u32 v55, v54, v55
	v_add_co_u32 v59, vcc_lo, v59, v60
	v_add_co_ci_u32_e32 v60, vcc_lo, 0, v90, vcc_lo
	s_delay_alu instid0(VALU_DEP_2) | instskip(NEXT) | instid1(VALU_DEP_2)
	v_add_co_u32 v56, vcc_lo, v59, v56
	v_add_co_ci_u32_e32 v56, vcc_lo, v60, v92, vcc_lo
	v_add_co_ci_u32_e32 v59, vcc_lo, 0, v93, vcc_lo
	v_add_co_u32 v60, vcc_lo, v88, v91
	v_add_co_ci_u32_e32 v90, vcc_lo, v89, v91, vcc_lo
	s_delay_alu instid0(VALU_DEP_4) | instskip(NEXT) | instid1(VALU_DEP_4)
	v_add_co_u32 v55, vcc_lo, v56, v55
	v_add_co_ci_u32_e32 v56, vcc_lo, 0, v59, vcc_lo
	s_delay_alu instid0(VALU_DEP_4) | instskip(NEXT) | instid1(VALU_DEP_3)
	v_xor_b32_e32 v92, v60, v91
	v_add_co_u32 v59, vcc_lo, v53, v55
	s_delay_alu instid0(VALU_DEP_3) | instskip(SKIP_1) | instid1(VALU_DEP_3)
	v_add_co_ci_u32_e32 v93, vcc_lo, v54, v56, vcc_lo
	v_xor_b32_e32 v90, v90, v91
	v_mul_hi_u32 v94, v92, v59
	s_delay_alu instid0(VALU_DEP_3) | instskip(NEXT) | instid1(VALU_DEP_3)
	v_mad_u64_u32 v[53:54], null, v92, v93, 0
	v_mad_u64_u32 v[55:56], null, v90, v59, 0
	;; [unrolled: 1-line block ×3, first 2 shown]
	s_delay_alu instid0(VALU_DEP_3) | instskip(NEXT) | instid1(VALU_DEP_4)
	v_add_co_u32 v53, vcc_lo, v94, v53
	v_add_co_ci_u32_e32 v54, vcc_lo, 0, v54, vcc_lo
	s_delay_alu instid0(VALU_DEP_2) | instskip(NEXT) | instid1(VALU_DEP_2)
	v_add_co_u32 v53, vcc_lo, v53, v55
	v_add_co_ci_u32_e32 v53, vcc_lo, v54, v56, vcc_lo
	v_add_co_ci_u32_e32 v54, vcc_lo, 0, v60, vcc_lo
	s_delay_alu instid0(VALU_DEP_2) | instskip(NEXT) | instid1(VALU_DEP_2)
	v_add_co_u32 v55, vcc_lo, v53, v59
	v_add_co_ci_u32_e32 v56, vcc_lo, 0, v54, vcc_lo
	s_delay_alu instid0(VALU_DEP_2) | instskip(SKIP_1) | instid1(VALU_DEP_3)
	v_mul_lo_u32 v59, s7, v55
	v_mad_u64_u32 v[53:54], null, s6, v55, 0
	v_mul_lo_u32 v60, s6, v56
	s_delay_alu instid0(VALU_DEP_2) | instskip(NEXT) | instid1(VALU_DEP_2)
	v_sub_co_u32 v53, vcc_lo, v92, v53
	v_add3_u32 v54, v54, v60, v59
	s_delay_alu instid0(VALU_DEP_1) | instskip(NEXT) | instid1(VALU_DEP_1)
	v_sub_nc_u32_e32 v59, v90, v54
	v_subrev_co_ci_u32_e64 v59, s0, s7, v59, vcc_lo
	v_add_co_u32 v60, s0, v55, 2
	s_delay_alu instid0(VALU_DEP_1) | instskip(SKIP_3) | instid1(VALU_DEP_3)
	v_add_co_ci_u32_e64 v92, s0, 0, v56, s0
	v_sub_co_u32 v93, s0, v53, s6
	v_sub_co_ci_u32_e32 v54, vcc_lo, v90, v54, vcc_lo
	v_subrev_co_ci_u32_e64 v59, s0, 0, v59, s0
	v_cmp_le_u32_e32 vcc_lo, s6, v93
	s_delay_alu instid0(VALU_DEP_3) | instskip(SKIP_1) | instid1(VALU_DEP_4)
	v_cmp_eq_u32_e64 s0, s7, v54
	v_cndmask_b32_e64 v90, 0, -1, vcc_lo
	v_cmp_le_u32_e32 vcc_lo, s7, v59
	v_cndmask_b32_e64 v93, 0, -1, vcc_lo
	v_cmp_le_u32_e32 vcc_lo, s6, v53
	;; [unrolled: 2-line block ×3, first 2 shown]
	v_cndmask_b32_e64 v94, 0, -1, vcc_lo
	v_cmp_eq_u32_e32 vcc_lo, s7, v59
	s_delay_alu instid0(VALU_DEP_2) | instskip(SKIP_3) | instid1(VALU_DEP_3)
	v_cndmask_b32_e64 v53, v94, v53, s0
	v_cndmask_b32_e32 v59, v93, v90, vcc_lo
	v_add_co_u32 v90, vcc_lo, v55, 1
	v_add_co_ci_u32_e32 v93, vcc_lo, 0, v56, vcc_lo
	v_cmp_ne_u32_e32 vcc_lo, 0, v59
	s_delay_alu instid0(VALU_DEP_2) | instskip(NEXT) | instid1(VALU_DEP_4)
	v_cndmask_b32_e32 v54, v93, v92, vcc_lo
	v_cndmask_b32_e32 v59, v90, v60, vcc_lo
	v_cmp_ne_u32_e32 vcc_lo, 0, v53
	v_xor_b32_e32 v60, s4, v91
	s_delay_alu instid0(VALU_DEP_3) | instskip(NEXT) | instid1(VALU_DEP_1)
	v_dual_cndmask_b32 v53, v56, v54 :: v_dual_cndmask_b32 v54, v55, v59
	v_xor_b32_e32 v55, v53, v60
	s_delay_alu instid0(VALU_DEP_2) | instskip(NEXT) | instid1(VALU_DEP_1)
	v_xor_b32_e32 v54, v54, v60
	v_sub_co_u32 v53, vcc_lo, v54, v60
	s_delay_alu instid0(VALU_DEP_3)
	v_sub_co_ci_u32_e32 v54, vcc_lo, v55, v60, vcc_lo
.LBB1169_115:
	s_and_not1_saveexec_b32 s0, s1
	s_cbranch_execz .LBB1169_117
; %bb.116:
	v_rcp_iflag_f32_e32 v53, v69
	s_sub_i32 s1, 0, s44
	s_waitcnt_depctr 0xfff
	v_mul_f32_e32 v53, 0x4f7ffffe, v53
	s_delay_alu instid0(VALU_DEP_1) | instskip(NEXT) | instid1(VALU_DEP_1)
	v_cvt_u32_f32_e32 v53, v53
	v_mul_lo_u32 v54, s1, v53
	s_delay_alu instid0(VALU_DEP_1) | instskip(NEXT) | instid1(VALU_DEP_1)
	v_mul_hi_u32 v54, v53, v54
	v_add_nc_u32_e32 v53, v53, v54
	s_delay_alu instid0(VALU_DEP_1) | instskip(NEXT) | instid1(VALU_DEP_1)
	v_mul_hi_u32 v53, v88, v53
	v_mul_lo_u32 v54, v53, s44
	v_add_nc_u32_e32 v55, 1, v53
	s_delay_alu instid0(VALU_DEP_2) | instskip(NEXT) | instid1(VALU_DEP_1)
	v_sub_nc_u32_e32 v54, v88, v54
	v_subrev_nc_u32_e32 v56, s44, v54
	v_cmp_le_u32_e32 vcc_lo, s44, v54
	s_delay_alu instid0(VALU_DEP_2) | instskip(NEXT) | instid1(VALU_DEP_1)
	v_dual_cndmask_b32 v54, v54, v56 :: v_dual_cndmask_b32 v53, v53, v55
	v_cmp_le_u32_e32 vcc_lo, s44, v54
	s_delay_alu instid0(VALU_DEP_2) | instskip(NEXT) | instid1(VALU_DEP_1)
	v_dual_mov_b32 v54, 0 :: v_dual_add_nc_u32 v55, 1, v53
	v_cndmask_b32_e32 v53, v53, v55, vcc_lo
.LBB1169_117:
	s_or_b32 exec_lo, exec_lo, s0
	v_add_co_u32 v92, vcc_lo, 0xd00, v63
	v_add_co_ci_u32_e32 v93, vcc_lo, 0, v64, vcc_lo
	v_mov_b32_e32 v55, 0
                                        ; implicit-def: $vgpr59_vgpr60
	s_mov_b32 s0, exec_lo
	s_delay_alu instid0(VALU_DEP_2) | instskip(NEXT) | instid1(VALU_DEP_1)
	v_or_b32_e32 v56, s45, v93
	v_cmpx_ne_u64_e32 0, v[55:56]
	s_xor_b32 s1, exec_lo, s0
	s_cbranch_execz .LBB1169_119
; %bb.118:
	s_ashr_i32 s4, s45, 31
	s_delay_alu instid0(SALU_CYCLE_1) | instskip(SKIP_2) | instid1(SALU_CYCLE_1)
	s_add_u32 s6, s44, s4
	s_mov_b32 s5, s4
	s_addc_u32 s7, s45, s4
	s_xor_b64 s[6:7], s[6:7], s[4:5]
	s_delay_alu instid0(SALU_CYCLE_1) | instskip(SKIP_3) | instid1(VALU_DEP_1)
	v_cvt_f32_u32_e32 v55, s6
	v_cvt_f32_u32_e32 v56, s7
	s_sub_u32 s0, 0, s6
	s_subb_u32 s5, 0, s7
	v_fmamk_f32 v55, v56, 0x4f800000, v55
	s_delay_alu instid0(VALU_DEP_1) | instskip(SKIP_2) | instid1(VALU_DEP_1)
	v_rcp_f32_e32 v55, v55
	s_waitcnt_depctr 0xfff
	v_mul_f32_e32 v55, 0x5f7ffffc, v55
	v_mul_f32_e32 v56, 0x2f800000, v55
	s_delay_alu instid0(VALU_DEP_1) | instskip(NEXT) | instid1(VALU_DEP_1)
	v_trunc_f32_e32 v56, v56
	v_fmamk_f32 v55, v56, 0xcf800000, v55
	v_cvt_u32_f32_e32 v56, v56
	s_delay_alu instid0(VALU_DEP_2) | instskip(NEXT) | instid1(VALU_DEP_2)
	v_cvt_u32_f32_e32 v55, v55
	v_mul_lo_u32 v59, s0, v56
	s_delay_alu instid0(VALU_DEP_2) | instskip(SKIP_1) | instid1(VALU_DEP_2)
	v_mul_hi_u32 v60, s0, v55
	v_mul_lo_u32 v90, s5, v55
	v_add_nc_u32_e32 v59, v60, v59
	v_mul_lo_u32 v60, s0, v55
	s_delay_alu instid0(VALU_DEP_2) | instskip(NEXT) | instid1(VALU_DEP_2)
	v_add_nc_u32_e32 v59, v59, v90
	v_mul_hi_u32 v90, v55, v60
	s_delay_alu instid0(VALU_DEP_2)
	v_mul_lo_u32 v91, v55, v59
	v_mul_hi_u32 v94, v55, v59
	v_mul_hi_u32 v95, v56, v60
	v_mul_lo_u32 v60, v56, v60
	v_mul_hi_u32 v96, v56, v59
	v_mul_lo_u32 v59, v56, v59
	v_add_co_u32 v90, vcc_lo, v90, v91
	v_add_co_ci_u32_e32 v91, vcc_lo, 0, v94, vcc_lo
	s_delay_alu instid0(VALU_DEP_2) | instskip(NEXT) | instid1(VALU_DEP_2)
	v_add_co_u32 v60, vcc_lo, v90, v60
	v_add_co_ci_u32_e32 v60, vcc_lo, v91, v95, vcc_lo
	v_add_co_ci_u32_e32 v90, vcc_lo, 0, v96, vcc_lo
	v_ashrrev_i32_e32 v95, 31, v93
	s_delay_alu instid0(VALU_DEP_3) | instskip(NEXT) | instid1(VALU_DEP_3)
	v_add_co_u32 v59, vcc_lo, v60, v59
	v_add_co_ci_u32_e32 v60, vcc_lo, 0, v90, vcc_lo
	s_delay_alu instid0(VALU_DEP_2) | instskip(NEXT) | instid1(VALU_DEP_2)
	v_add_co_u32 v55, vcc_lo, v55, v59
	v_add_co_ci_u32_e32 v56, vcc_lo, v56, v60, vcc_lo
	s_delay_alu instid0(VALU_DEP_2) | instskip(SKIP_1) | instid1(VALU_DEP_3)
	v_mul_hi_u32 v59, s0, v55
	v_mul_lo_u32 v90, s5, v55
	v_mul_lo_u32 v60, s0, v56
	s_delay_alu instid0(VALU_DEP_1) | instskip(SKIP_1) | instid1(VALU_DEP_2)
	v_add_nc_u32_e32 v59, v59, v60
	v_mul_lo_u32 v60, s0, v55
	v_add_nc_u32_e32 v59, v59, v90
	s_delay_alu instid0(VALU_DEP_2) | instskip(NEXT) | instid1(VALU_DEP_2)
	v_mul_hi_u32 v90, v55, v60
	v_mul_lo_u32 v91, v55, v59
	v_mul_hi_u32 v94, v55, v59
	v_mul_hi_u32 v96, v56, v60
	v_mul_lo_u32 v60, v56, v60
	v_mul_hi_u32 v97, v56, v59
	v_mul_lo_u32 v59, v56, v59
	v_add_co_u32 v90, vcc_lo, v90, v91
	v_add_co_ci_u32_e32 v91, vcc_lo, 0, v94, vcc_lo
	s_delay_alu instid0(VALU_DEP_2) | instskip(NEXT) | instid1(VALU_DEP_2)
	v_add_co_u32 v60, vcc_lo, v90, v60
	v_add_co_ci_u32_e32 v60, vcc_lo, v91, v96, vcc_lo
	v_add_co_ci_u32_e32 v90, vcc_lo, 0, v97, vcc_lo
	v_add_co_u32 v91, vcc_lo, v92, v95
	v_add_co_ci_u32_e32 v94, vcc_lo, v93, v95, vcc_lo
	s_delay_alu instid0(VALU_DEP_4) | instskip(NEXT) | instid1(VALU_DEP_4)
	v_add_co_u32 v59, vcc_lo, v60, v59
	v_add_co_ci_u32_e32 v60, vcc_lo, 0, v90, vcc_lo
	s_delay_alu instid0(VALU_DEP_4) | instskip(NEXT) | instid1(VALU_DEP_3)
	v_xor_b32_e32 v96, v91, v95
	v_add_co_u32 v90, vcc_lo, v55, v59
	s_delay_alu instid0(VALU_DEP_3) | instskip(SKIP_1) | instid1(VALU_DEP_3)
	v_add_co_ci_u32_e32 v97, vcc_lo, v56, v60, vcc_lo
	v_xor_b32_e32 v94, v94, v95
	v_mul_hi_u32 v98, v96, v90
	s_delay_alu instid0(VALU_DEP_3) | instskip(NEXT) | instid1(VALU_DEP_3)
	v_mad_u64_u32 v[55:56], null, v96, v97, 0
	v_mad_u64_u32 v[59:60], null, v94, v90, 0
	;; [unrolled: 1-line block ×3, first 2 shown]
	s_delay_alu instid0(VALU_DEP_3) | instskip(NEXT) | instid1(VALU_DEP_4)
	v_add_co_u32 v55, vcc_lo, v98, v55
	v_add_co_ci_u32_e32 v56, vcc_lo, 0, v56, vcc_lo
	s_delay_alu instid0(VALU_DEP_2) | instskip(NEXT) | instid1(VALU_DEP_2)
	v_add_co_u32 v55, vcc_lo, v55, v59
	v_add_co_ci_u32_e32 v55, vcc_lo, v56, v60, vcc_lo
	v_add_co_ci_u32_e32 v56, vcc_lo, 0, v91, vcc_lo
	s_delay_alu instid0(VALU_DEP_2) | instskip(NEXT) | instid1(VALU_DEP_2)
	v_add_co_u32 v59, vcc_lo, v55, v90
	v_add_co_ci_u32_e32 v60, vcc_lo, 0, v56, vcc_lo
	s_delay_alu instid0(VALU_DEP_2) | instskip(SKIP_1) | instid1(VALU_DEP_3)
	v_mul_lo_u32 v90, s7, v59
	v_mad_u64_u32 v[55:56], null, s6, v59, 0
	v_mul_lo_u32 v91, s6, v60
	s_delay_alu instid0(VALU_DEP_2) | instskip(NEXT) | instid1(VALU_DEP_2)
	v_sub_co_u32 v55, vcc_lo, v96, v55
	v_add3_u32 v56, v56, v91, v90
	s_delay_alu instid0(VALU_DEP_1) | instskip(NEXT) | instid1(VALU_DEP_1)
	v_sub_nc_u32_e32 v90, v94, v56
	v_subrev_co_ci_u32_e64 v90, s0, s7, v90, vcc_lo
	v_add_co_u32 v91, s0, v59, 2
	s_delay_alu instid0(VALU_DEP_1) | instskip(SKIP_3) | instid1(VALU_DEP_3)
	v_add_co_ci_u32_e64 v96, s0, 0, v60, s0
	v_sub_co_u32 v97, s0, v55, s6
	v_sub_co_ci_u32_e32 v56, vcc_lo, v94, v56, vcc_lo
	v_subrev_co_ci_u32_e64 v90, s0, 0, v90, s0
	v_cmp_le_u32_e32 vcc_lo, s6, v97
	s_delay_alu instid0(VALU_DEP_3) | instskip(SKIP_1) | instid1(VALU_DEP_4)
	v_cmp_eq_u32_e64 s0, s7, v56
	v_cndmask_b32_e64 v94, 0, -1, vcc_lo
	v_cmp_le_u32_e32 vcc_lo, s7, v90
	v_cndmask_b32_e64 v97, 0, -1, vcc_lo
	v_cmp_le_u32_e32 vcc_lo, s6, v55
	;; [unrolled: 2-line block ×3, first 2 shown]
	v_cndmask_b32_e64 v98, 0, -1, vcc_lo
	v_cmp_eq_u32_e32 vcc_lo, s7, v90
	s_delay_alu instid0(VALU_DEP_2) | instskip(SKIP_3) | instid1(VALU_DEP_3)
	v_cndmask_b32_e64 v55, v98, v55, s0
	v_cndmask_b32_e32 v90, v97, v94, vcc_lo
	v_add_co_u32 v94, vcc_lo, v59, 1
	v_add_co_ci_u32_e32 v97, vcc_lo, 0, v60, vcc_lo
	v_cmp_ne_u32_e32 vcc_lo, 0, v90
	s_delay_alu instid0(VALU_DEP_2) | instskip(NEXT) | instid1(VALU_DEP_4)
	v_cndmask_b32_e32 v56, v97, v96, vcc_lo
	v_cndmask_b32_e32 v90, v94, v91, vcc_lo
	v_cmp_ne_u32_e32 vcc_lo, 0, v55
	v_xor_b32_e32 v55, s4, v95
	s_delay_alu instid0(VALU_DEP_3) | instskip(NEXT) | instid1(VALU_DEP_1)
	v_dual_cndmask_b32 v56, v60, v56 :: v_dual_cndmask_b32 v59, v59, v90
	v_xor_b32_e32 v56, v56, v55
	s_delay_alu instid0(VALU_DEP_2) | instskip(NEXT) | instid1(VALU_DEP_1)
	v_xor_b32_e32 v59, v59, v55
	v_sub_co_u32 v59, vcc_lo, v59, v55
	s_delay_alu instid0(VALU_DEP_3)
	v_sub_co_ci_u32_e32 v60, vcc_lo, v56, v55, vcc_lo
.LBB1169_119:
	s_and_not1_saveexec_b32 s0, s1
	s_cbranch_execz .LBB1169_121
; %bb.120:
	v_rcp_iflag_f32_e32 v55, v69
	s_sub_i32 s1, 0, s44
	s_waitcnt_depctr 0xfff
	v_mul_f32_e32 v55, 0x4f7ffffe, v55
	s_delay_alu instid0(VALU_DEP_1) | instskip(NEXT) | instid1(VALU_DEP_1)
	v_cvt_u32_f32_e32 v55, v55
	v_mul_lo_u32 v56, s1, v55
	s_delay_alu instid0(VALU_DEP_1) | instskip(NEXT) | instid1(VALU_DEP_1)
	v_mul_hi_u32 v56, v55, v56
	v_add_nc_u32_e32 v55, v55, v56
	s_delay_alu instid0(VALU_DEP_1) | instskip(NEXT) | instid1(VALU_DEP_1)
	v_mul_hi_u32 v55, v92, v55
	v_mul_lo_u32 v56, v55, s44
	v_add_nc_u32_e32 v59, 1, v55
	s_delay_alu instid0(VALU_DEP_2) | instskip(NEXT) | instid1(VALU_DEP_1)
	v_sub_nc_u32_e32 v56, v92, v56
	v_subrev_nc_u32_e32 v60, s44, v56
	v_cmp_le_u32_e32 vcc_lo, s44, v56
	s_delay_alu instid0(VALU_DEP_2) | instskip(SKIP_1) | instid1(VALU_DEP_2)
	v_cndmask_b32_e32 v56, v56, v60, vcc_lo
	v_dual_mov_b32 v60, 0 :: v_dual_cndmask_b32 v55, v55, v59
	v_cmp_le_u32_e32 vcc_lo, s44, v56
	s_delay_alu instid0(VALU_DEP_2) | instskip(NEXT) | instid1(VALU_DEP_1)
	v_add_nc_u32_e32 v59, 1, v55
	v_cndmask_b32_e32 v59, v55, v59, vcc_lo
.LBB1169_121:
	s_or_b32 exec_lo, exec_lo, s0
	v_add_co_u32 v90, vcc_lo, 0xe00, v63
	v_add_co_ci_u32_e32 v91, vcc_lo, 0, v64, vcc_lo
	v_mov_b32_e32 v55, 0
	s_delay_alu instid0(VALU_DEP_2) | instskip(NEXT) | instid1(VALU_DEP_1)
	v_or_b32_e32 v56, s45, v91
	v_cmp_ne_u64_e32 vcc_lo, 0, v[55:56]
                                        ; implicit-def: $vgpr55_vgpr56
	s_and_saveexec_b32 s0, vcc_lo
	s_delay_alu instid0(SALU_CYCLE_1)
	s_xor_b32 s1, exec_lo, s0
	s_cbranch_execz .LBB1169_123
; %bb.122:
	s_ashr_i32 s4, s45, 31
	s_delay_alu instid0(SALU_CYCLE_1) | instskip(SKIP_2) | instid1(SALU_CYCLE_1)
	s_add_u32 s6, s44, s4
	s_mov_b32 s5, s4
	s_addc_u32 s7, s45, s4
	s_xor_b64 s[6:7], s[6:7], s[4:5]
	s_delay_alu instid0(SALU_CYCLE_1) | instskip(SKIP_3) | instid1(VALU_DEP_1)
	v_cvt_f32_u32_e32 v55, s6
	v_cvt_f32_u32_e32 v56, s7
	s_sub_u32 s0, 0, s6
	s_subb_u32 s5, 0, s7
	v_fmamk_f32 v55, v56, 0x4f800000, v55
	s_delay_alu instid0(VALU_DEP_1) | instskip(SKIP_2) | instid1(VALU_DEP_1)
	v_rcp_f32_e32 v55, v55
	s_waitcnt_depctr 0xfff
	v_mul_f32_e32 v55, 0x5f7ffffc, v55
	v_mul_f32_e32 v56, 0x2f800000, v55
	s_delay_alu instid0(VALU_DEP_1) | instskip(NEXT) | instid1(VALU_DEP_1)
	v_trunc_f32_e32 v56, v56
	v_fmamk_f32 v55, v56, 0xcf800000, v55
	v_cvt_u32_f32_e32 v56, v56
	s_delay_alu instid0(VALU_DEP_2) | instskip(NEXT) | instid1(VALU_DEP_2)
	v_cvt_u32_f32_e32 v55, v55
	v_mul_lo_u32 v69, s0, v56
	s_delay_alu instid0(VALU_DEP_2) | instskip(SKIP_1) | instid1(VALU_DEP_2)
	v_mul_hi_u32 v94, s0, v55
	v_mul_lo_u32 v95, s5, v55
	v_add_nc_u32_e32 v69, v94, v69
	v_mul_lo_u32 v94, s0, v55
	s_delay_alu instid0(VALU_DEP_2) | instskip(NEXT) | instid1(VALU_DEP_2)
	v_add_nc_u32_e32 v69, v69, v95
	v_mul_hi_u32 v95, v55, v94
	s_delay_alu instid0(VALU_DEP_2)
	v_mul_lo_u32 v96, v55, v69
	v_mul_hi_u32 v97, v55, v69
	v_mul_hi_u32 v98, v56, v94
	v_mul_lo_u32 v94, v56, v94
	v_mul_hi_u32 v99, v56, v69
	v_mul_lo_u32 v69, v56, v69
	v_add_co_u32 v95, vcc_lo, v95, v96
	v_add_co_ci_u32_e32 v96, vcc_lo, 0, v97, vcc_lo
	s_delay_alu instid0(VALU_DEP_2) | instskip(NEXT) | instid1(VALU_DEP_2)
	v_add_co_u32 v94, vcc_lo, v95, v94
	v_add_co_ci_u32_e32 v94, vcc_lo, v96, v98, vcc_lo
	v_add_co_ci_u32_e32 v95, vcc_lo, 0, v99, vcc_lo
	v_ashrrev_i32_e32 v98, 31, v91
	s_delay_alu instid0(VALU_DEP_3) | instskip(NEXT) | instid1(VALU_DEP_3)
	v_add_co_u32 v69, vcc_lo, v94, v69
	v_add_co_ci_u32_e32 v94, vcc_lo, 0, v95, vcc_lo
	s_delay_alu instid0(VALU_DEP_2) | instskip(NEXT) | instid1(VALU_DEP_2)
	v_add_co_u32 v55, vcc_lo, v55, v69
	v_add_co_ci_u32_e32 v56, vcc_lo, v56, v94, vcc_lo
	s_delay_alu instid0(VALU_DEP_2) | instskip(SKIP_1) | instid1(VALU_DEP_3)
	v_mul_hi_u32 v69, s0, v55
	v_mul_lo_u32 v95, s5, v55
	v_mul_lo_u32 v94, s0, v56
	s_delay_alu instid0(VALU_DEP_1) | instskip(SKIP_1) | instid1(VALU_DEP_2)
	v_add_nc_u32_e32 v69, v69, v94
	v_mul_lo_u32 v94, s0, v55
	v_add_nc_u32_e32 v69, v69, v95
	s_delay_alu instid0(VALU_DEP_2) | instskip(NEXT) | instid1(VALU_DEP_2)
	v_mul_hi_u32 v95, v55, v94
	v_mul_lo_u32 v96, v55, v69
	v_mul_hi_u32 v97, v55, v69
	v_mul_hi_u32 v99, v56, v94
	v_mul_lo_u32 v94, v56, v94
	v_mul_hi_u32 v100, v56, v69
	v_mul_lo_u32 v69, v56, v69
	v_add_co_u32 v95, vcc_lo, v95, v96
	v_add_co_ci_u32_e32 v96, vcc_lo, 0, v97, vcc_lo
	s_delay_alu instid0(VALU_DEP_2) | instskip(NEXT) | instid1(VALU_DEP_2)
	v_add_co_u32 v94, vcc_lo, v95, v94
	v_add_co_ci_u32_e32 v94, vcc_lo, v96, v99, vcc_lo
	v_add_co_ci_u32_e32 v95, vcc_lo, 0, v100, vcc_lo
	v_add_co_u32 v96, vcc_lo, v90, v98
	v_add_co_ci_u32_e32 v97, vcc_lo, v91, v98, vcc_lo
	s_delay_alu instid0(VALU_DEP_4) | instskip(NEXT) | instid1(VALU_DEP_4)
	v_add_co_u32 v69, vcc_lo, v94, v69
	v_add_co_ci_u32_e32 v94, vcc_lo, 0, v95, vcc_lo
	s_delay_alu instid0(VALU_DEP_4) | instskip(NEXT) | instid1(VALU_DEP_3)
	v_xor_b32_e32 v99, v96, v98
	v_add_co_u32 v69, vcc_lo, v55, v69
	s_delay_alu instid0(VALU_DEP_3) | instskip(SKIP_1) | instid1(VALU_DEP_3)
	v_add_co_ci_u32_e32 v100, vcc_lo, v56, v94, vcc_lo
	v_xor_b32_e32 v101, v97, v98
	v_mul_hi_u32 v102, v99, v69
	s_delay_alu instid0(VALU_DEP_3) | instskip(NEXT) | instid1(VALU_DEP_3)
	v_mad_u64_u32 v[55:56], null, v99, v100, 0
	v_mad_u64_u32 v[94:95], null, v101, v69, 0
	;; [unrolled: 1-line block ×3, first 2 shown]
	s_delay_alu instid0(VALU_DEP_3) | instskip(NEXT) | instid1(VALU_DEP_4)
	v_add_co_u32 v55, vcc_lo, v102, v55
	v_add_co_ci_u32_e32 v56, vcc_lo, 0, v56, vcc_lo
	s_delay_alu instid0(VALU_DEP_2) | instskip(NEXT) | instid1(VALU_DEP_2)
	v_add_co_u32 v55, vcc_lo, v55, v94
	v_add_co_ci_u32_e32 v55, vcc_lo, v56, v95, vcc_lo
	v_add_co_ci_u32_e32 v56, vcc_lo, 0, v97, vcc_lo
	s_delay_alu instid0(VALU_DEP_2) | instskip(NEXT) | instid1(VALU_DEP_2)
	v_add_co_u32 v69, vcc_lo, v55, v96
	v_add_co_ci_u32_e32 v94, vcc_lo, 0, v56, vcc_lo
	s_delay_alu instid0(VALU_DEP_2) | instskip(SKIP_1) | instid1(VALU_DEP_3)
	v_mul_lo_u32 v95, s7, v69
	v_mad_u64_u32 v[55:56], null, s6, v69, 0
	v_mul_lo_u32 v96, s6, v94
	s_delay_alu instid0(VALU_DEP_2) | instskip(NEXT) | instid1(VALU_DEP_2)
	v_sub_co_u32 v55, vcc_lo, v99, v55
	v_add3_u32 v56, v56, v96, v95
	s_delay_alu instid0(VALU_DEP_1) | instskip(NEXT) | instid1(VALU_DEP_1)
	v_sub_nc_u32_e32 v95, v101, v56
	v_subrev_co_ci_u32_e64 v95, s0, s7, v95, vcc_lo
	v_add_co_u32 v96, s0, v69, 2
	s_delay_alu instid0(VALU_DEP_1) | instskip(SKIP_3) | instid1(VALU_DEP_3)
	v_add_co_ci_u32_e64 v97, s0, 0, v94, s0
	v_sub_co_u32 v99, s0, v55, s6
	v_sub_co_ci_u32_e32 v56, vcc_lo, v101, v56, vcc_lo
	v_subrev_co_ci_u32_e64 v95, s0, 0, v95, s0
	v_cmp_le_u32_e32 vcc_lo, s6, v99
	s_delay_alu instid0(VALU_DEP_3) | instskip(SKIP_1) | instid1(VALU_DEP_4)
	v_cmp_eq_u32_e64 s0, s7, v56
	v_cndmask_b32_e64 v99, 0, -1, vcc_lo
	v_cmp_le_u32_e32 vcc_lo, s7, v95
	v_cndmask_b32_e64 v100, 0, -1, vcc_lo
	v_cmp_le_u32_e32 vcc_lo, s6, v55
	;; [unrolled: 2-line block ×3, first 2 shown]
	v_cndmask_b32_e64 v101, 0, -1, vcc_lo
	v_cmp_eq_u32_e32 vcc_lo, s7, v95
	s_delay_alu instid0(VALU_DEP_2) | instskip(SKIP_3) | instid1(VALU_DEP_3)
	v_cndmask_b32_e64 v55, v101, v55, s0
	v_cndmask_b32_e32 v95, v100, v99, vcc_lo
	v_add_co_u32 v99, vcc_lo, v69, 1
	v_add_co_ci_u32_e32 v100, vcc_lo, 0, v94, vcc_lo
	v_cmp_ne_u32_e32 vcc_lo, 0, v95
	s_delay_alu instid0(VALU_DEP_2) | instskip(SKIP_2) | instid1(VALU_DEP_3)
	v_dual_cndmask_b32 v56, v100, v97 :: v_dual_cndmask_b32 v95, v99, v96
	v_cmp_ne_u32_e32 vcc_lo, 0, v55
	v_xor_b32_e32 v96, s4, v98
	v_dual_cndmask_b32 v55, v94, v56 :: v_dual_cndmask_b32 v56, v69, v95
	s_delay_alu instid0(VALU_DEP_1) | instskip(NEXT) | instid1(VALU_DEP_2)
	v_xor_b32_e32 v69, v55, v96
	v_xor_b32_e32 v56, v56, v96
	s_delay_alu instid0(VALU_DEP_1) | instskip(NEXT) | instid1(VALU_DEP_3)
	v_sub_co_u32 v55, vcc_lo, v56, v96
	v_sub_co_ci_u32_e32 v56, vcc_lo, v69, v96, vcc_lo
                                        ; implicit-def: $vgpr69
.LBB1169_123:
	s_and_not1_saveexec_b32 s0, s1
	s_cbranch_execz .LBB1169_125
; %bb.124:
	v_rcp_iflag_f32_e32 v55, v69
	s_sub_i32 s1, 0, s44
	s_waitcnt_depctr 0xfff
	v_mul_f32_e32 v55, 0x4f7ffffe, v55
	s_delay_alu instid0(VALU_DEP_1) | instskip(NEXT) | instid1(VALU_DEP_1)
	v_cvt_u32_f32_e32 v55, v55
	v_mul_lo_u32 v56, s1, v55
	s_delay_alu instid0(VALU_DEP_1) | instskip(NEXT) | instid1(VALU_DEP_1)
	v_mul_hi_u32 v56, v55, v56
	v_add_nc_u32_e32 v55, v55, v56
	s_delay_alu instid0(VALU_DEP_1) | instskip(NEXT) | instid1(VALU_DEP_1)
	v_mul_hi_u32 v55, v90, v55
	v_mul_lo_u32 v56, v55, s44
	v_add_nc_u32_e32 v69, 1, v55
	s_delay_alu instid0(VALU_DEP_2) | instskip(NEXT) | instid1(VALU_DEP_1)
	v_sub_nc_u32_e32 v56, v90, v56
	v_subrev_nc_u32_e32 v94, s44, v56
	v_cmp_le_u32_e32 vcc_lo, s44, v56
	s_delay_alu instid0(VALU_DEP_2) | instskip(NEXT) | instid1(VALU_DEP_1)
	v_dual_cndmask_b32 v56, v56, v94 :: v_dual_cndmask_b32 v55, v55, v69
	v_cmp_le_u32_e32 vcc_lo, s44, v56
	s_delay_alu instid0(VALU_DEP_2) | instskip(NEXT) | instid1(VALU_DEP_1)
	v_dual_mov_b32 v56, 0 :: v_dual_add_nc_u32 v69, 1, v55
	v_cndmask_b32_e32 v55, v55, v69, vcc_lo
.LBB1169_125:
	s_or_b32 exec_lo, exec_lo, s0
	v_mul_lo_u32 v69, v60, s44
	v_mul_lo_u32 v98, v59, s45
	v_mad_u64_u32 v[94:95], null, v59, s44, 0
	v_mul_lo_u32 v100, v54, s44
	v_mul_lo_u32 v101, v53, s45
	v_mad_u64_u32 v[96:97], null, v53, s44, 0
	v_mul_lo_u32 v102, v51, s45
	v_add3_u32 v69, v95, v98, v69
	v_sub_co_u32 v92, vcc_lo, v92, v94
	v_mul_lo_u32 v95, v52, s44
	v_mad_u64_u32 v[98:99], null, v51, s44, 0
	s_delay_alu instid0(VALU_DEP_4) | instskip(NEXT) | instid1(VALU_DEP_4)
	v_sub_co_ci_u32_e32 v69, vcc_lo, v93, v69, vcc_lo
	v_add_co_u32 v59, vcc_lo, v59, v92
	s_delay_alu instid0(VALU_DEP_2) | instskip(SKIP_4) | instid1(VALU_DEP_4)
	v_add_co_ci_u32_e32 v60, vcc_lo, v60, v69, vcc_lo
	v_add3_u32 v69, v97, v101, v100
	v_add3_u32 v92, v99, v102, v95
	v_sub_co_u32 v93, vcc_lo, v88, v96
	v_mul_lo_u32 v95, v50, s44
	v_sub_co_ci_u32_e32 v69, vcc_lo, v89, v69, vcc_lo
	v_sub_co_u32 v94, vcc_lo, v86, v98
	v_sub_co_ci_u32_e32 v92, vcc_lo, v87, v92, vcc_lo
	v_mul_lo_u32 v96, v49, s45
	v_mad_u64_u32 v[86:87], null, v49, s44, 0
	v_mul_lo_u32 v97, v48, s44
	v_mul_lo_u32 v98, v47, s45
	v_mad_u64_u32 v[88:89], null, v47, s44, 0
	v_add_co_u32 v53, vcc_lo, v53, v93
	v_add_co_ci_u32_e32 v54, vcc_lo, v54, v69, vcc_lo
	v_add_co_u32 v51, vcc_lo, v51, v94
	v_add3_u32 v69, v87, v96, v95
	v_add_co_ci_u32_e32 v52, vcc_lo, v52, v92, vcc_lo
	v_add3_u32 v87, v89, v98, v97
	v_sub_co_u32 v86, vcc_lo, v84, v86
	s_delay_alu instid0(VALU_DEP_4) | instskip(SKIP_1) | instid1(VALU_DEP_4)
	v_sub_co_ci_u32_e32 v69, vcc_lo, v85, v69, vcc_lo
	v_sub_co_u32 v88, vcc_lo, v82, v88
	v_sub_co_ci_u32_e32 v87, vcc_lo, v83, v87, vcc_lo
	v_mul_lo_u32 v89, v46, s44
	v_mul_lo_u32 v92, v45, s45
	v_mad_u64_u32 v[82:83], null, v45, s44, 0
	v_mul_lo_u32 v93, v44, s44
	v_mul_lo_u32 v94, v43, s45
	v_mad_u64_u32 v[84:85], null, v43, s44, 0
	v_add_co_u32 v49, vcc_lo, v49, v86
	v_add_co_ci_u32_e32 v50, vcc_lo, v50, v69, vcc_lo
	v_add_co_u32 v47, vcc_lo, v47, v88
	v_add3_u32 v69, v83, v92, v89
	v_add_co_ci_u32_e32 v48, vcc_lo, v48, v87, vcc_lo
	v_add3_u32 v83, v85, v94, v93
	v_sub_co_u32 v82, vcc_lo, v80, v82
	s_delay_alu instid0(VALU_DEP_4) | instskip(SKIP_1) | instid1(VALU_DEP_4)
	v_sub_co_ci_u32_e32 v69, vcc_lo, v81, v69, vcc_lo
	v_sub_co_u32 v84, vcc_lo, v78, v84
	v_sub_co_ci_u32_e32 v83, vcc_lo, v79, v83, vcc_lo
	v_mul_lo_u32 v85, v42, s44
	;; [unrolled: 17-line block ×3, first 2 shown]
	v_mul_lo_u32 v82, v37, s45
	v_mad_u64_u32 v[74:75], null, v37, s44, 0
	v_mul_lo_u32 v83, v36, s44
	v_mul_lo_u32 v84, v35, s45
	v_mad_u64_u32 v[76:77], null, v35, s44, 0
	v_add_co_u32 v41, vcc_lo, v41, v78
	v_add_co_ci_u32_e32 v42, vcc_lo, v42, v69, vcc_lo
	v_add_co_u32 v39, vcc_lo, v39, v80
	v_add3_u32 v69, v75, v82, v81
	v_add_co_ci_u32_e32 v40, vcc_lo, v40, v79, vcc_lo
	v_sub_co_u32 v74, vcc_lo, v72, v74
	v_add3_u32 v75, v77, v84, v83
	s_delay_alu instid0(VALU_DEP_4)
	v_sub_co_ci_u32_e32 v73, vcc_lo, v73, v69, vcc_lo
	v_sub_co_u32 v76, vcc_lo, v70, v76
	v_mul_lo_u32 v77, v34, s44
	v_mul_lo_u32 v78, v33, s45
	v_mad_u64_u32 v[69:70], null, v33, s44, 0
	v_sub_co_ci_u32_e32 v75, vcc_lo, v71, v75, vcc_lo
	v_mul_lo_u32 v79, v32, s44
	v_mul_lo_u32 v80, v31, s45
	v_mad_u64_u32 v[71:72], null, v31, s44, 0
	v_add_co_u32 v37, vcc_lo, v37, v74
	v_add_co_ci_u32_e32 v38, vcc_lo, v38, v73, vcc_lo
	v_add_co_u32 v35, vcc_lo, v35, v76
	v_add3_u32 v70, v70, v78, v77
	v_add_co_ci_u32_e32 v36, vcc_lo, v36, v75, vcc_lo
	v_add3_u32 v72, v72, v80, v79
	v_sub_co_u32 v69, vcc_lo, v67, v69
	s_delay_alu instid0(VALU_DEP_4) | instskip(SKIP_1) | instid1(VALU_DEP_4)
	v_sub_co_ci_u32_e32 v70, vcc_lo, v68, v70, vcc_lo
	v_sub_co_u32 v71, vcc_lo, v65, v71
	v_sub_co_ci_u32_e32 v72, vcc_lo, v66, v72, vcc_lo
	v_mul_lo_u32 v73, v30, s44
	v_mul_lo_u32 v74, v29, s45
	v_mad_u64_u32 v[65:66], null, v29, s44, 0
	v_mul_lo_u32 v75, v56, s44
	v_mul_lo_u32 v76, v55, s45
	v_mad_u64_u32 v[67:68], null, v55, s44, 0
	v_add_co_u32 v33, vcc_lo, v33, v69
	v_add_co_ci_u32_e32 v34, vcc_lo, v34, v70, vcc_lo
	v_add_co_u32 v31, vcc_lo, v31, v71
	v_add3_u32 v66, v66, v74, v73
	v_add_co_ci_u32_e32 v32, vcc_lo, v32, v72, vcc_lo
	v_add3_u32 v68, v68, v76, v75
	v_sub_co_u32 v63, vcc_lo, v63, v65
	s_delay_alu instid0(VALU_DEP_4) | instskip(SKIP_1) | instid1(VALU_DEP_4)
	v_sub_co_ci_u32_e32 v64, vcc_lo, v64, v66, vcc_lo
	v_sub_co_u32 v65, vcc_lo, v90, v67
	v_sub_co_ci_u32_e32 v66, vcc_lo, v91, v68, vcc_lo
	s_delay_alu instid0(VALU_DEP_4) | instskip(NEXT) | instid1(VALU_DEP_4)
	v_add_co_u32 v29, vcc_lo, v29, v63
	v_add_co_ci_u32_e32 v30, vcc_lo, v30, v64, vcc_lo
	s_delay_alu instid0(VALU_DEP_4) | instskip(NEXT) | instid1(VALU_DEP_4)
	v_add_co_u32 v55, vcc_lo, v55, v65
	v_add_co_ci_u32_e32 v56, vcc_lo, v56, v66, vcc_lo
	ds_store_2addr_stride64_b64 v62, v[29:30], v[31:32] offset1:4
	ds_store_2addr_stride64_b64 v62, v[33:34], v[35:36] offset0:8 offset1:12
	ds_store_2addr_stride64_b64 v62, v[37:38], v[39:40] offset0:16 offset1:20
	;; [unrolled: 1-line block ×6, first 2 shown]
	ds_store_b64 v62, v[55:56] offset:28672
	s_waitcnt lgkmcnt(0)
	s_barrier
	s_add_i32 s34, s34, s64
	s_branch .LBB1169_308
.LBB1169_126:
                                        ; implicit-def: $vgpr61
                                        ; implicit-def: $vgpr25_vgpr26
                                        ; implicit-def: $vgpr21_vgpr22
                                        ; implicit-def: $vgpr17_vgpr18
                                        ; implicit-def: $vgpr13_vgpr14
                                        ; implicit-def: $vgpr9_vgpr10
                                        ; implicit-def: $vgpr5_vgpr6
                                        ; implicit-def: $vgpr1_vgpr2
                                        ; implicit-def: $vgpr57_vgpr58
	s_add_i32 s34, s34, s64
	s_cbranch_execz .LBB1169_308
; %bb.127:
	v_cmp_gt_u32_e64 s16, s34, v0
                                        ; implicit-def: $vgpr1_vgpr2
	s_delay_alu instid0(VALU_DEP_1)
	s_and_saveexec_b32 s1, s16
	s_cbranch_execz .LBB1169_133
; %bb.128:
	v_add_co_u32 v3, s0, s24, v0
	s_delay_alu instid0(VALU_DEP_1) | instskip(SKIP_1) | instid1(VALU_DEP_2)
	v_add_co_ci_u32_e64 v4, null, s25, 0, s0
	v_mov_b32_e32 v1, 0
	v_or_b32_e32 v2, s39, v4
	s_delay_alu instid0(VALU_DEP_1) | instskip(SKIP_1) | instid1(SALU_CYCLE_1)
	v_cmp_ne_u64_e32 vcc_lo, 0, v[1:2]
                                        ; implicit-def: $vgpr1_vgpr2
	s_and_saveexec_b32 s0, vcc_lo
	s_xor_b32 s8, exec_lo, s0
	s_cbranch_execz .LBB1169_130
; %bb.129:
	s_ashr_i32 s4, s39, 31
	s_delay_alu instid0(SALU_CYCLE_1) | instskip(SKIP_2) | instid1(SALU_CYCLE_1)
	s_add_u32 s6, s38, s4
	s_mov_b32 s5, s4
	s_addc_u32 s7, s39, s4
	s_xor_b64 s[6:7], s[6:7], s[4:5]
	s_delay_alu instid0(SALU_CYCLE_1) | instskip(SKIP_3) | instid1(VALU_DEP_1)
	v_cvt_f32_u32_e32 v1, s6
	v_cvt_f32_u32_e32 v2, s7
	s_sub_u32 s0, 0, s6
	s_subb_u32 s5, 0, s7
	v_fmamk_f32 v1, v2, 0x4f800000, v1
	s_delay_alu instid0(VALU_DEP_1) | instskip(SKIP_2) | instid1(VALU_DEP_1)
	v_rcp_f32_e32 v1, v1
	s_waitcnt_depctr 0xfff
	v_mul_f32_e32 v1, 0x5f7ffffc, v1
	v_mul_f32_e32 v2, 0x2f800000, v1
	s_delay_alu instid0(VALU_DEP_1) | instskip(NEXT) | instid1(VALU_DEP_1)
	v_trunc_f32_e32 v2, v2
	v_fmamk_f32 v1, v2, 0xcf800000, v1
	v_cvt_u32_f32_e32 v2, v2
	s_delay_alu instid0(VALU_DEP_2) | instskip(NEXT) | instid1(VALU_DEP_2)
	v_cvt_u32_f32_e32 v1, v1
	v_mul_lo_u32 v5, s0, v2
	s_delay_alu instid0(VALU_DEP_2) | instskip(SKIP_1) | instid1(VALU_DEP_2)
	v_mul_hi_u32 v6, s0, v1
	v_mul_lo_u32 v7, s5, v1
	v_add_nc_u32_e32 v5, v6, v5
	v_mul_lo_u32 v6, s0, v1
	s_delay_alu instid0(VALU_DEP_2) | instskip(NEXT) | instid1(VALU_DEP_2)
	v_add_nc_u32_e32 v5, v5, v7
	v_mul_hi_u32 v7, v1, v6
	s_delay_alu instid0(VALU_DEP_2)
	v_mul_lo_u32 v8, v1, v5
	v_mul_hi_u32 v9, v1, v5
	v_mul_hi_u32 v10, v2, v6
	v_mul_lo_u32 v6, v2, v6
	v_mul_hi_u32 v11, v2, v5
	v_mul_lo_u32 v5, v2, v5
	v_add_co_u32 v7, vcc_lo, v7, v8
	v_add_co_ci_u32_e32 v8, vcc_lo, 0, v9, vcc_lo
	s_delay_alu instid0(VALU_DEP_2) | instskip(NEXT) | instid1(VALU_DEP_2)
	v_add_co_u32 v6, vcc_lo, v7, v6
	v_add_co_ci_u32_e32 v6, vcc_lo, v8, v10, vcc_lo
	v_add_co_ci_u32_e32 v7, vcc_lo, 0, v11, vcc_lo
	v_ashrrev_i32_e32 v10, 31, v4
	s_delay_alu instid0(VALU_DEP_3) | instskip(NEXT) | instid1(VALU_DEP_3)
	v_add_co_u32 v5, vcc_lo, v6, v5
	v_add_co_ci_u32_e32 v6, vcc_lo, 0, v7, vcc_lo
	s_delay_alu instid0(VALU_DEP_2) | instskip(NEXT) | instid1(VALU_DEP_2)
	v_add_co_u32 v1, vcc_lo, v1, v5
	v_add_co_ci_u32_e32 v2, vcc_lo, v2, v6, vcc_lo
	s_delay_alu instid0(VALU_DEP_2) | instskip(SKIP_1) | instid1(VALU_DEP_3)
	v_mul_hi_u32 v5, s0, v1
	v_mul_lo_u32 v7, s5, v1
	v_mul_lo_u32 v6, s0, v2
	s_delay_alu instid0(VALU_DEP_1) | instskip(SKIP_1) | instid1(VALU_DEP_2)
	v_add_nc_u32_e32 v5, v5, v6
	v_mul_lo_u32 v6, s0, v1
	v_add_nc_u32_e32 v5, v5, v7
	s_delay_alu instid0(VALU_DEP_2) | instskip(NEXT) | instid1(VALU_DEP_2)
	v_mul_hi_u32 v7, v1, v6
	v_mul_lo_u32 v8, v1, v5
	v_mul_hi_u32 v9, v1, v5
	v_mul_hi_u32 v11, v2, v6
	v_mul_lo_u32 v6, v2, v6
	v_mul_hi_u32 v12, v2, v5
	v_mul_lo_u32 v5, v2, v5
	v_add_co_u32 v7, vcc_lo, v7, v8
	v_add_co_ci_u32_e32 v8, vcc_lo, 0, v9, vcc_lo
	s_delay_alu instid0(VALU_DEP_2) | instskip(NEXT) | instid1(VALU_DEP_2)
	v_add_co_u32 v6, vcc_lo, v7, v6
	v_add_co_ci_u32_e32 v6, vcc_lo, v8, v11, vcc_lo
	v_add_co_ci_u32_e32 v7, vcc_lo, 0, v12, vcc_lo
	v_add_co_u32 v3, vcc_lo, v3, v10
	v_add_co_ci_u32_e32 v4, vcc_lo, v4, v10, vcc_lo
	s_delay_alu instid0(VALU_DEP_4) | instskip(NEXT) | instid1(VALU_DEP_4)
	v_add_co_u32 v5, vcc_lo, v6, v5
	v_add_co_ci_u32_e32 v6, vcc_lo, 0, v7, vcc_lo
	s_delay_alu instid0(VALU_DEP_4) | instskip(NEXT) | instid1(VALU_DEP_3)
	v_xor_b32_e32 v7, v3, v10
	v_add_co_u32 v5, vcc_lo, v1, v5
	s_delay_alu instid0(VALU_DEP_3) | instskip(SKIP_1) | instid1(VALU_DEP_3)
	v_add_co_ci_u32_e32 v8, vcc_lo, v2, v6, vcc_lo
	v_xor_b32_e32 v9, v4, v10
	v_mul_hi_u32 v11, v7, v5
	s_delay_alu instid0(VALU_DEP_3) | instskip(NEXT) | instid1(VALU_DEP_3)
	v_mad_u64_u32 v[1:2], null, v7, v8, 0
	v_mad_u64_u32 v[3:4], null, v9, v5, 0
	;; [unrolled: 1-line block ×3, first 2 shown]
	s_delay_alu instid0(VALU_DEP_3) | instskip(NEXT) | instid1(VALU_DEP_4)
	v_add_co_u32 v1, vcc_lo, v11, v1
	v_add_co_ci_u32_e32 v2, vcc_lo, 0, v2, vcc_lo
	s_delay_alu instid0(VALU_DEP_2) | instskip(NEXT) | instid1(VALU_DEP_2)
	v_add_co_u32 v1, vcc_lo, v1, v3
	v_add_co_ci_u32_e32 v1, vcc_lo, v2, v4, vcc_lo
	v_add_co_ci_u32_e32 v2, vcc_lo, 0, v6, vcc_lo
	s_delay_alu instid0(VALU_DEP_2) | instskip(NEXT) | instid1(VALU_DEP_2)
	v_add_co_u32 v3, vcc_lo, v1, v5
	v_add_co_ci_u32_e32 v4, vcc_lo, 0, v2, vcc_lo
	s_delay_alu instid0(VALU_DEP_2) | instskip(SKIP_1) | instid1(VALU_DEP_3)
	v_mul_lo_u32 v5, s7, v3
	v_mad_u64_u32 v[1:2], null, s6, v3, 0
	v_mul_lo_u32 v6, s6, v4
	s_delay_alu instid0(VALU_DEP_2) | instskip(NEXT) | instid1(VALU_DEP_2)
	v_sub_co_u32 v1, vcc_lo, v7, v1
	v_add3_u32 v2, v2, v6, v5
	s_delay_alu instid0(VALU_DEP_1) | instskip(NEXT) | instid1(VALU_DEP_1)
	v_sub_nc_u32_e32 v5, v9, v2
	v_subrev_co_ci_u32_e64 v5, s0, s7, v5, vcc_lo
	v_add_co_u32 v6, s0, v3, 2
	s_delay_alu instid0(VALU_DEP_1) | instskip(SKIP_3) | instid1(VALU_DEP_3)
	v_add_co_ci_u32_e64 v7, s0, 0, v4, s0
	v_sub_co_u32 v8, s0, v1, s6
	v_sub_co_ci_u32_e32 v2, vcc_lo, v9, v2, vcc_lo
	v_subrev_co_ci_u32_e64 v5, s0, 0, v5, s0
	v_cmp_le_u32_e32 vcc_lo, s6, v8
	s_delay_alu instid0(VALU_DEP_3) | instskip(SKIP_1) | instid1(VALU_DEP_4)
	v_cmp_eq_u32_e64 s0, s7, v2
	v_cndmask_b32_e64 v8, 0, -1, vcc_lo
	v_cmp_le_u32_e32 vcc_lo, s7, v5
	v_cndmask_b32_e64 v9, 0, -1, vcc_lo
	v_cmp_le_u32_e32 vcc_lo, s6, v1
	;; [unrolled: 2-line block ×3, first 2 shown]
	v_cndmask_b32_e64 v11, 0, -1, vcc_lo
	v_cmp_eq_u32_e32 vcc_lo, s7, v5
	s_delay_alu instid0(VALU_DEP_2) | instskip(SKIP_3) | instid1(VALU_DEP_3)
	v_cndmask_b32_e64 v1, v11, v1, s0
	v_cndmask_b32_e32 v5, v9, v8, vcc_lo
	v_add_co_u32 v8, vcc_lo, v3, 1
	v_add_co_ci_u32_e32 v9, vcc_lo, 0, v4, vcc_lo
	v_cmp_ne_u32_e32 vcc_lo, 0, v5
	s_delay_alu instid0(VALU_DEP_2) | instskip(SKIP_2) | instid1(VALU_DEP_3)
	v_dual_cndmask_b32 v2, v9, v7 :: v_dual_cndmask_b32 v5, v8, v6
	v_cmp_ne_u32_e32 vcc_lo, 0, v1
	v_xor_b32_e32 v6, s4, v10
	v_dual_cndmask_b32 v1, v4, v2 :: v_dual_cndmask_b32 v2, v3, v5
	s_delay_alu instid0(VALU_DEP_1) | instskip(NEXT) | instid1(VALU_DEP_2)
	v_xor_b32_e32 v3, v1, v6
	v_xor_b32_e32 v2, v2, v6
	s_delay_alu instid0(VALU_DEP_1) | instskip(NEXT) | instid1(VALU_DEP_3)
	v_sub_co_u32 v1, vcc_lo, v2, v6
	v_sub_co_ci_u32_e32 v2, vcc_lo, v3, v6, vcc_lo
                                        ; implicit-def: $vgpr3
.LBB1169_130:
	s_and_not1_saveexec_b32 s0, s8
	s_cbranch_execz .LBB1169_132
; %bb.131:
	v_cvt_f32_u32_e32 v1, s38
	s_sub_i32 s4, 0, s38
	s_delay_alu instid0(VALU_DEP_1) | instskip(SKIP_2) | instid1(VALU_DEP_1)
	v_rcp_iflag_f32_e32 v1, v1
	s_waitcnt_depctr 0xfff
	v_mul_f32_e32 v1, 0x4f7ffffe, v1
	v_cvt_u32_f32_e32 v1, v1
	s_delay_alu instid0(VALU_DEP_1) | instskip(NEXT) | instid1(VALU_DEP_1)
	v_mul_lo_u32 v2, s4, v1
	v_mul_hi_u32 v2, v1, v2
	s_delay_alu instid0(VALU_DEP_1) | instskip(NEXT) | instid1(VALU_DEP_1)
	v_add_nc_u32_e32 v1, v1, v2
	v_mul_hi_u32 v1, v3, v1
	s_delay_alu instid0(VALU_DEP_1) | instskip(NEXT) | instid1(VALU_DEP_1)
	v_mul_lo_u32 v2, v1, s38
	v_sub_nc_u32_e32 v2, v3, v2
	v_add_nc_u32_e32 v3, 1, v1
	s_delay_alu instid0(VALU_DEP_2) | instskip(SKIP_1) | instid1(VALU_DEP_2)
	v_subrev_nc_u32_e32 v4, s38, v2
	v_cmp_le_u32_e32 vcc_lo, s38, v2
	v_dual_cndmask_b32 v2, v2, v4 :: v_dual_cndmask_b32 v1, v1, v3
	s_delay_alu instid0(VALU_DEP_1) | instskip(NEXT) | instid1(VALU_DEP_2)
	v_cmp_le_u32_e32 vcc_lo, s38, v2
	v_dual_mov_b32 v2, 0 :: v_dual_add_nc_u32 v3, 1, v1
	s_delay_alu instid0(VALU_DEP_1)
	v_cndmask_b32_e32 v1, v1, v3, vcc_lo
.LBB1169_132:
	s_or_b32 exec_lo, exec_lo, s0
.LBB1169_133:
	s_delay_alu instid0(SALU_CYCLE_1) | instskip(SKIP_1) | instid1(VALU_DEP_1)
	s_or_b32 exec_lo, exec_lo, s1
	v_or_b32_e32 v33, 0x100, v0
                                        ; implicit-def: $vgpr3_vgpr4
	v_cmp_gt_u32_e64 s15, s34, v33
	s_delay_alu instid0(VALU_DEP_1)
	s_and_saveexec_b32 s1, s15
	s_cbranch_execz .LBB1169_139
; %bb.134:
	v_add_co_u32 v5, s0, s24, v33
	s_delay_alu instid0(VALU_DEP_1) | instskip(SKIP_1) | instid1(VALU_DEP_2)
	v_add_co_ci_u32_e64 v6, null, s25, 0, s0
	v_mov_b32_e32 v3, 0
	v_or_b32_e32 v4, s39, v6
	s_delay_alu instid0(VALU_DEP_1) | instskip(SKIP_1) | instid1(SALU_CYCLE_1)
	v_cmp_ne_u64_e32 vcc_lo, 0, v[3:4]
                                        ; implicit-def: $vgpr3_vgpr4
	s_and_saveexec_b32 s0, vcc_lo
	s_xor_b32 s8, exec_lo, s0
	s_cbranch_execz .LBB1169_136
; %bb.135:
	s_ashr_i32 s4, s39, 31
	s_delay_alu instid0(SALU_CYCLE_1) | instskip(SKIP_2) | instid1(SALU_CYCLE_1)
	s_add_u32 s6, s38, s4
	s_mov_b32 s5, s4
	s_addc_u32 s7, s39, s4
	s_xor_b64 s[6:7], s[6:7], s[4:5]
	s_delay_alu instid0(SALU_CYCLE_1) | instskip(SKIP_3) | instid1(VALU_DEP_1)
	v_cvt_f32_u32_e32 v3, s6
	v_cvt_f32_u32_e32 v4, s7
	s_sub_u32 s0, 0, s6
	s_subb_u32 s5, 0, s7
	v_fmamk_f32 v3, v4, 0x4f800000, v3
	s_delay_alu instid0(VALU_DEP_1) | instskip(SKIP_2) | instid1(VALU_DEP_1)
	v_rcp_f32_e32 v3, v3
	s_waitcnt_depctr 0xfff
	v_mul_f32_e32 v3, 0x5f7ffffc, v3
	v_mul_f32_e32 v4, 0x2f800000, v3
	s_delay_alu instid0(VALU_DEP_1) | instskip(NEXT) | instid1(VALU_DEP_1)
	v_trunc_f32_e32 v4, v4
	v_fmamk_f32 v3, v4, 0xcf800000, v3
	v_cvt_u32_f32_e32 v4, v4
	s_delay_alu instid0(VALU_DEP_2) | instskip(NEXT) | instid1(VALU_DEP_2)
	v_cvt_u32_f32_e32 v3, v3
	v_mul_lo_u32 v7, s0, v4
	s_delay_alu instid0(VALU_DEP_2) | instskip(SKIP_1) | instid1(VALU_DEP_2)
	v_mul_hi_u32 v8, s0, v3
	v_mul_lo_u32 v9, s5, v3
	v_add_nc_u32_e32 v7, v8, v7
	v_mul_lo_u32 v8, s0, v3
	s_delay_alu instid0(VALU_DEP_2) | instskip(NEXT) | instid1(VALU_DEP_2)
	v_add_nc_u32_e32 v7, v7, v9
	v_mul_hi_u32 v9, v3, v8
	s_delay_alu instid0(VALU_DEP_2)
	v_mul_lo_u32 v10, v3, v7
	v_mul_hi_u32 v11, v3, v7
	v_mul_hi_u32 v12, v4, v8
	v_mul_lo_u32 v8, v4, v8
	v_mul_hi_u32 v13, v4, v7
	v_mul_lo_u32 v7, v4, v7
	v_add_co_u32 v9, vcc_lo, v9, v10
	v_add_co_ci_u32_e32 v10, vcc_lo, 0, v11, vcc_lo
	s_delay_alu instid0(VALU_DEP_2) | instskip(NEXT) | instid1(VALU_DEP_2)
	v_add_co_u32 v8, vcc_lo, v9, v8
	v_add_co_ci_u32_e32 v8, vcc_lo, v10, v12, vcc_lo
	v_add_co_ci_u32_e32 v9, vcc_lo, 0, v13, vcc_lo
	v_ashrrev_i32_e32 v12, 31, v6
	s_delay_alu instid0(VALU_DEP_3) | instskip(NEXT) | instid1(VALU_DEP_3)
	v_add_co_u32 v7, vcc_lo, v8, v7
	v_add_co_ci_u32_e32 v8, vcc_lo, 0, v9, vcc_lo
	s_delay_alu instid0(VALU_DEP_2) | instskip(NEXT) | instid1(VALU_DEP_2)
	v_add_co_u32 v3, vcc_lo, v3, v7
	v_add_co_ci_u32_e32 v4, vcc_lo, v4, v8, vcc_lo
	s_delay_alu instid0(VALU_DEP_2) | instskip(SKIP_1) | instid1(VALU_DEP_3)
	v_mul_hi_u32 v7, s0, v3
	v_mul_lo_u32 v9, s5, v3
	v_mul_lo_u32 v8, s0, v4
	s_delay_alu instid0(VALU_DEP_1) | instskip(SKIP_1) | instid1(VALU_DEP_2)
	v_add_nc_u32_e32 v7, v7, v8
	v_mul_lo_u32 v8, s0, v3
	v_add_nc_u32_e32 v7, v7, v9
	s_delay_alu instid0(VALU_DEP_2) | instskip(NEXT) | instid1(VALU_DEP_2)
	v_mul_hi_u32 v9, v3, v8
	v_mul_lo_u32 v10, v3, v7
	v_mul_hi_u32 v11, v3, v7
	v_mul_hi_u32 v13, v4, v8
	v_mul_lo_u32 v8, v4, v8
	v_mul_hi_u32 v14, v4, v7
	v_mul_lo_u32 v7, v4, v7
	v_add_co_u32 v9, vcc_lo, v9, v10
	v_add_co_ci_u32_e32 v10, vcc_lo, 0, v11, vcc_lo
	s_delay_alu instid0(VALU_DEP_2) | instskip(NEXT) | instid1(VALU_DEP_2)
	v_add_co_u32 v8, vcc_lo, v9, v8
	v_add_co_ci_u32_e32 v8, vcc_lo, v10, v13, vcc_lo
	v_add_co_ci_u32_e32 v9, vcc_lo, 0, v14, vcc_lo
	v_add_co_u32 v5, vcc_lo, v5, v12
	v_add_co_ci_u32_e32 v6, vcc_lo, v6, v12, vcc_lo
	s_delay_alu instid0(VALU_DEP_4) | instskip(NEXT) | instid1(VALU_DEP_4)
	v_add_co_u32 v7, vcc_lo, v8, v7
	v_add_co_ci_u32_e32 v8, vcc_lo, 0, v9, vcc_lo
	s_delay_alu instid0(VALU_DEP_4) | instskip(NEXT) | instid1(VALU_DEP_3)
	v_xor_b32_e32 v9, v5, v12
	v_add_co_u32 v7, vcc_lo, v3, v7
	s_delay_alu instid0(VALU_DEP_3) | instskip(SKIP_1) | instid1(VALU_DEP_3)
	v_add_co_ci_u32_e32 v10, vcc_lo, v4, v8, vcc_lo
	v_xor_b32_e32 v11, v6, v12
	v_mul_hi_u32 v13, v9, v7
	s_delay_alu instid0(VALU_DEP_3) | instskip(NEXT) | instid1(VALU_DEP_3)
	v_mad_u64_u32 v[3:4], null, v9, v10, 0
	v_mad_u64_u32 v[5:6], null, v11, v7, 0
	;; [unrolled: 1-line block ×3, first 2 shown]
	s_delay_alu instid0(VALU_DEP_3) | instskip(NEXT) | instid1(VALU_DEP_4)
	v_add_co_u32 v3, vcc_lo, v13, v3
	v_add_co_ci_u32_e32 v4, vcc_lo, 0, v4, vcc_lo
	s_delay_alu instid0(VALU_DEP_2) | instskip(NEXT) | instid1(VALU_DEP_2)
	v_add_co_u32 v3, vcc_lo, v3, v5
	v_add_co_ci_u32_e32 v3, vcc_lo, v4, v6, vcc_lo
	v_add_co_ci_u32_e32 v4, vcc_lo, 0, v8, vcc_lo
	s_delay_alu instid0(VALU_DEP_2) | instskip(NEXT) | instid1(VALU_DEP_2)
	v_add_co_u32 v5, vcc_lo, v3, v7
	v_add_co_ci_u32_e32 v6, vcc_lo, 0, v4, vcc_lo
	s_delay_alu instid0(VALU_DEP_2) | instskip(SKIP_1) | instid1(VALU_DEP_3)
	v_mul_lo_u32 v7, s7, v5
	v_mad_u64_u32 v[3:4], null, s6, v5, 0
	v_mul_lo_u32 v8, s6, v6
	s_delay_alu instid0(VALU_DEP_2) | instskip(NEXT) | instid1(VALU_DEP_2)
	v_sub_co_u32 v3, vcc_lo, v9, v3
	v_add3_u32 v4, v4, v8, v7
	s_delay_alu instid0(VALU_DEP_1) | instskip(NEXT) | instid1(VALU_DEP_1)
	v_sub_nc_u32_e32 v7, v11, v4
	v_subrev_co_ci_u32_e64 v7, s0, s7, v7, vcc_lo
	v_add_co_u32 v8, s0, v5, 2
	s_delay_alu instid0(VALU_DEP_1) | instskip(SKIP_3) | instid1(VALU_DEP_3)
	v_add_co_ci_u32_e64 v9, s0, 0, v6, s0
	v_sub_co_u32 v10, s0, v3, s6
	v_sub_co_ci_u32_e32 v4, vcc_lo, v11, v4, vcc_lo
	v_subrev_co_ci_u32_e64 v7, s0, 0, v7, s0
	v_cmp_le_u32_e32 vcc_lo, s6, v10
	s_delay_alu instid0(VALU_DEP_3) | instskip(SKIP_1) | instid1(VALU_DEP_4)
	v_cmp_eq_u32_e64 s0, s7, v4
	v_cndmask_b32_e64 v10, 0, -1, vcc_lo
	v_cmp_le_u32_e32 vcc_lo, s7, v7
	v_cndmask_b32_e64 v11, 0, -1, vcc_lo
	v_cmp_le_u32_e32 vcc_lo, s6, v3
	;; [unrolled: 2-line block ×3, first 2 shown]
	v_cndmask_b32_e64 v13, 0, -1, vcc_lo
	v_cmp_eq_u32_e32 vcc_lo, s7, v7
	s_delay_alu instid0(VALU_DEP_2) | instskip(SKIP_3) | instid1(VALU_DEP_3)
	v_cndmask_b32_e64 v3, v13, v3, s0
	v_cndmask_b32_e32 v7, v11, v10, vcc_lo
	v_add_co_u32 v10, vcc_lo, v5, 1
	v_add_co_ci_u32_e32 v11, vcc_lo, 0, v6, vcc_lo
	v_cmp_ne_u32_e32 vcc_lo, 0, v7
	s_delay_alu instid0(VALU_DEP_2) | instskip(SKIP_2) | instid1(VALU_DEP_3)
	v_dual_cndmask_b32 v4, v11, v9 :: v_dual_cndmask_b32 v7, v10, v8
	v_cmp_ne_u32_e32 vcc_lo, 0, v3
	v_xor_b32_e32 v8, s4, v12
	v_dual_cndmask_b32 v3, v6, v4 :: v_dual_cndmask_b32 v4, v5, v7
	s_delay_alu instid0(VALU_DEP_1) | instskip(NEXT) | instid1(VALU_DEP_2)
	v_xor_b32_e32 v5, v3, v8
	v_xor_b32_e32 v4, v4, v8
	s_delay_alu instid0(VALU_DEP_1) | instskip(NEXT) | instid1(VALU_DEP_3)
	v_sub_co_u32 v3, vcc_lo, v4, v8
	v_sub_co_ci_u32_e32 v4, vcc_lo, v5, v8, vcc_lo
                                        ; implicit-def: $vgpr5
.LBB1169_136:
	s_and_not1_saveexec_b32 s0, s8
	s_cbranch_execz .LBB1169_138
; %bb.137:
	v_cvt_f32_u32_e32 v3, s38
	s_sub_i32 s4, 0, s38
	s_delay_alu instid0(VALU_DEP_1) | instskip(SKIP_2) | instid1(VALU_DEP_1)
	v_rcp_iflag_f32_e32 v3, v3
	s_waitcnt_depctr 0xfff
	v_mul_f32_e32 v3, 0x4f7ffffe, v3
	v_cvt_u32_f32_e32 v3, v3
	s_delay_alu instid0(VALU_DEP_1) | instskip(NEXT) | instid1(VALU_DEP_1)
	v_mul_lo_u32 v4, s4, v3
	v_mul_hi_u32 v4, v3, v4
	s_delay_alu instid0(VALU_DEP_1) | instskip(NEXT) | instid1(VALU_DEP_1)
	v_add_nc_u32_e32 v3, v3, v4
	v_mul_hi_u32 v3, v5, v3
	s_delay_alu instid0(VALU_DEP_1) | instskip(NEXT) | instid1(VALU_DEP_1)
	v_mul_lo_u32 v4, v3, s38
	v_sub_nc_u32_e32 v4, v5, v4
	v_add_nc_u32_e32 v5, 1, v3
	s_delay_alu instid0(VALU_DEP_2) | instskip(SKIP_1) | instid1(VALU_DEP_2)
	v_subrev_nc_u32_e32 v6, s38, v4
	v_cmp_le_u32_e32 vcc_lo, s38, v4
	v_dual_cndmask_b32 v4, v4, v6 :: v_dual_cndmask_b32 v3, v3, v5
	s_delay_alu instid0(VALU_DEP_1) | instskip(NEXT) | instid1(VALU_DEP_2)
	v_cmp_le_u32_e32 vcc_lo, s38, v4
	v_dual_mov_b32 v4, 0 :: v_dual_add_nc_u32 v5, 1, v3
	s_delay_alu instid0(VALU_DEP_1)
	v_cndmask_b32_e32 v3, v3, v5, vcc_lo
.LBB1169_138:
	s_or_b32 exec_lo, exec_lo, s0
.LBB1169_139:
	s_delay_alu instid0(SALU_CYCLE_1) | instskip(SKIP_1) | instid1(VALU_DEP_1)
	s_or_b32 exec_lo, exec_lo, s1
	v_or_b32_e32 v35, 0x200, v0
                                        ; implicit-def: $vgpr5_vgpr6
	v_cmp_gt_u32_e64 s14, s34, v35
	s_delay_alu instid0(VALU_DEP_1)
	s_and_saveexec_b32 s1, s14
	s_cbranch_execz .LBB1169_145
; %bb.140:
	v_add_co_u32 v7, s0, s24, v35
	s_delay_alu instid0(VALU_DEP_1) | instskip(SKIP_1) | instid1(VALU_DEP_2)
	v_add_co_ci_u32_e64 v8, null, s25, 0, s0
	v_mov_b32_e32 v5, 0
	v_or_b32_e32 v6, s39, v8
	s_delay_alu instid0(VALU_DEP_1) | instskip(SKIP_1) | instid1(SALU_CYCLE_1)
	v_cmp_ne_u64_e32 vcc_lo, 0, v[5:6]
                                        ; implicit-def: $vgpr5_vgpr6
	s_and_saveexec_b32 s0, vcc_lo
	s_xor_b32 s8, exec_lo, s0
	s_cbranch_execz .LBB1169_142
; %bb.141:
	s_ashr_i32 s4, s39, 31
	s_delay_alu instid0(SALU_CYCLE_1) | instskip(SKIP_2) | instid1(SALU_CYCLE_1)
	s_add_u32 s6, s38, s4
	s_mov_b32 s5, s4
	s_addc_u32 s7, s39, s4
	s_xor_b64 s[6:7], s[6:7], s[4:5]
	s_delay_alu instid0(SALU_CYCLE_1) | instskip(SKIP_3) | instid1(VALU_DEP_1)
	v_cvt_f32_u32_e32 v5, s6
	v_cvt_f32_u32_e32 v6, s7
	s_sub_u32 s0, 0, s6
	s_subb_u32 s5, 0, s7
	v_fmamk_f32 v5, v6, 0x4f800000, v5
	s_delay_alu instid0(VALU_DEP_1) | instskip(SKIP_2) | instid1(VALU_DEP_1)
	v_rcp_f32_e32 v5, v5
	s_waitcnt_depctr 0xfff
	v_mul_f32_e32 v5, 0x5f7ffffc, v5
	v_mul_f32_e32 v6, 0x2f800000, v5
	s_delay_alu instid0(VALU_DEP_1) | instskip(NEXT) | instid1(VALU_DEP_1)
	v_trunc_f32_e32 v6, v6
	v_fmamk_f32 v5, v6, 0xcf800000, v5
	v_cvt_u32_f32_e32 v6, v6
	s_delay_alu instid0(VALU_DEP_2) | instskip(NEXT) | instid1(VALU_DEP_2)
	v_cvt_u32_f32_e32 v5, v5
	v_mul_lo_u32 v9, s0, v6
	s_delay_alu instid0(VALU_DEP_2) | instskip(SKIP_1) | instid1(VALU_DEP_2)
	v_mul_hi_u32 v10, s0, v5
	v_mul_lo_u32 v11, s5, v5
	v_add_nc_u32_e32 v9, v10, v9
	v_mul_lo_u32 v10, s0, v5
	s_delay_alu instid0(VALU_DEP_2) | instskip(NEXT) | instid1(VALU_DEP_2)
	v_add_nc_u32_e32 v9, v9, v11
	v_mul_hi_u32 v11, v5, v10
	s_delay_alu instid0(VALU_DEP_2)
	v_mul_lo_u32 v12, v5, v9
	v_mul_hi_u32 v13, v5, v9
	v_mul_hi_u32 v14, v6, v10
	v_mul_lo_u32 v10, v6, v10
	v_mul_hi_u32 v15, v6, v9
	v_mul_lo_u32 v9, v6, v9
	v_add_co_u32 v11, vcc_lo, v11, v12
	v_add_co_ci_u32_e32 v12, vcc_lo, 0, v13, vcc_lo
	s_delay_alu instid0(VALU_DEP_2) | instskip(NEXT) | instid1(VALU_DEP_2)
	v_add_co_u32 v10, vcc_lo, v11, v10
	v_add_co_ci_u32_e32 v10, vcc_lo, v12, v14, vcc_lo
	v_add_co_ci_u32_e32 v11, vcc_lo, 0, v15, vcc_lo
	v_ashrrev_i32_e32 v14, 31, v8
	s_delay_alu instid0(VALU_DEP_3) | instskip(NEXT) | instid1(VALU_DEP_3)
	v_add_co_u32 v9, vcc_lo, v10, v9
	v_add_co_ci_u32_e32 v10, vcc_lo, 0, v11, vcc_lo
	s_delay_alu instid0(VALU_DEP_2) | instskip(NEXT) | instid1(VALU_DEP_2)
	v_add_co_u32 v5, vcc_lo, v5, v9
	v_add_co_ci_u32_e32 v6, vcc_lo, v6, v10, vcc_lo
	s_delay_alu instid0(VALU_DEP_2) | instskip(SKIP_1) | instid1(VALU_DEP_3)
	v_mul_hi_u32 v9, s0, v5
	v_mul_lo_u32 v11, s5, v5
	v_mul_lo_u32 v10, s0, v6
	s_delay_alu instid0(VALU_DEP_1) | instskip(SKIP_1) | instid1(VALU_DEP_2)
	v_add_nc_u32_e32 v9, v9, v10
	v_mul_lo_u32 v10, s0, v5
	v_add_nc_u32_e32 v9, v9, v11
	s_delay_alu instid0(VALU_DEP_2) | instskip(NEXT) | instid1(VALU_DEP_2)
	v_mul_hi_u32 v11, v5, v10
	v_mul_lo_u32 v12, v5, v9
	v_mul_hi_u32 v13, v5, v9
	v_mul_hi_u32 v15, v6, v10
	v_mul_lo_u32 v10, v6, v10
	v_mul_hi_u32 v16, v6, v9
	v_mul_lo_u32 v9, v6, v9
	v_add_co_u32 v11, vcc_lo, v11, v12
	v_add_co_ci_u32_e32 v12, vcc_lo, 0, v13, vcc_lo
	s_delay_alu instid0(VALU_DEP_2) | instskip(NEXT) | instid1(VALU_DEP_2)
	v_add_co_u32 v10, vcc_lo, v11, v10
	v_add_co_ci_u32_e32 v10, vcc_lo, v12, v15, vcc_lo
	v_add_co_ci_u32_e32 v11, vcc_lo, 0, v16, vcc_lo
	v_add_co_u32 v7, vcc_lo, v7, v14
	v_add_co_ci_u32_e32 v8, vcc_lo, v8, v14, vcc_lo
	s_delay_alu instid0(VALU_DEP_4) | instskip(NEXT) | instid1(VALU_DEP_4)
	v_add_co_u32 v9, vcc_lo, v10, v9
	v_add_co_ci_u32_e32 v10, vcc_lo, 0, v11, vcc_lo
	s_delay_alu instid0(VALU_DEP_4) | instskip(NEXT) | instid1(VALU_DEP_3)
	v_xor_b32_e32 v11, v7, v14
	v_add_co_u32 v9, vcc_lo, v5, v9
	s_delay_alu instid0(VALU_DEP_3) | instskip(SKIP_1) | instid1(VALU_DEP_3)
	v_add_co_ci_u32_e32 v12, vcc_lo, v6, v10, vcc_lo
	v_xor_b32_e32 v13, v8, v14
	v_mul_hi_u32 v15, v11, v9
	s_delay_alu instid0(VALU_DEP_3) | instskip(NEXT) | instid1(VALU_DEP_3)
	v_mad_u64_u32 v[5:6], null, v11, v12, 0
	v_mad_u64_u32 v[7:8], null, v13, v9, 0
	;; [unrolled: 1-line block ×3, first 2 shown]
	s_delay_alu instid0(VALU_DEP_3) | instskip(NEXT) | instid1(VALU_DEP_4)
	v_add_co_u32 v5, vcc_lo, v15, v5
	v_add_co_ci_u32_e32 v6, vcc_lo, 0, v6, vcc_lo
	s_delay_alu instid0(VALU_DEP_2) | instskip(NEXT) | instid1(VALU_DEP_2)
	v_add_co_u32 v5, vcc_lo, v5, v7
	v_add_co_ci_u32_e32 v5, vcc_lo, v6, v8, vcc_lo
	v_add_co_ci_u32_e32 v6, vcc_lo, 0, v10, vcc_lo
	s_delay_alu instid0(VALU_DEP_2) | instskip(NEXT) | instid1(VALU_DEP_2)
	v_add_co_u32 v7, vcc_lo, v5, v9
	v_add_co_ci_u32_e32 v8, vcc_lo, 0, v6, vcc_lo
	s_delay_alu instid0(VALU_DEP_2) | instskip(SKIP_1) | instid1(VALU_DEP_3)
	v_mul_lo_u32 v9, s7, v7
	v_mad_u64_u32 v[5:6], null, s6, v7, 0
	v_mul_lo_u32 v10, s6, v8
	s_delay_alu instid0(VALU_DEP_2) | instskip(NEXT) | instid1(VALU_DEP_2)
	v_sub_co_u32 v5, vcc_lo, v11, v5
	v_add3_u32 v6, v6, v10, v9
	s_delay_alu instid0(VALU_DEP_1) | instskip(NEXT) | instid1(VALU_DEP_1)
	v_sub_nc_u32_e32 v9, v13, v6
	v_subrev_co_ci_u32_e64 v9, s0, s7, v9, vcc_lo
	v_add_co_u32 v10, s0, v7, 2
	s_delay_alu instid0(VALU_DEP_1) | instskip(SKIP_3) | instid1(VALU_DEP_3)
	v_add_co_ci_u32_e64 v11, s0, 0, v8, s0
	v_sub_co_u32 v12, s0, v5, s6
	v_sub_co_ci_u32_e32 v6, vcc_lo, v13, v6, vcc_lo
	v_subrev_co_ci_u32_e64 v9, s0, 0, v9, s0
	v_cmp_le_u32_e32 vcc_lo, s6, v12
	s_delay_alu instid0(VALU_DEP_3) | instskip(SKIP_1) | instid1(VALU_DEP_4)
	v_cmp_eq_u32_e64 s0, s7, v6
	v_cndmask_b32_e64 v12, 0, -1, vcc_lo
	v_cmp_le_u32_e32 vcc_lo, s7, v9
	v_cndmask_b32_e64 v13, 0, -1, vcc_lo
	v_cmp_le_u32_e32 vcc_lo, s6, v5
	;; [unrolled: 2-line block ×3, first 2 shown]
	v_cndmask_b32_e64 v15, 0, -1, vcc_lo
	v_cmp_eq_u32_e32 vcc_lo, s7, v9
	s_delay_alu instid0(VALU_DEP_2) | instskip(SKIP_3) | instid1(VALU_DEP_3)
	v_cndmask_b32_e64 v5, v15, v5, s0
	v_cndmask_b32_e32 v9, v13, v12, vcc_lo
	v_add_co_u32 v12, vcc_lo, v7, 1
	v_add_co_ci_u32_e32 v13, vcc_lo, 0, v8, vcc_lo
	v_cmp_ne_u32_e32 vcc_lo, 0, v9
	s_delay_alu instid0(VALU_DEP_2) | instskip(SKIP_2) | instid1(VALU_DEP_3)
	v_dual_cndmask_b32 v6, v13, v11 :: v_dual_cndmask_b32 v9, v12, v10
	v_cmp_ne_u32_e32 vcc_lo, 0, v5
	v_xor_b32_e32 v10, s4, v14
	v_dual_cndmask_b32 v5, v8, v6 :: v_dual_cndmask_b32 v6, v7, v9
	s_delay_alu instid0(VALU_DEP_1) | instskip(NEXT) | instid1(VALU_DEP_2)
	v_xor_b32_e32 v7, v5, v10
	v_xor_b32_e32 v6, v6, v10
	s_delay_alu instid0(VALU_DEP_1) | instskip(NEXT) | instid1(VALU_DEP_3)
	v_sub_co_u32 v5, vcc_lo, v6, v10
	v_sub_co_ci_u32_e32 v6, vcc_lo, v7, v10, vcc_lo
                                        ; implicit-def: $vgpr7
.LBB1169_142:
	s_and_not1_saveexec_b32 s0, s8
	s_cbranch_execz .LBB1169_144
; %bb.143:
	v_cvt_f32_u32_e32 v5, s38
	s_sub_i32 s4, 0, s38
	s_delay_alu instid0(VALU_DEP_1) | instskip(SKIP_2) | instid1(VALU_DEP_1)
	v_rcp_iflag_f32_e32 v5, v5
	s_waitcnt_depctr 0xfff
	v_mul_f32_e32 v5, 0x4f7ffffe, v5
	v_cvt_u32_f32_e32 v5, v5
	s_delay_alu instid0(VALU_DEP_1) | instskip(NEXT) | instid1(VALU_DEP_1)
	v_mul_lo_u32 v6, s4, v5
	v_mul_hi_u32 v6, v5, v6
	s_delay_alu instid0(VALU_DEP_1) | instskip(NEXT) | instid1(VALU_DEP_1)
	v_add_nc_u32_e32 v5, v5, v6
	v_mul_hi_u32 v5, v7, v5
	s_delay_alu instid0(VALU_DEP_1) | instskip(NEXT) | instid1(VALU_DEP_1)
	v_mul_lo_u32 v6, v5, s38
	v_sub_nc_u32_e32 v6, v7, v6
	v_add_nc_u32_e32 v7, 1, v5
	s_delay_alu instid0(VALU_DEP_2) | instskip(SKIP_1) | instid1(VALU_DEP_2)
	v_subrev_nc_u32_e32 v8, s38, v6
	v_cmp_le_u32_e32 vcc_lo, s38, v6
	v_dual_cndmask_b32 v6, v6, v8 :: v_dual_cndmask_b32 v5, v5, v7
	s_delay_alu instid0(VALU_DEP_1) | instskip(NEXT) | instid1(VALU_DEP_2)
	v_cmp_le_u32_e32 vcc_lo, s38, v6
	v_dual_mov_b32 v6, 0 :: v_dual_add_nc_u32 v7, 1, v5
	s_delay_alu instid0(VALU_DEP_1)
	v_cndmask_b32_e32 v5, v5, v7, vcc_lo
.LBB1169_144:
	s_or_b32 exec_lo, exec_lo, s0
.LBB1169_145:
	s_delay_alu instid0(SALU_CYCLE_1) | instskip(SKIP_1) | instid1(VALU_DEP_1)
	s_or_b32 exec_lo, exec_lo, s1
	v_or_b32_e32 v37, 0x300, v0
                                        ; implicit-def: $vgpr7_vgpr8
	v_cmp_gt_u32_e64 s13, s34, v37
	s_delay_alu instid0(VALU_DEP_1)
	s_and_saveexec_b32 s1, s13
	s_cbranch_execz .LBB1169_151
; %bb.146:
	v_add_co_u32 v9, s0, s24, v37
	s_delay_alu instid0(VALU_DEP_1) | instskip(SKIP_1) | instid1(VALU_DEP_2)
	v_add_co_ci_u32_e64 v10, null, s25, 0, s0
	v_mov_b32_e32 v7, 0
	v_or_b32_e32 v8, s39, v10
	s_delay_alu instid0(VALU_DEP_1) | instskip(SKIP_1) | instid1(SALU_CYCLE_1)
	v_cmp_ne_u64_e32 vcc_lo, 0, v[7:8]
                                        ; implicit-def: $vgpr7_vgpr8
	s_and_saveexec_b32 s0, vcc_lo
	s_xor_b32 s8, exec_lo, s0
	s_cbranch_execz .LBB1169_148
; %bb.147:
	s_ashr_i32 s4, s39, 31
	s_delay_alu instid0(SALU_CYCLE_1) | instskip(SKIP_2) | instid1(SALU_CYCLE_1)
	s_add_u32 s6, s38, s4
	s_mov_b32 s5, s4
	s_addc_u32 s7, s39, s4
	s_xor_b64 s[6:7], s[6:7], s[4:5]
	s_delay_alu instid0(SALU_CYCLE_1) | instskip(SKIP_3) | instid1(VALU_DEP_1)
	v_cvt_f32_u32_e32 v7, s6
	v_cvt_f32_u32_e32 v8, s7
	s_sub_u32 s0, 0, s6
	s_subb_u32 s5, 0, s7
	v_fmamk_f32 v7, v8, 0x4f800000, v7
	s_delay_alu instid0(VALU_DEP_1) | instskip(SKIP_2) | instid1(VALU_DEP_1)
	v_rcp_f32_e32 v7, v7
	s_waitcnt_depctr 0xfff
	v_mul_f32_e32 v7, 0x5f7ffffc, v7
	v_mul_f32_e32 v8, 0x2f800000, v7
	s_delay_alu instid0(VALU_DEP_1) | instskip(NEXT) | instid1(VALU_DEP_1)
	v_trunc_f32_e32 v8, v8
	v_fmamk_f32 v7, v8, 0xcf800000, v7
	v_cvt_u32_f32_e32 v8, v8
	s_delay_alu instid0(VALU_DEP_2) | instskip(NEXT) | instid1(VALU_DEP_2)
	v_cvt_u32_f32_e32 v7, v7
	v_mul_lo_u32 v11, s0, v8
	s_delay_alu instid0(VALU_DEP_2) | instskip(SKIP_1) | instid1(VALU_DEP_2)
	v_mul_hi_u32 v12, s0, v7
	v_mul_lo_u32 v13, s5, v7
	v_add_nc_u32_e32 v11, v12, v11
	v_mul_lo_u32 v12, s0, v7
	s_delay_alu instid0(VALU_DEP_2) | instskip(NEXT) | instid1(VALU_DEP_2)
	v_add_nc_u32_e32 v11, v11, v13
	v_mul_hi_u32 v13, v7, v12
	s_delay_alu instid0(VALU_DEP_2)
	v_mul_lo_u32 v14, v7, v11
	v_mul_hi_u32 v15, v7, v11
	v_mul_hi_u32 v16, v8, v12
	v_mul_lo_u32 v12, v8, v12
	v_mul_hi_u32 v17, v8, v11
	v_mul_lo_u32 v11, v8, v11
	v_add_co_u32 v13, vcc_lo, v13, v14
	v_add_co_ci_u32_e32 v14, vcc_lo, 0, v15, vcc_lo
	s_delay_alu instid0(VALU_DEP_2) | instskip(NEXT) | instid1(VALU_DEP_2)
	v_add_co_u32 v12, vcc_lo, v13, v12
	v_add_co_ci_u32_e32 v12, vcc_lo, v14, v16, vcc_lo
	v_add_co_ci_u32_e32 v13, vcc_lo, 0, v17, vcc_lo
	v_ashrrev_i32_e32 v16, 31, v10
	s_delay_alu instid0(VALU_DEP_3) | instskip(NEXT) | instid1(VALU_DEP_3)
	v_add_co_u32 v11, vcc_lo, v12, v11
	v_add_co_ci_u32_e32 v12, vcc_lo, 0, v13, vcc_lo
	s_delay_alu instid0(VALU_DEP_2) | instskip(NEXT) | instid1(VALU_DEP_2)
	v_add_co_u32 v7, vcc_lo, v7, v11
	v_add_co_ci_u32_e32 v8, vcc_lo, v8, v12, vcc_lo
	s_delay_alu instid0(VALU_DEP_2) | instskip(SKIP_1) | instid1(VALU_DEP_3)
	v_mul_hi_u32 v11, s0, v7
	v_mul_lo_u32 v13, s5, v7
	v_mul_lo_u32 v12, s0, v8
	s_delay_alu instid0(VALU_DEP_1) | instskip(SKIP_1) | instid1(VALU_DEP_2)
	v_add_nc_u32_e32 v11, v11, v12
	v_mul_lo_u32 v12, s0, v7
	v_add_nc_u32_e32 v11, v11, v13
	s_delay_alu instid0(VALU_DEP_2) | instskip(NEXT) | instid1(VALU_DEP_2)
	v_mul_hi_u32 v13, v7, v12
	v_mul_lo_u32 v14, v7, v11
	v_mul_hi_u32 v15, v7, v11
	v_mul_hi_u32 v17, v8, v12
	v_mul_lo_u32 v12, v8, v12
	v_mul_hi_u32 v18, v8, v11
	v_mul_lo_u32 v11, v8, v11
	v_add_co_u32 v13, vcc_lo, v13, v14
	v_add_co_ci_u32_e32 v14, vcc_lo, 0, v15, vcc_lo
	s_delay_alu instid0(VALU_DEP_2) | instskip(NEXT) | instid1(VALU_DEP_2)
	v_add_co_u32 v12, vcc_lo, v13, v12
	v_add_co_ci_u32_e32 v12, vcc_lo, v14, v17, vcc_lo
	v_add_co_ci_u32_e32 v13, vcc_lo, 0, v18, vcc_lo
	v_add_co_u32 v9, vcc_lo, v9, v16
	v_add_co_ci_u32_e32 v10, vcc_lo, v10, v16, vcc_lo
	s_delay_alu instid0(VALU_DEP_4) | instskip(NEXT) | instid1(VALU_DEP_4)
	v_add_co_u32 v11, vcc_lo, v12, v11
	v_add_co_ci_u32_e32 v12, vcc_lo, 0, v13, vcc_lo
	s_delay_alu instid0(VALU_DEP_4) | instskip(NEXT) | instid1(VALU_DEP_3)
	v_xor_b32_e32 v13, v9, v16
	v_add_co_u32 v11, vcc_lo, v7, v11
	s_delay_alu instid0(VALU_DEP_3) | instskip(SKIP_1) | instid1(VALU_DEP_3)
	v_add_co_ci_u32_e32 v14, vcc_lo, v8, v12, vcc_lo
	v_xor_b32_e32 v15, v10, v16
	v_mul_hi_u32 v17, v13, v11
	s_delay_alu instid0(VALU_DEP_3) | instskip(NEXT) | instid1(VALU_DEP_3)
	v_mad_u64_u32 v[7:8], null, v13, v14, 0
	v_mad_u64_u32 v[9:10], null, v15, v11, 0
	;; [unrolled: 1-line block ×3, first 2 shown]
	s_delay_alu instid0(VALU_DEP_3) | instskip(NEXT) | instid1(VALU_DEP_4)
	v_add_co_u32 v7, vcc_lo, v17, v7
	v_add_co_ci_u32_e32 v8, vcc_lo, 0, v8, vcc_lo
	s_delay_alu instid0(VALU_DEP_2) | instskip(NEXT) | instid1(VALU_DEP_2)
	v_add_co_u32 v7, vcc_lo, v7, v9
	v_add_co_ci_u32_e32 v7, vcc_lo, v8, v10, vcc_lo
	v_add_co_ci_u32_e32 v8, vcc_lo, 0, v12, vcc_lo
	s_delay_alu instid0(VALU_DEP_2) | instskip(NEXT) | instid1(VALU_DEP_2)
	v_add_co_u32 v9, vcc_lo, v7, v11
	v_add_co_ci_u32_e32 v10, vcc_lo, 0, v8, vcc_lo
	s_delay_alu instid0(VALU_DEP_2) | instskip(SKIP_1) | instid1(VALU_DEP_3)
	v_mul_lo_u32 v11, s7, v9
	v_mad_u64_u32 v[7:8], null, s6, v9, 0
	v_mul_lo_u32 v12, s6, v10
	s_delay_alu instid0(VALU_DEP_2) | instskip(NEXT) | instid1(VALU_DEP_2)
	v_sub_co_u32 v7, vcc_lo, v13, v7
	v_add3_u32 v8, v8, v12, v11
	s_delay_alu instid0(VALU_DEP_1) | instskip(NEXT) | instid1(VALU_DEP_1)
	v_sub_nc_u32_e32 v11, v15, v8
	v_subrev_co_ci_u32_e64 v11, s0, s7, v11, vcc_lo
	v_add_co_u32 v12, s0, v9, 2
	s_delay_alu instid0(VALU_DEP_1) | instskip(SKIP_3) | instid1(VALU_DEP_3)
	v_add_co_ci_u32_e64 v13, s0, 0, v10, s0
	v_sub_co_u32 v14, s0, v7, s6
	v_sub_co_ci_u32_e32 v8, vcc_lo, v15, v8, vcc_lo
	v_subrev_co_ci_u32_e64 v11, s0, 0, v11, s0
	v_cmp_le_u32_e32 vcc_lo, s6, v14
	s_delay_alu instid0(VALU_DEP_3) | instskip(SKIP_1) | instid1(VALU_DEP_4)
	v_cmp_eq_u32_e64 s0, s7, v8
	v_cndmask_b32_e64 v14, 0, -1, vcc_lo
	v_cmp_le_u32_e32 vcc_lo, s7, v11
	v_cndmask_b32_e64 v15, 0, -1, vcc_lo
	v_cmp_le_u32_e32 vcc_lo, s6, v7
	v_cndmask_b32_e64 v7, 0, -1, vcc_lo
	v_cmp_le_u32_e32 vcc_lo, s7, v8
	v_cndmask_b32_e64 v17, 0, -1, vcc_lo
	v_cmp_eq_u32_e32 vcc_lo, s7, v11
	s_delay_alu instid0(VALU_DEP_2) | instskip(SKIP_3) | instid1(VALU_DEP_3)
	v_cndmask_b32_e64 v7, v17, v7, s0
	v_cndmask_b32_e32 v11, v15, v14, vcc_lo
	v_add_co_u32 v14, vcc_lo, v9, 1
	v_add_co_ci_u32_e32 v15, vcc_lo, 0, v10, vcc_lo
	v_cmp_ne_u32_e32 vcc_lo, 0, v11
	s_delay_alu instid0(VALU_DEP_2) | instskip(SKIP_2) | instid1(VALU_DEP_3)
	v_dual_cndmask_b32 v8, v15, v13 :: v_dual_cndmask_b32 v11, v14, v12
	v_cmp_ne_u32_e32 vcc_lo, 0, v7
	v_xor_b32_e32 v12, s4, v16
	v_dual_cndmask_b32 v7, v10, v8 :: v_dual_cndmask_b32 v8, v9, v11
	s_delay_alu instid0(VALU_DEP_1) | instskip(NEXT) | instid1(VALU_DEP_2)
	v_xor_b32_e32 v9, v7, v12
	v_xor_b32_e32 v8, v8, v12
	s_delay_alu instid0(VALU_DEP_1) | instskip(NEXT) | instid1(VALU_DEP_3)
	v_sub_co_u32 v7, vcc_lo, v8, v12
	v_sub_co_ci_u32_e32 v8, vcc_lo, v9, v12, vcc_lo
                                        ; implicit-def: $vgpr9
.LBB1169_148:
	s_and_not1_saveexec_b32 s0, s8
	s_cbranch_execz .LBB1169_150
; %bb.149:
	v_cvt_f32_u32_e32 v7, s38
	s_sub_i32 s4, 0, s38
	s_delay_alu instid0(VALU_DEP_1) | instskip(SKIP_2) | instid1(VALU_DEP_1)
	v_rcp_iflag_f32_e32 v7, v7
	s_waitcnt_depctr 0xfff
	v_mul_f32_e32 v7, 0x4f7ffffe, v7
	v_cvt_u32_f32_e32 v7, v7
	s_delay_alu instid0(VALU_DEP_1) | instskip(NEXT) | instid1(VALU_DEP_1)
	v_mul_lo_u32 v8, s4, v7
	v_mul_hi_u32 v8, v7, v8
	s_delay_alu instid0(VALU_DEP_1) | instskip(NEXT) | instid1(VALU_DEP_1)
	v_add_nc_u32_e32 v7, v7, v8
	v_mul_hi_u32 v7, v9, v7
	s_delay_alu instid0(VALU_DEP_1) | instskip(NEXT) | instid1(VALU_DEP_1)
	v_mul_lo_u32 v8, v7, s38
	v_sub_nc_u32_e32 v8, v9, v8
	v_add_nc_u32_e32 v9, 1, v7
	s_delay_alu instid0(VALU_DEP_2) | instskip(SKIP_1) | instid1(VALU_DEP_2)
	v_subrev_nc_u32_e32 v10, s38, v8
	v_cmp_le_u32_e32 vcc_lo, s38, v8
	v_dual_cndmask_b32 v8, v8, v10 :: v_dual_cndmask_b32 v7, v7, v9
	s_delay_alu instid0(VALU_DEP_1) | instskip(NEXT) | instid1(VALU_DEP_2)
	v_cmp_le_u32_e32 vcc_lo, s38, v8
	v_dual_mov_b32 v8, 0 :: v_dual_add_nc_u32 v9, 1, v7
	s_delay_alu instid0(VALU_DEP_1)
	v_cndmask_b32_e32 v7, v7, v9, vcc_lo
.LBB1169_150:
	s_or_b32 exec_lo, exec_lo, s0
.LBB1169_151:
	s_delay_alu instid0(SALU_CYCLE_1) | instskip(SKIP_1) | instid1(VALU_DEP_1)
	s_or_b32 exec_lo, exec_lo, s1
	v_or_b32_e32 v39, 0x400, v0
                                        ; implicit-def: $vgpr9_vgpr10
	v_cmp_gt_u32_e64 s12, s34, v39
	s_delay_alu instid0(VALU_DEP_1)
	s_and_saveexec_b32 s1, s12
	s_cbranch_execz .LBB1169_157
; %bb.152:
	v_add_co_u32 v11, s0, s24, v39
	s_delay_alu instid0(VALU_DEP_1) | instskip(SKIP_1) | instid1(VALU_DEP_2)
	v_add_co_ci_u32_e64 v12, null, s25, 0, s0
	v_mov_b32_e32 v9, 0
	v_or_b32_e32 v10, s39, v12
	s_delay_alu instid0(VALU_DEP_1) | instskip(SKIP_1) | instid1(SALU_CYCLE_1)
	v_cmp_ne_u64_e32 vcc_lo, 0, v[9:10]
                                        ; implicit-def: $vgpr9_vgpr10
	s_and_saveexec_b32 s0, vcc_lo
	s_xor_b32 s8, exec_lo, s0
	s_cbranch_execz .LBB1169_154
; %bb.153:
	s_ashr_i32 s4, s39, 31
	s_delay_alu instid0(SALU_CYCLE_1) | instskip(SKIP_2) | instid1(SALU_CYCLE_1)
	s_add_u32 s6, s38, s4
	s_mov_b32 s5, s4
	s_addc_u32 s7, s39, s4
	s_xor_b64 s[6:7], s[6:7], s[4:5]
	s_delay_alu instid0(SALU_CYCLE_1) | instskip(SKIP_3) | instid1(VALU_DEP_1)
	v_cvt_f32_u32_e32 v9, s6
	v_cvt_f32_u32_e32 v10, s7
	s_sub_u32 s0, 0, s6
	s_subb_u32 s5, 0, s7
	v_fmamk_f32 v9, v10, 0x4f800000, v9
	s_delay_alu instid0(VALU_DEP_1) | instskip(SKIP_2) | instid1(VALU_DEP_1)
	v_rcp_f32_e32 v9, v9
	s_waitcnt_depctr 0xfff
	v_mul_f32_e32 v9, 0x5f7ffffc, v9
	v_mul_f32_e32 v10, 0x2f800000, v9
	s_delay_alu instid0(VALU_DEP_1) | instskip(NEXT) | instid1(VALU_DEP_1)
	v_trunc_f32_e32 v10, v10
	v_fmamk_f32 v9, v10, 0xcf800000, v9
	v_cvt_u32_f32_e32 v10, v10
	s_delay_alu instid0(VALU_DEP_2) | instskip(NEXT) | instid1(VALU_DEP_2)
	v_cvt_u32_f32_e32 v9, v9
	v_mul_lo_u32 v13, s0, v10
	s_delay_alu instid0(VALU_DEP_2) | instskip(SKIP_1) | instid1(VALU_DEP_2)
	v_mul_hi_u32 v14, s0, v9
	v_mul_lo_u32 v15, s5, v9
	v_add_nc_u32_e32 v13, v14, v13
	v_mul_lo_u32 v14, s0, v9
	s_delay_alu instid0(VALU_DEP_2) | instskip(NEXT) | instid1(VALU_DEP_2)
	v_add_nc_u32_e32 v13, v13, v15
	v_mul_hi_u32 v15, v9, v14
	s_delay_alu instid0(VALU_DEP_2)
	v_mul_lo_u32 v16, v9, v13
	v_mul_hi_u32 v17, v9, v13
	v_mul_hi_u32 v18, v10, v14
	v_mul_lo_u32 v14, v10, v14
	v_mul_hi_u32 v19, v10, v13
	v_mul_lo_u32 v13, v10, v13
	v_add_co_u32 v15, vcc_lo, v15, v16
	v_add_co_ci_u32_e32 v16, vcc_lo, 0, v17, vcc_lo
	s_delay_alu instid0(VALU_DEP_2) | instskip(NEXT) | instid1(VALU_DEP_2)
	v_add_co_u32 v14, vcc_lo, v15, v14
	v_add_co_ci_u32_e32 v14, vcc_lo, v16, v18, vcc_lo
	v_add_co_ci_u32_e32 v15, vcc_lo, 0, v19, vcc_lo
	v_ashrrev_i32_e32 v18, 31, v12
	s_delay_alu instid0(VALU_DEP_3) | instskip(NEXT) | instid1(VALU_DEP_3)
	v_add_co_u32 v13, vcc_lo, v14, v13
	v_add_co_ci_u32_e32 v14, vcc_lo, 0, v15, vcc_lo
	s_delay_alu instid0(VALU_DEP_2) | instskip(NEXT) | instid1(VALU_DEP_2)
	v_add_co_u32 v9, vcc_lo, v9, v13
	v_add_co_ci_u32_e32 v10, vcc_lo, v10, v14, vcc_lo
	s_delay_alu instid0(VALU_DEP_2) | instskip(SKIP_1) | instid1(VALU_DEP_3)
	v_mul_hi_u32 v13, s0, v9
	v_mul_lo_u32 v15, s5, v9
	v_mul_lo_u32 v14, s0, v10
	s_delay_alu instid0(VALU_DEP_1) | instskip(SKIP_1) | instid1(VALU_DEP_2)
	v_add_nc_u32_e32 v13, v13, v14
	v_mul_lo_u32 v14, s0, v9
	v_add_nc_u32_e32 v13, v13, v15
	s_delay_alu instid0(VALU_DEP_2) | instskip(NEXT) | instid1(VALU_DEP_2)
	v_mul_hi_u32 v15, v9, v14
	v_mul_lo_u32 v16, v9, v13
	v_mul_hi_u32 v17, v9, v13
	v_mul_hi_u32 v19, v10, v14
	v_mul_lo_u32 v14, v10, v14
	v_mul_hi_u32 v20, v10, v13
	v_mul_lo_u32 v13, v10, v13
	v_add_co_u32 v15, vcc_lo, v15, v16
	v_add_co_ci_u32_e32 v16, vcc_lo, 0, v17, vcc_lo
	s_delay_alu instid0(VALU_DEP_2) | instskip(NEXT) | instid1(VALU_DEP_2)
	v_add_co_u32 v14, vcc_lo, v15, v14
	v_add_co_ci_u32_e32 v14, vcc_lo, v16, v19, vcc_lo
	v_add_co_ci_u32_e32 v15, vcc_lo, 0, v20, vcc_lo
	v_add_co_u32 v11, vcc_lo, v11, v18
	v_add_co_ci_u32_e32 v12, vcc_lo, v12, v18, vcc_lo
	s_delay_alu instid0(VALU_DEP_4) | instskip(NEXT) | instid1(VALU_DEP_4)
	v_add_co_u32 v13, vcc_lo, v14, v13
	v_add_co_ci_u32_e32 v14, vcc_lo, 0, v15, vcc_lo
	s_delay_alu instid0(VALU_DEP_4) | instskip(NEXT) | instid1(VALU_DEP_3)
	v_xor_b32_e32 v15, v11, v18
	v_add_co_u32 v13, vcc_lo, v9, v13
	s_delay_alu instid0(VALU_DEP_3) | instskip(SKIP_1) | instid1(VALU_DEP_3)
	v_add_co_ci_u32_e32 v16, vcc_lo, v10, v14, vcc_lo
	v_xor_b32_e32 v17, v12, v18
	v_mul_hi_u32 v19, v15, v13
	s_delay_alu instid0(VALU_DEP_3) | instskip(NEXT) | instid1(VALU_DEP_3)
	v_mad_u64_u32 v[9:10], null, v15, v16, 0
	v_mad_u64_u32 v[11:12], null, v17, v13, 0
	;; [unrolled: 1-line block ×3, first 2 shown]
	s_delay_alu instid0(VALU_DEP_3) | instskip(NEXT) | instid1(VALU_DEP_4)
	v_add_co_u32 v9, vcc_lo, v19, v9
	v_add_co_ci_u32_e32 v10, vcc_lo, 0, v10, vcc_lo
	s_delay_alu instid0(VALU_DEP_2) | instskip(NEXT) | instid1(VALU_DEP_2)
	v_add_co_u32 v9, vcc_lo, v9, v11
	v_add_co_ci_u32_e32 v9, vcc_lo, v10, v12, vcc_lo
	v_add_co_ci_u32_e32 v10, vcc_lo, 0, v14, vcc_lo
	s_delay_alu instid0(VALU_DEP_2) | instskip(NEXT) | instid1(VALU_DEP_2)
	v_add_co_u32 v11, vcc_lo, v9, v13
	v_add_co_ci_u32_e32 v12, vcc_lo, 0, v10, vcc_lo
	s_delay_alu instid0(VALU_DEP_2) | instskip(SKIP_1) | instid1(VALU_DEP_3)
	v_mul_lo_u32 v13, s7, v11
	v_mad_u64_u32 v[9:10], null, s6, v11, 0
	v_mul_lo_u32 v14, s6, v12
	s_delay_alu instid0(VALU_DEP_2) | instskip(NEXT) | instid1(VALU_DEP_2)
	v_sub_co_u32 v9, vcc_lo, v15, v9
	v_add3_u32 v10, v10, v14, v13
	s_delay_alu instid0(VALU_DEP_1) | instskip(NEXT) | instid1(VALU_DEP_1)
	v_sub_nc_u32_e32 v13, v17, v10
	v_subrev_co_ci_u32_e64 v13, s0, s7, v13, vcc_lo
	v_add_co_u32 v14, s0, v11, 2
	s_delay_alu instid0(VALU_DEP_1) | instskip(SKIP_3) | instid1(VALU_DEP_3)
	v_add_co_ci_u32_e64 v15, s0, 0, v12, s0
	v_sub_co_u32 v16, s0, v9, s6
	v_sub_co_ci_u32_e32 v10, vcc_lo, v17, v10, vcc_lo
	v_subrev_co_ci_u32_e64 v13, s0, 0, v13, s0
	v_cmp_le_u32_e32 vcc_lo, s6, v16
	s_delay_alu instid0(VALU_DEP_3) | instskip(SKIP_1) | instid1(VALU_DEP_4)
	v_cmp_eq_u32_e64 s0, s7, v10
	v_cndmask_b32_e64 v16, 0, -1, vcc_lo
	v_cmp_le_u32_e32 vcc_lo, s7, v13
	v_cndmask_b32_e64 v17, 0, -1, vcc_lo
	v_cmp_le_u32_e32 vcc_lo, s6, v9
	;; [unrolled: 2-line block ×3, first 2 shown]
	v_cndmask_b32_e64 v19, 0, -1, vcc_lo
	v_cmp_eq_u32_e32 vcc_lo, s7, v13
	s_delay_alu instid0(VALU_DEP_2) | instskip(SKIP_3) | instid1(VALU_DEP_3)
	v_cndmask_b32_e64 v9, v19, v9, s0
	v_cndmask_b32_e32 v13, v17, v16, vcc_lo
	v_add_co_u32 v16, vcc_lo, v11, 1
	v_add_co_ci_u32_e32 v17, vcc_lo, 0, v12, vcc_lo
	v_cmp_ne_u32_e32 vcc_lo, 0, v13
	s_delay_alu instid0(VALU_DEP_2) | instskip(SKIP_2) | instid1(VALU_DEP_3)
	v_dual_cndmask_b32 v10, v17, v15 :: v_dual_cndmask_b32 v13, v16, v14
	v_cmp_ne_u32_e32 vcc_lo, 0, v9
	v_xor_b32_e32 v14, s4, v18
	v_dual_cndmask_b32 v9, v12, v10 :: v_dual_cndmask_b32 v10, v11, v13
	s_delay_alu instid0(VALU_DEP_1) | instskip(NEXT) | instid1(VALU_DEP_2)
	v_xor_b32_e32 v11, v9, v14
	v_xor_b32_e32 v10, v10, v14
	s_delay_alu instid0(VALU_DEP_1) | instskip(NEXT) | instid1(VALU_DEP_3)
	v_sub_co_u32 v9, vcc_lo, v10, v14
	v_sub_co_ci_u32_e32 v10, vcc_lo, v11, v14, vcc_lo
                                        ; implicit-def: $vgpr11
.LBB1169_154:
	s_and_not1_saveexec_b32 s0, s8
	s_cbranch_execz .LBB1169_156
; %bb.155:
	v_cvt_f32_u32_e32 v9, s38
	s_sub_i32 s4, 0, s38
	s_delay_alu instid0(VALU_DEP_1) | instskip(SKIP_2) | instid1(VALU_DEP_1)
	v_rcp_iflag_f32_e32 v9, v9
	s_waitcnt_depctr 0xfff
	v_mul_f32_e32 v9, 0x4f7ffffe, v9
	v_cvt_u32_f32_e32 v9, v9
	s_delay_alu instid0(VALU_DEP_1) | instskip(NEXT) | instid1(VALU_DEP_1)
	v_mul_lo_u32 v10, s4, v9
	v_mul_hi_u32 v10, v9, v10
	s_delay_alu instid0(VALU_DEP_1) | instskip(NEXT) | instid1(VALU_DEP_1)
	v_add_nc_u32_e32 v9, v9, v10
	v_mul_hi_u32 v9, v11, v9
	s_delay_alu instid0(VALU_DEP_1) | instskip(NEXT) | instid1(VALU_DEP_1)
	v_mul_lo_u32 v10, v9, s38
	v_sub_nc_u32_e32 v10, v11, v10
	v_add_nc_u32_e32 v11, 1, v9
	s_delay_alu instid0(VALU_DEP_2) | instskip(SKIP_1) | instid1(VALU_DEP_2)
	v_subrev_nc_u32_e32 v12, s38, v10
	v_cmp_le_u32_e32 vcc_lo, s38, v10
	v_dual_cndmask_b32 v10, v10, v12 :: v_dual_cndmask_b32 v9, v9, v11
	s_delay_alu instid0(VALU_DEP_1) | instskip(NEXT) | instid1(VALU_DEP_2)
	v_cmp_le_u32_e32 vcc_lo, s38, v10
	v_dual_mov_b32 v10, 0 :: v_dual_add_nc_u32 v11, 1, v9
	s_delay_alu instid0(VALU_DEP_1)
	v_cndmask_b32_e32 v9, v9, v11, vcc_lo
.LBB1169_156:
	s_or_b32 exec_lo, exec_lo, s0
.LBB1169_157:
	s_delay_alu instid0(SALU_CYCLE_1) | instskip(SKIP_1) | instid1(VALU_DEP_1)
	s_or_b32 exec_lo, exec_lo, s1
	v_or_b32_e32 v41, 0x500, v0
                                        ; implicit-def: $vgpr11_vgpr12
	v_cmp_gt_u32_e64 s11, s34, v41
	s_delay_alu instid0(VALU_DEP_1)
	s_and_saveexec_b32 s1, s11
	s_cbranch_execz .LBB1169_163
; %bb.158:
	v_add_co_u32 v13, s0, s24, v41
	s_delay_alu instid0(VALU_DEP_1) | instskip(SKIP_1) | instid1(VALU_DEP_2)
	v_add_co_ci_u32_e64 v14, null, s25, 0, s0
	v_mov_b32_e32 v11, 0
	v_or_b32_e32 v12, s39, v14
	s_delay_alu instid0(VALU_DEP_1) | instskip(SKIP_1) | instid1(SALU_CYCLE_1)
	v_cmp_ne_u64_e32 vcc_lo, 0, v[11:12]
                                        ; implicit-def: $vgpr11_vgpr12
	s_and_saveexec_b32 s0, vcc_lo
	s_xor_b32 s8, exec_lo, s0
	s_cbranch_execz .LBB1169_160
; %bb.159:
	s_ashr_i32 s4, s39, 31
	s_delay_alu instid0(SALU_CYCLE_1) | instskip(SKIP_2) | instid1(SALU_CYCLE_1)
	s_add_u32 s6, s38, s4
	s_mov_b32 s5, s4
	s_addc_u32 s7, s39, s4
	s_xor_b64 s[6:7], s[6:7], s[4:5]
	s_delay_alu instid0(SALU_CYCLE_1) | instskip(SKIP_3) | instid1(VALU_DEP_1)
	v_cvt_f32_u32_e32 v11, s6
	v_cvt_f32_u32_e32 v12, s7
	s_sub_u32 s0, 0, s6
	s_subb_u32 s5, 0, s7
	v_fmamk_f32 v11, v12, 0x4f800000, v11
	s_delay_alu instid0(VALU_DEP_1) | instskip(SKIP_2) | instid1(VALU_DEP_1)
	v_rcp_f32_e32 v11, v11
	s_waitcnt_depctr 0xfff
	v_mul_f32_e32 v11, 0x5f7ffffc, v11
	v_mul_f32_e32 v12, 0x2f800000, v11
	s_delay_alu instid0(VALU_DEP_1) | instskip(NEXT) | instid1(VALU_DEP_1)
	v_trunc_f32_e32 v12, v12
	v_fmamk_f32 v11, v12, 0xcf800000, v11
	v_cvt_u32_f32_e32 v12, v12
	s_delay_alu instid0(VALU_DEP_2) | instskip(NEXT) | instid1(VALU_DEP_2)
	v_cvt_u32_f32_e32 v11, v11
	v_mul_lo_u32 v15, s0, v12
	s_delay_alu instid0(VALU_DEP_2) | instskip(SKIP_1) | instid1(VALU_DEP_2)
	v_mul_hi_u32 v16, s0, v11
	v_mul_lo_u32 v17, s5, v11
	v_add_nc_u32_e32 v15, v16, v15
	v_mul_lo_u32 v16, s0, v11
	s_delay_alu instid0(VALU_DEP_2) | instskip(NEXT) | instid1(VALU_DEP_2)
	v_add_nc_u32_e32 v15, v15, v17
	v_mul_hi_u32 v17, v11, v16
	s_delay_alu instid0(VALU_DEP_2)
	v_mul_lo_u32 v18, v11, v15
	v_mul_hi_u32 v19, v11, v15
	v_mul_hi_u32 v20, v12, v16
	v_mul_lo_u32 v16, v12, v16
	v_mul_hi_u32 v21, v12, v15
	v_mul_lo_u32 v15, v12, v15
	v_add_co_u32 v17, vcc_lo, v17, v18
	v_add_co_ci_u32_e32 v18, vcc_lo, 0, v19, vcc_lo
	s_delay_alu instid0(VALU_DEP_2) | instskip(NEXT) | instid1(VALU_DEP_2)
	v_add_co_u32 v16, vcc_lo, v17, v16
	v_add_co_ci_u32_e32 v16, vcc_lo, v18, v20, vcc_lo
	v_add_co_ci_u32_e32 v17, vcc_lo, 0, v21, vcc_lo
	v_ashrrev_i32_e32 v20, 31, v14
	s_delay_alu instid0(VALU_DEP_3) | instskip(NEXT) | instid1(VALU_DEP_3)
	v_add_co_u32 v15, vcc_lo, v16, v15
	v_add_co_ci_u32_e32 v16, vcc_lo, 0, v17, vcc_lo
	s_delay_alu instid0(VALU_DEP_2) | instskip(NEXT) | instid1(VALU_DEP_2)
	v_add_co_u32 v11, vcc_lo, v11, v15
	v_add_co_ci_u32_e32 v12, vcc_lo, v12, v16, vcc_lo
	s_delay_alu instid0(VALU_DEP_2) | instskip(SKIP_1) | instid1(VALU_DEP_3)
	v_mul_hi_u32 v15, s0, v11
	v_mul_lo_u32 v17, s5, v11
	v_mul_lo_u32 v16, s0, v12
	s_delay_alu instid0(VALU_DEP_1) | instskip(SKIP_1) | instid1(VALU_DEP_2)
	v_add_nc_u32_e32 v15, v15, v16
	v_mul_lo_u32 v16, s0, v11
	v_add_nc_u32_e32 v15, v15, v17
	s_delay_alu instid0(VALU_DEP_2) | instskip(NEXT) | instid1(VALU_DEP_2)
	v_mul_hi_u32 v17, v11, v16
	v_mul_lo_u32 v18, v11, v15
	v_mul_hi_u32 v19, v11, v15
	v_mul_hi_u32 v21, v12, v16
	v_mul_lo_u32 v16, v12, v16
	v_mul_hi_u32 v22, v12, v15
	v_mul_lo_u32 v15, v12, v15
	v_add_co_u32 v17, vcc_lo, v17, v18
	v_add_co_ci_u32_e32 v18, vcc_lo, 0, v19, vcc_lo
	s_delay_alu instid0(VALU_DEP_2) | instskip(NEXT) | instid1(VALU_DEP_2)
	v_add_co_u32 v16, vcc_lo, v17, v16
	v_add_co_ci_u32_e32 v16, vcc_lo, v18, v21, vcc_lo
	v_add_co_ci_u32_e32 v17, vcc_lo, 0, v22, vcc_lo
	v_add_co_u32 v13, vcc_lo, v13, v20
	v_add_co_ci_u32_e32 v14, vcc_lo, v14, v20, vcc_lo
	s_delay_alu instid0(VALU_DEP_4) | instskip(NEXT) | instid1(VALU_DEP_4)
	v_add_co_u32 v15, vcc_lo, v16, v15
	v_add_co_ci_u32_e32 v16, vcc_lo, 0, v17, vcc_lo
	s_delay_alu instid0(VALU_DEP_4) | instskip(NEXT) | instid1(VALU_DEP_3)
	v_xor_b32_e32 v17, v13, v20
	v_add_co_u32 v15, vcc_lo, v11, v15
	s_delay_alu instid0(VALU_DEP_3) | instskip(SKIP_1) | instid1(VALU_DEP_3)
	v_add_co_ci_u32_e32 v18, vcc_lo, v12, v16, vcc_lo
	v_xor_b32_e32 v19, v14, v20
	v_mul_hi_u32 v21, v17, v15
	s_delay_alu instid0(VALU_DEP_3) | instskip(NEXT) | instid1(VALU_DEP_3)
	v_mad_u64_u32 v[11:12], null, v17, v18, 0
	v_mad_u64_u32 v[13:14], null, v19, v15, 0
	;; [unrolled: 1-line block ×3, first 2 shown]
	s_delay_alu instid0(VALU_DEP_3) | instskip(NEXT) | instid1(VALU_DEP_4)
	v_add_co_u32 v11, vcc_lo, v21, v11
	v_add_co_ci_u32_e32 v12, vcc_lo, 0, v12, vcc_lo
	s_delay_alu instid0(VALU_DEP_2) | instskip(NEXT) | instid1(VALU_DEP_2)
	v_add_co_u32 v11, vcc_lo, v11, v13
	v_add_co_ci_u32_e32 v11, vcc_lo, v12, v14, vcc_lo
	v_add_co_ci_u32_e32 v12, vcc_lo, 0, v16, vcc_lo
	s_delay_alu instid0(VALU_DEP_2) | instskip(NEXT) | instid1(VALU_DEP_2)
	v_add_co_u32 v13, vcc_lo, v11, v15
	v_add_co_ci_u32_e32 v14, vcc_lo, 0, v12, vcc_lo
	s_delay_alu instid0(VALU_DEP_2) | instskip(SKIP_1) | instid1(VALU_DEP_3)
	v_mul_lo_u32 v15, s7, v13
	v_mad_u64_u32 v[11:12], null, s6, v13, 0
	v_mul_lo_u32 v16, s6, v14
	s_delay_alu instid0(VALU_DEP_2) | instskip(NEXT) | instid1(VALU_DEP_2)
	v_sub_co_u32 v11, vcc_lo, v17, v11
	v_add3_u32 v12, v12, v16, v15
	s_delay_alu instid0(VALU_DEP_1) | instskip(NEXT) | instid1(VALU_DEP_1)
	v_sub_nc_u32_e32 v15, v19, v12
	v_subrev_co_ci_u32_e64 v15, s0, s7, v15, vcc_lo
	v_add_co_u32 v16, s0, v13, 2
	s_delay_alu instid0(VALU_DEP_1) | instskip(SKIP_3) | instid1(VALU_DEP_3)
	v_add_co_ci_u32_e64 v17, s0, 0, v14, s0
	v_sub_co_u32 v18, s0, v11, s6
	v_sub_co_ci_u32_e32 v12, vcc_lo, v19, v12, vcc_lo
	v_subrev_co_ci_u32_e64 v15, s0, 0, v15, s0
	v_cmp_le_u32_e32 vcc_lo, s6, v18
	s_delay_alu instid0(VALU_DEP_3) | instskip(SKIP_1) | instid1(VALU_DEP_4)
	v_cmp_eq_u32_e64 s0, s7, v12
	v_cndmask_b32_e64 v18, 0, -1, vcc_lo
	v_cmp_le_u32_e32 vcc_lo, s7, v15
	v_cndmask_b32_e64 v19, 0, -1, vcc_lo
	v_cmp_le_u32_e32 vcc_lo, s6, v11
	v_cndmask_b32_e64 v11, 0, -1, vcc_lo
	v_cmp_le_u32_e32 vcc_lo, s7, v12
	v_cndmask_b32_e64 v21, 0, -1, vcc_lo
	v_cmp_eq_u32_e32 vcc_lo, s7, v15
	s_delay_alu instid0(VALU_DEP_2) | instskip(SKIP_3) | instid1(VALU_DEP_3)
	v_cndmask_b32_e64 v11, v21, v11, s0
	v_cndmask_b32_e32 v15, v19, v18, vcc_lo
	v_add_co_u32 v18, vcc_lo, v13, 1
	v_add_co_ci_u32_e32 v19, vcc_lo, 0, v14, vcc_lo
	v_cmp_ne_u32_e32 vcc_lo, 0, v15
	s_delay_alu instid0(VALU_DEP_2) | instskip(SKIP_2) | instid1(VALU_DEP_3)
	v_dual_cndmask_b32 v12, v19, v17 :: v_dual_cndmask_b32 v15, v18, v16
	v_cmp_ne_u32_e32 vcc_lo, 0, v11
	v_xor_b32_e32 v16, s4, v20
	v_dual_cndmask_b32 v11, v14, v12 :: v_dual_cndmask_b32 v12, v13, v15
	s_delay_alu instid0(VALU_DEP_1) | instskip(NEXT) | instid1(VALU_DEP_2)
	v_xor_b32_e32 v13, v11, v16
	v_xor_b32_e32 v12, v12, v16
	s_delay_alu instid0(VALU_DEP_1) | instskip(NEXT) | instid1(VALU_DEP_3)
	v_sub_co_u32 v11, vcc_lo, v12, v16
	v_sub_co_ci_u32_e32 v12, vcc_lo, v13, v16, vcc_lo
                                        ; implicit-def: $vgpr13
.LBB1169_160:
	s_and_not1_saveexec_b32 s0, s8
	s_cbranch_execz .LBB1169_162
; %bb.161:
	v_cvt_f32_u32_e32 v11, s38
	s_sub_i32 s4, 0, s38
	s_delay_alu instid0(VALU_DEP_1) | instskip(SKIP_2) | instid1(VALU_DEP_1)
	v_rcp_iflag_f32_e32 v11, v11
	s_waitcnt_depctr 0xfff
	v_mul_f32_e32 v11, 0x4f7ffffe, v11
	v_cvt_u32_f32_e32 v11, v11
	s_delay_alu instid0(VALU_DEP_1) | instskip(NEXT) | instid1(VALU_DEP_1)
	v_mul_lo_u32 v12, s4, v11
	v_mul_hi_u32 v12, v11, v12
	s_delay_alu instid0(VALU_DEP_1) | instskip(NEXT) | instid1(VALU_DEP_1)
	v_add_nc_u32_e32 v11, v11, v12
	v_mul_hi_u32 v11, v13, v11
	s_delay_alu instid0(VALU_DEP_1) | instskip(NEXT) | instid1(VALU_DEP_1)
	v_mul_lo_u32 v12, v11, s38
	v_sub_nc_u32_e32 v12, v13, v12
	v_add_nc_u32_e32 v13, 1, v11
	s_delay_alu instid0(VALU_DEP_2) | instskip(SKIP_1) | instid1(VALU_DEP_2)
	v_subrev_nc_u32_e32 v14, s38, v12
	v_cmp_le_u32_e32 vcc_lo, s38, v12
	v_dual_cndmask_b32 v12, v12, v14 :: v_dual_cndmask_b32 v11, v11, v13
	s_delay_alu instid0(VALU_DEP_1) | instskip(NEXT) | instid1(VALU_DEP_2)
	v_cmp_le_u32_e32 vcc_lo, s38, v12
	v_dual_mov_b32 v12, 0 :: v_dual_add_nc_u32 v13, 1, v11
	s_delay_alu instid0(VALU_DEP_1)
	v_cndmask_b32_e32 v11, v11, v13, vcc_lo
.LBB1169_162:
	s_or_b32 exec_lo, exec_lo, s0
.LBB1169_163:
	s_delay_alu instid0(SALU_CYCLE_1) | instskip(SKIP_1) | instid1(VALU_DEP_1)
	s_or_b32 exec_lo, exec_lo, s1
	v_or_b32_e32 v43, 0x600, v0
                                        ; implicit-def: $vgpr13_vgpr14
	v_cmp_gt_u32_e64 s10, s34, v43
	s_delay_alu instid0(VALU_DEP_1)
	s_and_saveexec_b32 s1, s10
	s_cbranch_execz .LBB1169_169
; %bb.164:
	v_add_co_u32 v15, s0, s24, v43
	s_delay_alu instid0(VALU_DEP_1) | instskip(SKIP_1) | instid1(VALU_DEP_2)
	v_add_co_ci_u32_e64 v16, null, s25, 0, s0
	v_mov_b32_e32 v13, 0
	v_or_b32_e32 v14, s39, v16
	s_delay_alu instid0(VALU_DEP_1) | instskip(SKIP_1) | instid1(SALU_CYCLE_1)
	v_cmp_ne_u64_e32 vcc_lo, 0, v[13:14]
                                        ; implicit-def: $vgpr13_vgpr14
	s_and_saveexec_b32 s0, vcc_lo
	s_xor_b32 s8, exec_lo, s0
	s_cbranch_execz .LBB1169_166
; %bb.165:
	s_ashr_i32 s4, s39, 31
	s_delay_alu instid0(SALU_CYCLE_1) | instskip(SKIP_2) | instid1(SALU_CYCLE_1)
	s_add_u32 s6, s38, s4
	s_mov_b32 s5, s4
	s_addc_u32 s7, s39, s4
	s_xor_b64 s[6:7], s[6:7], s[4:5]
	s_delay_alu instid0(SALU_CYCLE_1) | instskip(SKIP_3) | instid1(VALU_DEP_1)
	v_cvt_f32_u32_e32 v13, s6
	v_cvt_f32_u32_e32 v14, s7
	s_sub_u32 s0, 0, s6
	s_subb_u32 s5, 0, s7
	v_fmamk_f32 v13, v14, 0x4f800000, v13
	s_delay_alu instid0(VALU_DEP_1) | instskip(SKIP_2) | instid1(VALU_DEP_1)
	v_rcp_f32_e32 v13, v13
	s_waitcnt_depctr 0xfff
	v_mul_f32_e32 v13, 0x5f7ffffc, v13
	v_mul_f32_e32 v14, 0x2f800000, v13
	s_delay_alu instid0(VALU_DEP_1) | instskip(NEXT) | instid1(VALU_DEP_1)
	v_trunc_f32_e32 v14, v14
	v_fmamk_f32 v13, v14, 0xcf800000, v13
	v_cvt_u32_f32_e32 v14, v14
	s_delay_alu instid0(VALU_DEP_2) | instskip(NEXT) | instid1(VALU_DEP_2)
	v_cvt_u32_f32_e32 v13, v13
	v_mul_lo_u32 v17, s0, v14
	s_delay_alu instid0(VALU_DEP_2) | instskip(SKIP_1) | instid1(VALU_DEP_2)
	v_mul_hi_u32 v18, s0, v13
	v_mul_lo_u32 v19, s5, v13
	v_add_nc_u32_e32 v17, v18, v17
	v_mul_lo_u32 v18, s0, v13
	s_delay_alu instid0(VALU_DEP_2) | instskip(NEXT) | instid1(VALU_DEP_2)
	v_add_nc_u32_e32 v17, v17, v19
	v_mul_hi_u32 v19, v13, v18
	s_delay_alu instid0(VALU_DEP_2)
	v_mul_lo_u32 v20, v13, v17
	v_mul_hi_u32 v21, v13, v17
	v_mul_hi_u32 v22, v14, v18
	v_mul_lo_u32 v18, v14, v18
	v_mul_hi_u32 v23, v14, v17
	v_mul_lo_u32 v17, v14, v17
	v_add_co_u32 v19, vcc_lo, v19, v20
	v_add_co_ci_u32_e32 v20, vcc_lo, 0, v21, vcc_lo
	s_delay_alu instid0(VALU_DEP_2) | instskip(NEXT) | instid1(VALU_DEP_2)
	v_add_co_u32 v18, vcc_lo, v19, v18
	v_add_co_ci_u32_e32 v18, vcc_lo, v20, v22, vcc_lo
	v_add_co_ci_u32_e32 v19, vcc_lo, 0, v23, vcc_lo
	v_ashrrev_i32_e32 v22, 31, v16
	s_delay_alu instid0(VALU_DEP_3) | instskip(NEXT) | instid1(VALU_DEP_3)
	v_add_co_u32 v17, vcc_lo, v18, v17
	v_add_co_ci_u32_e32 v18, vcc_lo, 0, v19, vcc_lo
	s_delay_alu instid0(VALU_DEP_2) | instskip(NEXT) | instid1(VALU_DEP_2)
	v_add_co_u32 v13, vcc_lo, v13, v17
	v_add_co_ci_u32_e32 v14, vcc_lo, v14, v18, vcc_lo
	s_delay_alu instid0(VALU_DEP_2) | instskip(SKIP_1) | instid1(VALU_DEP_3)
	v_mul_hi_u32 v17, s0, v13
	v_mul_lo_u32 v19, s5, v13
	v_mul_lo_u32 v18, s0, v14
	s_delay_alu instid0(VALU_DEP_1) | instskip(SKIP_1) | instid1(VALU_DEP_2)
	v_add_nc_u32_e32 v17, v17, v18
	v_mul_lo_u32 v18, s0, v13
	v_add_nc_u32_e32 v17, v17, v19
	s_delay_alu instid0(VALU_DEP_2) | instskip(NEXT) | instid1(VALU_DEP_2)
	v_mul_hi_u32 v19, v13, v18
	v_mul_lo_u32 v20, v13, v17
	v_mul_hi_u32 v21, v13, v17
	v_mul_hi_u32 v23, v14, v18
	v_mul_lo_u32 v18, v14, v18
	v_mul_hi_u32 v24, v14, v17
	v_mul_lo_u32 v17, v14, v17
	v_add_co_u32 v19, vcc_lo, v19, v20
	v_add_co_ci_u32_e32 v20, vcc_lo, 0, v21, vcc_lo
	s_delay_alu instid0(VALU_DEP_2) | instskip(NEXT) | instid1(VALU_DEP_2)
	v_add_co_u32 v18, vcc_lo, v19, v18
	v_add_co_ci_u32_e32 v18, vcc_lo, v20, v23, vcc_lo
	v_add_co_ci_u32_e32 v19, vcc_lo, 0, v24, vcc_lo
	v_add_co_u32 v15, vcc_lo, v15, v22
	v_add_co_ci_u32_e32 v16, vcc_lo, v16, v22, vcc_lo
	s_delay_alu instid0(VALU_DEP_4) | instskip(NEXT) | instid1(VALU_DEP_4)
	v_add_co_u32 v17, vcc_lo, v18, v17
	v_add_co_ci_u32_e32 v18, vcc_lo, 0, v19, vcc_lo
	s_delay_alu instid0(VALU_DEP_4) | instskip(NEXT) | instid1(VALU_DEP_3)
	v_xor_b32_e32 v19, v15, v22
	v_add_co_u32 v17, vcc_lo, v13, v17
	s_delay_alu instid0(VALU_DEP_3) | instskip(SKIP_1) | instid1(VALU_DEP_3)
	v_add_co_ci_u32_e32 v20, vcc_lo, v14, v18, vcc_lo
	v_xor_b32_e32 v21, v16, v22
	v_mul_hi_u32 v23, v19, v17
	s_delay_alu instid0(VALU_DEP_3) | instskip(NEXT) | instid1(VALU_DEP_3)
	v_mad_u64_u32 v[13:14], null, v19, v20, 0
	v_mad_u64_u32 v[15:16], null, v21, v17, 0
	v_mad_u64_u32 v[17:18], null, v21, v20, 0
	s_delay_alu instid0(VALU_DEP_3) | instskip(NEXT) | instid1(VALU_DEP_4)
	v_add_co_u32 v13, vcc_lo, v23, v13
	v_add_co_ci_u32_e32 v14, vcc_lo, 0, v14, vcc_lo
	s_delay_alu instid0(VALU_DEP_2) | instskip(NEXT) | instid1(VALU_DEP_2)
	v_add_co_u32 v13, vcc_lo, v13, v15
	v_add_co_ci_u32_e32 v13, vcc_lo, v14, v16, vcc_lo
	v_add_co_ci_u32_e32 v14, vcc_lo, 0, v18, vcc_lo
	s_delay_alu instid0(VALU_DEP_2) | instskip(NEXT) | instid1(VALU_DEP_2)
	v_add_co_u32 v15, vcc_lo, v13, v17
	v_add_co_ci_u32_e32 v16, vcc_lo, 0, v14, vcc_lo
	s_delay_alu instid0(VALU_DEP_2) | instskip(SKIP_1) | instid1(VALU_DEP_3)
	v_mul_lo_u32 v17, s7, v15
	v_mad_u64_u32 v[13:14], null, s6, v15, 0
	v_mul_lo_u32 v18, s6, v16
	s_delay_alu instid0(VALU_DEP_2) | instskip(NEXT) | instid1(VALU_DEP_2)
	v_sub_co_u32 v13, vcc_lo, v19, v13
	v_add3_u32 v14, v14, v18, v17
	s_delay_alu instid0(VALU_DEP_1) | instskip(NEXT) | instid1(VALU_DEP_1)
	v_sub_nc_u32_e32 v17, v21, v14
	v_subrev_co_ci_u32_e64 v17, s0, s7, v17, vcc_lo
	v_add_co_u32 v18, s0, v15, 2
	s_delay_alu instid0(VALU_DEP_1) | instskip(SKIP_3) | instid1(VALU_DEP_3)
	v_add_co_ci_u32_e64 v19, s0, 0, v16, s0
	v_sub_co_u32 v20, s0, v13, s6
	v_sub_co_ci_u32_e32 v14, vcc_lo, v21, v14, vcc_lo
	v_subrev_co_ci_u32_e64 v17, s0, 0, v17, s0
	v_cmp_le_u32_e32 vcc_lo, s6, v20
	s_delay_alu instid0(VALU_DEP_3) | instskip(SKIP_1) | instid1(VALU_DEP_4)
	v_cmp_eq_u32_e64 s0, s7, v14
	v_cndmask_b32_e64 v20, 0, -1, vcc_lo
	v_cmp_le_u32_e32 vcc_lo, s7, v17
	v_cndmask_b32_e64 v21, 0, -1, vcc_lo
	v_cmp_le_u32_e32 vcc_lo, s6, v13
	;; [unrolled: 2-line block ×3, first 2 shown]
	v_cndmask_b32_e64 v23, 0, -1, vcc_lo
	v_cmp_eq_u32_e32 vcc_lo, s7, v17
	s_delay_alu instid0(VALU_DEP_2) | instskip(SKIP_3) | instid1(VALU_DEP_3)
	v_cndmask_b32_e64 v13, v23, v13, s0
	v_cndmask_b32_e32 v17, v21, v20, vcc_lo
	v_add_co_u32 v20, vcc_lo, v15, 1
	v_add_co_ci_u32_e32 v21, vcc_lo, 0, v16, vcc_lo
	v_cmp_ne_u32_e32 vcc_lo, 0, v17
	s_delay_alu instid0(VALU_DEP_2) | instskip(SKIP_2) | instid1(VALU_DEP_3)
	v_dual_cndmask_b32 v14, v21, v19 :: v_dual_cndmask_b32 v17, v20, v18
	v_cmp_ne_u32_e32 vcc_lo, 0, v13
	v_xor_b32_e32 v18, s4, v22
	v_dual_cndmask_b32 v13, v16, v14 :: v_dual_cndmask_b32 v14, v15, v17
	s_delay_alu instid0(VALU_DEP_1) | instskip(NEXT) | instid1(VALU_DEP_2)
	v_xor_b32_e32 v15, v13, v18
	v_xor_b32_e32 v14, v14, v18
	s_delay_alu instid0(VALU_DEP_1) | instskip(NEXT) | instid1(VALU_DEP_3)
	v_sub_co_u32 v13, vcc_lo, v14, v18
	v_sub_co_ci_u32_e32 v14, vcc_lo, v15, v18, vcc_lo
                                        ; implicit-def: $vgpr15
.LBB1169_166:
	s_and_not1_saveexec_b32 s0, s8
	s_cbranch_execz .LBB1169_168
; %bb.167:
	v_cvt_f32_u32_e32 v13, s38
	s_sub_i32 s4, 0, s38
	s_delay_alu instid0(VALU_DEP_1) | instskip(SKIP_2) | instid1(VALU_DEP_1)
	v_rcp_iflag_f32_e32 v13, v13
	s_waitcnt_depctr 0xfff
	v_mul_f32_e32 v13, 0x4f7ffffe, v13
	v_cvt_u32_f32_e32 v13, v13
	s_delay_alu instid0(VALU_DEP_1) | instskip(NEXT) | instid1(VALU_DEP_1)
	v_mul_lo_u32 v14, s4, v13
	v_mul_hi_u32 v14, v13, v14
	s_delay_alu instid0(VALU_DEP_1) | instskip(NEXT) | instid1(VALU_DEP_1)
	v_add_nc_u32_e32 v13, v13, v14
	v_mul_hi_u32 v13, v15, v13
	s_delay_alu instid0(VALU_DEP_1) | instskip(NEXT) | instid1(VALU_DEP_1)
	v_mul_lo_u32 v14, v13, s38
	v_sub_nc_u32_e32 v14, v15, v14
	v_add_nc_u32_e32 v15, 1, v13
	s_delay_alu instid0(VALU_DEP_2) | instskip(SKIP_1) | instid1(VALU_DEP_2)
	v_subrev_nc_u32_e32 v16, s38, v14
	v_cmp_le_u32_e32 vcc_lo, s38, v14
	v_dual_cndmask_b32 v14, v14, v16 :: v_dual_cndmask_b32 v13, v13, v15
	s_delay_alu instid0(VALU_DEP_1) | instskip(NEXT) | instid1(VALU_DEP_2)
	v_cmp_le_u32_e32 vcc_lo, s38, v14
	v_dual_mov_b32 v14, 0 :: v_dual_add_nc_u32 v15, 1, v13
	s_delay_alu instid0(VALU_DEP_1)
	v_cndmask_b32_e32 v13, v13, v15, vcc_lo
.LBB1169_168:
	s_or_b32 exec_lo, exec_lo, s0
.LBB1169_169:
	s_delay_alu instid0(SALU_CYCLE_1) | instskip(SKIP_1) | instid1(VALU_DEP_1)
	s_or_b32 exec_lo, exec_lo, s1
	v_or_b32_e32 v45, 0x700, v0
                                        ; implicit-def: $vgpr15_vgpr16
	v_cmp_gt_u32_e64 s9, s34, v45
	s_delay_alu instid0(VALU_DEP_1)
	s_and_saveexec_b32 s1, s9
	s_cbranch_execz .LBB1169_175
; %bb.170:
	v_add_co_u32 v17, s0, s24, v45
	s_delay_alu instid0(VALU_DEP_1) | instskip(SKIP_1) | instid1(VALU_DEP_2)
	v_add_co_ci_u32_e64 v18, null, s25, 0, s0
	v_mov_b32_e32 v15, 0
	v_or_b32_e32 v16, s39, v18
	s_delay_alu instid0(VALU_DEP_1) | instskip(SKIP_1) | instid1(SALU_CYCLE_1)
	v_cmp_ne_u64_e32 vcc_lo, 0, v[15:16]
                                        ; implicit-def: $vgpr15_vgpr16
	s_and_saveexec_b32 s0, vcc_lo
	s_xor_b32 s8, exec_lo, s0
	s_cbranch_execz .LBB1169_172
; %bb.171:
	s_ashr_i32 s4, s39, 31
	s_delay_alu instid0(SALU_CYCLE_1) | instskip(SKIP_2) | instid1(SALU_CYCLE_1)
	s_add_u32 s6, s38, s4
	s_mov_b32 s5, s4
	s_addc_u32 s7, s39, s4
	s_xor_b64 s[6:7], s[6:7], s[4:5]
	s_delay_alu instid0(SALU_CYCLE_1) | instskip(SKIP_3) | instid1(VALU_DEP_1)
	v_cvt_f32_u32_e32 v15, s6
	v_cvt_f32_u32_e32 v16, s7
	s_sub_u32 s0, 0, s6
	s_subb_u32 s5, 0, s7
	v_fmamk_f32 v15, v16, 0x4f800000, v15
	s_delay_alu instid0(VALU_DEP_1) | instskip(SKIP_2) | instid1(VALU_DEP_1)
	v_rcp_f32_e32 v15, v15
	s_waitcnt_depctr 0xfff
	v_mul_f32_e32 v15, 0x5f7ffffc, v15
	v_mul_f32_e32 v16, 0x2f800000, v15
	s_delay_alu instid0(VALU_DEP_1) | instskip(NEXT) | instid1(VALU_DEP_1)
	v_trunc_f32_e32 v16, v16
	v_fmamk_f32 v15, v16, 0xcf800000, v15
	v_cvt_u32_f32_e32 v16, v16
	s_delay_alu instid0(VALU_DEP_2) | instskip(NEXT) | instid1(VALU_DEP_2)
	v_cvt_u32_f32_e32 v15, v15
	v_mul_lo_u32 v19, s0, v16
	s_delay_alu instid0(VALU_DEP_2) | instskip(SKIP_1) | instid1(VALU_DEP_2)
	v_mul_hi_u32 v20, s0, v15
	v_mul_lo_u32 v21, s5, v15
	v_add_nc_u32_e32 v19, v20, v19
	v_mul_lo_u32 v20, s0, v15
	s_delay_alu instid0(VALU_DEP_2) | instskip(NEXT) | instid1(VALU_DEP_2)
	v_add_nc_u32_e32 v19, v19, v21
	v_mul_hi_u32 v21, v15, v20
	s_delay_alu instid0(VALU_DEP_2)
	v_mul_lo_u32 v22, v15, v19
	v_mul_hi_u32 v23, v15, v19
	v_mul_hi_u32 v24, v16, v20
	v_mul_lo_u32 v20, v16, v20
	v_mul_hi_u32 v25, v16, v19
	v_mul_lo_u32 v19, v16, v19
	v_add_co_u32 v21, vcc_lo, v21, v22
	v_add_co_ci_u32_e32 v22, vcc_lo, 0, v23, vcc_lo
	s_delay_alu instid0(VALU_DEP_2) | instskip(NEXT) | instid1(VALU_DEP_2)
	v_add_co_u32 v20, vcc_lo, v21, v20
	v_add_co_ci_u32_e32 v20, vcc_lo, v22, v24, vcc_lo
	v_add_co_ci_u32_e32 v21, vcc_lo, 0, v25, vcc_lo
	v_ashrrev_i32_e32 v24, 31, v18
	s_delay_alu instid0(VALU_DEP_3) | instskip(NEXT) | instid1(VALU_DEP_3)
	v_add_co_u32 v19, vcc_lo, v20, v19
	v_add_co_ci_u32_e32 v20, vcc_lo, 0, v21, vcc_lo
	s_delay_alu instid0(VALU_DEP_2) | instskip(NEXT) | instid1(VALU_DEP_2)
	v_add_co_u32 v15, vcc_lo, v15, v19
	v_add_co_ci_u32_e32 v16, vcc_lo, v16, v20, vcc_lo
	s_delay_alu instid0(VALU_DEP_2) | instskip(SKIP_1) | instid1(VALU_DEP_3)
	v_mul_hi_u32 v19, s0, v15
	v_mul_lo_u32 v21, s5, v15
	v_mul_lo_u32 v20, s0, v16
	s_delay_alu instid0(VALU_DEP_1) | instskip(SKIP_1) | instid1(VALU_DEP_2)
	v_add_nc_u32_e32 v19, v19, v20
	v_mul_lo_u32 v20, s0, v15
	v_add_nc_u32_e32 v19, v19, v21
	s_delay_alu instid0(VALU_DEP_2) | instskip(NEXT) | instid1(VALU_DEP_2)
	v_mul_hi_u32 v21, v15, v20
	v_mul_lo_u32 v22, v15, v19
	v_mul_hi_u32 v23, v15, v19
	v_mul_hi_u32 v25, v16, v20
	v_mul_lo_u32 v20, v16, v20
	v_mul_hi_u32 v26, v16, v19
	v_mul_lo_u32 v19, v16, v19
	v_add_co_u32 v21, vcc_lo, v21, v22
	v_add_co_ci_u32_e32 v22, vcc_lo, 0, v23, vcc_lo
	s_delay_alu instid0(VALU_DEP_2) | instskip(NEXT) | instid1(VALU_DEP_2)
	v_add_co_u32 v20, vcc_lo, v21, v20
	v_add_co_ci_u32_e32 v20, vcc_lo, v22, v25, vcc_lo
	v_add_co_ci_u32_e32 v21, vcc_lo, 0, v26, vcc_lo
	v_add_co_u32 v17, vcc_lo, v17, v24
	v_add_co_ci_u32_e32 v18, vcc_lo, v18, v24, vcc_lo
	s_delay_alu instid0(VALU_DEP_4) | instskip(NEXT) | instid1(VALU_DEP_4)
	v_add_co_u32 v19, vcc_lo, v20, v19
	v_add_co_ci_u32_e32 v20, vcc_lo, 0, v21, vcc_lo
	s_delay_alu instid0(VALU_DEP_4) | instskip(NEXT) | instid1(VALU_DEP_3)
	v_xor_b32_e32 v21, v17, v24
	v_add_co_u32 v19, vcc_lo, v15, v19
	s_delay_alu instid0(VALU_DEP_3) | instskip(SKIP_1) | instid1(VALU_DEP_3)
	v_add_co_ci_u32_e32 v22, vcc_lo, v16, v20, vcc_lo
	v_xor_b32_e32 v23, v18, v24
	v_mul_hi_u32 v25, v21, v19
	s_delay_alu instid0(VALU_DEP_3) | instskip(NEXT) | instid1(VALU_DEP_3)
	v_mad_u64_u32 v[15:16], null, v21, v22, 0
	v_mad_u64_u32 v[17:18], null, v23, v19, 0
	v_mad_u64_u32 v[19:20], null, v23, v22, 0
	s_delay_alu instid0(VALU_DEP_3) | instskip(NEXT) | instid1(VALU_DEP_4)
	v_add_co_u32 v15, vcc_lo, v25, v15
	v_add_co_ci_u32_e32 v16, vcc_lo, 0, v16, vcc_lo
	s_delay_alu instid0(VALU_DEP_2) | instskip(NEXT) | instid1(VALU_DEP_2)
	v_add_co_u32 v15, vcc_lo, v15, v17
	v_add_co_ci_u32_e32 v15, vcc_lo, v16, v18, vcc_lo
	v_add_co_ci_u32_e32 v16, vcc_lo, 0, v20, vcc_lo
	s_delay_alu instid0(VALU_DEP_2) | instskip(NEXT) | instid1(VALU_DEP_2)
	v_add_co_u32 v17, vcc_lo, v15, v19
	v_add_co_ci_u32_e32 v18, vcc_lo, 0, v16, vcc_lo
	s_delay_alu instid0(VALU_DEP_2) | instskip(SKIP_1) | instid1(VALU_DEP_3)
	v_mul_lo_u32 v19, s7, v17
	v_mad_u64_u32 v[15:16], null, s6, v17, 0
	v_mul_lo_u32 v20, s6, v18
	s_delay_alu instid0(VALU_DEP_2) | instskip(NEXT) | instid1(VALU_DEP_2)
	v_sub_co_u32 v15, vcc_lo, v21, v15
	v_add3_u32 v16, v16, v20, v19
	s_delay_alu instid0(VALU_DEP_1) | instskip(NEXT) | instid1(VALU_DEP_1)
	v_sub_nc_u32_e32 v19, v23, v16
	v_subrev_co_ci_u32_e64 v19, s0, s7, v19, vcc_lo
	v_add_co_u32 v20, s0, v17, 2
	s_delay_alu instid0(VALU_DEP_1) | instskip(SKIP_3) | instid1(VALU_DEP_3)
	v_add_co_ci_u32_e64 v21, s0, 0, v18, s0
	v_sub_co_u32 v22, s0, v15, s6
	v_sub_co_ci_u32_e32 v16, vcc_lo, v23, v16, vcc_lo
	v_subrev_co_ci_u32_e64 v19, s0, 0, v19, s0
	v_cmp_le_u32_e32 vcc_lo, s6, v22
	s_delay_alu instid0(VALU_DEP_3) | instskip(SKIP_1) | instid1(VALU_DEP_4)
	v_cmp_eq_u32_e64 s0, s7, v16
	v_cndmask_b32_e64 v22, 0, -1, vcc_lo
	v_cmp_le_u32_e32 vcc_lo, s7, v19
	v_cndmask_b32_e64 v23, 0, -1, vcc_lo
	v_cmp_le_u32_e32 vcc_lo, s6, v15
	v_cndmask_b32_e64 v15, 0, -1, vcc_lo
	v_cmp_le_u32_e32 vcc_lo, s7, v16
	v_cndmask_b32_e64 v25, 0, -1, vcc_lo
	v_cmp_eq_u32_e32 vcc_lo, s7, v19
	s_delay_alu instid0(VALU_DEP_2) | instskip(SKIP_3) | instid1(VALU_DEP_3)
	v_cndmask_b32_e64 v15, v25, v15, s0
	v_cndmask_b32_e32 v19, v23, v22, vcc_lo
	v_add_co_u32 v22, vcc_lo, v17, 1
	v_add_co_ci_u32_e32 v23, vcc_lo, 0, v18, vcc_lo
	v_cmp_ne_u32_e32 vcc_lo, 0, v19
	s_delay_alu instid0(VALU_DEP_2) | instskip(SKIP_2) | instid1(VALU_DEP_3)
	v_dual_cndmask_b32 v16, v23, v21 :: v_dual_cndmask_b32 v19, v22, v20
	v_cmp_ne_u32_e32 vcc_lo, 0, v15
	v_xor_b32_e32 v20, s4, v24
	v_dual_cndmask_b32 v15, v18, v16 :: v_dual_cndmask_b32 v16, v17, v19
	s_delay_alu instid0(VALU_DEP_1) | instskip(NEXT) | instid1(VALU_DEP_2)
	v_xor_b32_e32 v17, v15, v20
	v_xor_b32_e32 v16, v16, v20
	s_delay_alu instid0(VALU_DEP_1) | instskip(NEXT) | instid1(VALU_DEP_3)
	v_sub_co_u32 v15, vcc_lo, v16, v20
	v_sub_co_ci_u32_e32 v16, vcc_lo, v17, v20, vcc_lo
                                        ; implicit-def: $vgpr17
.LBB1169_172:
	s_and_not1_saveexec_b32 s0, s8
	s_cbranch_execz .LBB1169_174
; %bb.173:
	v_cvt_f32_u32_e32 v15, s38
	s_sub_i32 s4, 0, s38
	s_delay_alu instid0(VALU_DEP_1) | instskip(SKIP_2) | instid1(VALU_DEP_1)
	v_rcp_iflag_f32_e32 v15, v15
	s_waitcnt_depctr 0xfff
	v_mul_f32_e32 v15, 0x4f7ffffe, v15
	v_cvt_u32_f32_e32 v15, v15
	s_delay_alu instid0(VALU_DEP_1) | instskip(NEXT) | instid1(VALU_DEP_1)
	v_mul_lo_u32 v16, s4, v15
	v_mul_hi_u32 v16, v15, v16
	s_delay_alu instid0(VALU_DEP_1) | instskip(NEXT) | instid1(VALU_DEP_1)
	v_add_nc_u32_e32 v15, v15, v16
	v_mul_hi_u32 v15, v17, v15
	s_delay_alu instid0(VALU_DEP_1) | instskip(NEXT) | instid1(VALU_DEP_1)
	v_mul_lo_u32 v16, v15, s38
	v_sub_nc_u32_e32 v16, v17, v16
	v_add_nc_u32_e32 v17, 1, v15
	s_delay_alu instid0(VALU_DEP_2) | instskip(SKIP_1) | instid1(VALU_DEP_2)
	v_subrev_nc_u32_e32 v18, s38, v16
	v_cmp_le_u32_e32 vcc_lo, s38, v16
	v_dual_cndmask_b32 v16, v16, v18 :: v_dual_cndmask_b32 v15, v15, v17
	s_delay_alu instid0(VALU_DEP_1) | instskip(NEXT) | instid1(VALU_DEP_2)
	v_cmp_le_u32_e32 vcc_lo, s38, v16
	v_dual_mov_b32 v16, 0 :: v_dual_add_nc_u32 v17, 1, v15
	s_delay_alu instid0(VALU_DEP_1)
	v_cndmask_b32_e32 v15, v15, v17, vcc_lo
.LBB1169_174:
	s_or_b32 exec_lo, exec_lo, s0
.LBB1169_175:
	s_delay_alu instid0(SALU_CYCLE_1) | instskip(SKIP_1) | instid1(VALU_DEP_1)
	s_or_b32 exec_lo, exec_lo, s1
	v_or_b32_e32 v47, 0x800, v0
                                        ; implicit-def: $vgpr17_vgpr18
	v_cmp_gt_u32_e64 s8, s34, v47
	s_delay_alu instid0(VALU_DEP_1)
	s_and_saveexec_b32 s1, s8
	s_cbranch_execz .LBB1169_181
; %bb.176:
	v_add_co_u32 v19, s0, s24, v47
	s_delay_alu instid0(VALU_DEP_1) | instskip(SKIP_1) | instid1(VALU_DEP_2)
	v_add_co_ci_u32_e64 v20, null, s25, 0, s0
	v_mov_b32_e32 v17, 0
	v_or_b32_e32 v18, s39, v20
	s_delay_alu instid0(VALU_DEP_1) | instskip(SKIP_1) | instid1(SALU_CYCLE_1)
	v_cmp_ne_u64_e32 vcc_lo, 0, v[17:18]
                                        ; implicit-def: $vgpr17_vgpr18
	s_and_saveexec_b32 s0, vcc_lo
	s_xor_b32 s17, exec_lo, s0
	s_cbranch_execz .LBB1169_178
; %bb.177:
	s_ashr_i32 s4, s39, 31
	s_delay_alu instid0(SALU_CYCLE_1) | instskip(SKIP_2) | instid1(SALU_CYCLE_1)
	s_add_u32 s6, s38, s4
	s_mov_b32 s5, s4
	s_addc_u32 s7, s39, s4
	s_xor_b64 s[6:7], s[6:7], s[4:5]
	s_delay_alu instid0(SALU_CYCLE_1) | instskip(SKIP_3) | instid1(VALU_DEP_1)
	v_cvt_f32_u32_e32 v17, s6
	v_cvt_f32_u32_e32 v18, s7
	s_sub_u32 s0, 0, s6
	s_subb_u32 s5, 0, s7
	v_fmamk_f32 v17, v18, 0x4f800000, v17
	s_delay_alu instid0(VALU_DEP_1) | instskip(SKIP_2) | instid1(VALU_DEP_1)
	v_rcp_f32_e32 v17, v17
	s_waitcnt_depctr 0xfff
	v_mul_f32_e32 v17, 0x5f7ffffc, v17
	v_mul_f32_e32 v18, 0x2f800000, v17
	s_delay_alu instid0(VALU_DEP_1) | instskip(NEXT) | instid1(VALU_DEP_1)
	v_trunc_f32_e32 v18, v18
	v_fmamk_f32 v17, v18, 0xcf800000, v17
	v_cvt_u32_f32_e32 v18, v18
	s_delay_alu instid0(VALU_DEP_2) | instskip(NEXT) | instid1(VALU_DEP_2)
	v_cvt_u32_f32_e32 v17, v17
	v_mul_lo_u32 v21, s0, v18
	s_delay_alu instid0(VALU_DEP_2) | instskip(SKIP_1) | instid1(VALU_DEP_2)
	v_mul_hi_u32 v22, s0, v17
	v_mul_lo_u32 v23, s5, v17
	v_add_nc_u32_e32 v21, v22, v21
	v_mul_lo_u32 v22, s0, v17
	s_delay_alu instid0(VALU_DEP_2) | instskip(NEXT) | instid1(VALU_DEP_2)
	v_add_nc_u32_e32 v21, v21, v23
	v_mul_hi_u32 v23, v17, v22
	s_delay_alu instid0(VALU_DEP_2)
	v_mul_lo_u32 v24, v17, v21
	v_mul_hi_u32 v25, v17, v21
	v_mul_hi_u32 v26, v18, v22
	v_mul_lo_u32 v22, v18, v22
	v_mul_hi_u32 v27, v18, v21
	v_mul_lo_u32 v21, v18, v21
	v_add_co_u32 v23, vcc_lo, v23, v24
	v_add_co_ci_u32_e32 v24, vcc_lo, 0, v25, vcc_lo
	s_delay_alu instid0(VALU_DEP_2) | instskip(NEXT) | instid1(VALU_DEP_2)
	v_add_co_u32 v22, vcc_lo, v23, v22
	v_add_co_ci_u32_e32 v22, vcc_lo, v24, v26, vcc_lo
	v_add_co_ci_u32_e32 v23, vcc_lo, 0, v27, vcc_lo
	v_ashrrev_i32_e32 v26, 31, v20
	s_delay_alu instid0(VALU_DEP_3) | instskip(NEXT) | instid1(VALU_DEP_3)
	v_add_co_u32 v21, vcc_lo, v22, v21
	v_add_co_ci_u32_e32 v22, vcc_lo, 0, v23, vcc_lo
	s_delay_alu instid0(VALU_DEP_2) | instskip(NEXT) | instid1(VALU_DEP_2)
	v_add_co_u32 v17, vcc_lo, v17, v21
	v_add_co_ci_u32_e32 v18, vcc_lo, v18, v22, vcc_lo
	s_delay_alu instid0(VALU_DEP_2) | instskip(SKIP_1) | instid1(VALU_DEP_3)
	v_mul_hi_u32 v21, s0, v17
	v_mul_lo_u32 v23, s5, v17
	v_mul_lo_u32 v22, s0, v18
	s_delay_alu instid0(VALU_DEP_1) | instskip(SKIP_1) | instid1(VALU_DEP_2)
	v_add_nc_u32_e32 v21, v21, v22
	v_mul_lo_u32 v22, s0, v17
	v_add_nc_u32_e32 v21, v21, v23
	s_delay_alu instid0(VALU_DEP_2) | instskip(NEXT) | instid1(VALU_DEP_2)
	v_mul_hi_u32 v23, v17, v22
	v_mul_lo_u32 v24, v17, v21
	v_mul_hi_u32 v25, v17, v21
	v_mul_hi_u32 v27, v18, v22
	v_mul_lo_u32 v22, v18, v22
	v_mul_hi_u32 v28, v18, v21
	v_mul_lo_u32 v21, v18, v21
	v_add_co_u32 v23, vcc_lo, v23, v24
	v_add_co_ci_u32_e32 v24, vcc_lo, 0, v25, vcc_lo
	s_delay_alu instid0(VALU_DEP_2) | instskip(NEXT) | instid1(VALU_DEP_2)
	v_add_co_u32 v22, vcc_lo, v23, v22
	v_add_co_ci_u32_e32 v22, vcc_lo, v24, v27, vcc_lo
	v_add_co_ci_u32_e32 v23, vcc_lo, 0, v28, vcc_lo
	v_add_co_u32 v19, vcc_lo, v19, v26
	v_add_co_ci_u32_e32 v20, vcc_lo, v20, v26, vcc_lo
	s_delay_alu instid0(VALU_DEP_4) | instskip(NEXT) | instid1(VALU_DEP_4)
	v_add_co_u32 v21, vcc_lo, v22, v21
	v_add_co_ci_u32_e32 v22, vcc_lo, 0, v23, vcc_lo
	s_delay_alu instid0(VALU_DEP_4) | instskip(NEXT) | instid1(VALU_DEP_3)
	v_xor_b32_e32 v23, v19, v26
	v_add_co_u32 v21, vcc_lo, v17, v21
	s_delay_alu instid0(VALU_DEP_3) | instskip(SKIP_1) | instid1(VALU_DEP_3)
	v_add_co_ci_u32_e32 v24, vcc_lo, v18, v22, vcc_lo
	v_xor_b32_e32 v25, v20, v26
	v_mul_hi_u32 v27, v23, v21
	s_delay_alu instid0(VALU_DEP_3) | instskip(NEXT) | instid1(VALU_DEP_3)
	v_mad_u64_u32 v[17:18], null, v23, v24, 0
	v_mad_u64_u32 v[19:20], null, v25, v21, 0
	;; [unrolled: 1-line block ×3, first 2 shown]
	s_delay_alu instid0(VALU_DEP_3) | instskip(NEXT) | instid1(VALU_DEP_4)
	v_add_co_u32 v17, vcc_lo, v27, v17
	v_add_co_ci_u32_e32 v18, vcc_lo, 0, v18, vcc_lo
	s_delay_alu instid0(VALU_DEP_2) | instskip(NEXT) | instid1(VALU_DEP_2)
	v_add_co_u32 v17, vcc_lo, v17, v19
	v_add_co_ci_u32_e32 v17, vcc_lo, v18, v20, vcc_lo
	v_add_co_ci_u32_e32 v18, vcc_lo, 0, v22, vcc_lo
	s_delay_alu instid0(VALU_DEP_2) | instskip(NEXT) | instid1(VALU_DEP_2)
	v_add_co_u32 v19, vcc_lo, v17, v21
	v_add_co_ci_u32_e32 v20, vcc_lo, 0, v18, vcc_lo
	s_delay_alu instid0(VALU_DEP_2) | instskip(SKIP_1) | instid1(VALU_DEP_3)
	v_mul_lo_u32 v21, s7, v19
	v_mad_u64_u32 v[17:18], null, s6, v19, 0
	v_mul_lo_u32 v22, s6, v20
	s_delay_alu instid0(VALU_DEP_2) | instskip(NEXT) | instid1(VALU_DEP_2)
	v_sub_co_u32 v17, vcc_lo, v23, v17
	v_add3_u32 v18, v18, v22, v21
	s_delay_alu instid0(VALU_DEP_1) | instskip(NEXT) | instid1(VALU_DEP_1)
	v_sub_nc_u32_e32 v21, v25, v18
	v_subrev_co_ci_u32_e64 v21, s0, s7, v21, vcc_lo
	v_add_co_u32 v22, s0, v19, 2
	s_delay_alu instid0(VALU_DEP_1) | instskip(SKIP_3) | instid1(VALU_DEP_3)
	v_add_co_ci_u32_e64 v23, s0, 0, v20, s0
	v_sub_co_u32 v24, s0, v17, s6
	v_sub_co_ci_u32_e32 v18, vcc_lo, v25, v18, vcc_lo
	v_subrev_co_ci_u32_e64 v21, s0, 0, v21, s0
	v_cmp_le_u32_e32 vcc_lo, s6, v24
	s_delay_alu instid0(VALU_DEP_3) | instskip(SKIP_1) | instid1(VALU_DEP_4)
	v_cmp_eq_u32_e64 s0, s7, v18
	v_cndmask_b32_e64 v24, 0, -1, vcc_lo
	v_cmp_le_u32_e32 vcc_lo, s7, v21
	v_cndmask_b32_e64 v25, 0, -1, vcc_lo
	v_cmp_le_u32_e32 vcc_lo, s6, v17
	;; [unrolled: 2-line block ×3, first 2 shown]
	v_cndmask_b32_e64 v27, 0, -1, vcc_lo
	v_cmp_eq_u32_e32 vcc_lo, s7, v21
	s_delay_alu instid0(VALU_DEP_2) | instskip(SKIP_3) | instid1(VALU_DEP_3)
	v_cndmask_b32_e64 v17, v27, v17, s0
	v_cndmask_b32_e32 v21, v25, v24, vcc_lo
	v_add_co_u32 v24, vcc_lo, v19, 1
	v_add_co_ci_u32_e32 v25, vcc_lo, 0, v20, vcc_lo
	v_cmp_ne_u32_e32 vcc_lo, 0, v21
	s_delay_alu instid0(VALU_DEP_2) | instskip(SKIP_2) | instid1(VALU_DEP_3)
	v_dual_cndmask_b32 v18, v25, v23 :: v_dual_cndmask_b32 v21, v24, v22
	v_cmp_ne_u32_e32 vcc_lo, 0, v17
	v_xor_b32_e32 v22, s4, v26
	v_dual_cndmask_b32 v17, v20, v18 :: v_dual_cndmask_b32 v18, v19, v21
	s_delay_alu instid0(VALU_DEP_1) | instskip(NEXT) | instid1(VALU_DEP_2)
	v_xor_b32_e32 v19, v17, v22
	v_xor_b32_e32 v18, v18, v22
	s_delay_alu instid0(VALU_DEP_1) | instskip(NEXT) | instid1(VALU_DEP_3)
	v_sub_co_u32 v17, vcc_lo, v18, v22
	v_sub_co_ci_u32_e32 v18, vcc_lo, v19, v22, vcc_lo
                                        ; implicit-def: $vgpr19
.LBB1169_178:
	s_and_not1_saveexec_b32 s0, s17
	s_cbranch_execz .LBB1169_180
; %bb.179:
	v_cvt_f32_u32_e32 v17, s38
	s_sub_i32 s4, 0, s38
	s_delay_alu instid0(VALU_DEP_1) | instskip(SKIP_2) | instid1(VALU_DEP_1)
	v_rcp_iflag_f32_e32 v17, v17
	s_waitcnt_depctr 0xfff
	v_mul_f32_e32 v17, 0x4f7ffffe, v17
	v_cvt_u32_f32_e32 v17, v17
	s_delay_alu instid0(VALU_DEP_1) | instskip(NEXT) | instid1(VALU_DEP_1)
	v_mul_lo_u32 v18, s4, v17
	v_mul_hi_u32 v18, v17, v18
	s_delay_alu instid0(VALU_DEP_1) | instskip(NEXT) | instid1(VALU_DEP_1)
	v_add_nc_u32_e32 v17, v17, v18
	v_mul_hi_u32 v17, v19, v17
	s_delay_alu instid0(VALU_DEP_1) | instskip(NEXT) | instid1(VALU_DEP_1)
	v_mul_lo_u32 v18, v17, s38
	v_sub_nc_u32_e32 v18, v19, v18
	v_add_nc_u32_e32 v19, 1, v17
	s_delay_alu instid0(VALU_DEP_2) | instskip(SKIP_1) | instid1(VALU_DEP_2)
	v_subrev_nc_u32_e32 v20, s38, v18
	v_cmp_le_u32_e32 vcc_lo, s38, v18
	v_dual_cndmask_b32 v18, v18, v20 :: v_dual_cndmask_b32 v17, v17, v19
	s_delay_alu instid0(VALU_DEP_1) | instskip(NEXT) | instid1(VALU_DEP_2)
	v_cmp_le_u32_e32 vcc_lo, s38, v18
	v_dual_mov_b32 v18, 0 :: v_dual_add_nc_u32 v19, 1, v17
	s_delay_alu instid0(VALU_DEP_1)
	v_cndmask_b32_e32 v17, v17, v19, vcc_lo
.LBB1169_180:
	s_or_b32 exec_lo, exec_lo, s0
.LBB1169_181:
	s_delay_alu instid0(SALU_CYCLE_1) | instskip(SKIP_1) | instid1(VALU_DEP_1)
	s_or_b32 exec_lo, exec_lo, s1
	v_or_b32_e32 v49, 0x900, v0
                                        ; implicit-def: $vgpr19_vgpr20
	v_cmp_gt_u32_e64 s7, s34, v49
	s_delay_alu instid0(VALU_DEP_1)
	s_and_saveexec_b32 s1, s7
	s_cbranch_execz .LBB1169_187
; %bb.182:
	v_add_co_u32 v21, s0, s24, v49
	s_delay_alu instid0(VALU_DEP_1) | instskip(SKIP_1) | instid1(VALU_DEP_2)
	v_add_co_ci_u32_e64 v22, null, s25, 0, s0
	v_mov_b32_e32 v19, 0
	v_or_b32_e32 v20, s39, v22
	s_delay_alu instid0(VALU_DEP_1) | instskip(SKIP_1) | instid1(SALU_CYCLE_1)
	v_cmp_ne_u64_e32 vcc_lo, 0, v[19:20]
                                        ; implicit-def: $vgpr19_vgpr20
	s_and_saveexec_b32 s0, vcc_lo
	s_xor_b32 s6, exec_lo, s0
	s_cbranch_execz .LBB1169_184
; %bb.183:
	s_ashr_i32 s4, s39, 31
	s_delay_alu instid0(SALU_CYCLE_1) | instskip(SKIP_2) | instid1(SALU_CYCLE_1)
	s_add_u32 s20, s38, s4
	s_mov_b32 s5, s4
	s_addc_u32 s21, s39, s4
	s_xor_b64 s[20:21], s[20:21], s[4:5]
	s_delay_alu instid0(SALU_CYCLE_1) | instskip(SKIP_3) | instid1(VALU_DEP_1)
	v_cvt_f32_u32_e32 v19, s20
	v_cvt_f32_u32_e32 v20, s21
	s_sub_u32 s0, 0, s20
	s_subb_u32 s5, 0, s21
	v_fmamk_f32 v19, v20, 0x4f800000, v19
	s_delay_alu instid0(VALU_DEP_1) | instskip(SKIP_2) | instid1(VALU_DEP_1)
	v_rcp_f32_e32 v19, v19
	s_waitcnt_depctr 0xfff
	v_mul_f32_e32 v19, 0x5f7ffffc, v19
	v_mul_f32_e32 v20, 0x2f800000, v19
	s_delay_alu instid0(VALU_DEP_1) | instskip(NEXT) | instid1(VALU_DEP_1)
	v_trunc_f32_e32 v20, v20
	v_fmamk_f32 v19, v20, 0xcf800000, v19
	v_cvt_u32_f32_e32 v20, v20
	s_delay_alu instid0(VALU_DEP_2) | instskip(NEXT) | instid1(VALU_DEP_2)
	v_cvt_u32_f32_e32 v19, v19
	v_mul_lo_u32 v23, s0, v20
	s_delay_alu instid0(VALU_DEP_2) | instskip(SKIP_1) | instid1(VALU_DEP_2)
	v_mul_hi_u32 v24, s0, v19
	v_mul_lo_u32 v25, s5, v19
	v_add_nc_u32_e32 v23, v24, v23
	v_mul_lo_u32 v24, s0, v19
	s_delay_alu instid0(VALU_DEP_2) | instskip(NEXT) | instid1(VALU_DEP_2)
	v_add_nc_u32_e32 v23, v23, v25
	v_mul_hi_u32 v25, v19, v24
	s_delay_alu instid0(VALU_DEP_2)
	v_mul_lo_u32 v26, v19, v23
	v_mul_hi_u32 v27, v19, v23
	v_mul_hi_u32 v28, v20, v24
	v_mul_lo_u32 v24, v20, v24
	v_mul_hi_u32 v29, v20, v23
	v_mul_lo_u32 v23, v20, v23
	v_add_co_u32 v25, vcc_lo, v25, v26
	v_add_co_ci_u32_e32 v26, vcc_lo, 0, v27, vcc_lo
	s_delay_alu instid0(VALU_DEP_2) | instskip(NEXT) | instid1(VALU_DEP_2)
	v_add_co_u32 v24, vcc_lo, v25, v24
	v_add_co_ci_u32_e32 v24, vcc_lo, v26, v28, vcc_lo
	v_add_co_ci_u32_e32 v25, vcc_lo, 0, v29, vcc_lo
	v_ashrrev_i32_e32 v28, 31, v22
	s_delay_alu instid0(VALU_DEP_3) | instskip(NEXT) | instid1(VALU_DEP_3)
	v_add_co_u32 v23, vcc_lo, v24, v23
	v_add_co_ci_u32_e32 v24, vcc_lo, 0, v25, vcc_lo
	s_delay_alu instid0(VALU_DEP_2) | instskip(NEXT) | instid1(VALU_DEP_2)
	v_add_co_u32 v19, vcc_lo, v19, v23
	v_add_co_ci_u32_e32 v20, vcc_lo, v20, v24, vcc_lo
	s_delay_alu instid0(VALU_DEP_2) | instskip(SKIP_1) | instid1(VALU_DEP_3)
	v_mul_hi_u32 v23, s0, v19
	v_mul_lo_u32 v25, s5, v19
	v_mul_lo_u32 v24, s0, v20
	s_delay_alu instid0(VALU_DEP_1) | instskip(SKIP_1) | instid1(VALU_DEP_2)
	v_add_nc_u32_e32 v23, v23, v24
	v_mul_lo_u32 v24, s0, v19
	v_add_nc_u32_e32 v23, v23, v25
	s_delay_alu instid0(VALU_DEP_2) | instskip(NEXT) | instid1(VALU_DEP_2)
	v_mul_hi_u32 v25, v19, v24
	v_mul_lo_u32 v26, v19, v23
	v_mul_hi_u32 v27, v19, v23
	v_mul_hi_u32 v29, v20, v24
	v_mul_lo_u32 v24, v20, v24
	v_mul_hi_u32 v30, v20, v23
	v_mul_lo_u32 v23, v20, v23
	v_add_co_u32 v25, vcc_lo, v25, v26
	v_add_co_ci_u32_e32 v26, vcc_lo, 0, v27, vcc_lo
	s_delay_alu instid0(VALU_DEP_2) | instskip(NEXT) | instid1(VALU_DEP_2)
	v_add_co_u32 v24, vcc_lo, v25, v24
	v_add_co_ci_u32_e32 v24, vcc_lo, v26, v29, vcc_lo
	v_add_co_ci_u32_e32 v25, vcc_lo, 0, v30, vcc_lo
	v_add_co_u32 v21, vcc_lo, v21, v28
	v_add_co_ci_u32_e32 v22, vcc_lo, v22, v28, vcc_lo
	s_delay_alu instid0(VALU_DEP_4) | instskip(NEXT) | instid1(VALU_DEP_4)
	v_add_co_u32 v23, vcc_lo, v24, v23
	v_add_co_ci_u32_e32 v24, vcc_lo, 0, v25, vcc_lo
	s_delay_alu instid0(VALU_DEP_4) | instskip(NEXT) | instid1(VALU_DEP_3)
	v_xor_b32_e32 v25, v21, v28
	v_add_co_u32 v23, vcc_lo, v19, v23
	s_delay_alu instid0(VALU_DEP_3) | instskip(SKIP_1) | instid1(VALU_DEP_3)
	v_add_co_ci_u32_e32 v26, vcc_lo, v20, v24, vcc_lo
	v_xor_b32_e32 v27, v22, v28
	v_mul_hi_u32 v29, v25, v23
	s_delay_alu instid0(VALU_DEP_3) | instskip(NEXT) | instid1(VALU_DEP_3)
	v_mad_u64_u32 v[19:20], null, v25, v26, 0
	v_mad_u64_u32 v[21:22], null, v27, v23, 0
	;; [unrolled: 1-line block ×3, first 2 shown]
	s_delay_alu instid0(VALU_DEP_3) | instskip(NEXT) | instid1(VALU_DEP_4)
	v_add_co_u32 v19, vcc_lo, v29, v19
	v_add_co_ci_u32_e32 v20, vcc_lo, 0, v20, vcc_lo
	s_delay_alu instid0(VALU_DEP_2) | instskip(NEXT) | instid1(VALU_DEP_2)
	v_add_co_u32 v19, vcc_lo, v19, v21
	v_add_co_ci_u32_e32 v19, vcc_lo, v20, v22, vcc_lo
	v_add_co_ci_u32_e32 v20, vcc_lo, 0, v24, vcc_lo
	s_delay_alu instid0(VALU_DEP_2) | instskip(NEXT) | instid1(VALU_DEP_2)
	v_add_co_u32 v21, vcc_lo, v19, v23
	v_add_co_ci_u32_e32 v22, vcc_lo, 0, v20, vcc_lo
	s_delay_alu instid0(VALU_DEP_2) | instskip(SKIP_1) | instid1(VALU_DEP_3)
	v_mul_lo_u32 v23, s21, v21
	v_mad_u64_u32 v[19:20], null, s20, v21, 0
	v_mul_lo_u32 v24, s20, v22
	s_delay_alu instid0(VALU_DEP_2) | instskip(NEXT) | instid1(VALU_DEP_2)
	v_sub_co_u32 v19, vcc_lo, v25, v19
	v_add3_u32 v20, v20, v24, v23
	s_delay_alu instid0(VALU_DEP_1) | instskip(NEXT) | instid1(VALU_DEP_1)
	v_sub_nc_u32_e32 v23, v27, v20
	v_subrev_co_ci_u32_e64 v23, s0, s21, v23, vcc_lo
	v_add_co_u32 v24, s0, v21, 2
	s_delay_alu instid0(VALU_DEP_1) | instskip(SKIP_3) | instid1(VALU_DEP_3)
	v_add_co_ci_u32_e64 v25, s0, 0, v22, s0
	v_sub_co_u32 v26, s0, v19, s20
	v_sub_co_ci_u32_e32 v20, vcc_lo, v27, v20, vcc_lo
	v_subrev_co_ci_u32_e64 v23, s0, 0, v23, s0
	v_cmp_le_u32_e32 vcc_lo, s20, v26
	s_delay_alu instid0(VALU_DEP_3) | instskip(SKIP_1) | instid1(VALU_DEP_4)
	v_cmp_eq_u32_e64 s0, s21, v20
	v_cndmask_b32_e64 v26, 0, -1, vcc_lo
	v_cmp_le_u32_e32 vcc_lo, s21, v23
	v_cndmask_b32_e64 v27, 0, -1, vcc_lo
	v_cmp_le_u32_e32 vcc_lo, s20, v19
	;; [unrolled: 2-line block ×3, first 2 shown]
	v_cndmask_b32_e64 v29, 0, -1, vcc_lo
	v_cmp_eq_u32_e32 vcc_lo, s21, v23
	s_delay_alu instid0(VALU_DEP_2) | instskip(SKIP_3) | instid1(VALU_DEP_3)
	v_cndmask_b32_e64 v19, v29, v19, s0
	v_cndmask_b32_e32 v23, v27, v26, vcc_lo
	v_add_co_u32 v26, vcc_lo, v21, 1
	v_add_co_ci_u32_e32 v27, vcc_lo, 0, v22, vcc_lo
	v_cmp_ne_u32_e32 vcc_lo, 0, v23
	s_delay_alu instid0(VALU_DEP_2) | instskip(SKIP_2) | instid1(VALU_DEP_3)
	v_dual_cndmask_b32 v20, v27, v25 :: v_dual_cndmask_b32 v23, v26, v24
	v_cmp_ne_u32_e32 vcc_lo, 0, v19
	v_xor_b32_e32 v24, s4, v28
	v_dual_cndmask_b32 v19, v22, v20 :: v_dual_cndmask_b32 v20, v21, v23
	s_delay_alu instid0(VALU_DEP_1) | instskip(NEXT) | instid1(VALU_DEP_2)
	v_xor_b32_e32 v21, v19, v24
	v_xor_b32_e32 v20, v20, v24
	s_delay_alu instid0(VALU_DEP_1) | instskip(NEXT) | instid1(VALU_DEP_3)
	v_sub_co_u32 v19, vcc_lo, v20, v24
	v_sub_co_ci_u32_e32 v20, vcc_lo, v21, v24, vcc_lo
                                        ; implicit-def: $vgpr21
.LBB1169_184:
	s_and_not1_saveexec_b32 s0, s6
	s_cbranch_execz .LBB1169_186
; %bb.185:
	v_cvt_f32_u32_e32 v19, s38
	s_sub_i32 s4, 0, s38
	s_delay_alu instid0(VALU_DEP_1) | instskip(SKIP_2) | instid1(VALU_DEP_1)
	v_rcp_iflag_f32_e32 v19, v19
	s_waitcnt_depctr 0xfff
	v_mul_f32_e32 v19, 0x4f7ffffe, v19
	v_cvt_u32_f32_e32 v19, v19
	s_delay_alu instid0(VALU_DEP_1) | instskip(NEXT) | instid1(VALU_DEP_1)
	v_mul_lo_u32 v20, s4, v19
	v_mul_hi_u32 v20, v19, v20
	s_delay_alu instid0(VALU_DEP_1) | instskip(NEXT) | instid1(VALU_DEP_1)
	v_add_nc_u32_e32 v19, v19, v20
	v_mul_hi_u32 v19, v21, v19
	s_delay_alu instid0(VALU_DEP_1) | instskip(NEXT) | instid1(VALU_DEP_1)
	v_mul_lo_u32 v20, v19, s38
	v_sub_nc_u32_e32 v20, v21, v20
	v_add_nc_u32_e32 v21, 1, v19
	s_delay_alu instid0(VALU_DEP_2) | instskip(SKIP_1) | instid1(VALU_DEP_2)
	v_subrev_nc_u32_e32 v22, s38, v20
	v_cmp_le_u32_e32 vcc_lo, s38, v20
	v_dual_cndmask_b32 v20, v20, v22 :: v_dual_cndmask_b32 v19, v19, v21
	s_delay_alu instid0(VALU_DEP_1) | instskip(NEXT) | instid1(VALU_DEP_2)
	v_cmp_le_u32_e32 vcc_lo, s38, v20
	v_dual_mov_b32 v20, 0 :: v_dual_add_nc_u32 v21, 1, v19
	s_delay_alu instid0(VALU_DEP_1)
	v_cndmask_b32_e32 v19, v19, v21, vcc_lo
.LBB1169_186:
	s_or_b32 exec_lo, exec_lo, s0
.LBB1169_187:
	s_delay_alu instid0(SALU_CYCLE_1) | instskip(SKIP_1) | instid1(VALU_DEP_1)
	s_or_b32 exec_lo, exec_lo, s1
	v_or_b32_e32 v51, 0xa00, v0
                                        ; implicit-def: $vgpr21_vgpr22
	v_cmp_gt_u32_e64 s6, s34, v51
	s_delay_alu instid0(VALU_DEP_1)
	s_and_saveexec_b32 s1, s6
	s_cbranch_execz .LBB1169_193
; %bb.188:
	v_add_co_u32 v23, s0, s24, v51
	s_delay_alu instid0(VALU_DEP_1) | instskip(SKIP_1) | instid1(VALU_DEP_2)
	v_add_co_ci_u32_e64 v24, null, s25, 0, s0
	v_mov_b32_e32 v21, 0
	v_or_b32_e32 v22, s39, v24
	s_delay_alu instid0(VALU_DEP_1) | instskip(SKIP_1) | instid1(SALU_CYCLE_1)
	v_cmp_ne_u64_e32 vcc_lo, 0, v[21:22]
                                        ; implicit-def: $vgpr21_vgpr22
	s_and_saveexec_b32 s0, vcc_lo
	s_xor_b32 s17, exec_lo, s0
	s_cbranch_execz .LBB1169_190
; %bb.189:
	s_ashr_i32 s4, s39, 31
	s_delay_alu instid0(SALU_CYCLE_1) | instskip(SKIP_2) | instid1(SALU_CYCLE_1)
	s_add_u32 s20, s38, s4
	s_mov_b32 s5, s4
	s_addc_u32 s21, s39, s4
	s_xor_b64 s[20:21], s[20:21], s[4:5]
	s_delay_alu instid0(SALU_CYCLE_1) | instskip(SKIP_3) | instid1(VALU_DEP_1)
	v_cvt_f32_u32_e32 v21, s20
	v_cvt_f32_u32_e32 v22, s21
	s_sub_u32 s0, 0, s20
	s_subb_u32 s5, 0, s21
	v_fmamk_f32 v21, v22, 0x4f800000, v21
	s_delay_alu instid0(VALU_DEP_1) | instskip(SKIP_2) | instid1(VALU_DEP_1)
	v_rcp_f32_e32 v21, v21
	s_waitcnt_depctr 0xfff
	v_mul_f32_e32 v21, 0x5f7ffffc, v21
	v_mul_f32_e32 v22, 0x2f800000, v21
	s_delay_alu instid0(VALU_DEP_1) | instskip(NEXT) | instid1(VALU_DEP_1)
	v_trunc_f32_e32 v22, v22
	v_fmamk_f32 v21, v22, 0xcf800000, v21
	v_cvt_u32_f32_e32 v22, v22
	s_delay_alu instid0(VALU_DEP_2) | instskip(NEXT) | instid1(VALU_DEP_2)
	v_cvt_u32_f32_e32 v21, v21
	v_mul_lo_u32 v25, s0, v22
	s_delay_alu instid0(VALU_DEP_2) | instskip(SKIP_1) | instid1(VALU_DEP_2)
	v_mul_hi_u32 v26, s0, v21
	v_mul_lo_u32 v27, s5, v21
	v_add_nc_u32_e32 v25, v26, v25
	v_mul_lo_u32 v26, s0, v21
	s_delay_alu instid0(VALU_DEP_2) | instskip(NEXT) | instid1(VALU_DEP_2)
	v_add_nc_u32_e32 v25, v25, v27
	v_mul_hi_u32 v27, v21, v26
	s_delay_alu instid0(VALU_DEP_2)
	v_mul_lo_u32 v28, v21, v25
	v_mul_hi_u32 v29, v21, v25
	v_mul_hi_u32 v30, v22, v26
	v_mul_lo_u32 v26, v22, v26
	v_mul_hi_u32 v31, v22, v25
	v_mul_lo_u32 v25, v22, v25
	v_add_co_u32 v27, vcc_lo, v27, v28
	v_add_co_ci_u32_e32 v28, vcc_lo, 0, v29, vcc_lo
	s_delay_alu instid0(VALU_DEP_2) | instskip(NEXT) | instid1(VALU_DEP_2)
	v_add_co_u32 v26, vcc_lo, v27, v26
	v_add_co_ci_u32_e32 v26, vcc_lo, v28, v30, vcc_lo
	v_add_co_ci_u32_e32 v27, vcc_lo, 0, v31, vcc_lo
	v_ashrrev_i32_e32 v30, 31, v24
	s_delay_alu instid0(VALU_DEP_3) | instskip(NEXT) | instid1(VALU_DEP_3)
	v_add_co_u32 v25, vcc_lo, v26, v25
	v_add_co_ci_u32_e32 v26, vcc_lo, 0, v27, vcc_lo
	s_delay_alu instid0(VALU_DEP_2) | instskip(NEXT) | instid1(VALU_DEP_2)
	v_add_co_u32 v21, vcc_lo, v21, v25
	v_add_co_ci_u32_e32 v22, vcc_lo, v22, v26, vcc_lo
	s_delay_alu instid0(VALU_DEP_2) | instskip(SKIP_1) | instid1(VALU_DEP_3)
	v_mul_hi_u32 v25, s0, v21
	v_mul_lo_u32 v27, s5, v21
	v_mul_lo_u32 v26, s0, v22
	s_delay_alu instid0(VALU_DEP_1) | instskip(SKIP_1) | instid1(VALU_DEP_2)
	v_add_nc_u32_e32 v25, v25, v26
	v_mul_lo_u32 v26, s0, v21
	v_add_nc_u32_e32 v25, v25, v27
	s_delay_alu instid0(VALU_DEP_2) | instskip(NEXT) | instid1(VALU_DEP_2)
	v_mul_hi_u32 v27, v21, v26
	v_mul_lo_u32 v28, v21, v25
	v_mul_hi_u32 v29, v21, v25
	v_mul_hi_u32 v31, v22, v26
	v_mul_lo_u32 v26, v22, v26
	v_mul_hi_u32 v32, v22, v25
	v_mul_lo_u32 v25, v22, v25
	v_add_co_u32 v27, vcc_lo, v27, v28
	v_add_co_ci_u32_e32 v28, vcc_lo, 0, v29, vcc_lo
	s_delay_alu instid0(VALU_DEP_2) | instskip(NEXT) | instid1(VALU_DEP_2)
	v_add_co_u32 v26, vcc_lo, v27, v26
	v_add_co_ci_u32_e32 v26, vcc_lo, v28, v31, vcc_lo
	v_add_co_ci_u32_e32 v27, vcc_lo, 0, v32, vcc_lo
	v_add_co_u32 v23, vcc_lo, v23, v30
	v_add_co_ci_u32_e32 v24, vcc_lo, v24, v30, vcc_lo
	s_delay_alu instid0(VALU_DEP_4) | instskip(NEXT) | instid1(VALU_DEP_4)
	v_add_co_u32 v25, vcc_lo, v26, v25
	v_add_co_ci_u32_e32 v26, vcc_lo, 0, v27, vcc_lo
	s_delay_alu instid0(VALU_DEP_4) | instskip(NEXT) | instid1(VALU_DEP_3)
	v_xor_b32_e32 v27, v23, v30
	v_add_co_u32 v25, vcc_lo, v21, v25
	s_delay_alu instid0(VALU_DEP_3) | instskip(SKIP_1) | instid1(VALU_DEP_3)
	v_add_co_ci_u32_e32 v28, vcc_lo, v22, v26, vcc_lo
	v_xor_b32_e32 v29, v24, v30
	v_mul_hi_u32 v31, v27, v25
	s_delay_alu instid0(VALU_DEP_3) | instskip(NEXT) | instid1(VALU_DEP_3)
	v_mad_u64_u32 v[21:22], null, v27, v28, 0
	v_mad_u64_u32 v[23:24], null, v29, v25, 0
	v_mad_u64_u32 v[25:26], null, v29, v28, 0
	s_delay_alu instid0(VALU_DEP_3) | instskip(NEXT) | instid1(VALU_DEP_4)
	v_add_co_u32 v21, vcc_lo, v31, v21
	v_add_co_ci_u32_e32 v22, vcc_lo, 0, v22, vcc_lo
	s_delay_alu instid0(VALU_DEP_2) | instskip(NEXT) | instid1(VALU_DEP_2)
	v_add_co_u32 v21, vcc_lo, v21, v23
	v_add_co_ci_u32_e32 v21, vcc_lo, v22, v24, vcc_lo
	v_add_co_ci_u32_e32 v22, vcc_lo, 0, v26, vcc_lo
	s_delay_alu instid0(VALU_DEP_2) | instskip(NEXT) | instid1(VALU_DEP_2)
	v_add_co_u32 v23, vcc_lo, v21, v25
	v_add_co_ci_u32_e32 v24, vcc_lo, 0, v22, vcc_lo
	s_delay_alu instid0(VALU_DEP_2) | instskip(SKIP_1) | instid1(VALU_DEP_3)
	v_mul_lo_u32 v25, s21, v23
	v_mad_u64_u32 v[21:22], null, s20, v23, 0
	v_mul_lo_u32 v26, s20, v24
	s_delay_alu instid0(VALU_DEP_2) | instskip(NEXT) | instid1(VALU_DEP_2)
	v_sub_co_u32 v21, vcc_lo, v27, v21
	v_add3_u32 v22, v22, v26, v25
	s_delay_alu instid0(VALU_DEP_1) | instskip(NEXT) | instid1(VALU_DEP_1)
	v_sub_nc_u32_e32 v25, v29, v22
	v_subrev_co_ci_u32_e64 v25, s0, s21, v25, vcc_lo
	v_add_co_u32 v26, s0, v23, 2
	s_delay_alu instid0(VALU_DEP_1) | instskip(SKIP_3) | instid1(VALU_DEP_3)
	v_add_co_ci_u32_e64 v27, s0, 0, v24, s0
	v_sub_co_u32 v28, s0, v21, s20
	v_sub_co_ci_u32_e32 v22, vcc_lo, v29, v22, vcc_lo
	v_subrev_co_ci_u32_e64 v25, s0, 0, v25, s0
	v_cmp_le_u32_e32 vcc_lo, s20, v28
	s_delay_alu instid0(VALU_DEP_3) | instskip(SKIP_1) | instid1(VALU_DEP_4)
	v_cmp_eq_u32_e64 s0, s21, v22
	v_cndmask_b32_e64 v28, 0, -1, vcc_lo
	v_cmp_le_u32_e32 vcc_lo, s21, v25
	v_cndmask_b32_e64 v29, 0, -1, vcc_lo
	v_cmp_le_u32_e32 vcc_lo, s20, v21
	;; [unrolled: 2-line block ×3, first 2 shown]
	v_cndmask_b32_e64 v31, 0, -1, vcc_lo
	v_cmp_eq_u32_e32 vcc_lo, s21, v25
	s_delay_alu instid0(VALU_DEP_2) | instskip(SKIP_3) | instid1(VALU_DEP_3)
	v_cndmask_b32_e64 v21, v31, v21, s0
	v_cndmask_b32_e32 v25, v29, v28, vcc_lo
	v_add_co_u32 v28, vcc_lo, v23, 1
	v_add_co_ci_u32_e32 v29, vcc_lo, 0, v24, vcc_lo
	v_cmp_ne_u32_e32 vcc_lo, 0, v25
	s_delay_alu instid0(VALU_DEP_2) | instskip(SKIP_2) | instid1(VALU_DEP_3)
	v_dual_cndmask_b32 v22, v29, v27 :: v_dual_cndmask_b32 v25, v28, v26
	v_cmp_ne_u32_e32 vcc_lo, 0, v21
	v_xor_b32_e32 v26, s4, v30
	v_dual_cndmask_b32 v21, v24, v22 :: v_dual_cndmask_b32 v22, v23, v25
	s_delay_alu instid0(VALU_DEP_1) | instskip(NEXT) | instid1(VALU_DEP_2)
	v_xor_b32_e32 v23, v21, v26
	v_xor_b32_e32 v22, v22, v26
	s_delay_alu instid0(VALU_DEP_1) | instskip(NEXT) | instid1(VALU_DEP_3)
	v_sub_co_u32 v21, vcc_lo, v22, v26
	v_sub_co_ci_u32_e32 v22, vcc_lo, v23, v26, vcc_lo
                                        ; implicit-def: $vgpr23
.LBB1169_190:
	s_and_not1_saveexec_b32 s0, s17
	s_cbranch_execz .LBB1169_192
; %bb.191:
	v_cvt_f32_u32_e32 v21, s38
	s_sub_i32 s4, 0, s38
	s_delay_alu instid0(VALU_DEP_1) | instskip(SKIP_2) | instid1(VALU_DEP_1)
	v_rcp_iflag_f32_e32 v21, v21
	s_waitcnt_depctr 0xfff
	v_mul_f32_e32 v21, 0x4f7ffffe, v21
	v_cvt_u32_f32_e32 v21, v21
	s_delay_alu instid0(VALU_DEP_1) | instskip(NEXT) | instid1(VALU_DEP_1)
	v_mul_lo_u32 v22, s4, v21
	v_mul_hi_u32 v22, v21, v22
	s_delay_alu instid0(VALU_DEP_1) | instskip(NEXT) | instid1(VALU_DEP_1)
	v_add_nc_u32_e32 v21, v21, v22
	v_mul_hi_u32 v21, v23, v21
	s_delay_alu instid0(VALU_DEP_1) | instskip(NEXT) | instid1(VALU_DEP_1)
	v_mul_lo_u32 v22, v21, s38
	v_sub_nc_u32_e32 v22, v23, v22
	v_add_nc_u32_e32 v23, 1, v21
	s_delay_alu instid0(VALU_DEP_2) | instskip(SKIP_1) | instid1(VALU_DEP_2)
	v_subrev_nc_u32_e32 v24, s38, v22
	v_cmp_le_u32_e32 vcc_lo, s38, v22
	v_dual_cndmask_b32 v22, v22, v24 :: v_dual_cndmask_b32 v21, v21, v23
	s_delay_alu instid0(VALU_DEP_1) | instskip(NEXT) | instid1(VALU_DEP_2)
	v_cmp_le_u32_e32 vcc_lo, s38, v22
	v_dual_mov_b32 v22, 0 :: v_dual_add_nc_u32 v23, 1, v21
	s_delay_alu instid0(VALU_DEP_1)
	v_cndmask_b32_e32 v21, v21, v23, vcc_lo
.LBB1169_192:
	s_or_b32 exec_lo, exec_lo, s0
.LBB1169_193:
	s_delay_alu instid0(SALU_CYCLE_1) | instskip(SKIP_1) | instid1(VALU_DEP_1)
	s_or_b32 exec_lo, exec_lo, s1
	v_or_b32_e32 v53, 0xb00, v0
                                        ; implicit-def: $vgpr23_vgpr24
	v_cmp_gt_u32_e64 s5, s34, v53
	s_delay_alu instid0(VALU_DEP_1)
	s_and_saveexec_b32 s1, s5
	s_cbranch_execz .LBB1169_199
; %bb.194:
	v_add_co_u32 v25, s0, s24, v53
	s_delay_alu instid0(VALU_DEP_1) | instskip(SKIP_1) | instid1(VALU_DEP_2)
	v_add_co_ci_u32_e64 v26, null, s25, 0, s0
	v_mov_b32_e32 v23, 0
	v_or_b32_e32 v24, s39, v26
	s_delay_alu instid0(VALU_DEP_1) | instskip(SKIP_1) | instid1(SALU_CYCLE_1)
	v_cmp_ne_u64_e32 vcc_lo, 0, v[23:24]
                                        ; implicit-def: $vgpr23_vgpr24
	s_and_saveexec_b32 s0, vcc_lo
	s_xor_b32 s4, exec_lo, s0
	s_cbranch_execz .LBB1169_196
; %bb.195:
	s_ashr_i32 s20, s39, 31
	s_delay_alu instid0(SALU_CYCLE_1) | instskip(SKIP_2) | instid1(SALU_CYCLE_1)
	s_add_u32 s22, s38, s20
	s_mov_b32 s21, s20
	s_addc_u32 s23, s39, s20
	s_xor_b64 s[22:23], s[22:23], s[20:21]
	s_delay_alu instid0(SALU_CYCLE_1) | instskip(SKIP_3) | instid1(VALU_DEP_1)
	v_cvt_f32_u32_e32 v23, s22
	v_cvt_f32_u32_e32 v24, s23
	s_sub_u32 s0, 0, s22
	s_subb_u32 s17, 0, s23
	v_fmamk_f32 v23, v24, 0x4f800000, v23
	s_delay_alu instid0(VALU_DEP_1) | instskip(SKIP_2) | instid1(VALU_DEP_1)
	v_rcp_f32_e32 v23, v23
	s_waitcnt_depctr 0xfff
	v_mul_f32_e32 v23, 0x5f7ffffc, v23
	v_mul_f32_e32 v24, 0x2f800000, v23
	s_delay_alu instid0(VALU_DEP_1) | instskip(NEXT) | instid1(VALU_DEP_1)
	v_trunc_f32_e32 v24, v24
	v_fmamk_f32 v23, v24, 0xcf800000, v23
	v_cvt_u32_f32_e32 v24, v24
	s_delay_alu instid0(VALU_DEP_2) | instskip(NEXT) | instid1(VALU_DEP_2)
	v_cvt_u32_f32_e32 v23, v23
	v_mul_lo_u32 v27, s0, v24
	s_delay_alu instid0(VALU_DEP_2) | instskip(SKIP_1) | instid1(VALU_DEP_2)
	v_mul_hi_u32 v28, s0, v23
	v_mul_lo_u32 v29, s17, v23
	v_add_nc_u32_e32 v27, v28, v27
	v_mul_lo_u32 v28, s0, v23
	s_delay_alu instid0(VALU_DEP_2) | instskip(NEXT) | instid1(VALU_DEP_2)
	v_add_nc_u32_e32 v27, v27, v29
	v_mul_hi_u32 v29, v23, v28
	s_delay_alu instid0(VALU_DEP_2)
	v_mul_lo_u32 v30, v23, v27
	v_mul_hi_u32 v31, v23, v27
	v_mul_hi_u32 v32, v24, v28
	v_mul_lo_u32 v28, v24, v28
	v_mul_hi_u32 v34, v24, v27
	v_mul_lo_u32 v27, v24, v27
	v_add_co_u32 v29, vcc_lo, v29, v30
	v_add_co_ci_u32_e32 v30, vcc_lo, 0, v31, vcc_lo
	s_delay_alu instid0(VALU_DEP_2) | instskip(NEXT) | instid1(VALU_DEP_2)
	v_add_co_u32 v28, vcc_lo, v29, v28
	v_add_co_ci_u32_e32 v28, vcc_lo, v30, v32, vcc_lo
	v_add_co_ci_u32_e32 v29, vcc_lo, 0, v34, vcc_lo
	v_ashrrev_i32_e32 v32, 31, v26
	s_delay_alu instid0(VALU_DEP_3) | instskip(NEXT) | instid1(VALU_DEP_3)
	v_add_co_u32 v27, vcc_lo, v28, v27
	v_add_co_ci_u32_e32 v28, vcc_lo, 0, v29, vcc_lo
	s_delay_alu instid0(VALU_DEP_2) | instskip(NEXT) | instid1(VALU_DEP_2)
	v_add_co_u32 v23, vcc_lo, v23, v27
	v_add_co_ci_u32_e32 v24, vcc_lo, v24, v28, vcc_lo
	s_delay_alu instid0(VALU_DEP_2) | instskip(SKIP_1) | instid1(VALU_DEP_3)
	v_mul_hi_u32 v27, s0, v23
	v_mul_lo_u32 v29, s17, v23
	v_mul_lo_u32 v28, s0, v24
	s_delay_alu instid0(VALU_DEP_1) | instskip(SKIP_1) | instid1(VALU_DEP_2)
	v_add_nc_u32_e32 v27, v27, v28
	v_mul_lo_u32 v28, s0, v23
	v_add_nc_u32_e32 v27, v27, v29
	s_delay_alu instid0(VALU_DEP_2) | instskip(NEXT) | instid1(VALU_DEP_2)
	v_mul_hi_u32 v29, v23, v28
	v_mul_lo_u32 v30, v23, v27
	v_mul_hi_u32 v31, v23, v27
	v_mul_hi_u32 v34, v24, v28
	v_mul_lo_u32 v28, v24, v28
	v_mul_hi_u32 v36, v24, v27
	v_mul_lo_u32 v27, v24, v27
	v_add_co_u32 v29, vcc_lo, v29, v30
	v_add_co_ci_u32_e32 v30, vcc_lo, 0, v31, vcc_lo
	s_delay_alu instid0(VALU_DEP_2) | instskip(NEXT) | instid1(VALU_DEP_2)
	v_add_co_u32 v28, vcc_lo, v29, v28
	v_add_co_ci_u32_e32 v28, vcc_lo, v30, v34, vcc_lo
	v_add_co_ci_u32_e32 v29, vcc_lo, 0, v36, vcc_lo
	v_add_co_u32 v25, vcc_lo, v25, v32
	v_add_co_ci_u32_e32 v26, vcc_lo, v26, v32, vcc_lo
	s_delay_alu instid0(VALU_DEP_4) | instskip(NEXT) | instid1(VALU_DEP_4)
	v_add_co_u32 v27, vcc_lo, v28, v27
	v_add_co_ci_u32_e32 v28, vcc_lo, 0, v29, vcc_lo
	s_delay_alu instid0(VALU_DEP_4) | instskip(NEXT) | instid1(VALU_DEP_3)
	v_xor_b32_e32 v29, v25, v32
	v_add_co_u32 v27, vcc_lo, v23, v27
	s_delay_alu instid0(VALU_DEP_3) | instskip(SKIP_1) | instid1(VALU_DEP_3)
	v_add_co_ci_u32_e32 v30, vcc_lo, v24, v28, vcc_lo
	v_xor_b32_e32 v31, v26, v32
	v_mul_hi_u32 v34, v29, v27
	s_delay_alu instid0(VALU_DEP_3) | instskip(NEXT) | instid1(VALU_DEP_3)
	v_mad_u64_u32 v[23:24], null, v29, v30, 0
	v_mad_u64_u32 v[25:26], null, v31, v27, 0
	;; [unrolled: 1-line block ×3, first 2 shown]
	s_delay_alu instid0(VALU_DEP_3) | instskip(NEXT) | instid1(VALU_DEP_4)
	v_add_co_u32 v23, vcc_lo, v34, v23
	v_add_co_ci_u32_e32 v24, vcc_lo, 0, v24, vcc_lo
	s_delay_alu instid0(VALU_DEP_2) | instskip(NEXT) | instid1(VALU_DEP_2)
	v_add_co_u32 v23, vcc_lo, v23, v25
	v_add_co_ci_u32_e32 v23, vcc_lo, v24, v26, vcc_lo
	v_add_co_ci_u32_e32 v24, vcc_lo, 0, v28, vcc_lo
	s_delay_alu instid0(VALU_DEP_2) | instskip(NEXT) | instid1(VALU_DEP_2)
	v_add_co_u32 v25, vcc_lo, v23, v27
	v_add_co_ci_u32_e32 v26, vcc_lo, 0, v24, vcc_lo
	s_delay_alu instid0(VALU_DEP_2) | instskip(SKIP_1) | instid1(VALU_DEP_3)
	v_mul_lo_u32 v27, s23, v25
	v_mad_u64_u32 v[23:24], null, s22, v25, 0
	v_mul_lo_u32 v28, s22, v26
	s_delay_alu instid0(VALU_DEP_2) | instskip(NEXT) | instid1(VALU_DEP_2)
	v_sub_co_u32 v23, vcc_lo, v29, v23
	v_add3_u32 v24, v24, v28, v27
	s_delay_alu instid0(VALU_DEP_1) | instskip(NEXT) | instid1(VALU_DEP_1)
	v_sub_nc_u32_e32 v27, v31, v24
	v_subrev_co_ci_u32_e64 v27, s0, s23, v27, vcc_lo
	v_add_co_u32 v28, s0, v25, 2
	s_delay_alu instid0(VALU_DEP_1) | instskip(SKIP_3) | instid1(VALU_DEP_3)
	v_add_co_ci_u32_e64 v29, s0, 0, v26, s0
	v_sub_co_u32 v30, s0, v23, s22
	v_sub_co_ci_u32_e32 v24, vcc_lo, v31, v24, vcc_lo
	v_subrev_co_ci_u32_e64 v27, s0, 0, v27, s0
	v_cmp_le_u32_e32 vcc_lo, s22, v30
	s_delay_alu instid0(VALU_DEP_3) | instskip(SKIP_1) | instid1(VALU_DEP_4)
	v_cmp_eq_u32_e64 s0, s23, v24
	v_cndmask_b32_e64 v30, 0, -1, vcc_lo
	v_cmp_le_u32_e32 vcc_lo, s23, v27
	v_cndmask_b32_e64 v31, 0, -1, vcc_lo
	v_cmp_le_u32_e32 vcc_lo, s22, v23
	;; [unrolled: 2-line block ×3, first 2 shown]
	v_cndmask_b32_e64 v34, 0, -1, vcc_lo
	v_cmp_eq_u32_e32 vcc_lo, s23, v27
	s_delay_alu instid0(VALU_DEP_2) | instskip(SKIP_3) | instid1(VALU_DEP_3)
	v_cndmask_b32_e64 v23, v34, v23, s0
	v_cndmask_b32_e32 v27, v31, v30, vcc_lo
	v_add_co_u32 v30, vcc_lo, v25, 1
	v_add_co_ci_u32_e32 v31, vcc_lo, 0, v26, vcc_lo
	v_cmp_ne_u32_e32 vcc_lo, 0, v27
	s_delay_alu instid0(VALU_DEP_2) | instskip(SKIP_2) | instid1(VALU_DEP_3)
	v_dual_cndmask_b32 v24, v31, v29 :: v_dual_cndmask_b32 v27, v30, v28
	v_cmp_ne_u32_e32 vcc_lo, 0, v23
	v_xor_b32_e32 v28, s20, v32
	v_dual_cndmask_b32 v23, v26, v24 :: v_dual_cndmask_b32 v24, v25, v27
	s_delay_alu instid0(VALU_DEP_1) | instskip(NEXT) | instid1(VALU_DEP_2)
	v_xor_b32_e32 v25, v23, v28
	v_xor_b32_e32 v24, v24, v28
	s_delay_alu instid0(VALU_DEP_1) | instskip(NEXT) | instid1(VALU_DEP_3)
	v_sub_co_u32 v23, vcc_lo, v24, v28
	v_sub_co_ci_u32_e32 v24, vcc_lo, v25, v28, vcc_lo
                                        ; implicit-def: $vgpr25
.LBB1169_196:
	s_and_not1_saveexec_b32 s0, s4
	s_cbranch_execz .LBB1169_198
; %bb.197:
	v_cvt_f32_u32_e32 v23, s38
	s_sub_i32 s4, 0, s38
	s_delay_alu instid0(VALU_DEP_1) | instskip(SKIP_2) | instid1(VALU_DEP_1)
	v_rcp_iflag_f32_e32 v23, v23
	s_waitcnt_depctr 0xfff
	v_mul_f32_e32 v23, 0x4f7ffffe, v23
	v_cvt_u32_f32_e32 v23, v23
	s_delay_alu instid0(VALU_DEP_1) | instskip(NEXT) | instid1(VALU_DEP_1)
	v_mul_lo_u32 v24, s4, v23
	v_mul_hi_u32 v24, v23, v24
	s_delay_alu instid0(VALU_DEP_1) | instskip(NEXT) | instid1(VALU_DEP_1)
	v_add_nc_u32_e32 v23, v23, v24
	v_mul_hi_u32 v23, v25, v23
	s_delay_alu instid0(VALU_DEP_1) | instskip(NEXT) | instid1(VALU_DEP_1)
	v_mul_lo_u32 v24, v23, s38
	v_sub_nc_u32_e32 v24, v25, v24
	v_add_nc_u32_e32 v25, 1, v23
	s_delay_alu instid0(VALU_DEP_2) | instskip(SKIP_1) | instid1(VALU_DEP_2)
	v_subrev_nc_u32_e32 v26, s38, v24
	v_cmp_le_u32_e32 vcc_lo, s38, v24
	v_dual_cndmask_b32 v24, v24, v26 :: v_dual_cndmask_b32 v23, v23, v25
	s_delay_alu instid0(VALU_DEP_1) | instskip(NEXT) | instid1(VALU_DEP_2)
	v_cmp_le_u32_e32 vcc_lo, s38, v24
	v_dual_mov_b32 v24, 0 :: v_dual_add_nc_u32 v25, 1, v23
	s_delay_alu instid0(VALU_DEP_1)
	v_cndmask_b32_e32 v23, v23, v25, vcc_lo
.LBB1169_198:
	s_or_b32 exec_lo, exec_lo, s0
.LBB1169_199:
	s_delay_alu instid0(SALU_CYCLE_1) | instskip(SKIP_1) | instid1(VALU_DEP_1)
	s_or_b32 exec_lo, exec_lo, s1
	v_or_b32_e32 v55, 0xc00, v0
                                        ; implicit-def: $vgpr25_vgpr26
	v_cmp_gt_u32_e64 s4, s34, v55
	s_delay_alu instid0(VALU_DEP_1)
	s_and_saveexec_b32 s1, s4
	s_cbranch_execz .LBB1169_205
; %bb.200:
	v_add_co_u32 v27, s0, s24, v55
	s_delay_alu instid0(VALU_DEP_1) | instskip(SKIP_1) | instid1(VALU_DEP_2)
	v_add_co_ci_u32_e64 v28, null, s25, 0, s0
	v_mov_b32_e32 v25, 0
	v_or_b32_e32 v26, s39, v28
	s_delay_alu instid0(VALU_DEP_1) | instskip(SKIP_1) | instid1(SALU_CYCLE_1)
	v_cmp_ne_u64_e32 vcc_lo, 0, v[25:26]
                                        ; implicit-def: $vgpr25_vgpr26
	s_and_saveexec_b32 s0, vcc_lo
	s_xor_b32 s17, exec_lo, s0
	s_cbranch_execz .LBB1169_202
; %bb.201:
	s_ashr_i32 s20, s39, 31
	s_delay_alu instid0(SALU_CYCLE_1) | instskip(SKIP_2) | instid1(SALU_CYCLE_1)
	s_add_u32 s22, s38, s20
	s_mov_b32 s21, s20
	s_addc_u32 s23, s39, s20
	s_xor_b64 s[22:23], s[22:23], s[20:21]
	s_delay_alu instid0(SALU_CYCLE_1) | instskip(SKIP_3) | instid1(VALU_DEP_1)
	v_cvt_f32_u32_e32 v25, s22
	v_cvt_f32_u32_e32 v26, s23
	s_sub_u32 s0, 0, s22
	s_subb_u32 s21, 0, s23
	v_fmamk_f32 v25, v26, 0x4f800000, v25
	s_delay_alu instid0(VALU_DEP_1) | instskip(SKIP_2) | instid1(VALU_DEP_1)
	v_rcp_f32_e32 v25, v25
	s_waitcnt_depctr 0xfff
	v_mul_f32_e32 v25, 0x5f7ffffc, v25
	v_mul_f32_e32 v26, 0x2f800000, v25
	s_delay_alu instid0(VALU_DEP_1) | instskip(NEXT) | instid1(VALU_DEP_1)
	v_trunc_f32_e32 v26, v26
	v_fmamk_f32 v25, v26, 0xcf800000, v25
	v_cvt_u32_f32_e32 v26, v26
	s_delay_alu instid0(VALU_DEP_2) | instskip(NEXT) | instid1(VALU_DEP_2)
	v_cvt_u32_f32_e32 v25, v25
	v_mul_lo_u32 v29, s0, v26
	s_delay_alu instid0(VALU_DEP_2) | instskip(SKIP_1) | instid1(VALU_DEP_2)
	v_mul_hi_u32 v30, s0, v25
	v_mul_lo_u32 v31, s21, v25
	v_add_nc_u32_e32 v29, v30, v29
	v_mul_lo_u32 v30, s0, v25
	s_delay_alu instid0(VALU_DEP_2) | instskip(NEXT) | instid1(VALU_DEP_2)
	v_add_nc_u32_e32 v29, v29, v31
	v_mul_hi_u32 v31, v25, v30
	s_delay_alu instid0(VALU_DEP_2)
	v_mul_lo_u32 v32, v25, v29
	v_mul_hi_u32 v34, v25, v29
	v_mul_hi_u32 v36, v26, v30
	v_mul_lo_u32 v30, v26, v30
	v_mul_hi_u32 v38, v26, v29
	v_mul_lo_u32 v29, v26, v29
	v_add_co_u32 v31, vcc_lo, v31, v32
	v_add_co_ci_u32_e32 v32, vcc_lo, 0, v34, vcc_lo
	s_delay_alu instid0(VALU_DEP_2) | instskip(NEXT) | instid1(VALU_DEP_2)
	v_add_co_u32 v30, vcc_lo, v31, v30
	v_add_co_ci_u32_e32 v30, vcc_lo, v32, v36, vcc_lo
	v_add_co_ci_u32_e32 v31, vcc_lo, 0, v38, vcc_lo
	v_ashrrev_i32_e32 v36, 31, v28
	s_delay_alu instid0(VALU_DEP_3) | instskip(NEXT) | instid1(VALU_DEP_3)
	v_add_co_u32 v29, vcc_lo, v30, v29
	v_add_co_ci_u32_e32 v30, vcc_lo, 0, v31, vcc_lo
	s_delay_alu instid0(VALU_DEP_2) | instskip(NEXT) | instid1(VALU_DEP_2)
	v_add_co_u32 v25, vcc_lo, v25, v29
	v_add_co_ci_u32_e32 v26, vcc_lo, v26, v30, vcc_lo
	s_delay_alu instid0(VALU_DEP_2) | instskip(SKIP_1) | instid1(VALU_DEP_3)
	v_mul_hi_u32 v29, s0, v25
	v_mul_lo_u32 v31, s21, v25
	v_mul_lo_u32 v30, s0, v26
	s_delay_alu instid0(VALU_DEP_1) | instskip(SKIP_1) | instid1(VALU_DEP_2)
	v_add_nc_u32_e32 v29, v29, v30
	v_mul_lo_u32 v30, s0, v25
	v_add_nc_u32_e32 v29, v29, v31
	s_delay_alu instid0(VALU_DEP_2) | instskip(NEXT) | instid1(VALU_DEP_2)
	v_mul_hi_u32 v31, v25, v30
	v_mul_lo_u32 v32, v25, v29
	v_mul_hi_u32 v34, v25, v29
	v_mul_hi_u32 v38, v26, v30
	v_mul_lo_u32 v30, v26, v30
	v_mul_hi_u32 v40, v26, v29
	v_mul_lo_u32 v29, v26, v29
	v_add_co_u32 v31, vcc_lo, v31, v32
	v_add_co_ci_u32_e32 v32, vcc_lo, 0, v34, vcc_lo
	s_delay_alu instid0(VALU_DEP_2) | instskip(NEXT) | instid1(VALU_DEP_2)
	v_add_co_u32 v30, vcc_lo, v31, v30
	v_add_co_ci_u32_e32 v30, vcc_lo, v32, v38, vcc_lo
	v_add_co_ci_u32_e32 v31, vcc_lo, 0, v40, vcc_lo
	v_add_co_u32 v27, vcc_lo, v27, v36
	v_add_co_ci_u32_e32 v28, vcc_lo, v28, v36, vcc_lo
	s_delay_alu instid0(VALU_DEP_4) | instskip(NEXT) | instid1(VALU_DEP_4)
	v_add_co_u32 v29, vcc_lo, v30, v29
	v_add_co_ci_u32_e32 v30, vcc_lo, 0, v31, vcc_lo
	s_delay_alu instid0(VALU_DEP_4) | instskip(NEXT) | instid1(VALU_DEP_3)
	v_xor_b32_e32 v31, v27, v36
	v_add_co_u32 v29, vcc_lo, v25, v29
	s_delay_alu instid0(VALU_DEP_3) | instskip(SKIP_1) | instid1(VALU_DEP_3)
	v_add_co_ci_u32_e32 v32, vcc_lo, v26, v30, vcc_lo
	v_xor_b32_e32 v34, v28, v36
	v_mul_hi_u32 v38, v31, v29
	s_delay_alu instid0(VALU_DEP_3) | instskip(NEXT) | instid1(VALU_DEP_3)
	v_mad_u64_u32 v[25:26], null, v31, v32, 0
	v_mad_u64_u32 v[27:28], null, v34, v29, 0
	;; [unrolled: 1-line block ×3, first 2 shown]
	s_delay_alu instid0(VALU_DEP_3) | instskip(NEXT) | instid1(VALU_DEP_4)
	v_add_co_u32 v25, vcc_lo, v38, v25
	v_add_co_ci_u32_e32 v26, vcc_lo, 0, v26, vcc_lo
	s_delay_alu instid0(VALU_DEP_2) | instskip(NEXT) | instid1(VALU_DEP_2)
	v_add_co_u32 v25, vcc_lo, v25, v27
	v_add_co_ci_u32_e32 v25, vcc_lo, v26, v28, vcc_lo
	v_add_co_ci_u32_e32 v26, vcc_lo, 0, v30, vcc_lo
	s_delay_alu instid0(VALU_DEP_2) | instskip(NEXT) | instid1(VALU_DEP_2)
	v_add_co_u32 v27, vcc_lo, v25, v29
	v_add_co_ci_u32_e32 v28, vcc_lo, 0, v26, vcc_lo
	s_delay_alu instid0(VALU_DEP_2) | instskip(SKIP_1) | instid1(VALU_DEP_3)
	v_mul_lo_u32 v29, s23, v27
	v_mad_u64_u32 v[25:26], null, s22, v27, 0
	v_mul_lo_u32 v30, s22, v28
	s_delay_alu instid0(VALU_DEP_2) | instskip(NEXT) | instid1(VALU_DEP_2)
	v_sub_co_u32 v25, vcc_lo, v31, v25
	v_add3_u32 v26, v26, v30, v29
	s_delay_alu instid0(VALU_DEP_1) | instskip(NEXT) | instid1(VALU_DEP_1)
	v_sub_nc_u32_e32 v29, v34, v26
	v_subrev_co_ci_u32_e64 v29, s0, s23, v29, vcc_lo
	v_add_co_u32 v30, s0, v27, 2
	s_delay_alu instid0(VALU_DEP_1) | instskip(SKIP_3) | instid1(VALU_DEP_3)
	v_add_co_ci_u32_e64 v31, s0, 0, v28, s0
	v_sub_co_u32 v32, s0, v25, s22
	v_sub_co_ci_u32_e32 v26, vcc_lo, v34, v26, vcc_lo
	v_subrev_co_ci_u32_e64 v29, s0, 0, v29, s0
	v_cmp_le_u32_e32 vcc_lo, s22, v32
	s_delay_alu instid0(VALU_DEP_3) | instskip(SKIP_1) | instid1(VALU_DEP_4)
	v_cmp_eq_u32_e64 s0, s23, v26
	v_cndmask_b32_e64 v32, 0, -1, vcc_lo
	v_cmp_le_u32_e32 vcc_lo, s23, v29
	v_cndmask_b32_e64 v34, 0, -1, vcc_lo
	v_cmp_le_u32_e32 vcc_lo, s22, v25
	;; [unrolled: 2-line block ×3, first 2 shown]
	v_cndmask_b32_e64 v38, 0, -1, vcc_lo
	v_cmp_eq_u32_e32 vcc_lo, s23, v29
	s_delay_alu instid0(VALU_DEP_2) | instskip(SKIP_3) | instid1(VALU_DEP_3)
	v_cndmask_b32_e64 v25, v38, v25, s0
	v_cndmask_b32_e32 v29, v34, v32, vcc_lo
	v_add_co_u32 v32, vcc_lo, v27, 1
	v_add_co_ci_u32_e32 v34, vcc_lo, 0, v28, vcc_lo
	v_cmp_ne_u32_e32 vcc_lo, 0, v29
	s_delay_alu instid0(VALU_DEP_2) | instskip(SKIP_2) | instid1(VALU_DEP_3)
	v_dual_cndmask_b32 v26, v34, v31 :: v_dual_cndmask_b32 v29, v32, v30
	v_cmp_ne_u32_e32 vcc_lo, 0, v25
	v_xor_b32_e32 v30, s20, v36
	v_dual_cndmask_b32 v25, v28, v26 :: v_dual_cndmask_b32 v26, v27, v29
	s_delay_alu instid0(VALU_DEP_1) | instskip(NEXT) | instid1(VALU_DEP_2)
	v_xor_b32_e32 v27, v25, v30
	v_xor_b32_e32 v26, v26, v30
	s_delay_alu instid0(VALU_DEP_1) | instskip(NEXT) | instid1(VALU_DEP_3)
	v_sub_co_u32 v25, vcc_lo, v26, v30
	v_sub_co_ci_u32_e32 v26, vcc_lo, v27, v30, vcc_lo
                                        ; implicit-def: $vgpr27
.LBB1169_202:
	s_and_not1_saveexec_b32 s0, s17
	s_cbranch_execz .LBB1169_204
; %bb.203:
	v_cvt_f32_u32_e32 v25, s38
	s_sub_i32 s17, 0, s38
	s_delay_alu instid0(VALU_DEP_1) | instskip(SKIP_2) | instid1(VALU_DEP_1)
	v_rcp_iflag_f32_e32 v25, v25
	s_waitcnt_depctr 0xfff
	v_mul_f32_e32 v25, 0x4f7ffffe, v25
	v_cvt_u32_f32_e32 v25, v25
	s_delay_alu instid0(VALU_DEP_1) | instskip(NEXT) | instid1(VALU_DEP_1)
	v_mul_lo_u32 v26, s17, v25
	v_mul_hi_u32 v26, v25, v26
	s_delay_alu instid0(VALU_DEP_1) | instskip(NEXT) | instid1(VALU_DEP_1)
	v_add_nc_u32_e32 v25, v25, v26
	v_mul_hi_u32 v25, v27, v25
	s_delay_alu instid0(VALU_DEP_1) | instskip(NEXT) | instid1(VALU_DEP_1)
	v_mul_lo_u32 v26, v25, s38
	v_sub_nc_u32_e32 v26, v27, v26
	v_add_nc_u32_e32 v27, 1, v25
	s_delay_alu instid0(VALU_DEP_2) | instskip(SKIP_1) | instid1(VALU_DEP_2)
	v_subrev_nc_u32_e32 v28, s38, v26
	v_cmp_le_u32_e32 vcc_lo, s38, v26
	v_dual_cndmask_b32 v26, v26, v28 :: v_dual_cndmask_b32 v25, v25, v27
	s_delay_alu instid0(VALU_DEP_1) | instskip(NEXT) | instid1(VALU_DEP_2)
	v_cmp_le_u32_e32 vcc_lo, s38, v26
	v_dual_mov_b32 v26, 0 :: v_dual_add_nc_u32 v27, 1, v25
	s_delay_alu instid0(VALU_DEP_1)
	v_cndmask_b32_e32 v25, v25, v27, vcc_lo
.LBB1169_204:
	s_or_b32 exec_lo, exec_lo, s0
.LBB1169_205:
	s_delay_alu instid0(SALU_CYCLE_1) | instskip(SKIP_1) | instid1(VALU_DEP_1)
	s_or_b32 exec_lo, exec_lo, s1
	v_or_b32_e32 v59, 0xd00, v0
                                        ; implicit-def: $vgpr27_vgpr28
	v_cmp_gt_u32_e64 s1, s34, v59
	s_delay_alu instid0(VALU_DEP_1)
	s_and_saveexec_b32 s17, s1
	s_cbranch_execz .LBB1169_211
; %bb.206:
	v_add_co_u32 v29, s0, s24, v59
	s_delay_alu instid0(VALU_DEP_1) | instskip(SKIP_1) | instid1(VALU_DEP_2)
	v_add_co_ci_u32_e64 v30, null, s25, 0, s0
	v_mov_b32_e32 v27, 0
	v_or_b32_e32 v28, s39, v30
	s_delay_alu instid0(VALU_DEP_1) | instskip(SKIP_1) | instid1(SALU_CYCLE_1)
	v_cmp_ne_u64_e32 vcc_lo, 0, v[27:28]
                                        ; implicit-def: $vgpr27_vgpr28
	s_and_saveexec_b32 s0, vcc_lo
	s_xor_b32 s35, exec_lo, s0
	s_cbranch_execz .LBB1169_208
; %bb.207:
	s_ashr_i32 s20, s39, 31
	s_delay_alu instid0(SALU_CYCLE_1) | instskip(SKIP_2) | instid1(SALU_CYCLE_1)
	s_add_u32 s22, s38, s20
	s_mov_b32 s21, s20
	s_addc_u32 s23, s39, s20
	s_xor_b64 s[22:23], s[22:23], s[20:21]
	s_delay_alu instid0(SALU_CYCLE_1) | instskip(SKIP_3) | instid1(VALU_DEP_1)
	v_cvt_f32_u32_e32 v27, s22
	v_cvt_f32_u32_e32 v28, s23
	s_sub_u32 s0, 0, s22
	s_subb_u32 s21, 0, s23
	v_fmamk_f32 v27, v28, 0x4f800000, v27
	s_delay_alu instid0(VALU_DEP_1) | instskip(SKIP_2) | instid1(VALU_DEP_1)
	v_rcp_f32_e32 v27, v27
	s_waitcnt_depctr 0xfff
	v_mul_f32_e32 v27, 0x5f7ffffc, v27
	v_mul_f32_e32 v28, 0x2f800000, v27
	s_delay_alu instid0(VALU_DEP_1) | instskip(NEXT) | instid1(VALU_DEP_1)
	v_trunc_f32_e32 v28, v28
	v_fmamk_f32 v27, v28, 0xcf800000, v27
	v_cvt_u32_f32_e32 v28, v28
	s_delay_alu instid0(VALU_DEP_2) | instskip(NEXT) | instid1(VALU_DEP_2)
	v_cvt_u32_f32_e32 v27, v27
	v_mul_lo_u32 v31, s0, v28
	s_delay_alu instid0(VALU_DEP_2) | instskip(SKIP_1) | instid1(VALU_DEP_2)
	v_mul_hi_u32 v32, s0, v27
	v_mul_lo_u32 v34, s21, v27
	v_add_nc_u32_e32 v31, v32, v31
	v_mul_lo_u32 v32, s0, v27
	s_delay_alu instid0(VALU_DEP_2) | instskip(NEXT) | instid1(VALU_DEP_2)
	v_add_nc_u32_e32 v31, v31, v34
	v_mul_hi_u32 v34, v27, v32
	s_delay_alu instid0(VALU_DEP_2)
	v_mul_lo_u32 v36, v27, v31
	v_mul_hi_u32 v38, v27, v31
	v_mul_hi_u32 v40, v28, v32
	v_mul_lo_u32 v32, v28, v32
	v_mul_hi_u32 v42, v28, v31
	v_mul_lo_u32 v31, v28, v31
	v_add_co_u32 v34, vcc_lo, v34, v36
	v_add_co_ci_u32_e32 v36, vcc_lo, 0, v38, vcc_lo
	s_delay_alu instid0(VALU_DEP_2) | instskip(NEXT) | instid1(VALU_DEP_2)
	v_add_co_u32 v32, vcc_lo, v34, v32
	v_add_co_ci_u32_e32 v32, vcc_lo, v36, v40, vcc_lo
	v_add_co_ci_u32_e32 v34, vcc_lo, 0, v42, vcc_lo
	v_ashrrev_i32_e32 v40, 31, v30
	s_delay_alu instid0(VALU_DEP_3) | instskip(NEXT) | instid1(VALU_DEP_3)
	v_add_co_u32 v31, vcc_lo, v32, v31
	v_add_co_ci_u32_e32 v32, vcc_lo, 0, v34, vcc_lo
	s_delay_alu instid0(VALU_DEP_2) | instskip(NEXT) | instid1(VALU_DEP_2)
	v_add_co_u32 v27, vcc_lo, v27, v31
	v_add_co_ci_u32_e32 v28, vcc_lo, v28, v32, vcc_lo
	s_delay_alu instid0(VALU_DEP_2) | instskip(SKIP_1) | instid1(VALU_DEP_3)
	v_mul_hi_u32 v31, s0, v27
	v_mul_lo_u32 v34, s21, v27
	v_mul_lo_u32 v32, s0, v28
	s_delay_alu instid0(VALU_DEP_1) | instskip(SKIP_1) | instid1(VALU_DEP_2)
	v_add_nc_u32_e32 v31, v31, v32
	v_mul_lo_u32 v32, s0, v27
	v_add_nc_u32_e32 v31, v31, v34
	s_delay_alu instid0(VALU_DEP_2) | instskip(NEXT) | instid1(VALU_DEP_2)
	v_mul_hi_u32 v34, v27, v32
	v_mul_lo_u32 v36, v27, v31
	v_mul_hi_u32 v38, v27, v31
	v_mul_hi_u32 v42, v28, v32
	v_mul_lo_u32 v32, v28, v32
	v_mul_hi_u32 v44, v28, v31
	v_mul_lo_u32 v31, v28, v31
	v_add_co_u32 v34, vcc_lo, v34, v36
	v_add_co_ci_u32_e32 v36, vcc_lo, 0, v38, vcc_lo
	s_delay_alu instid0(VALU_DEP_2) | instskip(NEXT) | instid1(VALU_DEP_2)
	v_add_co_u32 v32, vcc_lo, v34, v32
	v_add_co_ci_u32_e32 v32, vcc_lo, v36, v42, vcc_lo
	v_add_co_ci_u32_e32 v34, vcc_lo, 0, v44, vcc_lo
	v_add_co_u32 v29, vcc_lo, v29, v40
	v_add_co_ci_u32_e32 v30, vcc_lo, v30, v40, vcc_lo
	s_delay_alu instid0(VALU_DEP_4) | instskip(NEXT) | instid1(VALU_DEP_4)
	v_add_co_u32 v31, vcc_lo, v32, v31
	v_add_co_ci_u32_e32 v32, vcc_lo, 0, v34, vcc_lo
	s_delay_alu instid0(VALU_DEP_4) | instskip(NEXT) | instid1(VALU_DEP_3)
	v_xor_b32_e32 v34, v29, v40
	v_add_co_u32 v31, vcc_lo, v27, v31
	s_delay_alu instid0(VALU_DEP_3) | instskip(SKIP_1) | instid1(VALU_DEP_3)
	v_add_co_ci_u32_e32 v36, vcc_lo, v28, v32, vcc_lo
	v_xor_b32_e32 v38, v30, v40
	v_mul_hi_u32 v42, v34, v31
	s_delay_alu instid0(VALU_DEP_3) | instskip(NEXT) | instid1(VALU_DEP_3)
	v_mad_u64_u32 v[27:28], null, v34, v36, 0
	v_mad_u64_u32 v[29:30], null, v38, v31, 0
	;; [unrolled: 1-line block ×3, first 2 shown]
	s_delay_alu instid0(VALU_DEP_3) | instskip(NEXT) | instid1(VALU_DEP_4)
	v_add_co_u32 v27, vcc_lo, v42, v27
	v_add_co_ci_u32_e32 v28, vcc_lo, 0, v28, vcc_lo
	s_delay_alu instid0(VALU_DEP_2) | instskip(NEXT) | instid1(VALU_DEP_2)
	v_add_co_u32 v27, vcc_lo, v27, v29
	v_add_co_ci_u32_e32 v27, vcc_lo, v28, v30, vcc_lo
	v_add_co_ci_u32_e32 v28, vcc_lo, 0, v32, vcc_lo
	s_delay_alu instid0(VALU_DEP_2) | instskip(NEXT) | instid1(VALU_DEP_2)
	v_add_co_u32 v29, vcc_lo, v27, v31
	v_add_co_ci_u32_e32 v30, vcc_lo, 0, v28, vcc_lo
	s_delay_alu instid0(VALU_DEP_2) | instskip(SKIP_1) | instid1(VALU_DEP_3)
	v_mul_lo_u32 v31, s23, v29
	v_mad_u64_u32 v[27:28], null, s22, v29, 0
	v_mul_lo_u32 v32, s22, v30
	s_delay_alu instid0(VALU_DEP_2) | instskip(NEXT) | instid1(VALU_DEP_2)
	v_sub_co_u32 v27, vcc_lo, v34, v27
	v_add3_u32 v28, v28, v32, v31
	s_delay_alu instid0(VALU_DEP_1) | instskip(NEXT) | instid1(VALU_DEP_1)
	v_sub_nc_u32_e32 v31, v38, v28
	v_subrev_co_ci_u32_e64 v31, s0, s23, v31, vcc_lo
	v_add_co_u32 v32, s0, v29, 2
	s_delay_alu instid0(VALU_DEP_1) | instskip(SKIP_3) | instid1(VALU_DEP_3)
	v_add_co_ci_u32_e64 v34, s0, 0, v30, s0
	v_sub_co_u32 v36, s0, v27, s22
	v_sub_co_ci_u32_e32 v28, vcc_lo, v38, v28, vcc_lo
	v_subrev_co_ci_u32_e64 v31, s0, 0, v31, s0
	v_cmp_le_u32_e32 vcc_lo, s22, v36
	s_delay_alu instid0(VALU_DEP_3) | instskip(SKIP_1) | instid1(VALU_DEP_4)
	v_cmp_eq_u32_e64 s0, s23, v28
	v_cndmask_b32_e64 v36, 0, -1, vcc_lo
	v_cmp_le_u32_e32 vcc_lo, s23, v31
	v_cndmask_b32_e64 v38, 0, -1, vcc_lo
	v_cmp_le_u32_e32 vcc_lo, s22, v27
	;; [unrolled: 2-line block ×3, first 2 shown]
	v_cndmask_b32_e64 v42, 0, -1, vcc_lo
	v_cmp_eq_u32_e32 vcc_lo, s23, v31
	s_delay_alu instid0(VALU_DEP_2) | instskip(SKIP_3) | instid1(VALU_DEP_3)
	v_cndmask_b32_e64 v27, v42, v27, s0
	v_cndmask_b32_e32 v31, v38, v36, vcc_lo
	v_add_co_u32 v36, vcc_lo, v29, 1
	v_add_co_ci_u32_e32 v38, vcc_lo, 0, v30, vcc_lo
	v_cmp_ne_u32_e32 vcc_lo, 0, v31
	s_delay_alu instid0(VALU_DEP_2) | instskip(SKIP_2) | instid1(VALU_DEP_3)
	v_dual_cndmask_b32 v28, v38, v34 :: v_dual_cndmask_b32 v31, v36, v32
	v_cmp_ne_u32_e32 vcc_lo, 0, v27
	v_xor_b32_e32 v32, s20, v40
	v_dual_cndmask_b32 v27, v30, v28 :: v_dual_cndmask_b32 v28, v29, v31
	s_delay_alu instid0(VALU_DEP_1) | instskip(NEXT) | instid1(VALU_DEP_2)
	v_xor_b32_e32 v29, v27, v32
	v_xor_b32_e32 v28, v28, v32
	s_delay_alu instid0(VALU_DEP_1) | instskip(NEXT) | instid1(VALU_DEP_3)
	v_sub_co_u32 v27, vcc_lo, v28, v32
	v_sub_co_ci_u32_e32 v28, vcc_lo, v29, v32, vcc_lo
                                        ; implicit-def: $vgpr29
.LBB1169_208:
	s_and_not1_saveexec_b32 s0, s35
	s_cbranch_execz .LBB1169_210
; %bb.209:
	v_cvt_f32_u32_e32 v27, s38
	s_sub_i32 s20, 0, s38
	s_delay_alu instid0(VALU_DEP_1) | instskip(SKIP_2) | instid1(VALU_DEP_1)
	v_rcp_iflag_f32_e32 v27, v27
	s_waitcnt_depctr 0xfff
	v_mul_f32_e32 v27, 0x4f7ffffe, v27
	v_cvt_u32_f32_e32 v27, v27
	s_delay_alu instid0(VALU_DEP_1) | instskip(NEXT) | instid1(VALU_DEP_1)
	v_mul_lo_u32 v28, s20, v27
	v_mul_hi_u32 v28, v27, v28
	s_delay_alu instid0(VALU_DEP_1) | instskip(NEXT) | instid1(VALU_DEP_1)
	v_add_nc_u32_e32 v27, v27, v28
	v_mul_hi_u32 v27, v29, v27
	s_delay_alu instid0(VALU_DEP_1) | instskip(NEXT) | instid1(VALU_DEP_1)
	v_mul_lo_u32 v28, v27, s38
	v_sub_nc_u32_e32 v28, v29, v28
	v_add_nc_u32_e32 v29, 1, v27
	s_delay_alu instid0(VALU_DEP_2) | instskip(SKIP_1) | instid1(VALU_DEP_2)
	v_subrev_nc_u32_e32 v30, s38, v28
	v_cmp_le_u32_e32 vcc_lo, s38, v28
	v_dual_cndmask_b32 v28, v28, v30 :: v_dual_cndmask_b32 v27, v27, v29
	s_delay_alu instid0(VALU_DEP_1) | instskip(NEXT) | instid1(VALU_DEP_2)
	v_cmp_le_u32_e32 vcc_lo, s38, v28
	v_dual_mov_b32 v28, 0 :: v_dual_add_nc_u32 v29, 1, v27
	s_delay_alu instid0(VALU_DEP_1)
	v_cndmask_b32_e32 v27, v27, v29, vcc_lo
.LBB1169_210:
	s_or_b32 exec_lo, exec_lo, s0
.LBB1169_211:
	s_delay_alu instid0(SALU_CYCLE_1) | instskip(SKIP_1) | instid1(VALU_DEP_1)
	s_or_b32 exec_lo, exec_lo, s17
	v_or_b32_e32 v63, 0xe00, v0
                                        ; implicit-def: $vgpr29_vgpr30
	v_cmp_gt_u32_e64 s0, s34, v63
	s_delay_alu instid0(VALU_DEP_1)
	s_and_saveexec_b32 s35, s0
	s_cbranch_execz .LBB1169_217
; %bb.212:
	v_add_co_u32 v31, s17, s24, v63
	s_delay_alu instid0(VALU_DEP_1) | instskip(SKIP_1) | instid1(VALU_DEP_2)
	v_add_co_ci_u32_e64 v32, null, s25, 0, s17
	v_mov_b32_e32 v29, 0
	v_or_b32_e32 v30, s39, v32
	s_delay_alu instid0(VALU_DEP_1) | instskip(SKIP_1) | instid1(SALU_CYCLE_1)
	v_cmp_ne_u64_e32 vcc_lo, 0, v[29:30]
                                        ; implicit-def: $vgpr29_vgpr30
	s_and_saveexec_b32 s17, vcc_lo
	s_xor_b32 s36, exec_lo, s17
	s_cbranch_execz .LBB1169_214
; %bb.213:
	s_ashr_i32 s20, s39, 31
	s_delay_alu instid0(SALU_CYCLE_1) | instskip(SKIP_2) | instid1(SALU_CYCLE_1)
	s_add_u32 s22, s38, s20
	s_mov_b32 s21, s20
	s_addc_u32 s23, s39, s20
	s_xor_b64 s[22:23], s[22:23], s[20:21]
	s_delay_alu instid0(SALU_CYCLE_1) | instskip(SKIP_3) | instid1(VALU_DEP_1)
	v_cvt_f32_u32_e32 v29, s22
	v_cvt_f32_u32_e32 v30, s23
	s_sub_u32 s17, 0, s22
	s_subb_u32 s21, 0, s23
	v_fmamk_f32 v29, v30, 0x4f800000, v29
	s_delay_alu instid0(VALU_DEP_1) | instskip(SKIP_2) | instid1(VALU_DEP_1)
	v_rcp_f32_e32 v29, v29
	s_waitcnt_depctr 0xfff
	v_mul_f32_e32 v29, 0x5f7ffffc, v29
	v_mul_f32_e32 v30, 0x2f800000, v29
	s_delay_alu instid0(VALU_DEP_1) | instskip(NEXT) | instid1(VALU_DEP_1)
	v_trunc_f32_e32 v30, v30
	v_fmamk_f32 v29, v30, 0xcf800000, v29
	v_cvt_u32_f32_e32 v30, v30
	s_delay_alu instid0(VALU_DEP_2) | instskip(NEXT) | instid1(VALU_DEP_2)
	v_cvt_u32_f32_e32 v29, v29
	v_mul_lo_u32 v34, s17, v30
	s_delay_alu instid0(VALU_DEP_2) | instskip(SKIP_1) | instid1(VALU_DEP_2)
	v_mul_hi_u32 v36, s17, v29
	v_mul_lo_u32 v38, s21, v29
	v_add_nc_u32_e32 v34, v36, v34
	v_mul_lo_u32 v36, s17, v29
	s_delay_alu instid0(VALU_DEP_2) | instskip(NEXT) | instid1(VALU_DEP_2)
	v_add_nc_u32_e32 v34, v34, v38
	v_mul_hi_u32 v38, v29, v36
	s_delay_alu instid0(VALU_DEP_2)
	v_mul_lo_u32 v40, v29, v34
	v_mul_hi_u32 v42, v29, v34
	v_mul_hi_u32 v44, v30, v36
	v_mul_lo_u32 v36, v30, v36
	v_mul_hi_u32 v46, v30, v34
	v_mul_lo_u32 v34, v30, v34
	v_add_co_u32 v38, vcc_lo, v38, v40
	v_add_co_ci_u32_e32 v40, vcc_lo, 0, v42, vcc_lo
	s_delay_alu instid0(VALU_DEP_2) | instskip(NEXT) | instid1(VALU_DEP_2)
	v_add_co_u32 v36, vcc_lo, v38, v36
	v_add_co_ci_u32_e32 v36, vcc_lo, v40, v44, vcc_lo
	v_add_co_ci_u32_e32 v38, vcc_lo, 0, v46, vcc_lo
	v_ashrrev_i32_e32 v44, 31, v32
	s_delay_alu instid0(VALU_DEP_3) | instskip(NEXT) | instid1(VALU_DEP_3)
	v_add_co_u32 v34, vcc_lo, v36, v34
	v_add_co_ci_u32_e32 v36, vcc_lo, 0, v38, vcc_lo
	s_delay_alu instid0(VALU_DEP_2) | instskip(NEXT) | instid1(VALU_DEP_2)
	v_add_co_u32 v29, vcc_lo, v29, v34
	v_add_co_ci_u32_e32 v30, vcc_lo, v30, v36, vcc_lo
	s_delay_alu instid0(VALU_DEP_2) | instskip(SKIP_1) | instid1(VALU_DEP_3)
	v_mul_hi_u32 v34, s17, v29
	v_mul_lo_u32 v38, s21, v29
	v_mul_lo_u32 v36, s17, v30
	s_delay_alu instid0(VALU_DEP_1) | instskip(SKIP_1) | instid1(VALU_DEP_2)
	v_add_nc_u32_e32 v34, v34, v36
	v_mul_lo_u32 v36, s17, v29
	v_add_nc_u32_e32 v34, v34, v38
	s_delay_alu instid0(VALU_DEP_2) | instskip(NEXT) | instid1(VALU_DEP_2)
	v_mul_hi_u32 v38, v29, v36
	v_mul_lo_u32 v40, v29, v34
	v_mul_hi_u32 v42, v29, v34
	v_mul_hi_u32 v46, v30, v36
	v_mul_lo_u32 v36, v30, v36
	v_mul_hi_u32 v48, v30, v34
	v_mul_lo_u32 v34, v30, v34
	v_add_co_u32 v38, vcc_lo, v38, v40
	v_add_co_ci_u32_e32 v40, vcc_lo, 0, v42, vcc_lo
	s_delay_alu instid0(VALU_DEP_2) | instskip(NEXT) | instid1(VALU_DEP_2)
	v_add_co_u32 v36, vcc_lo, v38, v36
	v_add_co_ci_u32_e32 v36, vcc_lo, v40, v46, vcc_lo
	v_add_co_ci_u32_e32 v38, vcc_lo, 0, v48, vcc_lo
	v_add_co_u32 v31, vcc_lo, v31, v44
	v_add_co_ci_u32_e32 v32, vcc_lo, v32, v44, vcc_lo
	s_delay_alu instid0(VALU_DEP_4) | instskip(NEXT) | instid1(VALU_DEP_4)
	v_add_co_u32 v34, vcc_lo, v36, v34
	v_add_co_ci_u32_e32 v36, vcc_lo, 0, v38, vcc_lo
	s_delay_alu instid0(VALU_DEP_4) | instskip(NEXT) | instid1(VALU_DEP_3)
	v_xor_b32_e32 v38, v31, v44
	v_add_co_u32 v34, vcc_lo, v29, v34
	s_delay_alu instid0(VALU_DEP_3) | instskip(SKIP_1) | instid1(VALU_DEP_3)
	v_add_co_ci_u32_e32 v36, vcc_lo, v30, v36, vcc_lo
	v_xor_b32_e32 v40, v32, v44
	v_mul_hi_u32 v42, v38, v34
	s_delay_alu instid0(VALU_DEP_3) | instskip(NEXT) | instid1(VALU_DEP_3)
	v_mad_u64_u32 v[29:30], null, v38, v36, 0
	v_mad_u64_u32 v[31:32], null, v40, v34, 0
	;; [unrolled: 1-line block ×3, first 2 shown]
	s_delay_alu instid0(VALU_DEP_3) | instskip(NEXT) | instid1(VALU_DEP_4)
	v_add_co_u32 v29, vcc_lo, v42, v29
	v_add_co_ci_u32_e32 v30, vcc_lo, 0, v30, vcc_lo
	s_delay_alu instid0(VALU_DEP_2) | instskip(NEXT) | instid1(VALU_DEP_2)
	v_add_co_u32 v29, vcc_lo, v29, v31
	v_add_co_ci_u32_e32 v29, vcc_lo, v30, v32, vcc_lo
	v_add_co_ci_u32_e32 v30, vcc_lo, 0, v57, vcc_lo
	s_delay_alu instid0(VALU_DEP_2) | instskip(NEXT) | instid1(VALU_DEP_2)
	v_add_co_u32 v31, vcc_lo, v29, v56
	v_add_co_ci_u32_e32 v32, vcc_lo, 0, v30, vcc_lo
	s_delay_alu instid0(VALU_DEP_2) | instskip(SKIP_1) | instid1(VALU_DEP_3)
	v_mul_lo_u32 v34, s23, v31
	v_mad_u64_u32 v[29:30], null, s22, v31, 0
	v_mul_lo_u32 v36, s22, v32
	s_delay_alu instid0(VALU_DEP_2) | instskip(NEXT) | instid1(VALU_DEP_2)
	v_sub_co_u32 v29, vcc_lo, v38, v29
	v_add3_u32 v30, v30, v36, v34
	s_delay_alu instid0(VALU_DEP_1) | instskip(NEXT) | instid1(VALU_DEP_1)
	v_sub_nc_u32_e32 v34, v40, v30
	v_subrev_co_ci_u32_e64 v34, s17, s23, v34, vcc_lo
	v_add_co_u32 v36, s17, v31, 2
	s_delay_alu instid0(VALU_DEP_1) | instskip(SKIP_3) | instid1(VALU_DEP_3)
	v_add_co_ci_u32_e64 v38, s17, 0, v32, s17
	v_sub_co_u32 v42, s17, v29, s22
	v_sub_co_ci_u32_e32 v30, vcc_lo, v40, v30, vcc_lo
	v_subrev_co_ci_u32_e64 v34, s17, 0, v34, s17
	v_cmp_le_u32_e32 vcc_lo, s22, v42
	s_delay_alu instid0(VALU_DEP_3) | instskip(SKIP_1) | instid1(VALU_DEP_4)
	v_cmp_eq_u32_e64 s17, s23, v30
	v_cndmask_b32_e64 v40, 0, -1, vcc_lo
	v_cmp_le_u32_e32 vcc_lo, s23, v34
	v_cndmask_b32_e64 v42, 0, -1, vcc_lo
	v_cmp_le_u32_e32 vcc_lo, s22, v29
	;; [unrolled: 2-line block ×3, first 2 shown]
	v_cndmask_b32_e64 v46, 0, -1, vcc_lo
	v_cmp_eq_u32_e32 vcc_lo, s23, v34
	s_delay_alu instid0(VALU_DEP_2) | instskip(SKIP_3) | instid1(VALU_DEP_3)
	v_cndmask_b32_e64 v29, v46, v29, s17
	v_cndmask_b32_e32 v34, v42, v40, vcc_lo
	v_add_co_u32 v40, vcc_lo, v31, 1
	v_add_co_ci_u32_e32 v42, vcc_lo, 0, v32, vcc_lo
	v_cmp_ne_u32_e32 vcc_lo, 0, v34
	s_delay_alu instid0(VALU_DEP_2) | instskip(NEXT) | instid1(VALU_DEP_4)
	v_cndmask_b32_e32 v30, v42, v38, vcc_lo
	v_cndmask_b32_e32 v34, v40, v36, vcc_lo
	v_cmp_ne_u32_e32 vcc_lo, 0, v29
	v_xor_b32_e32 v36, s20, v44
	s_delay_alu instid0(VALU_DEP_4) | instskip(NEXT) | instid1(VALU_DEP_4)
	v_cndmask_b32_e32 v29, v32, v30, vcc_lo
	v_cndmask_b32_e32 v30, v31, v34, vcc_lo
	s_delay_alu instid0(VALU_DEP_2) | instskip(NEXT) | instid1(VALU_DEP_2)
	v_xor_b32_e32 v31, v29, v36
	v_xor_b32_e32 v30, v30, v36
	s_delay_alu instid0(VALU_DEP_1) | instskip(NEXT) | instid1(VALU_DEP_3)
	v_sub_co_u32 v29, vcc_lo, v30, v36
	v_sub_co_ci_u32_e32 v30, vcc_lo, v31, v36, vcc_lo
                                        ; implicit-def: $vgpr31
.LBB1169_214:
	s_and_not1_saveexec_b32 s17, s36
	s_cbranch_execz .LBB1169_216
; %bb.215:
	v_cvt_f32_u32_e32 v29, s38
	s_sub_i32 s20, 0, s38
	s_delay_alu instid0(VALU_DEP_1) | instskip(SKIP_2) | instid1(VALU_DEP_1)
	v_rcp_iflag_f32_e32 v29, v29
	s_waitcnt_depctr 0xfff
	v_mul_f32_e32 v29, 0x4f7ffffe, v29
	v_cvt_u32_f32_e32 v29, v29
	s_delay_alu instid0(VALU_DEP_1) | instskip(NEXT) | instid1(VALU_DEP_1)
	v_mul_lo_u32 v30, s20, v29
	v_mul_hi_u32 v30, v29, v30
	s_delay_alu instid0(VALU_DEP_1) | instskip(NEXT) | instid1(VALU_DEP_1)
	v_add_nc_u32_e32 v29, v29, v30
	v_mul_hi_u32 v29, v31, v29
	s_delay_alu instid0(VALU_DEP_1) | instskip(NEXT) | instid1(VALU_DEP_1)
	v_mul_lo_u32 v30, v29, s38
	v_sub_nc_u32_e32 v30, v31, v30
	v_add_nc_u32_e32 v31, 1, v29
	s_delay_alu instid0(VALU_DEP_2) | instskip(SKIP_1) | instid1(VALU_DEP_2)
	v_subrev_nc_u32_e32 v32, s38, v30
	v_cmp_le_u32_e32 vcc_lo, s38, v30
	v_dual_cndmask_b32 v30, v30, v32 :: v_dual_cndmask_b32 v29, v29, v31
	s_delay_alu instid0(VALU_DEP_1) | instskip(NEXT) | instid1(VALU_DEP_2)
	v_cmp_le_u32_e32 vcc_lo, s38, v30
	v_dual_mov_b32 v30, 0 :: v_dual_add_nc_u32 v31, 1, v29
	s_delay_alu instid0(VALU_DEP_1)
	v_cndmask_b32_e32 v29, v29, v31, vcc_lo
.LBB1169_216:
	s_or_b32 exec_lo, exec_lo, s17
.LBB1169_217:
	s_delay_alu instid0(SALU_CYCLE_1)
	s_or_b32 exec_lo, exec_lo, s35
	v_lshlrev_b32_e32 v62, 3, v0
	ds_store_2addr_stride64_b64 v62, v[1:2], v[3:4] offset1:4
	ds_store_2addr_stride64_b64 v62, v[5:6], v[7:8] offset0:8 offset1:12
	ds_store_2addr_stride64_b64 v62, v[9:10], v[11:12] offset0:16 offset1:20
	;; [unrolled: 1-line block ×6, first 2 shown]
	v_mad_u32_u24 v61, 0x70, v0, v62
	ds_store_b64 v62, v[29:30] offset:28672
	s_waitcnt lgkmcnt(0)
	s_barrier
	buffer_gl0_inv
	ds_load_2addr_b64 v[25:28], v61 offset1:1
	ds_load_2addr_b64 v[21:24], v61 offset0:2 offset1:3
	ds_load_2addr_b64 v[17:20], v61 offset0:4 offset1:5
	;; [unrolled: 1-line block ×6, first 2 shown]
	ds_load_b64 v[57:58], v61 offset:112
	s_waitcnt lgkmcnt(0)
	s_barrier
	buffer_gl0_inv
                                        ; implicit-def: $vgpr29_vgpr30
	s_and_saveexec_b32 s17, s16
	s_cbranch_execnz .LBB1169_232
; %bb.218:
	s_or_b32 exec_lo, exec_lo, s17
                                        ; implicit-def: $vgpr31_vgpr32
	s_and_saveexec_b32 s22, s15
	s_cbranch_execnz .LBB1169_237
.LBB1169_219:
	s_or_b32 exec_lo, exec_lo, s22
                                        ; implicit-def: $vgpr33_vgpr34
	s_and_saveexec_b32 s15, s14
	s_cbranch_execnz .LBB1169_242
.LBB1169_220:
	s_or_b32 exec_lo, exec_lo, s15
                                        ; implicit-def: $vgpr35_vgpr36
	s_and_saveexec_b32 s20, s13
	s_cbranch_execnz .LBB1169_247
.LBB1169_221:
	s_or_b32 exec_lo, exec_lo, s20
                                        ; implicit-def: $vgpr37_vgpr38
	s_and_saveexec_b32 s13, s12
	s_cbranch_execnz .LBB1169_252
.LBB1169_222:
	s_or_b32 exec_lo, exec_lo, s13
                                        ; implicit-def: $vgpr39_vgpr40
	s_and_saveexec_b32 s16, s11
	s_cbranch_execnz .LBB1169_257
.LBB1169_223:
	s_or_b32 exec_lo, exec_lo, s16
                                        ; implicit-def: $vgpr41_vgpr42
	s_and_saveexec_b32 s11, s10
	s_cbranch_execnz .LBB1169_262
.LBB1169_224:
	s_or_b32 exec_lo, exec_lo, s11
                                        ; implicit-def: $vgpr43_vgpr44
	s_and_saveexec_b32 s14, s9
	s_cbranch_execnz .LBB1169_267
.LBB1169_225:
	s_or_b32 exec_lo, exec_lo, s14
                                        ; implicit-def: $vgpr45_vgpr46
	s_and_saveexec_b32 s9, s8
	s_cbranch_execnz .LBB1169_272
.LBB1169_226:
	s_or_b32 exec_lo, exec_lo, s9
                                        ; implicit-def: $vgpr47_vgpr48
	s_and_saveexec_b32 s12, s7
	s_cbranch_execnz .LBB1169_277
.LBB1169_227:
	s_or_b32 exec_lo, exec_lo, s12
                                        ; implicit-def: $vgpr49_vgpr50
	s_and_saveexec_b32 s7, s6
	s_cbranch_execnz .LBB1169_282
.LBB1169_228:
	s_or_b32 exec_lo, exec_lo, s7
                                        ; implicit-def: $vgpr51_vgpr52
	s_and_saveexec_b32 s10, s5
	s_cbranch_execnz .LBB1169_287
.LBB1169_229:
	s_or_b32 exec_lo, exec_lo, s10
                                        ; implicit-def: $vgpr53_vgpr54
	s_and_saveexec_b32 s5, s4
	s_cbranch_execnz .LBB1169_292
.LBB1169_230:
	s_or_b32 exec_lo, exec_lo, s5
                                        ; implicit-def: $vgpr55_vgpr56
	s_and_saveexec_b32 s8, s1
	s_cbranch_execnz .LBB1169_297
.LBB1169_231:
	s_or_b32 exec_lo, exec_lo, s8
                                        ; implicit-def: $vgpr59_vgpr60
	s_and_saveexec_b32 s1, s0
	s_cbranch_execnz .LBB1169_302
	s_branch .LBB1169_307
.LBB1169_232:
	v_add_co_u32 v31, s16, s30, v0
	s_delay_alu instid0(VALU_DEP_1) | instskip(SKIP_1) | instid1(VALU_DEP_2)
	v_add_co_ci_u32_e64 v32, null, s31, 0, s16
	v_mov_b32_e32 v29, 0
	v_or_b32_e32 v30, s45, v32
	s_delay_alu instid0(VALU_DEP_1) | instskip(SKIP_1) | instid1(SALU_CYCLE_1)
	v_cmp_ne_u64_e32 vcc_lo, 0, v[29:30]
                                        ; implicit-def: $vgpr29_vgpr30
	s_and_saveexec_b32 s16, vcc_lo
	s_xor_b32 s35, exec_lo, s16
	s_cbranch_execz .LBB1169_234
; %bb.233:
	s_ashr_i32 s20, s45, 31
	s_delay_alu instid0(SALU_CYCLE_1) | instskip(SKIP_2) | instid1(SALU_CYCLE_1)
	s_add_u32 s22, s44, s20
	s_mov_b32 s21, s20
	s_addc_u32 s23, s45, s20
	s_xor_b64 s[22:23], s[22:23], s[20:21]
	s_delay_alu instid0(SALU_CYCLE_1) | instskip(SKIP_3) | instid1(VALU_DEP_1)
	v_cvt_f32_u32_e32 v29, s22
	v_cvt_f32_u32_e32 v30, s23
	s_sub_u32 s16, 0, s22
	s_subb_u32 s21, 0, s23
	v_fmamk_f32 v29, v30, 0x4f800000, v29
	s_delay_alu instid0(VALU_DEP_1) | instskip(SKIP_2) | instid1(VALU_DEP_1)
	v_rcp_f32_e32 v29, v29
	s_waitcnt_depctr 0xfff
	v_mul_f32_e32 v29, 0x5f7ffffc, v29
	v_mul_f32_e32 v30, 0x2f800000, v29
	s_delay_alu instid0(VALU_DEP_1) | instskip(NEXT) | instid1(VALU_DEP_1)
	v_trunc_f32_e32 v30, v30
	v_fmamk_f32 v29, v30, 0xcf800000, v29
	v_cvt_u32_f32_e32 v30, v30
	s_delay_alu instid0(VALU_DEP_2) | instskip(NEXT) | instid1(VALU_DEP_2)
	v_cvt_u32_f32_e32 v29, v29
	v_mul_lo_u32 v34, s16, v30
	s_delay_alu instid0(VALU_DEP_2) | instskip(SKIP_1) | instid1(VALU_DEP_2)
	v_mul_hi_u32 v36, s16, v29
	v_mul_lo_u32 v38, s21, v29
	v_add_nc_u32_e32 v34, v36, v34
	v_mul_lo_u32 v36, s16, v29
	s_delay_alu instid0(VALU_DEP_2) | instskip(NEXT) | instid1(VALU_DEP_2)
	v_add_nc_u32_e32 v34, v34, v38
	v_mul_hi_u32 v38, v29, v36
	s_delay_alu instid0(VALU_DEP_2)
	v_mul_lo_u32 v40, v29, v34
	v_mul_hi_u32 v42, v29, v34
	v_mul_hi_u32 v44, v30, v36
	v_mul_lo_u32 v36, v30, v36
	v_mul_hi_u32 v46, v30, v34
	v_mul_lo_u32 v34, v30, v34
	v_add_co_u32 v38, vcc_lo, v38, v40
	v_add_co_ci_u32_e32 v40, vcc_lo, 0, v42, vcc_lo
	s_delay_alu instid0(VALU_DEP_2) | instskip(NEXT) | instid1(VALU_DEP_2)
	v_add_co_u32 v36, vcc_lo, v38, v36
	v_add_co_ci_u32_e32 v36, vcc_lo, v40, v44, vcc_lo
	v_add_co_ci_u32_e32 v38, vcc_lo, 0, v46, vcc_lo
	v_ashrrev_i32_e32 v44, 31, v32
	s_delay_alu instid0(VALU_DEP_3) | instskip(NEXT) | instid1(VALU_DEP_3)
	v_add_co_u32 v34, vcc_lo, v36, v34
	v_add_co_ci_u32_e32 v36, vcc_lo, 0, v38, vcc_lo
	s_delay_alu instid0(VALU_DEP_2) | instskip(NEXT) | instid1(VALU_DEP_2)
	v_add_co_u32 v29, vcc_lo, v29, v34
	v_add_co_ci_u32_e32 v30, vcc_lo, v30, v36, vcc_lo
	s_delay_alu instid0(VALU_DEP_2) | instskip(SKIP_1) | instid1(VALU_DEP_3)
	v_mul_hi_u32 v34, s16, v29
	v_mul_lo_u32 v38, s21, v29
	v_mul_lo_u32 v36, s16, v30
	s_delay_alu instid0(VALU_DEP_1) | instskip(SKIP_1) | instid1(VALU_DEP_2)
	v_add_nc_u32_e32 v34, v34, v36
	v_mul_lo_u32 v36, s16, v29
	v_add_nc_u32_e32 v34, v34, v38
	s_delay_alu instid0(VALU_DEP_2) | instskip(NEXT) | instid1(VALU_DEP_2)
	v_mul_hi_u32 v38, v29, v36
	v_mul_lo_u32 v40, v29, v34
	v_mul_hi_u32 v42, v29, v34
	v_mul_hi_u32 v46, v30, v36
	v_mul_lo_u32 v36, v30, v36
	v_mul_hi_u32 v48, v30, v34
	v_mul_lo_u32 v34, v30, v34
	v_add_co_u32 v38, vcc_lo, v38, v40
	v_add_co_ci_u32_e32 v40, vcc_lo, 0, v42, vcc_lo
	s_delay_alu instid0(VALU_DEP_2) | instskip(NEXT) | instid1(VALU_DEP_2)
	v_add_co_u32 v36, vcc_lo, v38, v36
	v_add_co_ci_u32_e32 v36, vcc_lo, v40, v46, vcc_lo
	v_add_co_ci_u32_e32 v38, vcc_lo, 0, v48, vcc_lo
	v_add_co_u32 v40, vcc_lo, v31, v44
	v_add_co_ci_u32_e32 v42, vcc_lo, v32, v44, vcc_lo
	s_delay_alu instid0(VALU_DEP_4) | instskip(NEXT) | instid1(VALU_DEP_4)
	v_add_co_u32 v34, vcc_lo, v36, v34
	v_add_co_ci_u32_e32 v36, vcc_lo, 0, v38, vcc_lo
	s_delay_alu instid0(VALU_DEP_4) | instskip(NEXT) | instid1(VALU_DEP_3)
	v_xor_b32_e32 v38, v40, v44
	v_add_co_u32 v34, vcc_lo, v29, v34
	s_delay_alu instid0(VALU_DEP_3) | instskip(SKIP_1) | instid1(VALU_DEP_3)
	v_add_co_ci_u32_e32 v36, vcc_lo, v30, v36, vcc_lo
	v_xor_b32_e32 v40, v42, v44
	v_mul_hi_u32 v42, v38, v34
	s_delay_alu instid0(VALU_DEP_3) | instskip(NEXT) | instid1(VALU_DEP_3)
	v_mad_u64_u32 v[29:30], null, v38, v36, 0
	v_mad_u64_u32 v[64:65], null, v40, v34, 0
	v_mad_u64_u32 v[66:67], null, v40, v36, 0
	s_delay_alu instid0(VALU_DEP_3) | instskip(NEXT) | instid1(VALU_DEP_4)
	v_add_co_u32 v29, vcc_lo, v42, v29
	v_add_co_ci_u32_e32 v30, vcc_lo, 0, v30, vcc_lo
	s_delay_alu instid0(VALU_DEP_2) | instskip(NEXT) | instid1(VALU_DEP_2)
	v_add_co_u32 v29, vcc_lo, v29, v64
	v_add_co_ci_u32_e32 v29, vcc_lo, v30, v65, vcc_lo
	v_add_co_ci_u32_e32 v30, vcc_lo, 0, v67, vcc_lo
	s_delay_alu instid0(VALU_DEP_2) | instskip(NEXT) | instid1(VALU_DEP_2)
	v_add_co_u32 v34, vcc_lo, v29, v66
	v_add_co_ci_u32_e32 v36, vcc_lo, 0, v30, vcc_lo
	s_delay_alu instid0(VALU_DEP_2) | instskip(SKIP_1) | instid1(VALU_DEP_3)
	v_mul_lo_u32 v42, s23, v34
	v_mad_u64_u32 v[29:30], null, s22, v34, 0
	v_mul_lo_u32 v46, s22, v36
	s_delay_alu instid0(VALU_DEP_2) | instskip(NEXT) | instid1(VALU_DEP_2)
	v_sub_co_u32 v29, vcc_lo, v38, v29
	v_add3_u32 v30, v30, v46, v42
	s_delay_alu instid0(VALU_DEP_1) | instskip(NEXT) | instid1(VALU_DEP_1)
	v_sub_nc_u32_e32 v42, v40, v30
	v_subrev_co_ci_u32_e64 v38, s16, s23, v42, vcc_lo
	v_add_co_u32 v42, s16, v34, 2
	s_delay_alu instid0(VALU_DEP_1) | instskip(SKIP_3) | instid1(VALU_DEP_3)
	v_add_co_ci_u32_e64 v46, s16, 0, v36, s16
	v_sub_co_u32 v48, s16, v29, s22
	v_sub_co_ci_u32_e32 v30, vcc_lo, v40, v30, vcc_lo
	v_subrev_co_ci_u32_e64 v38, s16, 0, v38, s16
	v_cmp_le_u32_e32 vcc_lo, s22, v48
	s_delay_alu instid0(VALU_DEP_3) | instskip(SKIP_1) | instid1(VALU_DEP_4)
	v_cmp_eq_u32_e64 s16, s23, v30
	v_cndmask_b32_e64 v40, 0, -1, vcc_lo
	v_cmp_le_u32_e32 vcc_lo, s23, v38
	v_cndmask_b32_e64 v48, 0, -1, vcc_lo
	v_cmp_le_u32_e32 vcc_lo, s22, v29
	v_cndmask_b32_e64 v29, 0, -1, vcc_lo
	v_cmp_le_u32_e32 vcc_lo, s23, v30
	v_cndmask_b32_e64 v50, 0, -1, vcc_lo
	v_cmp_eq_u32_e32 vcc_lo, s23, v38
	s_delay_alu instid0(VALU_DEP_2) | instskip(SKIP_3) | instid1(VALU_DEP_3)
	v_cndmask_b32_e64 v29, v50, v29, s16
	v_cndmask_b32_e32 v38, v48, v40, vcc_lo
	v_add_co_u32 v40, vcc_lo, v34, 1
	v_add_co_ci_u32_e32 v48, vcc_lo, 0, v36, vcc_lo
	v_cmp_ne_u32_e32 vcc_lo, 0, v38
	s_delay_alu instid0(VALU_DEP_2) | instskip(NEXT) | instid1(VALU_DEP_4)
	v_cndmask_b32_e32 v30, v48, v46, vcc_lo
	v_cndmask_b32_e32 v38, v40, v42, vcc_lo
	v_cmp_ne_u32_e32 vcc_lo, 0, v29
	v_xor_b32_e32 v40, s20, v44
	s_delay_alu instid0(VALU_DEP_4) | instskip(NEXT) | instid1(VALU_DEP_4)
	v_cndmask_b32_e32 v29, v36, v30, vcc_lo
	v_cndmask_b32_e32 v30, v34, v38, vcc_lo
	s_delay_alu instid0(VALU_DEP_2) | instskip(NEXT) | instid1(VALU_DEP_2)
	v_xor_b32_e32 v34, v29, v40
	v_xor_b32_e32 v30, v30, v40
	s_delay_alu instid0(VALU_DEP_1) | instskip(NEXT) | instid1(VALU_DEP_3)
	v_sub_co_u32 v29, vcc_lo, v30, v40
	v_sub_co_ci_u32_e32 v30, vcc_lo, v34, v40, vcc_lo
.LBB1169_234:
	s_and_not1_saveexec_b32 s16, s35
	s_cbranch_execz .LBB1169_236
; %bb.235:
	v_cvt_f32_u32_e32 v29, s44
	s_sub_i32 s20, 0, s44
	s_delay_alu instid0(VALU_DEP_1) | instskip(SKIP_2) | instid1(VALU_DEP_1)
	v_rcp_iflag_f32_e32 v29, v29
	s_waitcnt_depctr 0xfff
	v_mul_f32_e32 v29, 0x4f7ffffe, v29
	v_cvt_u32_f32_e32 v29, v29
	s_delay_alu instid0(VALU_DEP_1) | instskip(NEXT) | instid1(VALU_DEP_1)
	v_mul_lo_u32 v30, s20, v29
	v_mul_hi_u32 v30, v29, v30
	s_delay_alu instid0(VALU_DEP_1) | instskip(NEXT) | instid1(VALU_DEP_1)
	v_add_nc_u32_e32 v29, v29, v30
	v_mul_hi_u32 v29, v31, v29
	s_delay_alu instid0(VALU_DEP_1) | instskip(SKIP_1) | instid1(VALU_DEP_2)
	v_mul_lo_u32 v30, v29, s44
	v_add_nc_u32_e32 v34, 1, v29
	v_sub_nc_u32_e32 v30, v31, v30
	s_delay_alu instid0(VALU_DEP_1) | instskip(SKIP_1) | instid1(VALU_DEP_2)
	v_subrev_nc_u32_e32 v36, s44, v30
	v_cmp_le_u32_e32 vcc_lo, s44, v30
	v_dual_cndmask_b32 v30, v30, v36 :: v_dual_cndmask_b32 v29, v29, v34
	s_delay_alu instid0(VALU_DEP_1) | instskip(SKIP_1) | instid1(VALU_DEP_3)
	v_cmp_le_u32_e32 vcc_lo, s44, v30
	v_mov_b32_e32 v30, 0
	v_add_nc_u32_e32 v34, 1, v29
	s_delay_alu instid0(VALU_DEP_1)
	v_cndmask_b32_e32 v29, v29, v34, vcc_lo
.LBB1169_236:
	s_or_b32 exec_lo, exec_lo, s16
	s_delay_alu instid0(VALU_DEP_1) | instskip(NEXT) | instid1(VALU_DEP_2)
	v_mul_lo_u32 v34, v30, s44
	v_mul_lo_u32 v36, v29, s45
	v_mad_u64_u32 v[64:65], null, v29, s44, 0
	s_delay_alu instid0(VALU_DEP_1) | instskip(NEXT) | instid1(VALU_DEP_2)
	v_add3_u32 v34, v65, v36, v34
	v_sub_co_u32 v31, vcc_lo, v31, v64
	s_delay_alu instid0(VALU_DEP_2) | instskip(NEXT) | instid1(VALU_DEP_2)
	v_sub_co_ci_u32_e32 v32, vcc_lo, v32, v34, vcc_lo
	v_add_co_u32 v29, vcc_lo, v29, v31
	s_delay_alu instid0(VALU_DEP_2)
	v_add_co_ci_u32_e32 v30, vcc_lo, v30, v32, vcc_lo
	s_or_b32 exec_lo, exec_lo, s17
                                        ; implicit-def: $vgpr31_vgpr32
	s_and_saveexec_b32 s22, s15
	s_cbranch_execz .LBB1169_219
.LBB1169_237:
	v_add_co_u32 v33, s15, s30, v33
	s_delay_alu instid0(VALU_DEP_1) | instskip(SKIP_1) | instid1(VALU_DEP_2)
	v_add_co_ci_u32_e64 v34, null, s31, 0, s15
	v_mov_b32_e32 v31, 0
	v_or_b32_e32 v32, s45, v34
	s_delay_alu instid0(VALU_DEP_1) | instskip(SKIP_1) | instid1(SALU_CYCLE_1)
	v_cmp_ne_u64_e32 vcc_lo, 0, v[31:32]
                                        ; implicit-def: $vgpr31_vgpr32
	s_and_saveexec_b32 s15, vcc_lo
	s_xor_b32 s23, exec_lo, s15
	s_cbranch_execz .LBB1169_239
; %bb.238:
	s_ashr_i32 s16, s45, 31
	s_delay_alu instid0(SALU_CYCLE_1) | instskip(SKIP_2) | instid1(SALU_CYCLE_1)
	s_add_u32 s20, s44, s16
	s_mov_b32 s17, s16
	s_addc_u32 s21, s45, s16
	s_xor_b64 s[20:21], s[20:21], s[16:17]
	s_delay_alu instid0(SALU_CYCLE_1) | instskip(SKIP_3) | instid1(VALU_DEP_1)
	v_cvt_f32_u32_e32 v31, s20
	v_cvt_f32_u32_e32 v32, s21
	s_sub_u32 s15, 0, s20
	s_subb_u32 s17, 0, s21
	v_fmamk_f32 v31, v32, 0x4f800000, v31
	s_delay_alu instid0(VALU_DEP_1) | instskip(SKIP_2) | instid1(VALU_DEP_1)
	v_rcp_f32_e32 v31, v31
	s_waitcnt_depctr 0xfff
	v_mul_f32_e32 v31, 0x5f7ffffc, v31
	v_mul_f32_e32 v32, 0x2f800000, v31
	s_delay_alu instid0(VALU_DEP_1) | instskip(NEXT) | instid1(VALU_DEP_1)
	v_trunc_f32_e32 v32, v32
	v_fmamk_f32 v31, v32, 0xcf800000, v31
	v_cvt_u32_f32_e32 v32, v32
	s_delay_alu instid0(VALU_DEP_2) | instskip(NEXT) | instid1(VALU_DEP_2)
	v_cvt_u32_f32_e32 v31, v31
	v_mul_lo_u32 v36, s15, v32
	s_delay_alu instid0(VALU_DEP_2) | instskip(SKIP_1) | instid1(VALU_DEP_2)
	v_mul_hi_u32 v38, s15, v31
	v_mul_lo_u32 v40, s17, v31
	v_add_nc_u32_e32 v36, v38, v36
	v_mul_lo_u32 v38, s15, v31
	s_delay_alu instid0(VALU_DEP_2) | instskip(NEXT) | instid1(VALU_DEP_2)
	v_add_nc_u32_e32 v36, v36, v40
	v_mul_hi_u32 v40, v31, v38
	s_delay_alu instid0(VALU_DEP_2)
	v_mul_lo_u32 v42, v31, v36
	v_mul_hi_u32 v44, v31, v36
	v_mul_hi_u32 v46, v32, v38
	v_mul_lo_u32 v38, v32, v38
	v_mul_hi_u32 v48, v32, v36
	v_mul_lo_u32 v36, v32, v36
	v_add_co_u32 v40, vcc_lo, v40, v42
	v_add_co_ci_u32_e32 v42, vcc_lo, 0, v44, vcc_lo
	s_delay_alu instid0(VALU_DEP_2) | instskip(NEXT) | instid1(VALU_DEP_2)
	v_add_co_u32 v38, vcc_lo, v40, v38
	v_add_co_ci_u32_e32 v38, vcc_lo, v42, v46, vcc_lo
	v_add_co_ci_u32_e32 v40, vcc_lo, 0, v48, vcc_lo
	v_ashrrev_i32_e32 v46, 31, v34
	s_delay_alu instid0(VALU_DEP_3) | instskip(NEXT) | instid1(VALU_DEP_3)
	v_add_co_u32 v36, vcc_lo, v38, v36
	v_add_co_ci_u32_e32 v38, vcc_lo, 0, v40, vcc_lo
	s_delay_alu instid0(VALU_DEP_2) | instskip(NEXT) | instid1(VALU_DEP_2)
	v_add_co_u32 v31, vcc_lo, v31, v36
	v_add_co_ci_u32_e32 v32, vcc_lo, v32, v38, vcc_lo
	s_delay_alu instid0(VALU_DEP_2) | instskip(SKIP_1) | instid1(VALU_DEP_3)
	v_mul_hi_u32 v36, s15, v31
	v_mul_lo_u32 v40, s17, v31
	v_mul_lo_u32 v38, s15, v32
	s_delay_alu instid0(VALU_DEP_1) | instskip(SKIP_1) | instid1(VALU_DEP_2)
	v_add_nc_u32_e32 v36, v36, v38
	v_mul_lo_u32 v38, s15, v31
	v_add_nc_u32_e32 v36, v36, v40
	s_delay_alu instid0(VALU_DEP_2) | instskip(NEXT) | instid1(VALU_DEP_2)
	v_mul_hi_u32 v40, v31, v38
	v_mul_lo_u32 v42, v31, v36
	v_mul_hi_u32 v44, v31, v36
	v_mul_hi_u32 v48, v32, v38
	v_mul_lo_u32 v38, v32, v38
	v_mul_hi_u32 v50, v32, v36
	v_mul_lo_u32 v36, v32, v36
	v_add_co_u32 v40, vcc_lo, v40, v42
	v_add_co_ci_u32_e32 v42, vcc_lo, 0, v44, vcc_lo
	s_delay_alu instid0(VALU_DEP_2) | instskip(NEXT) | instid1(VALU_DEP_2)
	v_add_co_u32 v38, vcc_lo, v40, v38
	v_add_co_ci_u32_e32 v38, vcc_lo, v42, v48, vcc_lo
	v_add_co_ci_u32_e32 v40, vcc_lo, 0, v50, vcc_lo
	v_add_co_u32 v42, vcc_lo, v33, v46
	v_add_co_ci_u32_e32 v44, vcc_lo, v34, v46, vcc_lo
	s_delay_alu instid0(VALU_DEP_4) | instskip(NEXT) | instid1(VALU_DEP_4)
	v_add_co_u32 v36, vcc_lo, v38, v36
	v_add_co_ci_u32_e32 v38, vcc_lo, 0, v40, vcc_lo
	s_delay_alu instid0(VALU_DEP_4) | instskip(NEXT) | instid1(VALU_DEP_3)
	v_xor_b32_e32 v40, v42, v46
	v_add_co_u32 v36, vcc_lo, v31, v36
	s_delay_alu instid0(VALU_DEP_3) | instskip(SKIP_1) | instid1(VALU_DEP_3)
	v_add_co_ci_u32_e32 v38, vcc_lo, v32, v38, vcc_lo
	v_xor_b32_e32 v42, v44, v46
	v_mul_hi_u32 v44, v40, v36
	s_delay_alu instid0(VALU_DEP_3) | instskip(NEXT) | instid1(VALU_DEP_3)
	v_mad_u64_u32 v[31:32], null, v40, v38, 0
	v_mad_u64_u32 v[64:65], null, v42, v36, 0
	;; [unrolled: 1-line block ×3, first 2 shown]
	s_delay_alu instid0(VALU_DEP_3) | instskip(NEXT) | instid1(VALU_DEP_4)
	v_add_co_u32 v31, vcc_lo, v44, v31
	v_add_co_ci_u32_e32 v32, vcc_lo, 0, v32, vcc_lo
	s_delay_alu instid0(VALU_DEP_2) | instskip(NEXT) | instid1(VALU_DEP_2)
	v_add_co_u32 v31, vcc_lo, v31, v64
	v_add_co_ci_u32_e32 v31, vcc_lo, v32, v65, vcc_lo
	v_add_co_ci_u32_e32 v32, vcc_lo, 0, v67, vcc_lo
	s_delay_alu instid0(VALU_DEP_2) | instskip(NEXT) | instid1(VALU_DEP_2)
	v_add_co_u32 v36, vcc_lo, v31, v66
	v_add_co_ci_u32_e32 v38, vcc_lo, 0, v32, vcc_lo
	s_delay_alu instid0(VALU_DEP_2) | instskip(SKIP_1) | instid1(VALU_DEP_3)
	v_mul_lo_u32 v44, s21, v36
	v_mad_u64_u32 v[31:32], null, s20, v36, 0
	v_mul_lo_u32 v48, s20, v38
	s_delay_alu instid0(VALU_DEP_2) | instskip(NEXT) | instid1(VALU_DEP_2)
	v_sub_co_u32 v31, vcc_lo, v40, v31
	v_add3_u32 v32, v32, v48, v44
	s_delay_alu instid0(VALU_DEP_1) | instskip(NEXT) | instid1(VALU_DEP_1)
	v_sub_nc_u32_e32 v44, v42, v32
	v_subrev_co_ci_u32_e64 v40, s15, s21, v44, vcc_lo
	v_add_co_u32 v44, s15, v36, 2
	s_delay_alu instid0(VALU_DEP_1) | instskip(SKIP_3) | instid1(VALU_DEP_3)
	v_add_co_ci_u32_e64 v48, s15, 0, v38, s15
	v_sub_co_u32 v50, s15, v31, s20
	v_sub_co_ci_u32_e32 v32, vcc_lo, v42, v32, vcc_lo
	v_subrev_co_ci_u32_e64 v40, s15, 0, v40, s15
	v_cmp_le_u32_e32 vcc_lo, s20, v50
	s_delay_alu instid0(VALU_DEP_3) | instskip(SKIP_1) | instid1(VALU_DEP_4)
	v_cmp_eq_u32_e64 s15, s21, v32
	v_cndmask_b32_e64 v42, 0, -1, vcc_lo
	v_cmp_le_u32_e32 vcc_lo, s21, v40
	v_cndmask_b32_e64 v50, 0, -1, vcc_lo
	v_cmp_le_u32_e32 vcc_lo, s20, v31
	;; [unrolled: 2-line block ×3, first 2 shown]
	v_cndmask_b32_e64 v52, 0, -1, vcc_lo
	v_cmp_eq_u32_e32 vcc_lo, s21, v40
	s_delay_alu instid0(VALU_DEP_2) | instskip(SKIP_3) | instid1(VALU_DEP_3)
	v_cndmask_b32_e64 v31, v52, v31, s15
	v_cndmask_b32_e32 v40, v50, v42, vcc_lo
	v_add_co_u32 v42, vcc_lo, v36, 1
	v_add_co_ci_u32_e32 v50, vcc_lo, 0, v38, vcc_lo
	v_cmp_ne_u32_e32 vcc_lo, 0, v40
	s_delay_alu instid0(VALU_DEP_2) | instskip(NEXT) | instid1(VALU_DEP_4)
	v_cndmask_b32_e32 v32, v50, v48, vcc_lo
	v_cndmask_b32_e32 v40, v42, v44, vcc_lo
	v_cmp_ne_u32_e32 vcc_lo, 0, v31
	v_xor_b32_e32 v42, s16, v46
	s_delay_alu instid0(VALU_DEP_4) | instskip(NEXT) | instid1(VALU_DEP_4)
	v_cndmask_b32_e32 v31, v38, v32, vcc_lo
	v_cndmask_b32_e32 v32, v36, v40, vcc_lo
	s_delay_alu instid0(VALU_DEP_2) | instskip(NEXT) | instid1(VALU_DEP_2)
	v_xor_b32_e32 v36, v31, v42
	v_xor_b32_e32 v32, v32, v42
	s_delay_alu instid0(VALU_DEP_1) | instskip(NEXT) | instid1(VALU_DEP_3)
	v_sub_co_u32 v31, vcc_lo, v32, v42
	v_sub_co_ci_u32_e32 v32, vcc_lo, v36, v42, vcc_lo
.LBB1169_239:
	s_and_not1_saveexec_b32 s15, s23
	s_cbranch_execz .LBB1169_241
; %bb.240:
	v_cvt_f32_u32_e32 v31, s44
	s_sub_i32 s16, 0, s44
	s_delay_alu instid0(VALU_DEP_1) | instskip(SKIP_2) | instid1(VALU_DEP_1)
	v_rcp_iflag_f32_e32 v31, v31
	s_waitcnt_depctr 0xfff
	v_mul_f32_e32 v31, 0x4f7ffffe, v31
	v_cvt_u32_f32_e32 v31, v31
	s_delay_alu instid0(VALU_DEP_1) | instskip(NEXT) | instid1(VALU_DEP_1)
	v_mul_lo_u32 v32, s16, v31
	v_mul_hi_u32 v32, v31, v32
	s_delay_alu instid0(VALU_DEP_1) | instskip(NEXT) | instid1(VALU_DEP_1)
	v_add_nc_u32_e32 v31, v31, v32
	v_mul_hi_u32 v31, v33, v31
	s_delay_alu instid0(VALU_DEP_1) | instskip(SKIP_1) | instid1(VALU_DEP_2)
	v_mul_lo_u32 v32, v31, s44
	v_add_nc_u32_e32 v36, 1, v31
	v_sub_nc_u32_e32 v32, v33, v32
	s_delay_alu instid0(VALU_DEP_1) | instskip(SKIP_1) | instid1(VALU_DEP_2)
	v_subrev_nc_u32_e32 v38, s44, v32
	v_cmp_le_u32_e32 vcc_lo, s44, v32
	v_dual_cndmask_b32 v32, v32, v38 :: v_dual_cndmask_b32 v31, v31, v36
	s_delay_alu instid0(VALU_DEP_1) | instskip(SKIP_1) | instid1(VALU_DEP_3)
	v_cmp_le_u32_e32 vcc_lo, s44, v32
	v_mov_b32_e32 v32, 0
	v_add_nc_u32_e32 v36, 1, v31
	s_delay_alu instid0(VALU_DEP_1)
	v_cndmask_b32_e32 v31, v31, v36, vcc_lo
.LBB1169_241:
	s_or_b32 exec_lo, exec_lo, s15
	s_delay_alu instid0(VALU_DEP_1) | instskip(NEXT) | instid1(VALU_DEP_2)
	v_mul_lo_u32 v36, v32, s44
	v_mul_lo_u32 v38, v31, s45
	v_mad_u64_u32 v[64:65], null, v31, s44, 0
	s_delay_alu instid0(VALU_DEP_1) | instskip(NEXT) | instid1(VALU_DEP_2)
	v_add3_u32 v36, v65, v38, v36
	v_sub_co_u32 v33, vcc_lo, v33, v64
	s_delay_alu instid0(VALU_DEP_2) | instskip(NEXT) | instid1(VALU_DEP_2)
	v_sub_co_ci_u32_e32 v34, vcc_lo, v34, v36, vcc_lo
	v_add_co_u32 v31, vcc_lo, v31, v33
	s_delay_alu instid0(VALU_DEP_2)
	v_add_co_ci_u32_e32 v32, vcc_lo, v32, v34, vcc_lo
	s_or_b32 exec_lo, exec_lo, s22
                                        ; implicit-def: $vgpr33_vgpr34
	s_and_saveexec_b32 s15, s14
	s_cbranch_execz .LBB1169_220
.LBB1169_242:
	v_add_co_u32 v35, s14, s30, v35
	s_delay_alu instid0(VALU_DEP_1) | instskip(SKIP_1) | instid1(VALU_DEP_2)
	v_add_co_ci_u32_e64 v36, null, s31, 0, s14
	v_mov_b32_e32 v33, 0
	v_or_b32_e32 v34, s45, v36
	s_delay_alu instid0(VALU_DEP_1) | instskip(SKIP_1) | instid1(SALU_CYCLE_1)
	v_cmp_ne_u64_e32 vcc_lo, 0, v[33:34]
                                        ; implicit-def: $vgpr33_vgpr34
	s_and_saveexec_b32 s14, vcc_lo
	s_xor_b32 s22, exec_lo, s14
	s_cbranch_execz .LBB1169_244
; %bb.243:
	s_ashr_i32 s16, s45, 31
	s_delay_alu instid0(SALU_CYCLE_1) | instskip(SKIP_2) | instid1(SALU_CYCLE_1)
	s_add_u32 s20, s44, s16
	s_mov_b32 s17, s16
	s_addc_u32 s21, s45, s16
	s_xor_b64 s[20:21], s[20:21], s[16:17]
	s_delay_alu instid0(SALU_CYCLE_1) | instskip(SKIP_3) | instid1(VALU_DEP_1)
	v_cvt_f32_u32_e32 v33, s20
	v_cvt_f32_u32_e32 v34, s21
	s_sub_u32 s14, 0, s20
	s_subb_u32 s17, 0, s21
	v_fmamk_f32 v33, v34, 0x4f800000, v33
	s_delay_alu instid0(VALU_DEP_1) | instskip(SKIP_2) | instid1(VALU_DEP_1)
	v_rcp_f32_e32 v33, v33
	s_waitcnt_depctr 0xfff
	v_mul_f32_e32 v33, 0x5f7ffffc, v33
	v_mul_f32_e32 v34, 0x2f800000, v33
	s_delay_alu instid0(VALU_DEP_1) | instskip(NEXT) | instid1(VALU_DEP_1)
	v_trunc_f32_e32 v34, v34
	v_fmamk_f32 v33, v34, 0xcf800000, v33
	v_cvt_u32_f32_e32 v34, v34
	s_delay_alu instid0(VALU_DEP_2) | instskip(NEXT) | instid1(VALU_DEP_2)
	v_cvt_u32_f32_e32 v33, v33
	v_mul_lo_u32 v38, s14, v34
	s_delay_alu instid0(VALU_DEP_2) | instskip(SKIP_1) | instid1(VALU_DEP_2)
	v_mul_hi_u32 v40, s14, v33
	v_mul_lo_u32 v42, s17, v33
	v_add_nc_u32_e32 v38, v40, v38
	v_mul_lo_u32 v40, s14, v33
	s_delay_alu instid0(VALU_DEP_2) | instskip(NEXT) | instid1(VALU_DEP_2)
	v_add_nc_u32_e32 v38, v38, v42
	v_mul_hi_u32 v42, v33, v40
	s_delay_alu instid0(VALU_DEP_2)
	v_mul_lo_u32 v44, v33, v38
	v_mul_hi_u32 v46, v33, v38
	v_mul_hi_u32 v48, v34, v40
	v_mul_lo_u32 v40, v34, v40
	v_mul_hi_u32 v50, v34, v38
	v_mul_lo_u32 v38, v34, v38
	v_add_co_u32 v42, vcc_lo, v42, v44
	v_add_co_ci_u32_e32 v44, vcc_lo, 0, v46, vcc_lo
	s_delay_alu instid0(VALU_DEP_2) | instskip(NEXT) | instid1(VALU_DEP_2)
	v_add_co_u32 v40, vcc_lo, v42, v40
	v_add_co_ci_u32_e32 v40, vcc_lo, v44, v48, vcc_lo
	v_add_co_ci_u32_e32 v42, vcc_lo, 0, v50, vcc_lo
	v_ashrrev_i32_e32 v48, 31, v36
	s_delay_alu instid0(VALU_DEP_3) | instskip(NEXT) | instid1(VALU_DEP_3)
	v_add_co_u32 v38, vcc_lo, v40, v38
	v_add_co_ci_u32_e32 v40, vcc_lo, 0, v42, vcc_lo
	s_delay_alu instid0(VALU_DEP_2) | instskip(NEXT) | instid1(VALU_DEP_2)
	v_add_co_u32 v33, vcc_lo, v33, v38
	v_add_co_ci_u32_e32 v34, vcc_lo, v34, v40, vcc_lo
	s_delay_alu instid0(VALU_DEP_2) | instskip(SKIP_1) | instid1(VALU_DEP_3)
	v_mul_hi_u32 v38, s14, v33
	v_mul_lo_u32 v42, s17, v33
	v_mul_lo_u32 v40, s14, v34
	s_delay_alu instid0(VALU_DEP_1) | instskip(SKIP_1) | instid1(VALU_DEP_2)
	v_add_nc_u32_e32 v38, v38, v40
	v_mul_lo_u32 v40, s14, v33
	v_add_nc_u32_e32 v38, v38, v42
	s_delay_alu instid0(VALU_DEP_2) | instskip(NEXT) | instid1(VALU_DEP_2)
	v_mul_hi_u32 v42, v33, v40
	v_mul_lo_u32 v44, v33, v38
	v_mul_hi_u32 v46, v33, v38
	v_mul_hi_u32 v50, v34, v40
	v_mul_lo_u32 v40, v34, v40
	v_mul_hi_u32 v52, v34, v38
	v_mul_lo_u32 v38, v34, v38
	v_add_co_u32 v42, vcc_lo, v42, v44
	v_add_co_ci_u32_e32 v44, vcc_lo, 0, v46, vcc_lo
	s_delay_alu instid0(VALU_DEP_2) | instskip(NEXT) | instid1(VALU_DEP_2)
	v_add_co_u32 v40, vcc_lo, v42, v40
	v_add_co_ci_u32_e32 v40, vcc_lo, v44, v50, vcc_lo
	v_add_co_ci_u32_e32 v42, vcc_lo, 0, v52, vcc_lo
	v_add_co_u32 v44, vcc_lo, v35, v48
	v_add_co_ci_u32_e32 v46, vcc_lo, v36, v48, vcc_lo
	s_delay_alu instid0(VALU_DEP_4) | instskip(NEXT) | instid1(VALU_DEP_4)
	v_add_co_u32 v38, vcc_lo, v40, v38
	v_add_co_ci_u32_e32 v40, vcc_lo, 0, v42, vcc_lo
	s_delay_alu instid0(VALU_DEP_4) | instskip(NEXT) | instid1(VALU_DEP_3)
	v_xor_b32_e32 v42, v44, v48
	v_add_co_u32 v38, vcc_lo, v33, v38
	s_delay_alu instid0(VALU_DEP_3) | instskip(SKIP_1) | instid1(VALU_DEP_3)
	v_add_co_ci_u32_e32 v40, vcc_lo, v34, v40, vcc_lo
	v_xor_b32_e32 v44, v46, v48
	v_mul_hi_u32 v46, v42, v38
	s_delay_alu instid0(VALU_DEP_3) | instskip(NEXT) | instid1(VALU_DEP_3)
	v_mad_u64_u32 v[33:34], null, v42, v40, 0
	v_mad_u64_u32 v[64:65], null, v44, v38, 0
	;; [unrolled: 1-line block ×3, first 2 shown]
	s_delay_alu instid0(VALU_DEP_3) | instskip(NEXT) | instid1(VALU_DEP_4)
	v_add_co_u32 v33, vcc_lo, v46, v33
	v_add_co_ci_u32_e32 v34, vcc_lo, 0, v34, vcc_lo
	s_delay_alu instid0(VALU_DEP_2) | instskip(NEXT) | instid1(VALU_DEP_2)
	v_add_co_u32 v33, vcc_lo, v33, v64
	v_add_co_ci_u32_e32 v33, vcc_lo, v34, v65, vcc_lo
	v_add_co_ci_u32_e32 v34, vcc_lo, 0, v67, vcc_lo
	s_delay_alu instid0(VALU_DEP_2) | instskip(NEXT) | instid1(VALU_DEP_2)
	v_add_co_u32 v38, vcc_lo, v33, v66
	v_add_co_ci_u32_e32 v40, vcc_lo, 0, v34, vcc_lo
	s_delay_alu instid0(VALU_DEP_2) | instskip(SKIP_1) | instid1(VALU_DEP_3)
	v_mul_lo_u32 v46, s21, v38
	v_mad_u64_u32 v[33:34], null, s20, v38, 0
	v_mul_lo_u32 v50, s20, v40
	s_delay_alu instid0(VALU_DEP_2) | instskip(NEXT) | instid1(VALU_DEP_2)
	v_sub_co_u32 v33, vcc_lo, v42, v33
	v_add3_u32 v34, v34, v50, v46
	s_delay_alu instid0(VALU_DEP_1) | instskip(NEXT) | instid1(VALU_DEP_1)
	v_sub_nc_u32_e32 v46, v44, v34
	v_subrev_co_ci_u32_e64 v42, s14, s21, v46, vcc_lo
	v_add_co_u32 v46, s14, v38, 2
	s_delay_alu instid0(VALU_DEP_1) | instskip(SKIP_3) | instid1(VALU_DEP_3)
	v_add_co_ci_u32_e64 v50, s14, 0, v40, s14
	v_sub_co_u32 v52, s14, v33, s20
	v_sub_co_ci_u32_e32 v34, vcc_lo, v44, v34, vcc_lo
	v_subrev_co_ci_u32_e64 v42, s14, 0, v42, s14
	v_cmp_le_u32_e32 vcc_lo, s20, v52
	s_delay_alu instid0(VALU_DEP_3) | instskip(SKIP_1) | instid1(VALU_DEP_4)
	v_cmp_eq_u32_e64 s14, s21, v34
	v_cndmask_b32_e64 v44, 0, -1, vcc_lo
	v_cmp_le_u32_e32 vcc_lo, s21, v42
	v_cndmask_b32_e64 v52, 0, -1, vcc_lo
	v_cmp_le_u32_e32 vcc_lo, s20, v33
	;; [unrolled: 2-line block ×3, first 2 shown]
	v_cndmask_b32_e64 v54, 0, -1, vcc_lo
	v_cmp_eq_u32_e32 vcc_lo, s21, v42
	s_delay_alu instid0(VALU_DEP_2) | instskip(SKIP_3) | instid1(VALU_DEP_3)
	v_cndmask_b32_e64 v33, v54, v33, s14
	v_cndmask_b32_e32 v42, v52, v44, vcc_lo
	v_add_co_u32 v44, vcc_lo, v38, 1
	v_add_co_ci_u32_e32 v52, vcc_lo, 0, v40, vcc_lo
	v_cmp_ne_u32_e32 vcc_lo, 0, v42
	s_delay_alu instid0(VALU_DEP_2) | instskip(NEXT) | instid1(VALU_DEP_4)
	v_cndmask_b32_e32 v34, v52, v50, vcc_lo
	v_cndmask_b32_e32 v42, v44, v46, vcc_lo
	v_cmp_ne_u32_e32 vcc_lo, 0, v33
	v_xor_b32_e32 v44, s16, v48
	s_delay_alu instid0(VALU_DEP_4) | instskip(NEXT) | instid1(VALU_DEP_4)
	v_cndmask_b32_e32 v33, v40, v34, vcc_lo
	v_cndmask_b32_e32 v34, v38, v42, vcc_lo
	s_delay_alu instid0(VALU_DEP_2) | instskip(NEXT) | instid1(VALU_DEP_2)
	v_xor_b32_e32 v38, v33, v44
	v_xor_b32_e32 v34, v34, v44
	s_delay_alu instid0(VALU_DEP_1) | instskip(NEXT) | instid1(VALU_DEP_3)
	v_sub_co_u32 v33, vcc_lo, v34, v44
	v_sub_co_ci_u32_e32 v34, vcc_lo, v38, v44, vcc_lo
.LBB1169_244:
	s_and_not1_saveexec_b32 s14, s22
	s_cbranch_execz .LBB1169_246
; %bb.245:
	v_cvt_f32_u32_e32 v33, s44
	s_sub_i32 s16, 0, s44
	s_delay_alu instid0(VALU_DEP_1) | instskip(SKIP_2) | instid1(VALU_DEP_1)
	v_rcp_iflag_f32_e32 v33, v33
	s_waitcnt_depctr 0xfff
	v_mul_f32_e32 v33, 0x4f7ffffe, v33
	v_cvt_u32_f32_e32 v33, v33
	s_delay_alu instid0(VALU_DEP_1) | instskip(NEXT) | instid1(VALU_DEP_1)
	v_mul_lo_u32 v34, s16, v33
	v_mul_hi_u32 v34, v33, v34
	s_delay_alu instid0(VALU_DEP_1) | instskip(NEXT) | instid1(VALU_DEP_1)
	v_add_nc_u32_e32 v33, v33, v34
	v_mul_hi_u32 v33, v35, v33
	s_delay_alu instid0(VALU_DEP_1) | instskip(SKIP_1) | instid1(VALU_DEP_2)
	v_mul_lo_u32 v34, v33, s44
	v_add_nc_u32_e32 v38, 1, v33
	v_sub_nc_u32_e32 v34, v35, v34
	s_delay_alu instid0(VALU_DEP_1) | instskip(SKIP_1) | instid1(VALU_DEP_2)
	v_subrev_nc_u32_e32 v40, s44, v34
	v_cmp_le_u32_e32 vcc_lo, s44, v34
	v_dual_cndmask_b32 v34, v34, v40 :: v_dual_cndmask_b32 v33, v33, v38
	s_delay_alu instid0(VALU_DEP_1) | instskip(SKIP_1) | instid1(VALU_DEP_3)
	v_cmp_le_u32_e32 vcc_lo, s44, v34
	v_mov_b32_e32 v34, 0
	v_add_nc_u32_e32 v38, 1, v33
	s_delay_alu instid0(VALU_DEP_1)
	v_cndmask_b32_e32 v33, v33, v38, vcc_lo
.LBB1169_246:
	s_or_b32 exec_lo, exec_lo, s14
	s_delay_alu instid0(VALU_DEP_1) | instskip(NEXT) | instid1(VALU_DEP_2)
	v_mul_lo_u32 v38, v34, s44
	v_mul_lo_u32 v40, v33, s45
	v_mad_u64_u32 v[64:65], null, v33, s44, 0
	s_delay_alu instid0(VALU_DEP_1) | instskip(NEXT) | instid1(VALU_DEP_2)
	v_add3_u32 v38, v65, v40, v38
	v_sub_co_u32 v35, vcc_lo, v35, v64
	s_delay_alu instid0(VALU_DEP_2) | instskip(NEXT) | instid1(VALU_DEP_2)
	v_sub_co_ci_u32_e32 v36, vcc_lo, v36, v38, vcc_lo
	v_add_co_u32 v33, vcc_lo, v33, v35
	s_delay_alu instid0(VALU_DEP_2)
	v_add_co_ci_u32_e32 v34, vcc_lo, v34, v36, vcc_lo
	s_or_b32 exec_lo, exec_lo, s15
                                        ; implicit-def: $vgpr35_vgpr36
	s_and_saveexec_b32 s20, s13
	s_cbranch_execz .LBB1169_221
.LBB1169_247:
	v_add_co_u32 v37, s13, s30, v37
	s_delay_alu instid0(VALU_DEP_1) | instskip(SKIP_1) | instid1(VALU_DEP_2)
	v_add_co_ci_u32_e64 v38, null, s31, 0, s13
	v_mov_b32_e32 v35, 0
	v_or_b32_e32 v36, s45, v38
	s_delay_alu instid0(VALU_DEP_1) | instskip(SKIP_1) | instid1(SALU_CYCLE_1)
	v_cmp_ne_u64_e32 vcc_lo, 0, v[35:36]
                                        ; implicit-def: $vgpr35_vgpr36
	s_and_saveexec_b32 s13, vcc_lo
	s_xor_b32 s21, exec_lo, s13
	s_cbranch_execz .LBB1169_249
; %bb.248:
	s_ashr_i32 s14, s45, 31
	s_delay_alu instid0(SALU_CYCLE_1) | instskip(SKIP_2) | instid1(SALU_CYCLE_1)
	s_add_u32 s16, s44, s14
	s_mov_b32 s15, s14
	s_addc_u32 s17, s45, s14
	s_xor_b64 s[16:17], s[16:17], s[14:15]
	s_delay_alu instid0(SALU_CYCLE_1) | instskip(SKIP_3) | instid1(VALU_DEP_1)
	v_cvt_f32_u32_e32 v35, s16
	v_cvt_f32_u32_e32 v36, s17
	s_sub_u32 s13, 0, s16
	s_subb_u32 s15, 0, s17
	v_fmamk_f32 v35, v36, 0x4f800000, v35
	s_delay_alu instid0(VALU_DEP_1) | instskip(SKIP_2) | instid1(VALU_DEP_1)
	v_rcp_f32_e32 v35, v35
	s_waitcnt_depctr 0xfff
	v_mul_f32_e32 v35, 0x5f7ffffc, v35
	v_mul_f32_e32 v36, 0x2f800000, v35
	s_delay_alu instid0(VALU_DEP_1) | instskip(NEXT) | instid1(VALU_DEP_1)
	v_trunc_f32_e32 v36, v36
	v_fmamk_f32 v35, v36, 0xcf800000, v35
	v_cvt_u32_f32_e32 v36, v36
	s_delay_alu instid0(VALU_DEP_2) | instskip(NEXT) | instid1(VALU_DEP_2)
	v_cvt_u32_f32_e32 v35, v35
	v_mul_lo_u32 v40, s13, v36
	s_delay_alu instid0(VALU_DEP_2) | instskip(SKIP_1) | instid1(VALU_DEP_2)
	v_mul_hi_u32 v42, s13, v35
	v_mul_lo_u32 v44, s15, v35
	v_add_nc_u32_e32 v40, v42, v40
	v_mul_lo_u32 v42, s13, v35
	s_delay_alu instid0(VALU_DEP_2) | instskip(NEXT) | instid1(VALU_DEP_2)
	v_add_nc_u32_e32 v40, v40, v44
	v_mul_hi_u32 v44, v35, v42
	s_delay_alu instid0(VALU_DEP_2)
	v_mul_lo_u32 v46, v35, v40
	v_mul_hi_u32 v48, v35, v40
	v_mul_hi_u32 v50, v36, v42
	v_mul_lo_u32 v42, v36, v42
	v_mul_hi_u32 v52, v36, v40
	v_mul_lo_u32 v40, v36, v40
	v_add_co_u32 v44, vcc_lo, v44, v46
	v_add_co_ci_u32_e32 v46, vcc_lo, 0, v48, vcc_lo
	s_delay_alu instid0(VALU_DEP_2) | instskip(NEXT) | instid1(VALU_DEP_2)
	v_add_co_u32 v42, vcc_lo, v44, v42
	v_add_co_ci_u32_e32 v42, vcc_lo, v46, v50, vcc_lo
	v_add_co_ci_u32_e32 v44, vcc_lo, 0, v52, vcc_lo
	v_ashrrev_i32_e32 v50, 31, v38
	s_delay_alu instid0(VALU_DEP_3) | instskip(NEXT) | instid1(VALU_DEP_3)
	v_add_co_u32 v40, vcc_lo, v42, v40
	v_add_co_ci_u32_e32 v42, vcc_lo, 0, v44, vcc_lo
	s_delay_alu instid0(VALU_DEP_2) | instskip(NEXT) | instid1(VALU_DEP_2)
	v_add_co_u32 v35, vcc_lo, v35, v40
	v_add_co_ci_u32_e32 v36, vcc_lo, v36, v42, vcc_lo
	s_delay_alu instid0(VALU_DEP_2) | instskip(SKIP_1) | instid1(VALU_DEP_3)
	v_mul_hi_u32 v40, s13, v35
	v_mul_lo_u32 v44, s15, v35
	v_mul_lo_u32 v42, s13, v36
	s_delay_alu instid0(VALU_DEP_1) | instskip(SKIP_1) | instid1(VALU_DEP_2)
	v_add_nc_u32_e32 v40, v40, v42
	v_mul_lo_u32 v42, s13, v35
	v_add_nc_u32_e32 v40, v40, v44
	s_delay_alu instid0(VALU_DEP_2) | instskip(NEXT) | instid1(VALU_DEP_2)
	v_mul_hi_u32 v44, v35, v42
	v_mul_lo_u32 v46, v35, v40
	v_mul_hi_u32 v48, v35, v40
	v_mul_hi_u32 v52, v36, v42
	v_mul_lo_u32 v42, v36, v42
	v_mul_hi_u32 v54, v36, v40
	v_mul_lo_u32 v40, v36, v40
	v_add_co_u32 v44, vcc_lo, v44, v46
	v_add_co_ci_u32_e32 v46, vcc_lo, 0, v48, vcc_lo
	s_delay_alu instid0(VALU_DEP_2) | instskip(NEXT) | instid1(VALU_DEP_2)
	v_add_co_u32 v42, vcc_lo, v44, v42
	v_add_co_ci_u32_e32 v42, vcc_lo, v46, v52, vcc_lo
	v_add_co_ci_u32_e32 v44, vcc_lo, 0, v54, vcc_lo
	v_add_co_u32 v46, vcc_lo, v37, v50
	v_add_co_ci_u32_e32 v48, vcc_lo, v38, v50, vcc_lo
	s_delay_alu instid0(VALU_DEP_4) | instskip(NEXT) | instid1(VALU_DEP_4)
	v_add_co_u32 v40, vcc_lo, v42, v40
	v_add_co_ci_u32_e32 v42, vcc_lo, 0, v44, vcc_lo
	s_delay_alu instid0(VALU_DEP_4) | instskip(NEXT) | instid1(VALU_DEP_3)
	v_xor_b32_e32 v44, v46, v50
	v_add_co_u32 v40, vcc_lo, v35, v40
	s_delay_alu instid0(VALU_DEP_3) | instskip(SKIP_1) | instid1(VALU_DEP_3)
	v_add_co_ci_u32_e32 v42, vcc_lo, v36, v42, vcc_lo
	v_xor_b32_e32 v46, v48, v50
	v_mul_hi_u32 v48, v44, v40
	s_delay_alu instid0(VALU_DEP_3) | instskip(NEXT) | instid1(VALU_DEP_3)
	v_mad_u64_u32 v[35:36], null, v44, v42, 0
	v_mad_u64_u32 v[64:65], null, v46, v40, 0
	v_mad_u64_u32 v[66:67], null, v46, v42, 0
	s_delay_alu instid0(VALU_DEP_3) | instskip(NEXT) | instid1(VALU_DEP_4)
	v_add_co_u32 v35, vcc_lo, v48, v35
	v_add_co_ci_u32_e32 v36, vcc_lo, 0, v36, vcc_lo
	s_delay_alu instid0(VALU_DEP_2) | instskip(NEXT) | instid1(VALU_DEP_2)
	v_add_co_u32 v35, vcc_lo, v35, v64
	v_add_co_ci_u32_e32 v35, vcc_lo, v36, v65, vcc_lo
	v_add_co_ci_u32_e32 v36, vcc_lo, 0, v67, vcc_lo
	s_delay_alu instid0(VALU_DEP_2) | instskip(NEXT) | instid1(VALU_DEP_2)
	v_add_co_u32 v40, vcc_lo, v35, v66
	v_add_co_ci_u32_e32 v42, vcc_lo, 0, v36, vcc_lo
	s_delay_alu instid0(VALU_DEP_2) | instskip(SKIP_1) | instid1(VALU_DEP_3)
	v_mul_lo_u32 v48, s17, v40
	v_mad_u64_u32 v[35:36], null, s16, v40, 0
	v_mul_lo_u32 v52, s16, v42
	s_delay_alu instid0(VALU_DEP_2) | instskip(NEXT) | instid1(VALU_DEP_2)
	v_sub_co_u32 v35, vcc_lo, v44, v35
	v_add3_u32 v36, v36, v52, v48
	s_delay_alu instid0(VALU_DEP_1) | instskip(NEXT) | instid1(VALU_DEP_1)
	v_sub_nc_u32_e32 v48, v46, v36
	v_subrev_co_ci_u32_e64 v44, s13, s17, v48, vcc_lo
	v_add_co_u32 v48, s13, v40, 2
	s_delay_alu instid0(VALU_DEP_1) | instskip(SKIP_3) | instid1(VALU_DEP_3)
	v_add_co_ci_u32_e64 v52, s13, 0, v42, s13
	v_sub_co_u32 v54, s13, v35, s16
	v_sub_co_ci_u32_e32 v36, vcc_lo, v46, v36, vcc_lo
	v_subrev_co_ci_u32_e64 v44, s13, 0, v44, s13
	v_cmp_le_u32_e32 vcc_lo, s16, v54
	s_delay_alu instid0(VALU_DEP_3) | instskip(SKIP_1) | instid1(VALU_DEP_4)
	v_cmp_eq_u32_e64 s13, s17, v36
	v_cndmask_b32_e64 v46, 0, -1, vcc_lo
	v_cmp_le_u32_e32 vcc_lo, s17, v44
	v_cndmask_b32_e64 v54, 0, -1, vcc_lo
	v_cmp_le_u32_e32 vcc_lo, s16, v35
	;; [unrolled: 2-line block ×3, first 2 shown]
	v_cndmask_b32_e64 v56, 0, -1, vcc_lo
	v_cmp_eq_u32_e32 vcc_lo, s17, v44
	s_delay_alu instid0(VALU_DEP_2) | instskip(SKIP_3) | instid1(VALU_DEP_3)
	v_cndmask_b32_e64 v35, v56, v35, s13
	v_cndmask_b32_e32 v44, v54, v46, vcc_lo
	v_add_co_u32 v46, vcc_lo, v40, 1
	v_add_co_ci_u32_e32 v54, vcc_lo, 0, v42, vcc_lo
	v_cmp_ne_u32_e32 vcc_lo, 0, v44
	s_delay_alu instid0(VALU_DEP_2) | instskip(NEXT) | instid1(VALU_DEP_4)
	v_cndmask_b32_e32 v36, v54, v52, vcc_lo
	v_cndmask_b32_e32 v44, v46, v48, vcc_lo
	v_cmp_ne_u32_e32 vcc_lo, 0, v35
	v_xor_b32_e32 v46, s14, v50
	s_delay_alu instid0(VALU_DEP_4) | instskip(NEXT) | instid1(VALU_DEP_4)
	v_cndmask_b32_e32 v35, v42, v36, vcc_lo
	v_cndmask_b32_e32 v36, v40, v44, vcc_lo
	s_delay_alu instid0(VALU_DEP_2) | instskip(NEXT) | instid1(VALU_DEP_2)
	v_xor_b32_e32 v40, v35, v46
	v_xor_b32_e32 v36, v36, v46
	s_delay_alu instid0(VALU_DEP_1) | instskip(NEXT) | instid1(VALU_DEP_3)
	v_sub_co_u32 v35, vcc_lo, v36, v46
	v_sub_co_ci_u32_e32 v36, vcc_lo, v40, v46, vcc_lo
.LBB1169_249:
	s_and_not1_saveexec_b32 s13, s21
	s_cbranch_execz .LBB1169_251
; %bb.250:
	v_cvt_f32_u32_e32 v35, s44
	s_sub_i32 s14, 0, s44
	s_delay_alu instid0(VALU_DEP_1) | instskip(SKIP_2) | instid1(VALU_DEP_1)
	v_rcp_iflag_f32_e32 v35, v35
	s_waitcnt_depctr 0xfff
	v_mul_f32_e32 v35, 0x4f7ffffe, v35
	v_cvt_u32_f32_e32 v35, v35
	s_delay_alu instid0(VALU_DEP_1) | instskip(NEXT) | instid1(VALU_DEP_1)
	v_mul_lo_u32 v36, s14, v35
	v_mul_hi_u32 v36, v35, v36
	s_delay_alu instid0(VALU_DEP_1) | instskip(NEXT) | instid1(VALU_DEP_1)
	v_add_nc_u32_e32 v35, v35, v36
	v_mul_hi_u32 v35, v37, v35
	s_delay_alu instid0(VALU_DEP_1) | instskip(SKIP_1) | instid1(VALU_DEP_2)
	v_mul_lo_u32 v36, v35, s44
	v_add_nc_u32_e32 v40, 1, v35
	v_sub_nc_u32_e32 v36, v37, v36
	s_delay_alu instid0(VALU_DEP_1) | instskip(SKIP_1) | instid1(VALU_DEP_2)
	v_subrev_nc_u32_e32 v42, s44, v36
	v_cmp_le_u32_e32 vcc_lo, s44, v36
	v_dual_cndmask_b32 v36, v36, v42 :: v_dual_cndmask_b32 v35, v35, v40
	s_delay_alu instid0(VALU_DEP_1) | instskip(SKIP_1) | instid1(VALU_DEP_3)
	v_cmp_le_u32_e32 vcc_lo, s44, v36
	v_mov_b32_e32 v36, 0
	v_add_nc_u32_e32 v40, 1, v35
	s_delay_alu instid0(VALU_DEP_1)
	v_cndmask_b32_e32 v35, v35, v40, vcc_lo
.LBB1169_251:
	s_or_b32 exec_lo, exec_lo, s13
	s_delay_alu instid0(VALU_DEP_1) | instskip(NEXT) | instid1(VALU_DEP_2)
	v_mul_lo_u32 v40, v36, s44
	v_mul_lo_u32 v42, v35, s45
	v_mad_u64_u32 v[64:65], null, v35, s44, 0
	s_delay_alu instid0(VALU_DEP_1) | instskip(NEXT) | instid1(VALU_DEP_2)
	v_add3_u32 v40, v65, v42, v40
	v_sub_co_u32 v37, vcc_lo, v37, v64
	s_delay_alu instid0(VALU_DEP_2) | instskip(NEXT) | instid1(VALU_DEP_2)
	v_sub_co_ci_u32_e32 v38, vcc_lo, v38, v40, vcc_lo
	v_add_co_u32 v35, vcc_lo, v35, v37
	s_delay_alu instid0(VALU_DEP_2)
	v_add_co_ci_u32_e32 v36, vcc_lo, v36, v38, vcc_lo
	s_or_b32 exec_lo, exec_lo, s20
                                        ; implicit-def: $vgpr37_vgpr38
	s_and_saveexec_b32 s13, s12
	s_cbranch_execz .LBB1169_222
.LBB1169_252:
	v_add_co_u32 v39, s12, s30, v39
	s_delay_alu instid0(VALU_DEP_1) | instskip(SKIP_1) | instid1(VALU_DEP_2)
	v_add_co_ci_u32_e64 v40, null, s31, 0, s12
	v_mov_b32_e32 v37, 0
	v_or_b32_e32 v38, s45, v40
	s_delay_alu instid0(VALU_DEP_1) | instskip(SKIP_1) | instid1(SALU_CYCLE_1)
	v_cmp_ne_u64_e32 vcc_lo, 0, v[37:38]
                                        ; implicit-def: $vgpr37_vgpr38
	s_and_saveexec_b32 s12, vcc_lo
	s_xor_b32 s20, exec_lo, s12
	s_cbranch_execz .LBB1169_254
; %bb.253:
	s_ashr_i32 s14, s45, 31
	s_delay_alu instid0(SALU_CYCLE_1) | instskip(SKIP_2) | instid1(SALU_CYCLE_1)
	s_add_u32 s16, s44, s14
	s_mov_b32 s15, s14
	s_addc_u32 s17, s45, s14
	s_xor_b64 s[16:17], s[16:17], s[14:15]
	s_delay_alu instid0(SALU_CYCLE_1) | instskip(SKIP_3) | instid1(VALU_DEP_1)
	v_cvt_f32_u32_e32 v37, s16
	v_cvt_f32_u32_e32 v38, s17
	s_sub_u32 s12, 0, s16
	s_subb_u32 s15, 0, s17
	v_fmamk_f32 v37, v38, 0x4f800000, v37
	s_delay_alu instid0(VALU_DEP_1) | instskip(SKIP_2) | instid1(VALU_DEP_1)
	v_rcp_f32_e32 v37, v37
	s_waitcnt_depctr 0xfff
	v_mul_f32_e32 v37, 0x5f7ffffc, v37
	v_mul_f32_e32 v38, 0x2f800000, v37
	s_delay_alu instid0(VALU_DEP_1) | instskip(NEXT) | instid1(VALU_DEP_1)
	v_trunc_f32_e32 v38, v38
	v_fmamk_f32 v37, v38, 0xcf800000, v37
	v_cvt_u32_f32_e32 v38, v38
	s_delay_alu instid0(VALU_DEP_2) | instskip(NEXT) | instid1(VALU_DEP_2)
	v_cvt_u32_f32_e32 v37, v37
	v_mul_lo_u32 v42, s12, v38
	s_delay_alu instid0(VALU_DEP_2) | instskip(SKIP_1) | instid1(VALU_DEP_2)
	v_mul_hi_u32 v44, s12, v37
	v_mul_lo_u32 v46, s15, v37
	v_add_nc_u32_e32 v42, v44, v42
	v_mul_lo_u32 v44, s12, v37
	s_delay_alu instid0(VALU_DEP_2) | instskip(NEXT) | instid1(VALU_DEP_2)
	v_add_nc_u32_e32 v42, v42, v46
	v_mul_hi_u32 v46, v37, v44
	s_delay_alu instid0(VALU_DEP_2)
	v_mul_lo_u32 v48, v37, v42
	v_mul_hi_u32 v50, v37, v42
	v_mul_hi_u32 v52, v38, v44
	v_mul_lo_u32 v44, v38, v44
	v_mul_hi_u32 v54, v38, v42
	v_mul_lo_u32 v42, v38, v42
	v_add_co_u32 v46, vcc_lo, v46, v48
	v_add_co_ci_u32_e32 v48, vcc_lo, 0, v50, vcc_lo
	s_delay_alu instid0(VALU_DEP_2) | instskip(NEXT) | instid1(VALU_DEP_2)
	v_add_co_u32 v44, vcc_lo, v46, v44
	v_add_co_ci_u32_e32 v44, vcc_lo, v48, v52, vcc_lo
	v_add_co_ci_u32_e32 v46, vcc_lo, 0, v54, vcc_lo
	v_ashrrev_i32_e32 v52, 31, v40
	s_delay_alu instid0(VALU_DEP_3) | instskip(NEXT) | instid1(VALU_DEP_3)
	v_add_co_u32 v42, vcc_lo, v44, v42
	v_add_co_ci_u32_e32 v44, vcc_lo, 0, v46, vcc_lo
	s_delay_alu instid0(VALU_DEP_2) | instskip(NEXT) | instid1(VALU_DEP_2)
	v_add_co_u32 v37, vcc_lo, v37, v42
	v_add_co_ci_u32_e32 v38, vcc_lo, v38, v44, vcc_lo
	s_delay_alu instid0(VALU_DEP_2) | instskip(SKIP_1) | instid1(VALU_DEP_3)
	v_mul_hi_u32 v42, s12, v37
	v_mul_lo_u32 v46, s15, v37
	v_mul_lo_u32 v44, s12, v38
	s_delay_alu instid0(VALU_DEP_1) | instskip(SKIP_1) | instid1(VALU_DEP_2)
	v_add_nc_u32_e32 v42, v42, v44
	v_mul_lo_u32 v44, s12, v37
	v_add_nc_u32_e32 v42, v42, v46
	s_delay_alu instid0(VALU_DEP_2) | instskip(NEXT) | instid1(VALU_DEP_2)
	v_mul_hi_u32 v46, v37, v44
	v_mul_lo_u32 v48, v37, v42
	v_mul_hi_u32 v50, v37, v42
	v_mul_hi_u32 v54, v38, v44
	v_mul_lo_u32 v44, v38, v44
	v_mul_hi_u32 v56, v38, v42
	v_mul_lo_u32 v42, v38, v42
	v_add_co_u32 v46, vcc_lo, v46, v48
	v_add_co_ci_u32_e32 v48, vcc_lo, 0, v50, vcc_lo
	s_delay_alu instid0(VALU_DEP_2) | instskip(NEXT) | instid1(VALU_DEP_2)
	v_add_co_u32 v44, vcc_lo, v46, v44
	v_add_co_ci_u32_e32 v44, vcc_lo, v48, v54, vcc_lo
	v_add_co_ci_u32_e32 v46, vcc_lo, 0, v56, vcc_lo
	v_add_co_u32 v48, vcc_lo, v39, v52
	v_add_co_ci_u32_e32 v50, vcc_lo, v40, v52, vcc_lo
	s_delay_alu instid0(VALU_DEP_4) | instskip(NEXT) | instid1(VALU_DEP_4)
	v_add_co_u32 v42, vcc_lo, v44, v42
	v_add_co_ci_u32_e32 v44, vcc_lo, 0, v46, vcc_lo
	s_delay_alu instid0(VALU_DEP_4) | instskip(NEXT) | instid1(VALU_DEP_3)
	v_xor_b32_e32 v46, v48, v52
	v_add_co_u32 v42, vcc_lo, v37, v42
	s_delay_alu instid0(VALU_DEP_3) | instskip(SKIP_1) | instid1(VALU_DEP_3)
	v_add_co_ci_u32_e32 v44, vcc_lo, v38, v44, vcc_lo
	v_xor_b32_e32 v48, v50, v52
	v_mul_hi_u32 v50, v46, v42
	s_delay_alu instid0(VALU_DEP_3) | instskip(NEXT) | instid1(VALU_DEP_3)
	v_mad_u64_u32 v[37:38], null, v46, v44, 0
	v_mad_u64_u32 v[64:65], null, v48, v42, 0
	;; [unrolled: 1-line block ×3, first 2 shown]
	s_delay_alu instid0(VALU_DEP_3) | instskip(NEXT) | instid1(VALU_DEP_4)
	v_add_co_u32 v37, vcc_lo, v50, v37
	v_add_co_ci_u32_e32 v38, vcc_lo, 0, v38, vcc_lo
	s_delay_alu instid0(VALU_DEP_2) | instskip(NEXT) | instid1(VALU_DEP_2)
	v_add_co_u32 v37, vcc_lo, v37, v64
	v_add_co_ci_u32_e32 v37, vcc_lo, v38, v65, vcc_lo
	v_add_co_ci_u32_e32 v38, vcc_lo, 0, v67, vcc_lo
	s_delay_alu instid0(VALU_DEP_2) | instskip(NEXT) | instid1(VALU_DEP_2)
	v_add_co_u32 v42, vcc_lo, v37, v66
	v_add_co_ci_u32_e32 v44, vcc_lo, 0, v38, vcc_lo
	s_delay_alu instid0(VALU_DEP_2) | instskip(SKIP_1) | instid1(VALU_DEP_3)
	v_mul_lo_u32 v50, s17, v42
	v_mad_u64_u32 v[37:38], null, s16, v42, 0
	v_mul_lo_u32 v54, s16, v44
	s_delay_alu instid0(VALU_DEP_2) | instskip(NEXT) | instid1(VALU_DEP_2)
	v_sub_co_u32 v37, vcc_lo, v46, v37
	v_add3_u32 v38, v38, v54, v50
	s_delay_alu instid0(VALU_DEP_1) | instskip(NEXT) | instid1(VALU_DEP_1)
	v_sub_nc_u32_e32 v50, v48, v38
	v_subrev_co_ci_u32_e64 v46, s12, s17, v50, vcc_lo
	v_add_co_u32 v50, s12, v42, 2
	s_delay_alu instid0(VALU_DEP_1) | instskip(SKIP_3) | instid1(VALU_DEP_3)
	v_add_co_ci_u32_e64 v54, s12, 0, v44, s12
	v_sub_co_u32 v56, s12, v37, s16
	v_sub_co_ci_u32_e32 v38, vcc_lo, v48, v38, vcc_lo
	v_subrev_co_ci_u32_e64 v46, s12, 0, v46, s12
	v_cmp_le_u32_e32 vcc_lo, s16, v56
	s_delay_alu instid0(VALU_DEP_3) | instskip(SKIP_1) | instid1(VALU_DEP_4)
	v_cmp_eq_u32_e64 s12, s17, v38
	v_cndmask_b32_e64 v48, 0, -1, vcc_lo
	v_cmp_le_u32_e32 vcc_lo, s17, v46
	v_cndmask_b32_e64 v56, 0, -1, vcc_lo
	v_cmp_le_u32_e32 vcc_lo, s16, v37
	;; [unrolled: 2-line block ×3, first 2 shown]
	v_cndmask_b32_e64 v60, 0, -1, vcc_lo
	v_cmp_eq_u32_e32 vcc_lo, s17, v46
	s_delay_alu instid0(VALU_DEP_2) | instskip(SKIP_3) | instid1(VALU_DEP_3)
	v_cndmask_b32_e64 v37, v60, v37, s12
	v_cndmask_b32_e32 v46, v56, v48, vcc_lo
	v_add_co_u32 v48, vcc_lo, v42, 1
	v_add_co_ci_u32_e32 v56, vcc_lo, 0, v44, vcc_lo
	v_cmp_ne_u32_e32 vcc_lo, 0, v46
	s_delay_alu instid0(VALU_DEP_2) | instskip(NEXT) | instid1(VALU_DEP_4)
	v_cndmask_b32_e32 v38, v56, v54, vcc_lo
	v_cndmask_b32_e32 v46, v48, v50, vcc_lo
	v_cmp_ne_u32_e32 vcc_lo, 0, v37
	v_xor_b32_e32 v48, s14, v52
	s_delay_alu instid0(VALU_DEP_4) | instskip(NEXT) | instid1(VALU_DEP_4)
	v_cndmask_b32_e32 v37, v44, v38, vcc_lo
	v_cndmask_b32_e32 v38, v42, v46, vcc_lo
	s_delay_alu instid0(VALU_DEP_2) | instskip(NEXT) | instid1(VALU_DEP_2)
	v_xor_b32_e32 v42, v37, v48
	v_xor_b32_e32 v38, v38, v48
	s_delay_alu instid0(VALU_DEP_1) | instskip(NEXT) | instid1(VALU_DEP_3)
	v_sub_co_u32 v37, vcc_lo, v38, v48
	v_sub_co_ci_u32_e32 v38, vcc_lo, v42, v48, vcc_lo
.LBB1169_254:
	s_and_not1_saveexec_b32 s12, s20
	s_cbranch_execz .LBB1169_256
; %bb.255:
	v_cvt_f32_u32_e32 v37, s44
	s_sub_i32 s14, 0, s44
	s_delay_alu instid0(VALU_DEP_1) | instskip(SKIP_2) | instid1(VALU_DEP_1)
	v_rcp_iflag_f32_e32 v37, v37
	s_waitcnt_depctr 0xfff
	v_mul_f32_e32 v37, 0x4f7ffffe, v37
	v_cvt_u32_f32_e32 v37, v37
	s_delay_alu instid0(VALU_DEP_1) | instskip(NEXT) | instid1(VALU_DEP_1)
	v_mul_lo_u32 v38, s14, v37
	v_mul_hi_u32 v38, v37, v38
	s_delay_alu instid0(VALU_DEP_1) | instskip(NEXT) | instid1(VALU_DEP_1)
	v_add_nc_u32_e32 v37, v37, v38
	v_mul_hi_u32 v37, v39, v37
	s_delay_alu instid0(VALU_DEP_1) | instskip(SKIP_1) | instid1(VALU_DEP_2)
	v_mul_lo_u32 v38, v37, s44
	v_add_nc_u32_e32 v42, 1, v37
	v_sub_nc_u32_e32 v38, v39, v38
	s_delay_alu instid0(VALU_DEP_1) | instskip(SKIP_1) | instid1(VALU_DEP_2)
	v_subrev_nc_u32_e32 v44, s44, v38
	v_cmp_le_u32_e32 vcc_lo, s44, v38
	v_dual_cndmask_b32 v38, v38, v44 :: v_dual_cndmask_b32 v37, v37, v42
	s_delay_alu instid0(VALU_DEP_1) | instskip(SKIP_1) | instid1(VALU_DEP_3)
	v_cmp_le_u32_e32 vcc_lo, s44, v38
	v_mov_b32_e32 v38, 0
	v_add_nc_u32_e32 v42, 1, v37
	s_delay_alu instid0(VALU_DEP_1)
	v_cndmask_b32_e32 v37, v37, v42, vcc_lo
.LBB1169_256:
	s_or_b32 exec_lo, exec_lo, s12
	s_delay_alu instid0(VALU_DEP_1) | instskip(NEXT) | instid1(VALU_DEP_2)
	v_mul_lo_u32 v42, v38, s44
	v_mul_lo_u32 v44, v37, s45
	v_mad_u64_u32 v[64:65], null, v37, s44, 0
	s_delay_alu instid0(VALU_DEP_1) | instskip(NEXT) | instid1(VALU_DEP_2)
	v_add3_u32 v42, v65, v44, v42
	v_sub_co_u32 v39, vcc_lo, v39, v64
	s_delay_alu instid0(VALU_DEP_2) | instskip(NEXT) | instid1(VALU_DEP_2)
	v_sub_co_ci_u32_e32 v40, vcc_lo, v40, v42, vcc_lo
	v_add_co_u32 v37, vcc_lo, v37, v39
	s_delay_alu instid0(VALU_DEP_2)
	v_add_co_ci_u32_e32 v38, vcc_lo, v38, v40, vcc_lo
	s_or_b32 exec_lo, exec_lo, s13
                                        ; implicit-def: $vgpr39_vgpr40
	s_and_saveexec_b32 s16, s11
	s_cbranch_execz .LBB1169_223
.LBB1169_257:
	v_add_co_u32 v41, s11, s30, v41
	s_delay_alu instid0(VALU_DEP_1) | instskip(SKIP_1) | instid1(VALU_DEP_2)
	v_add_co_ci_u32_e64 v42, null, s31, 0, s11
	v_mov_b32_e32 v39, 0
	v_or_b32_e32 v40, s45, v42
	s_delay_alu instid0(VALU_DEP_1) | instskip(SKIP_1) | instid1(SALU_CYCLE_1)
	v_cmp_ne_u64_e32 vcc_lo, 0, v[39:40]
                                        ; implicit-def: $vgpr39_vgpr40
	s_and_saveexec_b32 s11, vcc_lo
	s_xor_b32 s17, exec_lo, s11
	s_cbranch_execz .LBB1169_259
; %bb.258:
	s_ashr_i32 s12, s45, 31
	s_delay_alu instid0(SALU_CYCLE_1) | instskip(SKIP_2) | instid1(SALU_CYCLE_1)
	s_add_u32 s14, s44, s12
	s_mov_b32 s13, s12
	s_addc_u32 s15, s45, s12
	s_xor_b64 s[14:15], s[14:15], s[12:13]
	s_delay_alu instid0(SALU_CYCLE_1) | instskip(SKIP_3) | instid1(VALU_DEP_1)
	v_cvt_f32_u32_e32 v39, s14
	v_cvt_f32_u32_e32 v40, s15
	s_sub_u32 s11, 0, s14
	s_subb_u32 s13, 0, s15
	v_fmamk_f32 v39, v40, 0x4f800000, v39
	s_delay_alu instid0(VALU_DEP_1) | instskip(SKIP_2) | instid1(VALU_DEP_1)
	v_rcp_f32_e32 v39, v39
	s_waitcnt_depctr 0xfff
	v_mul_f32_e32 v39, 0x5f7ffffc, v39
	v_mul_f32_e32 v40, 0x2f800000, v39
	s_delay_alu instid0(VALU_DEP_1) | instskip(NEXT) | instid1(VALU_DEP_1)
	v_trunc_f32_e32 v40, v40
	v_fmamk_f32 v39, v40, 0xcf800000, v39
	v_cvt_u32_f32_e32 v40, v40
	s_delay_alu instid0(VALU_DEP_2) | instskip(NEXT) | instid1(VALU_DEP_2)
	v_cvt_u32_f32_e32 v39, v39
	v_mul_lo_u32 v44, s11, v40
	s_delay_alu instid0(VALU_DEP_2) | instskip(SKIP_1) | instid1(VALU_DEP_2)
	v_mul_hi_u32 v46, s11, v39
	v_mul_lo_u32 v48, s13, v39
	v_add_nc_u32_e32 v44, v46, v44
	v_mul_lo_u32 v46, s11, v39
	s_delay_alu instid0(VALU_DEP_2) | instskip(NEXT) | instid1(VALU_DEP_2)
	v_add_nc_u32_e32 v44, v44, v48
	v_mul_hi_u32 v48, v39, v46
	s_delay_alu instid0(VALU_DEP_2)
	v_mul_lo_u32 v50, v39, v44
	v_mul_hi_u32 v52, v39, v44
	v_mul_hi_u32 v54, v40, v46
	v_mul_lo_u32 v46, v40, v46
	v_mul_hi_u32 v56, v40, v44
	v_mul_lo_u32 v44, v40, v44
	v_add_co_u32 v48, vcc_lo, v48, v50
	v_add_co_ci_u32_e32 v50, vcc_lo, 0, v52, vcc_lo
	s_delay_alu instid0(VALU_DEP_2) | instskip(NEXT) | instid1(VALU_DEP_2)
	v_add_co_u32 v46, vcc_lo, v48, v46
	v_add_co_ci_u32_e32 v46, vcc_lo, v50, v54, vcc_lo
	v_add_co_ci_u32_e32 v48, vcc_lo, 0, v56, vcc_lo
	v_ashrrev_i32_e32 v54, 31, v42
	s_delay_alu instid0(VALU_DEP_3) | instskip(NEXT) | instid1(VALU_DEP_3)
	v_add_co_u32 v44, vcc_lo, v46, v44
	v_add_co_ci_u32_e32 v46, vcc_lo, 0, v48, vcc_lo
	s_delay_alu instid0(VALU_DEP_2) | instskip(NEXT) | instid1(VALU_DEP_2)
	v_add_co_u32 v39, vcc_lo, v39, v44
	v_add_co_ci_u32_e32 v40, vcc_lo, v40, v46, vcc_lo
	s_delay_alu instid0(VALU_DEP_2) | instskip(SKIP_1) | instid1(VALU_DEP_3)
	v_mul_hi_u32 v44, s11, v39
	v_mul_lo_u32 v48, s13, v39
	v_mul_lo_u32 v46, s11, v40
	s_delay_alu instid0(VALU_DEP_1) | instskip(SKIP_1) | instid1(VALU_DEP_2)
	v_add_nc_u32_e32 v44, v44, v46
	v_mul_lo_u32 v46, s11, v39
	v_add_nc_u32_e32 v44, v44, v48
	s_delay_alu instid0(VALU_DEP_2) | instskip(NEXT) | instid1(VALU_DEP_2)
	v_mul_hi_u32 v48, v39, v46
	v_mul_lo_u32 v50, v39, v44
	v_mul_hi_u32 v52, v39, v44
	v_mul_hi_u32 v56, v40, v46
	v_mul_lo_u32 v46, v40, v46
	v_mul_hi_u32 v60, v40, v44
	v_mul_lo_u32 v44, v40, v44
	v_add_co_u32 v48, vcc_lo, v48, v50
	v_add_co_ci_u32_e32 v50, vcc_lo, 0, v52, vcc_lo
	s_delay_alu instid0(VALU_DEP_2) | instskip(NEXT) | instid1(VALU_DEP_2)
	v_add_co_u32 v46, vcc_lo, v48, v46
	v_add_co_ci_u32_e32 v46, vcc_lo, v50, v56, vcc_lo
	v_add_co_ci_u32_e32 v48, vcc_lo, 0, v60, vcc_lo
	v_add_co_u32 v50, vcc_lo, v41, v54
	v_add_co_ci_u32_e32 v52, vcc_lo, v42, v54, vcc_lo
	s_delay_alu instid0(VALU_DEP_4) | instskip(NEXT) | instid1(VALU_DEP_4)
	v_add_co_u32 v44, vcc_lo, v46, v44
	v_add_co_ci_u32_e32 v46, vcc_lo, 0, v48, vcc_lo
	s_delay_alu instid0(VALU_DEP_4) | instskip(NEXT) | instid1(VALU_DEP_3)
	v_xor_b32_e32 v48, v50, v54
	v_add_co_u32 v44, vcc_lo, v39, v44
	s_delay_alu instid0(VALU_DEP_3) | instskip(SKIP_1) | instid1(VALU_DEP_3)
	v_add_co_ci_u32_e32 v46, vcc_lo, v40, v46, vcc_lo
	v_xor_b32_e32 v50, v52, v54
	v_mul_hi_u32 v52, v48, v44
	s_delay_alu instid0(VALU_DEP_3) | instskip(NEXT) | instid1(VALU_DEP_3)
	v_mad_u64_u32 v[39:40], null, v48, v46, 0
	v_mad_u64_u32 v[64:65], null, v50, v44, 0
	;; [unrolled: 1-line block ×3, first 2 shown]
	s_delay_alu instid0(VALU_DEP_3) | instskip(NEXT) | instid1(VALU_DEP_4)
	v_add_co_u32 v39, vcc_lo, v52, v39
	v_add_co_ci_u32_e32 v40, vcc_lo, 0, v40, vcc_lo
	s_delay_alu instid0(VALU_DEP_2) | instskip(NEXT) | instid1(VALU_DEP_2)
	v_add_co_u32 v39, vcc_lo, v39, v64
	v_add_co_ci_u32_e32 v39, vcc_lo, v40, v65, vcc_lo
	v_add_co_ci_u32_e32 v40, vcc_lo, 0, v67, vcc_lo
	s_delay_alu instid0(VALU_DEP_2) | instskip(NEXT) | instid1(VALU_DEP_2)
	v_add_co_u32 v44, vcc_lo, v39, v66
	v_add_co_ci_u32_e32 v46, vcc_lo, 0, v40, vcc_lo
	s_delay_alu instid0(VALU_DEP_2) | instskip(SKIP_1) | instid1(VALU_DEP_3)
	v_mul_lo_u32 v52, s15, v44
	v_mad_u64_u32 v[39:40], null, s14, v44, 0
	v_mul_lo_u32 v56, s14, v46
	s_delay_alu instid0(VALU_DEP_2) | instskip(NEXT) | instid1(VALU_DEP_2)
	v_sub_co_u32 v39, vcc_lo, v48, v39
	v_add3_u32 v40, v40, v56, v52
	s_delay_alu instid0(VALU_DEP_1) | instskip(NEXT) | instid1(VALU_DEP_1)
	v_sub_nc_u32_e32 v52, v50, v40
	v_subrev_co_ci_u32_e64 v48, s11, s15, v52, vcc_lo
	v_add_co_u32 v52, s11, v44, 2
	s_delay_alu instid0(VALU_DEP_1) | instskip(SKIP_3) | instid1(VALU_DEP_3)
	v_add_co_ci_u32_e64 v56, s11, 0, v46, s11
	v_sub_co_u32 v60, s11, v39, s14
	v_sub_co_ci_u32_e32 v40, vcc_lo, v50, v40, vcc_lo
	v_subrev_co_ci_u32_e64 v48, s11, 0, v48, s11
	v_cmp_le_u32_e32 vcc_lo, s14, v60
	s_delay_alu instid0(VALU_DEP_3) | instskip(SKIP_1) | instid1(VALU_DEP_4)
	v_cmp_eq_u32_e64 s11, s15, v40
	v_cndmask_b32_e64 v50, 0, -1, vcc_lo
	v_cmp_le_u32_e32 vcc_lo, s15, v48
	v_cndmask_b32_e64 v60, 0, -1, vcc_lo
	v_cmp_le_u32_e32 vcc_lo, s14, v39
	;; [unrolled: 2-line block ×3, first 2 shown]
	v_cndmask_b32_e64 v64, 0, -1, vcc_lo
	v_cmp_eq_u32_e32 vcc_lo, s15, v48
	s_delay_alu instid0(VALU_DEP_2) | instskip(SKIP_3) | instid1(VALU_DEP_3)
	v_cndmask_b32_e64 v39, v64, v39, s11
	v_cndmask_b32_e32 v48, v60, v50, vcc_lo
	v_add_co_u32 v50, vcc_lo, v44, 1
	v_add_co_ci_u32_e32 v60, vcc_lo, 0, v46, vcc_lo
	v_cmp_ne_u32_e32 vcc_lo, 0, v48
	s_delay_alu instid0(VALU_DEP_2) | instskip(NEXT) | instid1(VALU_DEP_4)
	v_cndmask_b32_e32 v40, v60, v56, vcc_lo
	v_cndmask_b32_e32 v48, v50, v52, vcc_lo
	v_cmp_ne_u32_e32 vcc_lo, 0, v39
	v_xor_b32_e32 v50, s12, v54
	s_delay_alu instid0(VALU_DEP_4) | instskip(NEXT) | instid1(VALU_DEP_4)
	v_cndmask_b32_e32 v39, v46, v40, vcc_lo
	v_cndmask_b32_e32 v40, v44, v48, vcc_lo
	s_delay_alu instid0(VALU_DEP_2) | instskip(NEXT) | instid1(VALU_DEP_2)
	v_xor_b32_e32 v44, v39, v50
	v_xor_b32_e32 v40, v40, v50
	s_delay_alu instid0(VALU_DEP_1) | instskip(NEXT) | instid1(VALU_DEP_3)
	v_sub_co_u32 v39, vcc_lo, v40, v50
	v_sub_co_ci_u32_e32 v40, vcc_lo, v44, v50, vcc_lo
.LBB1169_259:
	s_and_not1_saveexec_b32 s11, s17
	s_cbranch_execz .LBB1169_261
; %bb.260:
	v_cvt_f32_u32_e32 v39, s44
	s_sub_i32 s12, 0, s44
	s_delay_alu instid0(VALU_DEP_1) | instskip(SKIP_2) | instid1(VALU_DEP_1)
	v_rcp_iflag_f32_e32 v39, v39
	s_waitcnt_depctr 0xfff
	v_mul_f32_e32 v39, 0x4f7ffffe, v39
	v_cvt_u32_f32_e32 v39, v39
	s_delay_alu instid0(VALU_DEP_1) | instskip(NEXT) | instid1(VALU_DEP_1)
	v_mul_lo_u32 v40, s12, v39
	v_mul_hi_u32 v40, v39, v40
	s_delay_alu instid0(VALU_DEP_1) | instskip(NEXT) | instid1(VALU_DEP_1)
	v_add_nc_u32_e32 v39, v39, v40
	v_mul_hi_u32 v39, v41, v39
	s_delay_alu instid0(VALU_DEP_1) | instskip(SKIP_1) | instid1(VALU_DEP_2)
	v_mul_lo_u32 v40, v39, s44
	v_add_nc_u32_e32 v44, 1, v39
	v_sub_nc_u32_e32 v40, v41, v40
	s_delay_alu instid0(VALU_DEP_1) | instskip(SKIP_1) | instid1(VALU_DEP_2)
	v_subrev_nc_u32_e32 v46, s44, v40
	v_cmp_le_u32_e32 vcc_lo, s44, v40
	v_dual_cndmask_b32 v40, v40, v46 :: v_dual_cndmask_b32 v39, v39, v44
	s_delay_alu instid0(VALU_DEP_1) | instskip(SKIP_1) | instid1(VALU_DEP_3)
	v_cmp_le_u32_e32 vcc_lo, s44, v40
	v_mov_b32_e32 v40, 0
	v_add_nc_u32_e32 v44, 1, v39
	s_delay_alu instid0(VALU_DEP_1)
	v_cndmask_b32_e32 v39, v39, v44, vcc_lo
.LBB1169_261:
	s_or_b32 exec_lo, exec_lo, s11
	s_delay_alu instid0(VALU_DEP_1) | instskip(NEXT) | instid1(VALU_DEP_2)
	v_mul_lo_u32 v44, v40, s44
	v_mul_lo_u32 v46, v39, s45
	v_mad_u64_u32 v[64:65], null, v39, s44, 0
	s_delay_alu instid0(VALU_DEP_1) | instskip(NEXT) | instid1(VALU_DEP_2)
	v_add3_u32 v44, v65, v46, v44
	v_sub_co_u32 v41, vcc_lo, v41, v64
	s_delay_alu instid0(VALU_DEP_2) | instskip(NEXT) | instid1(VALU_DEP_2)
	v_sub_co_ci_u32_e32 v42, vcc_lo, v42, v44, vcc_lo
	v_add_co_u32 v39, vcc_lo, v39, v41
	s_delay_alu instid0(VALU_DEP_2)
	v_add_co_ci_u32_e32 v40, vcc_lo, v40, v42, vcc_lo
	s_or_b32 exec_lo, exec_lo, s16
                                        ; implicit-def: $vgpr41_vgpr42
	s_and_saveexec_b32 s11, s10
	s_cbranch_execz .LBB1169_224
.LBB1169_262:
	v_add_co_u32 v43, s10, s30, v43
	s_delay_alu instid0(VALU_DEP_1) | instskip(SKIP_1) | instid1(VALU_DEP_2)
	v_add_co_ci_u32_e64 v44, null, s31, 0, s10
	v_mov_b32_e32 v41, 0
	v_or_b32_e32 v42, s45, v44
	s_delay_alu instid0(VALU_DEP_1) | instskip(SKIP_1) | instid1(SALU_CYCLE_1)
	v_cmp_ne_u64_e32 vcc_lo, 0, v[41:42]
                                        ; implicit-def: $vgpr41_vgpr42
	s_and_saveexec_b32 s10, vcc_lo
	s_xor_b32 s16, exec_lo, s10
	s_cbranch_execz .LBB1169_264
; %bb.263:
	s_ashr_i32 s12, s45, 31
	s_delay_alu instid0(SALU_CYCLE_1) | instskip(SKIP_2) | instid1(SALU_CYCLE_1)
	s_add_u32 s14, s44, s12
	s_mov_b32 s13, s12
	s_addc_u32 s15, s45, s12
	s_xor_b64 s[14:15], s[14:15], s[12:13]
	s_delay_alu instid0(SALU_CYCLE_1) | instskip(SKIP_3) | instid1(VALU_DEP_1)
	v_cvt_f32_u32_e32 v41, s14
	v_cvt_f32_u32_e32 v42, s15
	s_sub_u32 s10, 0, s14
	s_subb_u32 s13, 0, s15
	v_fmamk_f32 v41, v42, 0x4f800000, v41
	s_delay_alu instid0(VALU_DEP_1) | instskip(SKIP_2) | instid1(VALU_DEP_1)
	v_rcp_f32_e32 v41, v41
	s_waitcnt_depctr 0xfff
	v_mul_f32_e32 v41, 0x5f7ffffc, v41
	v_mul_f32_e32 v42, 0x2f800000, v41
	s_delay_alu instid0(VALU_DEP_1) | instskip(NEXT) | instid1(VALU_DEP_1)
	v_trunc_f32_e32 v42, v42
	v_fmamk_f32 v41, v42, 0xcf800000, v41
	v_cvt_u32_f32_e32 v42, v42
	s_delay_alu instid0(VALU_DEP_2) | instskip(NEXT) | instid1(VALU_DEP_2)
	v_cvt_u32_f32_e32 v41, v41
	v_mul_lo_u32 v46, s10, v42
	s_delay_alu instid0(VALU_DEP_2) | instskip(SKIP_1) | instid1(VALU_DEP_2)
	v_mul_hi_u32 v48, s10, v41
	v_mul_lo_u32 v50, s13, v41
	v_add_nc_u32_e32 v46, v48, v46
	v_mul_lo_u32 v48, s10, v41
	s_delay_alu instid0(VALU_DEP_2) | instskip(NEXT) | instid1(VALU_DEP_2)
	v_add_nc_u32_e32 v46, v46, v50
	v_mul_hi_u32 v50, v41, v48
	s_delay_alu instid0(VALU_DEP_2)
	v_mul_lo_u32 v52, v41, v46
	v_mul_hi_u32 v54, v41, v46
	v_mul_hi_u32 v56, v42, v48
	v_mul_lo_u32 v48, v42, v48
	v_mul_hi_u32 v60, v42, v46
	v_mul_lo_u32 v46, v42, v46
	v_add_co_u32 v50, vcc_lo, v50, v52
	v_add_co_ci_u32_e32 v52, vcc_lo, 0, v54, vcc_lo
	s_delay_alu instid0(VALU_DEP_2) | instskip(NEXT) | instid1(VALU_DEP_2)
	v_add_co_u32 v48, vcc_lo, v50, v48
	v_add_co_ci_u32_e32 v48, vcc_lo, v52, v56, vcc_lo
	v_add_co_ci_u32_e32 v50, vcc_lo, 0, v60, vcc_lo
	v_ashrrev_i32_e32 v56, 31, v44
	s_delay_alu instid0(VALU_DEP_3) | instskip(NEXT) | instid1(VALU_DEP_3)
	v_add_co_u32 v46, vcc_lo, v48, v46
	v_add_co_ci_u32_e32 v48, vcc_lo, 0, v50, vcc_lo
	s_delay_alu instid0(VALU_DEP_2) | instskip(NEXT) | instid1(VALU_DEP_2)
	v_add_co_u32 v41, vcc_lo, v41, v46
	v_add_co_ci_u32_e32 v42, vcc_lo, v42, v48, vcc_lo
	s_delay_alu instid0(VALU_DEP_2) | instskip(SKIP_1) | instid1(VALU_DEP_3)
	v_mul_hi_u32 v46, s10, v41
	v_mul_lo_u32 v50, s13, v41
	v_mul_lo_u32 v48, s10, v42
	s_delay_alu instid0(VALU_DEP_1) | instskip(SKIP_1) | instid1(VALU_DEP_2)
	v_add_nc_u32_e32 v46, v46, v48
	v_mul_lo_u32 v48, s10, v41
	v_add_nc_u32_e32 v46, v46, v50
	s_delay_alu instid0(VALU_DEP_2) | instskip(NEXT) | instid1(VALU_DEP_2)
	v_mul_hi_u32 v50, v41, v48
	v_mul_lo_u32 v52, v41, v46
	v_mul_hi_u32 v54, v41, v46
	v_mul_hi_u32 v60, v42, v48
	v_mul_lo_u32 v48, v42, v48
	v_mul_hi_u32 v64, v42, v46
	v_mul_lo_u32 v46, v42, v46
	v_add_co_u32 v50, vcc_lo, v50, v52
	v_add_co_ci_u32_e32 v52, vcc_lo, 0, v54, vcc_lo
	s_delay_alu instid0(VALU_DEP_2) | instskip(NEXT) | instid1(VALU_DEP_2)
	v_add_co_u32 v48, vcc_lo, v50, v48
	v_add_co_ci_u32_e32 v48, vcc_lo, v52, v60, vcc_lo
	v_add_co_ci_u32_e32 v50, vcc_lo, 0, v64, vcc_lo
	v_add_co_u32 v52, vcc_lo, v43, v56
	v_add_co_ci_u32_e32 v54, vcc_lo, v44, v56, vcc_lo
	s_delay_alu instid0(VALU_DEP_4) | instskip(NEXT) | instid1(VALU_DEP_4)
	v_add_co_u32 v46, vcc_lo, v48, v46
	v_add_co_ci_u32_e32 v48, vcc_lo, 0, v50, vcc_lo
	s_delay_alu instid0(VALU_DEP_4) | instskip(NEXT) | instid1(VALU_DEP_3)
	v_xor_b32_e32 v50, v52, v56
	v_add_co_u32 v46, vcc_lo, v41, v46
	s_delay_alu instid0(VALU_DEP_3) | instskip(SKIP_1) | instid1(VALU_DEP_3)
	v_add_co_ci_u32_e32 v48, vcc_lo, v42, v48, vcc_lo
	v_xor_b32_e32 v52, v54, v56
	v_mul_hi_u32 v54, v50, v46
	s_delay_alu instid0(VALU_DEP_3) | instskip(NEXT) | instid1(VALU_DEP_3)
	v_mad_u64_u32 v[41:42], null, v50, v48, 0
	v_mad_u64_u32 v[64:65], null, v52, v46, 0
	;; [unrolled: 1-line block ×3, first 2 shown]
	s_delay_alu instid0(VALU_DEP_3) | instskip(NEXT) | instid1(VALU_DEP_4)
	v_add_co_u32 v41, vcc_lo, v54, v41
	v_add_co_ci_u32_e32 v42, vcc_lo, 0, v42, vcc_lo
	s_delay_alu instid0(VALU_DEP_2) | instskip(NEXT) | instid1(VALU_DEP_2)
	v_add_co_u32 v41, vcc_lo, v41, v64
	v_add_co_ci_u32_e32 v41, vcc_lo, v42, v65, vcc_lo
	v_add_co_ci_u32_e32 v42, vcc_lo, 0, v67, vcc_lo
	s_delay_alu instid0(VALU_DEP_2) | instskip(NEXT) | instid1(VALU_DEP_2)
	v_add_co_u32 v46, vcc_lo, v41, v66
	v_add_co_ci_u32_e32 v48, vcc_lo, 0, v42, vcc_lo
	s_delay_alu instid0(VALU_DEP_2) | instskip(SKIP_1) | instid1(VALU_DEP_3)
	v_mul_lo_u32 v54, s15, v46
	v_mad_u64_u32 v[41:42], null, s14, v46, 0
	v_mul_lo_u32 v60, s14, v48
	s_delay_alu instid0(VALU_DEP_2) | instskip(NEXT) | instid1(VALU_DEP_2)
	v_sub_co_u32 v41, vcc_lo, v50, v41
	v_add3_u32 v42, v42, v60, v54
	s_delay_alu instid0(VALU_DEP_1) | instskip(NEXT) | instid1(VALU_DEP_1)
	v_sub_nc_u32_e32 v54, v52, v42
	v_subrev_co_ci_u32_e64 v50, s10, s15, v54, vcc_lo
	v_add_co_u32 v54, s10, v46, 2
	s_delay_alu instid0(VALU_DEP_1) | instskip(SKIP_3) | instid1(VALU_DEP_3)
	v_add_co_ci_u32_e64 v60, s10, 0, v48, s10
	v_sub_co_u32 v64, s10, v41, s14
	v_sub_co_ci_u32_e32 v42, vcc_lo, v52, v42, vcc_lo
	v_subrev_co_ci_u32_e64 v50, s10, 0, v50, s10
	v_cmp_le_u32_e32 vcc_lo, s14, v64
	s_delay_alu instid0(VALU_DEP_3) | instskip(SKIP_1) | instid1(VALU_DEP_4)
	v_cmp_eq_u32_e64 s10, s15, v42
	v_cndmask_b32_e64 v52, 0, -1, vcc_lo
	v_cmp_le_u32_e32 vcc_lo, s15, v50
	v_cndmask_b32_e64 v64, 0, -1, vcc_lo
	v_cmp_le_u32_e32 vcc_lo, s14, v41
	;; [unrolled: 2-line block ×3, first 2 shown]
	v_cndmask_b32_e64 v65, 0, -1, vcc_lo
	v_cmp_eq_u32_e32 vcc_lo, s15, v50
	s_delay_alu instid0(VALU_DEP_2) | instskip(SKIP_3) | instid1(VALU_DEP_3)
	v_cndmask_b32_e64 v41, v65, v41, s10
	v_cndmask_b32_e32 v50, v64, v52, vcc_lo
	v_add_co_u32 v52, vcc_lo, v46, 1
	v_add_co_ci_u32_e32 v64, vcc_lo, 0, v48, vcc_lo
	v_cmp_ne_u32_e32 vcc_lo, 0, v50
	s_delay_alu instid0(VALU_DEP_2) | instskip(NEXT) | instid1(VALU_DEP_4)
	v_cndmask_b32_e32 v42, v64, v60, vcc_lo
	v_cndmask_b32_e32 v50, v52, v54, vcc_lo
	v_cmp_ne_u32_e32 vcc_lo, 0, v41
	v_xor_b32_e32 v52, s12, v56
	s_delay_alu instid0(VALU_DEP_4) | instskip(NEXT) | instid1(VALU_DEP_4)
	v_cndmask_b32_e32 v41, v48, v42, vcc_lo
	v_cndmask_b32_e32 v42, v46, v50, vcc_lo
	s_delay_alu instid0(VALU_DEP_2) | instskip(NEXT) | instid1(VALU_DEP_2)
	v_xor_b32_e32 v46, v41, v52
	v_xor_b32_e32 v42, v42, v52
	s_delay_alu instid0(VALU_DEP_1) | instskip(NEXT) | instid1(VALU_DEP_3)
	v_sub_co_u32 v41, vcc_lo, v42, v52
	v_sub_co_ci_u32_e32 v42, vcc_lo, v46, v52, vcc_lo
.LBB1169_264:
	s_and_not1_saveexec_b32 s10, s16
	s_cbranch_execz .LBB1169_266
; %bb.265:
	v_cvt_f32_u32_e32 v41, s44
	s_sub_i32 s12, 0, s44
	s_delay_alu instid0(VALU_DEP_1) | instskip(SKIP_2) | instid1(VALU_DEP_1)
	v_rcp_iflag_f32_e32 v41, v41
	s_waitcnt_depctr 0xfff
	v_mul_f32_e32 v41, 0x4f7ffffe, v41
	v_cvt_u32_f32_e32 v41, v41
	s_delay_alu instid0(VALU_DEP_1) | instskip(NEXT) | instid1(VALU_DEP_1)
	v_mul_lo_u32 v42, s12, v41
	v_mul_hi_u32 v42, v41, v42
	s_delay_alu instid0(VALU_DEP_1) | instskip(NEXT) | instid1(VALU_DEP_1)
	v_add_nc_u32_e32 v41, v41, v42
	v_mul_hi_u32 v41, v43, v41
	s_delay_alu instid0(VALU_DEP_1) | instskip(SKIP_1) | instid1(VALU_DEP_2)
	v_mul_lo_u32 v42, v41, s44
	v_add_nc_u32_e32 v46, 1, v41
	v_sub_nc_u32_e32 v42, v43, v42
	s_delay_alu instid0(VALU_DEP_1) | instskip(SKIP_1) | instid1(VALU_DEP_2)
	v_subrev_nc_u32_e32 v48, s44, v42
	v_cmp_le_u32_e32 vcc_lo, s44, v42
	v_dual_cndmask_b32 v42, v42, v48 :: v_dual_cndmask_b32 v41, v41, v46
	s_delay_alu instid0(VALU_DEP_1) | instskip(SKIP_1) | instid1(VALU_DEP_3)
	v_cmp_le_u32_e32 vcc_lo, s44, v42
	v_mov_b32_e32 v42, 0
	v_add_nc_u32_e32 v46, 1, v41
	s_delay_alu instid0(VALU_DEP_1)
	v_cndmask_b32_e32 v41, v41, v46, vcc_lo
.LBB1169_266:
	s_or_b32 exec_lo, exec_lo, s10
	s_delay_alu instid0(VALU_DEP_1) | instskip(NEXT) | instid1(VALU_DEP_2)
	v_mul_lo_u32 v46, v42, s44
	v_mul_lo_u32 v48, v41, s45
	v_mad_u64_u32 v[64:65], null, v41, s44, 0
	s_delay_alu instid0(VALU_DEP_1) | instskip(NEXT) | instid1(VALU_DEP_2)
	v_add3_u32 v46, v65, v48, v46
	v_sub_co_u32 v43, vcc_lo, v43, v64
	s_delay_alu instid0(VALU_DEP_2) | instskip(NEXT) | instid1(VALU_DEP_2)
	v_sub_co_ci_u32_e32 v44, vcc_lo, v44, v46, vcc_lo
	v_add_co_u32 v41, vcc_lo, v41, v43
	s_delay_alu instid0(VALU_DEP_2)
	v_add_co_ci_u32_e32 v42, vcc_lo, v42, v44, vcc_lo
	s_or_b32 exec_lo, exec_lo, s11
                                        ; implicit-def: $vgpr43_vgpr44
	s_and_saveexec_b32 s14, s9
	s_cbranch_execz .LBB1169_225
.LBB1169_267:
	v_add_co_u32 v45, s9, s30, v45
	s_delay_alu instid0(VALU_DEP_1) | instskip(SKIP_1) | instid1(VALU_DEP_2)
	v_add_co_ci_u32_e64 v46, null, s31, 0, s9
	v_mov_b32_e32 v43, 0
	v_or_b32_e32 v44, s45, v46
	s_delay_alu instid0(VALU_DEP_1) | instskip(SKIP_1) | instid1(SALU_CYCLE_1)
	v_cmp_ne_u64_e32 vcc_lo, 0, v[43:44]
                                        ; implicit-def: $vgpr43_vgpr44
	s_and_saveexec_b32 s9, vcc_lo
	s_xor_b32 s15, exec_lo, s9
	s_cbranch_execz .LBB1169_269
; %bb.268:
	s_ashr_i32 s10, s45, 31
	s_delay_alu instid0(SALU_CYCLE_1) | instskip(SKIP_2) | instid1(SALU_CYCLE_1)
	s_add_u32 s12, s44, s10
	s_mov_b32 s11, s10
	s_addc_u32 s13, s45, s10
	s_xor_b64 s[12:13], s[12:13], s[10:11]
	s_delay_alu instid0(SALU_CYCLE_1) | instskip(SKIP_3) | instid1(VALU_DEP_1)
	v_cvt_f32_u32_e32 v43, s12
	v_cvt_f32_u32_e32 v44, s13
	s_sub_u32 s9, 0, s12
	s_subb_u32 s11, 0, s13
	v_fmamk_f32 v43, v44, 0x4f800000, v43
	s_delay_alu instid0(VALU_DEP_1) | instskip(SKIP_2) | instid1(VALU_DEP_1)
	v_rcp_f32_e32 v43, v43
	s_waitcnt_depctr 0xfff
	v_mul_f32_e32 v43, 0x5f7ffffc, v43
	v_mul_f32_e32 v44, 0x2f800000, v43
	s_delay_alu instid0(VALU_DEP_1) | instskip(NEXT) | instid1(VALU_DEP_1)
	v_trunc_f32_e32 v44, v44
	v_fmamk_f32 v43, v44, 0xcf800000, v43
	v_cvt_u32_f32_e32 v44, v44
	s_delay_alu instid0(VALU_DEP_2) | instskip(NEXT) | instid1(VALU_DEP_2)
	v_cvt_u32_f32_e32 v43, v43
	v_mul_lo_u32 v48, s9, v44
	s_delay_alu instid0(VALU_DEP_2) | instskip(SKIP_1) | instid1(VALU_DEP_2)
	v_mul_hi_u32 v50, s9, v43
	v_mul_lo_u32 v52, s11, v43
	v_add_nc_u32_e32 v48, v50, v48
	v_mul_lo_u32 v50, s9, v43
	s_delay_alu instid0(VALU_DEP_2) | instskip(NEXT) | instid1(VALU_DEP_2)
	v_add_nc_u32_e32 v48, v48, v52
	v_mul_hi_u32 v52, v43, v50
	s_delay_alu instid0(VALU_DEP_2)
	v_mul_lo_u32 v54, v43, v48
	v_mul_hi_u32 v56, v43, v48
	v_mul_hi_u32 v60, v44, v50
	v_mul_lo_u32 v50, v44, v50
	v_mul_hi_u32 v64, v44, v48
	v_mul_lo_u32 v48, v44, v48
	v_add_co_u32 v52, vcc_lo, v52, v54
	v_add_co_ci_u32_e32 v54, vcc_lo, 0, v56, vcc_lo
	s_delay_alu instid0(VALU_DEP_2) | instskip(NEXT) | instid1(VALU_DEP_2)
	v_add_co_u32 v50, vcc_lo, v52, v50
	v_add_co_ci_u32_e32 v50, vcc_lo, v54, v60, vcc_lo
	v_add_co_ci_u32_e32 v52, vcc_lo, 0, v64, vcc_lo
	v_ashrrev_i32_e32 v60, 31, v46
	s_delay_alu instid0(VALU_DEP_3) | instskip(NEXT) | instid1(VALU_DEP_3)
	v_add_co_u32 v48, vcc_lo, v50, v48
	v_add_co_ci_u32_e32 v50, vcc_lo, 0, v52, vcc_lo
	s_delay_alu instid0(VALU_DEP_2) | instskip(NEXT) | instid1(VALU_DEP_2)
	v_add_co_u32 v43, vcc_lo, v43, v48
	v_add_co_ci_u32_e32 v44, vcc_lo, v44, v50, vcc_lo
	s_delay_alu instid0(VALU_DEP_2) | instskip(SKIP_1) | instid1(VALU_DEP_3)
	v_mul_hi_u32 v48, s9, v43
	v_mul_lo_u32 v52, s11, v43
	v_mul_lo_u32 v50, s9, v44
	s_delay_alu instid0(VALU_DEP_1) | instskip(SKIP_1) | instid1(VALU_DEP_2)
	v_add_nc_u32_e32 v48, v48, v50
	v_mul_lo_u32 v50, s9, v43
	v_add_nc_u32_e32 v48, v48, v52
	s_delay_alu instid0(VALU_DEP_2) | instskip(NEXT) | instid1(VALU_DEP_2)
	v_mul_hi_u32 v52, v43, v50
	v_mul_lo_u32 v54, v43, v48
	v_mul_hi_u32 v56, v43, v48
	v_mul_hi_u32 v64, v44, v50
	v_mul_lo_u32 v50, v44, v50
	v_mul_hi_u32 v65, v44, v48
	v_mul_lo_u32 v48, v44, v48
	v_add_co_u32 v52, vcc_lo, v52, v54
	v_add_co_ci_u32_e32 v54, vcc_lo, 0, v56, vcc_lo
	s_delay_alu instid0(VALU_DEP_2) | instskip(NEXT) | instid1(VALU_DEP_2)
	v_add_co_u32 v50, vcc_lo, v52, v50
	v_add_co_ci_u32_e32 v50, vcc_lo, v54, v64, vcc_lo
	v_add_co_ci_u32_e32 v52, vcc_lo, 0, v65, vcc_lo
	v_add_co_u32 v54, vcc_lo, v45, v60
	v_add_co_ci_u32_e32 v56, vcc_lo, v46, v60, vcc_lo
	s_delay_alu instid0(VALU_DEP_4) | instskip(NEXT) | instid1(VALU_DEP_4)
	v_add_co_u32 v48, vcc_lo, v50, v48
	v_add_co_ci_u32_e32 v50, vcc_lo, 0, v52, vcc_lo
	s_delay_alu instid0(VALU_DEP_4) | instskip(NEXT) | instid1(VALU_DEP_3)
	v_xor_b32_e32 v52, v54, v60
	v_add_co_u32 v48, vcc_lo, v43, v48
	s_delay_alu instid0(VALU_DEP_3) | instskip(SKIP_1) | instid1(VALU_DEP_3)
	v_add_co_ci_u32_e32 v50, vcc_lo, v44, v50, vcc_lo
	v_xor_b32_e32 v54, v56, v60
	v_mul_hi_u32 v56, v52, v48
	s_delay_alu instid0(VALU_DEP_3) | instskip(NEXT) | instid1(VALU_DEP_3)
	v_mad_u64_u32 v[43:44], null, v52, v50, 0
	v_mad_u64_u32 v[64:65], null, v54, v48, 0
	;; [unrolled: 1-line block ×3, first 2 shown]
	s_delay_alu instid0(VALU_DEP_3) | instskip(NEXT) | instid1(VALU_DEP_4)
	v_add_co_u32 v43, vcc_lo, v56, v43
	v_add_co_ci_u32_e32 v44, vcc_lo, 0, v44, vcc_lo
	s_delay_alu instid0(VALU_DEP_2) | instskip(NEXT) | instid1(VALU_DEP_2)
	v_add_co_u32 v43, vcc_lo, v43, v64
	v_add_co_ci_u32_e32 v43, vcc_lo, v44, v65, vcc_lo
	v_add_co_ci_u32_e32 v44, vcc_lo, 0, v67, vcc_lo
	s_delay_alu instid0(VALU_DEP_2) | instskip(NEXT) | instid1(VALU_DEP_2)
	v_add_co_u32 v48, vcc_lo, v43, v66
	v_add_co_ci_u32_e32 v50, vcc_lo, 0, v44, vcc_lo
	s_delay_alu instid0(VALU_DEP_2) | instskip(SKIP_1) | instid1(VALU_DEP_3)
	v_mul_lo_u32 v56, s13, v48
	v_mad_u64_u32 v[43:44], null, s12, v48, 0
	v_mul_lo_u32 v64, s12, v50
	s_delay_alu instid0(VALU_DEP_2) | instskip(NEXT) | instid1(VALU_DEP_2)
	v_sub_co_u32 v43, vcc_lo, v52, v43
	v_add3_u32 v44, v44, v64, v56
	s_delay_alu instid0(VALU_DEP_1) | instskip(NEXT) | instid1(VALU_DEP_1)
	v_sub_nc_u32_e32 v56, v54, v44
	v_subrev_co_ci_u32_e64 v52, s9, s13, v56, vcc_lo
	v_add_co_u32 v56, s9, v48, 2
	s_delay_alu instid0(VALU_DEP_1) | instskip(SKIP_3) | instid1(VALU_DEP_3)
	v_add_co_ci_u32_e64 v64, s9, 0, v50, s9
	v_sub_co_u32 v65, s9, v43, s12
	v_sub_co_ci_u32_e32 v44, vcc_lo, v54, v44, vcc_lo
	v_subrev_co_ci_u32_e64 v52, s9, 0, v52, s9
	v_cmp_le_u32_e32 vcc_lo, s12, v65
	s_delay_alu instid0(VALU_DEP_3) | instskip(SKIP_1) | instid1(VALU_DEP_4)
	v_cmp_eq_u32_e64 s9, s13, v44
	v_cndmask_b32_e64 v54, 0, -1, vcc_lo
	v_cmp_le_u32_e32 vcc_lo, s13, v52
	v_cndmask_b32_e64 v65, 0, -1, vcc_lo
	v_cmp_le_u32_e32 vcc_lo, s12, v43
	;; [unrolled: 2-line block ×3, first 2 shown]
	v_cndmask_b32_e64 v66, 0, -1, vcc_lo
	v_cmp_eq_u32_e32 vcc_lo, s13, v52
	s_delay_alu instid0(VALU_DEP_2) | instskip(SKIP_3) | instid1(VALU_DEP_3)
	v_cndmask_b32_e64 v43, v66, v43, s9
	v_cndmask_b32_e32 v52, v65, v54, vcc_lo
	v_add_co_u32 v54, vcc_lo, v48, 1
	v_add_co_ci_u32_e32 v65, vcc_lo, 0, v50, vcc_lo
	v_cmp_ne_u32_e32 vcc_lo, 0, v52
	s_delay_alu instid0(VALU_DEP_2) | instskip(NEXT) | instid1(VALU_DEP_4)
	v_cndmask_b32_e32 v44, v65, v64, vcc_lo
	v_cndmask_b32_e32 v52, v54, v56, vcc_lo
	v_cmp_ne_u32_e32 vcc_lo, 0, v43
	v_xor_b32_e32 v54, s10, v60
	s_delay_alu instid0(VALU_DEP_4) | instskip(NEXT) | instid1(VALU_DEP_4)
	v_cndmask_b32_e32 v43, v50, v44, vcc_lo
	v_cndmask_b32_e32 v44, v48, v52, vcc_lo
	s_delay_alu instid0(VALU_DEP_2) | instskip(NEXT) | instid1(VALU_DEP_2)
	v_xor_b32_e32 v48, v43, v54
	v_xor_b32_e32 v44, v44, v54
	s_delay_alu instid0(VALU_DEP_1) | instskip(NEXT) | instid1(VALU_DEP_3)
	v_sub_co_u32 v43, vcc_lo, v44, v54
	v_sub_co_ci_u32_e32 v44, vcc_lo, v48, v54, vcc_lo
.LBB1169_269:
	s_and_not1_saveexec_b32 s9, s15
	s_cbranch_execz .LBB1169_271
; %bb.270:
	v_cvt_f32_u32_e32 v43, s44
	s_sub_i32 s10, 0, s44
	s_delay_alu instid0(VALU_DEP_1) | instskip(SKIP_2) | instid1(VALU_DEP_1)
	v_rcp_iflag_f32_e32 v43, v43
	s_waitcnt_depctr 0xfff
	v_mul_f32_e32 v43, 0x4f7ffffe, v43
	v_cvt_u32_f32_e32 v43, v43
	s_delay_alu instid0(VALU_DEP_1) | instskip(NEXT) | instid1(VALU_DEP_1)
	v_mul_lo_u32 v44, s10, v43
	v_mul_hi_u32 v44, v43, v44
	s_delay_alu instid0(VALU_DEP_1) | instskip(NEXT) | instid1(VALU_DEP_1)
	v_add_nc_u32_e32 v43, v43, v44
	v_mul_hi_u32 v43, v45, v43
	s_delay_alu instid0(VALU_DEP_1) | instskip(SKIP_1) | instid1(VALU_DEP_2)
	v_mul_lo_u32 v44, v43, s44
	v_add_nc_u32_e32 v48, 1, v43
	v_sub_nc_u32_e32 v44, v45, v44
	s_delay_alu instid0(VALU_DEP_1) | instskip(SKIP_1) | instid1(VALU_DEP_2)
	v_subrev_nc_u32_e32 v50, s44, v44
	v_cmp_le_u32_e32 vcc_lo, s44, v44
	v_dual_cndmask_b32 v44, v44, v50 :: v_dual_cndmask_b32 v43, v43, v48
	s_delay_alu instid0(VALU_DEP_1) | instskip(SKIP_1) | instid1(VALU_DEP_3)
	v_cmp_le_u32_e32 vcc_lo, s44, v44
	v_mov_b32_e32 v44, 0
	v_add_nc_u32_e32 v48, 1, v43
	s_delay_alu instid0(VALU_DEP_1)
	v_cndmask_b32_e32 v43, v43, v48, vcc_lo
.LBB1169_271:
	s_or_b32 exec_lo, exec_lo, s9
	s_delay_alu instid0(VALU_DEP_1) | instskip(NEXT) | instid1(VALU_DEP_2)
	v_mul_lo_u32 v48, v44, s44
	v_mul_lo_u32 v50, v43, s45
	v_mad_u64_u32 v[64:65], null, v43, s44, 0
	s_delay_alu instid0(VALU_DEP_1) | instskip(NEXT) | instid1(VALU_DEP_2)
	v_add3_u32 v48, v65, v50, v48
	v_sub_co_u32 v45, vcc_lo, v45, v64
	s_delay_alu instid0(VALU_DEP_2) | instskip(NEXT) | instid1(VALU_DEP_2)
	v_sub_co_ci_u32_e32 v46, vcc_lo, v46, v48, vcc_lo
	v_add_co_u32 v43, vcc_lo, v43, v45
	s_delay_alu instid0(VALU_DEP_2)
	v_add_co_ci_u32_e32 v44, vcc_lo, v44, v46, vcc_lo
	s_or_b32 exec_lo, exec_lo, s14
                                        ; implicit-def: $vgpr45_vgpr46
	s_and_saveexec_b32 s9, s8
	s_cbranch_execz .LBB1169_226
.LBB1169_272:
	v_add_co_u32 v47, s8, s30, v47
	s_delay_alu instid0(VALU_DEP_1) | instskip(SKIP_1) | instid1(VALU_DEP_2)
	v_add_co_ci_u32_e64 v48, null, s31, 0, s8
	v_mov_b32_e32 v45, 0
	v_or_b32_e32 v46, s45, v48
	s_delay_alu instid0(VALU_DEP_1) | instskip(SKIP_1) | instid1(SALU_CYCLE_1)
	v_cmp_ne_u64_e32 vcc_lo, 0, v[45:46]
                                        ; implicit-def: $vgpr45_vgpr46
	s_and_saveexec_b32 s8, vcc_lo
	s_xor_b32 s14, exec_lo, s8
	s_cbranch_execz .LBB1169_274
; %bb.273:
	s_ashr_i32 s10, s45, 31
	v_ashrrev_i32_e32 v68, 31, v48
	s_add_u32 s12, s44, s10
	s_mov_b32 s11, s10
	s_addc_u32 s13, s45, s10
	s_delay_alu instid0(SALU_CYCLE_1) | instskip(NEXT) | instid1(SALU_CYCLE_1)
	s_xor_b64 s[12:13], s[12:13], s[10:11]
	v_cvt_f32_u32_e32 v45, s12
	v_cvt_f32_u32_e32 v46, s13
	s_sub_u32 s8, 0, s12
	s_subb_u32 s11, 0, s13
	s_delay_alu instid0(VALU_DEP_1) | instskip(NEXT) | instid1(VALU_DEP_1)
	v_fmamk_f32 v45, v46, 0x4f800000, v45
	v_rcp_f32_e32 v45, v45
	s_waitcnt_depctr 0xfff
	v_mul_f32_e32 v45, 0x5f7ffffc, v45
	s_delay_alu instid0(VALU_DEP_1) | instskip(NEXT) | instid1(VALU_DEP_1)
	v_mul_f32_e32 v46, 0x2f800000, v45
	v_trunc_f32_e32 v46, v46
	s_delay_alu instid0(VALU_DEP_1) | instskip(SKIP_1) | instid1(VALU_DEP_2)
	v_fmamk_f32 v45, v46, 0xcf800000, v45
	v_cvt_u32_f32_e32 v46, v46
	v_cvt_u32_f32_e32 v45, v45
	s_delay_alu instid0(VALU_DEP_2) | instskip(NEXT) | instid1(VALU_DEP_2)
	v_mul_lo_u32 v50, s8, v46
	v_mul_hi_u32 v52, s8, v45
	v_mul_lo_u32 v54, s11, v45
	s_delay_alu instid0(VALU_DEP_2) | instskip(SKIP_1) | instid1(VALU_DEP_2)
	v_add_nc_u32_e32 v50, v52, v50
	v_mul_lo_u32 v52, s8, v45
	v_add_nc_u32_e32 v50, v50, v54
	s_delay_alu instid0(VALU_DEP_2) | instskip(NEXT) | instid1(VALU_DEP_2)
	v_mul_hi_u32 v54, v45, v52
	v_mul_lo_u32 v56, v45, v50
	v_mul_hi_u32 v60, v45, v50
	v_mul_hi_u32 v64, v46, v52
	v_mul_lo_u32 v52, v46, v52
	v_mul_hi_u32 v65, v46, v50
	v_mul_lo_u32 v50, v46, v50
	v_add_co_u32 v54, vcc_lo, v54, v56
	v_add_co_ci_u32_e32 v56, vcc_lo, 0, v60, vcc_lo
	s_delay_alu instid0(VALU_DEP_2) | instskip(NEXT) | instid1(VALU_DEP_2)
	v_add_co_u32 v52, vcc_lo, v54, v52
	v_add_co_ci_u32_e32 v52, vcc_lo, v56, v64, vcc_lo
	v_add_co_ci_u32_e32 v54, vcc_lo, 0, v65, vcc_lo
	s_delay_alu instid0(VALU_DEP_2) | instskip(NEXT) | instid1(VALU_DEP_2)
	v_add_co_u32 v50, vcc_lo, v52, v50
	v_add_co_ci_u32_e32 v52, vcc_lo, 0, v54, vcc_lo
	s_delay_alu instid0(VALU_DEP_2) | instskip(NEXT) | instid1(VALU_DEP_2)
	v_add_co_u32 v45, vcc_lo, v45, v50
	v_add_co_ci_u32_e32 v46, vcc_lo, v46, v52, vcc_lo
	s_delay_alu instid0(VALU_DEP_2) | instskip(SKIP_1) | instid1(VALU_DEP_3)
	v_mul_hi_u32 v50, s8, v45
	v_mul_lo_u32 v54, s11, v45
	v_mul_lo_u32 v52, s8, v46
	s_delay_alu instid0(VALU_DEP_1) | instskip(SKIP_1) | instid1(VALU_DEP_2)
	v_add_nc_u32_e32 v50, v50, v52
	v_mul_lo_u32 v52, s8, v45
	v_add_nc_u32_e32 v50, v50, v54
	s_delay_alu instid0(VALU_DEP_2) | instskip(NEXT) | instid1(VALU_DEP_2)
	v_mul_hi_u32 v54, v45, v52
	v_mul_lo_u32 v56, v45, v50
	v_mul_hi_u32 v60, v45, v50
	v_mul_hi_u32 v64, v46, v52
	v_mul_lo_u32 v52, v46, v52
	v_mul_hi_u32 v65, v46, v50
	v_mul_lo_u32 v50, v46, v50
	v_add_co_u32 v54, vcc_lo, v54, v56
	v_add_co_ci_u32_e32 v56, vcc_lo, 0, v60, vcc_lo
	s_delay_alu instid0(VALU_DEP_2) | instskip(NEXT) | instid1(VALU_DEP_2)
	v_add_co_u32 v52, vcc_lo, v54, v52
	v_add_co_ci_u32_e32 v52, vcc_lo, v56, v64, vcc_lo
	v_add_co_ci_u32_e32 v54, vcc_lo, 0, v65, vcc_lo
	v_add_co_u32 v56, vcc_lo, v47, v68
	v_add_co_ci_u32_e32 v60, vcc_lo, v48, v68, vcc_lo
	s_delay_alu instid0(VALU_DEP_4) | instskip(NEXT) | instid1(VALU_DEP_4)
	v_add_co_u32 v50, vcc_lo, v52, v50
	v_add_co_ci_u32_e32 v52, vcc_lo, 0, v54, vcc_lo
	s_delay_alu instid0(VALU_DEP_4) | instskip(NEXT) | instid1(VALU_DEP_3)
	v_xor_b32_e32 v54, v56, v68
	v_add_co_u32 v50, vcc_lo, v45, v50
	s_delay_alu instid0(VALU_DEP_3) | instskip(SKIP_1) | instid1(VALU_DEP_3)
	v_add_co_ci_u32_e32 v52, vcc_lo, v46, v52, vcc_lo
	v_xor_b32_e32 v56, v60, v68
	v_mul_hi_u32 v60, v54, v50
	s_delay_alu instid0(VALU_DEP_3) | instskip(NEXT) | instid1(VALU_DEP_3)
	v_mad_u64_u32 v[45:46], null, v54, v52, 0
	v_mad_u64_u32 v[64:65], null, v56, v50, 0
	;; [unrolled: 1-line block ×3, first 2 shown]
	s_delay_alu instid0(VALU_DEP_3) | instskip(NEXT) | instid1(VALU_DEP_4)
	v_add_co_u32 v45, vcc_lo, v60, v45
	v_add_co_ci_u32_e32 v46, vcc_lo, 0, v46, vcc_lo
	s_delay_alu instid0(VALU_DEP_2) | instskip(NEXT) | instid1(VALU_DEP_2)
	v_add_co_u32 v45, vcc_lo, v45, v64
	v_add_co_ci_u32_e32 v45, vcc_lo, v46, v65, vcc_lo
	v_add_co_ci_u32_e32 v46, vcc_lo, 0, v67, vcc_lo
	s_delay_alu instid0(VALU_DEP_2) | instskip(NEXT) | instid1(VALU_DEP_2)
	v_add_co_u32 v50, vcc_lo, v45, v66
	v_add_co_ci_u32_e32 v52, vcc_lo, 0, v46, vcc_lo
	s_delay_alu instid0(VALU_DEP_2) | instskip(SKIP_1) | instid1(VALU_DEP_3)
	v_mul_lo_u32 v60, s13, v50
	v_mad_u64_u32 v[45:46], null, s12, v50, 0
	v_mul_lo_u32 v64, s12, v52
	s_delay_alu instid0(VALU_DEP_2) | instskip(NEXT) | instid1(VALU_DEP_2)
	v_sub_co_u32 v45, vcc_lo, v54, v45
	v_add3_u32 v46, v46, v64, v60
	s_delay_alu instid0(VALU_DEP_1) | instskip(NEXT) | instid1(VALU_DEP_1)
	v_sub_nc_u32_e32 v60, v56, v46
	v_subrev_co_ci_u32_e64 v54, s8, s13, v60, vcc_lo
	v_add_co_u32 v60, s8, v50, 2
	s_delay_alu instid0(VALU_DEP_1) | instskip(SKIP_3) | instid1(VALU_DEP_3)
	v_add_co_ci_u32_e64 v64, s8, 0, v52, s8
	v_sub_co_u32 v65, s8, v45, s12
	v_sub_co_ci_u32_e32 v46, vcc_lo, v56, v46, vcc_lo
	v_subrev_co_ci_u32_e64 v54, s8, 0, v54, s8
	v_cmp_le_u32_e32 vcc_lo, s12, v65
	s_delay_alu instid0(VALU_DEP_3) | instskip(SKIP_1) | instid1(VALU_DEP_4)
	v_cmp_eq_u32_e64 s8, s13, v46
	v_cndmask_b32_e64 v56, 0, -1, vcc_lo
	v_cmp_le_u32_e32 vcc_lo, s13, v54
	v_cndmask_b32_e64 v65, 0, -1, vcc_lo
	v_cmp_le_u32_e32 vcc_lo, s12, v45
	;; [unrolled: 2-line block ×3, first 2 shown]
	v_cndmask_b32_e64 v66, 0, -1, vcc_lo
	v_cmp_eq_u32_e32 vcc_lo, s13, v54
	s_delay_alu instid0(VALU_DEP_2) | instskip(SKIP_3) | instid1(VALU_DEP_3)
	v_cndmask_b32_e64 v45, v66, v45, s8
	v_cndmask_b32_e32 v54, v65, v56, vcc_lo
	v_add_co_u32 v56, vcc_lo, v50, 1
	v_add_co_ci_u32_e32 v65, vcc_lo, 0, v52, vcc_lo
	v_cmp_ne_u32_e32 vcc_lo, 0, v54
	s_delay_alu instid0(VALU_DEP_2) | instskip(NEXT) | instid1(VALU_DEP_4)
	v_cndmask_b32_e32 v46, v65, v64, vcc_lo
	v_cndmask_b32_e32 v54, v56, v60, vcc_lo
	v_cmp_ne_u32_e32 vcc_lo, 0, v45
	v_xor_b32_e32 v56, s10, v68
	s_delay_alu instid0(VALU_DEP_4) | instskip(NEXT) | instid1(VALU_DEP_4)
	v_cndmask_b32_e32 v45, v52, v46, vcc_lo
	v_cndmask_b32_e32 v46, v50, v54, vcc_lo
	s_delay_alu instid0(VALU_DEP_2) | instskip(NEXT) | instid1(VALU_DEP_2)
	v_xor_b32_e32 v50, v45, v56
	v_xor_b32_e32 v46, v46, v56
	s_delay_alu instid0(VALU_DEP_1) | instskip(NEXT) | instid1(VALU_DEP_3)
	v_sub_co_u32 v45, vcc_lo, v46, v56
	v_sub_co_ci_u32_e32 v46, vcc_lo, v50, v56, vcc_lo
.LBB1169_274:
	s_and_not1_saveexec_b32 s8, s14
	s_cbranch_execz .LBB1169_276
; %bb.275:
	v_cvt_f32_u32_e32 v45, s44
	s_sub_i32 s10, 0, s44
	s_delay_alu instid0(VALU_DEP_1) | instskip(SKIP_2) | instid1(VALU_DEP_1)
	v_rcp_iflag_f32_e32 v45, v45
	s_waitcnt_depctr 0xfff
	v_mul_f32_e32 v45, 0x4f7ffffe, v45
	v_cvt_u32_f32_e32 v45, v45
	s_delay_alu instid0(VALU_DEP_1) | instskip(NEXT) | instid1(VALU_DEP_1)
	v_mul_lo_u32 v46, s10, v45
	v_mul_hi_u32 v46, v45, v46
	s_delay_alu instid0(VALU_DEP_1) | instskip(NEXT) | instid1(VALU_DEP_1)
	v_add_nc_u32_e32 v45, v45, v46
	v_mul_hi_u32 v45, v47, v45
	s_delay_alu instid0(VALU_DEP_1) | instskip(SKIP_1) | instid1(VALU_DEP_2)
	v_mul_lo_u32 v46, v45, s44
	v_add_nc_u32_e32 v50, 1, v45
	v_sub_nc_u32_e32 v46, v47, v46
	s_delay_alu instid0(VALU_DEP_1) | instskip(SKIP_1) | instid1(VALU_DEP_2)
	v_subrev_nc_u32_e32 v52, s44, v46
	v_cmp_le_u32_e32 vcc_lo, s44, v46
	v_dual_cndmask_b32 v46, v46, v52 :: v_dual_cndmask_b32 v45, v45, v50
	s_delay_alu instid0(VALU_DEP_1) | instskip(SKIP_1) | instid1(VALU_DEP_3)
	v_cmp_le_u32_e32 vcc_lo, s44, v46
	v_mov_b32_e32 v46, 0
	v_add_nc_u32_e32 v50, 1, v45
	s_delay_alu instid0(VALU_DEP_1)
	v_cndmask_b32_e32 v45, v45, v50, vcc_lo
.LBB1169_276:
	s_or_b32 exec_lo, exec_lo, s8
	s_delay_alu instid0(VALU_DEP_1) | instskip(NEXT) | instid1(VALU_DEP_2)
	v_mul_lo_u32 v50, v46, s44
	v_mul_lo_u32 v52, v45, s45
	v_mad_u64_u32 v[64:65], null, v45, s44, 0
	s_delay_alu instid0(VALU_DEP_1) | instskip(NEXT) | instid1(VALU_DEP_2)
	v_add3_u32 v50, v65, v52, v50
	v_sub_co_u32 v47, vcc_lo, v47, v64
	s_delay_alu instid0(VALU_DEP_2) | instskip(NEXT) | instid1(VALU_DEP_2)
	v_sub_co_ci_u32_e32 v48, vcc_lo, v48, v50, vcc_lo
	v_add_co_u32 v45, vcc_lo, v45, v47
	s_delay_alu instid0(VALU_DEP_2)
	v_add_co_ci_u32_e32 v46, vcc_lo, v46, v48, vcc_lo
	s_or_b32 exec_lo, exec_lo, s9
                                        ; implicit-def: $vgpr47_vgpr48
	s_and_saveexec_b32 s12, s7
	s_cbranch_execz .LBB1169_227
.LBB1169_277:
	v_add_co_u32 v49, s7, s30, v49
	s_delay_alu instid0(VALU_DEP_1) | instskip(SKIP_1) | instid1(VALU_DEP_2)
	v_add_co_ci_u32_e64 v50, null, s31, 0, s7
	v_mov_b32_e32 v47, 0
	v_or_b32_e32 v48, s45, v50
	s_delay_alu instid0(VALU_DEP_1) | instskip(SKIP_1) | instid1(SALU_CYCLE_1)
	v_cmp_ne_u64_e32 vcc_lo, 0, v[47:48]
                                        ; implicit-def: $vgpr47_vgpr48
	s_and_saveexec_b32 s7, vcc_lo
	s_xor_b32 s13, exec_lo, s7
	s_cbranch_execz .LBB1169_279
; %bb.278:
	s_ashr_i32 s8, s45, 31
	v_ashrrev_i32_e32 v68, 31, v50
	s_add_u32 s10, s44, s8
	s_mov_b32 s9, s8
	s_addc_u32 s11, s45, s8
	s_delay_alu instid0(SALU_CYCLE_1) | instskip(NEXT) | instid1(SALU_CYCLE_1)
	s_xor_b64 s[10:11], s[10:11], s[8:9]
	v_cvt_f32_u32_e32 v47, s10
	v_cvt_f32_u32_e32 v48, s11
	s_sub_u32 s7, 0, s10
	s_subb_u32 s9, 0, s11
	s_delay_alu instid0(VALU_DEP_1) | instskip(NEXT) | instid1(VALU_DEP_1)
	v_fmamk_f32 v47, v48, 0x4f800000, v47
	v_rcp_f32_e32 v47, v47
	s_waitcnt_depctr 0xfff
	v_mul_f32_e32 v47, 0x5f7ffffc, v47
	s_delay_alu instid0(VALU_DEP_1) | instskip(NEXT) | instid1(VALU_DEP_1)
	v_mul_f32_e32 v48, 0x2f800000, v47
	v_trunc_f32_e32 v48, v48
	s_delay_alu instid0(VALU_DEP_1) | instskip(SKIP_1) | instid1(VALU_DEP_2)
	v_fmamk_f32 v47, v48, 0xcf800000, v47
	v_cvt_u32_f32_e32 v48, v48
	v_cvt_u32_f32_e32 v47, v47
	s_delay_alu instid0(VALU_DEP_2) | instskip(NEXT) | instid1(VALU_DEP_2)
	v_mul_lo_u32 v52, s7, v48
	v_mul_hi_u32 v54, s7, v47
	v_mul_lo_u32 v56, s9, v47
	s_delay_alu instid0(VALU_DEP_2) | instskip(SKIP_1) | instid1(VALU_DEP_2)
	v_add_nc_u32_e32 v52, v54, v52
	v_mul_lo_u32 v54, s7, v47
	v_add_nc_u32_e32 v52, v52, v56
	s_delay_alu instid0(VALU_DEP_2) | instskip(NEXT) | instid1(VALU_DEP_2)
	v_mul_hi_u32 v56, v47, v54
	v_mul_lo_u32 v60, v47, v52
	v_mul_hi_u32 v64, v47, v52
	v_mul_hi_u32 v65, v48, v54
	v_mul_lo_u32 v54, v48, v54
	v_mul_hi_u32 v66, v48, v52
	v_mul_lo_u32 v52, v48, v52
	v_add_co_u32 v56, vcc_lo, v56, v60
	v_add_co_ci_u32_e32 v60, vcc_lo, 0, v64, vcc_lo
	s_delay_alu instid0(VALU_DEP_2) | instskip(NEXT) | instid1(VALU_DEP_2)
	v_add_co_u32 v54, vcc_lo, v56, v54
	v_add_co_ci_u32_e32 v54, vcc_lo, v60, v65, vcc_lo
	v_add_co_ci_u32_e32 v56, vcc_lo, 0, v66, vcc_lo
	s_delay_alu instid0(VALU_DEP_2) | instskip(NEXT) | instid1(VALU_DEP_2)
	v_add_co_u32 v52, vcc_lo, v54, v52
	v_add_co_ci_u32_e32 v54, vcc_lo, 0, v56, vcc_lo
	s_delay_alu instid0(VALU_DEP_2) | instskip(NEXT) | instid1(VALU_DEP_2)
	v_add_co_u32 v47, vcc_lo, v47, v52
	v_add_co_ci_u32_e32 v48, vcc_lo, v48, v54, vcc_lo
	s_delay_alu instid0(VALU_DEP_2) | instskip(SKIP_1) | instid1(VALU_DEP_3)
	v_mul_hi_u32 v52, s7, v47
	v_mul_lo_u32 v56, s9, v47
	v_mul_lo_u32 v54, s7, v48
	s_delay_alu instid0(VALU_DEP_1) | instskip(SKIP_1) | instid1(VALU_DEP_2)
	v_add_nc_u32_e32 v52, v52, v54
	v_mul_lo_u32 v54, s7, v47
	v_add_nc_u32_e32 v52, v52, v56
	s_delay_alu instid0(VALU_DEP_2) | instskip(NEXT) | instid1(VALU_DEP_2)
	v_mul_hi_u32 v56, v47, v54
	v_mul_lo_u32 v60, v47, v52
	v_mul_hi_u32 v64, v47, v52
	v_mul_hi_u32 v65, v48, v54
	v_mul_lo_u32 v54, v48, v54
	v_mul_hi_u32 v66, v48, v52
	v_mul_lo_u32 v52, v48, v52
	v_add_co_u32 v56, vcc_lo, v56, v60
	v_add_co_ci_u32_e32 v60, vcc_lo, 0, v64, vcc_lo
	s_delay_alu instid0(VALU_DEP_2) | instskip(NEXT) | instid1(VALU_DEP_2)
	v_add_co_u32 v54, vcc_lo, v56, v54
	v_add_co_ci_u32_e32 v54, vcc_lo, v60, v65, vcc_lo
	v_add_co_ci_u32_e32 v56, vcc_lo, 0, v66, vcc_lo
	v_add_co_u32 v60, vcc_lo, v49, v68
	v_add_co_ci_u32_e32 v64, vcc_lo, v50, v68, vcc_lo
	s_delay_alu instid0(VALU_DEP_4) | instskip(NEXT) | instid1(VALU_DEP_4)
	v_add_co_u32 v52, vcc_lo, v54, v52
	v_add_co_ci_u32_e32 v54, vcc_lo, 0, v56, vcc_lo
	s_delay_alu instid0(VALU_DEP_4) | instskip(NEXT) | instid1(VALU_DEP_3)
	v_xor_b32_e32 v56, v60, v68
	v_add_co_u32 v52, vcc_lo, v47, v52
	s_delay_alu instid0(VALU_DEP_3) | instskip(SKIP_1) | instid1(VALU_DEP_3)
	v_add_co_ci_u32_e32 v54, vcc_lo, v48, v54, vcc_lo
	v_xor_b32_e32 v60, v64, v68
	v_mul_hi_u32 v69, v56, v52
	s_delay_alu instid0(VALU_DEP_3) | instskip(NEXT) | instid1(VALU_DEP_3)
	v_mad_u64_u32 v[47:48], null, v56, v54, 0
	v_mad_u64_u32 v[64:65], null, v60, v52, 0
	;; [unrolled: 1-line block ×3, first 2 shown]
	s_delay_alu instid0(VALU_DEP_3) | instskip(NEXT) | instid1(VALU_DEP_4)
	v_add_co_u32 v47, vcc_lo, v69, v47
	v_add_co_ci_u32_e32 v48, vcc_lo, 0, v48, vcc_lo
	s_delay_alu instid0(VALU_DEP_2) | instskip(NEXT) | instid1(VALU_DEP_2)
	v_add_co_u32 v47, vcc_lo, v47, v64
	v_add_co_ci_u32_e32 v47, vcc_lo, v48, v65, vcc_lo
	v_add_co_ci_u32_e32 v48, vcc_lo, 0, v67, vcc_lo
	s_delay_alu instid0(VALU_DEP_2) | instskip(NEXT) | instid1(VALU_DEP_2)
	v_add_co_u32 v52, vcc_lo, v47, v66
	v_add_co_ci_u32_e32 v54, vcc_lo, 0, v48, vcc_lo
	s_delay_alu instid0(VALU_DEP_2) | instskip(SKIP_1) | instid1(VALU_DEP_3)
	v_mul_lo_u32 v64, s11, v52
	v_mad_u64_u32 v[47:48], null, s10, v52, 0
	v_mul_lo_u32 v65, s10, v54
	s_delay_alu instid0(VALU_DEP_2) | instskip(NEXT) | instid1(VALU_DEP_2)
	v_sub_co_u32 v47, vcc_lo, v56, v47
	v_add3_u32 v48, v48, v65, v64
	s_delay_alu instid0(VALU_DEP_1) | instskip(NEXT) | instid1(VALU_DEP_1)
	v_sub_nc_u32_e32 v64, v60, v48
	v_subrev_co_ci_u32_e64 v56, s7, s11, v64, vcc_lo
	v_add_co_u32 v64, s7, v52, 2
	s_delay_alu instid0(VALU_DEP_1) | instskip(SKIP_3) | instid1(VALU_DEP_3)
	v_add_co_ci_u32_e64 v65, s7, 0, v54, s7
	v_sub_co_u32 v66, s7, v47, s10
	v_sub_co_ci_u32_e32 v48, vcc_lo, v60, v48, vcc_lo
	v_subrev_co_ci_u32_e64 v56, s7, 0, v56, s7
	v_cmp_le_u32_e32 vcc_lo, s10, v66
	s_delay_alu instid0(VALU_DEP_3) | instskip(SKIP_1) | instid1(VALU_DEP_4)
	v_cmp_eq_u32_e64 s7, s11, v48
	v_cndmask_b32_e64 v60, 0, -1, vcc_lo
	v_cmp_le_u32_e32 vcc_lo, s11, v56
	v_cndmask_b32_e64 v66, 0, -1, vcc_lo
	v_cmp_le_u32_e32 vcc_lo, s10, v47
	;; [unrolled: 2-line block ×3, first 2 shown]
	v_cndmask_b32_e64 v67, 0, -1, vcc_lo
	v_cmp_eq_u32_e32 vcc_lo, s11, v56
	s_delay_alu instid0(VALU_DEP_2) | instskip(SKIP_3) | instid1(VALU_DEP_3)
	v_cndmask_b32_e64 v47, v67, v47, s7
	v_cndmask_b32_e32 v56, v66, v60, vcc_lo
	v_add_co_u32 v60, vcc_lo, v52, 1
	v_add_co_ci_u32_e32 v66, vcc_lo, 0, v54, vcc_lo
	v_cmp_ne_u32_e32 vcc_lo, 0, v56
	s_delay_alu instid0(VALU_DEP_2) | instskip(NEXT) | instid1(VALU_DEP_4)
	v_cndmask_b32_e32 v48, v66, v65, vcc_lo
	v_cndmask_b32_e32 v56, v60, v64, vcc_lo
	v_cmp_ne_u32_e32 vcc_lo, 0, v47
	v_xor_b32_e32 v60, s8, v68
	s_delay_alu instid0(VALU_DEP_4) | instskip(NEXT) | instid1(VALU_DEP_4)
	v_cndmask_b32_e32 v47, v54, v48, vcc_lo
	v_cndmask_b32_e32 v48, v52, v56, vcc_lo
	s_delay_alu instid0(VALU_DEP_2) | instskip(NEXT) | instid1(VALU_DEP_2)
	v_xor_b32_e32 v52, v47, v60
	v_xor_b32_e32 v48, v48, v60
	s_delay_alu instid0(VALU_DEP_1) | instskip(NEXT) | instid1(VALU_DEP_3)
	v_sub_co_u32 v47, vcc_lo, v48, v60
	v_sub_co_ci_u32_e32 v48, vcc_lo, v52, v60, vcc_lo
.LBB1169_279:
	s_and_not1_saveexec_b32 s7, s13
	s_cbranch_execz .LBB1169_281
; %bb.280:
	v_cvt_f32_u32_e32 v47, s44
	s_sub_i32 s8, 0, s44
	s_delay_alu instid0(VALU_DEP_1) | instskip(SKIP_2) | instid1(VALU_DEP_1)
	v_rcp_iflag_f32_e32 v47, v47
	s_waitcnt_depctr 0xfff
	v_mul_f32_e32 v47, 0x4f7ffffe, v47
	v_cvt_u32_f32_e32 v47, v47
	s_delay_alu instid0(VALU_DEP_1) | instskip(NEXT) | instid1(VALU_DEP_1)
	v_mul_lo_u32 v48, s8, v47
	v_mul_hi_u32 v48, v47, v48
	s_delay_alu instid0(VALU_DEP_1) | instskip(NEXT) | instid1(VALU_DEP_1)
	v_add_nc_u32_e32 v47, v47, v48
	v_mul_hi_u32 v47, v49, v47
	s_delay_alu instid0(VALU_DEP_1) | instskip(SKIP_1) | instid1(VALU_DEP_2)
	v_mul_lo_u32 v48, v47, s44
	v_add_nc_u32_e32 v52, 1, v47
	v_sub_nc_u32_e32 v48, v49, v48
	s_delay_alu instid0(VALU_DEP_1) | instskip(SKIP_1) | instid1(VALU_DEP_2)
	v_subrev_nc_u32_e32 v54, s44, v48
	v_cmp_le_u32_e32 vcc_lo, s44, v48
	v_dual_cndmask_b32 v48, v48, v54 :: v_dual_cndmask_b32 v47, v47, v52
	s_delay_alu instid0(VALU_DEP_1) | instskip(SKIP_1) | instid1(VALU_DEP_3)
	v_cmp_le_u32_e32 vcc_lo, s44, v48
	v_mov_b32_e32 v48, 0
	v_add_nc_u32_e32 v52, 1, v47
	s_delay_alu instid0(VALU_DEP_1)
	v_cndmask_b32_e32 v47, v47, v52, vcc_lo
.LBB1169_281:
	s_or_b32 exec_lo, exec_lo, s7
	s_delay_alu instid0(VALU_DEP_1) | instskip(NEXT) | instid1(VALU_DEP_2)
	v_mul_lo_u32 v52, v48, s44
	v_mul_lo_u32 v54, v47, s45
	v_mad_u64_u32 v[64:65], null, v47, s44, 0
	s_delay_alu instid0(VALU_DEP_1) | instskip(NEXT) | instid1(VALU_DEP_2)
	v_add3_u32 v52, v65, v54, v52
	v_sub_co_u32 v49, vcc_lo, v49, v64
	s_delay_alu instid0(VALU_DEP_2) | instskip(NEXT) | instid1(VALU_DEP_2)
	v_sub_co_ci_u32_e32 v50, vcc_lo, v50, v52, vcc_lo
	v_add_co_u32 v47, vcc_lo, v47, v49
	s_delay_alu instid0(VALU_DEP_2)
	v_add_co_ci_u32_e32 v48, vcc_lo, v48, v50, vcc_lo
	s_or_b32 exec_lo, exec_lo, s12
                                        ; implicit-def: $vgpr49_vgpr50
	s_and_saveexec_b32 s7, s6
	s_cbranch_execz .LBB1169_228
.LBB1169_282:
	v_add_co_u32 v51, s6, s30, v51
	s_delay_alu instid0(VALU_DEP_1) | instskip(SKIP_1) | instid1(VALU_DEP_2)
	v_add_co_ci_u32_e64 v52, null, s31, 0, s6
	v_mov_b32_e32 v49, 0
	v_or_b32_e32 v50, s45, v52
	s_delay_alu instid0(VALU_DEP_1) | instskip(SKIP_1) | instid1(SALU_CYCLE_1)
	v_cmp_ne_u64_e32 vcc_lo, 0, v[49:50]
                                        ; implicit-def: $vgpr49_vgpr50
	s_and_saveexec_b32 s6, vcc_lo
	s_xor_b32 s12, exec_lo, s6
	s_cbranch_execz .LBB1169_284
; %bb.283:
	s_ashr_i32 s8, s45, 31
	v_ashrrev_i32_e32 v68, 31, v52
	s_add_u32 s10, s44, s8
	s_mov_b32 s9, s8
	s_addc_u32 s11, s45, s8
	s_delay_alu instid0(SALU_CYCLE_1) | instskip(NEXT) | instid1(SALU_CYCLE_1)
	s_xor_b64 s[10:11], s[10:11], s[8:9]
	v_cvt_f32_u32_e32 v49, s10
	v_cvt_f32_u32_e32 v50, s11
	s_sub_u32 s6, 0, s10
	s_subb_u32 s9, 0, s11
	s_delay_alu instid0(VALU_DEP_1) | instskip(NEXT) | instid1(VALU_DEP_1)
	v_fmamk_f32 v49, v50, 0x4f800000, v49
	v_rcp_f32_e32 v49, v49
	s_waitcnt_depctr 0xfff
	v_mul_f32_e32 v49, 0x5f7ffffc, v49
	s_delay_alu instid0(VALU_DEP_1) | instskip(NEXT) | instid1(VALU_DEP_1)
	v_mul_f32_e32 v50, 0x2f800000, v49
	v_trunc_f32_e32 v50, v50
	s_delay_alu instid0(VALU_DEP_1) | instskip(SKIP_1) | instid1(VALU_DEP_2)
	v_fmamk_f32 v49, v50, 0xcf800000, v49
	v_cvt_u32_f32_e32 v50, v50
	v_cvt_u32_f32_e32 v49, v49
	s_delay_alu instid0(VALU_DEP_2) | instskip(NEXT) | instid1(VALU_DEP_2)
	v_mul_lo_u32 v54, s6, v50
	v_mul_hi_u32 v56, s6, v49
	v_mul_lo_u32 v60, s9, v49
	s_delay_alu instid0(VALU_DEP_2) | instskip(SKIP_1) | instid1(VALU_DEP_2)
	v_add_nc_u32_e32 v54, v56, v54
	v_mul_lo_u32 v56, s6, v49
	v_add_nc_u32_e32 v54, v54, v60
	s_delay_alu instid0(VALU_DEP_2) | instskip(NEXT) | instid1(VALU_DEP_2)
	v_mul_hi_u32 v60, v49, v56
	v_mul_lo_u32 v64, v49, v54
	v_mul_hi_u32 v65, v49, v54
	v_mul_hi_u32 v66, v50, v56
	v_mul_lo_u32 v56, v50, v56
	v_mul_hi_u32 v67, v50, v54
	v_mul_lo_u32 v54, v50, v54
	v_add_co_u32 v60, vcc_lo, v60, v64
	v_add_co_ci_u32_e32 v64, vcc_lo, 0, v65, vcc_lo
	s_delay_alu instid0(VALU_DEP_2) | instskip(NEXT) | instid1(VALU_DEP_2)
	v_add_co_u32 v56, vcc_lo, v60, v56
	v_add_co_ci_u32_e32 v56, vcc_lo, v64, v66, vcc_lo
	v_add_co_ci_u32_e32 v60, vcc_lo, 0, v67, vcc_lo
	s_delay_alu instid0(VALU_DEP_2) | instskip(NEXT) | instid1(VALU_DEP_2)
	v_add_co_u32 v54, vcc_lo, v56, v54
	v_add_co_ci_u32_e32 v56, vcc_lo, 0, v60, vcc_lo
	s_delay_alu instid0(VALU_DEP_2) | instskip(NEXT) | instid1(VALU_DEP_2)
	v_add_co_u32 v49, vcc_lo, v49, v54
	v_add_co_ci_u32_e32 v50, vcc_lo, v50, v56, vcc_lo
	s_delay_alu instid0(VALU_DEP_2) | instskip(SKIP_1) | instid1(VALU_DEP_3)
	v_mul_hi_u32 v54, s6, v49
	v_mul_lo_u32 v60, s9, v49
	v_mul_lo_u32 v56, s6, v50
	s_delay_alu instid0(VALU_DEP_1) | instskip(SKIP_1) | instid1(VALU_DEP_2)
	v_add_nc_u32_e32 v54, v54, v56
	v_mul_lo_u32 v56, s6, v49
	v_add_nc_u32_e32 v54, v54, v60
	s_delay_alu instid0(VALU_DEP_2) | instskip(NEXT) | instid1(VALU_DEP_2)
	v_mul_hi_u32 v60, v49, v56
	v_mul_lo_u32 v64, v49, v54
	v_mul_hi_u32 v65, v49, v54
	v_mul_hi_u32 v66, v50, v56
	v_mul_lo_u32 v56, v50, v56
	v_mul_hi_u32 v67, v50, v54
	v_mul_lo_u32 v54, v50, v54
	v_add_co_u32 v60, vcc_lo, v60, v64
	v_add_co_ci_u32_e32 v64, vcc_lo, 0, v65, vcc_lo
	s_delay_alu instid0(VALU_DEP_2) | instskip(NEXT) | instid1(VALU_DEP_2)
	v_add_co_u32 v56, vcc_lo, v60, v56
	v_add_co_ci_u32_e32 v56, vcc_lo, v64, v66, vcc_lo
	v_add_co_ci_u32_e32 v60, vcc_lo, 0, v67, vcc_lo
	v_add_co_u32 v64, vcc_lo, v51, v68
	v_add_co_ci_u32_e32 v65, vcc_lo, v52, v68, vcc_lo
	s_delay_alu instid0(VALU_DEP_4) | instskip(NEXT) | instid1(VALU_DEP_4)
	v_add_co_u32 v54, vcc_lo, v56, v54
	v_add_co_ci_u32_e32 v56, vcc_lo, 0, v60, vcc_lo
	s_delay_alu instid0(VALU_DEP_4) | instskip(NEXT) | instid1(VALU_DEP_3)
	v_xor_b32_e32 v60, v64, v68
	v_add_co_u32 v54, vcc_lo, v49, v54
	s_delay_alu instid0(VALU_DEP_3) | instskip(SKIP_1) | instid1(VALU_DEP_3)
	v_add_co_ci_u32_e32 v56, vcc_lo, v50, v56, vcc_lo
	v_xor_b32_e32 v69, v65, v68
	v_mul_hi_u32 v70, v60, v54
	s_delay_alu instid0(VALU_DEP_3) | instskip(NEXT) | instid1(VALU_DEP_3)
	v_mad_u64_u32 v[49:50], null, v60, v56, 0
	v_mad_u64_u32 v[64:65], null, v69, v54, 0
	;; [unrolled: 1-line block ×3, first 2 shown]
	s_delay_alu instid0(VALU_DEP_3) | instskip(NEXT) | instid1(VALU_DEP_4)
	v_add_co_u32 v49, vcc_lo, v70, v49
	v_add_co_ci_u32_e32 v50, vcc_lo, 0, v50, vcc_lo
	s_delay_alu instid0(VALU_DEP_2) | instskip(NEXT) | instid1(VALU_DEP_2)
	v_add_co_u32 v49, vcc_lo, v49, v64
	v_add_co_ci_u32_e32 v49, vcc_lo, v50, v65, vcc_lo
	v_add_co_ci_u32_e32 v50, vcc_lo, 0, v67, vcc_lo
	s_delay_alu instid0(VALU_DEP_2) | instskip(NEXT) | instid1(VALU_DEP_2)
	v_add_co_u32 v54, vcc_lo, v49, v66
	v_add_co_ci_u32_e32 v56, vcc_lo, 0, v50, vcc_lo
	s_delay_alu instid0(VALU_DEP_2) | instskip(SKIP_1) | instid1(VALU_DEP_3)
	v_mul_lo_u32 v64, s11, v54
	v_mad_u64_u32 v[49:50], null, s10, v54, 0
	v_mul_lo_u32 v65, s10, v56
	s_delay_alu instid0(VALU_DEP_2) | instskip(NEXT) | instid1(VALU_DEP_2)
	v_sub_co_u32 v49, vcc_lo, v60, v49
	v_add3_u32 v50, v50, v65, v64
	s_delay_alu instid0(VALU_DEP_1) | instskip(NEXT) | instid1(VALU_DEP_1)
	v_sub_nc_u32_e32 v64, v69, v50
	v_subrev_co_ci_u32_e64 v60, s6, s11, v64, vcc_lo
	v_add_co_u32 v64, s6, v54, 2
	s_delay_alu instid0(VALU_DEP_1) | instskip(SKIP_3) | instid1(VALU_DEP_3)
	v_add_co_ci_u32_e64 v65, s6, 0, v56, s6
	v_sub_co_u32 v66, s6, v49, s10
	v_sub_co_ci_u32_e32 v50, vcc_lo, v69, v50, vcc_lo
	v_subrev_co_ci_u32_e64 v60, s6, 0, v60, s6
	v_cmp_le_u32_e32 vcc_lo, s10, v66
	s_delay_alu instid0(VALU_DEP_3) | instskip(SKIP_1) | instid1(VALU_DEP_4)
	v_cmp_eq_u32_e64 s6, s11, v50
	v_cndmask_b32_e64 v66, 0, -1, vcc_lo
	v_cmp_le_u32_e32 vcc_lo, s11, v60
	v_cndmask_b32_e64 v67, 0, -1, vcc_lo
	v_cmp_le_u32_e32 vcc_lo, s10, v49
	;; [unrolled: 2-line block ×3, first 2 shown]
	v_cndmask_b32_e64 v69, 0, -1, vcc_lo
	v_cmp_eq_u32_e32 vcc_lo, s11, v60
	s_delay_alu instid0(VALU_DEP_2) | instskip(SKIP_3) | instid1(VALU_DEP_3)
	v_cndmask_b32_e64 v49, v69, v49, s6
	v_cndmask_b32_e32 v60, v67, v66, vcc_lo
	v_add_co_u32 v66, vcc_lo, v54, 1
	v_add_co_ci_u32_e32 v67, vcc_lo, 0, v56, vcc_lo
	v_cmp_ne_u32_e32 vcc_lo, 0, v60
	s_delay_alu instid0(VALU_DEP_2) | instskip(NEXT) | instid1(VALU_DEP_4)
	v_cndmask_b32_e32 v50, v67, v65, vcc_lo
	v_cndmask_b32_e32 v60, v66, v64, vcc_lo
	v_cmp_ne_u32_e32 vcc_lo, 0, v49
	v_xor_b32_e32 v64, s8, v68
	s_delay_alu instid0(VALU_DEP_3) | instskip(NEXT) | instid1(VALU_DEP_1)
	v_dual_cndmask_b32 v49, v56, v50 :: v_dual_cndmask_b32 v50, v54, v60
	v_xor_b32_e32 v54, v49, v64
	s_delay_alu instid0(VALU_DEP_2) | instskip(NEXT) | instid1(VALU_DEP_1)
	v_xor_b32_e32 v50, v50, v64
	v_sub_co_u32 v49, vcc_lo, v50, v64
	s_delay_alu instid0(VALU_DEP_3)
	v_sub_co_ci_u32_e32 v50, vcc_lo, v54, v64, vcc_lo
.LBB1169_284:
	s_and_not1_saveexec_b32 s6, s12
	s_cbranch_execz .LBB1169_286
; %bb.285:
	v_cvt_f32_u32_e32 v49, s44
	s_sub_i32 s8, 0, s44
	s_delay_alu instid0(VALU_DEP_1) | instskip(SKIP_2) | instid1(VALU_DEP_1)
	v_rcp_iflag_f32_e32 v49, v49
	s_waitcnt_depctr 0xfff
	v_mul_f32_e32 v49, 0x4f7ffffe, v49
	v_cvt_u32_f32_e32 v49, v49
	s_delay_alu instid0(VALU_DEP_1) | instskip(NEXT) | instid1(VALU_DEP_1)
	v_mul_lo_u32 v50, s8, v49
	v_mul_hi_u32 v50, v49, v50
	s_delay_alu instid0(VALU_DEP_1) | instskip(NEXT) | instid1(VALU_DEP_1)
	v_add_nc_u32_e32 v49, v49, v50
	v_mul_hi_u32 v49, v51, v49
	s_delay_alu instid0(VALU_DEP_1) | instskip(SKIP_1) | instid1(VALU_DEP_2)
	v_mul_lo_u32 v50, v49, s44
	v_add_nc_u32_e32 v54, 1, v49
	v_sub_nc_u32_e32 v50, v51, v50
	s_delay_alu instid0(VALU_DEP_1) | instskip(SKIP_1) | instid1(VALU_DEP_2)
	v_subrev_nc_u32_e32 v56, s44, v50
	v_cmp_le_u32_e32 vcc_lo, s44, v50
	v_dual_cndmask_b32 v50, v50, v56 :: v_dual_cndmask_b32 v49, v49, v54
	s_delay_alu instid0(VALU_DEP_1) | instskip(SKIP_1) | instid1(VALU_DEP_3)
	v_cmp_le_u32_e32 vcc_lo, s44, v50
	v_mov_b32_e32 v50, 0
	v_add_nc_u32_e32 v54, 1, v49
	s_delay_alu instid0(VALU_DEP_1)
	v_cndmask_b32_e32 v49, v49, v54, vcc_lo
.LBB1169_286:
	s_or_b32 exec_lo, exec_lo, s6
	s_delay_alu instid0(VALU_DEP_1) | instskip(NEXT) | instid1(VALU_DEP_2)
	v_mul_lo_u32 v54, v50, s44
	v_mul_lo_u32 v56, v49, s45
	v_mad_u64_u32 v[64:65], null, v49, s44, 0
	s_delay_alu instid0(VALU_DEP_1) | instskip(NEXT) | instid1(VALU_DEP_2)
	v_add3_u32 v54, v65, v56, v54
	v_sub_co_u32 v51, vcc_lo, v51, v64
	s_delay_alu instid0(VALU_DEP_2) | instskip(NEXT) | instid1(VALU_DEP_2)
	v_sub_co_ci_u32_e32 v52, vcc_lo, v52, v54, vcc_lo
	v_add_co_u32 v49, vcc_lo, v49, v51
	s_delay_alu instid0(VALU_DEP_2)
	v_add_co_ci_u32_e32 v50, vcc_lo, v50, v52, vcc_lo
	s_or_b32 exec_lo, exec_lo, s7
                                        ; implicit-def: $vgpr51_vgpr52
	s_and_saveexec_b32 s10, s5
	s_cbranch_execz .LBB1169_229
.LBB1169_287:
	v_add_co_u32 v53, s5, s30, v53
	s_delay_alu instid0(VALU_DEP_1) | instskip(SKIP_1) | instid1(VALU_DEP_2)
	v_add_co_ci_u32_e64 v54, null, s31, 0, s5
	v_mov_b32_e32 v51, 0
	v_or_b32_e32 v52, s45, v54
	s_delay_alu instid0(VALU_DEP_1) | instskip(SKIP_1) | instid1(SALU_CYCLE_1)
	v_cmp_ne_u64_e32 vcc_lo, 0, v[51:52]
                                        ; implicit-def: $vgpr51_vgpr52
	s_and_saveexec_b32 s5, vcc_lo
	s_xor_b32 s11, exec_lo, s5
	s_cbranch_execz .LBB1169_289
; %bb.288:
	s_ashr_i32 s6, s45, 31
	s_delay_alu instid0(SALU_CYCLE_1) | instskip(SKIP_2) | instid1(SALU_CYCLE_1)
	s_add_u32 s8, s44, s6
	s_mov_b32 s7, s6
	s_addc_u32 s9, s45, s6
	s_xor_b64 s[8:9], s[8:9], s[6:7]
	s_delay_alu instid0(SALU_CYCLE_1) | instskip(SKIP_3) | instid1(VALU_DEP_1)
	v_cvt_f32_u32_e32 v51, s8
	v_cvt_f32_u32_e32 v52, s9
	s_sub_u32 s5, 0, s8
	s_subb_u32 s7, 0, s9
	v_fmamk_f32 v51, v52, 0x4f800000, v51
	s_delay_alu instid0(VALU_DEP_1) | instskip(SKIP_2) | instid1(VALU_DEP_1)
	v_rcp_f32_e32 v51, v51
	s_waitcnt_depctr 0xfff
	v_mul_f32_e32 v51, 0x5f7ffffc, v51
	v_mul_f32_e32 v52, 0x2f800000, v51
	s_delay_alu instid0(VALU_DEP_1) | instskip(NEXT) | instid1(VALU_DEP_1)
	v_trunc_f32_e32 v52, v52
	v_fmamk_f32 v51, v52, 0xcf800000, v51
	v_cvt_u32_f32_e32 v52, v52
	s_delay_alu instid0(VALU_DEP_2) | instskip(NEXT) | instid1(VALU_DEP_2)
	v_cvt_u32_f32_e32 v51, v51
	v_mul_lo_u32 v56, s5, v52
	s_delay_alu instid0(VALU_DEP_2) | instskip(SKIP_1) | instid1(VALU_DEP_2)
	v_mul_hi_u32 v60, s5, v51
	v_mul_lo_u32 v64, s7, v51
	v_add_nc_u32_e32 v56, v60, v56
	v_mul_lo_u32 v60, s5, v51
	s_delay_alu instid0(VALU_DEP_2) | instskip(NEXT) | instid1(VALU_DEP_2)
	v_add_nc_u32_e32 v56, v56, v64
	v_mul_hi_u32 v64, v51, v60
	s_delay_alu instid0(VALU_DEP_2)
	v_mul_lo_u32 v65, v51, v56
	v_mul_hi_u32 v66, v51, v56
	v_mul_hi_u32 v67, v52, v60
	v_mul_lo_u32 v60, v52, v60
	v_mul_hi_u32 v68, v52, v56
	v_mul_lo_u32 v56, v52, v56
	v_add_co_u32 v64, vcc_lo, v64, v65
	v_add_co_ci_u32_e32 v65, vcc_lo, 0, v66, vcc_lo
	s_delay_alu instid0(VALU_DEP_2) | instskip(NEXT) | instid1(VALU_DEP_2)
	v_add_co_u32 v60, vcc_lo, v64, v60
	v_add_co_ci_u32_e32 v60, vcc_lo, v65, v67, vcc_lo
	v_add_co_ci_u32_e32 v64, vcc_lo, 0, v68, vcc_lo
	v_ashrrev_i32_e32 v68, 31, v54
	s_delay_alu instid0(VALU_DEP_3) | instskip(NEXT) | instid1(VALU_DEP_3)
	v_add_co_u32 v56, vcc_lo, v60, v56
	v_add_co_ci_u32_e32 v60, vcc_lo, 0, v64, vcc_lo
	s_delay_alu instid0(VALU_DEP_2) | instskip(NEXT) | instid1(VALU_DEP_2)
	v_add_co_u32 v51, vcc_lo, v51, v56
	v_add_co_ci_u32_e32 v52, vcc_lo, v52, v60, vcc_lo
	s_delay_alu instid0(VALU_DEP_2) | instskip(SKIP_1) | instid1(VALU_DEP_3)
	v_mul_hi_u32 v56, s5, v51
	v_mul_lo_u32 v64, s7, v51
	v_mul_lo_u32 v60, s5, v52
	s_delay_alu instid0(VALU_DEP_1) | instskip(SKIP_1) | instid1(VALU_DEP_2)
	v_add_nc_u32_e32 v56, v56, v60
	v_mul_lo_u32 v60, s5, v51
	v_add_nc_u32_e32 v56, v56, v64
	s_delay_alu instid0(VALU_DEP_2) | instskip(NEXT) | instid1(VALU_DEP_2)
	v_mul_hi_u32 v64, v51, v60
	v_mul_lo_u32 v65, v51, v56
	v_mul_hi_u32 v66, v51, v56
	v_mul_hi_u32 v67, v52, v60
	v_mul_lo_u32 v60, v52, v60
	v_mul_hi_u32 v69, v52, v56
	v_mul_lo_u32 v56, v52, v56
	v_add_co_u32 v64, vcc_lo, v64, v65
	v_add_co_ci_u32_e32 v65, vcc_lo, 0, v66, vcc_lo
	s_delay_alu instid0(VALU_DEP_2) | instskip(NEXT) | instid1(VALU_DEP_2)
	v_add_co_u32 v60, vcc_lo, v64, v60
	v_add_co_ci_u32_e32 v60, vcc_lo, v65, v67, vcc_lo
	v_add_co_ci_u32_e32 v64, vcc_lo, 0, v69, vcc_lo
	v_add_co_u32 v65, vcc_lo, v53, v68
	v_add_co_ci_u32_e32 v66, vcc_lo, v54, v68, vcc_lo
	s_delay_alu instid0(VALU_DEP_4) | instskip(NEXT) | instid1(VALU_DEP_4)
	v_add_co_u32 v56, vcc_lo, v60, v56
	v_add_co_ci_u32_e32 v60, vcc_lo, 0, v64, vcc_lo
	s_delay_alu instid0(VALU_DEP_4) | instskip(NEXT) | instid1(VALU_DEP_3)
	v_xor_b32_e32 v69, v65, v68
	v_add_co_u32 v56, vcc_lo, v51, v56
	s_delay_alu instid0(VALU_DEP_3) | instskip(SKIP_1) | instid1(VALU_DEP_3)
	v_add_co_ci_u32_e32 v60, vcc_lo, v52, v60, vcc_lo
	v_xor_b32_e32 v70, v66, v68
	v_mul_hi_u32 v71, v69, v56
	s_delay_alu instid0(VALU_DEP_3) | instskip(NEXT) | instid1(VALU_DEP_3)
	v_mad_u64_u32 v[51:52], null, v69, v60, 0
	v_mad_u64_u32 v[64:65], null, v70, v56, 0
	;; [unrolled: 1-line block ×3, first 2 shown]
	s_delay_alu instid0(VALU_DEP_3) | instskip(NEXT) | instid1(VALU_DEP_4)
	v_add_co_u32 v51, vcc_lo, v71, v51
	v_add_co_ci_u32_e32 v52, vcc_lo, 0, v52, vcc_lo
	s_delay_alu instid0(VALU_DEP_2) | instskip(NEXT) | instid1(VALU_DEP_2)
	v_add_co_u32 v51, vcc_lo, v51, v64
	v_add_co_ci_u32_e32 v51, vcc_lo, v52, v65, vcc_lo
	v_add_co_ci_u32_e32 v52, vcc_lo, 0, v67, vcc_lo
	s_delay_alu instid0(VALU_DEP_2) | instskip(NEXT) | instid1(VALU_DEP_2)
	v_add_co_u32 v56, vcc_lo, v51, v66
	v_add_co_ci_u32_e32 v60, vcc_lo, 0, v52, vcc_lo
	s_delay_alu instid0(VALU_DEP_2) | instskip(SKIP_1) | instid1(VALU_DEP_3)
	v_mul_lo_u32 v64, s9, v56
	v_mad_u64_u32 v[51:52], null, s8, v56, 0
	v_mul_lo_u32 v65, s8, v60
	s_delay_alu instid0(VALU_DEP_2) | instskip(NEXT) | instid1(VALU_DEP_2)
	v_sub_co_u32 v51, vcc_lo, v69, v51
	v_add3_u32 v52, v52, v65, v64
	s_delay_alu instid0(VALU_DEP_1) | instskip(NEXT) | instid1(VALU_DEP_1)
	v_sub_nc_u32_e32 v64, v70, v52
	v_subrev_co_ci_u32_e64 v64, s5, s9, v64, vcc_lo
	v_add_co_u32 v65, s5, v56, 2
	s_delay_alu instid0(VALU_DEP_1) | instskip(SKIP_3) | instid1(VALU_DEP_3)
	v_add_co_ci_u32_e64 v66, s5, 0, v60, s5
	v_sub_co_u32 v67, s5, v51, s8
	v_sub_co_ci_u32_e32 v52, vcc_lo, v70, v52, vcc_lo
	v_subrev_co_ci_u32_e64 v64, s5, 0, v64, s5
	v_cmp_le_u32_e32 vcc_lo, s8, v67
	s_delay_alu instid0(VALU_DEP_3) | instskip(SKIP_1) | instid1(VALU_DEP_4)
	v_cmp_eq_u32_e64 s5, s9, v52
	v_cndmask_b32_e64 v67, 0, -1, vcc_lo
	v_cmp_le_u32_e32 vcc_lo, s9, v64
	v_cndmask_b32_e64 v69, 0, -1, vcc_lo
	v_cmp_le_u32_e32 vcc_lo, s8, v51
	;; [unrolled: 2-line block ×3, first 2 shown]
	v_cndmask_b32_e64 v70, 0, -1, vcc_lo
	v_cmp_eq_u32_e32 vcc_lo, s9, v64
	s_delay_alu instid0(VALU_DEP_2) | instskip(SKIP_3) | instid1(VALU_DEP_3)
	v_cndmask_b32_e64 v51, v70, v51, s5
	v_cndmask_b32_e32 v64, v69, v67, vcc_lo
	v_add_co_u32 v67, vcc_lo, v56, 1
	v_add_co_ci_u32_e32 v69, vcc_lo, 0, v60, vcc_lo
	v_cmp_ne_u32_e32 vcc_lo, 0, v64
	s_delay_alu instid0(VALU_DEP_2) | instskip(NEXT) | instid1(VALU_DEP_4)
	v_cndmask_b32_e32 v52, v69, v66, vcc_lo
	v_cndmask_b32_e32 v64, v67, v65, vcc_lo
	v_cmp_ne_u32_e32 vcc_lo, 0, v51
	v_xor_b32_e32 v65, s6, v68
	s_delay_alu instid0(VALU_DEP_4) | instskip(NEXT) | instid1(VALU_DEP_4)
	v_cndmask_b32_e32 v51, v60, v52, vcc_lo
	v_cndmask_b32_e32 v52, v56, v64, vcc_lo
	s_delay_alu instid0(VALU_DEP_2) | instskip(NEXT) | instid1(VALU_DEP_2)
	v_xor_b32_e32 v56, v51, v65
	v_xor_b32_e32 v52, v52, v65
	s_delay_alu instid0(VALU_DEP_1) | instskip(NEXT) | instid1(VALU_DEP_3)
	v_sub_co_u32 v51, vcc_lo, v52, v65
	v_sub_co_ci_u32_e32 v52, vcc_lo, v56, v65, vcc_lo
.LBB1169_289:
	s_and_not1_saveexec_b32 s5, s11
	s_cbranch_execz .LBB1169_291
; %bb.290:
	v_cvt_f32_u32_e32 v51, s44
	s_sub_i32 s6, 0, s44
	s_delay_alu instid0(VALU_DEP_1) | instskip(SKIP_2) | instid1(VALU_DEP_1)
	v_rcp_iflag_f32_e32 v51, v51
	s_waitcnt_depctr 0xfff
	v_mul_f32_e32 v51, 0x4f7ffffe, v51
	v_cvt_u32_f32_e32 v51, v51
	s_delay_alu instid0(VALU_DEP_1) | instskip(NEXT) | instid1(VALU_DEP_1)
	v_mul_lo_u32 v52, s6, v51
	v_mul_hi_u32 v52, v51, v52
	s_delay_alu instid0(VALU_DEP_1) | instskip(NEXT) | instid1(VALU_DEP_1)
	v_add_nc_u32_e32 v51, v51, v52
	v_mul_hi_u32 v51, v53, v51
	s_delay_alu instid0(VALU_DEP_1) | instskip(SKIP_1) | instid1(VALU_DEP_2)
	v_mul_lo_u32 v52, v51, s44
	v_add_nc_u32_e32 v56, 1, v51
	v_sub_nc_u32_e32 v52, v53, v52
	s_delay_alu instid0(VALU_DEP_1) | instskip(SKIP_1) | instid1(VALU_DEP_2)
	v_subrev_nc_u32_e32 v60, s44, v52
	v_cmp_le_u32_e32 vcc_lo, s44, v52
	v_cndmask_b32_e32 v52, v52, v60, vcc_lo
	v_cndmask_b32_e32 v51, v51, v56, vcc_lo
	s_delay_alu instid0(VALU_DEP_2) | instskip(SKIP_1) | instid1(VALU_DEP_3)
	v_cmp_le_u32_e32 vcc_lo, s44, v52
	v_mov_b32_e32 v52, 0
	v_add_nc_u32_e32 v56, 1, v51
	s_delay_alu instid0(VALU_DEP_1)
	v_cndmask_b32_e32 v51, v51, v56, vcc_lo
.LBB1169_291:
	s_or_b32 exec_lo, exec_lo, s5
	s_delay_alu instid0(VALU_DEP_1) | instskip(NEXT) | instid1(VALU_DEP_2)
	v_mul_lo_u32 v56, v52, s44
	v_mul_lo_u32 v60, v51, s45
	v_mad_u64_u32 v[64:65], null, v51, s44, 0
	s_delay_alu instid0(VALU_DEP_1) | instskip(NEXT) | instid1(VALU_DEP_2)
	v_add3_u32 v56, v65, v60, v56
	v_sub_co_u32 v53, vcc_lo, v53, v64
	s_delay_alu instid0(VALU_DEP_2) | instskip(NEXT) | instid1(VALU_DEP_2)
	v_sub_co_ci_u32_e32 v54, vcc_lo, v54, v56, vcc_lo
	v_add_co_u32 v51, vcc_lo, v51, v53
	s_delay_alu instid0(VALU_DEP_2)
	v_add_co_ci_u32_e32 v52, vcc_lo, v52, v54, vcc_lo
	s_or_b32 exec_lo, exec_lo, s10
                                        ; implicit-def: $vgpr53_vgpr54
	s_and_saveexec_b32 s5, s4
	s_cbranch_execz .LBB1169_230
.LBB1169_292:
	v_add_co_u32 v55, s4, s30, v55
	s_delay_alu instid0(VALU_DEP_1) | instskip(SKIP_1) | instid1(VALU_DEP_2)
	v_add_co_ci_u32_e64 v56, null, s31, 0, s4
	v_mov_b32_e32 v53, 0
	v_or_b32_e32 v54, s45, v56
	s_delay_alu instid0(VALU_DEP_1) | instskip(SKIP_1) | instid1(SALU_CYCLE_1)
	v_cmp_ne_u64_e32 vcc_lo, 0, v[53:54]
                                        ; implicit-def: $vgpr53_vgpr54
	s_and_saveexec_b32 s4, vcc_lo
	s_xor_b32 s10, exec_lo, s4
	s_cbranch_execz .LBB1169_294
; %bb.293:
	s_ashr_i32 s6, s45, 31
	s_delay_alu instid0(SALU_CYCLE_1) | instskip(SKIP_2) | instid1(SALU_CYCLE_1)
	s_add_u32 s8, s44, s6
	s_mov_b32 s7, s6
	s_addc_u32 s9, s45, s6
	s_xor_b64 s[8:9], s[8:9], s[6:7]
	s_delay_alu instid0(SALU_CYCLE_1) | instskip(SKIP_3) | instid1(VALU_DEP_1)
	v_cvt_f32_u32_e32 v53, s8
	v_cvt_f32_u32_e32 v54, s9
	s_sub_u32 s4, 0, s8
	s_subb_u32 s7, 0, s9
	v_fmamk_f32 v53, v54, 0x4f800000, v53
	s_delay_alu instid0(VALU_DEP_1) | instskip(SKIP_2) | instid1(VALU_DEP_1)
	v_rcp_f32_e32 v53, v53
	s_waitcnt_depctr 0xfff
	v_mul_f32_e32 v53, 0x5f7ffffc, v53
	v_mul_f32_e32 v54, 0x2f800000, v53
	s_delay_alu instid0(VALU_DEP_1) | instskip(NEXT) | instid1(VALU_DEP_1)
	v_trunc_f32_e32 v54, v54
	v_fmamk_f32 v53, v54, 0xcf800000, v53
	v_cvt_u32_f32_e32 v54, v54
	s_delay_alu instid0(VALU_DEP_2) | instskip(NEXT) | instid1(VALU_DEP_2)
	v_cvt_u32_f32_e32 v53, v53
	v_mul_lo_u32 v60, s4, v54
	s_delay_alu instid0(VALU_DEP_2) | instskip(SKIP_1) | instid1(VALU_DEP_2)
	v_mul_hi_u32 v64, s4, v53
	v_mul_lo_u32 v65, s7, v53
	v_add_nc_u32_e32 v60, v64, v60
	v_mul_lo_u32 v64, s4, v53
	s_delay_alu instid0(VALU_DEP_2) | instskip(NEXT) | instid1(VALU_DEP_2)
	v_add_nc_u32_e32 v60, v60, v65
	v_mul_hi_u32 v65, v53, v64
	s_delay_alu instid0(VALU_DEP_2)
	v_mul_lo_u32 v66, v53, v60
	v_mul_hi_u32 v67, v53, v60
	v_mul_hi_u32 v68, v54, v64
	v_mul_lo_u32 v64, v54, v64
	v_mul_hi_u32 v69, v54, v60
	v_mul_lo_u32 v60, v54, v60
	v_add_co_u32 v65, vcc_lo, v65, v66
	v_add_co_ci_u32_e32 v66, vcc_lo, 0, v67, vcc_lo
	s_delay_alu instid0(VALU_DEP_2) | instskip(NEXT) | instid1(VALU_DEP_2)
	v_add_co_u32 v64, vcc_lo, v65, v64
	v_add_co_ci_u32_e32 v64, vcc_lo, v66, v68, vcc_lo
	v_add_co_ci_u32_e32 v65, vcc_lo, 0, v69, vcc_lo
	v_ashrrev_i32_e32 v68, 31, v56
	s_delay_alu instid0(VALU_DEP_3) | instskip(NEXT) | instid1(VALU_DEP_3)
	v_add_co_u32 v60, vcc_lo, v64, v60
	v_add_co_ci_u32_e32 v64, vcc_lo, 0, v65, vcc_lo
	s_delay_alu instid0(VALU_DEP_2) | instskip(NEXT) | instid1(VALU_DEP_2)
	v_add_co_u32 v53, vcc_lo, v53, v60
	v_add_co_ci_u32_e32 v54, vcc_lo, v54, v64, vcc_lo
	s_delay_alu instid0(VALU_DEP_2) | instskip(SKIP_1) | instid1(VALU_DEP_3)
	v_mul_hi_u32 v60, s4, v53
	v_mul_lo_u32 v65, s7, v53
	v_mul_lo_u32 v64, s4, v54
	s_delay_alu instid0(VALU_DEP_1) | instskip(SKIP_1) | instid1(VALU_DEP_2)
	v_add_nc_u32_e32 v60, v60, v64
	v_mul_lo_u32 v64, s4, v53
	v_add_nc_u32_e32 v60, v60, v65
	s_delay_alu instid0(VALU_DEP_2) | instskip(NEXT) | instid1(VALU_DEP_2)
	v_mul_hi_u32 v65, v53, v64
	v_mul_lo_u32 v66, v53, v60
	v_mul_hi_u32 v67, v53, v60
	v_mul_hi_u32 v69, v54, v64
	v_mul_lo_u32 v64, v54, v64
	v_mul_hi_u32 v70, v54, v60
	v_mul_lo_u32 v60, v54, v60
	v_add_co_u32 v65, vcc_lo, v65, v66
	v_add_co_ci_u32_e32 v66, vcc_lo, 0, v67, vcc_lo
	s_delay_alu instid0(VALU_DEP_2) | instskip(NEXT) | instid1(VALU_DEP_2)
	v_add_co_u32 v64, vcc_lo, v65, v64
	v_add_co_ci_u32_e32 v64, vcc_lo, v66, v69, vcc_lo
	v_add_co_ci_u32_e32 v65, vcc_lo, 0, v70, vcc_lo
	v_add_co_u32 v66, vcc_lo, v55, v68
	v_add_co_ci_u32_e32 v67, vcc_lo, v56, v68, vcc_lo
	s_delay_alu instid0(VALU_DEP_4) | instskip(NEXT) | instid1(VALU_DEP_4)
	v_add_co_u32 v60, vcc_lo, v64, v60
	v_add_co_ci_u32_e32 v64, vcc_lo, 0, v65, vcc_lo
	s_delay_alu instid0(VALU_DEP_4) | instskip(NEXT) | instid1(VALU_DEP_3)
	v_xor_b32_e32 v69, v66, v68
	v_add_co_u32 v60, vcc_lo, v53, v60
	s_delay_alu instid0(VALU_DEP_3) | instskip(SKIP_1) | instid1(VALU_DEP_3)
	v_add_co_ci_u32_e32 v70, vcc_lo, v54, v64, vcc_lo
	v_xor_b32_e32 v71, v67, v68
	v_mul_hi_u32 v72, v69, v60
	s_delay_alu instid0(VALU_DEP_3) | instskip(NEXT) | instid1(VALU_DEP_3)
	v_mad_u64_u32 v[53:54], null, v69, v70, 0
	v_mad_u64_u32 v[64:65], null, v71, v60, 0
	;; [unrolled: 1-line block ×3, first 2 shown]
	s_delay_alu instid0(VALU_DEP_3) | instskip(NEXT) | instid1(VALU_DEP_4)
	v_add_co_u32 v53, vcc_lo, v72, v53
	v_add_co_ci_u32_e32 v54, vcc_lo, 0, v54, vcc_lo
	s_delay_alu instid0(VALU_DEP_2) | instskip(NEXT) | instid1(VALU_DEP_2)
	v_add_co_u32 v53, vcc_lo, v53, v64
	v_add_co_ci_u32_e32 v53, vcc_lo, v54, v65, vcc_lo
	v_add_co_ci_u32_e32 v54, vcc_lo, 0, v67, vcc_lo
	s_delay_alu instid0(VALU_DEP_2) | instskip(NEXT) | instid1(VALU_DEP_2)
	v_add_co_u32 v60, vcc_lo, v53, v66
	v_add_co_ci_u32_e32 v64, vcc_lo, 0, v54, vcc_lo
	s_delay_alu instid0(VALU_DEP_2) | instskip(SKIP_1) | instid1(VALU_DEP_3)
	v_mul_lo_u32 v65, s9, v60
	v_mad_u64_u32 v[53:54], null, s8, v60, 0
	v_mul_lo_u32 v66, s8, v64
	s_delay_alu instid0(VALU_DEP_2) | instskip(NEXT) | instid1(VALU_DEP_2)
	v_sub_co_u32 v53, vcc_lo, v69, v53
	v_add3_u32 v54, v54, v66, v65
	s_delay_alu instid0(VALU_DEP_1) | instskip(NEXT) | instid1(VALU_DEP_1)
	v_sub_nc_u32_e32 v65, v71, v54
	v_subrev_co_ci_u32_e64 v65, s4, s9, v65, vcc_lo
	v_add_co_u32 v66, s4, v60, 2
	s_delay_alu instid0(VALU_DEP_1) | instskip(SKIP_3) | instid1(VALU_DEP_3)
	v_add_co_ci_u32_e64 v67, s4, 0, v64, s4
	v_sub_co_u32 v69, s4, v53, s8
	v_sub_co_ci_u32_e32 v54, vcc_lo, v71, v54, vcc_lo
	v_subrev_co_ci_u32_e64 v65, s4, 0, v65, s4
	v_cmp_le_u32_e32 vcc_lo, s8, v69
	s_delay_alu instid0(VALU_DEP_3) | instskip(SKIP_1) | instid1(VALU_DEP_4)
	v_cmp_eq_u32_e64 s4, s9, v54
	v_cndmask_b32_e64 v69, 0, -1, vcc_lo
	v_cmp_le_u32_e32 vcc_lo, s9, v65
	v_cndmask_b32_e64 v70, 0, -1, vcc_lo
	v_cmp_le_u32_e32 vcc_lo, s8, v53
	;; [unrolled: 2-line block ×3, first 2 shown]
	v_cndmask_b32_e64 v71, 0, -1, vcc_lo
	v_cmp_eq_u32_e32 vcc_lo, s9, v65
	s_delay_alu instid0(VALU_DEP_2) | instskip(SKIP_3) | instid1(VALU_DEP_3)
	v_cndmask_b32_e64 v53, v71, v53, s4
	v_cndmask_b32_e32 v65, v70, v69, vcc_lo
	v_add_co_u32 v69, vcc_lo, v60, 1
	v_add_co_ci_u32_e32 v70, vcc_lo, 0, v64, vcc_lo
	v_cmp_ne_u32_e32 vcc_lo, 0, v65
	s_delay_alu instid0(VALU_DEP_2) | instskip(SKIP_2) | instid1(VALU_DEP_3)
	v_dual_cndmask_b32 v54, v70, v67 :: v_dual_cndmask_b32 v65, v69, v66
	v_cmp_ne_u32_e32 vcc_lo, 0, v53
	v_xor_b32_e32 v66, s6, v68
	v_cndmask_b32_e32 v53, v64, v54, vcc_lo
	s_delay_alu instid0(VALU_DEP_4) | instskip(NEXT) | instid1(VALU_DEP_2)
	v_cndmask_b32_e32 v54, v60, v65, vcc_lo
	v_xor_b32_e32 v60, v53, v66
	s_delay_alu instid0(VALU_DEP_2) | instskip(NEXT) | instid1(VALU_DEP_1)
	v_xor_b32_e32 v54, v54, v66
	v_sub_co_u32 v53, vcc_lo, v54, v66
	s_delay_alu instid0(VALU_DEP_3)
	v_sub_co_ci_u32_e32 v54, vcc_lo, v60, v66, vcc_lo
.LBB1169_294:
	s_and_not1_saveexec_b32 s4, s10
	s_cbranch_execz .LBB1169_296
; %bb.295:
	v_cvt_f32_u32_e32 v53, s44
	s_sub_i32 s6, 0, s44
	s_delay_alu instid0(VALU_DEP_1) | instskip(SKIP_2) | instid1(VALU_DEP_1)
	v_rcp_iflag_f32_e32 v53, v53
	s_waitcnt_depctr 0xfff
	v_mul_f32_e32 v53, 0x4f7ffffe, v53
	v_cvt_u32_f32_e32 v53, v53
	s_delay_alu instid0(VALU_DEP_1) | instskip(NEXT) | instid1(VALU_DEP_1)
	v_mul_lo_u32 v54, s6, v53
	v_mul_hi_u32 v54, v53, v54
	s_delay_alu instid0(VALU_DEP_1) | instskip(NEXT) | instid1(VALU_DEP_1)
	v_add_nc_u32_e32 v53, v53, v54
	v_mul_hi_u32 v53, v55, v53
	s_delay_alu instid0(VALU_DEP_1) | instskip(SKIP_1) | instid1(VALU_DEP_2)
	v_mul_lo_u32 v54, v53, s44
	v_add_nc_u32_e32 v60, 1, v53
	v_sub_nc_u32_e32 v54, v55, v54
	s_delay_alu instid0(VALU_DEP_1) | instskip(SKIP_1) | instid1(VALU_DEP_2)
	v_subrev_nc_u32_e32 v64, s44, v54
	v_cmp_le_u32_e32 vcc_lo, s44, v54
	v_cndmask_b32_e32 v54, v54, v64, vcc_lo
	v_cndmask_b32_e32 v53, v53, v60, vcc_lo
	s_delay_alu instid0(VALU_DEP_2) | instskip(SKIP_1) | instid1(VALU_DEP_3)
	v_cmp_le_u32_e32 vcc_lo, s44, v54
	v_mov_b32_e32 v54, 0
	v_add_nc_u32_e32 v60, 1, v53
	s_delay_alu instid0(VALU_DEP_1)
	v_cndmask_b32_e32 v53, v53, v60, vcc_lo
.LBB1169_296:
	s_or_b32 exec_lo, exec_lo, s4
	s_delay_alu instid0(VALU_DEP_1) | instskip(NEXT) | instid1(VALU_DEP_2)
	v_mul_lo_u32 v60, v54, s44
	v_mul_lo_u32 v66, v53, s45
	v_mad_u64_u32 v[64:65], null, v53, s44, 0
	s_delay_alu instid0(VALU_DEP_1) | instskip(NEXT) | instid1(VALU_DEP_2)
	v_add3_u32 v60, v65, v66, v60
	v_sub_co_u32 v55, vcc_lo, v55, v64
	s_delay_alu instid0(VALU_DEP_2) | instskip(NEXT) | instid1(VALU_DEP_2)
	v_sub_co_ci_u32_e32 v56, vcc_lo, v56, v60, vcc_lo
	v_add_co_u32 v53, vcc_lo, v53, v55
	s_delay_alu instid0(VALU_DEP_2)
	v_add_co_ci_u32_e32 v54, vcc_lo, v54, v56, vcc_lo
	s_or_b32 exec_lo, exec_lo, s5
                                        ; implicit-def: $vgpr55_vgpr56
	s_and_saveexec_b32 s8, s1
	s_cbranch_execz .LBB1169_231
.LBB1169_297:
	v_add_co_u32 v59, s1, s30, v59
	s_delay_alu instid0(VALU_DEP_1) | instskip(SKIP_1) | instid1(VALU_DEP_2)
	v_add_co_ci_u32_e64 v60, null, s31, 0, s1
	v_mov_b32_e32 v55, 0
	v_or_b32_e32 v56, s45, v60
	s_delay_alu instid0(VALU_DEP_1) | instskip(SKIP_1) | instid1(SALU_CYCLE_1)
	v_cmp_ne_u64_e32 vcc_lo, 0, v[55:56]
                                        ; implicit-def: $vgpr55_vgpr56
	s_and_saveexec_b32 s1, vcc_lo
	s_xor_b32 s9, exec_lo, s1
	s_cbranch_execz .LBB1169_299
; %bb.298:
	s_ashr_i32 s4, s45, 31
	s_delay_alu instid0(SALU_CYCLE_1) | instskip(SKIP_2) | instid1(SALU_CYCLE_1)
	s_add_u32 s6, s44, s4
	s_mov_b32 s5, s4
	s_addc_u32 s7, s45, s4
	s_xor_b64 s[6:7], s[6:7], s[4:5]
	s_delay_alu instid0(SALU_CYCLE_1) | instskip(SKIP_3) | instid1(VALU_DEP_1)
	v_cvt_f32_u32_e32 v55, s6
	v_cvt_f32_u32_e32 v56, s7
	s_sub_u32 s1, 0, s6
	s_subb_u32 s5, 0, s7
	v_fmamk_f32 v55, v56, 0x4f800000, v55
	s_delay_alu instid0(VALU_DEP_1) | instskip(SKIP_2) | instid1(VALU_DEP_1)
	v_rcp_f32_e32 v55, v55
	s_waitcnt_depctr 0xfff
	v_mul_f32_e32 v55, 0x5f7ffffc, v55
	v_mul_f32_e32 v56, 0x2f800000, v55
	s_delay_alu instid0(VALU_DEP_1) | instskip(NEXT) | instid1(VALU_DEP_1)
	v_trunc_f32_e32 v56, v56
	v_fmamk_f32 v55, v56, 0xcf800000, v55
	v_cvt_u32_f32_e32 v56, v56
	s_delay_alu instid0(VALU_DEP_2) | instskip(NEXT) | instid1(VALU_DEP_2)
	v_cvt_u32_f32_e32 v55, v55
	v_mul_lo_u32 v64, s1, v56
	s_delay_alu instid0(VALU_DEP_2) | instskip(SKIP_1) | instid1(VALU_DEP_2)
	v_mul_hi_u32 v65, s1, v55
	v_mul_lo_u32 v66, s5, v55
	v_add_nc_u32_e32 v64, v65, v64
	v_mul_lo_u32 v65, s1, v55
	s_delay_alu instid0(VALU_DEP_2) | instskip(NEXT) | instid1(VALU_DEP_2)
	v_add_nc_u32_e32 v64, v64, v66
	v_mul_hi_u32 v66, v55, v65
	s_delay_alu instid0(VALU_DEP_2)
	v_mul_lo_u32 v67, v55, v64
	v_mul_hi_u32 v68, v55, v64
	v_mul_hi_u32 v69, v56, v65
	v_mul_lo_u32 v65, v56, v65
	v_mul_hi_u32 v70, v56, v64
	v_mul_lo_u32 v64, v56, v64
	v_add_co_u32 v66, vcc_lo, v66, v67
	v_add_co_ci_u32_e32 v67, vcc_lo, 0, v68, vcc_lo
	s_delay_alu instid0(VALU_DEP_2) | instskip(NEXT) | instid1(VALU_DEP_2)
	v_add_co_u32 v65, vcc_lo, v66, v65
	v_add_co_ci_u32_e32 v65, vcc_lo, v67, v69, vcc_lo
	v_add_co_ci_u32_e32 v66, vcc_lo, 0, v70, vcc_lo
	v_ashrrev_i32_e32 v69, 31, v60
	s_delay_alu instid0(VALU_DEP_3) | instskip(NEXT) | instid1(VALU_DEP_3)
	v_add_co_u32 v64, vcc_lo, v65, v64
	v_add_co_ci_u32_e32 v65, vcc_lo, 0, v66, vcc_lo
	s_delay_alu instid0(VALU_DEP_2) | instskip(NEXT) | instid1(VALU_DEP_2)
	v_add_co_u32 v55, vcc_lo, v55, v64
	v_add_co_ci_u32_e32 v56, vcc_lo, v56, v65, vcc_lo
	s_delay_alu instid0(VALU_DEP_2) | instskip(SKIP_1) | instid1(VALU_DEP_3)
	v_mul_hi_u32 v64, s1, v55
	v_mul_lo_u32 v66, s5, v55
	v_mul_lo_u32 v65, s1, v56
	s_delay_alu instid0(VALU_DEP_1) | instskip(SKIP_1) | instid1(VALU_DEP_2)
	v_add_nc_u32_e32 v64, v64, v65
	v_mul_lo_u32 v65, s1, v55
	v_add_nc_u32_e32 v64, v64, v66
	s_delay_alu instid0(VALU_DEP_2) | instskip(NEXT) | instid1(VALU_DEP_2)
	v_mul_hi_u32 v66, v55, v65
	v_mul_lo_u32 v67, v55, v64
	v_mul_hi_u32 v68, v55, v64
	v_mul_hi_u32 v70, v56, v65
	v_mul_lo_u32 v65, v56, v65
	v_mul_hi_u32 v71, v56, v64
	v_mul_lo_u32 v64, v56, v64
	v_add_co_u32 v66, vcc_lo, v66, v67
	v_add_co_ci_u32_e32 v67, vcc_lo, 0, v68, vcc_lo
	s_delay_alu instid0(VALU_DEP_2) | instskip(NEXT) | instid1(VALU_DEP_2)
	v_add_co_u32 v65, vcc_lo, v66, v65
	v_add_co_ci_u32_e32 v65, vcc_lo, v67, v70, vcc_lo
	v_add_co_ci_u32_e32 v66, vcc_lo, 0, v71, vcc_lo
	v_add_co_u32 v67, vcc_lo, v59, v69
	v_add_co_ci_u32_e32 v68, vcc_lo, v60, v69, vcc_lo
	s_delay_alu instid0(VALU_DEP_4) | instskip(NEXT) | instid1(VALU_DEP_4)
	v_add_co_u32 v64, vcc_lo, v65, v64
	v_add_co_ci_u32_e32 v65, vcc_lo, 0, v66, vcc_lo
	s_delay_alu instid0(VALU_DEP_4) | instskip(NEXT) | instid1(VALU_DEP_3)
	v_xor_b32_e32 v70, v67, v69
	v_add_co_u32 v66, vcc_lo, v55, v64
	s_delay_alu instid0(VALU_DEP_3) | instskip(SKIP_1) | instid1(VALU_DEP_3)
	v_add_co_ci_u32_e32 v71, vcc_lo, v56, v65, vcc_lo
	v_xor_b32_e32 v68, v68, v69
	v_mul_hi_u32 v72, v70, v66
	s_delay_alu instid0(VALU_DEP_3) | instskip(NEXT) | instid1(VALU_DEP_3)
	v_mad_u64_u32 v[55:56], null, v70, v71, 0
	v_mad_u64_u32 v[64:65], null, v68, v66, 0
	;; [unrolled: 1-line block ×3, first 2 shown]
	s_delay_alu instid0(VALU_DEP_3) | instskip(NEXT) | instid1(VALU_DEP_4)
	v_add_co_u32 v55, vcc_lo, v72, v55
	v_add_co_ci_u32_e32 v56, vcc_lo, 0, v56, vcc_lo
	s_delay_alu instid0(VALU_DEP_2) | instskip(NEXT) | instid1(VALU_DEP_2)
	v_add_co_u32 v55, vcc_lo, v55, v64
	v_add_co_ci_u32_e32 v55, vcc_lo, v56, v65, vcc_lo
	v_add_co_ci_u32_e32 v56, vcc_lo, 0, v67, vcc_lo
	s_delay_alu instid0(VALU_DEP_2) | instskip(NEXT) | instid1(VALU_DEP_2)
	v_add_co_u32 v64, vcc_lo, v55, v66
	v_add_co_ci_u32_e32 v65, vcc_lo, 0, v56, vcc_lo
	s_delay_alu instid0(VALU_DEP_2) | instskip(SKIP_1) | instid1(VALU_DEP_3)
	v_mul_lo_u32 v66, s7, v64
	v_mad_u64_u32 v[55:56], null, s6, v64, 0
	v_mul_lo_u32 v67, s6, v65
	s_delay_alu instid0(VALU_DEP_2) | instskip(NEXT) | instid1(VALU_DEP_2)
	v_sub_co_u32 v55, vcc_lo, v70, v55
	v_add3_u32 v56, v56, v67, v66
	s_delay_alu instid0(VALU_DEP_1) | instskip(NEXT) | instid1(VALU_DEP_1)
	v_sub_nc_u32_e32 v66, v68, v56
	v_subrev_co_ci_u32_e64 v66, s1, s7, v66, vcc_lo
	v_add_co_u32 v67, s1, v64, 2
	s_delay_alu instid0(VALU_DEP_1) | instskip(SKIP_3) | instid1(VALU_DEP_3)
	v_add_co_ci_u32_e64 v70, s1, 0, v65, s1
	v_sub_co_u32 v71, s1, v55, s6
	v_sub_co_ci_u32_e32 v56, vcc_lo, v68, v56, vcc_lo
	v_subrev_co_ci_u32_e64 v66, s1, 0, v66, s1
	v_cmp_le_u32_e32 vcc_lo, s6, v71
	s_delay_alu instid0(VALU_DEP_3) | instskip(SKIP_1) | instid1(VALU_DEP_4)
	v_cmp_eq_u32_e64 s1, s7, v56
	v_cndmask_b32_e64 v68, 0, -1, vcc_lo
	v_cmp_le_u32_e32 vcc_lo, s7, v66
	v_cndmask_b32_e64 v71, 0, -1, vcc_lo
	v_cmp_le_u32_e32 vcc_lo, s6, v55
	;; [unrolled: 2-line block ×3, first 2 shown]
	v_cndmask_b32_e64 v72, 0, -1, vcc_lo
	v_cmp_eq_u32_e32 vcc_lo, s7, v66
	s_delay_alu instid0(VALU_DEP_2) | instskip(SKIP_3) | instid1(VALU_DEP_3)
	v_cndmask_b32_e64 v55, v72, v55, s1
	v_cndmask_b32_e32 v66, v71, v68, vcc_lo
	v_add_co_u32 v68, vcc_lo, v64, 1
	v_add_co_ci_u32_e32 v71, vcc_lo, 0, v65, vcc_lo
	v_cmp_ne_u32_e32 vcc_lo, 0, v66
	s_delay_alu instid0(VALU_DEP_2) | instskip(NEXT) | instid1(VALU_DEP_4)
	v_cndmask_b32_e32 v56, v71, v70, vcc_lo
	v_cndmask_b32_e32 v66, v68, v67, vcc_lo
	v_cmp_ne_u32_e32 vcc_lo, 0, v55
	v_xor_b32_e32 v67, s4, v69
	s_delay_alu instid0(VALU_DEP_3) | instskip(NEXT) | instid1(VALU_DEP_1)
	v_dual_cndmask_b32 v55, v65, v56 :: v_dual_cndmask_b32 v56, v64, v66
	v_xor_b32_e32 v64, v55, v67
	s_delay_alu instid0(VALU_DEP_2) | instskip(NEXT) | instid1(VALU_DEP_1)
	v_xor_b32_e32 v56, v56, v67
	v_sub_co_u32 v55, vcc_lo, v56, v67
	s_delay_alu instid0(VALU_DEP_3)
	v_sub_co_ci_u32_e32 v56, vcc_lo, v64, v67, vcc_lo
.LBB1169_299:
	s_and_not1_saveexec_b32 s1, s9
	s_cbranch_execz .LBB1169_301
; %bb.300:
	v_cvt_f32_u32_e32 v55, s44
	s_sub_i32 s4, 0, s44
	s_delay_alu instid0(VALU_DEP_1) | instskip(SKIP_2) | instid1(VALU_DEP_1)
	v_rcp_iflag_f32_e32 v55, v55
	s_waitcnt_depctr 0xfff
	v_mul_f32_e32 v55, 0x4f7ffffe, v55
	v_cvt_u32_f32_e32 v55, v55
	s_delay_alu instid0(VALU_DEP_1) | instskip(NEXT) | instid1(VALU_DEP_1)
	v_mul_lo_u32 v56, s4, v55
	v_mul_hi_u32 v56, v55, v56
	s_delay_alu instid0(VALU_DEP_1) | instskip(NEXT) | instid1(VALU_DEP_1)
	v_add_nc_u32_e32 v55, v55, v56
	v_mul_hi_u32 v55, v59, v55
	s_delay_alu instid0(VALU_DEP_1) | instskip(SKIP_1) | instid1(VALU_DEP_2)
	v_mul_lo_u32 v56, v55, s44
	v_add_nc_u32_e32 v64, 1, v55
	v_sub_nc_u32_e32 v56, v59, v56
	s_delay_alu instid0(VALU_DEP_1) | instskip(SKIP_1) | instid1(VALU_DEP_2)
	v_subrev_nc_u32_e32 v65, s44, v56
	v_cmp_le_u32_e32 vcc_lo, s44, v56
	v_dual_cndmask_b32 v56, v56, v65 :: v_dual_cndmask_b32 v55, v55, v64
	s_delay_alu instid0(VALU_DEP_1) | instskip(SKIP_1) | instid1(VALU_DEP_3)
	v_cmp_le_u32_e32 vcc_lo, s44, v56
	v_mov_b32_e32 v56, 0
	v_add_nc_u32_e32 v64, 1, v55
	s_delay_alu instid0(VALU_DEP_1)
	v_cndmask_b32_e32 v55, v55, v64, vcc_lo
.LBB1169_301:
	s_or_b32 exec_lo, exec_lo, s1
	s_delay_alu instid0(VALU_DEP_1) | instskip(NEXT) | instid1(VALU_DEP_2)
	v_mul_lo_u32 v66, v56, s44
	v_mul_lo_u32 v67, v55, s45
	v_mad_u64_u32 v[64:65], null, v55, s44, 0
	s_delay_alu instid0(VALU_DEP_1) | instskip(NEXT) | instid1(VALU_DEP_2)
	v_add3_u32 v65, v65, v67, v66
	v_sub_co_u32 v59, vcc_lo, v59, v64
	s_delay_alu instid0(VALU_DEP_2) | instskip(NEXT) | instid1(VALU_DEP_2)
	v_sub_co_ci_u32_e32 v60, vcc_lo, v60, v65, vcc_lo
	v_add_co_u32 v55, vcc_lo, v55, v59
	s_delay_alu instid0(VALU_DEP_2)
	v_add_co_ci_u32_e32 v56, vcc_lo, v56, v60, vcc_lo
	s_or_b32 exec_lo, exec_lo, s8
                                        ; implicit-def: $vgpr59_vgpr60
	s_and_saveexec_b32 s1, s0
	s_cbranch_execz .LBB1169_307
.LBB1169_302:
	v_add_co_u32 v63, s0, s30, v63
	s_delay_alu instid0(VALU_DEP_1) | instskip(SKIP_1) | instid1(VALU_DEP_2)
	v_add_co_ci_u32_e64 v64, null, s31, 0, s0
	v_mov_b32_e32 v59, 0
	v_or_b32_e32 v60, s45, v64
	s_delay_alu instid0(VALU_DEP_1) | instskip(SKIP_1) | instid1(SALU_CYCLE_1)
	v_cmp_ne_u64_e32 vcc_lo, 0, v[59:60]
                                        ; implicit-def: $vgpr59_vgpr60
	s_and_saveexec_b32 s0, vcc_lo
	s_xor_b32 s8, exec_lo, s0
	s_cbranch_execz .LBB1169_304
; %bb.303:
	s_ashr_i32 s4, s45, 31
	s_delay_alu instid0(SALU_CYCLE_1) | instskip(SKIP_2) | instid1(SALU_CYCLE_1)
	s_add_u32 s6, s44, s4
	s_mov_b32 s5, s4
	s_addc_u32 s7, s45, s4
	s_xor_b64 s[6:7], s[6:7], s[4:5]
	s_delay_alu instid0(SALU_CYCLE_1) | instskip(SKIP_3) | instid1(VALU_DEP_1)
	v_cvt_f32_u32_e32 v59, s6
	v_cvt_f32_u32_e32 v60, s7
	s_sub_u32 s0, 0, s6
	s_subb_u32 s5, 0, s7
	v_fmamk_f32 v59, v60, 0x4f800000, v59
	s_delay_alu instid0(VALU_DEP_1) | instskip(SKIP_2) | instid1(VALU_DEP_1)
	v_rcp_f32_e32 v59, v59
	s_waitcnt_depctr 0xfff
	v_mul_f32_e32 v59, 0x5f7ffffc, v59
	v_mul_f32_e32 v60, 0x2f800000, v59
	s_delay_alu instid0(VALU_DEP_1) | instskip(NEXT) | instid1(VALU_DEP_1)
	v_trunc_f32_e32 v60, v60
	v_fmamk_f32 v59, v60, 0xcf800000, v59
	v_cvt_u32_f32_e32 v60, v60
	s_delay_alu instid0(VALU_DEP_2) | instskip(NEXT) | instid1(VALU_DEP_2)
	v_cvt_u32_f32_e32 v59, v59
	v_mul_lo_u32 v65, s0, v60
	s_delay_alu instid0(VALU_DEP_2) | instskip(SKIP_1) | instid1(VALU_DEP_2)
	v_mul_hi_u32 v66, s0, v59
	v_mul_lo_u32 v67, s5, v59
	v_add_nc_u32_e32 v65, v66, v65
	v_mul_lo_u32 v66, s0, v59
	s_delay_alu instid0(VALU_DEP_2) | instskip(NEXT) | instid1(VALU_DEP_2)
	v_add_nc_u32_e32 v65, v65, v67
	v_mul_hi_u32 v67, v59, v66
	s_delay_alu instid0(VALU_DEP_2)
	v_mul_lo_u32 v68, v59, v65
	v_mul_hi_u32 v69, v59, v65
	v_mul_hi_u32 v70, v60, v66
	v_mul_lo_u32 v66, v60, v66
	v_mul_hi_u32 v71, v60, v65
	v_mul_lo_u32 v65, v60, v65
	v_add_co_u32 v67, vcc_lo, v67, v68
	v_add_co_ci_u32_e32 v68, vcc_lo, 0, v69, vcc_lo
	s_delay_alu instid0(VALU_DEP_2) | instskip(NEXT) | instid1(VALU_DEP_2)
	v_add_co_u32 v66, vcc_lo, v67, v66
	v_add_co_ci_u32_e32 v66, vcc_lo, v68, v70, vcc_lo
	v_add_co_ci_u32_e32 v67, vcc_lo, 0, v71, vcc_lo
	v_ashrrev_i32_e32 v70, 31, v64
	s_delay_alu instid0(VALU_DEP_3) | instskip(NEXT) | instid1(VALU_DEP_3)
	v_add_co_u32 v65, vcc_lo, v66, v65
	v_add_co_ci_u32_e32 v66, vcc_lo, 0, v67, vcc_lo
	s_delay_alu instid0(VALU_DEP_2) | instskip(NEXT) | instid1(VALU_DEP_2)
	v_add_co_u32 v59, vcc_lo, v59, v65
	v_add_co_ci_u32_e32 v60, vcc_lo, v60, v66, vcc_lo
	s_delay_alu instid0(VALU_DEP_2) | instskip(SKIP_1) | instid1(VALU_DEP_3)
	v_mul_hi_u32 v65, s0, v59
	v_mul_lo_u32 v67, s5, v59
	v_mul_lo_u32 v66, s0, v60
	s_delay_alu instid0(VALU_DEP_1) | instskip(SKIP_1) | instid1(VALU_DEP_2)
	v_add_nc_u32_e32 v65, v65, v66
	v_mul_lo_u32 v66, s0, v59
	v_add_nc_u32_e32 v65, v65, v67
	s_delay_alu instid0(VALU_DEP_2) | instskip(NEXT) | instid1(VALU_DEP_2)
	v_mul_hi_u32 v67, v59, v66
	v_mul_lo_u32 v68, v59, v65
	v_mul_hi_u32 v69, v59, v65
	v_mul_hi_u32 v71, v60, v66
	v_mul_lo_u32 v66, v60, v66
	v_mul_hi_u32 v72, v60, v65
	v_mul_lo_u32 v65, v60, v65
	v_add_co_u32 v67, vcc_lo, v67, v68
	v_add_co_ci_u32_e32 v68, vcc_lo, 0, v69, vcc_lo
	s_delay_alu instid0(VALU_DEP_2) | instskip(NEXT) | instid1(VALU_DEP_2)
	v_add_co_u32 v66, vcc_lo, v67, v66
	v_add_co_ci_u32_e32 v66, vcc_lo, v68, v71, vcc_lo
	v_add_co_ci_u32_e32 v67, vcc_lo, 0, v72, vcc_lo
	v_add_co_u32 v68, vcc_lo, v63, v70
	v_add_co_ci_u32_e32 v69, vcc_lo, v64, v70, vcc_lo
	s_delay_alu instid0(VALU_DEP_4) | instskip(NEXT) | instid1(VALU_DEP_4)
	v_add_co_u32 v65, vcc_lo, v66, v65
	v_add_co_ci_u32_e32 v66, vcc_lo, 0, v67, vcc_lo
	s_delay_alu instid0(VALU_DEP_4) | instskip(NEXT) | instid1(VALU_DEP_3)
	v_xor_b32_e32 v71, v68, v70
	v_add_co_u32 v67, vcc_lo, v59, v65
	s_delay_alu instid0(VALU_DEP_3) | instskip(SKIP_1) | instid1(VALU_DEP_3)
	v_add_co_ci_u32_e32 v72, vcc_lo, v60, v66, vcc_lo
	v_xor_b32_e32 v69, v69, v70
	v_mul_hi_u32 v73, v71, v67
	s_delay_alu instid0(VALU_DEP_3) | instskip(NEXT) | instid1(VALU_DEP_3)
	v_mad_u64_u32 v[59:60], null, v71, v72, 0
	v_mad_u64_u32 v[65:66], null, v69, v67, 0
	;; [unrolled: 1-line block ×3, first 2 shown]
	s_delay_alu instid0(VALU_DEP_3) | instskip(NEXT) | instid1(VALU_DEP_4)
	v_add_co_u32 v59, vcc_lo, v73, v59
	v_add_co_ci_u32_e32 v60, vcc_lo, 0, v60, vcc_lo
	s_delay_alu instid0(VALU_DEP_2) | instskip(NEXT) | instid1(VALU_DEP_2)
	v_add_co_u32 v59, vcc_lo, v59, v65
	v_add_co_ci_u32_e32 v59, vcc_lo, v60, v66, vcc_lo
	v_add_co_ci_u32_e32 v60, vcc_lo, 0, v68, vcc_lo
	s_delay_alu instid0(VALU_DEP_2) | instskip(NEXT) | instid1(VALU_DEP_2)
	v_add_co_u32 v65, vcc_lo, v59, v67
	v_add_co_ci_u32_e32 v66, vcc_lo, 0, v60, vcc_lo
	s_delay_alu instid0(VALU_DEP_2) | instskip(SKIP_1) | instid1(VALU_DEP_3)
	v_mul_lo_u32 v67, s7, v65
	v_mad_u64_u32 v[59:60], null, s6, v65, 0
	v_mul_lo_u32 v68, s6, v66
	s_delay_alu instid0(VALU_DEP_2) | instskip(NEXT) | instid1(VALU_DEP_2)
	v_sub_co_u32 v59, vcc_lo, v71, v59
	v_add3_u32 v60, v60, v68, v67
	s_delay_alu instid0(VALU_DEP_1) | instskip(NEXT) | instid1(VALU_DEP_1)
	v_sub_nc_u32_e32 v67, v69, v60
	v_subrev_co_ci_u32_e64 v67, s0, s7, v67, vcc_lo
	v_add_co_u32 v68, s0, v65, 2
	s_delay_alu instid0(VALU_DEP_1) | instskip(SKIP_3) | instid1(VALU_DEP_3)
	v_add_co_ci_u32_e64 v71, s0, 0, v66, s0
	v_sub_co_u32 v72, s0, v59, s6
	v_sub_co_ci_u32_e32 v60, vcc_lo, v69, v60, vcc_lo
	v_subrev_co_ci_u32_e64 v67, s0, 0, v67, s0
	v_cmp_le_u32_e32 vcc_lo, s6, v72
	s_delay_alu instid0(VALU_DEP_3) | instskip(SKIP_1) | instid1(VALU_DEP_4)
	v_cmp_eq_u32_e64 s0, s7, v60
	v_cndmask_b32_e64 v69, 0, -1, vcc_lo
	v_cmp_le_u32_e32 vcc_lo, s7, v67
	v_cndmask_b32_e64 v72, 0, -1, vcc_lo
	v_cmp_le_u32_e32 vcc_lo, s6, v59
	v_cndmask_b32_e64 v59, 0, -1, vcc_lo
	v_cmp_le_u32_e32 vcc_lo, s7, v60
	v_cndmask_b32_e64 v73, 0, -1, vcc_lo
	v_cmp_eq_u32_e32 vcc_lo, s7, v67
	s_delay_alu instid0(VALU_DEP_2) | instskip(SKIP_3) | instid1(VALU_DEP_3)
	v_cndmask_b32_e64 v59, v73, v59, s0
	v_cndmask_b32_e32 v67, v72, v69, vcc_lo
	v_add_co_u32 v69, vcc_lo, v65, 1
	v_add_co_ci_u32_e32 v72, vcc_lo, 0, v66, vcc_lo
	v_cmp_ne_u32_e32 vcc_lo, 0, v67
	s_delay_alu instid0(VALU_DEP_2) | instskip(SKIP_2) | instid1(VALU_DEP_3)
	v_dual_cndmask_b32 v60, v72, v71 :: v_dual_cndmask_b32 v67, v69, v68
	v_cmp_ne_u32_e32 vcc_lo, 0, v59
	v_xor_b32_e32 v68, s4, v70
	v_dual_cndmask_b32 v59, v66, v60 :: v_dual_cndmask_b32 v60, v65, v67
	s_delay_alu instid0(VALU_DEP_1) | instskip(NEXT) | instid1(VALU_DEP_2)
	v_xor_b32_e32 v65, v59, v68
	v_xor_b32_e32 v60, v60, v68
	s_delay_alu instid0(VALU_DEP_1) | instskip(NEXT) | instid1(VALU_DEP_3)
	v_sub_co_u32 v59, vcc_lo, v60, v68
	v_sub_co_ci_u32_e32 v60, vcc_lo, v65, v68, vcc_lo
.LBB1169_304:
	s_and_not1_saveexec_b32 s0, s8
	s_cbranch_execz .LBB1169_306
; %bb.305:
	v_cvt_f32_u32_e32 v59, s44
	s_sub_i32 s4, 0, s44
	s_delay_alu instid0(VALU_DEP_1) | instskip(SKIP_2) | instid1(VALU_DEP_1)
	v_rcp_iflag_f32_e32 v59, v59
	s_waitcnt_depctr 0xfff
	v_mul_f32_e32 v59, 0x4f7ffffe, v59
	v_cvt_u32_f32_e32 v59, v59
	s_delay_alu instid0(VALU_DEP_1) | instskip(NEXT) | instid1(VALU_DEP_1)
	v_mul_lo_u32 v60, s4, v59
	v_mul_hi_u32 v60, v59, v60
	s_delay_alu instid0(VALU_DEP_1) | instskip(NEXT) | instid1(VALU_DEP_1)
	v_add_nc_u32_e32 v59, v59, v60
	v_mul_hi_u32 v59, v63, v59
	s_delay_alu instid0(VALU_DEP_1) | instskip(SKIP_1) | instid1(VALU_DEP_2)
	v_mul_lo_u32 v60, v59, s44
	v_add_nc_u32_e32 v65, 1, v59
	v_sub_nc_u32_e32 v60, v63, v60
	s_delay_alu instid0(VALU_DEP_1) | instskip(SKIP_1) | instid1(VALU_DEP_2)
	v_subrev_nc_u32_e32 v66, s44, v60
	v_cmp_le_u32_e32 vcc_lo, s44, v60
	v_dual_cndmask_b32 v60, v60, v66 :: v_dual_cndmask_b32 v59, v59, v65
	s_delay_alu instid0(VALU_DEP_1) | instskip(NEXT) | instid1(VALU_DEP_2)
	v_cmp_le_u32_e32 vcc_lo, s44, v60
	v_dual_mov_b32 v60, 0 :: v_dual_add_nc_u32 v65, 1, v59
	s_delay_alu instid0(VALU_DEP_1)
	v_cndmask_b32_e32 v59, v59, v65, vcc_lo
.LBB1169_306:
	s_or_b32 exec_lo, exec_lo, s0
	s_delay_alu instid0(VALU_DEP_1) | instskip(NEXT) | instid1(VALU_DEP_2)
	v_mul_lo_u32 v67, v60, s44
	v_mul_lo_u32 v68, v59, s45
	v_mad_u64_u32 v[65:66], null, v59, s44, 0
	s_delay_alu instid0(VALU_DEP_1) | instskip(NEXT) | instid1(VALU_DEP_2)
	v_add3_u32 v66, v66, v68, v67
	v_sub_co_u32 v63, vcc_lo, v63, v65
	s_delay_alu instid0(VALU_DEP_2) | instskip(NEXT) | instid1(VALU_DEP_2)
	v_sub_co_ci_u32_e32 v64, vcc_lo, v64, v66, vcc_lo
	v_add_co_u32 v59, vcc_lo, v59, v63
	s_delay_alu instid0(VALU_DEP_2)
	v_add_co_ci_u32_e32 v60, vcc_lo, v60, v64, vcc_lo
.LBB1169_307:
	s_or_b32 exec_lo, exec_lo, s1
	ds_store_2addr_stride64_b64 v62, v[29:30], v[31:32] offset1:4
	ds_store_2addr_stride64_b64 v62, v[33:34], v[35:36] offset0:8 offset1:12
	ds_store_2addr_stride64_b64 v62, v[37:38], v[39:40] offset0:16 offset1:20
	;; [unrolled: 1-line block ×6, first 2 shown]
	ds_store_b64 v62, v[59:60] offset:28672
	s_waitcnt lgkmcnt(0)
	s_barrier
.LBB1169_308:
	buffer_gl0_inv
	ds_load_2addr_b64 v[53:56], v61 offset1:1
	ds_load_2addr_b64 v[49:52], v61 offset0:2 offset1:3
	ds_load_2addr_b64 v[45:48], v61 offset0:4 offset1:5
	;; [unrolled: 1-line block ×6, first 2 shown]
	ds_load_b64 v[59:60], v61 offset:112
	s_cmp_eq_u64 s[18:19], 0
	s_waitcnt lgkmcnt(0)
	s_cselect_b32 s35, -1, 0
	s_cmp_lg_u64 s[18:19], 0
	s_barrier
	s_cselect_b32 s15, -1, 0
	s_and_b32 vcc_lo, exec_lo, s26
	buffer_gl0_inv
	s_cbranch_vccz .LBB1169_317
; %bb.309:
	s_and_b32 vcc_lo, exec_lo, s15
	s_cbranch_vccz .LBB1169_318
; %bb.310:
	s_add_u32 s4, s24, -1
	s_addc_u32 s5, s25, -1
	s_delay_alu instid0(SALU_CYCLE_1) | instskip(SKIP_1) | instid1(SALU_CYCLE_1)
	s_or_b64 s[6:7], s[4:5], s[38:39]
	s_mov_b32 s6, 0
	s_cmp_lg_u64 s[6:7], 0
	s_cbranch_scc0 .LBB1169_535
; %bb.311:
	s_ashr_i32 s8, s39, 31
	s_delay_alu instid0(SALU_CYCLE_1) | instskip(SKIP_2) | instid1(SALU_CYCLE_1)
	s_add_u32 s0, s38, s8
	s_mov_b32 s9, s8
	s_addc_u32 s1, s39, s8
	s_xor_b64 s[0:1], s[0:1], s[8:9]
	s_delay_alu instid0(SALU_CYCLE_1) | instskip(SKIP_3) | instid1(VALU_DEP_1)
	v_cvt_f32_u32_e32 v61, s0
	v_cvt_f32_u32_e32 v62, s1
	s_sub_u32 s11, 0, s0
	s_subb_u32 s12, 0, s1
	v_fmamk_f32 v61, v62, 0x4f800000, v61
	s_delay_alu instid0(VALU_DEP_1) | instskip(SKIP_2) | instid1(VALU_DEP_1)
	v_rcp_f32_e32 v61, v61
	s_waitcnt_depctr 0xfff
	v_mul_f32_e32 v61, 0x5f7ffffc, v61
	v_mul_f32_e32 v62, 0x2f800000, v61
	s_delay_alu instid0(VALU_DEP_1) | instskip(NEXT) | instid1(VALU_DEP_1)
	v_trunc_f32_e32 v62, v62
	v_fmamk_f32 v61, v62, 0xcf800000, v61
	v_cvt_u32_f32_e32 v62, v62
	s_delay_alu instid0(VALU_DEP_2) | instskip(NEXT) | instid1(VALU_DEP_2)
	v_cvt_u32_f32_e32 v61, v61
	v_readfirstlane_b32 s7, v62
	s_delay_alu instid0(VALU_DEP_2) | instskip(NEXT) | instid1(VALU_DEP_2)
	v_readfirstlane_b32 s10, v61
	s_mul_i32 s13, s11, s7
	s_delay_alu instid0(VALU_DEP_1)
	s_mul_hi_u32 s16, s11, s10
	s_mul_i32 s14, s12, s10
	s_add_i32 s13, s16, s13
	s_mul_i32 s17, s11, s10
	s_add_i32 s13, s13, s14
	s_mul_hi_u32 s16, s10, s17
	s_mul_hi_u32 s20, s7, s17
	s_mul_i32 s14, s7, s17
	s_mul_hi_u32 s17, s10, s13
	s_mul_i32 s10, s10, s13
	s_mul_hi_u32 s21, s7, s13
	s_add_u32 s10, s16, s10
	s_addc_u32 s16, 0, s17
	s_add_u32 s10, s10, s14
	s_mul_i32 s13, s7, s13
	s_addc_u32 s10, s16, s20
	s_addc_u32 s14, s21, 0
	s_add_u32 s10, s10, s13
	s_addc_u32 s13, 0, s14
	v_add_co_u32 v61, s10, v61, s10
	s_delay_alu instid0(VALU_DEP_1) | instskip(SKIP_1) | instid1(VALU_DEP_1)
	s_cmp_lg_u32 s10, 0
	s_addc_u32 s7, s7, s13
	v_readfirstlane_b32 s10, v61
	s_mul_i32 s13, s11, s7
	s_delay_alu instid0(VALU_DEP_1)
	s_mul_hi_u32 s14, s11, s10
	s_mul_i32 s12, s12, s10
	s_add_i32 s13, s14, s13
	s_mul_i32 s11, s11, s10
	s_add_i32 s13, s13, s12
	s_mul_hi_u32 s14, s7, s11
	s_mul_i32 s16, s7, s11
	s_mul_hi_u32 s11, s10, s11
	s_mul_hi_u32 s17, s10, s13
	s_mul_i32 s10, s10, s13
	s_mul_hi_u32 s12, s7, s13
	s_add_u32 s10, s11, s10
	s_addc_u32 s11, 0, s17
	s_add_u32 s10, s10, s16
	s_mul_i32 s13, s7, s13
	s_addc_u32 s10, s11, s14
	s_addc_u32 s11, s12, 0
	s_add_u32 s10, s10, s13
	s_addc_u32 s11, 0, s11
	v_add_co_u32 v61, s10, v61, s10
	s_delay_alu instid0(VALU_DEP_1) | instskip(SKIP_2) | instid1(SALU_CYCLE_1)
	s_cmp_lg_u32 s10, 0
	s_addc_u32 s7, s7, s11
	s_ashr_i32 s10, s5, 31
	s_add_u32 s12, s4, s10
	s_addc_u32 s13, s5, s10
	v_readfirstlane_b32 s5, v61
	s_mov_b32 s11, s10
	s_delay_alu instid0(SALU_CYCLE_1) | instskip(NEXT) | instid1(SALU_CYCLE_1)
	s_xor_b64 s[12:13], s[12:13], s[10:11]
	s_mul_i32 s16, s12, s7
	s_delay_alu instid0(VALU_DEP_1)
	s_mul_hi_u32 s17, s12, s5
	s_mul_hi_u32 s14, s12, s7
	;; [unrolled: 1-line block ×3, first 2 shown]
	s_mul_i32 s5, s13, s5
	s_add_u32 s16, s17, s16
	s_addc_u32 s14, 0, s14
	s_mul_hi_u32 s20, s13, s7
	s_add_u32 s5, s16, s5
	s_mul_i32 s7, s13, s7
	s_addc_u32 s5, s14, s21
	s_addc_u32 s14, s20, 0
	s_add_u32 s5, s5, s7
	s_addc_u32 s7, 0, s14
	s_mul_i32 s20, s0, s5
	s_mul_hi_u32 s14, s0, s5
	s_mul_i32 s17, s0, s7
	v_sub_co_u32 v61, s12, s12, s20
	s_mul_i32 s16, s1, s5
	s_add_i32 s14, s14, s17
	s_delay_alu instid0(SALU_CYCLE_1) | instskip(NEXT) | instid1(VALU_DEP_1)
	s_add_i32 s14, s14, s16
	v_sub_co_u32 v62, s17, v61, s0
	s_sub_i32 s16, s13, s14
	s_cmp_lg_u32 s12, 0
	s_subb_u32 s16, s16, s1
	s_cmp_lg_u32 s17, 0
	v_cmp_le_u32_e32 vcc_lo, s0, v62
	s_subb_u32 s16, s16, 0
	s_delay_alu instid0(SALU_CYCLE_1)
	s_cmp_ge_u32 s16, s1
	v_cndmask_b32_e64 v62, 0, -1, vcc_lo
	s_cselect_b32 s17, -1, 0
	s_cmp_eq_u32 s16, s1
	s_cselect_b32 vcc_lo, -1, 0
	s_add_u32 s16, s5, 1
	v_cndmask_b32_e32 v62, s17, v62, vcc_lo
	s_addc_u32 s17, s7, 0
	s_add_u32 s20, s5, 2
	s_addc_u32 s21, s7, 0
	v_mov_b32_e32 v63, s20
	s_cmp_lg_u32 s12, 0
	v_cmp_le_u32_e32 vcc_lo, s0, v61
	s_subb_u32 s0, s13, s14
	s_delay_alu instid0(SALU_CYCLE_1)
	s_cmp_ge_u32 s0, s1
	v_cndmask_b32_e64 v61, 0, -1, vcc_lo
	s_cselect_b32 s12, -1, 0
	s_cmp_eq_u32 s0, s1
	v_cmp_ne_u32_e32 vcc_lo, 0, v62
	s_cselect_b32 s0, -1, 0
	v_mov_b32_e32 v62, s21
	v_cndmask_b32_e64 v61, s12, v61, s0
	s_xor_b64 s[0:1], s[10:11], s[8:9]
	v_cndmask_b32_e32 v63, s16, v63, vcc_lo
	s_delay_alu instid0(VALU_DEP_3) | instskip(NEXT) | instid1(VALU_DEP_3)
	v_cndmask_b32_e32 v62, s17, v62, vcc_lo
	v_cmp_ne_u32_e32 vcc_lo, 0, v61
	s_delay_alu instid0(VALU_DEP_2) | instskip(NEXT) | instid1(VALU_DEP_4)
	v_cndmask_b32_e32 v61, s7, v62, vcc_lo
	v_cndmask_b32_e32 v62, s5, v63, vcc_lo
	s_delay_alu instid0(VALU_DEP_2) | instskip(NEXT) | instid1(VALU_DEP_2)
	v_xor_b32_e32 v63, s1, v61
	v_xor_b32_e32 v62, s0, v62
	s_delay_alu instid0(VALU_DEP_1) | instskip(NEXT) | instid1(VALU_DEP_3)
	v_sub_co_u32 v61, vcc_lo, v62, s0
	v_subrev_co_ci_u32_e32 v62, vcc_lo, s1, v63, vcc_lo
	s_and_not1_b32 vcc_lo, exec_lo, s6
	s_cbranch_vccnz .LBB1169_313
.LBB1169_312:
	v_cvt_f32_u32_e32 v61, s38
	s_sub_i32 s1, 0, s38
	s_delay_alu instid0(VALU_DEP_1) | instskip(SKIP_2) | instid1(VALU_DEP_1)
	v_rcp_iflag_f32_e32 v61, v61
	s_waitcnt_depctr 0xfff
	v_mul_f32_e32 v61, 0x4f7ffffe, v61
	v_cvt_u32_f32_e32 v61, v61
	s_delay_alu instid0(VALU_DEP_1) | instskip(NEXT) | instid1(VALU_DEP_1)
	v_readfirstlane_b32 s0, v61
	s_mul_i32 s1, s1, s0
	s_delay_alu instid0(SALU_CYCLE_1) | instskip(NEXT) | instid1(SALU_CYCLE_1)
	s_mul_hi_u32 s1, s0, s1
	s_add_i32 s0, s0, s1
	s_delay_alu instid0(SALU_CYCLE_1) | instskip(NEXT) | instid1(SALU_CYCLE_1)
	s_mul_hi_u32 s0, s4, s0
	s_mul_i32 s1, s0, s38
	s_delay_alu instid0(SALU_CYCLE_1)
	s_sub_i32 s1, s4, s1
	s_add_i32 s4, s0, 1
	s_sub_i32 s5, s1, s38
	s_cmp_ge_u32 s1, s38
	s_cselect_b32 s0, s4, s0
	s_cselect_b32 s1, s5, s1
	s_add_i32 s4, s0, 1
	s_cmp_ge_u32 s1, s38
	s_mov_b32 s1, 0
	s_cselect_b32 s0, s4, s0
	s_delay_alu instid0(SALU_CYCLE_1)
	v_dual_mov_b32 v62, s1 :: v_dual_mov_b32 v61, s0
.LBB1169_313:
	v_cmp_ne_u64_e64 s0, v[3:4], v[57:58]
	v_cmp_ne_u64_e64 s1, v[1:2], v[3:4]
	;; [unrolled: 1-line block ×13, first 2 shown]
	v_cmp_ne_u64_e32 vcc_lo, v[25:26], v[27:28]
	v_lshlrev_b32_e32 v63, 3, v0
	ds_store_b64 v63, v[57:58]
	s_waitcnt lgkmcnt(0)
	s_barrier
	buffer_gl0_inv
	s_and_saveexec_b32 s16, s3
	s_cbranch_execz .LBB1169_315
; %bb.314:
	v_add_nc_u32_e32 v61, -8, v63
	ds_load_b64 v[61:62], v61
.LBB1169_315:
	s_or_b32 exec_lo, exec_lo, s16
	v_cndmask_b32_e64 v105, 0, 1, s0
	v_cndmask_b32_e64 v99, 0, 1, s1
	;; [unrolled: 1-line block ×13, first 2 shown]
	s_waitcnt lgkmcnt(0)
	v_cmp_ne_u64_e64 s0, v[61:62], v[25:26]
	v_cndmask_b32_e64 v112, 0, 1, vcc_lo
	s_mov_b32 s26, -1
.LBB1169_316:
                                        ; implicit-def: $sgpr1
	s_branch .LBB1169_333
.LBB1169_317:
	s_mov_b32 s26, 0
                                        ; implicit-def: $sgpr0
                                        ; implicit-def: $vgpr105
                                        ; implicit-def: $vgpr99
                                        ; implicit-def: $vgpr100
                                        ; implicit-def: $vgpr101
                                        ; implicit-def: $vgpr102
                                        ; implicit-def: $vgpr103
                                        ; implicit-def: $vgpr104
                                        ; implicit-def: $vgpr106
                                        ; implicit-def: $vgpr107
                                        ; implicit-def: $vgpr108
                                        ; implicit-def: $vgpr109
                                        ; implicit-def: $vgpr110
                                        ; implicit-def: $vgpr111
                                        ; implicit-def: $vgpr112
                                        ; implicit-def: $sgpr1
	s_cbranch_execnz .LBB1169_322
	s_branch .LBB1169_333
.LBB1169_318:
	s_mov_b32 s26, 0
                                        ; implicit-def: $sgpr0
                                        ; implicit-def: $vgpr105
                                        ; implicit-def: $vgpr99
                                        ; implicit-def: $vgpr100
                                        ; implicit-def: $vgpr101
                                        ; implicit-def: $vgpr102
                                        ; implicit-def: $vgpr103
                                        ; implicit-def: $vgpr104
                                        ; implicit-def: $vgpr106
                                        ; implicit-def: $vgpr107
                                        ; implicit-def: $vgpr108
                                        ; implicit-def: $vgpr109
                                        ; implicit-def: $vgpr110
                                        ; implicit-def: $vgpr111
                                        ; implicit-def: $vgpr112
	s_cbranch_execz .LBB1169_316
; %bb.319:
	v_cmp_ne_u64_e32 vcc_lo, v[3:4], v[57:58]
	v_lshlrev_b32_e32 v61, 3, v0
                                        ; implicit-def: $sgpr0
	ds_store_b64 v61, v[57:58]
	v_cndmask_b32_e64 v105, 0, 1, vcc_lo
	v_cmp_ne_u64_e32 vcc_lo, v[1:2], v[3:4]
	s_waitcnt lgkmcnt(0)
	s_barrier
	buffer_gl0_inv
	v_cndmask_b32_e64 v99, 0, 1, vcc_lo
	v_cmp_ne_u64_e32 vcc_lo, v[7:8], v[1:2]
	v_cndmask_b32_e64 v100, 0, 1, vcc_lo
	v_cmp_ne_u64_e32 vcc_lo, v[5:6], v[7:8]
	;; [unrolled: 2-line block ×12, first 2 shown]
	v_cndmask_b32_e64 v112, 0, 1, vcc_lo
	s_and_saveexec_b32 s1, s3
	s_delay_alu instid0(SALU_CYCLE_1)
	s_xor_b32 s1, exec_lo, s1
	s_cbranch_execz .LBB1169_321
; %bb.320:
	v_add_nc_u32_e32 v61, -8, v61
	s_or_b32 s26, s26, exec_lo
	ds_load_b64 v[61:62], v61
	s_waitcnt lgkmcnt(0)
	v_cmp_ne_u64_e32 vcc_lo, v[61:62], v[25:26]
	s_and_b32 s0, vcc_lo, exec_lo
.LBB1169_321:
	s_or_b32 exec_lo, exec_lo, s1
	s_mov_b32 s1, 1
	s_branch .LBB1169_333
.LBB1169_322:
	s_mul_hi_u32 s0, s18, 0xfffff100
	s_mul_i32 s1, s19, 0xfffff100
	s_sub_i32 s0, s0, s18
	s_mul_i32 s4, s18, 0xfffff100
	s_add_i32 s0, s0, s1
	s_add_u32 s30, s4, s64
	s_addc_u32 s31, s0, s65
	s_and_b32 vcc_lo, exec_lo, s15
	s_cbranch_vccz .LBB1169_330
; %bb.323:
	s_add_u32 s4, s24, -1
	s_addc_u32 s5, s25, -1
	s_delay_alu instid0(SALU_CYCLE_1) | instskip(SKIP_1) | instid1(SALU_CYCLE_1)
	s_or_b64 s[6:7], s[4:5], s[38:39]
	s_mov_b32 s6, 0
	s_cmp_lg_u64 s[6:7], 0
	s_cbranch_scc0 .LBB1169_536
; %bb.324:
	s_ashr_i32 s8, s39, 31
	s_delay_alu instid0(SALU_CYCLE_1) | instskip(SKIP_2) | instid1(SALU_CYCLE_1)
	s_add_u32 s0, s38, s8
	s_mov_b32 s9, s8
	s_addc_u32 s1, s39, s8
	s_xor_b64 s[0:1], s[0:1], s[8:9]
	s_delay_alu instid0(SALU_CYCLE_1) | instskip(SKIP_3) | instid1(VALU_DEP_1)
	v_cvt_f32_u32_e32 v61, s0
	v_cvt_f32_u32_e32 v62, s1
	s_sub_u32 s11, 0, s0
	s_subb_u32 s12, 0, s1
	v_fmamk_f32 v61, v62, 0x4f800000, v61
	s_delay_alu instid0(VALU_DEP_1) | instskip(SKIP_2) | instid1(VALU_DEP_1)
	v_rcp_f32_e32 v61, v61
	s_waitcnt_depctr 0xfff
	v_mul_f32_e32 v61, 0x5f7ffffc, v61
	v_mul_f32_e32 v62, 0x2f800000, v61
	s_delay_alu instid0(VALU_DEP_1) | instskip(NEXT) | instid1(VALU_DEP_1)
	v_trunc_f32_e32 v62, v62
	v_fmamk_f32 v61, v62, 0xcf800000, v61
	v_cvt_u32_f32_e32 v62, v62
	s_delay_alu instid0(VALU_DEP_2) | instskip(NEXT) | instid1(VALU_DEP_2)
	v_cvt_u32_f32_e32 v61, v61
	v_readfirstlane_b32 s7, v62
	s_delay_alu instid0(VALU_DEP_2) | instskip(NEXT) | instid1(VALU_DEP_2)
	v_readfirstlane_b32 s10, v61
	s_mul_i32 s13, s11, s7
	s_delay_alu instid0(VALU_DEP_1)
	s_mul_hi_u32 s15, s11, s10
	s_mul_i32 s14, s12, s10
	s_add_i32 s13, s15, s13
	s_mul_i32 s16, s11, s10
	s_add_i32 s13, s13, s14
	s_mul_hi_u32 s15, s10, s16
	s_mul_hi_u32 s17, s7, s16
	s_mul_i32 s14, s7, s16
	s_mul_hi_u32 s16, s10, s13
	s_mul_i32 s10, s10, s13
	s_mul_hi_u32 s18, s7, s13
	s_add_u32 s10, s15, s10
	s_addc_u32 s15, 0, s16
	s_add_u32 s10, s10, s14
	s_mul_i32 s13, s7, s13
	s_addc_u32 s10, s15, s17
	s_addc_u32 s14, s18, 0
	s_add_u32 s10, s10, s13
	s_addc_u32 s13, 0, s14
	v_add_co_u32 v61, s10, v61, s10
	s_delay_alu instid0(VALU_DEP_1) | instskip(SKIP_1) | instid1(VALU_DEP_1)
	s_cmp_lg_u32 s10, 0
	s_addc_u32 s7, s7, s13
	v_readfirstlane_b32 s10, v61
	s_mul_i32 s13, s11, s7
	s_delay_alu instid0(VALU_DEP_1)
	s_mul_hi_u32 s14, s11, s10
	s_mul_i32 s12, s12, s10
	s_add_i32 s13, s14, s13
	s_mul_i32 s11, s11, s10
	s_add_i32 s13, s13, s12
	s_mul_hi_u32 s14, s7, s11
	s_mul_i32 s15, s7, s11
	s_mul_hi_u32 s11, s10, s11
	s_mul_hi_u32 s16, s10, s13
	s_mul_i32 s10, s10, s13
	s_mul_hi_u32 s12, s7, s13
	s_add_u32 s10, s11, s10
	s_addc_u32 s11, 0, s16
	s_add_u32 s10, s10, s15
	s_mul_i32 s13, s7, s13
	s_addc_u32 s10, s11, s14
	s_addc_u32 s11, s12, 0
	s_add_u32 s10, s10, s13
	s_addc_u32 s11, 0, s11
	v_add_co_u32 v61, s10, v61, s10
	s_delay_alu instid0(VALU_DEP_1) | instskip(SKIP_2) | instid1(SALU_CYCLE_1)
	s_cmp_lg_u32 s10, 0
	s_addc_u32 s7, s7, s11
	s_ashr_i32 s10, s5, 31
	s_add_u32 s12, s4, s10
	s_addc_u32 s13, s5, s10
	v_readfirstlane_b32 s5, v61
	s_mov_b32 s11, s10
	s_delay_alu instid0(SALU_CYCLE_1) | instskip(NEXT) | instid1(SALU_CYCLE_1)
	s_xor_b64 s[12:13], s[12:13], s[10:11]
	s_mul_i32 s15, s12, s7
	s_delay_alu instid0(VALU_DEP_1)
	s_mul_hi_u32 s16, s12, s5
	s_mul_hi_u32 s14, s12, s7
	;; [unrolled: 1-line block ×3, first 2 shown]
	s_mul_i32 s5, s13, s5
	s_add_u32 s15, s16, s15
	s_addc_u32 s14, 0, s14
	s_mul_hi_u32 s17, s13, s7
	s_add_u32 s5, s15, s5
	s_mul_i32 s7, s13, s7
	s_addc_u32 s5, s14, s18
	s_addc_u32 s14, s17, 0
	s_add_u32 s5, s5, s7
	s_addc_u32 s7, 0, s14
	s_mul_i32 s17, s0, s5
	s_mul_hi_u32 s14, s0, s5
	s_mul_i32 s16, s0, s7
	v_sub_co_u32 v61, s12, s12, s17
	s_mul_i32 s15, s1, s5
	s_add_i32 s14, s14, s16
	s_delay_alu instid0(SALU_CYCLE_1) | instskip(NEXT) | instid1(VALU_DEP_1)
	s_add_i32 s14, s14, s15
	v_sub_co_u32 v62, s16, v61, s0
	s_sub_i32 s15, s13, s14
	s_cmp_lg_u32 s12, 0
	s_subb_u32 s15, s15, s1
	s_cmp_lg_u32 s16, 0
	v_cmp_le_u32_e32 vcc_lo, s0, v62
	s_subb_u32 s15, s15, 0
	s_delay_alu instid0(SALU_CYCLE_1)
	s_cmp_ge_u32 s15, s1
	v_cndmask_b32_e64 v62, 0, -1, vcc_lo
	s_cselect_b32 s16, -1, 0
	s_cmp_eq_u32 s15, s1
	s_cselect_b32 vcc_lo, -1, 0
	s_add_u32 s15, s5, 1
	v_cndmask_b32_e32 v62, s16, v62, vcc_lo
	s_addc_u32 s16, s7, 0
	s_add_u32 s17, s5, 2
	s_addc_u32 s18, s7, 0
	v_mov_b32_e32 v63, s17
	s_cmp_lg_u32 s12, 0
	v_cmp_le_u32_e32 vcc_lo, s0, v61
	s_subb_u32 s0, s13, s14
	s_delay_alu instid0(SALU_CYCLE_1)
	s_cmp_ge_u32 s0, s1
	v_cndmask_b32_e64 v61, 0, -1, vcc_lo
	s_cselect_b32 s12, -1, 0
	s_cmp_eq_u32 s0, s1
	v_cmp_ne_u32_e32 vcc_lo, 0, v62
	s_cselect_b32 s0, -1, 0
	v_mov_b32_e32 v62, s18
	v_cndmask_b32_e64 v61, s12, v61, s0
	s_xor_b64 s[0:1], s[10:11], s[8:9]
	v_cndmask_b32_e32 v63, s15, v63, vcc_lo
	s_delay_alu instid0(VALU_DEP_3) | instskip(NEXT) | instid1(VALU_DEP_3)
	v_cndmask_b32_e32 v62, s16, v62, vcc_lo
	v_cmp_ne_u32_e32 vcc_lo, 0, v61
	s_delay_alu instid0(VALU_DEP_2) | instskip(NEXT) | instid1(VALU_DEP_4)
	v_cndmask_b32_e32 v61, s7, v62, vcc_lo
	v_cndmask_b32_e32 v62, s5, v63, vcc_lo
	s_delay_alu instid0(VALU_DEP_2) | instskip(NEXT) | instid1(VALU_DEP_2)
	v_xor_b32_e32 v63, s1, v61
	v_xor_b32_e32 v62, s0, v62
	s_delay_alu instid0(VALU_DEP_1) | instskip(NEXT) | instid1(VALU_DEP_3)
	v_sub_co_u32 v61, vcc_lo, v62, s0
	v_subrev_co_ci_u32_e32 v62, vcc_lo, s1, v63, vcc_lo
	s_and_not1_b32 vcc_lo, exec_lo, s6
	s_cbranch_vccnz .LBB1169_326
.LBB1169_325:
	v_cvt_f32_u32_e32 v61, s38
	s_sub_i32 s1, 0, s38
	s_delay_alu instid0(VALU_DEP_1) | instskip(SKIP_2) | instid1(VALU_DEP_1)
	v_rcp_iflag_f32_e32 v61, v61
	s_waitcnt_depctr 0xfff
	v_mul_f32_e32 v61, 0x4f7ffffe, v61
	v_cvt_u32_f32_e32 v61, v61
	s_delay_alu instid0(VALU_DEP_1) | instskip(NEXT) | instid1(VALU_DEP_1)
	v_readfirstlane_b32 s0, v61
	s_mul_i32 s1, s1, s0
	s_delay_alu instid0(SALU_CYCLE_1) | instskip(NEXT) | instid1(SALU_CYCLE_1)
	s_mul_hi_u32 s1, s0, s1
	s_add_i32 s0, s0, s1
	s_delay_alu instid0(SALU_CYCLE_1) | instskip(NEXT) | instid1(SALU_CYCLE_1)
	s_mul_hi_u32 s0, s4, s0
	s_mul_i32 s1, s0, s38
	s_delay_alu instid0(SALU_CYCLE_1)
	s_sub_i32 s1, s4, s1
	s_add_i32 s4, s0, 1
	s_sub_i32 s5, s1, s38
	s_cmp_ge_u32 s1, s38
	s_cselect_b32 s0, s4, s0
	s_cselect_b32 s1, s5, s1
	s_add_i32 s4, s0, 1
	s_cmp_ge_u32 s1, s38
	s_mov_b32 s1, 0
	s_cselect_b32 s0, s4, s0
	s_delay_alu instid0(SALU_CYCLE_1)
	v_dual_mov_b32 v62, s1 :: v_dual_mov_b32 v61, s0
.LBB1169_326:
	v_mad_u32_u24 v63, v0, 15, 14
	v_mov_b32_e32 v64, 0
	v_cmp_ne_u64_e64 s9, v[3:4], v[57:58]
	v_cmp_ne_u64_e64 s10, v[1:2], v[3:4]
	;; [unrolled: 1-line block ×4, first 2 shown]
	v_cmp_gt_u64_e32 vcc_lo, s[30:31], v[63:64]
	v_mad_u32_u24 v63, v0, 15, 13
	v_cmp_ne_u64_e64 s14, v[11:12], v[5:6]
	v_cmp_ne_u64_e64 s15, v[9:10], v[11:12]
	;; [unrolled: 1-line block ×4, first 2 shown]
	v_cmp_gt_u64_e64 s0, s[30:31], v[63:64]
	v_mad_u32_u24 v63, v0, 15, 12
	s_and_b32 s37, vcc_lo, s9
	v_cmp_ne_u64_e64 s19, v[19:20], v[13:14]
	v_cmp_ne_u64_e64 s20, v[17:18], v[19:20]
	;; [unrolled: 1-line block ×3, first 2 shown]
	v_cmp_gt_u64_e64 s1, s[30:31], v[63:64]
	v_mad_u32_u24 v63, v0, 15, 11
	v_cmp_ne_u64_e64 s22, v[21:22], v[23:24]
	v_cmp_ne_u64_e64 s24, v[27:28], v[21:22]
	;; [unrolled: 1-line block ×3, first 2 shown]
	s_and_b32 s38, s0, s10
	v_cmp_gt_u64_e64 s4, s[30:31], v[63:64]
	v_mad_u32_u24 v63, v0, 15, 10
	v_lshlrev_b32_e32 v66, 3, v0
	v_mul_u32_u24_e32 v65, 15, v0
	s_mov_b32 s36, 0
	s_and_b32 s11, s1, s11
	v_cmp_gt_u64_e64 s5, s[30:31], v[63:64]
	v_mad_u32_u24 v63, v0, 15, 9
	s_and_b32 s12, s4, s12
	ds_store_b64 v66, v[57:58]
	s_waitcnt lgkmcnt(0)
	s_barrier
	v_cmp_gt_u64_e64 s6, s[30:31], v[63:64]
	v_mad_u32_u24 v63, v0, 15, 8
	s_and_b32 s14, s5, s14
	buffer_gl0_inv
	v_cmp_gt_u64_e64 s7, s[30:31], v[63:64]
	v_mad_u32_u24 v63, v0, 15, 7
	s_and_b32 s15, s6, s15
	s_delay_alu instid0(VALU_DEP_1) | instskip(SKIP_1) | instid1(VALU_DEP_4)
	v_cmp_gt_u64_e64 s8, s[30:31], v[63:64]
	v_mad_u32_u24 v63, v0, 15, 6
	s_and_b32 s7, s7, s16
	s_delay_alu instid0(VALU_DEP_1) | instskip(SKIP_1) | instid1(VALU_DEP_4)
	v_cmp_gt_u64_e64 s13, s[30:31], v[63:64]
	v_mad_u32_u24 v63, v0, 15, 5
	s_and_b32 s8, s8, s17
	s_delay_alu instid0(VALU_DEP_1) | instskip(SKIP_1) | instid1(VALU_DEP_4)
	v_cmp_gt_u64_e64 s18, s[30:31], v[63:64]
	v_mad_u32_u24 v63, v0, 15, 4
	s_and_b32 s9, s13, s19
	s_delay_alu instid0(VALU_DEP_1) | instskip(SKIP_1) | instid1(VALU_DEP_4)
	v_cmp_gt_u64_e64 s23, s[30:31], v[63:64]
	v_mad_u32_u24 v63, v0, 15, 3
	s_and_b32 s10, s18, s20
	s_delay_alu instid0(VALU_DEP_1) | instskip(SKIP_1) | instid1(VALU_DEP_4)
	v_cmp_gt_u64_e64 s26, s[30:31], v[63:64]
	v_mad_u32_u24 v63, v0, 15, 2
	s_and_b32 s1, s23, s21
	s_delay_alu instid0(VALU_DEP_1) | instskip(SKIP_1) | instid1(VALU_DEP_4)
	v_cmp_gt_u64_e32 vcc_lo, s[30:31], v[63:64]
	v_mad_u32_u24 v63, v0, 15, 1
	s_and_b32 s4, s26, s22
	s_delay_alu instid0(VALU_DEP_1) | instskip(SKIP_1) | instid1(VALU_DEP_1)
	v_cmp_gt_u64_e64 s0, s[30:31], v[63:64]
	s_and_b32 s5, vcc_lo, s24
	s_and_b32 s6, s0, s25
	s_and_saveexec_b32 s0, s3
	s_cbranch_execz .LBB1169_328
; %bb.327:
	v_add_nc_u32_e32 v61, -8, v66
	ds_load_b64 v[61:62], v61
.LBB1169_328:
	s_or_b32 exec_lo, exec_lo, s0
	v_mov_b32_e32 v66, v64
	s_waitcnt lgkmcnt(0)
	v_cmp_ne_u64_e64 s0, v[61:62], v[25:26]
	v_cndmask_b32_e64 v105, 0, 1, s37
	v_cndmask_b32_e64 v99, 0, 1, s38
	;; [unrolled: 1-line block ×3, first 2 shown]
	v_cmp_gt_u64_e32 vcc_lo, s[30:31], v[65:66]
	v_cndmask_b32_e64 v101, 0, 1, s12
	v_cndmask_b32_e64 v102, 0, 1, s14
	;; [unrolled: 1-line block ×11, first 2 shown]
	s_and_b32 s0, vcc_lo, s0
	s_mov_b32 s26, -1
	s_and_b32 vcc_lo, exec_lo, s36
	s_cbranch_vccnz .LBB1169_331
.LBB1169_329:
                                        ; implicit-def: $sgpr1
	v_mov_b32_e32 v113, s1
	s_and_saveexec_b32 s1, s26
	s_cbranch_execnz .LBB1169_334
	s_branch .LBB1169_335
.LBB1169_330:
                                        ; implicit-def: $sgpr0
                                        ; implicit-def: $vgpr105
                                        ; implicit-def: $vgpr99
                                        ; implicit-def: $vgpr100
                                        ; implicit-def: $vgpr101
                                        ; implicit-def: $vgpr102
                                        ; implicit-def: $vgpr103
                                        ; implicit-def: $vgpr104
                                        ; implicit-def: $vgpr106
                                        ; implicit-def: $vgpr107
                                        ; implicit-def: $vgpr108
                                        ; implicit-def: $vgpr109
                                        ; implicit-def: $vgpr110
                                        ; implicit-def: $vgpr111
                                        ; implicit-def: $vgpr112
	s_cbranch_execz .LBB1169_329
.LBB1169_331:
	v_mad_u32_u24 v61, v0, 15, 14
	v_dual_mov_b32 v62, 0 :: v_dual_lshlrev_b32 v63, 3, v0
	v_cmp_ne_u64_e64 s7, v[1:2], v[3:4]
	v_cmp_ne_u64_e64 s6, v[3:4], v[57:58]
	;; [unrolled: 1-line block ×3, first 2 shown]
	s_delay_alu instid0(VALU_DEP_4)
	v_cmp_gt_u64_e32 vcc_lo, s[30:31], v[61:62]
	v_mad_u32_u24 v61, v0, 15, 13
	v_cmp_ne_u64_e64 s10, v[5:6], v[7:8]
	v_cmp_ne_u64_e64 s11, v[11:12], v[5:6]
	;; [unrolled: 1-line block ×4, first 2 shown]
	v_cmp_gt_u64_e64 s0, s[30:31], v[61:62]
	v_mad_u32_u24 v61, v0, 15, 12
	s_and_b32 s6, vcc_lo, s6
	v_cmp_ne_u64_e64 s15, v[13:14], v[15:16]
	v_cmp_ne_u64_e64 s16, v[19:20], v[13:14]
	;; [unrolled: 1-line block ×3, first 2 shown]
	v_cmp_gt_u64_e64 s1, s[30:31], v[61:62]
	v_mad_u32_u24 v61, v0, 15, 11
	s_and_b32 s0, s0, s7
	v_cmp_ne_u64_e64 s18, v[23:24], v[17:18]
	v_cndmask_b32_e64 v99, 0, 1, s0
	v_cmp_ne_u64_e64 s20, v[21:22], v[23:24]
	v_cmp_gt_u64_e64 s4, s[30:31], v[61:62]
	v_mad_u32_u24 v61, v0, 15, 10
	s_and_b32 s0, s1, s8
	v_cmp_ne_u64_e64 s21, v[27:28], v[21:22]
	v_cndmask_b32_e64 v100, 0, 1, s0
	v_cmp_ne_u64_e64 s22, v[25:26], v[27:28]
	v_cmp_gt_u64_e64 s5, s[30:31], v[61:62]
	v_mad_u32_u24 v61, v0, 15, 9
	s_and_b32 s0, s4, s10
	v_cndmask_b32_e64 v105, 0, 1, s6
	v_cndmask_b32_e64 v101, 0, 1, s0
	ds_store_b64 v63, v[57:58]
	v_cmp_gt_u64_e64 s9, s[30:31], v[61:62]
	v_mad_u32_u24 v61, v0, 15, 8
	s_and_b32 s1, s5, s11
	s_waitcnt lgkmcnt(0)
	v_cndmask_b32_e64 v102, 0, 1, s1
	s_barrier
	v_cmp_gt_u64_e64 s14, s[30:31], v[61:62]
	v_mad_u32_u24 v61, v0, 15, 7
	s_and_b32 s1, s9, s12
	buffer_gl0_inv
	v_cndmask_b32_e64 v103, 0, 1, s1
	v_cmp_gt_u64_e64 s19, s[30:31], v[61:62]
	v_mad_u32_u24 v61, v0, 15, 6
	s_and_b32 s4, s14, s13
	s_delay_alu instid0(SALU_CYCLE_1) | instskip(NEXT) | instid1(VALU_DEP_2)
	v_cndmask_b32_e64 v104, 0, 1, s4
	v_cmp_gt_u64_e64 s23, s[30:31], v[61:62]
	v_mad_u32_u24 v61, v0, 15, 5
	s_and_b32 s4, s19, s15
	s_delay_alu instid0(SALU_CYCLE_1) | instskip(NEXT) | instid1(VALU_DEP_2)
	v_cndmask_b32_e64 v106, 0, 1, s4
	v_cmp_gt_u64_e32 vcc_lo, s[30:31], v[61:62]
	v_mad_u32_u24 v61, v0, 15, 4
	s_and_b32 s5, s23, s16
	s_delay_alu instid0(SALU_CYCLE_1) | instskip(NEXT) | instid1(VALU_DEP_2)
	v_cndmask_b32_e64 v107, 0, 1, s5
	v_cmp_gt_u64_e64 s0, s[30:31], v[61:62]
	v_mad_u32_u24 v61, v0, 15, 3
	s_and_b32 s5, vcc_lo, s17
	s_delay_alu instid0(SALU_CYCLE_1) | instskip(NEXT) | instid1(VALU_DEP_2)
	v_cndmask_b32_e64 v108, 0, 1, s5
	v_cmp_gt_u64_e64 s1, s[30:31], v[61:62]
	v_mad_u32_u24 v61, v0, 15, 2
	s_and_b32 s0, s0, s18
	s_delay_alu instid0(SALU_CYCLE_1) | instskip(NEXT) | instid1(VALU_DEP_2)
	v_cndmask_b32_e64 v109, 0, 1, s0
	v_cmp_gt_u64_e64 s4, s[30:31], v[61:62]
	v_mad_u32_u24 v61, v0, 15, 1
	s_and_b32 s0, s1, s20
	s_mov_b32 s1, 1
	v_cndmask_b32_e64 v110, 0, 1, s0
	s_delay_alu instid0(VALU_DEP_2) | instskip(SKIP_1) | instid1(SALU_CYCLE_1)
	v_cmp_gt_u64_e32 vcc_lo, s[30:31], v[61:62]
	s_and_b32 s0, s4, s21
	v_cndmask_b32_e64 v111, 0, 1, s0
	s_and_b32 s0, vcc_lo, s22
	s_delay_alu instid0(SALU_CYCLE_1)
	v_cndmask_b32_e64 v112, 0, 1, s0
                                        ; implicit-def: $sgpr0
	s_and_saveexec_b32 s4, s3
	s_cbranch_execz .LBB1169_466
; %bb.332:
	v_add_nc_u32_e32 v61, -8, v63
	s_or_b32 s26, s26, exec_lo
	ds_load_b64 v[63:64], v61
	v_mul_u32_u24_e32 v61, 15, v0
	s_delay_alu instid0(VALU_DEP_1) | instskip(SKIP_2) | instid1(VALU_DEP_1)
	v_cmp_gt_u64_e32 vcc_lo, s[30:31], v[61:62]
	s_waitcnt lgkmcnt(0)
	v_cmp_ne_u64_e64 s0, v[63:64], v[25:26]
	s_and_b32 s0, vcc_lo, s0
	s_delay_alu instid0(SALU_CYCLE_1)
	s_and_b32 s0, s0, exec_lo
	s_or_b32 exec_lo, exec_lo, s4
.LBB1169_333:
	v_mov_b32_e32 v113, s1
	s_and_saveexec_b32 s1, s26
.LBB1169_334:
	v_cndmask_b32_e64 v113, 0, 1, s0
.LBB1169_335:
	s_or_b32 exec_lo, exec_lo, s1
	s_delay_alu instid0(VALU_DEP_1)
	v_add3_u32 v61, v112, v113, v111
	v_dual_mov_b32 v95, v53 :: v_dual_mov_b32 v96, v54
	v_cmp_eq_u32_e64 s13, 0, v112
	v_cmp_eq_u32_e64 s12, 0, v111
	;; [unrolled: 1-line block ×3, first 2 shown]
	v_add3_u32 v116, v61, v110, v109
	v_cmp_eq_u32_e64 s10, 0, v109
	v_cmp_eq_u32_e64 s9, 0, v108
	;; [unrolled: 1-line block ×10, first 2 shown]
	v_cmp_eq_u32_e32 vcc_lo, 0, v105
	v_mbcnt_lo_u32_b32 v115, -1, 0
	s_cmp_eq_u64 s[58:59], 0
	s_cselect_b32 s15, -1, 0
	s_cmp_lg_u32 s33, 0
	s_cbranch_scc0 .LBB1169_398
; %bb.336:
	v_cndmask_b32_e64 v61, 0, v53, s13
	v_cndmask_b32_e64 v62, 0, v54, s13
	v_add3_u32 v63, v116, v108, v107
	s_delay_alu instid0(VALU_DEP_3) | instskip(NEXT) | instid1(VALU_DEP_1)
	v_add_co_u32 v61, s14, v61, v55
	v_add_co_ci_u32_e64 v62, s14, v62, v56, s14
	s_delay_alu instid0(VALU_DEP_3) | instskip(NEXT) | instid1(VALU_DEP_3)
	v_add3_u32 v63, v63, v106, v104
	v_cndmask_b32_e64 v61, 0, v61, s12
	s_delay_alu instid0(VALU_DEP_3) | instskip(NEXT) | instid1(VALU_DEP_3)
	v_cndmask_b32_e64 v62, 0, v62, s12
	v_add3_u32 v63, v63, v103, v102
	s_delay_alu instid0(VALU_DEP_3) | instskip(NEXT) | instid1(VALU_DEP_1)
	v_add_co_u32 v61, s14, v61, v49
	v_add_co_ci_u32_e64 v62, s14, v62, v50, s14
	s_delay_alu instid0(VALU_DEP_3) | instskip(NEXT) | instid1(VALU_DEP_3)
	v_add3_u32 v63, v63, v101, v100
	v_cndmask_b32_e64 v61, 0, v61, s11
	s_delay_alu instid0(VALU_DEP_3) | instskip(NEXT) | instid1(VALU_DEP_3)
	v_cndmask_b32_e64 v62, 0, v62, s11
	v_add3_u32 v65, v63, v99, v105
	s_delay_alu instid0(VALU_DEP_3) | instskip(NEXT) | instid1(VALU_DEP_1)
	v_add_co_u32 v61, s14, v61, v51
	v_add_co_ci_u32_e64 v62, s14, v62, v52, s14
	s_delay_alu instid0(VALU_DEP_2) | instskip(NEXT) | instid1(VALU_DEP_2)
	v_cndmask_b32_e64 v61, 0, v61, s10
	v_cndmask_b32_e64 v62, 0, v62, s10
	s_delay_alu instid0(VALU_DEP_2) | instskip(NEXT) | instid1(VALU_DEP_1)
	v_add_co_u32 v61, s14, v61, v45
	v_add_co_ci_u32_e64 v62, s14, v62, v46, s14
	s_delay_alu instid0(VALU_DEP_2) | instskip(NEXT) | instid1(VALU_DEP_2)
	v_cndmask_b32_e64 v61, 0, v61, s9
	v_cndmask_b32_e64 v62, 0, v62, s9
	s_delay_alu instid0(VALU_DEP_2) | instskip(NEXT) | instid1(VALU_DEP_1)
	;; [unrolled: 6-line block ×10, first 2 shown]
	v_add_co_u32 v61, s14, v61, v31
	v_add_co_ci_u32_e64 v62, s14, v62, v32, s14
	s_mov_b32 s14, exec_lo
	s_delay_alu instid0(VALU_DEP_1) | instskip(NEXT) | instid1(VALU_DEP_1)
	v_dual_cndmask_b32 v61, 0, v61 :: v_dual_cndmask_b32 v62, 0, v62
	v_add_co_u32 v63, vcc_lo, v61, v59
	s_delay_alu instid0(VALU_DEP_2) | instskip(SKIP_2) | instid1(VALU_DEP_4)
	v_add_co_ci_u32_e32 v64, vcc_lo, v62, v60, vcc_lo
	v_and_b32_e32 v61, 15, v115
	v_mov_b32_dpp v62, v65 row_shr:1 row_mask:0xf bank_mask:0xf
	v_mov_b32_dpp v66, v63 row_shr:1 row_mask:0xf bank_mask:0xf
	s_delay_alu instid0(VALU_DEP_4) | instskip(NEXT) | instid1(VALU_DEP_4)
	v_mov_b32_dpp v67, v64 row_shr:1 row_mask:0xf bank_mask:0xf
	v_cmpx_ne_u32_e32 0, v61
; %bb.337:
	v_cmp_eq_u32_e32 vcc_lo, 0, v65
	v_add_nc_u32_e32 v65, v62, v65
	s_delay_alu instid0(VALU_DEP_4) | instskip(NEXT) | instid1(VALU_DEP_1)
	v_dual_cndmask_b32 v67, 0, v67 :: v_dual_cndmask_b32 v66, 0, v66
	v_add_co_u32 v63, vcc_lo, v66, v63
	s_delay_alu instid0(VALU_DEP_2)
	v_add_co_ci_u32_e32 v64, vcc_lo, v67, v64, vcc_lo
; %bb.338:
	s_or_b32 exec_lo, exec_lo, s14
	v_mov_b32_dpp v62, v65 row_shr:2 row_mask:0xf bank_mask:0xf
	s_delay_alu instid0(VALU_DEP_3) | instskip(NEXT) | instid1(VALU_DEP_3)
	v_mov_b32_dpp v66, v63 row_shr:2 row_mask:0xf bank_mask:0xf
	v_mov_b32_dpp v67, v64 row_shr:2 row_mask:0xf bank_mask:0xf
	s_mov_b32 s14, exec_lo
	v_cmpx_lt_u32_e32 1, v61
; %bb.339:
	v_cmp_eq_u32_e32 vcc_lo, 0, v65
	v_add_nc_u32_e32 v65, v62, v65
	v_dual_cndmask_b32 v67, 0, v67 :: v_dual_cndmask_b32 v66, 0, v66
	s_delay_alu instid0(VALU_DEP_1) | instskip(NEXT) | instid1(VALU_DEP_2)
	v_add_co_u32 v63, vcc_lo, v66, v63
	v_add_co_ci_u32_e32 v64, vcc_lo, v67, v64, vcc_lo
; %bb.340:
	s_or_b32 exec_lo, exec_lo, s14
	v_mov_b32_dpp v62, v65 row_shr:4 row_mask:0xf bank_mask:0xf
	s_delay_alu instid0(VALU_DEP_3) | instskip(NEXT) | instid1(VALU_DEP_3)
	v_mov_b32_dpp v66, v63 row_shr:4 row_mask:0xf bank_mask:0xf
	v_mov_b32_dpp v67, v64 row_shr:4 row_mask:0xf bank_mask:0xf
	s_mov_b32 s14, exec_lo
	v_cmpx_lt_u32_e32 3, v61
; %bb.341:
	v_cmp_eq_u32_e32 vcc_lo, 0, v65
	v_add_nc_u32_e32 v65, v62, v65
	v_dual_cndmask_b32 v67, 0, v67 :: v_dual_cndmask_b32 v66, 0, v66
	s_delay_alu instid0(VALU_DEP_1) | instskip(NEXT) | instid1(VALU_DEP_2)
	v_add_co_u32 v63, vcc_lo, v66, v63
	;; [unrolled: 15-line block ×3, first 2 shown]
	v_add_co_ci_u32_e32 v64, vcc_lo, v61, v64, vcc_lo
; %bb.344:
	s_or_b32 exec_lo, exec_lo, s14
	ds_swizzle_b32 v61, v65 offset:swizzle(BROADCAST,32,15)
	ds_swizzle_b32 v62, v63 offset:swizzle(BROADCAST,32,15)
	;; [unrolled: 1-line block ×3, first 2 shown]
	v_and_b32_e32 v67, 16, v115
	s_mov_b32 s14, exec_lo
	s_delay_alu instid0(VALU_DEP_1)
	v_cmpx_ne_u32_e32 0, v67
	s_cbranch_execz .LBB1169_346
; %bb.345:
	v_cmp_eq_u32_e32 vcc_lo, 0, v65
	s_waitcnt lgkmcnt(1)
	v_dual_cndmask_b32 v62, 0, v62 :: v_dual_add_nc_u32 v65, v61, v65
	s_waitcnt lgkmcnt(0)
	v_cndmask_b32_e32 v66, 0, v66, vcc_lo
	s_delay_alu instid0(VALU_DEP_2) | instskip(NEXT) | instid1(VALU_DEP_2)
	v_add_co_u32 v63, vcc_lo, v62, v63
	v_add_co_ci_u32_e32 v64, vcc_lo, v66, v64, vcc_lo
.LBB1169_346:
	s_or_b32 exec_lo, exec_lo, s14
	s_waitcnt lgkmcnt(1)
	v_lshrrev_b32_e32 v62, 5, v0
	v_or_b32_e32 v61, 31, v0
	s_mov_b32 s14, exec_lo
	s_waitcnt lgkmcnt(0)
	s_delay_alu instid0(VALU_DEP_2) | instskip(NEXT) | instid1(VALU_DEP_2)
	v_lshlrev_b32_e32 v66, 4, v62
	v_cmpx_eq_u32_e64 v61, v0
	s_cbranch_execz .LBB1169_348
; %bb.347:
	ds_store_b32 v66, v65 offset:4128
	ds_store_b64 v66, v[63:64] offset:4136
.LBB1169_348:
	s_or_b32 exec_lo, exec_lo, s14
	s_delay_alu instid0(SALU_CYCLE_1)
	s_mov_b32 s14, exec_lo
	s_waitcnt lgkmcnt(0)
	s_barrier
	buffer_gl0_inv
	v_cmpx_gt_u32_e32 8, v0
	s_cbranch_execz .LBB1169_356
; %bb.349:
	v_lshlrev_b32_e32 v67, 4, v0
	v_and_b32_e32 v69, 7, v115
	s_mov_b32 s16, exec_lo
	ds_load_b32 v68, v67 offset:4128
	ds_load_b64 v[61:62], v67 offset:4136
	s_waitcnt lgkmcnt(1)
	v_mov_b32_dpp v70, v68 row_shr:1 row_mask:0xf bank_mask:0xf
	s_waitcnt lgkmcnt(0)
	v_mov_b32_dpp v71, v61 row_shr:1 row_mask:0xf bank_mask:0xf
	v_mov_b32_dpp v72, v62 row_shr:1 row_mask:0xf bank_mask:0xf
	v_cmpx_ne_u32_e32 0, v69
; %bb.350:
	v_cmp_eq_u32_e32 vcc_lo, 0, v68
	v_add_nc_u32_e32 v68, v70, v68
	s_delay_alu instid0(VALU_DEP_4) | instskip(NEXT) | instid1(VALU_DEP_1)
	v_dual_cndmask_b32 v72, 0, v72 :: v_dual_cndmask_b32 v71, 0, v71
	v_add_co_u32 v61, vcc_lo, v71, v61
	s_delay_alu instid0(VALU_DEP_2)
	v_add_co_ci_u32_e32 v62, vcc_lo, v72, v62, vcc_lo
; %bb.351:
	s_or_b32 exec_lo, exec_lo, s16
	v_mov_b32_dpp v70, v68 row_shr:2 row_mask:0xf bank_mask:0xf
	s_delay_alu instid0(VALU_DEP_3) | instskip(NEXT) | instid1(VALU_DEP_3)
	v_mov_b32_dpp v71, v61 row_shr:2 row_mask:0xf bank_mask:0xf
	v_mov_b32_dpp v72, v62 row_shr:2 row_mask:0xf bank_mask:0xf
	s_mov_b32 s16, exec_lo
	v_cmpx_lt_u32_e32 1, v69
; %bb.352:
	v_cmp_eq_u32_e32 vcc_lo, 0, v68
	v_add_nc_u32_e32 v68, v70, v68
	v_dual_cndmask_b32 v72, 0, v72 :: v_dual_cndmask_b32 v71, 0, v71
	s_delay_alu instid0(VALU_DEP_1) | instskip(NEXT) | instid1(VALU_DEP_2)
	v_add_co_u32 v61, vcc_lo, v71, v61
	v_add_co_ci_u32_e32 v62, vcc_lo, v72, v62, vcc_lo
; %bb.353:
	s_or_b32 exec_lo, exec_lo, s16
	v_mov_b32_dpp v70, v68 row_shr:4 row_mask:0xf bank_mask:0xf
	s_delay_alu instid0(VALU_DEP_3) | instskip(NEXT) | instid1(VALU_DEP_3)
	v_mov_b32_dpp v71, v61 row_shr:4 row_mask:0xf bank_mask:0xf
	v_mov_b32_dpp v72, v62 row_shr:4 row_mask:0xf bank_mask:0xf
	s_mov_b32 s16, exec_lo
	v_cmpx_lt_u32_e32 3, v69
; %bb.354:
	v_cmp_eq_u32_e32 vcc_lo, 0, v68
	v_dual_cndmask_b32 v71, 0, v71 :: v_dual_add_nc_u32 v68, v70, v68
	v_cndmask_b32_e32 v69, 0, v72, vcc_lo
	s_delay_alu instid0(VALU_DEP_2) | instskip(NEXT) | instid1(VALU_DEP_2)
	v_add_co_u32 v61, vcc_lo, v71, v61
	v_add_co_ci_u32_e32 v62, vcc_lo, v69, v62, vcc_lo
; %bb.355:
	s_or_b32 exec_lo, exec_lo, s16
	ds_store_b32 v67, v68 offset:4128
	ds_store_b64 v67, v[61:62] offset:4136
.LBB1169_356:
	s_or_b32 exec_lo, exec_lo, s14
	v_mov_b32_e32 v61, 0
	v_cmp_gt_u32_e32 vcc_lo, 32, v0
	v_dual_mov_b32 v62, 0 :: v_dual_mov_b32 v71, 0
	s_mov_b32 s16, exec_lo
	s_waitcnt lgkmcnt(0)
	s_barrier
	buffer_gl0_inv
	v_cmpx_lt_u32_e32 31, v0
	s_cbranch_execz .LBB1169_358
; %bb.357:
	ds_load_b64 v[61:62], v66 offset:4120
	ds_load_b32 v71, v66 offset:4112
	v_cmp_eq_u32_e64 s14, 0, v65
	s_waitcnt lgkmcnt(1)
	s_delay_alu instid0(VALU_DEP_1) | instskip(SKIP_3) | instid1(VALU_DEP_3)
	v_cndmask_b32_e64 v67, 0, v61, s14
	v_cndmask_b32_e64 v66, 0, v62, s14
	s_waitcnt lgkmcnt(0)
	v_add_nc_u32_e32 v65, v71, v65
	v_add_co_u32 v63, s14, v67, v63
	s_delay_alu instid0(VALU_DEP_1)
	v_add_co_ci_u32_e64 v64, s14, v66, v64, s14
.LBB1169_358:
	s_or_b32 exec_lo, exec_lo, s16
	v_add_nc_u32_e32 v66, -1, v115
	s_delay_alu instid0(VALU_DEP_1) | instskip(NEXT) | instid1(VALU_DEP_1)
	v_cmp_gt_i32_e64 s14, 0, v66
	v_cndmask_b32_e64 v66, v66, v115, s14
	v_cmp_eq_u32_e64 s14, 0, v115
	s_delay_alu instid0(VALU_DEP_2)
	v_lshlrev_b32_e32 v66, 2, v66
	ds_bpermute_b32 v74, v66, v65
	ds_bpermute_b32 v73, v66, v63
	;; [unrolled: 1-line block ×3, first 2 shown]
	s_and_saveexec_b32 s16, vcc_lo
	s_cbranch_execz .LBB1169_397
; %bb.359:
	v_mov_b32_e32 v67, 0
	ds_load_b32 v75, v67 offset:4240
	ds_load_b64 v[63:64], v67 offset:4248
	s_and_saveexec_b32 s17, s14
	s_cbranch_execz .LBB1169_361
; %bb.360:
	s_add_i32 s18, s33, 32
	s_mov_b32 s19, 0
	v_dual_mov_b32 v65, s18 :: v_dual_mov_b32 v66, 1
	s_lshl_b64 s[20:21], s[18:19], 4
	s_delay_alu instid0(SALU_CYCLE_1)
	s_add_u32 s18, s52, s20
	s_addc_u32 s19, s53, s21
	s_waitcnt lgkmcnt(1)
	global_store_b32 v67, v75, s[18:19]
	s_waitcnt lgkmcnt(0)
	global_store_b64 v67, v[63:64], s[18:19] offset:8
	s_waitcnt_vscnt null, 0x0
	buffer_gl1_inv
	buffer_gl0_inv
	global_store_b8 v65, v66, s[56:57]
.LBB1169_361:
	s_or_b32 exec_lo, exec_lo, s17
	v_xad_u32 v65, v115, -1, s33
	s_mov_b32 s18, 0
	s_mov_b32 s17, exec_lo
	s_delay_alu instid0(VALU_DEP_1)
	v_add_nc_u32_e32 v66, 32, v65
	global_load_u8 v76, v66, s[56:57] glc
	s_waitcnt vmcnt(0)
	v_cmpx_eq_u16_e32 0, v76
	s_cbranch_execz .LBB1169_365
; %bb.362:
	v_add_co_u32 v68, s19, s56, v66
	s_delay_alu instid0(VALU_DEP_1)
	v_add_co_ci_u32_e64 v69, null, s57, 0, s19
.LBB1169_363:                           ; =>This Inner Loop Header: Depth=1
	global_load_u8 v76, v[68:69], off glc
	s_waitcnt vmcnt(0)
	v_cmp_ne_u16_e32 vcc_lo, 0, v76
	s_or_b32 s18, vcc_lo, s18
	s_delay_alu instid0(SALU_CYCLE_1)
	s_and_not1_b32 exec_lo, exec_lo, s18
	s_cbranch_execnz .LBB1169_363
; %bb.364:
	s_or_b32 exec_lo, exec_lo, s18
.LBB1169_365:
	s_delay_alu instid0(SALU_CYCLE_1)
	s_or_b32 exec_lo, exec_lo, s17
	v_dual_mov_b32 v68, s53 :: v_dual_mov_b32 v69, s52
	v_cmp_eq_u16_e32 vcc_lo, 1, v76
	v_lshlrev_b64 v[66:67], 4, v[66:67]
	s_waitcnt lgkmcnt(0)
	s_waitcnt_vscnt null, 0x0
	buffer_gl1_inv
	buffer_gl0_inv
	v_lshlrev_b32_e64 v78, v115, -1
	s_mov_b32 s17, exec_lo
	v_cndmask_b32_e32 v69, s54, v69, vcc_lo
	v_cndmask_b32_e32 v68, s55, v68, vcc_lo
	s_delay_alu instid0(VALU_DEP_2) | instskip(NEXT) | instid1(VALU_DEP_2)
	v_add_co_u32 v66, vcc_lo, v69, v66
	v_add_co_ci_u32_e32 v67, vcc_lo, v68, v67, vcc_lo
	v_cmp_ne_u32_e32 vcc_lo, 31, v115
	s_clause 0x1
	global_load_b32 v88, v[66:67], off
	global_load_b64 v[69:70], v[66:67], off offset:8
	v_add_co_ci_u32_e32 v66, vcc_lo, 0, v115, vcc_lo
	v_cmp_eq_u16_e32 vcc_lo, 2, v76
	s_delay_alu instid0(VALU_DEP_2) | instskip(SKIP_1) | instid1(VALU_DEP_1)
	v_lshlrev_b32_e32 v77, 2, v66
	v_and_or_b32 v66, vcc_lo, v78, 0x80000000
	v_ctz_i32_b32_e32 v66, v66
	s_waitcnt vmcnt(1)
	ds_bpermute_b32 v67, v77, v88
	s_waitcnt vmcnt(0)
	ds_bpermute_b32 v68, v77, v69
	ds_bpermute_b32 v79, v77, v70
	v_cmpx_lt_u32_e64 v115, v66
	s_cbranch_execz .LBB1169_367
; %bb.366:
	v_cmp_eq_u32_e32 vcc_lo, 0, v88
	s_waitcnt lgkmcnt(0)
	v_dual_cndmask_b32 v79, 0, v79 :: v_dual_add_nc_u32 v88, v67, v88
	v_cndmask_b32_e32 v68, 0, v68, vcc_lo
	s_delay_alu instid0(VALU_DEP_1) | instskip(NEXT) | instid1(VALU_DEP_3)
	v_add_co_u32 v69, vcc_lo, v68, v69
	v_add_co_ci_u32_e32 v70, vcc_lo, v79, v70, vcc_lo
.LBB1169_367:
	s_or_b32 exec_lo, exec_lo, s17
	v_cmp_gt_u32_e32 vcc_lo, 30, v115
	v_add_nc_u32_e32 v80, 2, v115
	s_mov_b32 s17, exec_lo
	s_waitcnt lgkmcnt(2)
	v_cndmask_b32_e64 v67, 0, 1, vcc_lo
	s_delay_alu instid0(VALU_DEP_1) | instskip(SKIP_1) | instid1(VALU_DEP_1)
	v_lshlrev_b32_e32 v67, 1, v67
	s_waitcnt lgkmcnt(0)
	v_add_lshl_u32 v79, v67, v115, 2
	ds_bpermute_b32 v67, v79, v88
	ds_bpermute_b32 v68, v79, v69
	ds_bpermute_b32 v81, v79, v70
	v_cmpx_le_u32_e64 v80, v66
	s_cbranch_execz .LBB1169_369
; %bb.368:
	v_cmp_eq_u32_e32 vcc_lo, 0, v88
	s_waitcnt lgkmcnt(0)
	v_dual_cndmask_b32 v81, 0, v81 :: v_dual_add_nc_u32 v88, v67, v88
	v_cndmask_b32_e32 v68, 0, v68, vcc_lo
	s_delay_alu instid0(VALU_DEP_1) | instskip(NEXT) | instid1(VALU_DEP_3)
	v_add_co_u32 v69, vcc_lo, v68, v69
	v_add_co_ci_u32_e32 v70, vcc_lo, v81, v70, vcc_lo
.LBB1169_369:
	s_or_b32 exec_lo, exec_lo, s17
	v_cmp_gt_u32_e32 vcc_lo, 28, v115
	v_add_nc_u32_e32 v82, 4, v115
	s_mov_b32 s17, exec_lo
	s_waitcnt lgkmcnt(2)
	v_cndmask_b32_e64 v67, 0, 1, vcc_lo
	s_delay_alu instid0(VALU_DEP_1) | instskip(SKIP_1) | instid1(VALU_DEP_1)
	v_lshlrev_b32_e32 v67, 2, v67
	s_waitcnt lgkmcnt(0)
	v_add_lshl_u32 v81, v67, v115, 2
	ds_bpermute_b32 v67, v81, v88
	ds_bpermute_b32 v68, v81, v69
	ds_bpermute_b32 v83, v81, v70
	v_cmpx_le_u32_e64 v82, v66
	;; [unrolled: 24-line block ×3, first 2 shown]
	s_cbranch_execz .LBB1169_373
; %bb.372:
	v_cmp_eq_u32_e32 vcc_lo, 0, v88
	s_waitcnt lgkmcnt(0)
	v_dual_cndmask_b32 v85, 0, v85 :: v_dual_add_nc_u32 v88, v67, v88
	v_cndmask_b32_e32 v68, 0, v68, vcc_lo
	s_delay_alu instid0(VALU_DEP_1) | instskip(NEXT) | instid1(VALU_DEP_3)
	v_add_co_u32 v69, vcc_lo, v68, v69
	v_add_co_ci_u32_e32 v70, vcc_lo, v85, v70, vcc_lo
.LBB1169_373:
	s_or_b32 exec_lo, exec_lo, s17
	v_cmp_gt_u32_e32 vcc_lo, 16, v115
	v_add_nc_u32_e32 v87, 16, v115
	s_mov_b32 s17, exec_lo
	s_waitcnt lgkmcnt(2)
	v_cndmask_b32_e64 v67, 0, 1, vcc_lo
	s_delay_alu instid0(VALU_DEP_1) | instskip(NEXT) | instid1(VALU_DEP_1)
	v_lshlrev_b32_e32 v67, 4, v67
	v_add_lshl_u32 v86, v67, v115, 2
	ds_bpermute_b32 v67, v86, v88
	s_waitcnt lgkmcnt(2)
	ds_bpermute_b32 v68, v86, v69
	s_waitcnt lgkmcnt(2)
	ds_bpermute_b32 v85, v86, v70
	v_cmpx_le_u32_e64 v87, v66
	s_cbranch_execz .LBB1169_375
; %bb.374:
	v_cmp_eq_u32_e32 vcc_lo, 0, v88
	s_waitcnt lgkmcnt(2)
	v_add_nc_u32_e32 v88, v67, v88
	s_waitcnt lgkmcnt(1)
	v_cndmask_b32_e32 v68, 0, v68, vcc_lo
	s_waitcnt lgkmcnt(0)
	v_cndmask_b32_e32 v66, 0, v85, vcc_lo
	s_delay_alu instid0(VALU_DEP_2) | instskip(NEXT) | instid1(VALU_DEP_2)
	v_add_co_u32 v69, vcc_lo, v68, v69
	v_add_co_ci_u32_e32 v70, vcc_lo, v66, v70, vcc_lo
.LBB1169_375:
	s_or_b32 exec_lo, exec_lo, s17
	v_mov_b32_e32 v66, 0
	s_branch .LBB1169_377
.LBB1169_376:                           ;   in Loop: Header=BB1169_377 Depth=1
	s_or_b32 exec_lo, exec_lo, s17
	v_cmp_eq_u32_e32 vcc_lo, 0, v85
	v_subrev_nc_u32_e32 v65, 32, v65
	v_add_nc_u32_e32 v88, v88, v85
	v_dual_cndmask_b32 v70, 0, v70 :: v_dual_cndmask_b32 v69, 0, v69
	s_delay_alu instid0(VALU_DEP_1) | instskip(NEXT) | instid1(VALU_DEP_2)
	v_add_co_u32 v69, vcc_lo, v69, v67
	v_add_co_ci_u32_e32 v70, vcc_lo, v70, v68, vcc_lo
.LBB1169_377:                           ; =>This Loop Header: Depth=1
                                        ;     Child Loop BB1169_380 Depth 2
	s_waitcnt lgkmcnt(2)
	v_and_b32_e32 v67, 0xff, v76
	s_waitcnt lgkmcnt(0)
	v_mov_b32_e32 v85, v88
	s_delay_alu instid0(VALU_DEP_2) | instskip(SKIP_2) | instid1(VALU_DEP_1)
	v_cmp_ne_u16_e32 vcc_lo, 2, v67
	v_cndmask_b32_e64 v67, 0, 1, vcc_lo
	;;#ASMSTART
	;;#ASMEND
	v_cmp_ne_u32_e32 vcc_lo, 0, v67
	v_dual_mov_b32 v67, v69 :: v_dual_mov_b32 v68, v70
	s_cmp_lg_u32 vcc_lo, exec_lo
	s_cbranch_scc1 .LBB1169_392
; %bb.378:                              ;   in Loop: Header=BB1169_377 Depth=1
	global_load_u8 v76, v65, s[56:57] glc
	s_mov_b32 s17, exec_lo
	s_waitcnt vmcnt(0)
	v_cmpx_eq_u16_e32 0, v76
	s_cbranch_execz .LBB1169_382
; %bb.379:                              ;   in Loop: Header=BB1169_377 Depth=1
	v_add_co_u32 v69, s18, s56, v65
	s_delay_alu instid0(VALU_DEP_1)
	v_add_co_ci_u32_e64 v70, null, s57, 0, s18
	s_mov_b32 s18, 0
.LBB1169_380:                           ;   Parent Loop BB1169_377 Depth=1
                                        ; =>  This Inner Loop Header: Depth=2
	global_load_u8 v76, v[69:70], off glc
	s_waitcnt vmcnt(0)
	v_cmp_ne_u16_e32 vcc_lo, 0, v76
	s_or_b32 s18, vcc_lo, s18
	s_delay_alu instid0(SALU_CYCLE_1)
	s_and_not1_b32 exec_lo, exec_lo, s18
	s_cbranch_execnz .LBB1169_380
; %bb.381:                              ;   in Loop: Header=BB1169_377 Depth=1
	s_or_b32 exec_lo, exec_lo, s18
.LBB1169_382:                           ;   in Loop: Header=BB1169_377 Depth=1
	s_delay_alu instid0(SALU_CYCLE_1)
	s_or_b32 exec_lo, exec_lo, s17
	v_dual_mov_b32 v88, s53 :: v_dual_mov_b32 v89, s52
	v_cmp_eq_u16_e32 vcc_lo, 1, v76
	v_lshlrev_b64 v[69:70], 4, v[65:66]
	buffer_gl1_inv
	buffer_gl0_inv
	s_mov_b32 s17, exec_lo
	v_cndmask_b32_e32 v89, s54, v89, vcc_lo
	v_cndmask_b32_e32 v88, s55, v88, vcc_lo
	s_delay_alu instid0(VALU_DEP_2) | instskip(NEXT) | instid1(VALU_DEP_2)
	v_add_co_u32 v69, vcc_lo, v89, v69
	v_add_co_ci_u32_e32 v70, vcc_lo, v88, v70, vcc_lo
	v_cmp_eq_u16_e32 vcc_lo, 2, v76
	s_clause 0x1
	global_load_b32 v88, v[69:70], off
	global_load_b64 v[69:70], v[69:70], off offset:8
	v_and_or_b32 v89, vcc_lo, v78, 0x80000000
	s_delay_alu instid0(VALU_DEP_1)
	v_ctz_i32_b32_e32 v89, v89
	s_waitcnt vmcnt(1)
	ds_bpermute_b32 v90, v77, v88
	s_waitcnt vmcnt(0)
	ds_bpermute_b32 v91, v77, v69
	ds_bpermute_b32 v92, v77, v70
	v_cmpx_lt_u32_e64 v115, v89
	s_cbranch_execz .LBB1169_384
; %bb.383:                              ;   in Loop: Header=BB1169_377 Depth=1
	v_cmp_eq_u32_e32 vcc_lo, 0, v88
	s_waitcnt lgkmcnt(2)
	v_add_nc_u32_e32 v88, v90, v88
	s_waitcnt lgkmcnt(0)
	v_dual_cndmask_b32 v92, 0, v92 :: v_dual_cndmask_b32 v91, 0, v91
	s_delay_alu instid0(VALU_DEP_1) | instskip(NEXT) | instid1(VALU_DEP_2)
	v_add_co_u32 v69, vcc_lo, v91, v69
	v_add_co_ci_u32_e32 v70, vcc_lo, v92, v70, vcc_lo
.LBB1169_384:                           ;   in Loop: Header=BB1169_377 Depth=1
	s_or_b32 exec_lo, exec_lo, s17
	s_waitcnt lgkmcnt(2)
	ds_bpermute_b32 v90, v79, v88
	s_waitcnt lgkmcnt(2)
	ds_bpermute_b32 v91, v79, v69
	s_waitcnt lgkmcnt(2)
	ds_bpermute_b32 v92, v79, v70
	s_mov_b32 s17, exec_lo
	v_cmpx_le_u32_e64 v80, v89
	s_cbranch_execz .LBB1169_386
; %bb.385:                              ;   in Loop: Header=BB1169_377 Depth=1
	v_cmp_eq_u32_e32 vcc_lo, 0, v88
	s_waitcnt lgkmcnt(2)
	v_add_nc_u32_e32 v88, v90, v88
	s_waitcnt lgkmcnt(0)
	v_dual_cndmask_b32 v92, 0, v92 :: v_dual_cndmask_b32 v91, 0, v91
	s_delay_alu instid0(VALU_DEP_1) | instskip(NEXT) | instid1(VALU_DEP_2)
	v_add_co_u32 v69, vcc_lo, v91, v69
	v_add_co_ci_u32_e32 v70, vcc_lo, v92, v70, vcc_lo
.LBB1169_386:                           ;   in Loop: Header=BB1169_377 Depth=1
	s_or_b32 exec_lo, exec_lo, s17
	s_waitcnt lgkmcnt(2)
	ds_bpermute_b32 v90, v81, v88
	s_waitcnt lgkmcnt(2)
	ds_bpermute_b32 v91, v81, v69
	s_waitcnt lgkmcnt(2)
	ds_bpermute_b32 v92, v81, v70
	s_mov_b32 s17, exec_lo
	v_cmpx_le_u32_e64 v82, v89
	;; [unrolled: 20-line block ×4, first 2 shown]
	s_cbranch_execz .LBB1169_376
; %bb.391:                              ;   in Loop: Header=BB1169_377 Depth=1
	v_cmp_eq_u32_e32 vcc_lo, 0, v88
	s_waitcnt lgkmcnt(1)
	v_dual_cndmask_b32 v91, 0, v91 :: v_dual_add_nc_u32 v88, v90, v88
	s_waitcnt lgkmcnt(0)
	v_cndmask_b32_e32 v89, 0, v92, vcc_lo
	s_delay_alu instid0(VALU_DEP_2) | instskip(NEXT) | instid1(VALU_DEP_2)
	v_add_co_u32 v69, vcc_lo, v91, v69
	v_add_co_ci_u32_e32 v70, vcc_lo, v89, v70, vcc_lo
	s_branch .LBB1169_376
.LBB1169_392:                           ;   in Loop: Header=BB1169_377 Depth=1
                                        ; implicit-def: $vgpr69_vgpr70
                                        ; implicit-def: $vgpr88
                                        ; implicit-def: $vgpr76
	s_cbranch_execz .LBB1169_377
; %bb.393:
	s_and_saveexec_b32 s17, s14
	s_cbranch_execz .LBB1169_395
; %bb.394:
	v_cmp_eq_u32_e32 vcc_lo, 0, v75
	s_mov_b32 s19, 0
	s_add_i32 s18, s33, 32
	v_dual_mov_b32 v70, 0 :: v_dual_add_nc_u32 v69, v85, v75
	v_dual_cndmask_b32 v66, 0, v68 :: v_dual_cndmask_b32 v65, 0, v67
	s_lshl_b64 s[20:21], s[18:19], 4
	v_dual_mov_b32 v76, s18 :: v_dual_mov_b32 v77, 2
	s_add_u32 s20, s54, s20
	s_delay_alu instid0(VALU_DEP_2)
	v_add_co_u32 v65, vcc_lo, v65, v63
	v_add_co_ci_u32_e32 v66, vcc_lo, v66, v64, vcc_lo
	s_addc_u32 s21, s55, s21
	s_clause 0x1
	global_store_b32 v70, v69, s[20:21]
	global_store_b64 v70, v[65:66], s[20:21] offset:8
	s_waitcnt lgkmcnt(0)
	s_waitcnt_vscnt null, 0x0
	buffer_gl1_inv
	buffer_gl0_inv
	global_store_b8 v76, v77, s[56:57]
	ds_store_b32 v70, v75 offset:4096
	ds_store_b64 v70, v[63:64] offset:4104
	ds_store_b32 v70, v85 offset:4112
	ds_store_b64 v70, v[67:68] offset:4120
.LBB1169_395:
	s_or_b32 exec_lo, exec_lo, s17
	s_delay_alu instid0(SALU_CYCLE_1)
	s_and_b32 exec_lo, exec_lo, s2
	s_cbranch_execz .LBB1169_397
; %bb.396:
	v_mov_b32_e32 v63, 0
	ds_store_b32 v63, v85 offset:4240
	ds_store_b64 v63, v[67:68] offset:4248
.LBB1169_397:
	s_or_b32 exec_lo, exec_lo, s16
	s_waitcnt lgkmcnt(2)
	v_cndmask_b32_e64 v66, v74, v71, s14
	s_waitcnt lgkmcnt(0)
	s_waitcnt_vscnt null, 0x0
	s_barrier
	buffer_gl0_inv
	v_cndmask_b32_e64 v61, v73, v61, s14
	v_cmp_eq_u32_e32 vcc_lo, 0, v66
	v_mov_b32_e32 v65, 0
	v_cndmask_b32_e64 v62, v72, v62, s14
	v_cndmask_b32_e64 v66, v66, 0, s2
	ds_load_b64 v[63:64], v65 offset:4248
	s_waitcnt lgkmcnt(0)
	v_dual_cndmask_b32 v68, 0, v63 :: v_dual_cndmask_b32 v67, 0, v64
	s_delay_alu instid0(VALU_DEP_1) | instskip(NEXT) | instid1(VALU_DEP_2)
	v_add_co_u32 v61, vcc_lo, v68, v61
	v_add_co_ci_u32_e32 v62, vcc_lo, v67, v62, vcc_lo
	v_cmp_eq_u32_e32 vcc_lo, 0, v113
	s_delay_alu instid0(VALU_DEP_3) | instskip(NEXT) | instid1(VALU_DEP_3)
	v_cndmask_b32_e64 v79, v61, v63, s2
	v_cndmask_b32_e64 v80, v62, v64, s2
	ds_load_b32 v64, v65 offset:4240
	s_waitcnt lgkmcnt(0)
	v_cndmask_b32_e32 v62, 0, v79, vcc_lo
	s_barrier
	v_cndmask_b32_e32 v61, 0, v80, vcc_lo
	buffer_gl0_inv
	ds_load_b64 v[117:118], v65 offset:4104
	v_add_co_u32 v75, vcc_lo, v62, v53
	v_add_co_ci_u32_e32 v76, vcc_lo, v61, v54, vcc_lo
	s_delay_alu instid0(VALU_DEP_2) | instskip(NEXT) | instid1(VALU_DEP_2)
	v_cndmask_b32_e64 v61, 0, v75, s13
	v_cndmask_b32_e64 v62, 0, v76, s13
	s_delay_alu instid0(VALU_DEP_2) | instskip(NEXT) | instid1(VALU_DEP_2)
	v_add_co_u32 v81, vcc_lo, v61, v55
	v_add_co_ci_u32_e32 v82, vcc_lo, v62, v56, vcc_lo
	v_add_nc_u32_e32 v114, v64, v66
	s_delay_alu instid0(VALU_DEP_3) | instskip(NEXT) | instid1(VALU_DEP_3)
	v_cndmask_b32_e64 v61, 0, v81, s12
	v_cndmask_b32_e64 v62, 0, v82, s12
	s_delay_alu instid0(VALU_DEP_2) | instskip(NEXT) | instid1(VALU_DEP_2)
	v_add_co_u32 v85, vcc_lo, v61, v49
	v_add_co_ci_u32_e32 v86, vcc_lo, v62, v50, vcc_lo
	s_delay_alu instid0(VALU_DEP_2) | instskip(NEXT) | instid1(VALU_DEP_2)
	v_cndmask_b32_e64 v61, 0, v85, s11
	v_cndmask_b32_e64 v62, 0, v86, s11
	s_delay_alu instid0(VALU_DEP_2) | instskip(NEXT) | instid1(VALU_DEP_2)
	v_add_co_u32 v67, vcc_lo, v61, v51
	v_add_co_ci_u32_e32 v68, vcc_lo, v62, v52, vcc_lo
	s_delay_alu instid0(VALU_DEP_2) | instskip(NEXT) | instid1(VALU_DEP_2)
	;; [unrolled: 6-line block ×7, first 2 shown]
	v_cndmask_b32_e64 v61, 0, v69, s5
	v_cndmask_b32_e64 v62, 0, v70, s5
	s_delay_alu instid0(VALU_DEP_2) | instskip(NEXT) | instid1(VALU_DEP_2)
	v_add_co_u32 v73, vcc_lo, v61, v39
	v_add_co_ci_u32_e32 v74, vcc_lo, v62, v40, vcc_lo
	ds_load_b32 v61, v65 offset:4096
	v_cndmask_b32_e64 v62, 0, v73, s4
	v_cndmask_b32_e64 v63, 0, v74, s4
	s_delay_alu instid0(VALU_DEP_2) | instskip(NEXT) | instid1(VALU_DEP_2)
	v_add_co_u32 v89, vcc_lo, v62, v33
	v_add_co_ci_u32_e32 v90, vcc_lo, v63, v34, vcc_lo
	ds_load_b64 v[62:63], v65 offset:4120
	v_cndmask_b32_e64 v91, 0, v89, s3
	ds_load_b32 v65, v65 offset:4112
	v_cndmask_b32_e64 v92, 0, v90, s3
	v_add_co_u32 v91, vcc_lo, v91, v35
	s_delay_alu instid0(VALU_DEP_2) | instskip(SKIP_2) | instid1(VALU_DEP_3)
	v_add_co_ci_u32_e32 v92, vcc_lo, v92, v36, vcc_lo
	s_waitcnt lgkmcnt(2)
	v_cmp_eq_u32_e32 vcc_lo, 0, v61
	v_cndmask_b32_e64 v93, 0, v91, s1
	s_delay_alu instid0(VALU_DEP_3) | instskip(NEXT) | instid1(VALU_DEP_2)
	v_cndmask_b32_e64 v94, 0, v92, s1
	v_add_co_u32 v93, s1, v93, v29
	s_delay_alu instid0(VALU_DEP_1) | instskip(SKIP_2) | instid1(VALU_DEP_3)
	v_add_co_ci_u32_e64 v94, s1, v94, v30, s1
	s_waitcnt lgkmcnt(1)
	v_dual_cndmask_b32 v62, 0, v62 :: v_dual_cndmask_b32 v119, 0, v63
	v_cndmask_b32_e64 v97, 0, v93, s0
	s_delay_alu instid0(VALU_DEP_3) | instskip(NEXT) | instid1(VALU_DEP_3)
	v_cndmask_b32_e64 v98, 0, v94, s0
	v_add_co_u32 v63, vcc_lo, v62, v117
	s_delay_alu instid0(VALU_DEP_4)
	v_add_co_ci_u32_e32 v64, vcc_lo, v119, v118, vcc_lo
	s_branch .LBB1169_426
.LBB1169_398:
                                        ; implicit-def: $vgpr61
                                        ; implicit-def: $vgpr63_vgpr64
                                        ; implicit-def: $vgpr65
                                        ; implicit-def: $vgpr79_vgpr80
                                        ; implicit-def: $vgpr75_vgpr76
                                        ; implicit-def: $vgpr81_vgpr82
                                        ; implicit-def: $vgpr85_vgpr86
                                        ; implicit-def: $vgpr67_vgpr68
                                        ; implicit-def: $vgpr71_vgpr72
                                        ; implicit-def: $vgpr77_vgpr78
                                        ; implicit-def: $vgpr83_vgpr84
                                        ; implicit-def: $vgpr87_vgpr88
                                        ; implicit-def: $vgpr69_vgpr70
                                        ; implicit-def: $vgpr73_vgpr74
                                        ; implicit-def: $vgpr89_vgpr90
                                        ; implicit-def: $vgpr91_vgpr92
                                        ; implicit-def: $vgpr93_vgpr94
                                        ; implicit-def: $vgpr97_vgpr98
                                        ; implicit-def: $vgpr114
	s_cbranch_execz .LBB1169_426
; %bb.399:
	s_and_b32 s0, s15, exec_lo
	s_cselect_b32 s1, 0, s29
	s_cselect_b32 s0, 0, s28
	s_delay_alu instid0(SALU_CYCLE_1)
	s_cmp_eq_u64 s[0:1], 0
	s_cbranch_scc1 .LBB1169_401
; %bb.400:
	v_mov_b32_e32 v61, 0
	global_load_b64 v[95:96], v61, s[0:1]
.LBB1169_401:
	v_cmp_eq_u32_e64 s12, 0, v112
	v_cmp_eq_u32_e64 s11, 0, v111
	;; [unrolled: 1-line block ×5, first 2 shown]
	v_cndmask_b32_e64 v62, 0, v53, s12
	v_cndmask_b32_e64 v61, 0, v54, s12
	v_cmp_eq_u32_e64 s7, 0, v107
	v_cmp_eq_u32_e64 s6, 0, v106
	;; [unrolled: 1-line block ×3, first 2 shown]
	v_add_co_u32 v62, vcc_lo, v62, v55
	v_add_co_ci_u32_e32 v61, vcc_lo, v61, v56, vcc_lo
	v_cmp_eq_u32_e64 s4, 0, v103
	s_delay_alu instid0(VALU_DEP_3) | instskip(SKIP_1) | instid1(VALU_DEP_4)
	v_cndmask_b32_e64 v62, 0, v62, s11
	v_cmp_eq_u32_e64 s3, 0, v102
	v_cndmask_b32_e64 v61, 0, v61, s11
	v_cmp_eq_u32_e64 s1, 0, v100
	v_add3_u32 v63, v116, v108, v107
	v_add_co_u32 v62, vcc_lo, v62, v49
	s_delay_alu instid0(VALU_DEP_4) | instskip(NEXT) | instid1(VALU_DEP_3)
	v_add_co_ci_u32_e32 v61, vcc_lo, v61, v50, vcc_lo
	v_add3_u32 v63, v63, v106, v104
	s_delay_alu instid0(VALU_DEP_3) | instskip(SKIP_1) | instid1(VALU_DEP_3)
	v_cndmask_b32_e64 v62, 0, v62, s10
	s_mov_b32 s14, exec_lo
	v_cndmask_b32_e64 v61, 0, v61, s10
	s_delay_alu instid0(VALU_DEP_3) | instskip(NEXT) | instid1(VALU_DEP_3)
	v_add3_u32 v63, v63, v103, v102
	v_add_co_u32 v62, vcc_lo, v62, v51
	s_delay_alu instid0(VALU_DEP_3) | instskip(NEXT) | instid1(VALU_DEP_3)
	v_add_co_ci_u32_e32 v61, vcc_lo, v61, v52, vcc_lo
	v_add3_u32 v63, v63, v101, v100
	s_delay_alu instid0(VALU_DEP_3) | instskip(NEXT) | instid1(VALU_DEP_3)
	v_cndmask_b32_e64 v62, 0, v62, s9
	v_cndmask_b32_e64 v61, 0, v61, s9
	s_delay_alu instid0(VALU_DEP_3) | instskip(NEXT) | instid1(VALU_DEP_3)
	v_add3_u32 v63, v63, v99, v105
	v_add_co_u32 v62, vcc_lo, v62, v45
	s_delay_alu instid0(VALU_DEP_3) | instskip(NEXT) | instid1(VALU_DEP_2)
	v_add_co_ci_u32_e32 v61, vcc_lo, v61, v46, vcc_lo
	v_cndmask_b32_e64 v62, 0, v62, s8
	s_delay_alu instid0(VALU_DEP_2) | instskip(NEXT) | instid1(VALU_DEP_2)
	v_cndmask_b32_e64 v61, 0, v61, s8
	v_add_co_u32 v62, vcc_lo, v62, v47
	s_delay_alu instid0(VALU_DEP_2) | instskip(NEXT) | instid1(VALU_DEP_2)
	v_add_co_ci_u32_e32 v61, vcc_lo, v61, v48, vcc_lo
	v_cndmask_b32_e64 v62, 0, v62, s7
	s_delay_alu instid0(VALU_DEP_2) | instskip(NEXT) | instid1(VALU_DEP_2)
	v_cndmask_b32_e64 v61, 0, v61, s7
	v_add_co_u32 v62, vcc_lo, v62, v41
	s_delay_alu instid0(VALU_DEP_2) | instskip(NEXT) | instid1(VALU_DEP_2)
	;; [unrolled: 6-line block ×5, first 2 shown]
	v_add_co_ci_u32_e32 v61, vcc_lo, v61, v40, vcc_lo
	v_cndmask_b32_e64 v62, 0, v62, s3
	s_delay_alu instid0(VALU_DEP_2) | instskip(NEXT) | instid1(VALU_DEP_2)
	v_cndmask_b32_e64 v61, 0, v61, s3
	v_add_co_u32 v62, vcc_lo, v62, v33
	s_delay_alu instid0(VALU_DEP_2) | instskip(SKIP_1) | instid1(VALU_DEP_2)
	v_add_co_ci_u32_e32 v61, vcc_lo, v61, v34, vcc_lo
	v_cmp_eq_u32_e32 vcc_lo, 0, v101
	v_dual_cndmask_b32 v61, 0, v61 :: v_dual_cndmask_b32 v62, 0, v62
	s_delay_alu instid0(VALU_DEP_1) | instskip(NEXT) | instid1(VALU_DEP_1)
	v_add_co_u32 v62, s0, v62, v35
	v_add_co_ci_u32_e64 v61, s0, v61, v36, s0
	s_delay_alu instid0(VALU_DEP_2) | instskip(NEXT) | instid1(VALU_DEP_2)
	v_cndmask_b32_e64 v62, 0, v62, s1
	v_cndmask_b32_e64 v61, 0, v61, s1
	s_delay_alu instid0(VALU_DEP_2) | instskip(NEXT) | instid1(VALU_DEP_1)
	v_add_co_u32 v62, s0, v62, v29
	v_add_co_ci_u32_e64 v61, s0, v61, v30, s0
	v_cmp_eq_u32_e64 s0, 0, v99
	s_delay_alu instid0(VALU_DEP_1) | instskip(NEXT) | instid1(VALU_DEP_3)
	v_cndmask_b32_e64 v62, 0, v62, s0
	v_cndmask_b32_e64 v61, 0, v61, s0
	s_delay_alu instid0(VALU_DEP_2) | instskip(NEXT) | instid1(VALU_DEP_1)
	v_add_co_u32 v62, s13, v62, v31
	v_add_co_ci_u32_e64 v61, s13, v61, v32, s13
	v_cmp_eq_u32_e64 s13, 0, v105
	s_delay_alu instid0(VALU_DEP_1) | instskip(NEXT) | instid1(VALU_DEP_3)
	v_cndmask_b32_e64 v62, 0, v62, s13
	v_cndmask_b32_e64 v61, 0, v61, s13
	s_delay_alu instid0(VALU_DEP_2) | instskip(NEXT) | instid1(VALU_DEP_1)
	v_add_co_u32 v59, s13, v62, v59
	v_add_co_ci_u32_e64 v60, s13, v61, v60, s13
	v_and_b32_e32 v61, 15, v115
	v_mov_b32_dpp v62, v63 row_shr:1 row_mask:0xf bank_mask:0xf
	s_delay_alu instid0(VALU_DEP_4)
	v_mov_b32_dpp v64, v59 row_shr:1 row_mask:0xf bank_mask:0xf
	s_waitcnt lgkmcnt(0)
	v_mov_b32_dpp v65, v60 row_shr:1 row_mask:0xf bank_mask:0xf
	v_cmpx_ne_u32_e32 0, v61
; %bb.402:
	v_cmp_eq_u32_e64 s13, 0, v63
	v_add_nc_u32_e32 v63, v62, v63
	s_delay_alu instid0(VALU_DEP_2) | instskip(SKIP_1) | instid1(VALU_DEP_2)
	v_cndmask_b32_e64 v64, 0, v64, s13
	v_cndmask_b32_e64 v65, 0, v65, s13
	v_add_co_u32 v59, s13, v64, v59
	s_delay_alu instid0(VALU_DEP_1)
	v_add_co_ci_u32_e64 v60, s13, v65, v60, s13
; %bb.403:
	s_or_b32 exec_lo, exec_lo, s14
	v_mov_b32_dpp v62, v63 row_shr:2 row_mask:0xf bank_mask:0xf
	s_delay_alu instid0(VALU_DEP_3) | instskip(NEXT) | instid1(VALU_DEP_3)
	v_mov_b32_dpp v64, v59 row_shr:2 row_mask:0xf bank_mask:0xf
	v_mov_b32_dpp v65, v60 row_shr:2 row_mask:0xf bank_mask:0xf
	s_mov_b32 s14, exec_lo
	v_cmpx_lt_u32_e32 1, v61
; %bb.404:
	v_cmp_eq_u32_e64 s13, 0, v63
	v_add_nc_u32_e32 v63, v62, v63
	s_delay_alu instid0(VALU_DEP_2) | instskip(SKIP_1) | instid1(VALU_DEP_2)
	v_cndmask_b32_e64 v64, 0, v64, s13
	v_cndmask_b32_e64 v65, 0, v65, s13
	v_add_co_u32 v59, s13, v64, v59
	s_delay_alu instid0(VALU_DEP_1)
	v_add_co_ci_u32_e64 v60, s13, v65, v60, s13
; %bb.405:
	s_or_b32 exec_lo, exec_lo, s14
	v_mov_b32_dpp v62, v63 row_shr:4 row_mask:0xf bank_mask:0xf
	s_delay_alu instid0(VALU_DEP_3) | instskip(NEXT) | instid1(VALU_DEP_3)
	v_mov_b32_dpp v64, v59 row_shr:4 row_mask:0xf bank_mask:0xf
	v_mov_b32_dpp v65, v60 row_shr:4 row_mask:0xf bank_mask:0xf
	s_mov_b32 s14, exec_lo
	v_cmpx_lt_u32_e32 3, v61
	;; [unrolled: 17-line block ×3, first 2 shown]
; %bb.408:
	v_cmp_eq_u32_e64 s13, 0, v63
	v_add_nc_u32_e32 v63, v62, v63
	s_delay_alu instid0(VALU_DEP_2) | instskip(SKIP_1) | instid1(VALU_DEP_2)
	v_cndmask_b32_e64 v64, 0, v64, s13
	v_cndmask_b32_e64 v61, 0, v65, s13
	v_add_co_u32 v59, s13, v64, v59
	s_delay_alu instid0(VALU_DEP_1)
	v_add_co_ci_u32_e64 v60, s13, v61, v60, s13
; %bb.409:
	s_or_b32 exec_lo, exec_lo, s14
	ds_swizzle_b32 v61, v63 offset:swizzle(BROADCAST,32,15)
	ds_swizzle_b32 v62, v59 offset:swizzle(BROADCAST,32,15)
	;; [unrolled: 1-line block ×3, first 2 shown]
	v_and_b32_e32 v65, 16, v115
	s_mov_b32 s14, exec_lo
	s_delay_alu instid0(VALU_DEP_1)
	v_cmpx_ne_u32_e32 0, v65
	s_cbranch_execz .LBB1169_411
; %bb.410:
	v_cmp_eq_u32_e64 s13, 0, v63
	s_waitcnt lgkmcnt(2)
	v_add_nc_u32_e32 v63, v61, v63
	s_waitcnt lgkmcnt(1)
	s_delay_alu instid0(VALU_DEP_2) | instskip(SKIP_2) | instid1(VALU_DEP_2)
	v_cndmask_b32_e64 v62, 0, v62, s13
	s_waitcnt lgkmcnt(0)
	v_cndmask_b32_e64 v64, 0, v64, s13
	v_add_co_u32 v59, s13, v62, v59
	s_delay_alu instid0(VALU_DEP_1)
	v_add_co_ci_u32_e64 v60, s13, v64, v60, s13
.LBB1169_411:
	s_or_b32 exec_lo, exec_lo, s14
	s_waitcnt lgkmcnt(1)
	v_lshrrev_b32_e32 v62, 5, v0
	v_or_b32_e32 v61, 31, v0
	s_mov_b32 s14, exec_lo
	s_waitcnt lgkmcnt(0)
	s_delay_alu instid0(VALU_DEP_2) | instskip(NEXT) | instid1(VALU_DEP_2)
	v_lshlrev_b32_e32 v64, 4, v62
	v_cmpx_eq_u32_e64 v61, v0
	s_cbranch_execz .LBB1169_413
; %bb.412:
	ds_store_b32 v64, v63 offset:4128
	ds_store_b64 v64, v[59:60] offset:4136
.LBB1169_413:
	s_or_b32 exec_lo, exec_lo, s14
	s_delay_alu instid0(SALU_CYCLE_1)
	s_mov_b32 s14, exec_lo
	s_waitcnt vmcnt(0) lgkmcnt(0)
	s_barrier
	buffer_gl0_inv
	v_cmpx_gt_u32_e32 8, v0
	s_cbranch_execz .LBB1169_421
; %bb.414:
	v_lshlrev_b32_e32 v65, 4, v0
	v_and_b32_e32 v67, 7, v115
	s_mov_b32 s16, exec_lo
	ds_load_b32 v66, v65 offset:4128
	ds_load_b64 v[61:62], v65 offset:4136
	s_waitcnt lgkmcnt(1)
	v_mov_b32_dpp v68, v66 row_shr:1 row_mask:0xf bank_mask:0xf
	s_waitcnt lgkmcnt(0)
	v_mov_b32_dpp v69, v61 row_shr:1 row_mask:0xf bank_mask:0xf
	v_mov_b32_dpp v70, v62 row_shr:1 row_mask:0xf bank_mask:0xf
	v_cmpx_ne_u32_e32 0, v67
; %bb.415:
	v_cmp_eq_u32_e64 s13, 0, v66
	v_add_nc_u32_e32 v66, v68, v66
	s_delay_alu instid0(VALU_DEP_2) | instskip(SKIP_1) | instid1(VALU_DEP_2)
	v_cndmask_b32_e64 v69, 0, v69, s13
	v_cndmask_b32_e64 v70, 0, v70, s13
	v_add_co_u32 v61, s13, v69, v61
	s_delay_alu instid0(VALU_DEP_1)
	v_add_co_ci_u32_e64 v62, s13, v70, v62, s13
; %bb.416:
	s_or_b32 exec_lo, exec_lo, s16
	v_mov_b32_dpp v68, v66 row_shr:2 row_mask:0xf bank_mask:0xf
	s_delay_alu instid0(VALU_DEP_3) | instskip(NEXT) | instid1(VALU_DEP_3)
	v_mov_b32_dpp v69, v61 row_shr:2 row_mask:0xf bank_mask:0xf
	v_mov_b32_dpp v70, v62 row_shr:2 row_mask:0xf bank_mask:0xf
	s_mov_b32 s16, exec_lo
	v_cmpx_lt_u32_e32 1, v67
; %bb.417:
	v_cmp_eq_u32_e64 s13, 0, v66
	v_add_nc_u32_e32 v66, v68, v66
	s_delay_alu instid0(VALU_DEP_2) | instskip(SKIP_1) | instid1(VALU_DEP_2)
	v_cndmask_b32_e64 v69, 0, v69, s13
	v_cndmask_b32_e64 v70, 0, v70, s13
	v_add_co_u32 v61, s13, v69, v61
	s_delay_alu instid0(VALU_DEP_1)
	v_add_co_ci_u32_e64 v62, s13, v70, v62, s13
; %bb.418:
	s_or_b32 exec_lo, exec_lo, s16
	v_mov_b32_dpp v68, v66 row_shr:4 row_mask:0xf bank_mask:0xf
	s_delay_alu instid0(VALU_DEP_3) | instskip(NEXT) | instid1(VALU_DEP_3)
	v_mov_b32_dpp v69, v61 row_shr:4 row_mask:0xf bank_mask:0xf
	v_mov_b32_dpp v70, v62 row_shr:4 row_mask:0xf bank_mask:0xf
	s_mov_b32 s16, exec_lo
	v_cmpx_lt_u32_e32 3, v67
; %bb.419:
	v_cmp_eq_u32_e64 s13, 0, v66
	v_add_nc_u32_e32 v66, v68, v66
	s_delay_alu instid0(VALU_DEP_2) | instskip(SKIP_1) | instid1(VALU_DEP_2)
	v_cndmask_b32_e64 v69, 0, v69, s13
	v_cndmask_b32_e64 v67, 0, v70, s13
	v_add_co_u32 v61, s13, v69, v61
	s_delay_alu instid0(VALU_DEP_1)
	v_add_co_ci_u32_e64 v62, s13, v67, v62, s13
; %bb.420:
	s_or_b32 exec_lo, exec_lo, s16
	ds_store_b32 v65, v66 offset:4128
	ds_store_b64 v65, v[61:62] offset:4136
.LBB1169_421:
	s_or_b32 exec_lo, exec_lo, s14
	v_dual_mov_b32 v65, 0 :: v_dual_mov_b32 v66, 0
	v_dual_mov_b32 v61, v95 :: v_dual_mov_b32 v62, v96
	s_mov_b32 s14, exec_lo
	s_waitcnt lgkmcnt(0)
	s_barrier
	buffer_gl0_inv
	v_cmpx_lt_u32_e32 31, v0
	s_cbranch_execz .LBB1169_423
; %bb.422:
	ds_load_b32 v66, v64 offset:4112
	ds_load_b64 v[61:62], v64 offset:4120
	s_waitcnt lgkmcnt(1)
	v_cmp_eq_u32_e64 s13, 0, v66
	s_delay_alu instid0(VALU_DEP_1) | instskip(SKIP_2) | instid1(VALU_DEP_2)
	v_cndmask_b32_e64 v67, 0, v95, s13
	v_cndmask_b32_e64 v64, 0, v96, s13
	s_waitcnt lgkmcnt(0)
	v_add_co_u32 v61, s13, v67, v61
	s_delay_alu instid0(VALU_DEP_1)
	v_add_co_ci_u32_e64 v62, s13, v64, v62, s13
.LBB1169_423:
	s_or_b32 exec_lo, exec_lo, s14
	v_add_nc_u32_e32 v64, -1, v115
	v_cmp_eq_u32_e64 s13, 0, v63
	v_add_nc_u32_e32 v63, v66, v63
	s_delay_alu instid0(VALU_DEP_3) | instskip(NEXT) | instid1(VALU_DEP_3)
	v_cmp_gt_i32_e64 s14, 0, v64
	v_cndmask_b32_e64 v68, 0, v61, s13
	v_cndmask_b32_e64 v67, 0, v62, s13
	s_delay_alu instid0(VALU_DEP_3) | instskip(NEXT) | instid1(VALU_DEP_3)
	v_cndmask_b32_e64 v64, v64, v115, s14
	v_add_co_u32 v59, s13, v68, v59
	s_delay_alu instid0(VALU_DEP_1) | instskip(NEXT) | instid1(VALU_DEP_3)
	v_add_co_ci_u32_e64 v60, s13, v67, v60, s13
	v_lshlrev_b32_e32 v64, 2, v64
	v_cmp_eq_u32_e64 s13, 0, v115
	ds_bpermute_b32 v59, v64, v59
	ds_bpermute_b32 v60, v64, v60
	;; [unrolled: 1-line block ×3, first 2 shown]
	s_waitcnt lgkmcnt(2)
	v_cndmask_b32_e64 v79, v59, v61, s13
	s_waitcnt lgkmcnt(1)
	v_cndmask_b32_e64 v80, v60, v62, s13
	;; [unrolled: 2-line block ×3, first 2 shown]
	v_cmp_eq_u32_e64 s13, 0, v113
	ds_load_b32 v61, v65 offset:4240
	v_cndmask_b32_e64 v59, v79, v95, s2
	v_cndmask_b32_e64 v60, v80, v96, s2
	s_delay_alu instid0(VALU_DEP_2) | instskip(NEXT) | instid1(VALU_DEP_2)
	v_cndmask_b32_e64 v59, 0, v59, s13
	v_cndmask_b32_e64 v60, 0, v60, s13
	s_delay_alu instid0(VALU_DEP_2) | instskip(NEXT) | instid1(VALU_DEP_1)
	v_add_co_u32 v75, s13, v59, v53
	v_add_co_ci_u32_e64 v76, s13, v60, v54, s13
	s_delay_alu instid0(VALU_DEP_2) | instskip(NEXT) | instid1(VALU_DEP_2)
	v_cndmask_b32_e64 v53, 0, v75, s12
	v_cndmask_b32_e64 v54, 0, v76, s12
	s_delay_alu instid0(VALU_DEP_2) | instskip(NEXT) | instid1(VALU_DEP_1)
	v_add_co_u32 v81, s12, v53, v55
	v_add_co_ci_u32_e64 v82, s12, v54, v56, s12
	s_delay_alu instid0(VALU_DEP_2) | instskip(NEXT) | instid1(VALU_DEP_2)
	v_cndmask_b32_e64 v53, 0, v81, s11
	v_cndmask_b32_e64 v54, 0, v82, s11
	s_delay_alu instid0(VALU_DEP_2) | instskip(NEXT) | instid1(VALU_DEP_1)
	v_add_co_u32 v85, s11, v53, v49
	v_add_co_ci_u32_e64 v86, s11, v54, v50, s11
	s_delay_alu instid0(VALU_DEP_2) | instskip(NEXT) | instid1(VALU_DEP_2)
	v_cndmask_b32_e64 v49, 0, v85, s10
	v_cndmask_b32_e64 v50, 0, v86, s10
	s_delay_alu instid0(VALU_DEP_2) | instskip(NEXT) | instid1(VALU_DEP_1)
	v_add_co_u32 v67, s10, v49, v51
	v_add_co_ci_u32_e64 v68, s10, v50, v52, s10
	s_delay_alu instid0(VALU_DEP_2) | instskip(NEXT) | instid1(VALU_DEP_2)
	v_cndmask_b32_e64 v49, 0, v67, s9
	v_cndmask_b32_e64 v50, 0, v68, s9
	s_delay_alu instid0(VALU_DEP_2) | instskip(NEXT) | instid1(VALU_DEP_1)
	v_add_co_u32 v71, s9, v49, v45
	v_add_co_ci_u32_e64 v72, s9, v50, v46, s9
	s_delay_alu instid0(VALU_DEP_2) | instskip(NEXT) | instid1(VALU_DEP_2)
	v_cndmask_b32_e64 v45, 0, v71, s8
	v_cndmask_b32_e64 v46, 0, v72, s8
	s_delay_alu instid0(VALU_DEP_2) | instskip(NEXT) | instid1(VALU_DEP_1)
	v_add_co_u32 v77, s8, v45, v47
	v_add_co_ci_u32_e64 v78, s8, v46, v48, s8
	s_delay_alu instid0(VALU_DEP_2) | instskip(NEXT) | instid1(VALU_DEP_2)
	v_cndmask_b32_e64 v45, 0, v77, s7
	v_cndmask_b32_e64 v46, 0, v78, s7
	s_delay_alu instid0(VALU_DEP_2) | instskip(NEXT) | instid1(VALU_DEP_1)
	v_add_co_u32 v83, s7, v45, v41
	v_add_co_ci_u32_e64 v84, s7, v46, v42, s7
	s_delay_alu instid0(VALU_DEP_2) | instskip(NEXT) | instid1(VALU_DEP_2)
	v_cndmask_b32_e64 v41, 0, v83, s6
	v_cndmask_b32_e64 v42, 0, v84, s6
	s_delay_alu instid0(VALU_DEP_2) | instskip(NEXT) | instid1(VALU_DEP_1)
	v_add_co_u32 v87, s6, v41, v43
	v_add_co_ci_u32_e64 v88, s6, v42, v44, s6
	s_delay_alu instid0(VALU_DEP_2) | instskip(NEXT) | instid1(VALU_DEP_2)
	v_cndmask_b32_e64 v41, 0, v87, s5
	v_cndmask_b32_e64 v42, 0, v88, s5
	s_delay_alu instid0(VALU_DEP_2) | instskip(NEXT) | instid1(VALU_DEP_1)
	v_add_co_u32 v69, s5, v41, v37
	v_add_co_ci_u32_e64 v70, s5, v42, v38, s5
	s_delay_alu instid0(VALU_DEP_2) | instskip(NEXT) | instid1(VALU_DEP_2)
	v_cndmask_b32_e64 v37, 0, v69, s4
	v_cndmask_b32_e64 v38, 0, v70, s4
	s_delay_alu instid0(VALU_DEP_2) | instskip(NEXT) | instid1(VALU_DEP_1)
	v_add_co_u32 v73, s4, v37, v39
	v_add_co_ci_u32_e64 v74, s4, v38, v40, s4
	s_delay_alu instid0(VALU_DEP_2) | instskip(NEXT) | instid1(VALU_DEP_2)
	v_cndmask_b32_e64 v37, 0, v73, s3
	v_cndmask_b32_e64 v38, 0, v74, s3
	s_delay_alu instid0(VALU_DEP_2) | instskip(NEXT) | instid1(VALU_DEP_1)
	v_add_co_u32 v89, s3, v37, v33
	v_add_co_ci_u32_e64 v90, s3, v38, v34, s3
	ds_load_b64 v[33:34], v65 offset:4248
	v_dual_cndmask_b32 v37, 0, v89 :: v_dual_cndmask_b32 v38, 0, v90
	s_delay_alu instid0(VALU_DEP_1) | instskip(NEXT) | instid1(VALU_DEP_2)
	v_add_co_u32 v91, vcc_lo, v37, v35
	v_add_co_ci_u32_e32 v92, vcc_lo, v38, v36, vcc_lo
	s_waitcnt lgkmcnt(1)
	v_cmp_eq_u32_e32 vcc_lo, 0, v61
	s_delay_alu instid0(VALU_DEP_3) | instskip(NEXT) | instid1(VALU_DEP_3)
	v_cndmask_b32_e64 v35, 0, v91, s1
	v_cndmask_b32_e64 v36, 0, v92, s1
	s_delay_alu instid0(VALU_DEP_2) | instskip(NEXT) | instid1(VALU_DEP_1)
	v_add_co_u32 v93, s1, v35, v29
	v_add_co_ci_u32_e64 v94, s1, v36, v30, s1
	v_dual_cndmask_b32 v29, 0, v96 :: v_dual_cndmask_b32 v30, 0, v95
	s_delay_alu instid0(VALU_DEP_3) | instskip(NEXT) | instid1(VALU_DEP_3)
	v_cndmask_b32_e64 v97, 0, v93, s0
	v_cndmask_b32_e64 v98, 0, v94, s0
	s_waitcnt lgkmcnt(0)
	s_delay_alu instid0(VALU_DEP_3)
	v_add_co_u32 v63, vcc_lo, v30, v33
	v_add_co_ci_u32_e32 v64, vcc_lo, v29, v34, vcc_lo
	s_and_saveexec_b32 s0, s2
	s_cbranch_execz .LBB1169_425
; %bb.424:
	v_dual_mov_b32 v114, 0 :: v_dual_mov_b32 v29, 2
	v_dual_mov_b32 v79, v95 :: v_dual_mov_b32 v80, v96
	s_clause 0x1
	global_store_b32 v114, v61, s[54:55] offset:512
	global_store_b64 v114, v[63:64], s[54:55] offset:520
	s_waitcnt_vscnt null, 0x0
	buffer_gl1_inv
	buffer_gl0_inv
	global_store_b8 v114, v29, s[56:57] offset:32
.LBB1169_425:
	s_or_b32 exec_lo, exec_lo, s0
	v_mov_b32_e32 v65, 0
.LBB1169_426:
	v_mov_b32_e32 v29, 0
	s_and_b32 s0, s15, exec_lo
	v_mov_b32_e32 v30, 0
	s_cselect_b32 s1, 0, s67
	s_cselect_b32 s0, 0, s66
	s_waitcnt lgkmcnt(0)
	s_waitcnt_vscnt null, 0x0
	s_cmp_eq_u64 s[0:1], 0
	s_barrier
	buffer_gl0_inv
	s_cbranch_scc1 .LBB1169_428
; %bb.427:
	v_mov_b32_e32 v29, 0
	global_load_b64 v[29:30], v29, s[0:1]
.LBB1169_428:
	v_cmp_eq_u32_e32 vcc_lo, 0, v113
	v_add_nc_u32_e32 v48, v114, v113
	v_cmp_ne_u32_e64 s13, 0, v113
	v_cmp_ne_u32_e64 s12, 0, v112
	;; [unrolled: 1-line block ×3, first 2 shown]
	v_cndmask_b32_e64 v33, 1, 2, vcc_lo
	v_cmp_eq_u32_e32 vcc_lo, 0, v112
	v_add_nc_u32_e32 v50, v48, v112
	v_cmp_ne_u32_e64 s9, 0, v110
	v_cmp_ne_u32_e64 s15, 0, v109
	;; [unrolled: 1-line block ×3, first 2 shown]
	v_cndmask_b32_e64 v34, 1, 2, vcc_lo
	v_cmp_eq_u32_e32 vcc_lo, 0, v111
	v_add_nc_u32_e32 v49, v50, v111
	v_cmp_ne_u32_e64 s11, 0, v107
	s_delay_alu instid0(VALU_DEP_4)
	v_dual_mov_b32 v66, 0 :: v_dual_and_b32 v33, v34, v33
	v_cndmask_b32_e64 v35, 1, 2, vcc_lo
	v_cmp_eq_u32_e32 vcc_lo, 0, v110
	v_add_nc_u32_e32 v47, v49, v110
	v_cmp_ne_u32_e64 s8, 0, v106
	v_cmp_ne_u32_e64 s7, 0, v104
	v_and_b32_e32 v35, v33, v35
	v_cndmask_b32_e64 v36, 1, 2, vcc_lo
	v_cmp_eq_u32_e32 vcc_lo, 0, v109
	v_add_nc_u32_e32 v46, v47, v109
	s_waitcnt vmcnt(0)
	v_lshlrev_b64 v[33:34], 3, v[29:30]
	v_cmp_ne_u32_e64 s6, 0, v103
	v_and_b32_e32 v35, v35, v36
	v_cndmask_b32_e64 v37, 1, 2, vcc_lo
	v_cmp_eq_u32_e32 vcc_lo, 0, v108
	v_add_nc_u32_e32 v45, v46, v108
	v_cmp_ne_u32_e64 s5, 0, v102
	v_cmp_ne_u32_e64 s4, 0, v101
	v_and_b32_e32 v35, v35, v37
	v_cndmask_b32_e64 v36, 1, 2, vcc_lo
	v_cmp_eq_u32_e32 vcc_lo, 0, v107
	v_add_nc_u32_e32 v44, v45, v107
	v_cmp_ne_u32_e64 s3, 0, v100
	;; [unrolled: 6-line block ×3, first 2 shown]
	s_mov_b32 s17, -1
	v_and_b32_e32 v35, v35, v37
	v_cndmask_b32_e64 v36, 1, 2, vcc_lo
	v_cmp_eq_u32_e32 vcc_lo, 0, v104
	v_add_nc_u32_e32 v42, v43, v104
	s_delay_alu instid0(VALU_DEP_3) | instskip(SKIP_2) | instid1(VALU_DEP_4)
	v_and_b32_e32 v35, v35, v36
	v_cndmask_b32_e64 v37, 1, 2, vcc_lo
	v_cmp_eq_u32_e32 vcc_lo, 0, v103
	v_add_nc_u32_e32 v41, v42, v103
	s_delay_alu instid0(VALU_DEP_3) | instskip(SKIP_2) | instid1(VALU_DEP_4)
	v_and_b32_e32 v35, v35, v37
	v_cndmask_b32_e64 v36, 1, 2, vcc_lo
	v_cmp_eq_u32_e32 vcc_lo, 0, v102
	v_add_nc_u32_e32 v40, v41, v102
	s_delay_alu instid0(VALU_DEP_3) | instskip(SKIP_3) | instid1(VALU_DEP_3)
	v_and_b32_e32 v39, v35, v36
	v_cndmask_b32_e64 v37, 1, 2, vcc_lo
	v_cmp_eq_u32_e32 vcc_lo, 0, v101
	v_lshlrev_b64 v[35:36], 3, v[65:66]
	v_and_b32_e32 v37, v39, v37
	v_cndmask_b32_e64 v38, 1, 2, vcc_lo
	v_cmp_eq_u32_e32 vcc_lo, 0, v100
	v_add_nc_u32_e32 v39, v40, v101
	s_delay_alu instid0(VALU_DEP_3) | instskip(SKIP_3) | instid1(VALU_DEP_3)
	v_and_b32_e32 v54, v37, v38
	v_cndmask_b32_e64 v53, 1, 2, vcc_lo
	v_add_co_u32 v51, vcc_lo, s46, v33
	v_add_co_ci_u32_e32 v52, vcc_lo, s47, v34, vcc_lo
	v_and_b32_e32 v53, v54, v53
	s_delay_alu instid0(VALU_DEP_3) | instskip(NEXT) | instid1(VALU_DEP_3)
	v_add_co_u32 v51, vcc_lo, v51, v35
	v_add_co_ci_u32_e32 v52, vcc_lo, v52, v36, vcc_lo
	v_cmp_eq_u32_e32 vcc_lo, 0, v99
	v_add_nc_u32_e32 v38, v39, v100
	v_cndmask_b32_e64 v54, 1, 2, vcc_lo
	v_cmp_eq_u32_e32 vcc_lo, 0, v105
	s_delay_alu instid0(VALU_DEP_3) | instskip(NEXT) | instid1(VALU_DEP_3)
	v_add_nc_u32_e32 v37, v38, v99
	v_and_b32_e32 v53, v53, v54
	v_cndmask_b32_e64 v54, 1, 2, vcc_lo
	v_cmp_gt_u32_e32 vcc_lo, 0x100, v61
	s_delay_alu instid0(VALU_DEP_2) | instskip(NEXT) | instid1(VALU_DEP_1)
	v_and_b32_e32 v53, v53, v54
	v_cmp_gt_i16_e64 s16, 2, v53
	s_cbranch_vccz .LBB1169_435
; %bb.429:
	s_delay_alu instid0(VALU_DEP_1)
	s_and_saveexec_b32 s17, s16
	s_cbranch_execz .LBB1169_434
; %bb.430:
	s_mov_b32 s18, 0
	s_mov_b32 s16, exec_lo
	v_cmpx_ne_u16_e32 1, v53
	s_xor_b32 s16, exec_lo, s16
	s_cbranch_execnz .LBB1169_467
; %bb.431:
	s_and_not1_saveexec_b32 s16, s16
	s_cbranch_execnz .LBB1169_483
.LBB1169_432:
	s_or_b32 exec_lo, exec_lo, s16
	s_delay_alu instid0(SALU_CYCLE_1)
	s_and_b32 exec_lo, exec_lo, s18
	s_cbranch_execz .LBB1169_434
.LBB1169_433:
	v_sub_nc_u32_e32 v54, v37, v65
	v_mov_b32_e32 v55, 0
	s_delay_alu instid0(VALU_DEP_1) | instskip(NEXT) | instid1(VALU_DEP_1)
	v_lshlrev_b64 v[54:55], 3, v[54:55]
	v_add_co_u32 v54, vcc_lo, v51, v54
	s_delay_alu instid0(VALU_DEP_2)
	v_add_co_ci_u32_e32 v55, vcc_lo, v52, v55, vcc_lo
	global_store_b64 v[54:55], v[57:58], off
.LBB1169_434:
	s_or_b32 exec_lo, exec_lo, s17
	s_mov_b32 s17, 0
.LBB1169_435:
	s_delay_alu instid0(SALU_CYCLE_1)
	s_and_b32 vcc_lo, exec_lo, s17
	s_cbranch_vccz .LBB1169_445
; %bb.436:
	s_mov_b32 s16, exec_lo
	v_cmpx_gt_i16_e32 2, v53
	s_cbranch_execz .LBB1169_441
; %bb.437:
	s_mov_b32 s18, 0
	s_mov_b32 s17, exec_lo
	v_cmpx_ne_u16_e32 1, v53
	s_xor_b32 s17, exec_lo, s17
	s_cbranch_execnz .LBB1169_484
; %bb.438:
	s_and_not1_saveexec_b32 s0, s17
	s_cbranch_execnz .LBB1169_500
.LBB1169_439:
	s_or_b32 exec_lo, exec_lo, s0
	s_delay_alu instid0(SALU_CYCLE_1)
	s_and_b32 exec_lo, exec_lo, s18
	s_cbranch_execz .LBB1169_441
.LBB1169_440:
	v_sub_nc_u32_e32 v1, v37, v65
	s_delay_alu instid0(VALU_DEP_1)
	v_lshlrev_b32_e32 v1, 3, v1
	ds_store_b64 v1, v[57:58]
.LBB1169_441:
	s_or_b32 exec_lo, exec_lo, s16
	s_delay_alu instid0(SALU_CYCLE_1)
	s_mov_b32 s1, exec_lo
	s_waitcnt lgkmcnt(0)
	s_waitcnt_vscnt null, 0x0
	s_barrier
	buffer_gl0_inv
	v_cmpx_lt_u32_e64 v0, v61
	s_cbranch_execz .LBB1169_444
; %bb.442:
	v_dual_mov_b32 v2, 0 :: v_dual_lshlrev_b32 v3, 3, v0
	v_mov_b32_e32 v1, v0
	s_mov_b32 s3, 0
	.p2align	6
.LBB1169_443:                           ; =>This Inner Loop Header: Depth=1
	ds_load_b64 v[4:5], v3
	v_lshlrev_b64 v[6:7], 3, v[1:2]
	v_add_nc_u32_e32 v1, 0x100, v1
	v_add_nc_u32_e32 v3, 0x800, v3
	s_delay_alu instid0(VALU_DEP_2) | instskip(NEXT) | instid1(VALU_DEP_4)
	v_cmp_ge_u32_e32 vcc_lo, v1, v61
	v_add_co_u32 v6, s0, v51, v6
	s_delay_alu instid0(VALU_DEP_1)
	v_add_co_ci_u32_e64 v7, s0, v52, v7, s0
	s_or_b32 s3, vcc_lo, s3
	s_waitcnt lgkmcnt(0)
	global_store_b64 v[6:7], v[4:5], off
	s_and_not1_b32 exec_lo, exec_lo, s3
	s_cbranch_execnz .LBB1169_443
.LBB1169_444:
	s_or_b32 exec_lo, exec_lo, s1
.LBB1169_445:
	s_cmpk_lg_i32 s34, 0xf00
	v_cndmask_b32_e64 v8, 0, 1, s35
	s_cselect_b32 s0, -1, 0
	v_mad_i32_i24 v5, v0, -15, s34
	s_and_b32 s0, s0, s27
	v_add_co_u32 v1, vcc_lo, v97, v31
	v_cndmask_b32_e64 v4, 0, 1, s0
	s_mul_hi_u32 s0, s34, 0x88888889
	s_and_b32 s1, s2, s35
	s_lshr_b32 s0, s0, 3
	v_add_co_ci_u32_e32 v2, vcc_lo, v98, v32, vcc_lo
	v_sub_nc_u32_e32 v3, v61, v8
	v_cndmask_b32_e64 v6, v113, 0, s1
	v_cmp_eq_u32_e32 vcc_lo, s0, v0
	v_cmp_ne_u32_e64 s0, 0, v5
	s_mov_b32 s16, -1
	s_waitcnt_vscnt null, 0x0
	s_barrier
	s_and_b32 vcc_lo, vcc_lo, s27
	v_add_nc_u32_e32 v3, v3, v4
	v_cndmask_b32_e64 v4, 1, v6, s0
	v_cmp_ne_u32_e64 s0, 1, v5
	buffer_gl0_inv
	v_cndmask_b32_e64 v7, 1, v112, s0
	v_cmp_ne_u32_e64 s0, 14, v5
	s_delay_alu instid0(VALU_DEP_1) | instskip(SKIP_1) | instid1(VALU_DEP_2)
	v_cndmask_b32_e64 v9, 1, v105, s0
	v_cmp_ne_u32_e64 s0, 2, v5
	v_cndmask_b32_e32 v12, v105, v9, vcc_lo
	s_delay_alu instid0(VALU_DEP_2) | instskip(SKIP_1) | instid1(VALU_DEP_2)
	v_cndmask_b32_e64 v10, 1, v111, s0
	v_cmp_ne_u32_e64 s0, 3, v5
	v_dual_cndmask_b32 v9, v6, v4 :: v_dual_cndmask_b32 v10, v111, v10
	s_delay_alu instid0(VALU_DEP_2) | instskip(SKIP_1) | instid1(VALU_DEP_3)
	v_cndmask_b32_e64 v11, 1, v110, s0
	v_cmp_ne_u32_e64 s0, 4, v5
	v_cmp_ne_u32_e64 s14, 0, v9
	s_delay_alu instid0(VALU_DEP_4) | instskip(NEXT) | instid1(VALU_DEP_3)
	v_cmp_ne_u32_e64 s12, 0, v10
	v_cndmask_b32_e64 v4, 1, v109, s0
	v_cmp_ne_u32_e64 s0, 5, v5
	s_delay_alu instid0(VALU_DEP_2) | instskip(NEXT) | instid1(VALU_DEP_2)
	v_dual_cndmask_b32 v13, v112, v7 :: v_dual_cndmask_b32 v18, v109, v4
	v_cndmask_b32_e64 v6, 1, v108, s0
	v_cmp_eq_u32_e64 s0, 0, v9
	s_delay_alu instid0(VALU_DEP_3) | instskip(NEXT) | instid1(VALU_DEP_4)
	v_cmp_ne_u32_e64 s13, 0, v13
	v_cmp_ne_u32_e64 s10, 0, v18
	s_delay_alu instid0(VALU_DEP_4) | instskip(NEXT) | instid1(VALU_DEP_4)
	v_cndmask_b32_e32 v19, v108, v6, vcc_lo
	v_cndmask_b32_e64 v7, 1, 2, s0
	v_cmp_eq_u32_e64 s0, 0, v13
	s_delay_alu instid0(VALU_DEP_1) | instskip(SKIP_1) | instid1(VALU_DEP_2)
	v_cndmask_b32_e64 v14, 1, 2, s0
	v_cmp_ne_u32_e64 s0, 6, v5
	v_and_b32_e32 v7, v14, v7
	s_delay_alu instid0(VALU_DEP_2) | instskip(SKIP_1) | instid1(VALU_DEP_2)
	v_cndmask_b32_e64 v15, 1, v107, s0
	v_cmp_eq_u32_e64 s0, 0, v10
	v_cndmask_b32_e32 v15, v107, v15, vcc_lo
	s_delay_alu instid0(VALU_DEP_2) | instskip(SKIP_1) | instid1(VALU_DEP_1)
	v_cndmask_b32_e64 v14, 1, 2, s0
	v_cmp_ne_u32_e64 s0, 7, v5
	v_cndmask_b32_e64 v16, 1, v106, s0
	v_cmp_ne_u32_e64 s0, 8, v5
	s_delay_alu instid0(VALU_DEP_2) | instskip(SKIP_1) | instid1(VALU_DEP_3)
	v_dual_cndmask_b32 v16, v106, v16 :: v_dual_and_b32 v7, v7, v14
	v_cndmask_b32_e32 v11, v110, v11, vcc_lo
	v_cndmask_b32_e64 v17, 1, v104, s0
	s_delay_alu instid0(VALU_DEP_3) | instskip(NEXT) | instid1(VALU_DEP_3)
	v_cmp_ne_u32_e64 s7, 0, v16
	v_cmp_eq_u32_e64 s0, 0, v11
	s_delay_alu instid0(VALU_DEP_3) | instskip(NEXT) | instid1(VALU_DEP_2)
	v_cndmask_b32_e32 v17, v104, v17, vcc_lo
	v_cndmask_b32_e64 v14, 1, 2, s0
	v_cmp_ne_u32_e64 s0, 9, v5
	s_delay_alu instid0(VALU_DEP_3) | instskip(NEXT) | instid1(VALU_DEP_3)
	v_cmp_ne_u32_e64 s6, 0, v17
	v_and_b32_e32 v6, v7, v14
	s_delay_alu instid0(VALU_DEP_3) | instskip(SKIP_2) | instid1(VALU_DEP_3)
	v_cndmask_b32_e64 v4, 1, v103, s0
	v_cmp_eq_u32_e64 s0, 0, v18
	v_cmp_ne_u32_e64 s11, 0, v11
	v_cndmask_b32_e32 v23, v103, v4, vcc_lo
	s_delay_alu instid0(VALU_DEP_3) | instskip(SKIP_1) | instid1(VALU_DEP_3)
	v_cndmask_b32_e64 v7, 1, 2, s0
	v_cmp_ne_u32_e64 s0, 10, v5
	v_cmp_ne_u32_e64 s5, 0, v23
	s_delay_alu instid0(VALU_DEP_3) | instskip(NEXT) | instid1(VALU_DEP_3)
	v_and_b32_e32 v6, v6, v7
	v_cndmask_b32_e64 v14, 1, v102, s0
	v_cmp_ne_u32_e64 s0, 12, v5
	v_cmp_ne_u32_e64 s9, 0, v19
	s_delay_alu instid0(VALU_DEP_3) | instskip(NEXT) | instid1(VALU_DEP_3)
	v_cndmask_b32_e32 v14, v102, v14, vcc_lo
	v_cndmask_b32_e64 v20, 1, v100, s0
	v_cmp_eq_u32_e64 s0, 0, v19
	s_delay_alu instid0(VALU_DEP_3) | instskip(NEXT) | instid1(VALU_DEP_3)
	v_cmp_ne_u32_e64 s4, 0, v14
	v_cndmask_b32_e32 v20, v100, v20, vcc_lo
	s_delay_alu instid0(VALU_DEP_3) | instskip(SKIP_1) | instid1(VALU_DEP_3)
	v_cndmask_b32_e64 v7, 1, 2, s0
	v_cmp_ne_u32_e64 s0, 13, v5
	v_cmp_ne_u32_e64 s2, 0, v20
	s_delay_alu instid0(VALU_DEP_2) | instskip(SKIP_1) | instid1(VALU_DEP_2)
	v_cndmask_b32_e64 v21, 1, v99, s0
	v_cmp_eq_u32_e64 s0, 0, v15
	v_dual_cndmask_b32 v21, v99, v21 :: v_dual_and_b32 v6, v6, v7
	s_delay_alu instid0(VALU_DEP_2) | instskip(SKIP_1) | instid1(VALU_DEP_3)
	v_cndmask_b32_e64 v7, 1, 2, s0
	v_cmp_ne_u32_e64 s0, 11, v5
	v_cmp_ne_u32_e64 s1, 0, v21
	s_delay_alu instid0(VALU_DEP_3) | instskip(NEXT) | instid1(VALU_DEP_3)
	v_and_b32_e32 v6, v6, v7
	v_cndmask_b32_e64 v5, 1, v101, s0
	v_cmp_eq_u32_e64 s0, 0, v16
	s_delay_alu instid0(VALU_DEP_2) | instskip(NEXT) | instid1(VALU_DEP_2)
	v_cndmask_b32_e32 v22, v101, v5, vcc_lo
	v_cndmask_b32_e64 v7, 1, 2, s0
	v_cmp_eq_u32_e32 vcc_lo, 0, v17
	v_cmp_ne_u32_e64 s8, 0, v15
	v_cmp_ne_u32_e64 s0, 0, v12
	;; [unrolled: 1-line block ×3, first 2 shown]
	v_and_b32_e32 v4, v6, v7
	v_cndmask_b32_e64 v5, 1, 2, vcc_lo
	v_add_co_u32 v6, vcc_lo, s48, v33
	v_add_co_ci_u32_e32 v7, vcc_lo, s49, v34, vcc_lo
	v_cmp_eq_u32_e32 vcc_lo, 0, v23
	s_delay_alu instid0(VALU_DEP_4)
	v_and_b32_e32 v24, v4, v5
	v_cndmask_b32_e64 v25, 1, 2, vcc_lo
	v_add_co_u32 v4, vcc_lo, v6, v35
	v_add_co_ci_u32_e32 v5, vcc_lo, v7, v36, vcc_lo
	v_lshlrev_b32_e32 v6, 3, v8
	v_cmp_eq_u32_e32 vcc_lo, 0, v14
	v_and_b32_e32 v7, v24, v25
	v_add_nc_u32_e32 v8, v65, v8
	v_cndmask_b32_e64 v24, 1, 2, vcc_lo
	v_add_co_u32 v6, vcc_lo, v6, v4
	v_add_co_ci_u32_e32 v25, vcc_lo, 0, v5, vcc_lo
	v_cmp_eq_u32_e32 vcc_lo, 0, v22
	s_delay_alu instid0(VALU_DEP_4) | instskip(SKIP_4) | instid1(VALU_DEP_4)
	v_and_b32_e32 v24, v7, v24
	v_cndmask_b32_e64 v26, 1, 2, vcc_lo
	v_add_co_u32 v6, vcc_lo, v6, -8
	v_add_co_ci_u32_e32 v7, vcc_lo, -1, v25, vcc_lo
	v_cmp_eq_u32_e32 vcc_lo, 0, v20
	v_and_b32_e32 v24, v24, v26
	v_cndmask_b32_e64 v25, 1, 2, vcc_lo
	v_cmp_eq_u32_e32 vcc_lo, 0, v21
	s_delay_alu instid0(VALU_DEP_2) | instskip(SKIP_2) | instid1(VALU_DEP_2)
	v_and_b32_e32 v9, v24, v25
	v_cndmask_b32_e64 v10, 1, 2, vcc_lo
	v_cmp_eq_u32_e32 vcc_lo, 0, v12
	v_and_b32_e32 v9, v9, v10
	v_cndmask_b32_e64 v10, 1, 2, vcc_lo
	v_cmp_gt_u32_e32 vcc_lo, 0x100, v3
	s_delay_alu instid0(VALU_DEP_2) | instskip(NEXT) | instid1(VALU_DEP_1)
	v_and_b32_e32 v9, v9, v10
	v_cmp_gt_i16_e64 s15, 2, v9
	s_cbranch_vccnz .LBB1169_449
; %bb.446:
	s_and_b32 vcc_lo, exec_lo, s16
	s_cbranch_vccnz .LBB1169_455
.LBB1169_447:
	v_cmp_eq_u32_e32 vcc_lo, 0xff, v0
	s_and_b32 s0, vcc_lo, s27
	s_delay_alu instid0(SALU_CYCLE_1)
	s_and_saveexec_b32 s1, s0
	s_cbranch_execnz .LBB1169_464
.LBB1169_448:
	s_nop 0
	s_sendmsg sendmsg(MSG_DEALLOC_VGPRS)
	s_endpgm
.LBB1169_449:
	s_delay_alu instid0(VALU_DEP_1)
	s_and_saveexec_b32 s16, s15
	s_cbranch_execz .LBB1169_454
; %bb.450:
	s_mov_b32 s17, 0
	s_mov_b32 s15, exec_lo
	v_cmpx_ne_u16_e32 1, v9
	s_xor_b32 s15, exec_lo, s15
	s_cbranch_execnz .LBB1169_501
; %bb.451:
	s_and_not1_saveexec_b32 s15, s15
	s_cbranch_execnz .LBB1169_517
.LBB1169_452:
	s_or_b32 exec_lo, exec_lo, s15
	s_delay_alu instid0(SALU_CYCLE_1)
	s_and_b32 exec_lo, exec_lo, s17
	s_cbranch_execz .LBB1169_454
.LBB1169_453:
	v_sub_nc_u32_e32 v10, v37, v8
	v_mov_b32_e32 v11, 0
	s_delay_alu instid0(VALU_DEP_1) | instskip(NEXT) | instid1(VALU_DEP_1)
	v_lshlrev_b64 v[10:11], 3, v[10:11]
	v_add_co_u32 v10, vcc_lo, v6, v10
	s_delay_alu instid0(VALU_DEP_2)
	v_add_co_ci_u32_e32 v11, vcc_lo, v7, v11, vcc_lo
	global_store_b64 v[10:11], v[1:2], off
.LBB1169_454:
	s_or_b32 exec_lo, exec_lo, s16
	s_branch .LBB1169_447
.LBB1169_455:
	s_mov_b32 s15, exec_lo
	v_cmpx_gt_i16_e32 2, v9
	s_cbranch_execz .LBB1169_460
; %bb.456:
	s_mov_b32 s17, 0
	s_mov_b32 s16, exec_lo
	v_cmpx_ne_u16_e32 1, v9
	s_xor_b32 s16, exec_lo, s16
	s_cbranch_execnz .LBB1169_518
; %bb.457:
	s_and_not1_saveexec_b32 s0, s16
	s_cbranch_execnz .LBB1169_534
.LBB1169_458:
	s_or_b32 exec_lo, exec_lo, s0
	s_delay_alu instid0(SALU_CYCLE_1)
	s_and_b32 exec_lo, exec_lo, s17
	s_cbranch_execz .LBB1169_460
.LBB1169_459:
	v_sub_nc_u32_e32 v8, v37, v8
	s_delay_alu instid0(VALU_DEP_1)
	v_lshlrev_b32_e32 v8, 3, v8
	ds_store_b64 v8, v[1:2]
.LBB1169_460:
	s_or_b32 exec_lo, exec_lo, s15
	s_delay_alu instid0(SALU_CYCLE_1)
	s_mov_b32 s1, exec_lo
	s_waitcnt lgkmcnt(0)
	s_waitcnt_vscnt null, 0x0
	s_barrier
	buffer_gl0_inv
	v_cmpx_lt_u32_e64 v0, v3
	s_cbranch_execz .LBB1169_463
; %bb.461:
	v_dual_mov_b32 v1, v0 :: v_dual_lshlrev_b32 v8, 3, v0
	v_mov_b32_e32 v2, 0
	s_mov_b32 s2, 0
	.p2align	6
.LBB1169_462:                           ; =>This Inner Loop Header: Depth=1
	ds_load_b64 v[9:10], v8
	v_lshlrev_b64 v[11:12], 3, v[1:2]
	v_add_nc_u32_e32 v1, 0x100, v1
	v_add_nc_u32_e32 v8, 0x800, v8
	s_delay_alu instid0(VALU_DEP_2) | instskip(NEXT) | instid1(VALU_DEP_4)
	v_cmp_ge_u32_e32 vcc_lo, v1, v3
	v_add_co_u32 v11, s0, v6, v11
	s_delay_alu instid0(VALU_DEP_1)
	v_add_co_ci_u32_e64 v12, s0, v7, v12, s0
	s_or_b32 s2, vcc_lo, s2
	s_waitcnt lgkmcnt(0)
	global_store_b64 v[11:12], v[9:10], off
	s_and_not1_b32 exec_lo, exec_lo, s2
	s_cbranch_execnz .LBB1169_462
.LBB1169_463:
	s_or_b32 exec_lo, exec_lo, s1
	v_cmp_eq_u32_e32 vcc_lo, 0xff, v0
	s_and_b32 s0, vcc_lo, s27
	s_delay_alu instid0(SALU_CYCLE_1)
	s_and_saveexec_b32 s1, s0
	s_cbranch_execz .LBB1169_448
.LBB1169_464:
	v_add_co_u32 v0, s0, v61, v65
	s_delay_alu instid0(VALU_DEP_1) | instskip(SKIP_1) | instid1(VALU_DEP_3)
	v_add_co_ci_u32_e64 v1, null, 0, 0, s0
	v_mov_b32_e32 v62, 0
	v_add_co_u32 v0, vcc_lo, v0, v29
	s_delay_alu instid0(VALU_DEP_3)
	v_add_co_ci_u32_e32 v1, vcc_lo, v1, v30, vcc_lo
	s_cmpk_lg_i32 s34, 0xf00
	global_store_b64 v62, v[0:1], s[50:51]
	s_cbranch_scc1 .LBB1169_448
; %bb.465:
	v_lshlrev_b64 v[0:1], 3, v[61:62]
	s_delay_alu instid0(VALU_DEP_1) | instskip(NEXT) | instid1(VALU_DEP_2)
	v_add_co_u32 v0, vcc_lo, v4, v0
	v_add_co_ci_u32_e32 v1, vcc_lo, v5, v1, vcc_lo
	global_store_b64 v[0:1], v[63:64], off offset:-8
	s_nop 0
	s_sendmsg sendmsg(MSG_DEALLOC_VGPRS)
	s_endpgm
.LBB1169_466:
	s_or_b32 exec_lo, exec_lo, s4
	v_mov_b32_e32 v113, s1
	s_and_saveexec_b32 s1, s26
	s_cbranch_execnz .LBB1169_334
	s_branch .LBB1169_335
.LBB1169_467:
	s_and_saveexec_b32 s18, s13
	s_cbranch_execnz .LBB1169_537
; %bb.468:
	s_or_b32 exec_lo, exec_lo, s18
	s_and_saveexec_b32 s18, s12
	s_cbranch_execnz .LBB1169_538
.LBB1169_469:
	s_or_b32 exec_lo, exec_lo, s18
	s_and_saveexec_b32 s18, s10
	s_cbranch_execnz .LBB1169_539
.LBB1169_470:
	s_or_b32 exec_lo, exec_lo, s18
	s_and_saveexec_b32 s18, s9
	s_cbranch_execnz .LBB1169_540
.LBB1169_471:
	s_or_b32 exec_lo, exec_lo, s18
	s_and_saveexec_b32 s18, s15
	s_cbranch_execnz .LBB1169_541
.LBB1169_472:
	s_or_b32 exec_lo, exec_lo, s18
	s_and_saveexec_b32 s18, s14
	s_cbranch_execnz .LBB1169_542
.LBB1169_473:
	s_or_b32 exec_lo, exec_lo, s18
	s_and_saveexec_b32 s18, s11
	s_cbranch_execnz .LBB1169_543
.LBB1169_474:
	s_or_b32 exec_lo, exec_lo, s18
	s_and_saveexec_b32 s18, s8
	s_cbranch_execnz .LBB1169_544
.LBB1169_475:
	s_or_b32 exec_lo, exec_lo, s18
	s_and_saveexec_b32 s18, s7
	s_cbranch_execnz .LBB1169_545
.LBB1169_476:
	s_or_b32 exec_lo, exec_lo, s18
	s_and_saveexec_b32 s18, s6
	s_cbranch_execnz .LBB1169_546
.LBB1169_477:
	s_or_b32 exec_lo, exec_lo, s18
	s_and_saveexec_b32 s18, s5
	s_cbranch_execnz .LBB1169_547
.LBB1169_478:
	s_or_b32 exec_lo, exec_lo, s18
	s_and_saveexec_b32 s18, s4
	s_cbranch_execnz .LBB1169_548
.LBB1169_479:
	s_or_b32 exec_lo, exec_lo, s18
	s_and_saveexec_b32 s18, s3
	s_cbranch_execnz .LBB1169_549
.LBB1169_480:
	s_or_b32 exec_lo, exec_lo, s18
	s_and_saveexec_b32 s18, s1
	s_cbranch_execz .LBB1169_482
.LBB1169_481:
	v_sub_nc_u32_e32 v54, v38, v65
	v_mov_b32_e32 v55, 0
	s_delay_alu instid0(VALU_DEP_1) | instskip(NEXT) | instid1(VALU_DEP_1)
	v_lshlrev_b64 v[54:55], 3, v[54:55]
	v_add_co_u32 v54, vcc_lo, v51, v54
	s_delay_alu instid0(VALU_DEP_2)
	v_add_co_ci_u32_e32 v55, vcc_lo, v52, v55, vcc_lo
	global_store_b64 v[54:55], v[3:4], off
.LBB1169_482:
	s_or_b32 exec_lo, exec_lo, s18
	s_delay_alu instid0(SALU_CYCLE_1)
	s_and_b32 s18, s0, exec_lo
	s_and_not1_saveexec_b32 s16, s16
	s_cbranch_execz .LBB1169_432
.LBB1169_483:
	v_sub_nc_u32_e32 v54, v114, v65
	v_mov_b32_e32 v55, 0
	s_or_b32 s18, s18, exec_lo
	s_delay_alu instid0(VALU_DEP_1) | instskip(SKIP_1) | instid1(VALU_DEP_1)
	v_lshlrev_b64 v[59:60], 3, v[54:55]
	v_sub_nc_u32_e32 v54, v48, v65
	v_lshlrev_b64 v[95:96], 3, v[54:55]
	v_sub_nc_u32_e32 v54, v50, v65
	s_delay_alu instid0(VALU_DEP_4) | instskip(SKIP_1) | instid1(VALU_DEP_3)
	v_add_co_u32 v59, vcc_lo, v51, v59
	v_add_co_ci_u32_e32 v60, vcc_lo, v52, v60, vcc_lo
	v_lshlrev_b64 v[115:116], 3, v[54:55]
	v_sub_nc_u32_e32 v54, v49, v65
	v_add_co_u32 v95, vcc_lo, v51, v95
	v_add_co_ci_u32_e32 v96, vcc_lo, v52, v96, vcc_lo
	global_store_b64 v[59:60], v[25:26], off
	v_lshlrev_b64 v[59:60], 3, v[54:55]
	v_sub_nc_u32_e32 v54, v47, v65
	global_store_b64 v[95:96], v[27:28], off
	v_add_co_u32 v95, vcc_lo, v51, v115
	v_add_co_ci_u32_e32 v96, vcc_lo, v52, v116, vcc_lo
	v_lshlrev_b64 v[115:116], 3, v[54:55]
	v_sub_nc_u32_e32 v54, v46, v65
	v_add_co_u32 v59, vcc_lo, v51, v59
	v_add_co_ci_u32_e32 v60, vcc_lo, v52, v60, vcc_lo
	s_delay_alu instid0(VALU_DEP_3) | instskip(SKIP_3) | instid1(VALU_DEP_3)
	v_lshlrev_b64 v[117:118], 3, v[54:55]
	v_sub_nc_u32_e32 v54, v45, v65
	v_add_co_u32 v115, vcc_lo, v51, v115
	v_add_co_ci_u32_e32 v116, vcc_lo, v52, v116, vcc_lo
	v_lshlrev_b64 v[119:120], 3, v[54:55]
	v_sub_nc_u32_e32 v54, v44, v65
	v_add_co_u32 v117, vcc_lo, v51, v117
	v_add_co_ci_u32_e32 v118, vcc_lo, v52, v118, vcc_lo
	s_clause 0x3
	global_store_b64 v[95:96], v[21:22], off
	global_store_b64 v[59:60], v[23:24], off
	;; [unrolled: 1-line block ×4, first 2 shown]
	v_lshlrev_b64 v[59:60], 3, v[54:55]
	v_sub_nc_u32_e32 v54, v43, v65
	v_add_co_u32 v95, vcc_lo, v51, v119
	v_add_co_ci_u32_e32 v96, vcc_lo, v52, v120, vcc_lo
	s_delay_alu instid0(VALU_DEP_3) | instskip(SKIP_3) | instid1(VALU_DEP_3)
	v_lshlrev_b64 v[115:116], 3, v[54:55]
	v_sub_nc_u32_e32 v54, v42, v65
	v_add_co_u32 v59, vcc_lo, v51, v59
	v_add_co_ci_u32_e32 v60, vcc_lo, v52, v60, vcc_lo
	v_lshlrev_b64 v[117:118], 3, v[54:55]
	v_sub_nc_u32_e32 v54, v41, v65
	v_add_co_u32 v115, vcc_lo, v51, v115
	v_add_co_ci_u32_e32 v116, vcc_lo, v52, v116, vcc_lo
	s_delay_alu instid0(VALU_DEP_3)
	v_lshlrev_b64 v[119:120], 3, v[54:55]
	v_sub_nc_u32_e32 v54, v40, v65
	v_add_co_u32 v117, vcc_lo, v51, v117
	v_add_co_ci_u32_e32 v118, vcc_lo, v52, v118, vcc_lo
	s_clause 0x3
	global_store_b64 v[95:96], v[13:14], off
	global_store_b64 v[59:60], v[15:16], off
	;; [unrolled: 1-line block ×4, first 2 shown]
	v_lshlrev_b64 v[59:60], 3, v[54:55]
	v_sub_nc_u32_e32 v54, v39, v65
	v_add_co_u32 v95, vcc_lo, v51, v119
	v_add_co_ci_u32_e32 v96, vcc_lo, v52, v120, vcc_lo
	s_delay_alu instid0(VALU_DEP_3) | instskip(SKIP_3) | instid1(VALU_DEP_3)
	v_lshlrev_b64 v[115:116], 3, v[54:55]
	v_sub_nc_u32_e32 v54, v38, v65
	v_add_co_u32 v59, vcc_lo, v51, v59
	v_add_co_ci_u32_e32 v60, vcc_lo, v52, v60, vcc_lo
	v_lshlrev_b64 v[54:55], 3, v[54:55]
	v_add_co_u32 v115, vcc_lo, v51, v115
	v_add_co_ci_u32_e32 v116, vcc_lo, v52, v116, vcc_lo
	s_clause 0x2
	global_store_b64 v[95:96], v[5:6], off
	global_store_b64 v[59:60], v[7:8], off
	;; [unrolled: 1-line block ×3, first 2 shown]
	v_add_co_u32 v54, vcc_lo, v51, v54
	v_add_co_ci_u32_e32 v55, vcc_lo, v52, v55, vcc_lo
	global_store_b64 v[54:55], v[3:4], off
	s_or_b32 exec_lo, exec_lo, s16
	s_delay_alu instid0(SALU_CYCLE_1)
	s_and_b32 exec_lo, exec_lo, s18
	s_cbranch_execnz .LBB1169_433
	s_branch .LBB1169_434
.LBB1169_484:
	s_and_saveexec_b32 s18, s13
	s_cbranch_execnz .LBB1169_550
; %bb.485:
	s_or_b32 exec_lo, exec_lo, s18
	s_and_saveexec_b32 s13, s12
	s_cbranch_execnz .LBB1169_551
.LBB1169_486:
	s_or_b32 exec_lo, exec_lo, s13
	s_and_saveexec_b32 s12, s10
	s_cbranch_execnz .LBB1169_552
.LBB1169_487:
	s_or_b32 exec_lo, exec_lo, s12
	s_and_saveexec_b32 s10, s9
	s_cbranch_execnz .LBB1169_553
.LBB1169_488:
	s_or_b32 exec_lo, exec_lo, s10
	s_and_saveexec_b32 s9, s15
	s_cbranch_execnz .LBB1169_554
.LBB1169_489:
	s_or_b32 exec_lo, exec_lo, s9
	s_and_saveexec_b32 s9, s14
	s_cbranch_execnz .LBB1169_555
.LBB1169_490:
	s_or_b32 exec_lo, exec_lo, s9
	s_and_saveexec_b32 s9, s11
	s_cbranch_execnz .LBB1169_556
.LBB1169_491:
	s_or_b32 exec_lo, exec_lo, s9
	s_and_saveexec_b32 s9, s8
	s_cbranch_execnz .LBB1169_557
.LBB1169_492:
	s_or_b32 exec_lo, exec_lo, s9
	s_and_saveexec_b32 s8, s7
	s_cbranch_execnz .LBB1169_558
.LBB1169_493:
	s_or_b32 exec_lo, exec_lo, s8
	s_and_saveexec_b32 s7, s6
	s_cbranch_execnz .LBB1169_559
.LBB1169_494:
	s_or_b32 exec_lo, exec_lo, s7
	s_and_saveexec_b32 s6, s5
	s_cbranch_execnz .LBB1169_560
.LBB1169_495:
	s_or_b32 exec_lo, exec_lo, s6
	s_and_saveexec_b32 s5, s4
	s_cbranch_execnz .LBB1169_561
.LBB1169_496:
	s_or_b32 exec_lo, exec_lo, s5
	s_and_saveexec_b32 s4, s3
	s_cbranch_execnz .LBB1169_562
.LBB1169_497:
	s_or_b32 exec_lo, exec_lo, s4
	s_and_saveexec_b32 s3, s1
	s_cbranch_execz .LBB1169_499
.LBB1169_498:
	v_sub_nc_u32_e32 v1, v38, v65
	s_delay_alu instid0(VALU_DEP_1)
	v_lshlrev_b32_e32 v1, 3, v1
	ds_store_b64 v1, v[3:4]
.LBB1169_499:
	s_or_b32 exec_lo, exec_lo, s3
	s_delay_alu instid0(SALU_CYCLE_1)
	s_and_b32 s18, s0, exec_lo
                                        ; implicit-def: $vgpr25_vgpr26
                                        ; implicit-def: $vgpr21_vgpr22
                                        ; implicit-def: $vgpr17_vgpr18
                                        ; implicit-def: $vgpr13_vgpr14
                                        ; implicit-def: $vgpr9_vgpr10
                                        ; implicit-def: $vgpr5_vgpr6
                                        ; implicit-def: $vgpr1_vgpr2
	s_and_not1_saveexec_b32 s0, s17
	s_cbranch_execz .LBB1169_439
.LBB1169_500:
	v_sub_nc_u32_e32 v53, v114, v65
	v_sub_nc_u32_e32 v54, v48, v65
	;; [unrolled: 1-line block ×4, first 2 shown]
	s_or_b32 s18, s18, exec_lo
	v_lshlrev_b32_e32 v53, 3, v53
	v_lshlrev_b32_e32 v54, 3, v54
	;; [unrolled: 1-line block ×4, first 2 shown]
	ds_store_b64 v53, v[25:26]
	ds_store_b64 v54, v[27:28]
	;; [unrolled: 1-line block ×3, first 2 shown]
	v_sub_nc_u32_e32 v21, v47, v65
	v_sub_nc_u32_e32 v22, v46, v65
	ds_store_b64 v56, v[23:24]
	v_sub_nc_u32_e32 v23, v45, v65
	v_sub_nc_u32_e32 v24, v44, v65
	v_lshlrev_b32_e32 v21, 3, v21
	v_sub_nc_u32_e32 v25, v43, v65
	v_lshlrev_b32_e32 v22, 3, v22
	v_lshlrev_b32_e32 v23, 3, v23
	v_lshlrev_b32_e32 v24, 3, v24
	ds_store_b64 v21, v[17:18]
	v_lshlrev_b32_e32 v17, 3, v25
	ds_store_b64 v22, v[19:20]
	ds_store_b64 v23, v[13:14]
	;; [unrolled: 1-line block ×3, first 2 shown]
	v_sub_nc_u32_e32 v13, v42, v65
	v_sub_nc_u32_e32 v15, v38, v65
	v_sub_nc_u32_e32 v14, v39, v65
	ds_store_b64 v17, v[9:10]
	v_sub_nc_u32_e32 v9, v41, v65
	v_lshlrev_b32_e32 v13, 3, v13
	v_sub_nc_u32_e32 v10, v40, v65
	v_lshlrev_b32_e32 v14, 3, v14
	s_delay_alu instid0(VALU_DEP_4)
	v_lshlrev_b32_e32 v9, 3, v9
	ds_store_b64 v13, v[11:12]
	v_lshlrev_b32_e32 v11, 3, v15
	v_lshlrev_b32_e32 v10, 3, v10
	ds_store_b64 v9, v[5:6]
	ds_store_b64 v10, v[7:8]
	;; [unrolled: 1-line block ×4, first 2 shown]
	s_or_b32 exec_lo, exec_lo, s0
	s_delay_alu instid0(SALU_CYCLE_1)
	s_and_b32 exec_lo, exec_lo, s18
	s_cbranch_execnz .LBB1169_440
	s_branch .LBB1169_441
.LBB1169_501:
	s_and_saveexec_b32 s17, s14
	s_cbranch_execnz .LBB1169_563
; %bb.502:
	s_or_b32 exec_lo, exec_lo, s17
	s_and_saveexec_b32 s17, s13
	s_cbranch_execnz .LBB1169_564
.LBB1169_503:
	s_or_b32 exec_lo, exec_lo, s17
	s_and_saveexec_b32 s17, s12
	s_cbranch_execnz .LBB1169_565
.LBB1169_504:
	s_or_b32 exec_lo, exec_lo, s17
	s_and_saveexec_b32 s17, s11
	s_cbranch_execnz .LBB1169_566
.LBB1169_505:
	s_or_b32 exec_lo, exec_lo, s17
	s_and_saveexec_b32 s17, s10
	s_cbranch_execnz .LBB1169_567
.LBB1169_506:
	s_or_b32 exec_lo, exec_lo, s17
	s_and_saveexec_b32 s17, s9
	s_cbranch_execnz .LBB1169_568
.LBB1169_507:
	s_or_b32 exec_lo, exec_lo, s17
	s_and_saveexec_b32 s17, s8
	s_cbranch_execnz .LBB1169_569
.LBB1169_508:
	s_or_b32 exec_lo, exec_lo, s17
	s_and_saveexec_b32 s17, s7
	s_cbranch_execnz .LBB1169_570
.LBB1169_509:
	s_or_b32 exec_lo, exec_lo, s17
	s_and_saveexec_b32 s17, s6
	s_cbranch_execnz .LBB1169_571
.LBB1169_510:
	s_or_b32 exec_lo, exec_lo, s17
	s_and_saveexec_b32 s17, s5
	s_cbranch_execnz .LBB1169_572
.LBB1169_511:
	s_or_b32 exec_lo, exec_lo, s17
	s_and_saveexec_b32 s17, s4
	s_cbranch_execnz .LBB1169_573
.LBB1169_512:
	s_or_b32 exec_lo, exec_lo, s17
	s_and_saveexec_b32 s17, s3
	s_cbranch_execnz .LBB1169_574
.LBB1169_513:
	s_or_b32 exec_lo, exec_lo, s17
	s_and_saveexec_b32 s17, s2
	s_cbranch_execnz .LBB1169_575
.LBB1169_514:
	s_or_b32 exec_lo, exec_lo, s17
	s_and_saveexec_b32 s17, s1
	s_cbranch_execz .LBB1169_516
.LBB1169_515:
	v_sub_nc_u32_e32 v10, v38, v8
	v_mov_b32_e32 v11, 0
	s_delay_alu instid0(VALU_DEP_1) | instskip(NEXT) | instid1(VALU_DEP_1)
	v_lshlrev_b64 v[10:11], 3, v[10:11]
	v_add_co_u32 v10, vcc_lo, v6, v10
	s_delay_alu instid0(VALU_DEP_2)
	v_add_co_ci_u32_e32 v11, vcc_lo, v7, v11, vcc_lo
	global_store_b64 v[10:11], v[93:94], off
.LBB1169_516:
	s_or_b32 exec_lo, exec_lo, s17
	s_delay_alu instid0(SALU_CYCLE_1)
	s_and_b32 s17, s0, exec_lo
	s_and_not1_saveexec_b32 s15, s15
	s_cbranch_execz .LBB1169_452
.LBB1169_517:
	v_sub_nc_u32_e32 v10, v114, v8
	v_mov_b32_e32 v11, 0
	s_or_b32 s17, s17, exec_lo
	s_delay_alu instid0(VALU_DEP_1) | instskip(SKIP_1) | instid1(VALU_DEP_1)
	v_lshlrev_b64 v[12:13], 3, v[10:11]
	v_sub_nc_u32_e32 v10, v48, v8
	v_lshlrev_b64 v[14:15], 3, v[10:11]
	v_sub_nc_u32_e32 v10, v50, v8
	s_delay_alu instid0(VALU_DEP_4) | instskip(SKIP_1) | instid1(VALU_DEP_3)
	v_add_co_u32 v12, vcc_lo, v6, v12
	v_add_co_ci_u32_e32 v13, vcc_lo, v7, v13, vcc_lo
	v_lshlrev_b64 v[16:17], 3, v[10:11]
	v_sub_nc_u32_e32 v10, v49, v8
	v_add_co_u32 v14, vcc_lo, v6, v14
	v_add_co_ci_u32_e32 v15, vcc_lo, v7, v15, vcc_lo
	global_store_b64 v[12:13], v[79:80], off
	v_lshlrev_b64 v[12:13], 3, v[10:11]
	v_sub_nc_u32_e32 v10, v47, v8
	global_store_b64 v[14:15], v[75:76], off
	v_add_co_u32 v14, vcc_lo, v6, v16
	v_add_co_ci_u32_e32 v15, vcc_lo, v7, v17, vcc_lo
	v_lshlrev_b64 v[16:17], 3, v[10:11]
	v_sub_nc_u32_e32 v10, v46, v8
	v_add_co_u32 v12, vcc_lo, v6, v12
	v_add_co_ci_u32_e32 v13, vcc_lo, v7, v13, vcc_lo
	s_delay_alu instid0(VALU_DEP_3) | instskip(SKIP_3) | instid1(VALU_DEP_3)
	v_lshlrev_b64 v[18:19], 3, v[10:11]
	v_sub_nc_u32_e32 v10, v45, v8
	v_add_co_u32 v16, vcc_lo, v6, v16
	v_add_co_ci_u32_e32 v17, vcc_lo, v7, v17, vcc_lo
	v_lshlrev_b64 v[20:21], 3, v[10:11]
	v_sub_nc_u32_e32 v10, v44, v8
	v_add_co_u32 v18, vcc_lo, v6, v18
	v_add_co_ci_u32_e32 v19, vcc_lo, v7, v19, vcc_lo
	s_clause 0x3
	global_store_b64 v[14:15], v[81:82], off
	global_store_b64 v[12:13], v[85:86], off
	;; [unrolled: 1-line block ×4, first 2 shown]
	v_lshlrev_b64 v[12:13], 3, v[10:11]
	v_sub_nc_u32_e32 v10, v43, v8
	v_add_co_u32 v14, vcc_lo, v6, v20
	v_add_co_ci_u32_e32 v15, vcc_lo, v7, v21, vcc_lo
	s_delay_alu instid0(VALU_DEP_3) | instskip(SKIP_3) | instid1(VALU_DEP_3)
	v_lshlrev_b64 v[16:17], 3, v[10:11]
	v_sub_nc_u32_e32 v10, v42, v8
	v_add_co_u32 v12, vcc_lo, v6, v12
	v_add_co_ci_u32_e32 v13, vcc_lo, v7, v13, vcc_lo
	v_lshlrev_b64 v[18:19], 3, v[10:11]
	v_sub_nc_u32_e32 v10, v41, v8
	v_add_co_u32 v16, vcc_lo, v6, v16
	v_add_co_ci_u32_e32 v17, vcc_lo, v7, v17, vcc_lo
	s_delay_alu instid0(VALU_DEP_3)
	v_lshlrev_b64 v[20:21], 3, v[10:11]
	v_sub_nc_u32_e32 v10, v40, v8
	v_add_co_u32 v18, vcc_lo, v6, v18
	v_add_co_ci_u32_e32 v19, vcc_lo, v7, v19, vcc_lo
	s_clause 0x3
	global_store_b64 v[14:15], v[77:78], off
	global_store_b64 v[12:13], v[83:84], off
	;; [unrolled: 1-line block ×4, first 2 shown]
	v_lshlrev_b64 v[12:13], 3, v[10:11]
	v_sub_nc_u32_e32 v10, v39, v8
	v_add_co_u32 v14, vcc_lo, v6, v20
	v_add_co_ci_u32_e32 v15, vcc_lo, v7, v21, vcc_lo
	s_delay_alu instid0(VALU_DEP_3) | instskip(SKIP_3) | instid1(VALU_DEP_3)
	v_lshlrev_b64 v[16:17], 3, v[10:11]
	v_sub_nc_u32_e32 v10, v38, v8
	v_add_co_u32 v12, vcc_lo, v6, v12
	v_add_co_ci_u32_e32 v13, vcc_lo, v7, v13, vcc_lo
	v_lshlrev_b64 v[10:11], 3, v[10:11]
	v_add_co_u32 v16, vcc_lo, v6, v16
	v_add_co_ci_u32_e32 v17, vcc_lo, v7, v17, vcc_lo
	s_clause 0x2
	global_store_b64 v[14:15], v[73:74], off
	global_store_b64 v[12:13], v[89:90], off
	;; [unrolled: 1-line block ×3, first 2 shown]
	v_add_co_u32 v10, vcc_lo, v6, v10
	v_add_co_ci_u32_e32 v11, vcc_lo, v7, v11, vcc_lo
	global_store_b64 v[10:11], v[93:94], off
	s_or_b32 exec_lo, exec_lo, s15
	s_delay_alu instid0(SALU_CYCLE_1)
	s_and_b32 exec_lo, exec_lo, s17
	s_cbranch_execnz .LBB1169_453
	s_branch .LBB1169_454
.LBB1169_518:
	s_and_saveexec_b32 s17, s14
	s_cbranch_execnz .LBB1169_576
; %bb.519:
	s_or_b32 exec_lo, exec_lo, s17
	s_and_saveexec_b32 s14, s13
	s_cbranch_execnz .LBB1169_577
.LBB1169_520:
	s_or_b32 exec_lo, exec_lo, s14
	s_and_saveexec_b32 s13, s12
	s_cbranch_execnz .LBB1169_578
.LBB1169_521:
	s_or_b32 exec_lo, exec_lo, s13
	s_and_saveexec_b32 s12, s11
	s_cbranch_execnz .LBB1169_579
.LBB1169_522:
	s_or_b32 exec_lo, exec_lo, s12
	s_and_saveexec_b32 s11, s10
	s_cbranch_execnz .LBB1169_580
.LBB1169_523:
	s_or_b32 exec_lo, exec_lo, s11
	s_and_saveexec_b32 s10, s9
	s_cbranch_execnz .LBB1169_581
.LBB1169_524:
	s_or_b32 exec_lo, exec_lo, s10
	s_and_saveexec_b32 s9, s8
	s_cbranch_execnz .LBB1169_582
.LBB1169_525:
	s_or_b32 exec_lo, exec_lo, s9
	s_and_saveexec_b32 s8, s7
	s_cbranch_execnz .LBB1169_583
.LBB1169_526:
	s_or_b32 exec_lo, exec_lo, s8
	s_and_saveexec_b32 s7, s6
	s_cbranch_execnz .LBB1169_584
.LBB1169_527:
	s_or_b32 exec_lo, exec_lo, s7
	s_and_saveexec_b32 s6, s5
	s_cbranch_execnz .LBB1169_585
.LBB1169_528:
	s_or_b32 exec_lo, exec_lo, s6
	s_and_saveexec_b32 s5, s4
	s_cbranch_execnz .LBB1169_586
.LBB1169_529:
	s_or_b32 exec_lo, exec_lo, s5
	s_and_saveexec_b32 s4, s3
	s_cbranch_execnz .LBB1169_587
.LBB1169_530:
	s_or_b32 exec_lo, exec_lo, s4
	s_and_saveexec_b32 s3, s2
	s_cbranch_execnz .LBB1169_588
.LBB1169_531:
	s_or_b32 exec_lo, exec_lo, s3
	s_and_saveexec_b32 s2, s1
	s_cbranch_execz .LBB1169_533
.LBB1169_532:
	v_sub_nc_u32_e32 v9, v38, v8
	s_delay_alu instid0(VALU_DEP_1)
	v_lshlrev_b32_e32 v9, 3, v9
	ds_store_b64 v9, v[93:94]
.LBB1169_533:
	s_or_b32 exec_lo, exec_lo, s2
	s_delay_alu instid0(SALU_CYCLE_1)
	s_and_b32 s17, s0, exec_lo
                                        ; implicit-def: $vgpr79_vgpr80
                                        ; implicit-def: $vgpr75_vgpr76
                                        ; implicit-def: $vgpr81_vgpr82
                                        ; implicit-def: $vgpr85_vgpr86
                                        ; implicit-def: $vgpr67_vgpr68
                                        ; implicit-def: $vgpr71_vgpr72
                                        ; implicit-def: $vgpr77_vgpr78
                                        ; implicit-def: $vgpr83_vgpr84
                                        ; implicit-def: $vgpr87_vgpr88
                                        ; implicit-def: $vgpr69_vgpr70
                                        ; implicit-def: $vgpr73_vgpr74
                                        ; implicit-def: $vgpr89_vgpr90
                                        ; implicit-def: $vgpr91_vgpr92
                                        ; implicit-def: $vgpr93_vgpr94
                                        ; implicit-def: $vgpr114
                                        ; implicit-def: $vgpr48
                                        ; implicit-def: $vgpr50
                                        ; implicit-def: $vgpr49
                                        ; implicit-def: $vgpr47
                                        ; implicit-def: $vgpr46
                                        ; implicit-def: $vgpr45
                                        ; implicit-def: $vgpr44
                                        ; implicit-def: $vgpr43
                                        ; implicit-def: $vgpr42
                                        ; implicit-def: $vgpr41
                                        ; implicit-def: $vgpr40
                                        ; implicit-def: $vgpr39
                                        ; implicit-def: $vgpr38
	s_and_not1_saveexec_b32 s0, s16
	s_cbranch_execz .LBB1169_458
.LBB1169_534:
	v_sub_nc_u32_e32 v9, v114, v8
	v_sub_nc_u32_e32 v10, v48, v8
	v_sub_nc_u32_e32 v11, v50, v8
	v_sub_nc_u32_e32 v12, v49, v8
	v_sub_nc_u32_e32 v13, v43, v8
	v_lshlrev_b32_e32 v9, 3, v9
	v_lshlrev_b32_e32 v10, 3, v10
	;; [unrolled: 1-line block ×4, first 2 shown]
	s_or_b32 s17, s17, exec_lo
	ds_store_b64 v9, v[79:80]
	ds_store_b64 v10, v[75:76]
	;; [unrolled: 1-line block ×3, first 2 shown]
	v_sub_nc_u32_e32 v9, v47, v8
	v_sub_nc_u32_e32 v10, v46, v8
	;; [unrolled: 1-line block ×3, first 2 shown]
	ds_store_b64 v12, v[85:86]
	v_sub_nc_u32_e32 v12, v44, v8
	v_lshlrev_b32_e32 v9, 3, v9
	v_lshlrev_b32_e32 v10, 3, v10
	;; [unrolled: 1-line block ×3, first 2 shown]
	s_delay_alu instid0(VALU_DEP_4)
	v_lshlrev_b32_e32 v12, 3, v12
	ds_store_b64 v9, v[67:68]
	v_lshlrev_b32_e32 v9, 3, v13
	ds_store_b64 v10, v[71:72]
	ds_store_b64 v11, v[77:78]
	;; [unrolled: 1-line block ×3, first 2 shown]
	v_sub_nc_u32_e32 v10, v42, v8
	v_sub_nc_u32_e32 v13, v38, v8
	;; [unrolled: 1-line block ×3, first 2 shown]
	ds_store_b64 v9, v[87:88]
	v_sub_nc_u32_e32 v9, v41, v8
	v_lshlrev_b32_e32 v10, 3, v10
	v_sub_nc_u32_e32 v12, v39, v8
	v_lshlrev_b32_e32 v11, 3, v11
	s_delay_alu instid0(VALU_DEP_4)
	v_lshlrev_b32_e32 v9, 3, v9
	ds_store_b64 v10, v[69:70]
	v_lshlrev_b32_e32 v10, 3, v13
	v_lshlrev_b32_e32 v12, 3, v12
	ds_store_b64 v9, v[73:74]
	ds_store_b64 v11, v[89:90]
	;; [unrolled: 1-line block ×4, first 2 shown]
	s_or_b32 exec_lo, exec_lo, s0
	s_delay_alu instid0(SALU_CYCLE_1)
	s_and_b32 exec_lo, exec_lo, s17
	s_cbranch_execnz .LBB1169_459
	s_branch .LBB1169_460
.LBB1169_535:
                                        ; implicit-def: $vgpr61_vgpr62
	s_branch .LBB1169_312
.LBB1169_536:
                                        ; implicit-def: $vgpr61_vgpr62
	s_branch .LBB1169_325
.LBB1169_537:
	v_sub_nc_u32_e32 v54, v114, v65
	v_mov_b32_e32 v55, 0
	s_delay_alu instid0(VALU_DEP_1) | instskip(NEXT) | instid1(VALU_DEP_1)
	v_lshlrev_b64 v[54:55], 3, v[54:55]
	v_add_co_u32 v54, vcc_lo, v51, v54
	s_delay_alu instid0(VALU_DEP_2)
	v_add_co_ci_u32_e32 v55, vcc_lo, v52, v55, vcc_lo
	global_store_b64 v[54:55], v[25:26], off
	s_or_b32 exec_lo, exec_lo, s18
	s_and_saveexec_b32 s18, s12
	s_cbranch_execz .LBB1169_469
.LBB1169_538:
	v_sub_nc_u32_e32 v54, v48, v65
	v_mov_b32_e32 v55, 0
	s_delay_alu instid0(VALU_DEP_1) | instskip(NEXT) | instid1(VALU_DEP_1)
	v_lshlrev_b64 v[54:55], 3, v[54:55]
	v_add_co_u32 v54, vcc_lo, v51, v54
	s_delay_alu instid0(VALU_DEP_2)
	v_add_co_ci_u32_e32 v55, vcc_lo, v52, v55, vcc_lo
	global_store_b64 v[54:55], v[27:28], off
	s_or_b32 exec_lo, exec_lo, s18
	s_and_saveexec_b32 s18, s10
	s_cbranch_execz .LBB1169_470
.LBB1169_539:
	v_sub_nc_u32_e32 v54, v50, v65
	v_mov_b32_e32 v55, 0
	s_delay_alu instid0(VALU_DEP_1) | instskip(NEXT) | instid1(VALU_DEP_1)
	v_lshlrev_b64 v[54:55], 3, v[54:55]
	v_add_co_u32 v54, vcc_lo, v51, v54
	s_delay_alu instid0(VALU_DEP_2)
	v_add_co_ci_u32_e32 v55, vcc_lo, v52, v55, vcc_lo
	global_store_b64 v[54:55], v[21:22], off
	s_or_b32 exec_lo, exec_lo, s18
	s_and_saveexec_b32 s18, s9
	s_cbranch_execz .LBB1169_471
.LBB1169_540:
	v_sub_nc_u32_e32 v54, v49, v65
	v_mov_b32_e32 v55, 0
	s_delay_alu instid0(VALU_DEP_1) | instskip(NEXT) | instid1(VALU_DEP_1)
	v_lshlrev_b64 v[54:55], 3, v[54:55]
	v_add_co_u32 v54, vcc_lo, v51, v54
	s_delay_alu instid0(VALU_DEP_2)
	v_add_co_ci_u32_e32 v55, vcc_lo, v52, v55, vcc_lo
	global_store_b64 v[54:55], v[23:24], off
	s_or_b32 exec_lo, exec_lo, s18
	s_and_saveexec_b32 s18, s15
	s_cbranch_execz .LBB1169_472
.LBB1169_541:
	v_sub_nc_u32_e32 v54, v47, v65
	v_mov_b32_e32 v55, 0
	s_delay_alu instid0(VALU_DEP_1) | instskip(NEXT) | instid1(VALU_DEP_1)
	v_lshlrev_b64 v[54:55], 3, v[54:55]
	v_add_co_u32 v54, vcc_lo, v51, v54
	s_delay_alu instid0(VALU_DEP_2)
	v_add_co_ci_u32_e32 v55, vcc_lo, v52, v55, vcc_lo
	global_store_b64 v[54:55], v[17:18], off
	s_or_b32 exec_lo, exec_lo, s18
	s_and_saveexec_b32 s18, s14
	s_cbranch_execz .LBB1169_473
.LBB1169_542:
	v_sub_nc_u32_e32 v54, v46, v65
	v_mov_b32_e32 v55, 0
	s_delay_alu instid0(VALU_DEP_1) | instskip(NEXT) | instid1(VALU_DEP_1)
	v_lshlrev_b64 v[54:55], 3, v[54:55]
	v_add_co_u32 v54, vcc_lo, v51, v54
	s_delay_alu instid0(VALU_DEP_2)
	v_add_co_ci_u32_e32 v55, vcc_lo, v52, v55, vcc_lo
	global_store_b64 v[54:55], v[19:20], off
	s_or_b32 exec_lo, exec_lo, s18
	s_and_saveexec_b32 s18, s11
	s_cbranch_execz .LBB1169_474
.LBB1169_543:
	v_sub_nc_u32_e32 v54, v45, v65
	v_mov_b32_e32 v55, 0
	s_delay_alu instid0(VALU_DEP_1) | instskip(NEXT) | instid1(VALU_DEP_1)
	v_lshlrev_b64 v[54:55], 3, v[54:55]
	v_add_co_u32 v54, vcc_lo, v51, v54
	s_delay_alu instid0(VALU_DEP_2)
	v_add_co_ci_u32_e32 v55, vcc_lo, v52, v55, vcc_lo
	global_store_b64 v[54:55], v[13:14], off
	s_or_b32 exec_lo, exec_lo, s18
	s_and_saveexec_b32 s18, s8
	s_cbranch_execz .LBB1169_475
.LBB1169_544:
	v_sub_nc_u32_e32 v54, v44, v65
	v_mov_b32_e32 v55, 0
	s_delay_alu instid0(VALU_DEP_1) | instskip(NEXT) | instid1(VALU_DEP_1)
	v_lshlrev_b64 v[54:55], 3, v[54:55]
	v_add_co_u32 v54, vcc_lo, v51, v54
	s_delay_alu instid0(VALU_DEP_2)
	v_add_co_ci_u32_e32 v55, vcc_lo, v52, v55, vcc_lo
	global_store_b64 v[54:55], v[15:16], off
	s_or_b32 exec_lo, exec_lo, s18
	s_and_saveexec_b32 s18, s7
	s_cbranch_execz .LBB1169_476
.LBB1169_545:
	v_sub_nc_u32_e32 v54, v43, v65
	v_mov_b32_e32 v55, 0
	s_delay_alu instid0(VALU_DEP_1) | instskip(NEXT) | instid1(VALU_DEP_1)
	v_lshlrev_b64 v[54:55], 3, v[54:55]
	v_add_co_u32 v54, vcc_lo, v51, v54
	s_delay_alu instid0(VALU_DEP_2)
	v_add_co_ci_u32_e32 v55, vcc_lo, v52, v55, vcc_lo
	global_store_b64 v[54:55], v[9:10], off
	s_or_b32 exec_lo, exec_lo, s18
	s_and_saveexec_b32 s18, s6
	s_cbranch_execz .LBB1169_477
.LBB1169_546:
	v_sub_nc_u32_e32 v54, v42, v65
	v_mov_b32_e32 v55, 0
	s_delay_alu instid0(VALU_DEP_1) | instskip(NEXT) | instid1(VALU_DEP_1)
	v_lshlrev_b64 v[54:55], 3, v[54:55]
	v_add_co_u32 v54, vcc_lo, v51, v54
	s_delay_alu instid0(VALU_DEP_2)
	v_add_co_ci_u32_e32 v55, vcc_lo, v52, v55, vcc_lo
	global_store_b64 v[54:55], v[11:12], off
	s_or_b32 exec_lo, exec_lo, s18
	s_and_saveexec_b32 s18, s5
	s_cbranch_execz .LBB1169_478
.LBB1169_547:
	v_sub_nc_u32_e32 v54, v41, v65
	v_mov_b32_e32 v55, 0
	s_delay_alu instid0(VALU_DEP_1) | instskip(NEXT) | instid1(VALU_DEP_1)
	v_lshlrev_b64 v[54:55], 3, v[54:55]
	v_add_co_u32 v54, vcc_lo, v51, v54
	s_delay_alu instid0(VALU_DEP_2)
	v_add_co_ci_u32_e32 v55, vcc_lo, v52, v55, vcc_lo
	global_store_b64 v[54:55], v[5:6], off
	s_or_b32 exec_lo, exec_lo, s18
	s_and_saveexec_b32 s18, s4
	s_cbranch_execz .LBB1169_479
.LBB1169_548:
	v_sub_nc_u32_e32 v54, v40, v65
	v_mov_b32_e32 v55, 0
	s_delay_alu instid0(VALU_DEP_1) | instskip(NEXT) | instid1(VALU_DEP_1)
	v_lshlrev_b64 v[54:55], 3, v[54:55]
	v_add_co_u32 v54, vcc_lo, v51, v54
	s_delay_alu instid0(VALU_DEP_2)
	v_add_co_ci_u32_e32 v55, vcc_lo, v52, v55, vcc_lo
	global_store_b64 v[54:55], v[7:8], off
	s_or_b32 exec_lo, exec_lo, s18
	s_and_saveexec_b32 s18, s3
	s_cbranch_execz .LBB1169_480
.LBB1169_549:
	v_sub_nc_u32_e32 v54, v39, v65
	v_mov_b32_e32 v55, 0
	s_delay_alu instid0(VALU_DEP_1) | instskip(NEXT) | instid1(VALU_DEP_1)
	v_lshlrev_b64 v[54:55], 3, v[54:55]
	v_add_co_u32 v54, vcc_lo, v51, v54
	s_delay_alu instid0(VALU_DEP_2)
	v_add_co_ci_u32_e32 v55, vcc_lo, v52, v55, vcc_lo
	global_store_b64 v[54:55], v[1:2], off
	s_or_b32 exec_lo, exec_lo, s18
	s_and_saveexec_b32 s18, s1
	s_cbranch_execnz .LBB1169_481
	s_branch .LBB1169_482
.LBB1169_550:
	v_sub_nc_u32_e32 v53, v114, v65
	s_delay_alu instid0(VALU_DEP_1)
	v_lshlrev_b32_e32 v53, 3, v53
	ds_store_b64 v53, v[25:26]
	s_or_b32 exec_lo, exec_lo, s18
	s_and_saveexec_b32 s13, s12
	s_cbranch_execz .LBB1169_486
.LBB1169_551:
	v_sub_nc_u32_e32 v25, v48, v65
	s_delay_alu instid0(VALU_DEP_1)
	v_lshlrev_b32_e32 v25, 3, v25
	ds_store_b64 v25, v[27:28]
	s_or_b32 exec_lo, exec_lo, s13
	s_and_saveexec_b32 s12, s10
	s_cbranch_execz .LBB1169_487
.LBB1169_552:
	v_sub_nc_u32_e32 v25, v50, v65
	s_delay_alu instid0(VALU_DEP_1)
	v_lshlrev_b32_e32 v25, 3, v25
	ds_store_b64 v25, v[21:22]
	s_or_b32 exec_lo, exec_lo, s12
	s_and_saveexec_b32 s10, s9
	s_cbranch_execz .LBB1169_488
.LBB1169_553:
	v_sub_nc_u32_e32 v21, v49, v65
	s_delay_alu instid0(VALU_DEP_1)
	v_lshlrev_b32_e32 v21, 3, v21
	ds_store_b64 v21, v[23:24]
	s_or_b32 exec_lo, exec_lo, s10
	s_and_saveexec_b32 s9, s15
	s_cbranch_execz .LBB1169_489
.LBB1169_554:
	v_sub_nc_u32_e32 v21, v47, v65
	s_delay_alu instid0(VALU_DEP_1)
	v_lshlrev_b32_e32 v21, 3, v21
	ds_store_b64 v21, v[17:18]
	s_or_b32 exec_lo, exec_lo, s9
	s_and_saveexec_b32 s9, s14
	s_cbranch_execz .LBB1169_490
.LBB1169_555:
	v_sub_nc_u32_e32 v17, v46, v65
	s_delay_alu instid0(VALU_DEP_1)
	v_lshlrev_b32_e32 v17, 3, v17
	ds_store_b64 v17, v[19:20]
	s_or_b32 exec_lo, exec_lo, s9
	s_and_saveexec_b32 s9, s11
	s_cbranch_execz .LBB1169_491
.LBB1169_556:
	v_sub_nc_u32_e32 v17, v45, v65
	s_delay_alu instid0(VALU_DEP_1)
	v_lshlrev_b32_e32 v17, 3, v17
	ds_store_b64 v17, v[13:14]
	s_or_b32 exec_lo, exec_lo, s9
	s_and_saveexec_b32 s9, s8
	s_cbranch_execz .LBB1169_492
.LBB1169_557:
	v_sub_nc_u32_e32 v13, v44, v65
	s_delay_alu instid0(VALU_DEP_1)
	v_lshlrev_b32_e32 v13, 3, v13
	ds_store_b64 v13, v[15:16]
	s_or_b32 exec_lo, exec_lo, s9
	s_and_saveexec_b32 s8, s7
	s_cbranch_execz .LBB1169_493
.LBB1169_558:
	v_sub_nc_u32_e32 v13, v43, v65
	s_delay_alu instid0(VALU_DEP_1)
	v_lshlrev_b32_e32 v13, 3, v13
	ds_store_b64 v13, v[9:10]
	s_or_b32 exec_lo, exec_lo, s8
	s_and_saveexec_b32 s7, s6
	s_cbranch_execz .LBB1169_494
.LBB1169_559:
	v_sub_nc_u32_e32 v9, v42, v65
	s_delay_alu instid0(VALU_DEP_1)
	v_lshlrev_b32_e32 v9, 3, v9
	ds_store_b64 v9, v[11:12]
	s_or_b32 exec_lo, exec_lo, s7
	s_and_saveexec_b32 s6, s5
	s_cbranch_execz .LBB1169_495
.LBB1169_560:
	v_sub_nc_u32_e32 v9, v41, v65
	s_delay_alu instid0(VALU_DEP_1)
	v_lshlrev_b32_e32 v9, 3, v9
	ds_store_b64 v9, v[5:6]
	s_or_b32 exec_lo, exec_lo, s6
	s_and_saveexec_b32 s5, s4
	s_cbranch_execz .LBB1169_496
.LBB1169_561:
	v_sub_nc_u32_e32 v5, v40, v65
	s_delay_alu instid0(VALU_DEP_1)
	v_lshlrev_b32_e32 v5, 3, v5
	ds_store_b64 v5, v[7:8]
	s_or_b32 exec_lo, exec_lo, s5
	s_and_saveexec_b32 s4, s3
	s_cbranch_execz .LBB1169_497
.LBB1169_562:
	v_sub_nc_u32_e32 v5, v39, v65
	s_delay_alu instid0(VALU_DEP_1)
	v_lshlrev_b32_e32 v5, 3, v5
	ds_store_b64 v5, v[1:2]
	s_or_b32 exec_lo, exec_lo, s4
	s_and_saveexec_b32 s3, s1
	s_cbranch_execnz .LBB1169_498
	s_branch .LBB1169_499
.LBB1169_563:
	v_sub_nc_u32_e32 v10, v114, v8
	v_mov_b32_e32 v11, 0
	s_delay_alu instid0(VALU_DEP_1) | instskip(NEXT) | instid1(VALU_DEP_1)
	v_lshlrev_b64 v[10:11], 3, v[10:11]
	v_add_co_u32 v10, vcc_lo, v6, v10
	s_delay_alu instid0(VALU_DEP_2)
	v_add_co_ci_u32_e32 v11, vcc_lo, v7, v11, vcc_lo
	global_store_b64 v[10:11], v[79:80], off
	s_or_b32 exec_lo, exec_lo, s17
	s_and_saveexec_b32 s17, s13
	s_cbranch_execz .LBB1169_503
.LBB1169_564:
	v_sub_nc_u32_e32 v10, v48, v8
	v_mov_b32_e32 v11, 0
	s_delay_alu instid0(VALU_DEP_1) | instskip(NEXT) | instid1(VALU_DEP_1)
	v_lshlrev_b64 v[10:11], 3, v[10:11]
	v_add_co_u32 v10, vcc_lo, v6, v10
	s_delay_alu instid0(VALU_DEP_2)
	v_add_co_ci_u32_e32 v11, vcc_lo, v7, v11, vcc_lo
	global_store_b64 v[10:11], v[75:76], off
	s_or_b32 exec_lo, exec_lo, s17
	s_and_saveexec_b32 s17, s12
	s_cbranch_execz .LBB1169_504
.LBB1169_565:
	v_sub_nc_u32_e32 v10, v50, v8
	v_mov_b32_e32 v11, 0
	s_delay_alu instid0(VALU_DEP_1) | instskip(NEXT) | instid1(VALU_DEP_1)
	v_lshlrev_b64 v[10:11], 3, v[10:11]
	v_add_co_u32 v10, vcc_lo, v6, v10
	s_delay_alu instid0(VALU_DEP_2)
	v_add_co_ci_u32_e32 v11, vcc_lo, v7, v11, vcc_lo
	global_store_b64 v[10:11], v[81:82], off
	s_or_b32 exec_lo, exec_lo, s17
	s_and_saveexec_b32 s17, s11
	s_cbranch_execz .LBB1169_505
.LBB1169_566:
	v_sub_nc_u32_e32 v10, v49, v8
	v_mov_b32_e32 v11, 0
	s_delay_alu instid0(VALU_DEP_1) | instskip(NEXT) | instid1(VALU_DEP_1)
	v_lshlrev_b64 v[10:11], 3, v[10:11]
	v_add_co_u32 v10, vcc_lo, v6, v10
	s_delay_alu instid0(VALU_DEP_2)
	v_add_co_ci_u32_e32 v11, vcc_lo, v7, v11, vcc_lo
	global_store_b64 v[10:11], v[85:86], off
	s_or_b32 exec_lo, exec_lo, s17
	s_and_saveexec_b32 s17, s10
	s_cbranch_execz .LBB1169_506
.LBB1169_567:
	v_sub_nc_u32_e32 v10, v47, v8
	v_mov_b32_e32 v11, 0
	s_delay_alu instid0(VALU_DEP_1) | instskip(NEXT) | instid1(VALU_DEP_1)
	v_lshlrev_b64 v[10:11], 3, v[10:11]
	v_add_co_u32 v10, vcc_lo, v6, v10
	s_delay_alu instid0(VALU_DEP_2)
	v_add_co_ci_u32_e32 v11, vcc_lo, v7, v11, vcc_lo
	global_store_b64 v[10:11], v[67:68], off
	s_or_b32 exec_lo, exec_lo, s17
	s_and_saveexec_b32 s17, s9
	s_cbranch_execz .LBB1169_507
.LBB1169_568:
	v_sub_nc_u32_e32 v10, v46, v8
	v_mov_b32_e32 v11, 0
	s_delay_alu instid0(VALU_DEP_1) | instskip(NEXT) | instid1(VALU_DEP_1)
	v_lshlrev_b64 v[10:11], 3, v[10:11]
	v_add_co_u32 v10, vcc_lo, v6, v10
	s_delay_alu instid0(VALU_DEP_2)
	v_add_co_ci_u32_e32 v11, vcc_lo, v7, v11, vcc_lo
	global_store_b64 v[10:11], v[71:72], off
	s_or_b32 exec_lo, exec_lo, s17
	s_and_saveexec_b32 s17, s8
	s_cbranch_execz .LBB1169_508
.LBB1169_569:
	v_sub_nc_u32_e32 v10, v45, v8
	v_mov_b32_e32 v11, 0
	s_delay_alu instid0(VALU_DEP_1) | instskip(NEXT) | instid1(VALU_DEP_1)
	v_lshlrev_b64 v[10:11], 3, v[10:11]
	v_add_co_u32 v10, vcc_lo, v6, v10
	s_delay_alu instid0(VALU_DEP_2)
	v_add_co_ci_u32_e32 v11, vcc_lo, v7, v11, vcc_lo
	global_store_b64 v[10:11], v[77:78], off
	s_or_b32 exec_lo, exec_lo, s17
	s_and_saveexec_b32 s17, s7
	s_cbranch_execz .LBB1169_509
.LBB1169_570:
	v_sub_nc_u32_e32 v10, v44, v8
	v_mov_b32_e32 v11, 0
	s_delay_alu instid0(VALU_DEP_1) | instskip(NEXT) | instid1(VALU_DEP_1)
	v_lshlrev_b64 v[10:11], 3, v[10:11]
	v_add_co_u32 v10, vcc_lo, v6, v10
	s_delay_alu instid0(VALU_DEP_2)
	v_add_co_ci_u32_e32 v11, vcc_lo, v7, v11, vcc_lo
	global_store_b64 v[10:11], v[83:84], off
	s_or_b32 exec_lo, exec_lo, s17
	s_and_saveexec_b32 s17, s6
	s_cbranch_execz .LBB1169_510
.LBB1169_571:
	v_sub_nc_u32_e32 v10, v43, v8
	v_mov_b32_e32 v11, 0
	s_delay_alu instid0(VALU_DEP_1) | instskip(NEXT) | instid1(VALU_DEP_1)
	v_lshlrev_b64 v[10:11], 3, v[10:11]
	v_add_co_u32 v10, vcc_lo, v6, v10
	s_delay_alu instid0(VALU_DEP_2)
	v_add_co_ci_u32_e32 v11, vcc_lo, v7, v11, vcc_lo
	global_store_b64 v[10:11], v[87:88], off
	s_or_b32 exec_lo, exec_lo, s17
	s_and_saveexec_b32 s17, s5
	s_cbranch_execz .LBB1169_511
.LBB1169_572:
	v_sub_nc_u32_e32 v10, v42, v8
	v_mov_b32_e32 v11, 0
	s_delay_alu instid0(VALU_DEP_1) | instskip(NEXT) | instid1(VALU_DEP_1)
	v_lshlrev_b64 v[10:11], 3, v[10:11]
	v_add_co_u32 v10, vcc_lo, v6, v10
	s_delay_alu instid0(VALU_DEP_2)
	v_add_co_ci_u32_e32 v11, vcc_lo, v7, v11, vcc_lo
	global_store_b64 v[10:11], v[69:70], off
	s_or_b32 exec_lo, exec_lo, s17
	s_and_saveexec_b32 s17, s4
	s_cbranch_execz .LBB1169_512
.LBB1169_573:
	v_sub_nc_u32_e32 v10, v41, v8
	v_mov_b32_e32 v11, 0
	s_delay_alu instid0(VALU_DEP_1) | instskip(NEXT) | instid1(VALU_DEP_1)
	v_lshlrev_b64 v[10:11], 3, v[10:11]
	v_add_co_u32 v10, vcc_lo, v6, v10
	s_delay_alu instid0(VALU_DEP_2)
	v_add_co_ci_u32_e32 v11, vcc_lo, v7, v11, vcc_lo
	global_store_b64 v[10:11], v[73:74], off
	s_or_b32 exec_lo, exec_lo, s17
	s_and_saveexec_b32 s17, s3
	s_cbranch_execz .LBB1169_513
.LBB1169_574:
	v_sub_nc_u32_e32 v10, v40, v8
	v_mov_b32_e32 v11, 0
	s_delay_alu instid0(VALU_DEP_1) | instskip(NEXT) | instid1(VALU_DEP_1)
	v_lshlrev_b64 v[10:11], 3, v[10:11]
	v_add_co_u32 v10, vcc_lo, v6, v10
	s_delay_alu instid0(VALU_DEP_2)
	v_add_co_ci_u32_e32 v11, vcc_lo, v7, v11, vcc_lo
	global_store_b64 v[10:11], v[89:90], off
	s_or_b32 exec_lo, exec_lo, s17
	s_and_saveexec_b32 s17, s2
	s_cbranch_execz .LBB1169_514
.LBB1169_575:
	v_sub_nc_u32_e32 v10, v39, v8
	v_mov_b32_e32 v11, 0
	s_delay_alu instid0(VALU_DEP_1) | instskip(NEXT) | instid1(VALU_DEP_1)
	v_lshlrev_b64 v[10:11], 3, v[10:11]
	v_add_co_u32 v10, vcc_lo, v6, v10
	s_delay_alu instid0(VALU_DEP_2)
	v_add_co_ci_u32_e32 v11, vcc_lo, v7, v11, vcc_lo
	global_store_b64 v[10:11], v[91:92], off
	s_or_b32 exec_lo, exec_lo, s17
	s_and_saveexec_b32 s17, s1
	s_cbranch_execnz .LBB1169_515
	s_branch .LBB1169_516
.LBB1169_576:
	v_sub_nc_u32_e32 v9, v114, v8
	s_delay_alu instid0(VALU_DEP_1)
	v_lshlrev_b32_e32 v9, 3, v9
	ds_store_b64 v9, v[79:80]
	s_or_b32 exec_lo, exec_lo, s17
	s_and_saveexec_b32 s14, s13
	s_cbranch_execz .LBB1169_520
.LBB1169_577:
	v_sub_nc_u32_e32 v9, v48, v8
	s_delay_alu instid0(VALU_DEP_1)
	v_lshlrev_b32_e32 v9, 3, v9
	ds_store_b64 v9, v[75:76]
	s_or_b32 exec_lo, exec_lo, s14
	s_and_saveexec_b32 s13, s12
	s_cbranch_execz .LBB1169_521
.LBB1169_578:
	v_sub_nc_u32_e32 v9, v50, v8
	s_delay_alu instid0(VALU_DEP_1)
	v_lshlrev_b32_e32 v9, 3, v9
	ds_store_b64 v9, v[81:82]
	s_or_b32 exec_lo, exec_lo, s13
	s_and_saveexec_b32 s12, s11
	s_cbranch_execz .LBB1169_522
.LBB1169_579:
	v_sub_nc_u32_e32 v9, v49, v8
	s_delay_alu instid0(VALU_DEP_1)
	v_lshlrev_b32_e32 v9, 3, v9
	ds_store_b64 v9, v[85:86]
	s_or_b32 exec_lo, exec_lo, s12
	s_and_saveexec_b32 s11, s10
	s_cbranch_execz .LBB1169_523
.LBB1169_580:
	v_sub_nc_u32_e32 v9, v47, v8
	s_delay_alu instid0(VALU_DEP_1)
	v_lshlrev_b32_e32 v9, 3, v9
	ds_store_b64 v9, v[67:68]
	s_or_b32 exec_lo, exec_lo, s11
	s_and_saveexec_b32 s10, s9
	s_cbranch_execz .LBB1169_524
.LBB1169_581:
	v_sub_nc_u32_e32 v9, v46, v8
	s_delay_alu instid0(VALU_DEP_1)
	v_lshlrev_b32_e32 v9, 3, v9
	ds_store_b64 v9, v[71:72]
	s_or_b32 exec_lo, exec_lo, s10
	s_and_saveexec_b32 s9, s8
	s_cbranch_execz .LBB1169_525
.LBB1169_582:
	v_sub_nc_u32_e32 v9, v45, v8
	s_delay_alu instid0(VALU_DEP_1)
	v_lshlrev_b32_e32 v9, 3, v9
	ds_store_b64 v9, v[77:78]
	s_or_b32 exec_lo, exec_lo, s9
	s_and_saveexec_b32 s8, s7
	s_cbranch_execz .LBB1169_526
.LBB1169_583:
	v_sub_nc_u32_e32 v9, v44, v8
	s_delay_alu instid0(VALU_DEP_1)
	v_lshlrev_b32_e32 v9, 3, v9
	ds_store_b64 v9, v[83:84]
	s_or_b32 exec_lo, exec_lo, s8
	s_and_saveexec_b32 s7, s6
	s_cbranch_execz .LBB1169_527
.LBB1169_584:
	v_sub_nc_u32_e32 v9, v43, v8
	s_delay_alu instid0(VALU_DEP_1)
	v_lshlrev_b32_e32 v9, 3, v9
	ds_store_b64 v9, v[87:88]
	s_or_b32 exec_lo, exec_lo, s7
	s_and_saveexec_b32 s6, s5
	s_cbranch_execz .LBB1169_528
.LBB1169_585:
	v_sub_nc_u32_e32 v9, v42, v8
	s_delay_alu instid0(VALU_DEP_1)
	v_lshlrev_b32_e32 v9, 3, v9
	ds_store_b64 v9, v[69:70]
	s_or_b32 exec_lo, exec_lo, s6
	s_and_saveexec_b32 s5, s4
	s_cbranch_execz .LBB1169_529
.LBB1169_586:
	v_sub_nc_u32_e32 v9, v41, v8
	s_delay_alu instid0(VALU_DEP_1)
	v_lshlrev_b32_e32 v9, 3, v9
	ds_store_b64 v9, v[73:74]
	s_or_b32 exec_lo, exec_lo, s5
	s_and_saveexec_b32 s4, s3
	s_cbranch_execz .LBB1169_530
.LBB1169_587:
	v_sub_nc_u32_e32 v9, v40, v8
	s_delay_alu instid0(VALU_DEP_1)
	v_lshlrev_b32_e32 v9, 3, v9
	ds_store_b64 v9, v[89:90]
	s_or_b32 exec_lo, exec_lo, s4
	s_and_saveexec_b32 s3, s2
	s_cbranch_execz .LBB1169_531
.LBB1169_588:
	v_sub_nc_u32_e32 v9, v39, v8
	s_delay_alu instid0(VALU_DEP_1)
	v_lshlrev_b32_e32 v9, 3, v9
	ds_store_b64 v9, v[91:92]
	s_or_b32 exec_lo, exec_lo, s3
	s_and_saveexec_b32 s2, s1
	s_cbranch_execnz .LBB1169_532
	s_branch .LBB1169_533
	.section	.rodata,"a",@progbits
	.p2align	6, 0x0
	.amdhsa_kernel _ZN7rocprim17ROCPRIM_400000_NS6detail17trampoline_kernelINS0_14default_configENS1_29reduce_by_key_config_selectorIllN6thrust23THRUST_200600_302600_NS4plusIlEEEEZZNS1_33reduce_by_key_impl_wrapped_configILNS1_25lookback_scan_determinismE0ES3_S9_NS6_18transform_iteratorI6div_opNS6_17counting_iteratorIlNS6_11use_defaultESF_SF_EESF_SF_EENSC_I6mod_opSG_SF_SF_EENS6_6detail15normal_iteratorINS6_10device_ptrIlEEEESO_PmS8_NS6_8equal_toIlEEEE10hipError_tPvRmT2_T3_mT4_T5_T6_T7_T8_P12ihipStream_tbENKUlT_T0_E_clISt17integral_constantIbLb0EES18_IbLb1EEEEDaS14_S15_EUlS14_E_NS1_11comp_targetILNS1_3genE9ELNS1_11target_archE1100ELNS1_3gpuE3ELNS1_3repE0EEENS1_30default_config_static_selectorELNS0_4arch9wavefront6targetE0EEEvT1_
		.amdhsa_group_segment_fixed_size 30720
		.amdhsa_private_segment_fixed_size 0
		.amdhsa_kernarg_size 152
		.amdhsa_user_sgpr_count 15
		.amdhsa_user_sgpr_dispatch_ptr 0
		.amdhsa_user_sgpr_queue_ptr 0
		.amdhsa_user_sgpr_kernarg_segment_ptr 1
		.amdhsa_user_sgpr_dispatch_id 0
		.amdhsa_user_sgpr_private_segment_size 0
		.amdhsa_wavefront_size32 1
		.amdhsa_uses_dynamic_stack 0
		.amdhsa_enable_private_segment 0
		.amdhsa_system_sgpr_workgroup_id_x 1
		.amdhsa_system_sgpr_workgroup_id_y 0
		.amdhsa_system_sgpr_workgroup_id_z 0
		.amdhsa_system_sgpr_workgroup_info 0
		.amdhsa_system_vgpr_workitem_id 0
		.amdhsa_next_free_vgpr 121
		.amdhsa_next_free_sgpr 68
		.amdhsa_reserve_vcc 1
		.amdhsa_float_round_mode_32 0
		.amdhsa_float_round_mode_16_64 0
		.amdhsa_float_denorm_mode_32 3
		.amdhsa_float_denorm_mode_16_64 3
		.amdhsa_dx10_clamp 1
		.amdhsa_ieee_mode 1
		.amdhsa_fp16_overflow 0
		.amdhsa_workgroup_processor_mode 1
		.amdhsa_memory_ordered 1
		.amdhsa_forward_progress 0
		.amdhsa_shared_vgpr_count 0
		.amdhsa_exception_fp_ieee_invalid_op 0
		.amdhsa_exception_fp_denorm_src 0
		.amdhsa_exception_fp_ieee_div_zero 0
		.amdhsa_exception_fp_ieee_overflow 0
		.amdhsa_exception_fp_ieee_underflow 0
		.amdhsa_exception_fp_ieee_inexact 0
		.amdhsa_exception_int_div_zero 0
	.end_amdhsa_kernel
	.section	.text._ZN7rocprim17ROCPRIM_400000_NS6detail17trampoline_kernelINS0_14default_configENS1_29reduce_by_key_config_selectorIllN6thrust23THRUST_200600_302600_NS4plusIlEEEEZZNS1_33reduce_by_key_impl_wrapped_configILNS1_25lookback_scan_determinismE0ES3_S9_NS6_18transform_iteratorI6div_opNS6_17counting_iteratorIlNS6_11use_defaultESF_SF_EESF_SF_EENSC_I6mod_opSG_SF_SF_EENS6_6detail15normal_iteratorINS6_10device_ptrIlEEEESO_PmS8_NS6_8equal_toIlEEEE10hipError_tPvRmT2_T3_mT4_T5_T6_T7_T8_P12ihipStream_tbENKUlT_T0_E_clISt17integral_constantIbLb0EES18_IbLb1EEEEDaS14_S15_EUlS14_E_NS1_11comp_targetILNS1_3genE9ELNS1_11target_archE1100ELNS1_3gpuE3ELNS1_3repE0EEENS1_30default_config_static_selectorELNS0_4arch9wavefront6targetE0EEEvT1_,"axG",@progbits,_ZN7rocprim17ROCPRIM_400000_NS6detail17trampoline_kernelINS0_14default_configENS1_29reduce_by_key_config_selectorIllN6thrust23THRUST_200600_302600_NS4plusIlEEEEZZNS1_33reduce_by_key_impl_wrapped_configILNS1_25lookback_scan_determinismE0ES3_S9_NS6_18transform_iteratorI6div_opNS6_17counting_iteratorIlNS6_11use_defaultESF_SF_EESF_SF_EENSC_I6mod_opSG_SF_SF_EENS6_6detail15normal_iteratorINS6_10device_ptrIlEEEESO_PmS8_NS6_8equal_toIlEEEE10hipError_tPvRmT2_T3_mT4_T5_T6_T7_T8_P12ihipStream_tbENKUlT_T0_E_clISt17integral_constantIbLb0EES18_IbLb1EEEEDaS14_S15_EUlS14_E_NS1_11comp_targetILNS1_3genE9ELNS1_11target_archE1100ELNS1_3gpuE3ELNS1_3repE0EEENS1_30default_config_static_selectorELNS0_4arch9wavefront6targetE0EEEvT1_,comdat
.Lfunc_end1169:
	.size	_ZN7rocprim17ROCPRIM_400000_NS6detail17trampoline_kernelINS0_14default_configENS1_29reduce_by_key_config_selectorIllN6thrust23THRUST_200600_302600_NS4plusIlEEEEZZNS1_33reduce_by_key_impl_wrapped_configILNS1_25lookback_scan_determinismE0ES3_S9_NS6_18transform_iteratorI6div_opNS6_17counting_iteratorIlNS6_11use_defaultESF_SF_EESF_SF_EENSC_I6mod_opSG_SF_SF_EENS6_6detail15normal_iteratorINS6_10device_ptrIlEEEESO_PmS8_NS6_8equal_toIlEEEE10hipError_tPvRmT2_T3_mT4_T5_T6_T7_T8_P12ihipStream_tbENKUlT_T0_E_clISt17integral_constantIbLb0EES18_IbLb1EEEEDaS14_S15_EUlS14_E_NS1_11comp_targetILNS1_3genE9ELNS1_11target_archE1100ELNS1_3gpuE3ELNS1_3repE0EEENS1_30default_config_static_selectorELNS0_4arch9wavefront6targetE0EEEvT1_, .Lfunc_end1169-_ZN7rocprim17ROCPRIM_400000_NS6detail17trampoline_kernelINS0_14default_configENS1_29reduce_by_key_config_selectorIllN6thrust23THRUST_200600_302600_NS4plusIlEEEEZZNS1_33reduce_by_key_impl_wrapped_configILNS1_25lookback_scan_determinismE0ES3_S9_NS6_18transform_iteratorI6div_opNS6_17counting_iteratorIlNS6_11use_defaultESF_SF_EESF_SF_EENSC_I6mod_opSG_SF_SF_EENS6_6detail15normal_iteratorINS6_10device_ptrIlEEEESO_PmS8_NS6_8equal_toIlEEEE10hipError_tPvRmT2_T3_mT4_T5_T6_T7_T8_P12ihipStream_tbENKUlT_T0_E_clISt17integral_constantIbLb0EES18_IbLb1EEEEDaS14_S15_EUlS14_E_NS1_11comp_targetILNS1_3genE9ELNS1_11target_archE1100ELNS1_3gpuE3ELNS1_3repE0EEENS1_30default_config_static_selectorELNS0_4arch9wavefront6targetE0EEEvT1_
                                        ; -- End function
	.section	.AMDGPU.csdata,"",@progbits
; Kernel info:
; codeLenInByte = 82204
; NumSgprs: 70
; NumVgprs: 121
; ScratchSize: 0
; MemoryBound: 0
; FloatMode: 240
; IeeeMode: 1
; LDSByteSize: 30720 bytes/workgroup (compile time only)
; SGPRBlocks: 8
; VGPRBlocks: 15
; NumSGPRsForWavesPerEU: 70
; NumVGPRsForWavesPerEU: 121
; Occupancy: 8
; WaveLimiterHint : 1
; COMPUTE_PGM_RSRC2:SCRATCH_EN: 0
; COMPUTE_PGM_RSRC2:USER_SGPR: 15
; COMPUTE_PGM_RSRC2:TRAP_HANDLER: 0
; COMPUTE_PGM_RSRC2:TGID_X_EN: 1
; COMPUTE_PGM_RSRC2:TGID_Y_EN: 0
; COMPUTE_PGM_RSRC2:TGID_Z_EN: 0
; COMPUTE_PGM_RSRC2:TIDIG_COMP_CNT: 0
	.section	.text._ZN7rocprim17ROCPRIM_400000_NS6detail17trampoline_kernelINS0_14default_configENS1_29reduce_by_key_config_selectorIllN6thrust23THRUST_200600_302600_NS4plusIlEEEEZZNS1_33reduce_by_key_impl_wrapped_configILNS1_25lookback_scan_determinismE0ES3_S9_NS6_18transform_iteratorI6div_opNS6_17counting_iteratorIlNS6_11use_defaultESF_SF_EESF_SF_EENSC_I6mod_opSG_SF_SF_EENS6_6detail15normal_iteratorINS6_10device_ptrIlEEEESO_PmS8_NS6_8equal_toIlEEEE10hipError_tPvRmT2_T3_mT4_T5_T6_T7_T8_P12ihipStream_tbENKUlT_T0_E_clISt17integral_constantIbLb0EES18_IbLb1EEEEDaS14_S15_EUlS14_E_NS1_11comp_targetILNS1_3genE8ELNS1_11target_archE1030ELNS1_3gpuE2ELNS1_3repE0EEENS1_30default_config_static_selectorELNS0_4arch9wavefront6targetE0EEEvT1_,"axG",@progbits,_ZN7rocprim17ROCPRIM_400000_NS6detail17trampoline_kernelINS0_14default_configENS1_29reduce_by_key_config_selectorIllN6thrust23THRUST_200600_302600_NS4plusIlEEEEZZNS1_33reduce_by_key_impl_wrapped_configILNS1_25lookback_scan_determinismE0ES3_S9_NS6_18transform_iteratorI6div_opNS6_17counting_iteratorIlNS6_11use_defaultESF_SF_EESF_SF_EENSC_I6mod_opSG_SF_SF_EENS6_6detail15normal_iteratorINS6_10device_ptrIlEEEESO_PmS8_NS6_8equal_toIlEEEE10hipError_tPvRmT2_T3_mT4_T5_T6_T7_T8_P12ihipStream_tbENKUlT_T0_E_clISt17integral_constantIbLb0EES18_IbLb1EEEEDaS14_S15_EUlS14_E_NS1_11comp_targetILNS1_3genE8ELNS1_11target_archE1030ELNS1_3gpuE2ELNS1_3repE0EEENS1_30default_config_static_selectorELNS0_4arch9wavefront6targetE0EEEvT1_,comdat
	.protected	_ZN7rocprim17ROCPRIM_400000_NS6detail17trampoline_kernelINS0_14default_configENS1_29reduce_by_key_config_selectorIllN6thrust23THRUST_200600_302600_NS4plusIlEEEEZZNS1_33reduce_by_key_impl_wrapped_configILNS1_25lookback_scan_determinismE0ES3_S9_NS6_18transform_iteratorI6div_opNS6_17counting_iteratorIlNS6_11use_defaultESF_SF_EESF_SF_EENSC_I6mod_opSG_SF_SF_EENS6_6detail15normal_iteratorINS6_10device_ptrIlEEEESO_PmS8_NS6_8equal_toIlEEEE10hipError_tPvRmT2_T3_mT4_T5_T6_T7_T8_P12ihipStream_tbENKUlT_T0_E_clISt17integral_constantIbLb0EES18_IbLb1EEEEDaS14_S15_EUlS14_E_NS1_11comp_targetILNS1_3genE8ELNS1_11target_archE1030ELNS1_3gpuE2ELNS1_3repE0EEENS1_30default_config_static_selectorELNS0_4arch9wavefront6targetE0EEEvT1_ ; -- Begin function _ZN7rocprim17ROCPRIM_400000_NS6detail17trampoline_kernelINS0_14default_configENS1_29reduce_by_key_config_selectorIllN6thrust23THRUST_200600_302600_NS4plusIlEEEEZZNS1_33reduce_by_key_impl_wrapped_configILNS1_25lookback_scan_determinismE0ES3_S9_NS6_18transform_iteratorI6div_opNS6_17counting_iteratorIlNS6_11use_defaultESF_SF_EESF_SF_EENSC_I6mod_opSG_SF_SF_EENS6_6detail15normal_iteratorINS6_10device_ptrIlEEEESO_PmS8_NS6_8equal_toIlEEEE10hipError_tPvRmT2_T3_mT4_T5_T6_T7_T8_P12ihipStream_tbENKUlT_T0_E_clISt17integral_constantIbLb0EES18_IbLb1EEEEDaS14_S15_EUlS14_E_NS1_11comp_targetILNS1_3genE8ELNS1_11target_archE1030ELNS1_3gpuE2ELNS1_3repE0EEENS1_30default_config_static_selectorELNS0_4arch9wavefront6targetE0EEEvT1_
	.globl	_ZN7rocprim17ROCPRIM_400000_NS6detail17trampoline_kernelINS0_14default_configENS1_29reduce_by_key_config_selectorIllN6thrust23THRUST_200600_302600_NS4plusIlEEEEZZNS1_33reduce_by_key_impl_wrapped_configILNS1_25lookback_scan_determinismE0ES3_S9_NS6_18transform_iteratorI6div_opNS6_17counting_iteratorIlNS6_11use_defaultESF_SF_EESF_SF_EENSC_I6mod_opSG_SF_SF_EENS6_6detail15normal_iteratorINS6_10device_ptrIlEEEESO_PmS8_NS6_8equal_toIlEEEE10hipError_tPvRmT2_T3_mT4_T5_T6_T7_T8_P12ihipStream_tbENKUlT_T0_E_clISt17integral_constantIbLb0EES18_IbLb1EEEEDaS14_S15_EUlS14_E_NS1_11comp_targetILNS1_3genE8ELNS1_11target_archE1030ELNS1_3gpuE2ELNS1_3repE0EEENS1_30default_config_static_selectorELNS0_4arch9wavefront6targetE0EEEvT1_
	.p2align	8
	.type	_ZN7rocprim17ROCPRIM_400000_NS6detail17trampoline_kernelINS0_14default_configENS1_29reduce_by_key_config_selectorIllN6thrust23THRUST_200600_302600_NS4plusIlEEEEZZNS1_33reduce_by_key_impl_wrapped_configILNS1_25lookback_scan_determinismE0ES3_S9_NS6_18transform_iteratorI6div_opNS6_17counting_iteratorIlNS6_11use_defaultESF_SF_EESF_SF_EENSC_I6mod_opSG_SF_SF_EENS6_6detail15normal_iteratorINS6_10device_ptrIlEEEESO_PmS8_NS6_8equal_toIlEEEE10hipError_tPvRmT2_T3_mT4_T5_T6_T7_T8_P12ihipStream_tbENKUlT_T0_E_clISt17integral_constantIbLb0EES18_IbLb1EEEEDaS14_S15_EUlS14_E_NS1_11comp_targetILNS1_3genE8ELNS1_11target_archE1030ELNS1_3gpuE2ELNS1_3repE0EEENS1_30default_config_static_selectorELNS0_4arch9wavefront6targetE0EEEvT1_,@function
_ZN7rocprim17ROCPRIM_400000_NS6detail17trampoline_kernelINS0_14default_configENS1_29reduce_by_key_config_selectorIllN6thrust23THRUST_200600_302600_NS4plusIlEEEEZZNS1_33reduce_by_key_impl_wrapped_configILNS1_25lookback_scan_determinismE0ES3_S9_NS6_18transform_iteratorI6div_opNS6_17counting_iteratorIlNS6_11use_defaultESF_SF_EESF_SF_EENSC_I6mod_opSG_SF_SF_EENS6_6detail15normal_iteratorINS6_10device_ptrIlEEEESO_PmS8_NS6_8equal_toIlEEEE10hipError_tPvRmT2_T3_mT4_T5_T6_T7_T8_P12ihipStream_tbENKUlT_T0_E_clISt17integral_constantIbLb0EES18_IbLb1EEEEDaS14_S15_EUlS14_E_NS1_11comp_targetILNS1_3genE8ELNS1_11target_archE1030ELNS1_3gpuE2ELNS1_3repE0EEENS1_30default_config_static_selectorELNS0_4arch9wavefront6targetE0EEEvT1_: ; @_ZN7rocprim17ROCPRIM_400000_NS6detail17trampoline_kernelINS0_14default_configENS1_29reduce_by_key_config_selectorIllN6thrust23THRUST_200600_302600_NS4plusIlEEEEZZNS1_33reduce_by_key_impl_wrapped_configILNS1_25lookback_scan_determinismE0ES3_S9_NS6_18transform_iteratorI6div_opNS6_17counting_iteratorIlNS6_11use_defaultESF_SF_EESF_SF_EENSC_I6mod_opSG_SF_SF_EENS6_6detail15normal_iteratorINS6_10device_ptrIlEEEESO_PmS8_NS6_8equal_toIlEEEE10hipError_tPvRmT2_T3_mT4_T5_T6_T7_T8_P12ihipStream_tbENKUlT_T0_E_clISt17integral_constantIbLb0EES18_IbLb1EEEEDaS14_S15_EUlS14_E_NS1_11comp_targetILNS1_3genE8ELNS1_11target_archE1030ELNS1_3gpuE2ELNS1_3repE0EEENS1_30default_config_static_selectorELNS0_4arch9wavefront6targetE0EEEvT1_
; %bb.0:
	.section	.rodata,"a",@progbits
	.p2align	6, 0x0
	.amdhsa_kernel _ZN7rocprim17ROCPRIM_400000_NS6detail17trampoline_kernelINS0_14default_configENS1_29reduce_by_key_config_selectorIllN6thrust23THRUST_200600_302600_NS4plusIlEEEEZZNS1_33reduce_by_key_impl_wrapped_configILNS1_25lookback_scan_determinismE0ES3_S9_NS6_18transform_iteratorI6div_opNS6_17counting_iteratorIlNS6_11use_defaultESF_SF_EESF_SF_EENSC_I6mod_opSG_SF_SF_EENS6_6detail15normal_iteratorINS6_10device_ptrIlEEEESO_PmS8_NS6_8equal_toIlEEEE10hipError_tPvRmT2_T3_mT4_T5_T6_T7_T8_P12ihipStream_tbENKUlT_T0_E_clISt17integral_constantIbLb0EES18_IbLb1EEEEDaS14_S15_EUlS14_E_NS1_11comp_targetILNS1_3genE8ELNS1_11target_archE1030ELNS1_3gpuE2ELNS1_3repE0EEENS1_30default_config_static_selectorELNS0_4arch9wavefront6targetE0EEEvT1_
		.amdhsa_group_segment_fixed_size 0
		.amdhsa_private_segment_fixed_size 0
		.amdhsa_kernarg_size 152
		.amdhsa_user_sgpr_count 15
		.amdhsa_user_sgpr_dispatch_ptr 0
		.amdhsa_user_sgpr_queue_ptr 0
		.amdhsa_user_sgpr_kernarg_segment_ptr 1
		.amdhsa_user_sgpr_dispatch_id 0
		.amdhsa_user_sgpr_private_segment_size 0
		.amdhsa_wavefront_size32 1
		.amdhsa_uses_dynamic_stack 0
		.amdhsa_enable_private_segment 0
		.amdhsa_system_sgpr_workgroup_id_x 1
		.amdhsa_system_sgpr_workgroup_id_y 0
		.amdhsa_system_sgpr_workgroup_id_z 0
		.amdhsa_system_sgpr_workgroup_info 0
		.amdhsa_system_vgpr_workitem_id 0
		.amdhsa_next_free_vgpr 1
		.amdhsa_next_free_sgpr 1
		.amdhsa_reserve_vcc 0
		.amdhsa_float_round_mode_32 0
		.amdhsa_float_round_mode_16_64 0
		.amdhsa_float_denorm_mode_32 3
		.amdhsa_float_denorm_mode_16_64 3
		.amdhsa_dx10_clamp 1
		.amdhsa_ieee_mode 1
		.amdhsa_fp16_overflow 0
		.amdhsa_workgroup_processor_mode 1
		.amdhsa_memory_ordered 1
		.amdhsa_forward_progress 0
		.amdhsa_shared_vgpr_count 0
		.amdhsa_exception_fp_ieee_invalid_op 0
		.amdhsa_exception_fp_denorm_src 0
		.amdhsa_exception_fp_ieee_div_zero 0
		.amdhsa_exception_fp_ieee_overflow 0
		.amdhsa_exception_fp_ieee_underflow 0
		.amdhsa_exception_fp_ieee_inexact 0
		.amdhsa_exception_int_div_zero 0
	.end_amdhsa_kernel
	.section	.text._ZN7rocprim17ROCPRIM_400000_NS6detail17trampoline_kernelINS0_14default_configENS1_29reduce_by_key_config_selectorIllN6thrust23THRUST_200600_302600_NS4plusIlEEEEZZNS1_33reduce_by_key_impl_wrapped_configILNS1_25lookback_scan_determinismE0ES3_S9_NS6_18transform_iteratorI6div_opNS6_17counting_iteratorIlNS6_11use_defaultESF_SF_EESF_SF_EENSC_I6mod_opSG_SF_SF_EENS6_6detail15normal_iteratorINS6_10device_ptrIlEEEESO_PmS8_NS6_8equal_toIlEEEE10hipError_tPvRmT2_T3_mT4_T5_T6_T7_T8_P12ihipStream_tbENKUlT_T0_E_clISt17integral_constantIbLb0EES18_IbLb1EEEEDaS14_S15_EUlS14_E_NS1_11comp_targetILNS1_3genE8ELNS1_11target_archE1030ELNS1_3gpuE2ELNS1_3repE0EEENS1_30default_config_static_selectorELNS0_4arch9wavefront6targetE0EEEvT1_,"axG",@progbits,_ZN7rocprim17ROCPRIM_400000_NS6detail17trampoline_kernelINS0_14default_configENS1_29reduce_by_key_config_selectorIllN6thrust23THRUST_200600_302600_NS4plusIlEEEEZZNS1_33reduce_by_key_impl_wrapped_configILNS1_25lookback_scan_determinismE0ES3_S9_NS6_18transform_iteratorI6div_opNS6_17counting_iteratorIlNS6_11use_defaultESF_SF_EESF_SF_EENSC_I6mod_opSG_SF_SF_EENS6_6detail15normal_iteratorINS6_10device_ptrIlEEEESO_PmS8_NS6_8equal_toIlEEEE10hipError_tPvRmT2_T3_mT4_T5_T6_T7_T8_P12ihipStream_tbENKUlT_T0_E_clISt17integral_constantIbLb0EES18_IbLb1EEEEDaS14_S15_EUlS14_E_NS1_11comp_targetILNS1_3genE8ELNS1_11target_archE1030ELNS1_3gpuE2ELNS1_3repE0EEENS1_30default_config_static_selectorELNS0_4arch9wavefront6targetE0EEEvT1_,comdat
.Lfunc_end1170:
	.size	_ZN7rocprim17ROCPRIM_400000_NS6detail17trampoline_kernelINS0_14default_configENS1_29reduce_by_key_config_selectorIllN6thrust23THRUST_200600_302600_NS4plusIlEEEEZZNS1_33reduce_by_key_impl_wrapped_configILNS1_25lookback_scan_determinismE0ES3_S9_NS6_18transform_iteratorI6div_opNS6_17counting_iteratorIlNS6_11use_defaultESF_SF_EESF_SF_EENSC_I6mod_opSG_SF_SF_EENS6_6detail15normal_iteratorINS6_10device_ptrIlEEEESO_PmS8_NS6_8equal_toIlEEEE10hipError_tPvRmT2_T3_mT4_T5_T6_T7_T8_P12ihipStream_tbENKUlT_T0_E_clISt17integral_constantIbLb0EES18_IbLb1EEEEDaS14_S15_EUlS14_E_NS1_11comp_targetILNS1_3genE8ELNS1_11target_archE1030ELNS1_3gpuE2ELNS1_3repE0EEENS1_30default_config_static_selectorELNS0_4arch9wavefront6targetE0EEEvT1_, .Lfunc_end1170-_ZN7rocprim17ROCPRIM_400000_NS6detail17trampoline_kernelINS0_14default_configENS1_29reduce_by_key_config_selectorIllN6thrust23THRUST_200600_302600_NS4plusIlEEEEZZNS1_33reduce_by_key_impl_wrapped_configILNS1_25lookback_scan_determinismE0ES3_S9_NS6_18transform_iteratorI6div_opNS6_17counting_iteratorIlNS6_11use_defaultESF_SF_EESF_SF_EENSC_I6mod_opSG_SF_SF_EENS6_6detail15normal_iteratorINS6_10device_ptrIlEEEESO_PmS8_NS6_8equal_toIlEEEE10hipError_tPvRmT2_T3_mT4_T5_T6_T7_T8_P12ihipStream_tbENKUlT_T0_E_clISt17integral_constantIbLb0EES18_IbLb1EEEEDaS14_S15_EUlS14_E_NS1_11comp_targetILNS1_3genE8ELNS1_11target_archE1030ELNS1_3gpuE2ELNS1_3repE0EEENS1_30default_config_static_selectorELNS0_4arch9wavefront6targetE0EEEvT1_
                                        ; -- End function
	.section	.AMDGPU.csdata,"",@progbits
; Kernel info:
; codeLenInByte = 0
; NumSgprs: 0
; NumVgprs: 0
; ScratchSize: 0
; MemoryBound: 0
; FloatMode: 240
; IeeeMode: 1
; LDSByteSize: 0 bytes/workgroup (compile time only)
; SGPRBlocks: 0
; VGPRBlocks: 0
; NumSGPRsForWavesPerEU: 1
; NumVGPRsForWavesPerEU: 1
; Occupancy: 16
; WaveLimiterHint : 0
; COMPUTE_PGM_RSRC2:SCRATCH_EN: 0
; COMPUTE_PGM_RSRC2:USER_SGPR: 15
; COMPUTE_PGM_RSRC2:TRAP_HANDLER: 0
; COMPUTE_PGM_RSRC2:TGID_X_EN: 1
; COMPUTE_PGM_RSRC2:TGID_Y_EN: 0
; COMPUTE_PGM_RSRC2:TGID_Z_EN: 0
; COMPUTE_PGM_RSRC2:TIDIG_COMP_CNT: 0
	.section	.text._ZN7rocprim17ROCPRIM_400000_NS6detail17trampoline_kernelINS0_14default_configENS1_22reduce_config_selectorIN6thrust23THRUST_200600_302600_NS5tupleIblNS6_9null_typeES8_S8_S8_S8_S8_S8_S8_EEEEZNS1_11reduce_implILb1ES3_PS9_SC_S9_NS6_11hip_rocprim9__find_if7functorIS9_EEEE10hipError_tPvRmT1_T2_T3_mT4_P12ihipStream_tbEUlT_E0_NS1_11comp_targetILNS1_3genE0ELNS1_11target_archE4294967295ELNS1_3gpuE0ELNS1_3repE0EEENS1_30default_config_static_selectorELNS0_4arch9wavefront6targetE0EEEvSK_,"axG",@progbits,_ZN7rocprim17ROCPRIM_400000_NS6detail17trampoline_kernelINS0_14default_configENS1_22reduce_config_selectorIN6thrust23THRUST_200600_302600_NS5tupleIblNS6_9null_typeES8_S8_S8_S8_S8_S8_S8_EEEEZNS1_11reduce_implILb1ES3_PS9_SC_S9_NS6_11hip_rocprim9__find_if7functorIS9_EEEE10hipError_tPvRmT1_T2_T3_mT4_P12ihipStream_tbEUlT_E0_NS1_11comp_targetILNS1_3genE0ELNS1_11target_archE4294967295ELNS1_3gpuE0ELNS1_3repE0EEENS1_30default_config_static_selectorELNS0_4arch9wavefront6targetE0EEEvSK_,comdat
	.protected	_ZN7rocprim17ROCPRIM_400000_NS6detail17trampoline_kernelINS0_14default_configENS1_22reduce_config_selectorIN6thrust23THRUST_200600_302600_NS5tupleIblNS6_9null_typeES8_S8_S8_S8_S8_S8_S8_EEEEZNS1_11reduce_implILb1ES3_PS9_SC_S9_NS6_11hip_rocprim9__find_if7functorIS9_EEEE10hipError_tPvRmT1_T2_T3_mT4_P12ihipStream_tbEUlT_E0_NS1_11comp_targetILNS1_3genE0ELNS1_11target_archE4294967295ELNS1_3gpuE0ELNS1_3repE0EEENS1_30default_config_static_selectorELNS0_4arch9wavefront6targetE0EEEvSK_ ; -- Begin function _ZN7rocprim17ROCPRIM_400000_NS6detail17trampoline_kernelINS0_14default_configENS1_22reduce_config_selectorIN6thrust23THRUST_200600_302600_NS5tupleIblNS6_9null_typeES8_S8_S8_S8_S8_S8_S8_EEEEZNS1_11reduce_implILb1ES3_PS9_SC_S9_NS6_11hip_rocprim9__find_if7functorIS9_EEEE10hipError_tPvRmT1_T2_T3_mT4_P12ihipStream_tbEUlT_E0_NS1_11comp_targetILNS1_3genE0ELNS1_11target_archE4294967295ELNS1_3gpuE0ELNS1_3repE0EEENS1_30default_config_static_selectorELNS0_4arch9wavefront6targetE0EEEvSK_
	.globl	_ZN7rocprim17ROCPRIM_400000_NS6detail17trampoline_kernelINS0_14default_configENS1_22reduce_config_selectorIN6thrust23THRUST_200600_302600_NS5tupleIblNS6_9null_typeES8_S8_S8_S8_S8_S8_S8_EEEEZNS1_11reduce_implILb1ES3_PS9_SC_S9_NS6_11hip_rocprim9__find_if7functorIS9_EEEE10hipError_tPvRmT1_T2_T3_mT4_P12ihipStream_tbEUlT_E0_NS1_11comp_targetILNS1_3genE0ELNS1_11target_archE4294967295ELNS1_3gpuE0ELNS1_3repE0EEENS1_30default_config_static_selectorELNS0_4arch9wavefront6targetE0EEEvSK_
	.p2align	8
	.type	_ZN7rocprim17ROCPRIM_400000_NS6detail17trampoline_kernelINS0_14default_configENS1_22reduce_config_selectorIN6thrust23THRUST_200600_302600_NS5tupleIblNS6_9null_typeES8_S8_S8_S8_S8_S8_S8_EEEEZNS1_11reduce_implILb1ES3_PS9_SC_S9_NS6_11hip_rocprim9__find_if7functorIS9_EEEE10hipError_tPvRmT1_T2_T3_mT4_P12ihipStream_tbEUlT_E0_NS1_11comp_targetILNS1_3genE0ELNS1_11target_archE4294967295ELNS1_3gpuE0ELNS1_3repE0EEENS1_30default_config_static_selectorELNS0_4arch9wavefront6targetE0EEEvSK_,@function
_ZN7rocprim17ROCPRIM_400000_NS6detail17trampoline_kernelINS0_14default_configENS1_22reduce_config_selectorIN6thrust23THRUST_200600_302600_NS5tupleIblNS6_9null_typeES8_S8_S8_S8_S8_S8_S8_EEEEZNS1_11reduce_implILb1ES3_PS9_SC_S9_NS6_11hip_rocprim9__find_if7functorIS9_EEEE10hipError_tPvRmT1_T2_T3_mT4_P12ihipStream_tbEUlT_E0_NS1_11comp_targetILNS1_3genE0ELNS1_11target_archE4294967295ELNS1_3gpuE0ELNS1_3repE0EEENS1_30default_config_static_selectorELNS0_4arch9wavefront6targetE0EEEvSK_: ; @_ZN7rocprim17ROCPRIM_400000_NS6detail17trampoline_kernelINS0_14default_configENS1_22reduce_config_selectorIN6thrust23THRUST_200600_302600_NS5tupleIblNS6_9null_typeES8_S8_S8_S8_S8_S8_S8_EEEEZNS1_11reduce_implILb1ES3_PS9_SC_S9_NS6_11hip_rocprim9__find_if7functorIS9_EEEE10hipError_tPvRmT1_T2_T3_mT4_P12ihipStream_tbEUlT_E0_NS1_11comp_targetILNS1_3genE0ELNS1_11target_archE4294967295ELNS1_3gpuE0ELNS1_3repE0EEENS1_30default_config_static_selectorELNS0_4arch9wavefront6targetE0EEEvSK_
; %bb.0:
	.section	.rodata,"a",@progbits
	.p2align	6, 0x0
	.amdhsa_kernel _ZN7rocprim17ROCPRIM_400000_NS6detail17trampoline_kernelINS0_14default_configENS1_22reduce_config_selectorIN6thrust23THRUST_200600_302600_NS5tupleIblNS6_9null_typeES8_S8_S8_S8_S8_S8_S8_EEEEZNS1_11reduce_implILb1ES3_PS9_SC_S9_NS6_11hip_rocprim9__find_if7functorIS9_EEEE10hipError_tPvRmT1_T2_T3_mT4_P12ihipStream_tbEUlT_E0_NS1_11comp_targetILNS1_3genE0ELNS1_11target_archE4294967295ELNS1_3gpuE0ELNS1_3repE0EEENS1_30default_config_static_selectorELNS0_4arch9wavefront6targetE0EEEvSK_
		.amdhsa_group_segment_fixed_size 0
		.amdhsa_private_segment_fixed_size 0
		.amdhsa_kernarg_size 72
		.amdhsa_user_sgpr_count 15
		.amdhsa_user_sgpr_dispatch_ptr 0
		.amdhsa_user_sgpr_queue_ptr 0
		.amdhsa_user_sgpr_kernarg_segment_ptr 1
		.amdhsa_user_sgpr_dispatch_id 0
		.amdhsa_user_sgpr_private_segment_size 0
		.amdhsa_wavefront_size32 1
		.amdhsa_uses_dynamic_stack 0
		.amdhsa_enable_private_segment 0
		.amdhsa_system_sgpr_workgroup_id_x 1
		.amdhsa_system_sgpr_workgroup_id_y 0
		.amdhsa_system_sgpr_workgroup_id_z 0
		.amdhsa_system_sgpr_workgroup_info 0
		.amdhsa_system_vgpr_workitem_id 0
		.amdhsa_next_free_vgpr 1
		.amdhsa_next_free_sgpr 1
		.amdhsa_reserve_vcc 0
		.amdhsa_float_round_mode_32 0
		.amdhsa_float_round_mode_16_64 0
		.amdhsa_float_denorm_mode_32 3
		.amdhsa_float_denorm_mode_16_64 3
		.amdhsa_dx10_clamp 1
		.amdhsa_ieee_mode 1
		.amdhsa_fp16_overflow 0
		.amdhsa_workgroup_processor_mode 1
		.amdhsa_memory_ordered 1
		.amdhsa_forward_progress 0
		.amdhsa_shared_vgpr_count 0
		.amdhsa_exception_fp_ieee_invalid_op 0
		.amdhsa_exception_fp_denorm_src 0
		.amdhsa_exception_fp_ieee_div_zero 0
		.amdhsa_exception_fp_ieee_overflow 0
		.amdhsa_exception_fp_ieee_underflow 0
		.amdhsa_exception_fp_ieee_inexact 0
		.amdhsa_exception_int_div_zero 0
	.end_amdhsa_kernel
	.section	.text._ZN7rocprim17ROCPRIM_400000_NS6detail17trampoline_kernelINS0_14default_configENS1_22reduce_config_selectorIN6thrust23THRUST_200600_302600_NS5tupleIblNS6_9null_typeES8_S8_S8_S8_S8_S8_S8_EEEEZNS1_11reduce_implILb1ES3_PS9_SC_S9_NS6_11hip_rocprim9__find_if7functorIS9_EEEE10hipError_tPvRmT1_T2_T3_mT4_P12ihipStream_tbEUlT_E0_NS1_11comp_targetILNS1_3genE0ELNS1_11target_archE4294967295ELNS1_3gpuE0ELNS1_3repE0EEENS1_30default_config_static_selectorELNS0_4arch9wavefront6targetE0EEEvSK_,"axG",@progbits,_ZN7rocprim17ROCPRIM_400000_NS6detail17trampoline_kernelINS0_14default_configENS1_22reduce_config_selectorIN6thrust23THRUST_200600_302600_NS5tupleIblNS6_9null_typeES8_S8_S8_S8_S8_S8_S8_EEEEZNS1_11reduce_implILb1ES3_PS9_SC_S9_NS6_11hip_rocprim9__find_if7functorIS9_EEEE10hipError_tPvRmT1_T2_T3_mT4_P12ihipStream_tbEUlT_E0_NS1_11comp_targetILNS1_3genE0ELNS1_11target_archE4294967295ELNS1_3gpuE0ELNS1_3repE0EEENS1_30default_config_static_selectorELNS0_4arch9wavefront6targetE0EEEvSK_,comdat
.Lfunc_end1171:
	.size	_ZN7rocprim17ROCPRIM_400000_NS6detail17trampoline_kernelINS0_14default_configENS1_22reduce_config_selectorIN6thrust23THRUST_200600_302600_NS5tupleIblNS6_9null_typeES8_S8_S8_S8_S8_S8_S8_EEEEZNS1_11reduce_implILb1ES3_PS9_SC_S9_NS6_11hip_rocprim9__find_if7functorIS9_EEEE10hipError_tPvRmT1_T2_T3_mT4_P12ihipStream_tbEUlT_E0_NS1_11comp_targetILNS1_3genE0ELNS1_11target_archE4294967295ELNS1_3gpuE0ELNS1_3repE0EEENS1_30default_config_static_selectorELNS0_4arch9wavefront6targetE0EEEvSK_, .Lfunc_end1171-_ZN7rocprim17ROCPRIM_400000_NS6detail17trampoline_kernelINS0_14default_configENS1_22reduce_config_selectorIN6thrust23THRUST_200600_302600_NS5tupleIblNS6_9null_typeES8_S8_S8_S8_S8_S8_S8_EEEEZNS1_11reduce_implILb1ES3_PS9_SC_S9_NS6_11hip_rocprim9__find_if7functorIS9_EEEE10hipError_tPvRmT1_T2_T3_mT4_P12ihipStream_tbEUlT_E0_NS1_11comp_targetILNS1_3genE0ELNS1_11target_archE4294967295ELNS1_3gpuE0ELNS1_3repE0EEENS1_30default_config_static_selectorELNS0_4arch9wavefront6targetE0EEEvSK_
                                        ; -- End function
	.section	.AMDGPU.csdata,"",@progbits
; Kernel info:
; codeLenInByte = 0
; NumSgprs: 0
; NumVgprs: 0
; ScratchSize: 0
; MemoryBound: 0
; FloatMode: 240
; IeeeMode: 1
; LDSByteSize: 0 bytes/workgroup (compile time only)
; SGPRBlocks: 0
; VGPRBlocks: 0
; NumSGPRsForWavesPerEU: 1
; NumVGPRsForWavesPerEU: 1
; Occupancy: 16
; WaveLimiterHint : 0
; COMPUTE_PGM_RSRC2:SCRATCH_EN: 0
; COMPUTE_PGM_RSRC2:USER_SGPR: 15
; COMPUTE_PGM_RSRC2:TRAP_HANDLER: 0
; COMPUTE_PGM_RSRC2:TGID_X_EN: 1
; COMPUTE_PGM_RSRC2:TGID_Y_EN: 0
; COMPUTE_PGM_RSRC2:TGID_Z_EN: 0
; COMPUTE_PGM_RSRC2:TIDIG_COMP_CNT: 0
	.section	.text._ZN7rocprim17ROCPRIM_400000_NS6detail17trampoline_kernelINS0_14default_configENS1_22reduce_config_selectorIN6thrust23THRUST_200600_302600_NS5tupleIblNS6_9null_typeES8_S8_S8_S8_S8_S8_S8_EEEEZNS1_11reduce_implILb1ES3_PS9_SC_S9_NS6_11hip_rocprim9__find_if7functorIS9_EEEE10hipError_tPvRmT1_T2_T3_mT4_P12ihipStream_tbEUlT_E0_NS1_11comp_targetILNS1_3genE5ELNS1_11target_archE942ELNS1_3gpuE9ELNS1_3repE0EEENS1_30default_config_static_selectorELNS0_4arch9wavefront6targetE0EEEvSK_,"axG",@progbits,_ZN7rocprim17ROCPRIM_400000_NS6detail17trampoline_kernelINS0_14default_configENS1_22reduce_config_selectorIN6thrust23THRUST_200600_302600_NS5tupleIblNS6_9null_typeES8_S8_S8_S8_S8_S8_S8_EEEEZNS1_11reduce_implILb1ES3_PS9_SC_S9_NS6_11hip_rocprim9__find_if7functorIS9_EEEE10hipError_tPvRmT1_T2_T3_mT4_P12ihipStream_tbEUlT_E0_NS1_11comp_targetILNS1_3genE5ELNS1_11target_archE942ELNS1_3gpuE9ELNS1_3repE0EEENS1_30default_config_static_selectorELNS0_4arch9wavefront6targetE0EEEvSK_,comdat
	.protected	_ZN7rocprim17ROCPRIM_400000_NS6detail17trampoline_kernelINS0_14default_configENS1_22reduce_config_selectorIN6thrust23THRUST_200600_302600_NS5tupleIblNS6_9null_typeES8_S8_S8_S8_S8_S8_S8_EEEEZNS1_11reduce_implILb1ES3_PS9_SC_S9_NS6_11hip_rocprim9__find_if7functorIS9_EEEE10hipError_tPvRmT1_T2_T3_mT4_P12ihipStream_tbEUlT_E0_NS1_11comp_targetILNS1_3genE5ELNS1_11target_archE942ELNS1_3gpuE9ELNS1_3repE0EEENS1_30default_config_static_selectorELNS0_4arch9wavefront6targetE0EEEvSK_ ; -- Begin function _ZN7rocprim17ROCPRIM_400000_NS6detail17trampoline_kernelINS0_14default_configENS1_22reduce_config_selectorIN6thrust23THRUST_200600_302600_NS5tupleIblNS6_9null_typeES8_S8_S8_S8_S8_S8_S8_EEEEZNS1_11reduce_implILb1ES3_PS9_SC_S9_NS6_11hip_rocprim9__find_if7functorIS9_EEEE10hipError_tPvRmT1_T2_T3_mT4_P12ihipStream_tbEUlT_E0_NS1_11comp_targetILNS1_3genE5ELNS1_11target_archE942ELNS1_3gpuE9ELNS1_3repE0EEENS1_30default_config_static_selectorELNS0_4arch9wavefront6targetE0EEEvSK_
	.globl	_ZN7rocprim17ROCPRIM_400000_NS6detail17trampoline_kernelINS0_14default_configENS1_22reduce_config_selectorIN6thrust23THRUST_200600_302600_NS5tupleIblNS6_9null_typeES8_S8_S8_S8_S8_S8_S8_EEEEZNS1_11reduce_implILb1ES3_PS9_SC_S9_NS6_11hip_rocprim9__find_if7functorIS9_EEEE10hipError_tPvRmT1_T2_T3_mT4_P12ihipStream_tbEUlT_E0_NS1_11comp_targetILNS1_3genE5ELNS1_11target_archE942ELNS1_3gpuE9ELNS1_3repE0EEENS1_30default_config_static_selectorELNS0_4arch9wavefront6targetE0EEEvSK_
	.p2align	8
	.type	_ZN7rocprim17ROCPRIM_400000_NS6detail17trampoline_kernelINS0_14default_configENS1_22reduce_config_selectorIN6thrust23THRUST_200600_302600_NS5tupleIblNS6_9null_typeES8_S8_S8_S8_S8_S8_S8_EEEEZNS1_11reduce_implILb1ES3_PS9_SC_S9_NS6_11hip_rocprim9__find_if7functorIS9_EEEE10hipError_tPvRmT1_T2_T3_mT4_P12ihipStream_tbEUlT_E0_NS1_11comp_targetILNS1_3genE5ELNS1_11target_archE942ELNS1_3gpuE9ELNS1_3repE0EEENS1_30default_config_static_selectorELNS0_4arch9wavefront6targetE0EEEvSK_,@function
_ZN7rocprim17ROCPRIM_400000_NS6detail17trampoline_kernelINS0_14default_configENS1_22reduce_config_selectorIN6thrust23THRUST_200600_302600_NS5tupleIblNS6_9null_typeES8_S8_S8_S8_S8_S8_S8_EEEEZNS1_11reduce_implILb1ES3_PS9_SC_S9_NS6_11hip_rocprim9__find_if7functorIS9_EEEE10hipError_tPvRmT1_T2_T3_mT4_P12ihipStream_tbEUlT_E0_NS1_11comp_targetILNS1_3genE5ELNS1_11target_archE942ELNS1_3gpuE9ELNS1_3repE0EEENS1_30default_config_static_selectorELNS0_4arch9wavefront6targetE0EEEvSK_: ; @_ZN7rocprim17ROCPRIM_400000_NS6detail17trampoline_kernelINS0_14default_configENS1_22reduce_config_selectorIN6thrust23THRUST_200600_302600_NS5tupleIblNS6_9null_typeES8_S8_S8_S8_S8_S8_S8_EEEEZNS1_11reduce_implILb1ES3_PS9_SC_S9_NS6_11hip_rocprim9__find_if7functorIS9_EEEE10hipError_tPvRmT1_T2_T3_mT4_P12ihipStream_tbEUlT_E0_NS1_11comp_targetILNS1_3genE5ELNS1_11target_archE942ELNS1_3gpuE9ELNS1_3repE0EEENS1_30default_config_static_selectorELNS0_4arch9wavefront6targetE0EEEvSK_
; %bb.0:
	.section	.rodata,"a",@progbits
	.p2align	6, 0x0
	.amdhsa_kernel _ZN7rocprim17ROCPRIM_400000_NS6detail17trampoline_kernelINS0_14default_configENS1_22reduce_config_selectorIN6thrust23THRUST_200600_302600_NS5tupleIblNS6_9null_typeES8_S8_S8_S8_S8_S8_S8_EEEEZNS1_11reduce_implILb1ES3_PS9_SC_S9_NS6_11hip_rocprim9__find_if7functorIS9_EEEE10hipError_tPvRmT1_T2_T3_mT4_P12ihipStream_tbEUlT_E0_NS1_11comp_targetILNS1_3genE5ELNS1_11target_archE942ELNS1_3gpuE9ELNS1_3repE0EEENS1_30default_config_static_selectorELNS0_4arch9wavefront6targetE0EEEvSK_
		.amdhsa_group_segment_fixed_size 0
		.amdhsa_private_segment_fixed_size 0
		.amdhsa_kernarg_size 72
		.amdhsa_user_sgpr_count 15
		.amdhsa_user_sgpr_dispatch_ptr 0
		.amdhsa_user_sgpr_queue_ptr 0
		.amdhsa_user_sgpr_kernarg_segment_ptr 1
		.amdhsa_user_sgpr_dispatch_id 0
		.amdhsa_user_sgpr_private_segment_size 0
		.amdhsa_wavefront_size32 1
		.amdhsa_uses_dynamic_stack 0
		.amdhsa_enable_private_segment 0
		.amdhsa_system_sgpr_workgroup_id_x 1
		.amdhsa_system_sgpr_workgroup_id_y 0
		.amdhsa_system_sgpr_workgroup_id_z 0
		.amdhsa_system_sgpr_workgroup_info 0
		.amdhsa_system_vgpr_workitem_id 0
		.amdhsa_next_free_vgpr 1
		.amdhsa_next_free_sgpr 1
		.amdhsa_reserve_vcc 0
		.amdhsa_float_round_mode_32 0
		.amdhsa_float_round_mode_16_64 0
		.amdhsa_float_denorm_mode_32 3
		.amdhsa_float_denorm_mode_16_64 3
		.amdhsa_dx10_clamp 1
		.amdhsa_ieee_mode 1
		.amdhsa_fp16_overflow 0
		.amdhsa_workgroup_processor_mode 1
		.amdhsa_memory_ordered 1
		.amdhsa_forward_progress 0
		.amdhsa_shared_vgpr_count 0
		.amdhsa_exception_fp_ieee_invalid_op 0
		.amdhsa_exception_fp_denorm_src 0
		.amdhsa_exception_fp_ieee_div_zero 0
		.amdhsa_exception_fp_ieee_overflow 0
		.amdhsa_exception_fp_ieee_underflow 0
		.amdhsa_exception_fp_ieee_inexact 0
		.amdhsa_exception_int_div_zero 0
	.end_amdhsa_kernel
	.section	.text._ZN7rocprim17ROCPRIM_400000_NS6detail17trampoline_kernelINS0_14default_configENS1_22reduce_config_selectorIN6thrust23THRUST_200600_302600_NS5tupleIblNS6_9null_typeES8_S8_S8_S8_S8_S8_S8_EEEEZNS1_11reduce_implILb1ES3_PS9_SC_S9_NS6_11hip_rocprim9__find_if7functorIS9_EEEE10hipError_tPvRmT1_T2_T3_mT4_P12ihipStream_tbEUlT_E0_NS1_11comp_targetILNS1_3genE5ELNS1_11target_archE942ELNS1_3gpuE9ELNS1_3repE0EEENS1_30default_config_static_selectorELNS0_4arch9wavefront6targetE0EEEvSK_,"axG",@progbits,_ZN7rocprim17ROCPRIM_400000_NS6detail17trampoline_kernelINS0_14default_configENS1_22reduce_config_selectorIN6thrust23THRUST_200600_302600_NS5tupleIblNS6_9null_typeES8_S8_S8_S8_S8_S8_S8_EEEEZNS1_11reduce_implILb1ES3_PS9_SC_S9_NS6_11hip_rocprim9__find_if7functorIS9_EEEE10hipError_tPvRmT1_T2_T3_mT4_P12ihipStream_tbEUlT_E0_NS1_11comp_targetILNS1_3genE5ELNS1_11target_archE942ELNS1_3gpuE9ELNS1_3repE0EEENS1_30default_config_static_selectorELNS0_4arch9wavefront6targetE0EEEvSK_,comdat
.Lfunc_end1172:
	.size	_ZN7rocprim17ROCPRIM_400000_NS6detail17trampoline_kernelINS0_14default_configENS1_22reduce_config_selectorIN6thrust23THRUST_200600_302600_NS5tupleIblNS6_9null_typeES8_S8_S8_S8_S8_S8_S8_EEEEZNS1_11reduce_implILb1ES3_PS9_SC_S9_NS6_11hip_rocprim9__find_if7functorIS9_EEEE10hipError_tPvRmT1_T2_T3_mT4_P12ihipStream_tbEUlT_E0_NS1_11comp_targetILNS1_3genE5ELNS1_11target_archE942ELNS1_3gpuE9ELNS1_3repE0EEENS1_30default_config_static_selectorELNS0_4arch9wavefront6targetE0EEEvSK_, .Lfunc_end1172-_ZN7rocprim17ROCPRIM_400000_NS6detail17trampoline_kernelINS0_14default_configENS1_22reduce_config_selectorIN6thrust23THRUST_200600_302600_NS5tupleIblNS6_9null_typeES8_S8_S8_S8_S8_S8_S8_EEEEZNS1_11reduce_implILb1ES3_PS9_SC_S9_NS6_11hip_rocprim9__find_if7functorIS9_EEEE10hipError_tPvRmT1_T2_T3_mT4_P12ihipStream_tbEUlT_E0_NS1_11comp_targetILNS1_3genE5ELNS1_11target_archE942ELNS1_3gpuE9ELNS1_3repE0EEENS1_30default_config_static_selectorELNS0_4arch9wavefront6targetE0EEEvSK_
                                        ; -- End function
	.section	.AMDGPU.csdata,"",@progbits
; Kernel info:
; codeLenInByte = 0
; NumSgprs: 0
; NumVgprs: 0
; ScratchSize: 0
; MemoryBound: 0
; FloatMode: 240
; IeeeMode: 1
; LDSByteSize: 0 bytes/workgroup (compile time only)
; SGPRBlocks: 0
; VGPRBlocks: 0
; NumSGPRsForWavesPerEU: 1
; NumVGPRsForWavesPerEU: 1
; Occupancy: 16
; WaveLimiterHint : 0
; COMPUTE_PGM_RSRC2:SCRATCH_EN: 0
; COMPUTE_PGM_RSRC2:USER_SGPR: 15
; COMPUTE_PGM_RSRC2:TRAP_HANDLER: 0
; COMPUTE_PGM_RSRC2:TGID_X_EN: 1
; COMPUTE_PGM_RSRC2:TGID_Y_EN: 0
; COMPUTE_PGM_RSRC2:TGID_Z_EN: 0
; COMPUTE_PGM_RSRC2:TIDIG_COMP_CNT: 0
	.section	.text._ZN7rocprim17ROCPRIM_400000_NS6detail17trampoline_kernelINS0_14default_configENS1_22reduce_config_selectorIN6thrust23THRUST_200600_302600_NS5tupleIblNS6_9null_typeES8_S8_S8_S8_S8_S8_S8_EEEEZNS1_11reduce_implILb1ES3_PS9_SC_S9_NS6_11hip_rocprim9__find_if7functorIS9_EEEE10hipError_tPvRmT1_T2_T3_mT4_P12ihipStream_tbEUlT_E0_NS1_11comp_targetILNS1_3genE4ELNS1_11target_archE910ELNS1_3gpuE8ELNS1_3repE0EEENS1_30default_config_static_selectorELNS0_4arch9wavefront6targetE0EEEvSK_,"axG",@progbits,_ZN7rocprim17ROCPRIM_400000_NS6detail17trampoline_kernelINS0_14default_configENS1_22reduce_config_selectorIN6thrust23THRUST_200600_302600_NS5tupleIblNS6_9null_typeES8_S8_S8_S8_S8_S8_S8_EEEEZNS1_11reduce_implILb1ES3_PS9_SC_S9_NS6_11hip_rocprim9__find_if7functorIS9_EEEE10hipError_tPvRmT1_T2_T3_mT4_P12ihipStream_tbEUlT_E0_NS1_11comp_targetILNS1_3genE4ELNS1_11target_archE910ELNS1_3gpuE8ELNS1_3repE0EEENS1_30default_config_static_selectorELNS0_4arch9wavefront6targetE0EEEvSK_,comdat
	.protected	_ZN7rocprim17ROCPRIM_400000_NS6detail17trampoline_kernelINS0_14default_configENS1_22reduce_config_selectorIN6thrust23THRUST_200600_302600_NS5tupleIblNS6_9null_typeES8_S8_S8_S8_S8_S8_S8_EEEEZNS1_11reduce_implILb1ES3_PS9_SC_S9_NS6_11hip_rocprim9__find_if7functorIS9_EEEE10hipError_tPvRmT1_T2_T3_mT4_P12ihipStream_tbEUlT_E0_NS1_11comp_targetILNS1_3genE4ELNS1_11target_archE910ELNS1_3gpuE8ELNS1_3repE0EEENS1_30default_config_static_selectorELNS0_4arch9wavefront6targetE0EEEvSK_ ; -- Begin function _ZN7rocprim17ROCPRIM_400000_NS6detail17trampoline_kernelINS0_14default_configENS1_22reduce_config_selectorIN6thrust23THRUST_200600_302600_NS5tupleIblNS6_9null_typeES8_S8_S8_S8_S8_S8_S8_EEEEZNS1_11reduce_implILb1ES3_PS9_SC_S9_NS6_11hip_rocprim9__find_if7functorIS9_EEEE10hipError_tPvRmT1_T2_T3_mT4_P12ihipStream_tbEUlT_E0_NS1_11comp_targetILNS1_3genE4ELNS1_11target_archE910ELNS1_3gpuE8ELNS1_3repE0EEENS1_30default_config_static_selectorELNS0_4arch9wavefront6targetE0EEEvSK_
	.globl	_ZN7rocprim17ROCPRIM_400000_NS6detail17trampoline_kernelINS0_14default_configENS1_22reduce_config_selectorIN6thrust23THRUST_200600_302600_NS5tupleIblNS6_9null_typeES8_S8_S8_S8_S8_S8_S8_EEEEZNS1_11reduce_implILb1ES3_PS9_SC_S9_NS6_11hip_rocprim9__find_if7functorIS9_EEEE10hipError_tPvRmT1_T2_T3_mT4_P12ihipStream_tbEUlT_E0_NS1_11comp_targetILNS1_3genE4ELNS1_11target_archE910ELNS1_3gpuE8ELNS1_3repE0EEENS1_30default_config_static_selectorELNS0_4arch9wavefront6targetE0EEEvSK_
	.p2align	8
	.type	_ZN7rocprim17ROCPRIM_400000_NS6detail17trampoline_kernelINS0_14default_configENS1_22reduce_config_selectorIN6thrust23THRUST_200600_302600_NS5tupleIblNS6_9null_typeES8_S8_S8_S8_S8_S8_S8_EEEEZNS1_11reduce_implILb1ES3_PS9_SC_S9_NS6_11hip_rocprim9__find_if7functorIS9_EEEE10hipError_tPvRmT1_T2_T3_mT4_P12ihipStream_tbEUlT_E0_NS1_11comp_targetILNS1_3genE4ELNS1_11target_archE910ELNS1_3gpuE8ELNS1_3repE0EEENS1_30default_config_static_selectorELNS0_4arch9wavefront6targetE0EEEvSK_,@function
_ZN7rocprim17ROCPRIM_400000_NS6detail17trampoline_kernelINS0_14default_configENS1_22reduce_config_selectorIN6thrust23THRUST_200600_302600_NS5tupleIblNS6_9null_typeES8_S8_S8_S8_S8_S8_S8_EEEEZNS1_11reduce_implILb1ES3_PS9_SC_S9_NS6_11hip_rocprim9__find_if7functorIS9_EEEE10hipError_tPvRmT1_T2_T3_mT4_P12ihipStream_tbEUlT_E0_NS1_11comp_targetILNS1_3genE4ELNS1_11target_archE910ELNS1_3gpuE8ELNS1_3repE0EEENS1_30default_config_static_selectorELNS0_4arch9wavefront6targetE0EEEvSK_: ; @_ZN7rocprim17ROCPRIM_400000_NS6detail17trampoline_kernelINS0_14default_configENS1_22reduce_config_selectorIN6thrust23THRUST_200600_302600_NS5tupleIblNS6_9null_typeES8_S8_S8_S8_S8_S8_S8_EEEEZNS1_11reduce_implILb1ES3_PS9_SC_S9_NS6_11hip_rocprim9__find_if7functorIS9_EEEE10hipError_tPvRmT1_T2_T3_mT4_P12ihipStream_tbEUlT_E0_NS1_11comp_targetILNS1_3genE4ELNS1_11target_archE910ELNS1_3gpuE8ELNS1_3repE0EEENS1_30default_config_static_selectorELNS0_4arch9wavefront6targetE0EEEvSK_
; %bb.0:
	.section	.rodata,"a",@progbits
	.p2align	6, 0x0
	.amdhsa_kernel _ZN7rocprim17ROCPRIM_400000_NS6detail17trampoline_kernelINS0_14default_configENS1_22reduce_config_selectorIN6thrust23THRUST_200600_302600_NS5tupleIblNS6_9null_typeES8_S8_S8_S8_S8_S8_S8_EEEEZNS1_11reduce_implILb1ES3_PS9_SC_S9_NS6_11hip_rocprim9__find_if7functorIS9_EEEE10hipError_tPvRmT1_T2_T3_mT4_P12ihipStream_tbEUlT_E0_NS1_11comp_targetILNS1_3genE4ELNS1_11target_archE910ELNS1_3gpuE8ELNS1_3repE0EEENS1_30default_config_static_selectorELNS0_4arch9wavefront6targetE0EEEvSK_
		.amdhsa_group_segment_fixed_size 0
		.amdhsa_private_segment_fixed_size 0
		.amdhsa_kernarg_size 72
		.amdhsa_user_sgpr_count 15
		.amdhsa_user_sgpr_dispatch_ptr 0
		.amdhsa_user_sgpr_queue_ptr 0
		.amdhsa_user_sgpr_kernarg_segment_ptr 1
		.amdhsa_user_sgpr_dispatch_id 0
		.amdhsa_user_sgpr_private_segment_size 0
		.amdhsa_wavefront_size32 1
		.amdhsa_uses_dynamic_stack 0
		.amdhsa_enable_private_segment 0
		.amdhsa_system_sgpr_workgroup_id_x 1
		.amdhsa_system_sgpr_workgroup_id_y 0
		.amdhsa_system_sgpr_workgroup_id_z 0
		.amdhsa_system_sgpr_workgroup_info 0
		.amdhsa_system_vgpr_workitem_id 0
		.amdhsa_next_free_vgpr 1
		.amdhsa_next_free_sgpr 1
		.amdhsa_reserve_vcc 0
		.amdhsa_float_round_mode_32 0
		.amdhsa_float_round_mode_16_64 0
		.amdhsa_float_denorm_mode_32 3
		.amdhsa_float_denorm_mode_16_64 3
		.amdhsa_dx10_clamp 1
		.amdhsa_ieee_mode 1
		.amdhsa_fp16_overflow 0
		.amdhsa_workgroup_processor_mode 1
		.amdhsa_memory_ordered 1
		.amdhsa_forward_progress 0
		.amdhsa_shared_vgpr_count 0
		.amdhsa_exception_fp_ieee_invalid_op 0
		.amdhsa_exception_fp_denorm_src 0
		.amdhsa_exception_fp_ieee_div_zero 0
		.amdhsa_exception_fp_ieee_overflow 0
		.amdhsa_exception_fp_ieee_underflow 0
		.amdhsa_exception_fp_ieee_inexact 0
		.amdhsa_exception_int_div_zero 0
	.end_amdhsa_kernel
	.section	.text._ZN7rocprim17ROCPRIM_400000_NS6detail17trampoline_kernelINS0_14default_configENS1_22reduce_config_selectorIN6thrust23THRUST_200600_302600_NS5tupleIblNS6_9null_typeES8_S8_S8_S8_S8_S8_S8_EEEEZNS1_11reduce_implILb1ES3_PS9_SC_S9_NS6_11hip_rocprim9__find_if7functorIS9_EEEE10hipError_tPvRmT1_T2_T3_mT4_P12ihipStream_tbEUlT_E0_NS1_11comp_targetILNS1_3genE4ELNS1_11target_archE910ELNS1_3gpuE8ELNS1_3repE0EEENS1_30default_config_static_selectorELNS0_4arch9wavefront6targetE0EEEvSK_,"axG",@progbits,_ZN7rocprim17ROCPRIM_400000_NS6detail17trampoline_kernelINS0_14default_configENS1_22reduce_config_selectorIN6thrust23THRUST_200600_302600_NS5tupleIblNS6_9null_typeES8_S8_S8_S8_S8_S8_S8_EEEEZNS1_11reduce_implILb1ES3_PS9_SC_S9_NS6_11hip_rocprim9__find_if7functorIS9_EEEE10hipError_tPvRmT1_T2_T3_mT4_P12ihipStream_tbEUlT_E0_NS1_11comp_targetILNS1_3genE4ELNS1_11target_archE910ELNS1_3gpuE8ELNS1_3repE0EEENS1_30default_config_static_selectorELNS0_4arch9wavefront6targetE0EEEvSK_,comdat
.Lfunc_end1173:
	.size	_ZN7rocprim17ROCPRIM_400000_NS6detail17trampoline_kernelINS0_14default_configENS1_22reduce_config_selectorIN6thrust23THRUST_200600_302600_NS5tupleIblNS6_9null_typeES8_S8_S8_S8_S8_S8_S8_EEEEZNS1_11reduce_implILb1ES3_PS9_SC_S9_NS6_11hip_rocprim9__find_if7functorIS9_EEEE10hipError_tPvRmT1_T2_T3_mT4_P12ihipStream_tbEUlT_E0_NS1_11comp_targetILNS1_3genE4ELNS1_11target_archE910ELNS1_3gpuE8ELNS1_3repE0EEENS1_30default_config_static_selectorELNS0_4arch9wavefront6targetE0EEEvSK_, .Lfunc_end1173-_ZN7rocprim17ROCPRIM_400000_NS6detail17trampoline_kernelINS0_14default_configENS1_22reduce_config_selectorIN6thrust23THRUST_200600_302600_NS5tupleIblNS6_9null_typeES8_S8_S8_S8_S8_S8_S8_EEEEZNS1_11reduce_implILb1ES3_PS9_SC_S9_NS6_11hip_rocprim9__find_if7functorIS9_EEEE10hipError_tPvRmT1_T2_T3_mT4_P12ihipStream_tbEUlT_E0_NS1_11comp_targetILNS1_3genE4ELNS1_11target_archE910ELNS1_3gpuE8ELNS1_3repE0EEENS1_30default_config_static_selectorELNS0_4arch9wavefront6targetE0EEEvSK_
                                        ; -- End function
	.section	.AMDGPU.csdata,"",@progbits
; Kernel info:
; codeLenInByte = 0
; NumSgprs: 0
; NumVgprs: 0
; ScratchSize: 0
; MemoryBound: 0
; FloatMode: 240
; IeeeMode: 1
; LDSByteSize: 0 bytes/workgroup (compile time only)
; SGPRBlocks: 0
; VGPRBlocks: 0
; NumSGPRsForWavesPerEU: 1
; NumVGPRsForWavesPerEU: 1
; Occupancy: 16
; WaveLimiterHint : 0
; COMPUTE_PGM_RSRC2:SCRATCH_EN: 0
; COMPUTE_PGM_RSRC2:USER_SGPR: 15
; COMPUTE_PGM_RSRC2:TRAP_HANDLER: 0
; COMPUTE_PGM_RSRC2:TGID_X_EN: 1
; COMPUTE_PGM_RSRC2:TGID_Y_EN: 0
; COMPUTE_PGM_RSRC2:TGID_Z_EN: 0
; COMPUTE_PGM_RSRC2:TIDIG_COMP_CNT: 0
	.section	.text._ZN7rocprim17ROCPRIM_400000_NS6detail17trampoline_kernelINS0_14default_configENS1_22reduce_config_selectorIN6thrust23THRUST_200600_302600_NS5tupleIblNS6_9null_typeES8_S8_S8_S8_S8_S8_S8_EEEEZNS1_11reduce_implILb1ES3_PS9_SC_S9_NS6_11hip_rocprim9__find_if7functorIS9_EEEE10hipError_tPvRmT1_T2_T3_mT4_P12ihipStream_tbEUlT_E0_NS1_11comp_targetILNS1_3genE3ELNS1_11target_archE908ELNS1_3gpuE7ELNS1_3repE0EEENS1_30default_config_static_selectorELNS0_4arch9wavefront6targetE0EEEvSK_,"axG",@progbits,_ZN7rocprim17ROCPRIM_400000_NS6detail17trampoline_kernelINS0_14default_configENS1_22reduce_config_selectorIN6thrust23THRUST_200600_302600_NS5tupleIblNS6_9null_typeES8_S8_S8_S8_S8_S8_S8_EEEEZNS1_11reduce_implILb1ES3_PS9_SC_S9_NS6_11hip_rocprim9__find_if7functorIS9_EEEE10hipError_tPvRmT1_T2_T3_mT4_P12ihipStream_tbEUlT_E0_NS1_11comp_targetILNS1_3genE3ELNS1_11target_archE908ELNS1_3gpuE7ELNS1_3repE0EEENS1_30default_config_static_selectorELNS0_4arch9wavefront6targetE0EEEvSK_,comdat
	.protected	_ZN7rocprim17ROCPRIM_400000_NS6detail17trampoline_kernelINS0_14default_configENS1_22reduce_config_selectorIN6thrust23THRUST_200600_302600_NS5tupleIblNS6_9null_typeES8_S8_S8_S8_S8_S8_S8_EEEEZNS1_11reduce_implILb1ES3_PS9_SC_S9_NS6_11hip_rocprim9__find_if7functorIS9_EEEE10hipError_tPvRmT1_T2_T3_mT4_P12ihipStream_tbEUlT_E0_NS1_11comp_targetILNS1_3genE3ELNS1_11target_archE908ELNS1_3gpuE7ELNS1_3repE0EEENS1_30default_config_static_selectorELNS0_4arch9wavefront6targetE0EEEvSK_ ; -- Begin function _ZN7rocprim17ROCPRIM_400000_NS6detail17trampoline_kernelINS0_14default_configENS1_22reduce_config_selectorIN6thrust23THRUST_200600_302600_NS5tupleIblNS6_9null_typeES8_S8_S8_S8_S8_S8_S8_EEEEZNS1_11reduce_implILb1ES3_PS9_SC_S9_NS6_11hip_rocprim9__find_if7functorIS9_EEEE10hipError_tPvRmT1_T2_T3_mT4_P12ihipStream_tbEUlT_E0_NS1_11comp_targetILNS1_3genE3ELNS1_11target_archE908ELNS1_3gpuE7ELNS1_3repE0EEENS1_30default_config_static_selectorELNS0_4arch9wavefront6targetE0EEEvSK_
	.globl	_ZN7rocprim17ROCPRIM_400000_NS6detail17trampoline_kernelINS0_14default_configENS1_22reduce_config_selectorIN6thrust23THRUST_200600_302600_NS5tupleIblNS6_9null_typeES8_S8_S8_S8_S8_S8_S8_EEEEZNS1_11reduce_implILb1ES3_PS9_SC_S9_NS6_11hip_rocprim9__find_if7functorIS9_EEEE10hipError_tPvRmT1_T2_T3_mT4_P12ihipStream_tbEUlT_E0_NS1_11comp_targetILNS1_3genE3ELNS1_11target_archE908ELNS1_3gpuE7ELNS1_3repE0EEENS1_30default_config_static_selectorELNS0_4arch9wavefront6targetE0EEEvSK_
	.p2align	8
	.type	_ZN7rocprim17ROCPRIM_400000_NS6detail17trampoline_kernelINS0_14default_configENS1_22reduce_config_selectorIN6thrust23THRUST_200600_302600_NS5tupleIblNS6_9null_typeES8_S8_S8_S8_S8_S8_S8_EEEEZNS1_11reduce_implILb1ES3_PS9_SC_S9_NS6_11hip_rocprim9__find_if7functorIS9_EEEE10hipError_tPvRmT1_T2_T3_mT4_P12ihipStream_tbEUlT_E0_NS1_11comp_targetILNS1_3genE3ELNS1_11target_archE908ELNS1_3gpuE7ELNS1_3repE0EEENS1_30default_config_static_selectorELNS0_4arch9wavefront6targetE0EEEvSK_,@function
_ZN7rocprim17ROCPRIM_400000_NS6detail17trampoline_kernelINS0_14default_configENS1_22reduce_config_selectorIN6thrust23THRUST_200600_302600_NS5tupleIblNS6_9null_typeES8_S8_S8_S8_S8_S8_S8_EEEEZNS1_11reduce_implILb1ES3_PS9_SC_S9_NS6_11hip_rocprim9__find_if7functorIS9_EEEE10hipError_tPvRmT1_T2_T3_mT4_P12ihipStream_tbEUlT_E0_NS1_11comp_targetILNS1_3genE3ELNS1_11target_archE908ELNS1_3gpuE7ELNS1_3repE0EEENS1_30default_config_static_selectorELNS0_4arch9wavefront6targetE0EEEvSK_: ; @_ZN7rocprim17ROCPRIM_400000_NS6detail17trampoline_kernelINS0_14default_configENS1_22reduce_config_selectorIN6thrust23THRUST_200600_302600_NS5tupleIblNS6_9null_typeES8_S8_S8_S8_S8_S8_S8_EEEEZNS1_11reduce_implILb1ES3_PS9_SC_S9_NS6_11hip_rocprim9__find_if7functorIS9_EEEE10hipError_tPvRmT1_T2_T3_mT4_P12ihipStream_tbEUlT_E0_NS1_11comp_targetILNS1_3genE3ELNS1_11target_archE908ELNS1_3gpuE7ELNS1_3repE0EEENS1_30default_config_static_selectorELNS0_4arch9wavefront6targetE0EEEvSK_
; %bb.0:
	.section	.rodata,"a",@progbits
	.p2align	6, 0x0
	.amdhsa_kernel _ZN7rocprim17ROCPRIM_400000_NS6detail17trampoline_kernelINS0_14default_configENS1_22reduce_config_selectorIN6thrust23THRUST_200600_302600_NS5tupleIblNS6_9null_typeES8_S8_S8_S8_S8_S8_S8_EEEEZNS1_11reduce_implILb1ES3_PS9_SC_S9_NS6_11hip_rocprim9__find_if7functorIS9_EEEE10hipError_tPvRmT1_T2_T3_mT4_P12ihipStream_tbEUlT_E0_NS1_11comp_targetILNS1_3genE3ELNS1_11target_archE908ELNS1_3gpuE7ELNS1_3repE0EEENS1_30default_config_static_selectorELNS0_4arch9wavefront6targetE0EEEvSK_
		.amdhsa_group_segment_fixed_size 0
		.amdhsa_private_segment_fixed_size 0
		.amdhsa_kernarg_size 72
		.amdhsa_user_sgpr_count 15
		.amdhsa_user_sgpr_dispatch_ptr 0
		.amdhsa_user_sgpr_queue_ptr 0
		.amdhsa_user_sgpr_kernarg_segment_ptr 1
		.amdhsa_user_sgpr_dispatch_id 0
		.amdhsa_user_sgpr_private_segment_size 0
		.amdhsa_wavefront_size32 1
		.amdhsa_uses_dynamic_stack 0
		.amdhsa_enable_private_segment 0
		.amdhsa_system_sgpr_workgroup_id_x 1
		.amdhsa_system_sgpr_workgroup_id_y 0
		.amdhsa_system_sgpr_workgroup_id_z 0
		.amdhsa_system_sgpr_workgroup_info 0
		.amdhsa_system_vgpr_workitem_id 0
		.amdhsa_next_free_vgpr 1
		.amdhsa_next_free_sgpr 1
		.amdhsa_reserve_vcc 0
		.amdhsa_float_round_mode_32 0
		.amdhsa_float_round_mode_16_64 0
		.amdhsa_float_denorm_mode_32 3
		.amdhsa_float_denorm_mode_16_64 3
		.amdhsa_dx10_clamp 1
		.amdhsa_ieee_mode 1
		.amdhsa_fp16_overflow 0
		.amdhsa_workgroup_processor_mode 1
		.amdhsa_memory_ordered 1
		.amdhsa_forward_progress 0
		.amdhsa_shared_vgpr_count 0
		.amdhsa_exception_fp_ieee_invalid_op 0
		.amdhsa_exception_fp_denorm_src 0
		.amdhsa_exception_fp_ieee_div_zero 0
		.amdhsa_exception_fp_ieee_overflow 0
		.amdhsa_exception_fp_ieee_underflow 0
		.amdhsa_exception_fp_ieee_inexact 0
		.amdhsa_exception_int_div_zero 0
	.end_amdhsa_kernel
	.section	.text._ZN7rocprim17ROCPRIM_400000_NS6detail17trampoline_kernelINS0_14default_configENS1_22reduce_config_selectorIN6thrust23THRUST_200600_302600_NS5tupleIblNS6_9null_typeES8_S8_S8_S8_S8_S8_S8_EEEEZNS1_11reduce_implILb1ES3_PS9_SC_S9_NS6_11hip_rocprim9__find_if7functorIS9_EEEE10hipError_tPvRmT1_T2_T3_mT4_P12ihipStream_tbEUlT_E0_NS1_11comp_targetILNS1_3genE3ELNS1_11target_archE908ELNS1_3gpuE7ELNS1_3repE0EEENS1_30default_config_static_selectorELNS0_4arch9wavefront6targetE0EEEvSK_,"axG",@progbits,_ZN7rocprim17ROCPRIM_400000_NS6detail17trampoline_kernelINS0_14default_configENS1_22reduce_config_selectorIN6thrust23THRUST_200600_302600_NS5tupleIblNS6_9null_typeES8_S8_S8_S8_S8_S8_S8_EEEEZNS1_11reduce_implILb1ES3_PS9_SC_S9_NS6_11hip_rocprim9__find_if7functorIS9_EEEE10hipError_tPvRmT1_T2_T3_mT4_P12ihipStream_tbEUlT_E0_NS1_11comp_targetILNS1_3genE3ELNS1_11target_archE908ELNS1_3gpuE7ELNS1_3repE0EEENS1_30default_config_static_selectorELNS0_4arch9wavefront6targetE0EEEvSK_,comdat
.Lfunc_end1174:
	.size	_ZN7rocprim17ROCPRIM_400000_NS6detail17trampoline_kernelINS0_14default_configENS1_22reduce_config_selectorIN6thrust23THRUST_200600_302600_NS5tupleIblNS6_9null_typeES8_S8_S8_S8_S8_S8_S8_EEEEZNS1_11reduce_implILb1ES3_PS9_SC_S9_NS6_11hip_rocprim9__find_if7functorIS9_EEEE10hipError_tPvRmT1_T2_T3_mT4_P12ihipStream_tbEUlT_E0_NS1_11comp_targetILNS1_3genE3ELNS1_11target_archE908ELNS1_3gpuE7ELNS1_3repE0EEENS1_30default_config_static_selectorELNS0_4arch9wavefront6targetE0EEEvSK_, .Lfunc_end1174-_ZN7rocprim17ROCPRIM_400000_NS6detail17trampoline_kernelINS0_14default_configENS1_22reduce_config_selectorIN6thrust23THRUST_200600_302600_NS5tupleIblNS6_9null_typeES8_S8_S8_S8_S8_S8_S8_EEEEZNS1_11reduce_implILb1ES3_PS9_SC_S9_NS6_11hip_rocprim9__find_if7functorIS9_EEEE10hipError_tPvRmT1_T2_T3_mT4_P12ihipStream_tbEUlT_E0_NS1_11comp_targetILNS1_3genE3ELNS1_11target_archE908ELNS1_3gpuE7ELNS1_3repE0EEENS1_30default_config_static_selectorELNS0_4arch9wavefront6targetE0EEEvSK_
                                        ; -- End function
	.section	.AMDGPU.csdata,"",@progbits
; Kernel info:
; codeLenInByte = 0
; NumSgprs: 0
; NumVgprs: 0
; ScratchSize: 0
; MemoryBound: 0
; FloatMode: 240
; IeeeMode: 1
; LDSByteSize: 0 bytes/workgroup (compile time only)
; SGPRBlocks: 0
; VGPRBlocks: 0
; NumSGPRsForWavesPerEU: 1
; NumVGPRsForWavesPerEU: 1
; Occupancy: 16
; WaveLimiterHint : 0
; COMPUTE_PGM_RSRC2:SCRATCH_EN: 0
; COMPUTE_PGM_RSRC2:USER_SGPR: 15
; COMPUTE_PGM_RSRC2:TRAP_HANDLER: 0
; COMPUTE_PGM_RSRC2:TGID_X_EN: 1
; COMPUTE_PGM_RSRC2:TGID_Y_EN: 0
; COMPUTE_PGM_RSRC2:TGID_Z_EN: 0
; COMPUTE_PGM_RSRC2:TIDIG_COMP_CNT: 0
	.section	.text._ZN7rocprim17ROCPRIM_400000_NS6detail17trampoline_kernelINS0_14default_configENS1_22reduce_config_selectorIN6thrust23THRUST_200600_302600_NS5tupleIblNS6_9null_typeES8_S8_S8_S8_S8_S8_S8_EEEEZNS1_11reduce_implILb1ES3_PS9_SC_S9_NS6_11hip_rocprim9__find_if7functorIS9_EEEE10hipError_tPvRmT1_T2_T3_mT4_P12ihipStream_tbEUlT_E0_NS1_11comp_targetILNS1_3genE2ELNS1_11target_archE906ELNS1_3gpuE6ELNS1_3repE0EEENS1_30default_config_static_selectorELNS0_4arch9wavefront6targetE0EEEvSK_,"axG",@progbits,_ZN7rocprim17ROCPRIM_400000_NS6detail17trampoline_kernelINS0_14default_configENS1_22reduce_config_selectorIN6thrust23THRUST_200600_302600_NS5tupleIblNS6_9null_typeES8_S8_S8_S8_S8_S8_S8_EEEEZNS1_11reduce_implILb1ES3_PS9_SC_S9_NS6_11hip_rocprim9__find_if7functorIS9_EEEE10hipError_tPvRmT1_T2_T3_mT4_P12ihipStream_tbEUlT_E0_NS1_11comp_targetILNS1_3genE2ELNS1_11target_archE906ELNS1_3gpuE6ELNS1_3repE0EEENS1_30default_config_static_selectorELNS0_4arch9wavefront6targetE0EEEvSK_,comdat
	.protected	_ZN7rocprim17ROCPRIM_400000_NS6detail17trampoline_kernelINS0_14default_configENS1_22reduce_config_selectorIN6thrust23THRUST_200600_302600_NS5tupleIblNS6_9null_typeES8_S8_S8_S8_S8_S8_S8_EEEEZNS1_11reduce_implILb1ES3_PS9_SC_S9_NS6_11hip_rocprim9__find_if7functorIS9_EEEE10hipError_tPvRmT1_T2_T3_mT4_P12ihipStream_tbEUlT_E0_NS1_11comp_targetILNS1_3genE2ELNS1_11target_archE906ELNS1_3gpuE6ELNS1_3repE0EEENS1_30default_config_static_selectorELNS0_4arch9wavefront6targetE0EEEvSK_ ; -- Begin function _ZN7rocprim17ROCPRIM_400000_NS6detail17trampoline_kernelINS0_14default_configENS1_22reduce_config_selectorIN6thrust23THRUST_200600_302600_NS5tupleIblNS6_9null_typeES8_S8_S8_S8_S8_S8_S8_EEEEZNS1_11reduce_implILb1ES3_PS9_SC_S9_NS6_11hip_rocprim9__find_if7functorIS9_EEEE10hipError_tPvRmT1_T2_T3_mT4_P12ihipStream_tbEUlT_E0_NS1_11comp_targetILNS1_3genE2ELNS1_11target_archE906ELNS1_3gpuE6ELNS1_3repE0EEENS1_30default_config_static_selectorELNS0_4arch9wavefront6targetE0EEEvSK_
	.globl	_ZN7rocprim17ROCPRIM_400000_NS6detail17trampoline_kernelINS0_14default_configENS1_22reduce_config_selectorIN6thrust23THRUST_200600_302600_NS5tupleIblNS6_9null_typeES8_S8_S8_S8_S8_S8_S8_EEEEZNS1_11reduce_implILb1ES3_PS9_SC_S9_NS6_11hip_rocprim9__find_if7functorIS9_EEEE10hipError_tPvRmT1_T2_T3_mT4_P12ihipStream_tbEUlT_E0_NS1_11comp_targetILNS1_3genE2ELNS1_11target_archE906ELNS1_3gpuE6ELNS1_3repE0EEENS1_30default_config_static_selectorELNS0_4arch9wavefront6targetE0EEEvSK_
	.p2align	8
	.type	_ZN7rocprim17ROCPRIM_400000_NS6detail17trampoline_kernelINS0_14default_configENS1_22reduce_config_selectorIN6thrust23THRUST_200600_302600_NS5tupleIblNS6_9null_typeES8_S8_S8_S8_S8_S8_S8_EEEEZNS1_11reduce_implILb1ES3_PS9_SC_S9_NS6_11hip_rocprim9__find_if7functorIS9_EEEE10hipError_tPvRmT1_T2_T3_mT4_P12ihipStream_tbEUlT_E0_NS1_11comp_targetILNS1_3genE2ELNS1_11target_archE906ELNS1_3gpuE6ELNS1_3repE0EEENS1_30default_config_static_selectorELNS0_4arch9wavefront6targetE0EEEvSK_,@function
_ZN7rocprim17ROCPRIM_400000_NS6detail17trampoline_kernelINS0_14default_configENS1_22reduce_config_selectorIN6thrust23THRUST_200600_302600_NS5tupleIblNS6_9null_typeES8_S8_S8_S8_S8_S8_S8_EEEEZNS1_11reduce_implILb1ES3_PS9_SC_S9_NS6_11hip_rocprim9__find_if7functorIS9_EEEE10hipError_tPvRmT1_T2_T3_mT4_P12ihipStream_tbEUlT_E0_NS1_11comp_targetILNS1_3genE2ELNS1_11target_archE906ELNS1_3gpuE6ELNS1_3repE0EEENS1_30default_config_static_selectorELNS0_4arch9wavefront6targetE0EEEvSK_: ; @_ZN7rocprim17ROCPRIM_400000_NS6detail17trampoline_kernelINS0_14default_configENS1_22reduce_config_selectorIN6thrust23THRUST_200600_302600_NS5tupleIblNS6_9null_typeES8_S8_S8_S8_S8_S8_S8_EEEEZNS1_11reduce_implILb1ES3_PS9_SC_S9_NS6_11hip_rocprim9__find_if7functorIS9_EEEE10hipError_tPvRmT1_T2_T3_mT4_P12ihipStream_tbEUlT_E0_NS1_11comp_targetILNS1_3genE2ELNS1_11target_archE906ELNS1_3gpuE6ELNS1_3repE0EEENS1_30default_config_static_selectorELNS0_4arch9wavefront6targetE0EEEvSK_
; %bb.0:
	.section	.rodata,"a",@progbits
	.p2align	6, 0x0
	.amdhsa_kernel _ZN7rocprim17ROCPRIM_400000_NS6detail17trampoline_kernelINS0_14default_configENS1_22reduce_config_selectorIN6thrust23THRUST_200600_302600_NS5tupleIblNS6_9null_typeES8_S8_S8_S8_S8_S8_S8_EEEEZNS1_11reduce_implILb1ES3_PS9_SC_S9_NS6_11hip_rocprim9__find_if7functorIS9_EEEE10hipError_tPvRmT1_T2_T3_mT4_P12ihipStream_tbEUlT_E0_NS1_11comp_targetILNS1_3genE2ELNS1_11target_archE906ELNS1_3gpuE6ELNS1_3repE0EEENS1_30default_config_static_selectorELNS0_4arch9wavefront6targetE0EEEvSK_
		.amdhsa_group_segment_fixed_size 0
		.amdhsa_private_segment_fixed_size 0
		.amdhsa_kernarg_size 72
		.amdhsa_user_sgpr_count 15
		.amdhsa_user_sgpr_dispatch_ptr 0
		.amdhsa_user_sgpr_queue_ptr 0
		.amdhsa_user_sgpr_kernarg_segment_ptr 1
		.amdhsa_user_sgpr_dispatch_id 0
		.amdhsa_user_sgpr_private_segment_size 0
		.amdhsa_wavefront_size32 1
		.amdhsa_uses_dynamic_stack 0
		.amdhsa_enable_private_segment 0
		.amdhsa_system_sgpr_workgroup_id_x 1
		.amdhsa_system_sgpr_workgroup_id_y 0
		.amdhsa_system_sgpr_workgroup_id_z 0
		.amdhsa_system_sgpr_workgroup_info 0
		.amdhsa_system_vgpr_workitem_id 0
		.amdhsa_next_free_vgpr 1
		.amdhsa_next_free_sgpr 1
		.amdhsa_reserve_vcc 0
		.amdhsa_float_round_mode_32 0
		.amdhsa_float_round_mode_16_64 0
		.amdhsa_float_denorm_mode_32 3
		.amdhsa_float_denorm_mode_16_64 3
		.amdhsa_dx10_clamp 1
		.amdhsa_ieee_mode 1
		.amdhsa_fp16_overflow 0
		.amdhsa_workgroup_processor_mode 1
		.amdhsa_memory_ordered 1
		.amdhsa_forward_progress 0
		.amdhsa_shared_vgpr_count 0
		.amdhsa_exception_fp_ieee_invalid_op 0
		.amdhsa_exception_fp_denorm_src 0
		.amdhsa_exception_fp_ieee_div_zero 0
		.amdhsa_exception_fp_ieee_overflow 0
		.amdhsa_exception_fp_ieee_underflow 0
		.amdhsa_exception_fp_ieee_inexact 0
		.amdhsa_exception_int_div_zero 0
	.end_amdhsa_kernel
	.section	.text._ZN7rocprim17ROCPRIM_400000_NS6detail17trampoline_kernelINS0_14default_configENS1_22reduce_config_selectorIN6thrust23THRUST_200600_302600_NS5tupleIblNS6_9null_typeES8_S8_S8_S8_S8_S8_S8_EEEEZNS1_11reduce_implILb1ES3_PS9_SC_S9_NS6_11hip_rocprim9__find_if7functorIS9_EEEE10hipError_tPvRmT1_T2_T3_mT4_P12ihipStream_tbEUlT_E0_NS1_11comp_targetILNS1_3genE2ELNS1_11target_archE906ELNS1_3gpuE6ELNS1_3repE0EEENS1_30default_config_static_selectorELNS0_4arch9wavefront6targetE0EEEvSK_,"axG",@progbits,_ZN7rocprim17ROCPRIM_400000_NS6detail17trampoline_kernelINS0_14default_configENS1_22reduce_config_selectorIN6thrust23THRUST_200600_302600_NS5tupleIblNS6_9null_typeES8_S8_S8_S8_S8_S8_S8_EEEEZNS1_11reduce_implILb1ES3_PS9_SC_S9_NS6_11hip_rocprim9__find_if7functorIS9_EEEE10hipError_tPvRmT1_T2_T3_mT4_P12ihipStream_tbEUlT_E0_NS1_11comp_targetILNS1_3genE2ELNS1_11target_archE906ELNS1_3gpuE6ELNS1_3repE0EEENS1_30default_config_static_selectorELNS0_4arch9wavefront6targetE0EEEvSK_,comdat
.Lfunc_end1175:
	.size	_ZN7rocprim17ROCPRIM_400000_NS6detail17trampoline_kernelINS0_14default_configENS1_22reduce_config_selectorIN6thrust23THRUST_200600_302600_NS5tupleIblNS6_9null_typeES8_S8_S8_S8_S8_S8_S8_EEEEZNS1_11reduce_implILb1ES3_PS9_SC_S9_NS6_11hip_rocprim9__find_if7functorIS9_EEEE10hipError_tPvRmT1_T2_T3_mT4_P12ihipStream_tbEUlT_E0_NS1_11comp_targetILNS1_3genE2ELNS1_11target_archE906ELNS1_3gpuE6ELNS1_3repE0EEENS1_30default_config_static_selectorELNS0_4arch9wavefront6targetE0EEEvSK_, .Lfunc_end1175-_ZN7rocprim17ROCPRIM_400000_NS6detail17trampoline_kernelINS0_14default_configENS1_22reduce_config_selectorIN6thrust23THRUST_200600_302600_NS5tupleIblNS6_9null_typeES8_S8_S8_S8_S8_S8_S8_EEEEZNS1_11reduce_implILb1ES3_PS9_SC_S9_NS6_11hip_rocprim9__find_if7functorIS9_EEEE10hipError_tPvRmT1_T2_T3_mT4_P12ihipStream_tbEUlT_E0_NS1_11comp_targetILNS1_3genE2ELNS1_11target_archE906ELNS1_3gpuE6ELNS1_3repE0EEENS1_30default_config_static_selectorELNS0_4arch9wavefront6targetE0EEEvSK_
                                        ; -- End function
	.section	.AMDGPU.csdata,"",@progbits
; Kernel info:
; codeLenInByte = 0
; NumSgprs: 0
; NumVgprs: 0
; ScratchSize: 0
; MemoryBound: 0
; FloatMode: 240
; IeeeMode: 1
; LDSByteSize: 0 bytes/workgroup (compile time only)
; SGPRBlocks: 0
; VGPRBlocks: 0
; NumSGPRsForWavesPerEU: 1
; NumVGPRsForWavesPerEU: 1
; Occupancy: 16
; WaveLimiterHint : 0
; COMPUTE_PGM_RSRC2:SCRATCH_EN: 0
; COMPUTE_PGM_RSRC2:USER_SGPR: 15
; COMPUTE_PGM_RSRC2:TRAP_HANDLER: 0
; COMPUTE_PGM_RSRC2:TGID_X_EN: 1
; COMPUTE_PGM_RSRC2:TGID_Y_EN: 0
; COMPUTE_PGM_RSRC2:TGID_Z_EN: 0
; COMPUTE_PGM_RSRC2:TIDIG_COMP_CNT: 0
	.section	.text._ZN7rocprim17ROCPRIM_400000_NS6detail17trampoline_kernelINS0_14default_configENS1_22reduce_config_selectorIN6thrust23THRUST_200600_302600_NS5tupleIblNS6_9null_typeES8_S8_S8_S8_S8_S8_S8_EEEEZNS1_11reduce_implILb1ES3_PS9_SC_S9_NS6_11hip_rocprim9__find_if7functorIS9_EEEE10hipError_tPvRmT1_T2_T3_mT4_P12ihipStream_tbEUlT_E0_NS1_11comp_targetILNS1_3genE10ELNS1_11target_archE1201ELNS1_3gpuE5ELNS1_3repE0EEENS1_30default_config_static_selectorELNS0_4arch9wavefront6targetE0EEEvSK_,"axG",@progbits,_ZN7rocprim17ROCPRIM_400000_NS6detail17trampoline_kernelINS0_14default_configENS1_22reduce_config_selectorIN6thrust23THRUST_200600_302600_NS5tupleIblNS6_9null_typeES8_S8_S8_S8_S8_S8_S8_EEEEZNS1_11reduce_implILb1ES3_PS9_SC_S9_NS6_11hip_rocprim9__find_if7functorIS9_EEEE10hipError_tPvRmT1_T2_T3_mT4_P12ihipStream_tbEUlT_E0_NS1_11comp_targetILNS1_3genE10ELNS1_11target_archE1201ELNS1_3gpuE5ELNS1_3repE0EEENS1_30default_config_static_selectorELNS0_4arch9wavefront6targetE0EEEvSK_,comdat
	.protected	_ZN7rocprim17ROCPRIM_400000_NS6detail17trampoline_kernelINS0_14default_configENS1_22reduce_config_selectorIN6thrust23THRUST_200600_302600_NS5tupleIblNS6_9null_typeES8_S8_S8_S8_S8_S8_S8_EEEEZNS1_11reduce_implILb1ES3_PS9_SC_S9_NS6_11hip_rocprim9__find_if7functorIS9_EEEE10hipError_tPvRmT1_T2_T3_mT4_P12ihipStream_tbEUlT_E0_NS1_11comp_targetILNS1_3genE10ELNS1_11target_archE1201ELNS1_3gpuE5ELNS1_3repE0EEENS1_30default_config_static_selectorELNS0_4arch9wavefront6targetE0EEEvSK_ ; -- Begin function _ZN7rocprim17ROCPRIM_400000_NS6detail17trampoline_kernelINS0_14default_configENS1_22reduce_config_selectorIN6thrust23THRUST_200600_302600_NS5tupleIblNS6_9null_typeES8_S8_S8_S8_S8_S8_S8_EEEEZNS1_11reduce_implILb1ES3_PS9_SC_S9_NS6_11hip_rocprim9__find_if7functorIS9_EEEE10hipError_tPvRmT1_T2_T3_mT4_P12ihipStream_tbEUlT_E0_NS1_11comp_targetILNS1_3genE10ELNS1_11target_archE1201ELNS1_3gpuE5ELNS1_3repE0EEENS1_30default_config_static_selectorELNS0_4arch9wavefront6targetE0EEEvSK_
	.globl	_ZN7rocprim17ROCPRIM_400000_NS6detail17trampoline_kernelINS0_14default_configENS1_22reduce_config_selectorIN6thrust23THRUST_200600_302600_NS5tupleIblNS6_9null_typeES8_S8_S8_S8_S8_S8_S8_EEEEZNS1_11reduce_implILb1ES3_PS9_SC_S9_NS6_11hip_rocprim9__find_if7functorIS9_EEEE10hipError_tPvRmT1_T2_T3_mT4_P12ihipStream_tbEUlT_E0_NS1_11comp_targetILNS1_3genE10ELNS1_11target_archE1201ELNS1_3gpuE5ELNS1_3repE0EEENS1_30default_config_static_selectorELNS0_4arch9wavefront6targetE0EEEvSK_
	.p2align	8
	.type	_ZN7rocprim17ROCPRIM_400000_NS6detail17trampoline_kernelINS0_14default_configENS1_22reduce_config_selectorIN6thrust23THRUST_200600_302600_NS5tupleIblNS6_9null_typeES8_S8_S8_S8_S8_S8_S8_EEEEZNS1_11reduce_implILb1ES3_PS9_SC_S9_NS6_11hip_rocprim9__find_if7functorIS9_EEEE10hipError_tPvRmT1_T2_T3_mT4_P12ihipStream_tbEUlT_E0_NS1_11comp_targetILNS1_3genE10ELNS1_11target_archE1201ELNS1_3gpuE5ELNS1_3repE0EEENS1_30default_config_static_selectorELNS0_4arch9wavefront6targetE0EEEvSK_,@function
_ZN7rocprim17ROCPRIM_400000_NS6detail17trampoline_kernelINS0_14default_configENS1_22reduce_config_selectorIN6thrust23THRUST_200600_302600_NS5tupleIblNS6_9null_typeES8_S8_S8_S8_S8_S8_S8_EEEEZNS1_11reduce_implILb1ES3_PS9_SC_S9_NS6_11hip_rocprim9__find_if7functorIS9_EEEE10hipError_tPvRmT1_T2_T3_mT4_P12ihipStream_tbEUlT_E0_NS1_11comp_targetILNS1_3genE10ELNS1_11target_archE1201ELNS1_3gpuE5ELNS1_3repE0EEENS1_30default_config_static_selectorELNS0_4arch9wavefront6targetE0EEEvSK_: ; @_ZN7rocprim17ROCPRIM_400000_NS6detail17trampoline_kernelINS0_14default_configENS1_22reduce_config_selectorIN6thrust23THRUST_200600_302600_NS5tupleIblNS6_9null_typeES8_S8_S8_S8_S8_S8_S8_EEEEZNS1_11reduce_implILb1ES3_PS9_SC_S9_NS6_11hip_rocprim9__find_if7functorIS9_EEEE10hipError_tPvRmT1_T2_T3_mT4_P12ihipStream_tbEUlT_E0_NS1_11comp_targetILNS1_3genE10ELNS1_11target_archE1201ELNS1_3gpuE5ELNS1_3repE0EEENS1_30default_config_static_selectorELNS0_4arch9wavefront6targetE0EEEvSK_
; %bb.0:
	.section	.rodata,"a",@progbits
	.p2align	6, 0x0
	.amdhsa_kernel _ZN7rocprim17ROCPRIM_400000_NS6detail17trampoline_kernelINS0_14default_configENS1_22reduce_config_selectorIN6thrust23THRUST_200600_302600_NS5tupleIblNS6_9null_typeES8_S8_S8_S8_S8_S8_S8_EEEEZNS1_11reduce_implILb1ES3_PS9_SC_S9_NS6_11hip_rocprim9__find_if7functorIS9_EEEE10hipError_tPvRmT1_T2_T3_mT4_P12ihipStream_tbEUlT_E0_NS1_11comp_targetILNS1_3genE10ELNS1_11target_archE1201ELNS1_3gpuE5ELNS1_3repE0EEENS1_30default_config_static_selectorELNS0_4arch9wavefront6targetE0EEEvSK_
		.amdhsa_group_segment_fixed_size 0
		.amdhsa_private_segment_fixed_size 0
		.amdhsa_kernarg_size 72
		.amdhsa_user_sgpr_count 15
		.amdhsa_user_sgpr_dispatch_ptr 0
		.amdhsa_user_sgpr_queue_ptr 0
		.amdhsa_user_sgpr_kernarg_segment_ptr 1
		.amdhsa_user_sgpr_dispatch_id 0
		.amdhsa_user_sgpr_private_segment_size 0
		.amdhsa_wavefront_size32 1
		.amdhsa_uses_dynamic_stack 0
		.amdhsa_enable_private_segment 0
		.amdhsa_system_sgpr_workgroup_id_x 1
		.amdhsa_system_sgpr_workgroup_id_y 0
		.amdhsa_system_sgpr_workgroup_id_z 0
		.amdhsa_system_sgpr_workgroup_info 0
		.amdhsa_system_vgpr_workitem_id 0
		.amdhsa_next_free_vgpr 1
		.amdhsa_next_free_sgpr 1
		.amdhsa_reserve_vcc 0
		.amdhsa_float_round_mode_32 0
		.amdhsa_float_round_mode_16_64 0
		.amdhsa_float_denorm_mode_32 3
		.amdhsa_float_denorm_mode_16_64 3
		.amdhsa_dx10_clamp 1
		.amdhsa_ieee_mode 1
		.amdhsa_fp16_overflow 0
		.amdhsa_workgroup_processor_mode 1
		.amdhsa_memory_ordered 1
		.amdhsa_forward_progress 0
		.amdhsa_shared_vgpr_count 0
		.amdhsa_exception_fp_ieee_invalid_op 0
		.amdhsa_exception_fp_denorm_src 0
		.amdhsa_exception_fp_ieee_div_zero 0
		.amdhsa_exception_fp_ieee_overflow 0
		.amdhsa_exception_fp_ieee_underflow 0
		.amdhsa_exception_fp_ieee_inexact 0
		.amdhsa_exception_int_div_zero 0
	.end_amdhsa_kernel
	.section	.text._ZN7rocprim17ROCPRIM_400000_NS6detail17trampoline_kernelINS0_14default_configENS1_22reduce_config_selectorIN6thrust23THRUST_200600_302600_NS5tupleIblNS6_9null_typeES8_S8_S8_S8_S8_S8_S8_EEEEZNS1_11reduce_implILb1ES3_PS9_SC_S9_NS6_11hip_rocprim9__find_if7functorIS9_EEEE10hipError_tPvRmT1_T2_T3_mT4_P12ihipStream_tbEUlT_E0_NS1_11comp_targetILNS1_3genE10ELNS1_11target_archE1201ELNS1_3gpuE5ELNS1_3repE0EEENS1_30default_config_static_selectorELNS0_4arch9wavefront6targetE0EEEvSK_,"axG",@progbits,_ZN7rocprim17ROCPRIM_400000_NS6detail17trampoline_kernelINS0_14default_configENS1_22reduce_config_selectorIN6thrust23THRUST_200600_302600_NS5tupleIblNS6_9null_typeES8_S8_S8_S8_S8_S8_S8_EEEEZNS1_11reduce_implILb1ES3_PS9_SC_S9_NS6_11hip_rocprim9__find_if7functorIS9_EEEE10hipError_tPvRmT1_T2_T3_mT4_P12ihipStream_tbEUlT_E0_NS1_11comp_targetILNS1_3genE10ELNS1_11target_archE1201ELNS1_3gpuE5ELNS1_3repE0EEENS1_30default_config_static_selectorELNS0_4arch9wavefront6targetE0EEEvSK_,comdat
.Lfunc_end1176:
	.size	_ZN7rocprim17ROCPRIM_400000_NS6detail17trampoline_kernelINS0_14default_configENS1_22reduce_config_selectorIN6thrust23THRUST_200600_302600_NS5tupleIblNS6_9null_typeES8_S8_S8_S8_S8_S8_S8_EEEEZNS1_11reduce_implILb1ES3_PS9_SC_S9_NS6_11hip_rocprim9__find_if7functorIS9_EEEE10hipError_tPvRmT1_T2_T3_mT4_P12ihipStream_tbEUlT_E0_NS1_11comp_targetILNS1_3genE10ELNS1_11target_archE1201ELNS1_3gpuE5ELNS1_3repE0EEENS1_30default_config_static_selectorELNS0_4arch9wavefront6targetE0EEEvSK_, .Lfunc_end1176-_ZN7rocprim17ROCPRIM_400000_NS6detail17trampoline_kernelINS0_14default_configENS1_22reduce_config_selectorIN6thrust23THRUST_200600_302600_NS5tupleIblNS6_9null_typeES8_S8_S8_S8_S8_S8_S8_EEEEZNS1_11reduce_implILb1ES3_PS9_SC_S9_NS6_11hip_rocprim9__find_if7functorIS9_EEEE10hipError_tPvRmT1_T2_T3_mT4_P12ihipStream_tbEUlT_E0_NS1_11comp_targetILNS1_3genE10ELNS1_11target_archE1201ELNS1_3gpuE5ELNS1_3repE0EEENS1_30default_config_static_selectorELNS0_4arch9wavefront6targetE0EEEvSK_
                                        ; -- End function
	.section	.AMDGPU.csdata,"",@progbits
; Kernel info:
; codeLenInByte = 0
; NumSgprs: 0
; NumVgprs: 0
; ScratchSize: 0
; MemoryBound: 0
; FloatMode: 240
; IeeeMode: 1
; LDSByteSize: 0 bytes/workgroup (compile time only)
; SGPRBlocks: 0
; VGPRBlocks: 0
; NumSGPRsForWavesPerEU: 1
; NumVGPRsForWavesPerEU: 1
; Occupancy: 16
; WaveLimiterHint : 0
; COMPUTE_PGM_RSRC2:SCRATCH_EN: 0
; COMPUTE_PGM_RSRC2:USER_SGPR: 15
; COMPUTE_PGM_RSRC2:TRAP_HANDLER: 0
; COMPUTE_PGM_RSRC2:TGID_X_EN: 1
; COMPUTE_PGM_RSRC2:TGID_Y_EN: 0
; COMPUTE_PGM_RSRC2:TGID_Z_EN: 0
; COMPUTE_PGM_RSRC2:TIDIG_COMP_CNT: 0
	.section	.text._ZN7rocprim17ROCPRIM_400000_NS6detail17trampoline_kernelINS0_14default_configENS1_22reduce_config_selectorIN6thrust23THRUST_200600_302600_NS5tupleIblNS6_9null_typeES8_S8_S8_S8_S8_S8_S8_EEEEZNS1_11reduce_implILb1ES3_PS9_SC_S9_NS6_11hip_rocprim9__find_if7functorIS9_EEEE10hipError_tPvRmT1_T2_T3_mT4_P12ihipStream_tbEUlT_E0_NS1_11comp_targetILNS1_3genE10ELNS1_11target_archE1200ELNS1_3gpuE4ELNS1_3repE0EEENS1_30default_config_static_selectorELNS0_4arch9wavefront6targetE0EEEvSK_,"axG",@progbits,_ZN7rocprim17ROCPRIM_400000_NS6detail17trampoline_kernelINS0_14default_configENS1_22reduce_config_selectorIN6thrust23THRUST_200600_302600_NS5tupleIblNS6_9null_typeES8_S8_S8_S8_S8_S8_S8_EEEEZNS1_11reduce_implILb1ES3_PS9_SC_S9_NS6_11hip_rocprim9__find_if7functorIS9_EEEE10hipError_tPvRmT1_T2_T3_mT4_P12ihipStream_tbEUlT_E0_NS1_11comp_targetILNS1_3genE10ELNS1_11target_archE1200ELNS1_3gpuE4ELNS1_3repE0EEENS1_30default_config_static_selectorELNS0_4arch9wavefront6targetE0EEEvSK_,comdat
	.protected	_ZN7rocprim17ROCPRIM_400000_NS6detail17trampoline_kernelINS0_14default_configENS1_22reduce_config_selectorIN6thrust23THRUST_200600_302600_NS5tupleIblNS6_9null_typeES8_S8_S8_S8_S8_S8_S8_EEEEZNS1_11reduce_implILb1ES3_PS9_SC_S9_NS6_11hip_rocprim9__find_if7functorIS9_EEEE10hipError_tPvRmT1_T2_T3_mT4_P12ihipStream_tbEUlT_E0_NS1_11comp_targetILNS1_3genE10ELNS1_11target_archE1200ELNS1_3gpuE4ELNS1_3repE0EEENS1_30default_config_static_selectorELNS0_4arch9wavefront6targetE0EEEvSK_ ; -- Begin function _ZN7rocprim17ROCPRIM_400000_NS6detail17trampoline_kernelINS0_14default_configENS1_22reduce_config_selectorIN6thrust23THRUST_200600_302600_NS5tupleIblNS6_9null_typeES8_S8_S8_S8_S8_S8_S8_EEEEZNS1_11reduce_implILb1ES3_PS9_SC_S9_NS6_11hip_rocprim9__find_if7functorIS9_EEEE10hipError_tPvRmT1_T2_T3_mT4_P12ihipStream_tbEUlT_E0_NS1_11comp_targetILNS1_3genE10ELNS1_11target_archE1200ELNS1_3gpuE4ELNS1_3repE0EEENS1_30default_config_static_selectorELNS0_4arch9wavefront6targetE0EEEvSK_
	.globl	_ZN7rocprim17ROCPRIM_400000_NS6detail17trampoline_kernelINS0_14default_configENS1_22reduce_config_selectorIN6thrust23THRUST_200600_302600_NS5tupleIblNS6_9null_typeES8_S8_S8_S8_S8_S8_S8_EEEEZNS1_11reduce_implILb1ES3_PS9_SC_S9_NS6_11hip_rocprim9__find_if7functorIS9_EEEE10hipError_tPvRmT1_T2_T3_mT4_P12ihipStream_tbEUlT_E0_NS1_11comp_targetILNS1_3genE10ELNS1_11target_archE1200ELNS1_3gpuE4ELNS1_3repE0EEENS1_30default_config_static_selectorELNS0_4arch9wavefront6targetE0EEEvSK_
	.p2align	8
	.type	_ZN7rocprim17ROCPRIM_400000_NS6detail17trampoline_kernelINS0_14default_configENS1_22reduce_config_selectorIN6thrust23THRUST_200600_302600_NS5tupleIblNS6_9null_typeES8_S8_S8_S8_S8_S8_S8_EEEEZNS1_11reduce_implILb1ES3_PS9_SC_S9_NS6_11hip_rocprim9__find_if7functorIS9_EEEE10hipError_tPvRmT1_T2_T3_mT4_P12ihipStream_tbEUlT_E0_NS1_11comp_targetILNS1_3genE10ELNS1_11target_archE1200ELNS1_3gpuE4ELNS1_3repE0EEENS1_30default_config_static_selectorELNS0_4arch9wavefront6targetE0EEEvSK_,@function
_ZN7rocprim17ROCPRIM_400000_NS6detail17trampoline_kernelINS0_14default_configENS1_22reduce_config_selectorIN6thrust23THRUST_200600_302600_NS5tupleIblNS6_9null_typeES8_S8_S8_S8_S8_S8_S8_EEEEZNS1_11reduce_implILb1ES3_PS9_SC_S9_NS6_11hip_rocprim9__find_if7functorIS9_EEEE10hipError_tPvRmT1_T2_T3_mT4_P12ihipStream_tbEUlT_E0_NS1_11comp_targetILNS1_3genE10ELNS1_11target_archE1200ELNS1_3gpuE4ELNS1_3repE0EEENS1_30default_config_static_selectorELNS0_4arch9wavefront6targetE0EEEvSK_: ; @_ZN7rocprim17ROCPRIM_400000_NS6detail17trampoline_kernelINS0_14default_configENS1_22reduce_config_selectorIN6thrust23THRUST_200600_302600_NS5tupleIblNS6_9null_typeES8_S8_S8_S8_S8_S8_S8_EEEEZNS1_11reduce_implILb1ES3_PS9_SC_S9_NS6_11hip_rocprim9__find_if7functorIS9_EEEE10hipError_tPvRmT1_T2_T3_mT4_P12ihipStream_tbEUlT_E0_NS1_11comp_targetILNS1_3genE10ELNS1_11target_archE1200ELNS1_3gpuE4ELNS1_3repE0EEENS1_30default_config_static_selectorELNS0_4arch9wavefront6targetE0EEEvSK_
; %bb.0:
	.section	.rodata,"a",@progbits
	.p2align	6, 0x0
	.amdhsa_kernel _ZN7rocprim17ROCPRIM_400000_NS6detail17trampoline_kernelINS0_14default_configENS1_22reduce_config_selectorIN6thrust23THRUST_200600_302600_NS5tupleIblNS6_9null_typeES8_S8_S8_S8_S8_S8_S8_EEEEZNS1_11reduce_implILb1ES3_PS9_SC_S9_NS6_11hip_rocprim9__find_if7functorIS9_EEEE10hipError_tPvRmT1_T2_T3_mT4_P12ihipStream_tbEUlT_E0_NS1_11comp_targetILNS1_3genE10ELNS1_11target_archE1200ELNS1_3gpuE4ELNS1_3repE0EEENS1_30default_config_static_selectorELNS0_4arch9wavefront6targetE0EEEvSK_
		.amdhsa_group_segment_fixed_size 0
		.amdhsa_private_segment_fixed_size 0
		.amdhsa_kernarg_size 72
		.amdhsa_user_sgpr_count 15
		.amdhsa_user_sgpr_dispatch_ptr 0
		.amdhsa_user_sgpr_queue_ptr 0
		.amdhsa_user_sgpr_kernarg_segment_ptr 1
		.amdhsa_user_sgpr_dispatch_id 0
		.amdhsa_user_sgpr_private_segment_size 0
		.amdhsa_wavefront_size32 1
		.amdhsa_uses_dynamic_stack 0
		.amdhsa_enable_private_segment 0
		.amdhsa_system_sgpr_workgroup_id_x 1
		.amdhsa_system_sgpr_workgroup_id_y 0
		.amdhsa_system_sgpr_workgroup_id_z 0
		.amdhsa_system_sgpr_workgroup_info 0
		.amdhsa_system_vgpr_workitem_id 0
		.amdhsa_next_free_vgpr 1
		.amdhsa_next_free_sgpr 1
		.amdhsa_reserve_vcc 0
		.amdhsa_float_round_mode_32 0
		.amdhsa_float_round_mode_16_64 0
		.amdhsa_float_denorm_mode_32 3
		.amdhsa_float_denorm_mode_16_64 3
		.amdhsa_dx10_clamp 1
		.amdhsa_ieee_mode 1
		.amdhsa_fp16_overflow 0
		.amdhsa_workgroup_processor_mode 1
		.amdhsa_memory_ordered 1
		.amdhsa_forward_progress 0
		.amdhsa_shared_vgpr_count 0
		.amdhsa_exception_fp_ieee_invalid_op 0
		.amdhsa_exception_fp_denorm_src 0
		.amdhsa_exception_fp_ieee_div_zero 0
		.amdhsa_exception_fp_ieee_overflow 0
		.amdhsa_exception_fp_ieee_underflow 0
		.amdhsa_exception_fp_ieee_inexact 0
		.amdhsa_exception_int_div_zero 0
	.end_amdhsa_kernel
	.section	.text._ZN7rocprim17ROCPRIM_400000_NS6detail17trampoline_kernelINS0_14default_configENS1_22reduce_config_selectorIN6thrust23THRUST_200600_302600_NS5tupleIblNS6_9null_typeES8_S8_S8_S8_S8_S8_S8_EEEEZNS1_11reduce_implILb1ES3_PS9_SC_S9_NS6_11hip_rocprim9__find_if7functorIS9_EEEE10hipError_tPvRmT1_T2_T3_mT4_P12ihipStream_tbEUlT_E0_NS1_11comp_targetILNS1_3genE10ELNS1_11target_archE1200ELNS1_3gpuE4ELNS1_3repE0EEENS1_30default_config_static_selectorELNS0_4arch9wavefront6targetE0EEEvSK_,"axG",@progbits,_ZN7rocprim17ROCPRIM_400000_NS6detail17trampoline_kernelINS0_14default_configENS1_22reduce_config_selectorIN6thrust23THRUST_200600_302600_NS5tupleIblNS6_9null_typeES8_S8_S8_S8_S8_S8_S8_EEEEZNS1_11reduce_implILb1ES3_PS9_SC_S9_NS6_11hip_rocprim9__find_if7functorIS9_EEEE10hipError_tPvRmT1_T2_T3_mT4_P12ihipStream_tbEUlT_E0_NS1_11comp_targetILNS1_3genE10ELNS1_11target_archE1200ELNS1_3gpuE4ELNS1_3repE0EEENS1_30default_config_static_selectorELNS0_4arch9wavefront6targetE0EEEvSK_,comdat
.Lfunc_end1177:
	.size	_ZN7rocprim17ROCPRIM_400000_NS6detail17trampoline_kernelINS0_14default_configENS1_22reduce_config_selectorIN6thrust23THRUST_200600_302600_NS5tupleIblNS6_9null_typeES8_S8_S8_S8_S8_S8_S8_EEEEZNS1_11reduce_implILb1ES3_PS9_SC_S9_NS6_11hip_rocprim9__find_if7functorIS9_EEEE10hipError_tPvRmT1_T2_T3_mT4_P12ihipStream_tbEUlT_E0_NS1_11comp_targetILNS1_3genE10ELNS1_11target_archE1200ELNS1_3gpuE4ELNS1_3repE0EEENS1_30default_config_static_selectorELNS0_4arch9wavefront6targetE0EEEvSK_, .Lfunc_end1177-_ZN7rocprim17ROCPRIM_400000_NS6detail17trampoline_kernelINS0_14default_configENS1_22reduce_config_selectorIN6thrust23THRUST_200600_302600_NS5tupleIblNS6_9null_typeES8_S8_S8_S8_S8_S8_S8_EEEEZNS1_11reduce_implILb1ES3_PS9_SC_S9_NS6_11hip_rocprim9__find_if7functorIS9_EEEE10hipError_tPvRmT1_T2_T3_mT4_P12ihipStream_tbEUlT_E0_NS1_11comp_targetILNS1_3genE10ELNS1_11target_archE1200ELNS1_3gpuE4ELNS1_3repE0EEENS1_30default_config_static_selectorELNS0_4arch9wavefront6targetE0EEEvSK_
                                        ; -- End function
	.section	.AMDGPU.csdata,"",@progbits
; Kernel info:
; codeLenInByte = 0
; NumSgprs: 0
; NumVgprs: 0
; ScratchSize: 0
; MemoryBound: 0
; FloatMode: 240
; IeeeMode: 1
; LDSByteSize: 0 bytes/workgroup (compile time only)
; SGPRBlocks: 0
; VGPRBlocks: 0
; NumSGPRsForWavesPerEU: 1
; NumVGPRsForWavesPerEU: 1
; Occupancy: 16
; WaveLimiterHint : 0
; COMPUTE_PGM_RSRC2:SCRATCH_EN: 0
; COMPUTE_PGM_RSRC2:USER_SGPR: 15
; COMPUTE_PGM_RSRC2:TRAP_HANDLER: 0
; COMPUTE_PGM_RSRC2:TGID_X_EN: 1
; COMPUTE_PGM_RSRC2:TGID_Y_EN: 0
; COMPUTE_PGM_RSRC2:TGID_Z_EN: 0
; COMPUTE_PGM_RSRC2:TIDIG_COMP_CNT: 0
	.section	.text._ZN7rocprim17ROCPRIM_400000_NS6detail17trampoline_kernelINS0_14default_configENS1_22reduce_config_selectorIN6thrust23THRUST_200600_302600_NS5tupleIblNS6_9null_typeES8_S8_S8_S8_S8_S8_S8_EEEEZNS1_11reduce_implILb1ES3_PS9_SC_S9_NS6_11hip_rocprim9__find_if7functorIS9_EEEE10hipError_tPvRmT1_T2_T3_mT4_P12ihipStream_tbEUlT_E0_NS1_11comp_targetILNS1_3genE9ELNS1_11target_archE1100ELNS1_3gpuE3ELNS1_3repE0EEENS1_30default_config_static_selectorELNS0_4arch9wavefront6targetE0EEEvSK_,"axG",@progbits,_ZN7rocprim17ROCPRIM_400000_NS6detail17trampoline_kernelINS0_14default_configENS1_22reduce_config_selectorIN6thrust23THRUST_200600_302600_NS5tupleIblNS6_9null_typeES8_S8_S8_S8_S8_S8_S8_EEEEZNS1_11reduce_implILb1ES3_PS9_SC_S9_NS6_11hip_rocprim9__find_if7functorIS9_EEEE10hipError_tPvRmT1_T2_T3_mT4_P12ihipStream_tbEUlT_E0_NS1_11comp_targetILNS1_3genE9ELNS1_11target_archE1100ELNS1_3gpuE3ELNS1_3repE0EEENS1_30default_config_static_selectorELNS0_4arch9wavefront6targetE0EEEvSK_,comdat
	.protected	_ZN7rocprim17ROCPRIM_400000_NS6detail17trampoline_kernelINS0_14default_configENS1_22reduce_config_selectorIN6thrust23THRUST_200600_302600_NS5tupleIblNS6_9null_typeES8_S8_S8_S8_S8_S8_S8_EEEEZNS1_11reduce_implILb1ES3_PS9_SC_S9_NS6_11hip_rocprim9__find_if7functorIS9_EEEE10hipError_tPvRmT1_T2_T3_mT4_P12ihipStream_tbEUlT_E0_NS1_11comp_targetILNS1_3genE9ELNS1_11target_archE1100ELNS1_3gpuE3ELNS1_3repE0EEENS1_30default_config_static_selectorELNS0_4arch9wavefront6targetE0EEEvSK_ ; -- Begin function _ZN7rocprim17ROCPRIM_400000_NS6detail17trampoline_kernelINS0_14default_configENS1_22reduce_config_selectorIN6thrust23THRUST_200600_302600_NS5tupleIblNS6_9null_typeES8_S8_S8_S8_S8_S8_S8_EEEEZNS1_11reduce_implILb1ES3_PS9_SC_S9_NS6_11hip_rocprim9__find_if7functorIS9_EEEE10hipError_tPvRmT1_T2_T3_mT4_P12ihipStream_tbEUlT_E0_NS1_11comp_targetILNS1_3genE9ELNS1_11target_archE1100ELNS1_3gpuE3ELNS1_3repE0EEENS1_30default_config_static_selectorELNS0_4arch9wavefront6targetE0EEEvSK_
	.globl	_ZN7rocprim17ROCPRIM_400000_NS6detail17trampoline_kernelINS0_14default_configENS1_22reduce_config_selectorIN6thrust23THRUST_200600_302600_NS5tupleIblNS6_9null_typeES8_S8_S8_S8_S8_S8_S8_EEEEZNS1_11reduce_implILb1ES3_PS9_SC_S9_NS6_11hip_rocprim9__find_if7functorIS9_EEEE10hipError_tPvRmT1_T2_T3_mT4_P12ihipStream_tbEUlT_E0_NS1_11comp_targetILNS1_3genE9ELNS1_11target_archE1100ELNS1_3gpuE3ELNS1_3repE0EEENS1_30default_config_static_selectorELNS0_4arch9wavefront6targetE0EEEvSK_
	.p2align	8
	.type	_ZN7rocprim17ROCPRIM_400000_NS6detail17trampoline_kernelINS0_14default_configENS1_22reduce_config_selectorIN6thrust23THRUST_200600_302600_NS5tupleIblNS6_9null_typeES8_S8_S8_S8_S8_S8_S8_EEEEZNS1_11reduce_implILb1ES3_PS9_SC_S9_NS6_11hip_rocprim9__find_if7functorIS9_EEEE10hipError_tPvRmT1_T2_T3_mT4_P12ihipStream_tbEUlT_E0_NS1_11comp_targetILNS1_3genE9ELNS1_11target_archE1100ELNS1_3gpuE3ELNS1_3repE0EEENS1_30default_config_static_selectorELNS0_4arch9wavefront6targetE0EEEvSK_,@function
_ZN7rocprim17ROCPRIM_400000_NS6detail17trampoline_kernelINS0_14default_configENS1_22reduce_config_selectorIN6thrust23THRUST_200600_302600_NS5tupleIblNS6_9null_typeES8_S8_S8_S8_S8_S8_S8_EEEEZNS1_11reduce_implILb1ES3_PS9_SC_S9_NS6_11hip_rocprim9__find_if7functorIS9_EEEE10hipError_tPvRmT1_T2_T3_mT4_P12ihipStream_tbEUlT_E0_NS1_11comp_targetILNS1_3genE9ELNS1_11target_archE1100ELNS1_3gpuE3ELNS1_3repE0EEENS1_30default_config_static_selectorELNS0_4arch9wavefront6targetE0EEEvSK_: ; @_ZN7rocprim17ROCPRIM_400000_NS6detail17trampoline_kernelINS0_14default_configENS1_22reduce_config_selectorIN6thrust23THRUST_200600_302600_NS5tupleIblNS6_9null_typeES8_S8_S8_S8_S8_S8_S8_EEEEZNS1_11reduce_implILb1ES3_PS9_SC_S9_NS6_11hip_rocprim9__find_if7functorIS9_EEEE10hipError_tPvRmT1_T2_T3_mT4_P12ihipStream_tbEUlT_E0_NS1_11comp_targetILNS1_3genE9ELNS1_11target_archE1100ELNS1_3gpuE3ELNS1_3repE0EEENS1_30default_config_static_selectorELNS0_4arch9wavefront6targetE0EEEvSK_
; %bb.0:
	s_mov_b32 s16, s15
	s_clause 0x1
	s_load_b256 s[4:11], s[0:1], 0x0
	s_load_b128 s[12:15], s[0:1], 0x20
	s_mov_b32 s19, 0
	s_delay_alu instid0(SALU_CYCLE_1) | instskip(SKIP_2) | instid1(SALU_CYCLE_1)
	s_mov_b32 s17, s19
	s_waitcnt lgkmcnt(0)
	s_lshl_b64 s[2:3], s[6:7], 4
	s_add_u32 s4, s4, s2
	s_addc_u32 s5, s5, s3
	s_lshl_b32 s18, s16, 10
	s_lshr_b64 s[6:7], s[8:9], 10
	s_lshl_b64 s[2:3], s[18:19], 4
	s_delay_alu instid0(SALU_CYCLE_1)
	s_add_u32 s4, s4, s2
	s_addc_u32 s5, s5, s3
	s_cmp_lg_u64 s[6:7], s[16:17]
	s_cbranch_scc0 .LBB1178_18
; %bb.1:
	v_lshlrev_b32_e32 v1, 4, v0
	s_mov_b32 s3, exec_lo
	s_delay_alu instid0(VALU_DEP_1) | instskip(NEXT) | instid1(VALU_DEP_1)
	v_add_co_u32 v7, s2, s4, v1
	v_add_co_ci_u32_e64 v8, null, s5, 0, s2
	global_load_u8 v11, v1, s[4:5]
	v_add_co_u32 v1, vcc_lo, 0x1000, v7
	v_add_co_ci_u32_e32 v2, vcc_lo, 0, v8, vcc_lo
	v_add_co_u32 v12, vcc_lo, v7, 0x2000
	v_add_co_ci_u32_e32 v13, vcc_lo, 0, v8, vcc_lo
	;; [unrolled: 2-line block ×4, first 2 shown]
	s_clause 0x5
	global_load_u8 v10, v[12:13], off
	global_load_b64 v[5:6], v[1:2], off offset:8
	global_load_b64 v[3:4], v[3:4], off offset:8
	global_load_u8 v9, v[14:15], off
	global_load_u8 v12, v[12:13], off offset:-4096
	global_load_b64 v[1:2], v[14:15], off offset:8
	s_waitcnt vmcnt(6)
	v_and_b32_e32 v13, 1, v11
	s_delay_alu instid0(VALU_DEP_1)
	v_cmpx_eq_u32_e32 1, v13
	s_cbranch_execz .LBB1178_3
; %bb.2:
	global_load_b64 v[7:8], v[7:8], off offset:8
	s_waitcnt vmcnt(2)
	v_and_b32_e32 v12, 1, v12
	s_delay_alu instid0(VALU_DEP_1) | instskip(NEXT) | instid1(VALU_DEP_1)
	v_cmp_eq_u32_e64 s2, 1, v12
	v_cndmask_b32_e64 v12, v11, 1, s2
	s_waitcnt vmcnt(0)
	v_cmp_lt_i64_e32 vcc_lo, v[5:6], v[7:8]
	v_cndmask_b32_e32 v6, v8, v6, vcc_lo
	s_and_b32 vcc_lo, s2, vcc_lo
	v_cndmask_b32_e32 v5, v7, v5, vcc_lo
	s_delay_alu instid0(VALU_DEP_2)
	v_cndmask_b32_e64 v6, v8, v6, s2
.LBB1178_3:
	s_or_b32 exec_lo, exec_lo, s3
	s_waitcnt vmcnt(5)
	v_and_b32_e32 v7, 1, v10
	s_waitcnt vmcnt(3)
	v_cmp_lt_i64_e32 vcc_lo, v[3:4], v[5:6]
	s_delay_alu instid0(VALU_DEP_2) | instskip(SKIP_2) | instid1(VALU_DEP_2)
	v_cmp_eq_u32_e64 s2, 1, v7
	s_waitcnt vmcnt(1)
	v_and_b32_e32 v7, 1, v12
	v_cndmask_b32_e64 v8, v12, 1, s2
	s_and_b32 vcc_lo, s2, vcc_lo
	s_delay_alu instid0(VALU_DEP_2) | instskip(SKIP_1) | instid1(VALU_DEP_2)
	v_cmp_eq_u32_e64 s2, 1, v7
	v_dual_cndmask_b32 v5, v5, v3 :: v_dual_cndmask_b32 v6, v6, v4
	v_cndmask_b32_e64 v7, v10, v8, s2
	v_and_b32_e32 v8, 1, v9
	s_delay_alu instid0(VALU_DEP_3) | instskip(NEXT) | instid1(VALU_DEP_4)
	v_cndmask_b32_e64 v3, v3, v5, s2
	v_cndmask_b32_e64 v4, v4, v6, s2
	s_delay_alu instid0(VALU_DEP_4) | instskip(NEXT) | instid1(VALU_DEP_4)
	v_and_b32_e32 v5, 1, v7
	v_cmp_eq_u32_e32 vcc_lo, 1, v8
	s_waitcnt vmcnt(0)
	s_delay_alu instid0(VALU_DEP_3) | instskip(NEXT) | instid1(VALU_DEP_3)
	v_cmp_lt_i64_e64 s3, v[1:2], v[3:4]
	v_cmp_eq_u32_e64 s2, 1, v5
	v_cndmask_b32_e64 v7, v7, 1, vcc_lo
	s_delay_alu instid0(VALU_DEP_3) | instskip(NEXT) | instid1(VALU_DEP_1)
	s_and_b32 vcc_lo, vcc_lo, s3
	v_cndmask_b32_e64 v7, v9, v7, s2
	s_delay_alu instid0(VALU_DEP_1) | instskip(NEXT) | instid1(VALU_DEP_1)
	v_dual_cndmask_b32 v4, v4, v2 :: v_dual_and_b32 v5, 0xff, v7
	v_cndmask_b32_e64 v2, v2, v4, s2
	v_and_b32_e32 v7, 1, v7
	s_delay_alu instid0(VALU_DEP_3) | instskip(SKIP_1) | instid1(VALU_DEP_4)
	v_mov_b32_dpp v6, v5 quad_perm:[1,0,3,2] row_mask:0xf bank_mask:0xf
	v_cndmask_b32_e32 v3, v3, v1, vcc_lo
	v_mov_b32_dpp v4, v2 quad_perm:[1,0,3,2] row_mask:0xf bank_mask:0xf
	s_delay_alu instid0(VALU_DEP_4) | instskip(NEXT) | instid1(VALU_DEP_4)
	v_cmp_eq_u32_e64 s3, 1, v7
	v_and_b32_e32 v8, 1, v6
	s_delay_alu instid0(VALU_DEP_4) | instskip(SKIP_1) | instid1(VALU_DEP_1)
	v_cndmask_b32_e64 v1, v1, v3, s2
	s_mov_b32 s2, exec_lo
	v_mov_b32_dpp v3, v1 quad_perm:[1,0,3,2] row_mask:0xf bank_mask:0xf
	s_delay_alu instid0(VALU_DEP_3)
	v_cmpx_eq_u32_e32 1, v8
	s_xor_b32 s6, exec_lo, s2
; %bb.4:
	v_cndmask_b32_e64 v5, v6, 1, s3
	s_delay_alu instid0(VALU_DEP_3) | instskip(NEXT) | instid1(VALU_DEP_2)
	v_cmp_lt_i64_e32 vcc_lo, v[1:2], v[3:4]
	v_and_b32_e32 v6, 1, v5
	v_and_b32_e32 v5, 0xff, v5
	s_and_b32 vcc_lo, s3, vcc_lo
	s_and_not1_b32 s3, s3, exec_lo
	v_dual_cndmask_b32 v2, v4, v2 :: v_dual_cndmask_b32 v1, v3, v1
	v_cmp_eq_u32_e64 s2, 1, v6
	s_delay_alu instid0(VALU_DEP_1) | instskip(NEXT) | instid1(SALU_CYCLE_1)
	s_and_b32 s2, s2, exec_lo
	s_or_b32 s3, s3, s2
; %bb.5:
	s_or_b32 exec_lo, exec_lo, s6
	v_mov_b32_dpp v6, v5 quad_perm:[2,3,0,1] row_mask:0xf bank_mask:0xf
	v_mov_b32_dpp v3, v1 quad_perm:[2,3,0,1] row_mask:0xf bank_mask:0xf
	;; [unrolled: 1-line block ×3, first 2 shown]
	s_mov_b32 s6, exec_lo
	s_delay_alu instid0(VALU_DEP_3) | instskip(NEXT) | instid1(VALU_DEP_1)
	v_and_b32_e32 v7, 1, v6
	v_cmpx_eq_u32_e32 1, v7
; %bb.6:
	v_cndmask_b32_e64 v5, v6, 1, s3
	v_cmp_lt_i64_e32 vcc_lo, v[1:2], v[3:4]
	s_delay_alu instid0(VALU_DEP_2)
	v_and_b32_e32 v6, 1, v5
	v_and_b32_e32 v5, 0xff, v5
	s_and_b32 vcc_lo, s3, vcc_lo
	s_and_not1_b32 s3, s3, exec_lo
	v_dual_cndmask_b32 v2, v4, v2 :: v_dual_cndmask_b32 v1, v3, v1
	v_cmp_eq_u32_e64 s2, 1, v6
	s_delay_alu instid0(VALU_DEP_1) | instskip(NEXT) | instid1(SALU_CYCLE_1)
	s_and_b32 s2, s2, exec_lo
	s_or_b32 s3, s3, s2
; %bb.7:
	s_or_b32 exec_lo, exec_lo, s6
	v_mov_b32_dpp v6, v5 row_ror:4 row_mask:0xf bank_mask:0xf
	v_mov_b32_dpp v3, v1 row_ror:4 row_mask:0xf bank_mask:0xf
	;; [unrolled: 1-line block ×3, first 2 shown]
	s_mov_b32 s6, exec_lo
	s_delay_alu instid0(VALU_DEP_3) | instskip(NEXT) | instid1(VALU_DEP_1)
	v_and_b32_e32 v7, 1, v6
	v_cmpx_eq_u32_e32 1, v7
; %bb.8:
	v_cndmask_b32_e64 v5, v6, 1, s3
	v_cmp_lt_i64_e32 vcc_lo, v[1:2], v[3:4]
	s_delay_alu instid0(VALU_DEP_2)
	v_and_b32_e32 v6, 1, v5
	v_and_b32_e32 v5, 0xff, v5
	s_and_b32 vcc_lo, s3, vcc_lo
	s_and_not1_b32 s3, s3, exec_lo
	v_dual_cndmask_b32 v2, v4, v2 :: v_dual_cndmask_b32 v1, v3, v1
	v_cmp_eq_u32_e64 s2, 1, v6
	s_delay_alu instid0(VALU_DEP_1) | instskip(NEXT) | instid1(SALU_CYCLE_1)
	s_and_b32 s2, s2, exec_lo
	s_or_b32 s3, s3, s2
; %bb.9:
	s_or_b32 exec_lo, exec_lo, s6
	v_mov_b32_dpp v6, v5 row_ror:8 row_mask:0xf bank_mask:0xf
	v_mov_b32_dpp v3, v1 row_ror:8 row_mask:0xf bank_mask:0xf
	;; [unrolled: 1-line block ×3, first 2 shown]
	s_mov_b32 s6, exec_lo
	s_delay_alu instid0(VALU_DEP_3) | instskip(NEXT) | instid1(VALU_DEP_1)
	v_and_b32_e32 v7, 1, v6
	v_cmpx_eq_u32_e32 1, v7
; %bb.10:
	v_cndmask_b32_e64 v5, v6, 1, s3
	v_cmp_lt_i64_e32 vcc_lo, v[1:2], v[3:4]
	s_delay_alu instid0(VALU_DEP_2)
	v_and_b32_e32 v6, 1, v5
	v_and_b32_e32 v5, 0xff, v5
	s_and_b32 vcc_lo, s3, vcc_lo
	s_and_not1_b32 s3, s3, exec_lo
	v_dual_cndmask_b32 v2, v4, v2 :: v_dual_cndmask_b32 v1, v3, v1
	v_cmp_eq_u32_e64 s2, 1, v6
	s_delay_alu instid0(VALU_DEP_1) | instskip(NEXT) | instid1(SALU_CYCLE_1)
	s_and_b32 s2, s2, exec_lo
	s_or_b32 s3, s3, s2
; %bb.11:
	s_or_b32 exec_lo, exec_lo, s6
	ds_swizzle_b32 v6, v5 offset:swizzle(BROADCAST,32,15)
	ds_swizzle_b32 v3, v1 offset:swizzle(BROADCAST,32,15)
	;; [unrolled: 1-line block ×3, first 2 shown]
	s_mov_b32 s2, exec_lo
	s_waitcnt lgkmcnt(2)
	v_and_b32_e32 v7, 1, v6
	s_delay_alu instid0(VALU_DEP_1)
	v_cmpx_eq_u32_e32 1, v7
	s_cbranch_execz .LBB1178_13
; %bb.12:
	s_waitcnt lgkmcnt(0)
	v_cmp_lt_i64_e32 vcc_lo, v[1:2], v[3:4]
	v_and_b32_e32 v5, 0xff, v6
	s_delay_alu instid0(VALU_DEP_1)
	v_cndmask_b32_e64 v5, v5, 1, s3
	s_and_b32 vcc_lo, s3, vcc_lo
	v_dual_cndmask_b32 v1, v3, v1 :: v_dual_cndmask_b32 v2, v4, v2
.LBB1178_13:
	s_or_b32 exec_lo, exec_lo, s2
	s_waitcnt lgkmcnt(1)
	v_mov_b32_e32 v3, 0
	s_mov_b32 s2, exec_lo
	ds_bpermute_b32 v6, v3, v5 offset:124
	ds_bpermute_b32 v1, v3, v1 offset:124
	;; [unrolled: 1-line block ×3, first 2 shown]
	v_mbcnt_lo_u32_b32 v3, -1, 0
	s_delay_alu instid0(VALU_DEP_1)
	v_cmpx_eq_u32_e32 0, v3
	s_cbranch_execz .LBB1178_15
; %bb.14:
	s_waitcnt lgkmcnt(3)
	v_lshrrev_b32_e32 v4, 1, v0
	s_delay_alu instid0(VALU_DEP_1)
	v_and_b32_e32 v4, 0x70, v4
	s_waitcnt lgkmcnt(2)
	ds_store_b8 v4, v6
	s_waitcnt lgkmcnt(1)
	ds_store_b64 v4, v[1:2] offset:8
.LBB1178_15:
	s_or_b32 exec_lo, exec_lo, s2
	s_delay_alu instid0(SALU_CYCLE_1)
	s_mov_b32 s6, exec_lo
	s_waitcnt lgkmcnt(0)
	s_barrier
	buffer_gl0_inv
	v_cmpx_gt_u32_e32 32, v0
	s_cbranch_execz .LBB1178_17
; %bb.16:
	v_and_b32_e32 v6, 7, v3
	s_delay_alu instid0(VALU_DEP_1)
	v_lshlrev_b32_e32 v1, 4, v6
	v_cmp_ne_u32_e32 vcc_lo, 7, v6
	ds_load_u8 v7, v1
	ds_load_b64 v[1:2], v1 offset:8
	v_add_co_ci_u32_e32 v4, vcc_lo, 0, v3, vcc_lo
	v_cmp_gt_u32_e32 vcc_lo, 6, v6
	s_delay_alu instid0(VALU_DEP_2)
	v_lshlrev_b32_e32 v5, 2, v4
	v_cndmask_b32_e64 v10, 0, 1, vcc_lo
	s_waitcnt lgkmcnt(1)
	v_and_b32_e32 v4, 0xff, v7
	v_and_b32_e32 v11, 1, v7
	ds_bpermute_b32 v8, v5, v4
	s_waitcnt lgkmcnt(1)
	ds_bpermute_b32 v4, v5, v1
	ds_bpermute_b32 v5, v5, v2
	v_cmp_eq_u32_e64 s3, 1, v11
	s_waitcnt lgkmcnt(2)
	v_and_b32_e32 v9, 1, v8
	s_waitcnt lgkmcnt(0)
	v_cmp_lt_i64_e64 s2, v[4:5], v[1:2]
	s_delay_alu instid0(VALU_DEP_2) | instskip(SKIP_2) | instid1(VALU_DEP_4)
	v_cmp_eq_u32_e32 vcc_lo, 1, v9
	v_lshlrev_b32_e32 v9, 1, v10
	v_cndmask_b32_e64 v7, v7, 1, vcc_lo
	s_and_b32 vcc_lo, vcc_lo, s2
	v_dual_cndmask_b32 v1, v1, v4 :: v_dual_cndmask_b32 v2, v2, v5
	s_delay_alu instid0(VALU_DEP_2) | instskip(SKIP_2) | instid1(VALU_DEP_4)
	v_cndmask_b32_e64 v7, v8, v7, s3
	v_add_lshl_u32 v8, v9, v3, 2
	v_cmp_gt_u32_e32 vcc_lo, 4, v6
	v_cndmask_b32_e64 v1, v4, v1, s3
	v_cndmask_b32_e64 v2, v5, v2, s3
	v_and_b32_e32 v9, 0xff, v7
	v_and_b32_e32 v10, 1, v7
	v_cndmask_b32_e64 v6, 0, 1, vcc_lo
	ds_bpermute_b32 v4, v8, v1
	ds_bpermute_b32 v5, v8, v2
	;; [unrolled: 1-line block ×3, first 2 shown]
	v_cmp_eq_u32_e64 s3, 1, v10
	s_waitcnt lgkmcnt(1)
	v_cmp_lt_i64_e64 s2, v[4:5], v[1:2]
	s_waitcnt lgkmcnt(0)
	v_and_b32_e32 v8, 1, v9
	s_delay_alu instid0(VALU_DEP_1) | instskip(SKIP_1) | instid1(VALU_DEP_4)
	v_cmp_eq_u32_e32 vcc_lo, 1, v8
	v_cndmask_b32_e64 v7, v7, 1, vcc_lo
	s_and_b32 vcc_lo, vcc_lo, s2
	v_dual_cndmask_b32 v1, v1, v4 :: v_dual_cndmask_b32 v2, v2, v5
	s_delay_alu instid0(VALU_DEP_2) | instskip(NEXT) | instid1(VALU_DEP_2)
	v_cndmask_b32_e64 v7, v9, v7, s3
	v_cndmask_b32_e64 v1, v4, v1, s3
	v_lshlrev_b32_e32 v6, 2, v6
	s_delay_alu instid0(VALU_DEP_4) | instskip(NEXT) | instid1(VALU_DEP_2)
	v_cndmask_b32_e64 v2, v5, v2, s3
	v_add_lshl_u32 v6, v6, v3, 2
	v_and_b32_e32 v3, 0xff, v7
	ds_bpermute_b32 v4, v6, v2
	ds_bpermute_b32 v5, v6, v3
	;; [unrolled: 1-line block ×3, first 2 shown]
	s_waitcnt lgkmcnt(1)
	v_and_b32_e32 v6, 1, v5
	s_waitcnt lgkmcnt(0)
	v_cmp_lt_i64_e32 vcc_lo, v[3:4], v[1:2]
	s_delay_alu instid0(VALU_DEP_2) | instskip(SKIP_1) | instid1(VALU_DEP_2)
	v_cmp_eq_u32_e64 s2, 1, v6
	v_and_b32_e32 v6, 1, v7
	v_cndmask_b32_e64 v7, v7, 1, s2
	s_and_b32 vcc_lo, s2, vcc_lo
	s_delay_alu instid0(VALU_DEP_2) | instskip(SKIP_1) | instid1(VALU_DEP_2)
	v_cmp_eq_u32_e64 s2, 1, v6
	v_dual_cndmask_b32 v1, v1, v3 :: v_dual_cndmask_b32 v2, v2, v4
	v_cndmask_b32_e64 v5, v5, v7, s2
	s_delay_alu instid0(VALU_DEP_2) | instskip(NEXT) | instid1(VALU_DEP_3)
	v_cndmask_b32_e64 v1, v3, v1, s2
	v_cndmask_b32_e64 v2, v4, v2, s2
	s_delay_alu instid0(VALU_DEP_3)
	v_and_b32_e32 v6, 0xff, v5
.LBB1178_17:
	s_or_b32 exec_lo, exec_lo, s6
	s_load_b64 s[6:7], s[0:1], 0x38
	s_branch .LBB1178_51
.LBB1178_18:
                                        ; implicit-def: $vgpr1_vgpr2
                                        ; implicit-def: $vgpr6
	s_load_b64 s[6:7], s[0:1], 0x38
	s_cbranch_execz .LBB1178_51
; %bb.19:
	v_mov_b32_e32 v5, 0
	v_dual_mov_b32 v6, 0 :: v_dual_mov_b32 v11, 0
	s_delay_alu instid0(VALU_DEP_2) | instskip(SKIP_2) | instid1(VALU_DEP_3)
	v_mov_b32_e32 v1, v5
	v_mov_b32_e32 v9, 0
	s_sub_i32 s18, s8, s18
	v_mov_b32_e32 v2, v6
	s_mov_b32 s2, exec_lo
	v_cmpx_gt_u32_e64 s18, v0
; %bb.20:
	v_lshlrev_b32_e32 v1, 4, v0
	s_clause 0x1
	global_load_u8 v9, v1, s[4:5]
	global_load_b64 v[1:2], v1, s[4:5] offset:8
; %bb.21:
	s_or_b32 exec_lo, exec_lo, s2
	v_or_b32_e32 v3, 0x100, v0
	s_delay_alu instid0(VALU_DEP_1) | instskip(NEXT) | instid1(VALU_DEP_1)
	v_cmp_gt_u32_e64 s3, s18, v3
	s_and_saveexec_b32 s2, s3
; %bb.22:
	v_lshlrev_b32_e32 v3, 4, v3
	s_clause 0x1
	global_load_u8 v11, v3, s[4:5]
	global_load_b64 v[5:6], v3, s[4:5] offset:8
; %bb.23:
	s_or_b32 exec_lo, exec_lo, s2
	v_dual_mov_b32 v3, 0 :: v_dual_mov_b32 v10, 0
	v_mov_b32_e32 v4, 0
	v_or_b32_e32 v13, 0x200, v0
	v_mov_b32_e32 v12, 0
	s_delay_alu instid0(VALU_DEP_3) | instskip(NEXT) | instid1(VALU_DEP_3)
	v_dual_mov_b32 v8, v4 :: v_dual_mov_b32 v7, v3
	v_cmp_gt_u32_e64 s2, s18, v13
	s_delay_alu instid0(VALU_DEP_1)
	s_and_saveexec_b32 s19, s2
; %bb.24:
	v_lshlrev_b32_e32 v7, 4, v13
	s_clause 0x1
	global_load_u8 v12, v7, s[4:5]
	global_load_b64 v[7:8], v7, s[4:5] offset:8
; %bb.25:
	s_or_b32 exec_lo, exec_lo, s19
	v_or_b32_e32 v13, 0x300, v0
	s_delay_alu instid0(VALU_DEP_1)
	v_cmp_gt_u32_e32 vcc_lo, s18, v13
	s_and_saveexec_b32 s19, vcc_lo
	s_cbranch_execnz .LBB1178_54
; %bb.26:
	s_or_b32 exec_lo, exec_lo, s19
	s_and_saveexec_b32 s5, s3
	s_cbranch_execnz .LBB1178_55
.LBB1178_27:
	s_or_b32 exec_lo, exec_lo, s5
	s_and_saveexec_b32 s4, s2
	s_cbranch_execnz .LBB1178_56
.LBB1178_28:
	s_or_b32 exec_lo, exec_lo, s4
	s_and_saveexec_b32 s3, vcc_lo
	s_cbranch_execz .LBB1178_30
.LBB1178_29:
	s_waitcnt vmcnt(0)
	v_and_b32_e32 v5, 1, v10
	v_cmp_lt_i64_e32 vcc_lo, v[3:4], v[1:2]
	s_delay_alu instid0(VALU_DEP_2) | instskip(NEXT) | instid1(VALU_DEP_1)
	v_cmp_eq_u32_e64 s2, 1, v5
	s_and_b32 vcc_lo, s2, vcc_lo
	v_cndmask_b32_e64 v6, v9, 1, s2
	v_dual_cndmask_b32 v2, v2, v4 :: v_dual_and_b32 v5, 1, v9
	v_cndmask_b32_e32 v1, v1, v3, vcc_lo
	s_delay_alu instid0(VALU_DEP_2) | instskip(NEXT) | instid1(VALU_DEP_3)
	v_cmp_eq_u32_e32 vcc_lo, 1, v5
	v_cndmask_b32_e32 v2, v4, v2, vcc_lo
	v_cndmask_b32_e32 v9, v10, v6, vcc_lo
	s_delay_alu instid0(VALU_DEP_4)
	v_cndmask_b32_e32 v1, v3, v1, vcc_lo
.LBB1178_30:
	s_or_b32 exec_lo, exec_lo, s3
	s_waitcnt vmcnt(0)
	v_mbcnt_lo_u32_b32 v5, -1, 0
	v_and_b32_e32 v7, 0xe0, v0
	s_min_u32 s3, s18, 0x100
	v_and_b32_e32 v6, 0xff, v9
	s_delay_alu instid0(VALU_DEP_3) | instskip(NEXT) | instid1(VALU_DEP_3)
	v_cmp_ne_u32_e32 vcc_lo, 31, v5
	v_sub_nc_u32_e64 v8, s3, v7 clamp
	v_add_nc_u32_e32 v7, 1, v5
	v_add_co_ci_u32_e32 v3, vcc_lo, 0, v5, vcc_lo
	s_delay_alu instid0(VALU_DEP_2) | instskip(NEXT) | instid1(VALU_DEP_2)
	v_cmp_lt_u32_e32 vcc_lo, v7, v8
	v_dual_mov_b32 v7, v6 :: v_dual_lshlrev_b32 v4, 2, v3
	ds_bpermute_b32 v10, v4, v6
	ds_bpermute_b32 v3, v4, v1
	;; [unrolled: 1-line block ×3, first 2 shown]
	s_and_saveexec_b32 s2, vcc_lo
	s_delay_alu instid0(SALU_CYCLE_1)
	s_xor_b32 s4, exec_lo, s2
	s_cbranch_execz .LBB1178_32
; %bb.31:
	s_waitcnt lgkmcnt(0)
	v_and_b32_e32 v7, 1, v10
	v_cmp_lt_i64_e32 vcc_lo, v[3:4], v[1:2]
	s_delay_alu instid0(VALU_DEP_2) | instskip(SKIP_1) | instid1(VALU_DEP_2)
	v_cmp_eq_u32_e64 s2, 1, v7
	v_and_b32_e32 v7, 1, v9
	v_cndmask_b32_e64 v6, v6, 1, s2
	s_and_b32 vcc_lo, s2, vcc_lo
	s_delay_alu instid0(VALU_DEP_2) | instskip(SKIP_1) | instid1(VALU_DEP_2)
	v_cmp_eq_u32_e64 s2, 1, v7
	v_dual_cndmask_b32 v2, v2, v4 :: v_dual_cndmask_b32 v1, v1, v3
	v_cndmask_b32_e64 v7, v10, v6, s2
	s_delay_alu instid0(VALU_DEP_2) | instskip(NEXT) | instid1(VALU_DEP_3)
	v_cndmask_b32_e64 v2, v4, v2, s2
	v_cndmask_b32_e64 v1, v3, v1, s2
	s_delay_alu instid0(VALU_DEP_3)
	v_and_b32_e32 v6, 0xff, v7
.LBB1178_32:
	s_or_b32 exec_lo, exec_lo, s4
	v_cmp_gt_u32_e32 vcc_lo, 30, v5
	s_waitcnt lgkmcnt(0)
	v_add_nc_u32_e32 v10, 2, v5
	s_mov_b32 s4, exec_lo
	v_cndmask_b32_e64 v3, 0, 1, vcc_lo
	s_delay_alu instid0(VALU_DEP_1) | instskip(NEXT) | instid1(VALU_DEP_1)
	v_lshlrev_b32_e32 v3, 1, v3
	v_add_lshl_u32 v4, v3, v5, 2
	ds_bpermute_b32 v9, v4, v6
	ds_bpermute_b32 v3, v4, v1
	ds_bpermute_b32 v4, v4, v2
	v_cmpx_lt_u32_e64 v10, v8
	s_cbranch_execz .LBB1178_34
; %bb.33:
	s_waitcnt lgkmcnt(2)
	v_and_b32_e32 v6, 1, v9
	s_waitcnt lgkmcnt(0)
	v_cmp_lt_i64_e32 vcc_lo, v[3:4], v[1:2]
	s_delay_alu instid0(VALU_DEP_2) | instskip(SKIP_1) | instid1(VALU_DEP_2)
	v_cmp_eq_u32_e64 s2, 1, v6
	v_and_b32_e32 v6, 1, v7
	v_cndmask_b32_e64 v7, v7, 1, s2
	s_and_b32 vcc_lo, s2, vcc_lo
	s_delay_alu instid0(VALU_DEP_2) | instskip(SKIP_1) | instid1(VALU_DEP_2)
	v_cmp_eq_u32_e64 s2, 1, v6
	v_dual_cndmask_b32 v1, v1, v3 :: v_dual_cndmask_b32 v2, v2, v4
	v_cndmask_b32_e64 v7, v9, v7, s2
	s_delay_alu instid0(VALU_DEP_2) | instskip(NEXT) | instid1(VALU_DEP_3)
	v_cndmask_b32_e64 v1, v3, v1, s2
	v_cndmask_b32_e64 v2, v4, v2, s2
	s_delay_alu instid0(VALU_DEP_3)
	v_and_b32_e32 v6, 0xff, v7
.LBB1178_34:
	s_or_b32 exec_lo, exec_lo, s4
	v_cmp_gt_u32_e32 vcc_lo, 28, v5
	v_add_nc_u32_e32 v10, 4, v5
	s_mov_b32 s4, exec_lo
	s_waitcnt lgkmcnt(1)
	v_cndmask_b32_e64 v3, 0, 1, vcc_lo
	s_delay_alu instid0(VALU_DEP_1) | instskip(SKIP_1) | instid1(VALU_DEP_1)
	v_lshlrev_b32_e32 v3, 2, v3
	s_waitcnt lgkmcnt(0)
	v_add_lshl_u32 v4, v3, v5, 2
	ds_bpermute_b32 v9, v4, v6
	ds_bpermute_b32 v3, v4, v1
	ds_bpermute_b32 v4, v4, v2
	v_cmpx_lt_u32_e64 v10, v8
	s_cbranch_execz .LBB1178_36
; %bb.35:
	s_waitcnt lgkmcnt(2)
	v_and_b32_e32 v6, 1, v9
	s_waitcnt lgkmcnt(0)
	v_cmp_lt_i64_e32 vcc_lo, v[3:4], v[1:2]
	s_delay_alu instid0(VALU_DEP_2) | instskip(SKIP_1) | instid1(VALU_DEP_2)
	v_cmp_eq_u32_e64 s2, 1, v6
	v_and_b32_e32 v6, 1, v7
	v_cndmask_b32_e64 v7, v7, 1, s2
	s_and_b32 vcc_lo, s2, vcc_lo
	s_delay_alu instid0(VALU_DEP_2) | instskip(SKIP_1) | instid1(VALU_DEP_2)
	v_cmp_eq_u32_e64 s2, 1, v6
	v_dual_cndmask_b32 v1, v1, v3 :: v_dual_cndmask_b32 v2, v2, v4
	v_cndmask_b32_e64 v7, v9, v7, s2
	s_delay_alu instid0(VALU_DEP_2) | instskip(NEXT) | instid1(VALU_DEP_3)
	v_cndmask_b32_e64 v1, v3, v1, s2
	v_cndmask_b32_e64 v2, v4, v2, s2
	s_delay_alu instid0(VALU_DEP_3)
	v_and_b32_e32 v6, 0xff, v7
.LBB1178_36:
	s_or_b32 exec_lo, exec_lo, s4
	v_cmp_gt_u32_e32 vcc_lo, 24, v5
	v_add_nc_u32_e32 v10, 8, v5
	s_mov_b32 s4, exec_lo
	s_waitcnt lgkmcnt(1)
	v_cndmask_b32_e64 v3, 0, 1, vcc_lo
	s_delay_alu instid0(VALU_DEP_1) | instskip(SKIP_1) | instid1(VALU_DEP_1)
	v_lshlrev_b32_e32 v3, 3, v3
	s_waitcnt lgkmcnt(0)
	;; [unrolled: 35-line block ×3, first 2 shown]
	v_add_lshl_u32 v4, v3, v5, 2
	ds_bpermute_b32 v9, v4, v6
	ds_bpermute_b32 v3, v4, v1
	;; [unrolled: 1-line block ×3, first 2 shown]
	v_cmpx_lt_u32_e64 v10, v8
	s_cbranch_execz .LBB1178_40
; %bb.39:
	s_waitcnt lgkmcnt(2)
	v_and_b32_e32 v6, 1, v9
	s_waitcnt lgkmcnt(0)
	v_cmp_lt_i64_e32 vcc_lo, v[3:4], v[1:2]
	s_delay_alu instid0(VALU_DEP_2) | instskip(SKIP_1) | instid1(VALU_DEP_2)
	v_cmp_eq_u32_e64 s2, 1, v6
	v_and_b32_e32 v6, 1, v7
	v_cndmask_b32_e64 v7, v7, 1, s2
	s_and_b32 vcc_lo, s2, vcc_lo
	s_delay_alu instid0(VALU_DEP_2) | instskip(SKIP_1) | instid1(VALU_DEP_2)
	v_cmp_eq_u32_e64 s2, 1, v6
	v_dual_cndmask_b32 v1, v1, v3 :: v_dual_cndmask_b32 v2, v2, v4
	v_cndmask_b32_e64 v7, v9, v7, s2
	s_delay_alu instid0(VALU_DEP_2) | instskip(NEXT) | instid1(VALU_DEP_3)
	v_cndmask_b32_e64 v1, v3, v1, s2
	v_cndmask_b32_e64 v2, v4, v2, s2
	s_delay_alu instid0(VALU_DEP_3)
	v_and_b32_e32 v6, 0xff, v7
.LBB1178_40:
	s_or_b32 exec_lo, exec_lo, s4
	s_delay_alu instid0(SALU_CYCLE_1)
	s_mov_b32 s2, exec_lo
	v_cmpx_eq_u32_e32 0, v5
	s_cbranch_execz .LBB1178_42
; %bb.41:
	s_waitcnt lgkmcnt(1)
	v_lshrrev_b32_e32 v3, 1, v0
	s_delay_alu instid0(VALU_DEP_1)
	v_and_b32_e32 v3, 0x70, v3
	ds_store_b8 v3, v7 offset:128
	ds_store_b64 v3, v[1:2] offset:136
.LBB1178_42:
	s_or_b32 exec_lo, exec_lo, s2
	s_delay_alu instid0(SALU_CYCLE_1)
	s_mov_b32 s4, exec_lo
	s_waitcnt lgkmcnt(0)
	s_barrier
	buffer_gl0_inv
	v_cmpx_gt_u32_e32 8, v0
	s_cbranch_execz .LBB1178_50
; %bb.43:
	v_lshlrev_b32_e32 v1, 4, v5
	v_and_b32_e32 v8, 7, v5
	s_add_i32 s3, s3, 31
	s_mov_b32 s5, exec_lo
	s_lshr_b32 s3, s3, 5
	ds_load_u8 v7, v1 offset:128
	ds_load_b64 v[1:2], v1 offset:136
	v_cmp_ne_u32_e32 vcc_lo, 7, v8
	v_add_nc_u32_e32 v10, 1, v8
	v_add_co_ci_u32_e32 v3, vcc_lo, 0, v5, vcc_lo
	s_delay_alu instid0(VALU_DEP_1)
	v_lshlrev_b32_e32 v4, 2, v3
	s_waitcnt lgkmcnt(1)
	v_and_b32_e32 v6, 0xff, v7
	s_waitcnt lgkmcnt(0)
	ds_bpermute_b32 v3, v4, v1
	ds_bpermute_b32 v9, v4, v6
	;; [unrolled: 1-line block ×3, first 2 shown]
	v_cmpx_gt_u32_e64 s3, v10
	s_cbranch_execz .LBB1178_45
; %bb.44:
	s_waitcnt lgkmcnt(1)
	v_and_b32_e32 v6, 1, v9
	s_waitcnt lgkmcnt(0)
	v_cmp_lt_i64_e32 vcc_lo, v[3:4], v[1:2]
	s_delay_alu instid0(VALU_DEP_2) | instskip(SKIP_1) | instid1(VALU_DEP_2)
	v_cmp_eq_u32_e64 s2, 1, v6
	v_and_b32_e32 v6, 1, v7
	v_cndmask_b32_e64 v7, v7, 1, s2
	s_and_b32 vcc_lo, s2, vcc_lo
	s_delay_alu instid0(VALU_DEP_2) | instskip(SKIP_1) | instid1(VALU_DEP_2)
	v_cmp_eq_u32_e64 s2, 1, v6
	v_dual_cndmask_b32 v1, v1, v3 :: v_dual_cndmask_b32 v2, v2, v4
	v_cndmask_b32_e64 v7, v9, v7, s2
	s_delay_alu instid0(VALU_DEP_2) | instskip(NEXT) | instid1(VALU_DEP_3)
	v_cndmask_b32_e64 v1, v3, v1, s2
	v_cndmask_b32_e64 v2, v4, v2, s2
	s_delay_alu instid0(VALU_DEP_3)
	v_and_b32_e32 v6, 0xff, v7
.LBB1178_45:
	s_or_b32 exec_lo, exec_lo, s5
	v_cmp_gt_u32_e32 vcc_lo, 6, v8
	v_add_nc_u32_e32 v10, 2, v8
	s_mov_b32 s5, exec_lo
	s_waitcnt lgkmcnt(2)
	v_cndmask_b32_e64 v3, 0, 1, vcc_lo
	s_delay_alu instid0(VALU_DEP_1) | instskip(SKIP_1) | instid1(VALU_DEP_1)
	v_lshlrev_b32_e32 v3, 1, v3
	s_waitcnt lgkmcnt(0)
	v_add_lshl_u32 v4, v3, v5, 2
	ds_bpermute_b32 v9, v4, v6
	ds_bpermute_b32 v3, v4, v1
	;; [unrolled: 1-line block ×3, first 2 shown]
	v_cmpx_gt_u32_e64 s3, v10
	s_cbranch_execz .LBB1178_47
; %bb.46:
	s_waitcnt lgkmcnt(2)
	v_and_b32_e32 v6, 1, v9
	s_waitcnt lgkmcnt(0)
	v_cmp_lt_i64_e32 vcc_lo, v[3:4], v[1:2]
	s_delay_alu instid0(VALU_DEP_2) | instskip(SKIP_1) | instid1(VALU_DEP_2)
	v_cmp_eq_u32_e64 s2, 1, v6
	v_and_b32_e32 v6, 1, v7
	v_cndmask_b32_e64 v7, v7, 1, s2
	s_and_b32 vcc_lo, s2, vcc_lo
	s_delay_alu instid0(VALU_DEP_2) | instskip(SKIP_1) | instid1(VALU_DEP_2)
	v_cmp_eq_u32_e64 s2, 1, v6
	v_dual_cndmask_b32 v1, v1, v3 :: v_dual_cndmask_b32 v2, v2, v4
	v_cndmask_b32_e64 v7, v9, v7, s2
	s_delay_alu instid0(VALU_DEP_2) | instskip(NEXT) | instid1(VALU_DEP_3)
	v_cndmask_b32_e64 v1, v3, v1, s2
	v_cndmask_b32_e64 v2, v4, v2, s2
	s_delay_alu instid0(VALU_DEP_3)
	v_and_b32_e32 v6, 0xff, v7
.LBB1178_47:
	s_or_b32 exec_lo, exec_lo, s5
	v_cmp_gt_u32_e32 vcc_lo, 4, v8
	v_add_nc_u32_e32 v8, 4, v8
	s_waitcnt lgkmcnt(1)
	v_cndmask_b32_e64 v3, 0, 1, vcc_lo
	s_delay_alu instid0(VALU_DEP_2) | instskip(NEXT) | instid1(VALU_DEP_2)
	v_cmp_gt_u32_e32 vcc_lo, s3, v8
	v_lshlrev_b32_e32 v3, 2, v3
	s_waitcnt lgkmcnt(0)
	s_delay_alu instid0(VALU_DEP_1)
	v_add_lshl_u32 v4, v3, v5, 2
	ds_bpermute_b32 v5, v4, v6
	ds_bpermute_b32 v3, v4, v1
	;; [unrolled: 1-line block ×3, first 2 shown]
	s_and_saveexec_b32 s3, vcc_lo
	s_cbranch_execz .LBB1178_49
; %bb.48:
	s_waitcnt lgkmcnt(2)
	v_and_b32_e32 v6, 1, v5
	s_waitcnt lgkmcnt(0)
	v_cmp_lt_i64_e32 vcc_lo, v[3:4], v[1:2]
	s_delay_alu instid0(VALU_DEP_2) | instskip(SKIP_1) | instid1(VALU_DEP_2)
	v_cmp_eq_u32_e64 s2, 1, v6
	v_and_b32_e32 v6, 1, v7
	v_cndmask_b32_e64 v7, v7, 1, s2
	s_and_b32 vcc_lo, s2, vcc_lo
	s_delay_alu instid0(VALU_DEP_2) | instskip(SKIP_1) | instid1(VALU_DEP_2)
	v_cmp_eq_u32_e64 s2, 1, v6
	v_dual_cndmask_b32 v1, v1, v3 :: v_dual_cndmask_b32 v2, v2, v4
	v_cndmask_b32_e64 v5, v5, v7, s2
	s_delay_alu instid0(VALU_DEP_2) | instskip(NEXT) | instid1(VALU_DEP_3)
	v_cndmask_b32_e64 v1, v3, v1, s2
	v_cndmask_b32_e64 v2, v4, v2, s2
	s_delay_alu instid0(VALU_DEP_3)
	v_and_b32_e32 v6, 0xff, v5
.LBB1178_49:
	s_or_b32 exec_lo, exec_lo, s3
.LBB1178_50:
	s_delay_alu instid0(SALU_CYCLE_1)
	s_or_b32 exec_lo, exec_lo, s4
.LBB1178_51:
	s_load_b32 s0, s[0:1], 0x30
	s_mov_b32 s1, exec_lo
	v_cmpx_eq_u32_e32 0, v0
	s_cbranch_execz .LBB1178_53
; %bb.52:
	s_mul_i32 s1, s14, s13
	s_mul_hi_u32 s2, s14, s12
	s_mul_i32 s3, s15, s12
	s_add_i32 s1, s2, s1
	s_mul_i32 s2, s14, s12
	s_add_i32 s3, s1, s3
	v_mov_b32_e32 v0, 0
	s_lshl_b64 s[2:3], s[2:3], 4
	s_delay_alu instid0(SALU_CYCLE_1)
	s_add_u32 s1, s10, s2
	s_addc_u32 s4, s11, s3
	s_cmp_eq_u64 s[8:9], 0
	s_cselect_b32 s5, -1, 0
	s_lshl_b64 s[2:3], s[16:17], 4
	s_waitcnt lgkmcnt(0)
	v_cndmask_b32_e64 v3, v6, s0, s5
	v_cndmask_b32_e64 v2, v2, s7, s5
	;; [unrolled: 1-line block ×3, first 2 shown]
	s_add_u32 s0, s1, s2
	s_addc_u32 s1, s4, s3
	s_clause 0x1
	global_store_b8 v0, v3, s[0:1]
	global_store_b64 v0, v[1:2], s[0:1] offset:8
.LBB1178_53:
	s_nop 0
	s_sendmsg sendmsg(MSG_DEALLOC_VGPRS)
	s_endpgm
.LBB1178_54:
	v_lshlrev_b32_e32 v3, 4, v13
	s_clause 0x1
	global_load_u8 v10, v3, s[4:5]
	global_load_b64 v[3:4], v3, s[4:5] offset:8
	s_or_b32 exec_lo, exec_lo, s19
	s_and_saveexec_b32 s5, s3
	s_cbranch_execz .LBB1178_27
.LBB1178_55:
	s_waitcnt vmcnt(1)
	v_and_b32_e32 v13, 1, v11
	s_waitcnt vmcnt(0)
	v_cmp_lt_i64_e64 s3, v[5:6], v[1:2]
	s_delay_alu instid0(VALU_DEP_2) | instskip(SKIP_1) | instid1(VALU_DEP_2)
	v_cmp_eq_u32_e64 s4, 1, v13
	v_and_b32_e32 v13, 1, v9
	s_and_b32 s3, s4, s3
	v_cndmask_b32_e64 v9, v9, 1, s4
	v_cndmask_b32_e64 v1, v1, v5, s3
	;; [unrolled: 1-line block ×3, first 2 shown]
	v_cmp_eq_u32_e64 s3, 1, v13
	s_delay_alu instid0(VALU_DEP_1) | instskip(NEXT) | instid1(VALU_DEP_3)
	v_cndmask_b32_e64 v9, v11, v9, s3
	v_cndmask_b32_e64 v2, v6, v2, s3
	;; [unrolled: 1-line block ×3, first 2 shown]
	s_or_b32 exec_lo, exec_lo, s5
	s_and_saveexec_b32 s4, s2
	s_cbranch_execz .LBB1178_28
.LBB1178_56:
	s_waitcnt vmcnt(0)
	v_and_b32_e32 v5, 1, v12
	v_cmp_lt_i64_e64 s2, v[7:8], v[1:2]
	s_delay_alu instid0(VALU_DEP_2) | instskip(SKIP_1) | instid1(VALU_DEP_2)
	v_cmp_eq_u32_e64 s3, 1, v5
	v_and_b32_e32 v5, 1, v9
	s_and_b32 s2, s3, s2
	v_cndmask_b32_e64 v6, v9, 1, s3
	v_cndmask_b32_e64 v1, v1, v7, s2
	;; [unrolled: 1-line block ×3, first 2 shown]
	v_cmp_eq_u32_e64 s2, 1, v5
	s_delay_alu instid0(VALU_DEP_1) | instskip(NEXT) | instid1(VALU_DEP_3)
	v_cndmask_b32_e64 v9, v12, v6, s2
	v_cndmask_b32_e64 v2, v8, v2, s2
	v_cndmask_b32_e64 v1, v7, v1, s2
	s_or_b32 exec_lo, exec_lo, s4
	s_and_saveexec_b32 s3, vcc_lo
	s_cbranch_execnz .LBB1178_29
	s_branch .LBB1178_30
	.section	.rodata,"a",@progbits
	.p2align	6, 0x0
	.amdhsa_kernel _ZN7rocprim17ROCPRIM_400000_NS6detail17trampoline_kernelINS0_14default_configENS1_22reduce_config_selectorIN6thrust23THRUST_200600_302600_NS5tupleIblNS6_9null_typeES8_S8_S8_S8_S8_S8_S8_EEEEZNS1_11reduce_implILb1ES3_PS9_SC_S9_NS6_11hip_rocprim9__find_if7functorIS9_EEEE10hipError_tPvRmT1_T2_T3_mT4_P12ihipStream_tbEUlT_E0_NS1_11comp_targetILNS1_3genE9ELNS1_11target_archE1100ELNS1_3gpuE3ELNS1_3repE0EEENS1_30default_config_static_selectorELNS0_4arch9wavefront6targetE0EEEvSK_
		.amdhsa_group_segment_fixed_size 256
		.amdhsa_private_segment_fixed_size 0
		.amdhsa_kernarg_size 72
		.amdhsa_user_sgpr_count 15
		.amdhsa_user_sgpr_dispatch_ptr 0
		.amdhsa_user_sgpr_queue_ptr 0
		.amdhsa_user_sgpr_kernarg_segment_ptr 1
		.amdhsa_user_sgpr_dispatch_id 0
		.amdhsa_user_sgpr_private_segment_size 0
		.amdhsa_wavefront_size32 1
		.amdhsa_uses_dynamic_stack 0
		.amdhsa_enable_private_segment 0
		.amdhsa_system_sgpr_workgroup_id_x 1
		.amdhsa_system_sgpr_workgroup_id_y 0
		.amdhsa_system_sgpr_workgroup_id_z 0
		.amdhsa_system_sgpr_workgroup_info 0
		.amdhsa_system_vgpr_workitem_id 0
		.amdhsa_next_free_vgpr 16
		.amdhsa_next_free_sgpr 20
		.amdhsa_reserve_vcc 1
		.amdhsa_float_round_mode_32 0
		.amdhsa_float_round_mode_16_64 0
		.amdhsa_float_denorm_mode_32 3
		.amdhsa_float_denorm_mode_16_64 3
		.amdhsa_dx10_clamp 1
		.amdhsa_ieee_mode 1
		.amdhsa_fp16_overflow 0
		.amdhsa_workgroup_processor_mode 1
		.amdhsa_memory_ordered 1
		.amdhsa_forward_progress 0
		.amdhsa_shared_vgpr_count 0
		.amdhsa_exception_fp_ieee_invalid_op 0
		.amdhsa_exception_fp_denorm_src 0
		.amdhsa_exception_fp_ieee_div_zero 0
		.amdhsa_exception_fp_ieee_overflow 0
		.amdhsa_exception_fp_ieee_underflow 0
		.amdhsa_exception_fp_ieee_inexact 0
		.amdhsa_exception_int_div_zero 0
	.end_amdhsa_kernel
	.section	.text._ZN7rocprim17ROCPRIM_400000_NS6detail17trampoline_kernelINS0_14default_configENS1_22reduce_config_selectorIN6thrust23THRUST_200600_302600_NS5tupleIblNS6_9null_typeES8_S8_S8_S8_S8_S8_S8_EEEEZNS1_11reduce_implILb1ES3_PS9_SC_S9_NS6_11hip_rocprim9__find_if7functorIS9_EEEE10hipError_tPvRmT1_T2_T3_mT4_P12ihipStream_tbEUlT_E0_NS1_11comp_targetILNS1_3genE9ELNS1_11target_archE1100ELNS1_3gpuE3ELNS1_3repE0EEENS1_30default_config_static_selectorELNS0_4arch9wavefront6targetE0EEEvSK_,"axG",@progbits,_ZN7rocprim17ROCPRIM_400000_NS6detail17trampoline_kernelINS0_14default_configENS1_22reduce_config_selectorIN6thrust23THRUST_200600_302600_NS5tupleIblNS6_9null_typeES8_S8_S8_S8_S8_S8_S8_EEEEZNS1_11reduce_implILb1ES3_PS9_SC_S9_NS6_11hip_rocprim9__find_if7functorIS9_EEEE10hipError_tPvRmT1_T2_T3_mT4_P12ihipStream_tbEUlT_E0_NS1_11comp_targetILNS1_3genE9ELNS1_11target_archE1100ELNS1_3gpuE3ELNS1_3repE0EEENS1_30default_config_static_selectorELNS0_4arch9wavefront6targetE0EEEvSK_,comdat
.Lfunc_end1178:
	.size	_ZN7rocprim17ROCPRIM_400000_NS6detail17trampoline_kernelINS0_14default_configENS1_22reduce_config_selectorIN6thrust23THRUST_200600_302600_NS5tupleIblNS6_9null_typeES8_S8_S8_S8_S8_S8_S8_EEEEZNS1_11reduce_implILb1ES3_PS9_SC_S9_NS6_11hip_rocprim9__find_if7functorIS9_EEEE10hipError_tPvRmT1_T2_T3_mT4_P12ihipStream_tbEUlT_E0_NS1_11comp_targetILNS1_3genE9ELNS1_11target_archE1100ELNS1_3gpuE3ELNS1_3repE0EEENS1_30default_config_static_selectorELNS0_4arch9wavefront6targetE0EEEvSK_, .Lfunc_end1178-_ZN7rocprim17ROCPRIM_400000_NS6detail17trampoline_kernelINS0_14default_configENS1_22reduce_config_selectorIN6thrust23THRUST_200600_302600_NS5tupleIblNS6_9null_typeES8_S8_S8_S8_S8_S8_S8_EEEEZNS1_11reduce_implILb1ES3_PS9_SC_S9_NS6_11hip_rocprim9__find_if7functorIS9_EEEE10hipError_tPvRmT1_T2_T3_mT4_P12ihipStream_tbEUlT_E0_NS1_11comp_targetILNS1_3genE9ELNS1_11target_archE1100ELNS1_3gpuE3ELNS1_3repE0EEENS1_30default_config_static_selectorELNS0_4arch9wavefront6targetE0EEEvSK_
                                        ; -- End function
	.section	.AMDGPU.csdata,"",@progbits
; Kernel info:
; codeLenInByte = 4120
; NumSgprs: 22
; NumVgprs: 16
; ScratchSize: 0
; MemoryBound: 0
; FloatMode: 240
; IeeeMode: 1
; LDSByteSize: 256 bytes/workgroup (compile time only)
; SGPRBlocks: 2
; VGPRBlocks: 1
; NumSGPRsForWavesPerEU: 22
; NumVGPRsForWavesPerEU: 16
; Occupancy: 16
; WaveLimiterHint : 1
; COMPUTE_PGM_RSRC2:SCRATCH_EN: 0
; COMPUTE_PGM_RSRC2:USER_SGPR: 15
; COMPUTE_PGM_RSRC2:TRAP_HANDLER: 0
; COMPUTE_PGM_RSRC2:TGID_X_EN: 1
; COMPUTE_PGM_RSRC2:TGID_Y_EN: 0
; COMPUTE_PGM_RSRC2:TGID_Z_EN: 0
; COMPUTE_PGM_RSRC2:TIDIG_COMP_CNT: 0
	.section	.text._ZN7rocprim17ROCPRIM_400000_NS6detail17trampoline_kernelINS0_14default_configENS1_22reduce_config_selectorIN6thrust23THRUST_200600_302600_NS5tupleIblNS6_9null_typeES8_S8_S8_S8_S8_S8_S8_EEEEZNS1_11reduce_implILb1ES3_PS9_SC_S9_NS6_11hip_rocprim9__find_if7functorIS9_EEEE10hipError_tPvRmT1_T2_T3_mT4_P12ihipStream_tbEUlT_E0_NS1_11comp_targetILNS1_3genE8ELNS1_11target_archE1030ELNS1_3gpuE2ELNS1_3repE0EEENS1_30default_config_static_selectorELNS0_4arch9wavefront6targetE0EEEvSK_,"axG",@progbits,_ZN7rocprim17ROCPRIM_400000_NS6detail17trampoline_kernelINS0_14default_configENS1_22reduce_config_selectorIN6thrust23THRUST_200600_302600_NS5tupleIblNS6_9null_typeES8_S8_S8_S8_S8_S8_S8_EEEEZNS1_11reduce_implILb1ES3_PS9_SC_S9_NS6_11hip_rocprim9__find_if7functorIS9_EEEE10hipError_tPvRmT1_T2_T3_mT4_P12ihipStream_tbEUlT_E0_NS1_11comp_targetILNS1_3genE8ELNS1_11target_archE1030ELNS1_3gpuE2ELNS1_3repE0EEENS1_30default_config_static_selectorELNS0_4arch9wavefront6targetE0EEEvSK_,comdat
	.protected	_ZN7rocprim17ROCPRIM_400000_NS6detail17trampoline_kernelINS0_14default_configENS1_22reduce_config_selectorIN6thrust23THRUST_200600_302600_NS5tupleIblNS6_9null_typeES8_S8_S8_S8_S8_S8_S8_EEEEZNS1_11reduce_implILb1ES3_PS9_SC_S9_NS6_11hip_rocprim9__find_if7functorIS9_EEEE10hipError_tPvRmT1_T2_T3_mT4_P12ihipStream_tbEUlT_E0_NS1_11comp_targetILNS1_3genE8ELNS1_11target_archE1030ELNS1_3gpuE2ELNS1_3repE0EEENS1_30default_config_static_selectorELNS0_4arch9wavefront6targetE0EEEvSK_ ; -- Begin function _ZN7rocprim17ROCPRIM_400000_NS6detail17trampoline_kernelINS0_14default_configENS1_22reduce_config_selectorIN6thrust23THRUST_200600_302600_NS5tupleIblNS6_9null_typeES8_S8_S8_S8_S8_S8_S8_EEEEZNS1_11reduce_implILb1ES3_PS9_SC_S9_NS6_11hip_rocprim9__find_if7functorIS9_EEEE10hipError_tPvRmT1_T2_T3_mT4_P12ihipStream_tbEUlT_E0_NS1_11comp_targetILNS1_3genE8ELNS1_11target_archE1030ELNS1_3gpuE2ELNS1_3repE0EEENS1_30default_config_static_selectorELNS0_4arch9wavefront6targetE0EEEvSK_
	.globl	_ZN7rocprim17ROCPRIM_400000_NS6detail17trampoline_kernelINS0_14default_configENS1_22reduce_config_selectorIN6thrust23THRUST_200600_302600_NS5tupleIblNS6_9null_typeES8_S8_S8_S8_S8_S8_S8_EEEEZNS1_11reduce_implILb1ES3_PS9_SC_S9_NS6_11hip_rocprim9__find_if7functorIS9_EEEE10hipError_tPvRmT1_T2_T3_mT4_P12ihipStream_tbEUlT_E0_NS1_11comp_targetILNS1_3genE8ELNS1_11target_archE1030ELNS1_3gpuE2ELNS1_3repE0EEENS1_30default_config_static_selectorELNS0_4arch9wavefront6targetE0EEEvSK_
	.p2align	8
	.type	_ZN7rocprim17ROCPRIM_400000_NS6detail17trampoline_kernelINS0_14default_configENS1_22reduce_config_selectorIN6thrust23THRUST_200600_302600_NS5tupleIblNS6_9null_typeES8_S8_S8_S8_S8_S8_S8_EEEEZNS1_11reduce_implILb1ES3_PS9_SC_S9_NS6_11hip_rocprim9__find_if7functorIS9_EEEE10hipError_tPvRmT1_T2_T3_mT4_P12ihipStream_tbEUlT_E0_NS1_11comp_targetILNS1_3genE8ELNS1_11target_archE1030ELNS1_3gpuE2ELNS1_3repE0EEENS1_30default_config_static_selectorELNS0_4arch9wavefront6targetE0EEEvSK_,@function
_ZN7rocprim17ROCPRIM_400000_NS6detail17trampoline_kernelINS0_14default_configENS1_22reduce_config_selectorIN6thrust23THRUST_200600_302600_NS5tupleIblNS6_9null_typeES8_S8_S8_S8_S8_S8_S8_EEEEZNS1_11reduce_implILb1ES3_PS9_SC_S9_NS6_11hip_rocprim9__find_if7functorIS9_EEEE10hipError_tPvRmT1_T2_T3_mT4_P12ihipStream_tbEUlT_E0_NS1_11comp_targetILNS1_3genE8ELNS1_11target_archE1030ELNS1_3gpuE2ELNS1_3repE0EEENS1_30default_config_static_selectorELNS0_4arch9wavefront6targetE0EEEvSK_: ; @_ZN7rocprim17ROCPRIM_400000_NS6detail17trampoline_kernelINS0_14default_configENS1_22reduce_config_selectorIN6thrust23THRUST_200600_302600_NS5tupleIblNS6_9null_typeES8_S8_S8_S8_S8_S8_S8_EEEEZNS1_11reduce_implILb1ES3_PS9_SC_S9_NS6_11hip_rocprim9__find_if7functorIS9_EEEE10hipError_tPvRmT1_T2_T3_mT4_P12ihipStream_tbEUlT_E0_NS1_11comp_targetILNS1_3genE8ELNS1_11target_archE1030ELNS1_3gpuE2ELNS1_3repE0EEENS1_30default_config_static_selectorELNS0_4arch9wavefront6targetE0EEEvSK_
; %bb.0:
	.section	.rodata,"a",@progbits
	.p2align	6, 0x0
	.amdhsa_kernel _ZN7rocprim17ROCPRIM_400000_NS6detail17trampoline_kernelINS0_14default_configENS1_22reduce_config_selectorIN6thrust23THRUST_200600_302600_NS5tupleIblNS6_9null_typeES8_S8_S8_S8_S8_S8_S8_EEEEZNS1_11reduce_implILb1ES3_PS9_SC_S9_NS6_11hip_rocprim9__find_if7functorIS9_EEEE10hipError_tPvRmT1_T2_T3_mT4_P12ihipStream_tbEUlT_E0_NS1_11comp_targetILNS1_3genE8ELNS1_11target_archE1030ELNS1_3gpuE2ELNS1_3repE0EEENS1_30default_config_static_selectorELNS0_4arch9wavefront6targetE0EEEvSK_
		.amdhsa_group_segment_fixed_size 0
		.amdhsa_private_segment_fixed_size 0
		.amdhsa_kernarg_size 72
		.amdhsa_user_sgpr_count 15
		.amdhsa_user_sgpr_dispatch_ptr 0
		.amdhsa_user_sgpr_queue_ptr 0
		.amdhsa_user_sgpr_kernarg_segment_ptr 1
		.amdhsa_user_sgpr_dispatch_id 0
		.amdhsa_user_sgpr_private_segment_size 0
		.amdhsa_wavefront_size32 1
		.amdhsa_uses_dynamic_stack 0
		.amdhsa_enable_private_segment 0
		.amdhsa_system_sgpr_workgroup_id_x 1
		.amdhsa_system_sgpr_workgroup_id_y 0
		.amdhsa_system_sgpr_workgroup_id_z 0
		.amdhsa_system_sgpr_workgroup_info 0
		.amdhsa_system_vgpr_workitem_id 0
		.amdhsa_next_free_vgpr 1
		.amdhsa_next_free_sgpr 1
		.amdhsa_reserve_vcc 0
		.amdhsa_float_round_mode_32 0
		.amdhsa_float_round_mode_16_64 0
		.amdhsa_float_denorm_mode_32 3
		.amdhsa_float_denorm_mode_16_64 3
		.amdhsa_dx10_clamp 1
		.amdhsa_ieee_mode 1
		.amdhsa_fp16_overflow 0
		.amdhsa_workgroup_processor_mode 1
		.amdhsa_memory_ordered 1
		.amdhsa_forward_progress 0
		.amdhsa_shared_vgpr_count 0
		.amdhsa_exception_fp_ieee_invalid_op 0
		.amdhsa_exception_fp_denorm_src 0
		.amdhsa_exception_fp_ieee_div_zero 0
		.amdhsa_exception_fp_ieee_overflow 0
		.amdhsa_exception_fp_ieee_underflow 0
		.amdhsa_exception_fp_ieee_inexact 0
		.amdhsa_exception_int_div_zero 0
	.end_amdhsa_kernel
	.section	.text._ZN7rocprim17ROCPRIM_400000_NS6detail17trampoline_kernelINS0_14default_configENS1_22reduce_config_selectorIN6thrust23THRUST_200600_302600_NS5tupleIblNS6_9null_typeES8_S8_S8_S8_S8_S8_S8_EEEEZNS1_11reduce_implILb1ES3_PS9_SC_S9_NS6_11hip_rocprim9__find_if7functorIS9_EEEE10hipError_tPvRmT1_T2_T3_mT4_P12ihipStream_tbEUlT_E0_NS1_11comp_targetILNS1_3genE8ELNS1_11target_archE1030ELNS1_3gpuE2ELNS1_3repE0EEENS1_30default_config_static_selectorELNS0_4arch9wavefront6targetE0EEEvSK_,"axG",@progbits,_ZN7rocprim17ROCPRIM_400000_NS6detail17trampoline_kernelINS0_14default_configENS1_22reduce_config_selectorIN6thrust23THRUST_200600_302600_NS5tupleIblNS6_9null_typeES8_S8_S8_S8_S8_S8_S8_EEEEZNS1_11reduce_implILb1ES3_PS9_SC_S9_NS6_11hip_rocprim9__find_if7functorIS9_EEEE10hipError_tPvRmT1_T2_T3_mT4_P12ihipStream_tbEUlT_E0_NS1_11comp_targetILNS1_3genE8ELNS1_11target_archE1030ELNS1_3gpuE2ELNS1_3repE0EEENS1_30default_config_static_selectorELNS0_4arch9wavefront6targetE0EEEvSK_,comdat
.Lfunc_end1179:
	.size	_ZN7rocprim17ROCPRIM_400000_NS6detail17trampoline_kernelINS0_14default_configENS1_22reduce_config_selectorIN6thrust23THRUST_200600_302600_NS5tupleIblNS6_9null_typeES8_S8_S8_S8_S8_S8_S8_EEEEZNS1_11reduce_implILb1ES3_PS9_SC_S9_NS6_11hip_rocprim9__find_if7functorIS9_EEEE10hipError_tPvRmT1_T2_T3_mT4_P12ihipStream_tbEUlT_E0_NS1_11comp_targetILNS1_3genE8ELNS1_11target_archE1030ELNS1_3gpuE2ELNS1_3repE0EEENS1_30default_config_static_selectorELNS0_4arch9wavefront6targetE0EEEvSK_, .Lfunc_end1179-_ZN7rocprim17ROCPRIM_400000_NS6detail17trampoline_kernelINS0_14default_configENS1_22reduce_config_selectorIN6thrust23THRUST_200600_302600_NS5tupleIblNS6_9null_typeES8_S8_S8_S8_S8_S8_S8_EEEEZNS1_11reduce_implILb1ES3_PS9_SC_S9_NS6_11hip_rocprim9__find_if7functorIS9_EEEE10hipError_tPvRmT1_T2_T3_mT4_P12ihipStream_tbEUlT_E0_NS1_11comp_targetILNS1_3genE8ELNS1_11target_archE1030ELNS1_3gpuE2ELNS1_3repE0EEENS1_30default_config_static_selectorELNS0_4arch9wavefront6targetE0EEEvSK_
                                        ; -- End function
	.section	.AMDGPU.csdata,"",@progbits
; Kernel info:
; codeLenInByte = 0
; NumSgprs: 0
; NumVgprs: 0
; ScratchSize: 0
; MemoryBound: 0
; FloatMode: 240
; IeeeMode: 1
; LDSByteSize: 0 bytes/workgroup (compile time only)
; SGPRBlocks: 0
; VGPRBlocks: 0
; NumSGPRsForWavesPerEU: 1
; NumVGPRsForWavesPerEU: 1
; Occupancy: 16
; WaveLimiterHint : 0
; COMPUTE_PGM_RSRC2:SCRATCH_EN: 0
; COMPUTE_PGM_RSRC2:USER_SGPR: 15
; COMPUTE_PGM_RSRC2:TRAP_HANDLER: 0
; COMPUTE_PGM_RSRC2:TGID_X_EN: 1
; COMPUTE_PGM_RSRC2:TGID_Y_EN: 0
; COMPUTE_PGM_RSRC2:TGID_Z_EN: 0
; COMPUTE_PGM_RSRC2:TIDIG_COMP_CNT: 0
	.section	.text._ZN7rocprim17ROCPRIM_400000_NS6detail17trampoline_kernelINS0_14default_configENS1_22reduce_config_selectorIN6thrust23THRUST_200600_302600_NS5tupleIblNS6_9null_typeES8_S8_S8_S8_S8_S8_S8_EEEEZNS1_11reduce_implILb1ES3_PS9_SC_S9_NS6_11hip_rocprim9__find_if7functorIS9_EEEE10hipError_tPvRmT1_T2_T3_mT4_P12ihipStream_tbEUlT_E1_NS1_11comp_targetILNS1_3genE0ELNS1_11target_archE4294967295ELNS1_3gpuE0ELNS1_3repE0EEENS1_30default_config_static_selectorELNS0_4arch9wavefront6targetE0EEEvSK_,"axG",@progbits,_ZN7rocprim17ROCPRIM_400000_NS6detail17trampoline_kernelINS0_14default_configENS1_22reduce_config_selectorIN6thrust23THRUST_200600_302600_NS5tupleIblNS6_9null_typeES8_S8_S8_S8_S8_S8_S8_EEEEZNS1_11reduce_implILb1ES3_PS9_SC_S9_NS6_11hip_rocprim9__find_if7functorIS9_EEEE10hipError_tPvRmT1_T2_T3_mT4_P12ihipStream_tbEUlT_E1_NS1_11comp_targetILNS1_3genE0ELNS1_11target_archE4294967295ELNS1_3gpuE0ELNS1_3repE0EEENS1_30default_config_static_selectorELNS0_4arch9wavefront6targetE0EEEvSK_,comdat
	.protected	_ZN7rocprim17ROCPRIM_400000_NS6detail17trampoline_kernelINS0_14default_configENS1_22reduce_config_selectorIN6thrust23THRUST_200600_302600_NS5tupleIblNS6_9null_typeES8_S8_S8_S8_S8_S8_S8_EEEEZNS1_11reduce_implILb1ES3_PS9_SC_S9_NS6_11hip_rocprim9__find_if7functorIS9_EEEE10hipError_tPvRmT1_T2_T3_mT4_P12ihipStream_tbEUlT_E1_NS1_11comp_targetILNS1_3genE0ELNS1_11target_archE4294967295ELNS1_3gpuE0ELNS1_3repE0EEENS1_30default_config_static_selectorELNS0_4arch9wavefront6targetE0EEEvSK_ ; -- Begin function _ZN7rocprim17ROCPRIM_400000_NS6detail17trampoline_kernelINS0_14default_configENS1_22reduce_config_selectorIN6thrust23THRUST_200600_302600_NS5tupleIblNS6_9null_typeES8_S8_S8_S8_S8_S8_S8_EEEEZNS1_11reduce_implILb1ES3_PS9_SC_S9_NS6_11hip_rocprim9__find_if7functorIS9_EEEE10hipError_tPvRmT1_T2_T3_mT4_P12ihipStream_tbEUlT_E1_NS1_11comp_targetILNS1_3genE0ELNS1_11target_archE4294967295ELNS1_3gpuE0ELNS1_3repE0EEENS1_30default_config_static_selectorELNS0_4arch9wavefront6targetE0EEEvSK_
	.globl	_ZN7rocprim17ROCPRIM_400000_NS6detail17trampoline_kernelINS0_14default_configENS1_22reduce_config_selectorIN6thrust23THRUST_200600_302600_NS5tupleIblNS6_9null_typeES8_S8_S8_S8_S8_S8_S8_EEEEZNS1_11reduce_implILb1ES3_PS9_SC_S9_NS6_11hip_rocprim9__find_if7functorIS9_EEEE10hipError_tPvRmT1_T2_T3_mT4_P12ihipStream_tbEUlT_E1_NS1_11comp_targetILNS1_3genE0ELNS1_11target_archE4294967295ELNS1_3gpuE0ELNS1_3repE0EEENS1_30default_config_static_selectorELNS0_4arch9wavefront6targetE0EEEvSK_
	.p2align	8
	.type	_ZN7rocprim17ROCPRIM_400000_NS6detail17trampoline_kernelINS0_14default_configENS1_22reduce_config_selectorIN6thrust23THRUST_200600_302600_NS5tupleIblNS6_9null_typeES8_S8_S8_S8_S8_S8_S8_EEEEZNS1_11reduce_implILb1ES3_PS9_SC_S9_NS6_11hip_rocprim9__find_if7functorIS9_EEEE10hipError_tPvRmT1_T2_T3_mT4_P12ihipStream_tbEUlT_E1_NS1_11comp_targetILNS1_3genE0ELNS1_11target_archE4294967295ELNS1_3gpuE0ELNS1_3repE0EEENS1_30default_config_static_selectorELNS0_4arch9wavefront6targetE0EEEvSK_,@function
_ZN7rocprim17ROCPRIM_400000_NS6detail17trampoline_kernelINS0_14default_configENS1_22reduce_config_selectorIN6thrust23THRUST_200600_302600_NS5tupleIblNS6_9null_typeES8_S8_S8_S8_S8_S8_S8_EEEEZNS1_11reduce_implILb1ES3_PS9_SC_S9_NS6_11hip_rocprim9__find_if7functorIS9_EEEE10hipError_tPvRmT1_T2_T3_mT4_P12ihipStream_tbEUlT_E1_NS1_11comp_targetILNS1_3genE0ELNS1_11target_archE4294967295ELNS1_3gpuE0ELNS1_3repE0EEENS1_30default_config_static_selectorELNS0_4arch9wavefront6targetE0EEEvSK_: ; @_ZN7rocprim17ROCPRIM_400000_NS6detail17trampoline_kernelINS0_14default_configENS1_22reduce_config_selectorIN6thrust23THRUST_200600_302600_NS5tupleIblNS6_9null_typeES8_S8_S8_S8_S8_S8_S8_EEEEZNS1_11reduce_implILb1ES3_PS9_SC_S9_NS6_11hip_rocprim9__find_if7functorIS9_EEEE10hipError_tPvRmT1_T2_T3_mT4_P12ihipStream_tbEUlT_E1_NS1_11comp_targetILNS1_3genE0ELNS1_11target_archE4294967295ELNS1_3gpuE0ELNS1_3repE0EEENS1_30default_config_static_selectorELNS0_4arch9wavefront6targetE0EEEvSK_
; %bb.0:
	.section	.rodata,"a",@progbits
	.p2align	6, 0x0
	.amdhsa_kernel _ZN7rocprim17ROCPRIM_400000_NS6detail17trampoline_kernelINS0_14default_configENS1_22reduce_config_selectorIN6thrust23THRUST_200600_302600_NS5tupleIblNS6_9null_typeES8_S8_S8_S8_S8_S8_S8_EEEEZNS1_11reduce_implILb1ES3_PS9_SC_S9_NS6_11hip_rocprim9__find_if7functorIS9_EEEE10hipError_tPvRmT1_T2_T3_mT4_P12ihipStream_tbEUlT_E1_NS1_11comp_targetILNS1_3genE0ELNS1_11target_archE4294967295ELNS1_3gpuE0ELNS1_3repE0EEENS1_30default_config_static_selectorELNS0_4arch9wavefront6targetE0EEEvSK_
		.amdhsa_group_segment_fixed_size 0
		.amdhsa_private_segment_fixed_size 0
		.amdhsa_kernarg_size 56
		.amdhsa_user_sgpr_count 15
		.amdhsa_user_sgpr_dispatch_ptr 0
		.amdhsa_user_sgpr_queue_ptr 0
		.amdhsa_user_sgpr_kernarg_segment_ptr 1
		.amdhsa_user_sgpr_dispatch_id 0
		.amdhsa_user_sgpr_private_segment_size 0
		.amdhsa_wavefront_size32 1
		.amdhsa_uses_dynamic_stack 0
		.amdhsa_enable_private_segment 0
		.amdhsa_system_sgpr_workgroup_id_x 1
		.amdhsa_system_sgpr_workgroup_id_y 0
		.amdhsa_system_sgpr_workgroup_id_z 0
		.amdhsa_system_sgpr_workgroup_info 0
		.amdhsa_system_vgpr_workitem_id 0
		.amdhsa_next_free_vgpr 1
		.amdhsa_next_free_sgpr 1
		.amdhsa_reserve_vcc 0
		.amdhsa_float_round_mode_32 0
		.amdhsa_float_round_mode_16_64 0
		.amdhsa_float_denorm_mode_32 3
		.amdhsa_float_denorm_mode_16_64 3
		.amdhsa_dx10_clamp 1
		.amdhsa_ieee_mode 1
		.amdhsa_fp16_overflow 0
		.amdhsa_workgroup_processor_mode 1
		.amdhsa_memory_ordered 1
		.amdhsa_forward_progress 0
		.amdhsa_shared_vgpr_count 0
		.amdhsa_exception_fp_ieee_invalid_op 0
		.amdhsa_exception_fp_denorm_src 0
		.amdhsa_exception_fp_ieee_div_zero 0
		.amdhsa_exception_fp_ieee_overflow 0
		.amdhsa_exception_fp_ieee_underflow 0
		.amdhsa_exception_fp_ieee_inexact 0
		.amdhsa_exception_int_div_zero 0
	.end_amdhsa_kernel
	.section	.text._ZN7rocprim17ROCPRIM_400000_NS6detail17trampoline_kernelINS0_14default_configENS1_22reduce_config_selectorIN6thrust23THRUST_200600_302600_NS5tupleIblNS6_9null_typeES8_S8_S8_S8_S8_S8_S8_EEEEZNS1_11reduce_implILb1ES3_PS9_SC_S9_NS6_11hip_rocprim9__find_if7functorIS9_EEEE10hipError_tPvRmT1_T2_T3_mT4_P12ihipStream_tbEUlT_E1_NS1_11comp_targetILNS1_3genE0ELNS1_11target_archE4294967295ELNS1_3gpuE0ELNS1_3repE0EEENS1_30default_config_static_selectorELNS0_4arch9wavefront6targetE0EEEvSK_,"axG",@progbits,_ZN7rocprim17ROCPRIM_400000_NS6detail17trampoline_kernelINS0_14default_configENS1_22reduce_config_selectorIN6thrust23THRUST_200600_302600_NS5tupleIblNS6_9null_typeES8_S8_S8_S8_S8_S8_S8_EEEEZNS1_11reduce_implILb1ES3_PS9_SC_S9_NS6_11hip_rocprim9__find_if7functorIS9_EEEE10hipError_tPvRmT1_T2_T3_mT4_P12ihipStream_tbEUlT_E1_NS1_11comp_targetILNS1_3genE0ELNS1_11target_archE4294967295ELNS1_3gpuE0ELNS1_3repE0EEENS1_30default_config_static_selectorELNS0_4arch9wavefront6targetE0EEEvSK_,comdat
.Lfunc_end1180:
	.size	_ZN7rocprim17ROCPRIM_400000_NS6detail17trampoline_kernelINS0_14default_configENS1_22reduce_config_selectorIN6thrust23THRUST_200600_302600_NS5tupleIblNS6_9null_typeES8_S8_S8_S8_S8_S8_S8_EEEEZNS1_11reduce_implILb1ES3_PS9_SC_S9_NS6_11hip_rocprim9__find_if7functorIS9_EEEE10hipError_tPvRmT1_T2_T3_mT4_P12ihipStream_tbEUlT_E1_NS1_11comp_targetILNS1_3genE0ELNS1_11target_archE4294967295ELNS1_3gpuE0ELNS1_3repE0EEENS1_30default_config_static_selectorELNS0_4arch9wavefront6targetE0EEEvSK_, .Lfunc_end1180-_ZN7rocprim17ROCPRIM_400000_NS6detail17trampoline_kernelINS0_14default_configENS1_22reduce_config_selectorIN6thrust23THRUST_200600_302600_NS5tupleIblNS6_9null_typeES8_S8_S8_S8_S8_S8_S8_EEEEZNS1_11reduce_implILb1ES3_PS9_SC_S9_NS6_11hip_rocprim9__find_if7functorIS9_EEEE10hipError_tPvRmT1_T2_T3_mT4_P12ihipStream_tbEUlT_E1_NS1_11comp_targetILNS1_3genE0ELNS1_11target_archE4294967295ELNS1_3gpuE0ELNS1_3repE0EEENS1_30default_config_static_selectorELNS0_4arch9wavefront6targetE0EEEvSK_
                                        ; -- End function
	.section	.AMDGPU.csdata,"",@progbits
; Kernel info:
; codeLenInByte = 0
; NumSgprs: 0
; NumVgprs: 0
; ScratchSize: 0
; MemoryBound: 0
; FloatMode: 240
; IeeeMode: 1
; LDSByteSize: 0 bytes/workgroup (compile time only)
; SGPRBlocks: 0
; VGPRBlocks: 0
; NumSGPRsForWavesPerEU: 1
; NumVGPRsForWavesPerEU: 1
; Occupancy: 16
; WaveLimiterHint : 0
; COMPUTE_PGM_RSRC2:SCRATCH_EN: 0
; COMPUTE_PGM_RSRC2:USER_SGPR: 15
; COMPUTE_PGM_RSRC2:TRAP_HANDLER: 0
; COMPUTE_PGM_RSRC2:TGID_X_EN: 1
; COMPUTE_PGM_RSRC2:TGID_Y_EN: 0
; COMPUTE_PGM_RSRC2:TGID_Z_EN: 0
; COMPUTE_PGM_RSRC2:TIDIG_COMP_CNT: 0
	.section	.text._ZN7rocprim17ROCPRIM_400000_NS6detail17trampoline_kernelINS0_14default_configENS1_22reduce_config_selectorIN6thrust23THRUST_200600_302600_NS5tupleIblNS6_9null_typeES8_S8_S8_S8_S8_S8_S8_EEEEZNS1_11reduce_implILb1ES3_PS9_SC_S9_NS6_11hip_rocprim9__find_if7functorIS9_EEEE10hipError_tPvRmT1_T2_T3_mT4_P12ihipStream_tbEUlT_E1_NS1_11comp_targetILNS1_3genE5ELNS1_11target_archE942ELNS1_3gpuE9ELNS1_3repE0EEENS1_30default_config_static_selectorELNS0_4arch9wavefront6targetE0EEEvSK_,"axG",@progbits,_ZN7rocprim17ROCPRIM_400000_NS6detail17trampoline_kernelINS0_14default_configENS1_22reduce_config_selectorIN6thrust23THRUST_200600_302600_NS5tupleIblNS6_9null_typeES8_S8_S8_S8_S8_S8_S8_EEEEZNS1_11reduce_implILb1ES3_PS9_SC_S9_NS6_11hip_rocprim9__find_if7functorIS9_EEEE10hipError_tPvRmT1_T2_T3_mT4_P12ihipStream_tbEUlT_E1_NS1_11comp_targetILNS1_3genE5ELNS1_11target_archE942ELNS1_3gpuE9ELNS1_3repE0EEENS1_30default_config_static_selectorELNS0_4arch9wavefront6targetE0EEEvSK_,comdat
	.protected	_ZN7rocprim17ROCPRIM_400000_NS6detail17trampoline_kernelINS0_14default_configENS1_22reduce_config_selectorIN6thrust23THRUST_200600_302600_NS5tupleIblNS6_9null_typeES8_S8_S8_S8_S8_S8_S8_EEEEZNS1_11reduce_implILb1ES3_PS9_SC_S9_NS6_11hip_rocprim9__find_if7functorIS9_EEEE10hipError_tPvRmT1_T2_T3_mT4_P12ihipStream_tbEUlT_E1_NS1_11comp_targetILNS1_3genE5ELNS1_11target_archE942ELNS1_3gpuE9ELNS1_3repE0EEENS1_30default_config_static_selectorELNS0_4arch9wavefront6targetE0EEEvSK_ ; -- Begin function _ZN7rocprim17ROCPRIM_400000_NS6detail17trampoline_kernelINS0_14default_configENS1_22reduce_config_selectorIN6thrust23THRUST_200600_302600_NS5tupleIblNS6_9null_typeES8_S8_S8_S8_S8_S8_S8_EEEEZNS1_11reduce_implILb1ES3_PS9_SC_S9_NS6_11hip_rocprim9__find_if7functorIS9_EEEE10hipError_tPvRmT1_T2_T3_mT4_P12ihipStream_tbEUlT_E1_NS1_11comp_targetILNS1_3genE5ELNS1_11target_archE942ELNS1_3gpuE9ELNS1_3repE0EEENS1_30default_config_static_selectorELNS0_4arch9wavefront6targetE0EEEvSK_
	.globl	_ZN7rocprim17ROCPRIM_400000_NS6detail17trampoline_kernelINS0_14default_configENS1_22reduce_config_selectorIN6thrust23THRUST_200600_302600_NS5tupleIblNS6_9null_typeES8_S8_S8_S8_S8_S8_S8_EEEEZNS1_11reduce_implILb1ES3_PS9_SC_S9_NS6_11hip_rocprim9__find_if7functorIS9_EEEE10hipError_tPvRmT1_T2_T3_mT4_P12ihipStream_tbEUlT_E1_NS1_11comp_targetILNS1_3genE5ELNS1_11target_archE942ELNS1_3gpuE9ELNS1_3repE0EEENS1_30default_config_static_selectorELNS0_4arch9wavefront6targetE0EEEvSK_
	.p2align	8
	.type	_ZN7rocprim17ROCPRIM_400000_NS6detail17trampoline_kernelINS0_14default_configENS1_22reduce_config_selectorIN6thrust23THRUST_200600_302600_NS5tupleIblNS6_9null_typeES8_S8_S8_S8_S8_S8_S8_EEEEZNS1_11reduce_implILb1ES3_PS9_SC_S9_NS6_11hip_rocprim9__find_if7functorIS9_EEEE10hipError_tPvRmT1_T2_T3_mT4_P12ihipStream_tbEUlT_E1_NS1_11comp_targetILNS1_3genE5ELNS1_11target_archE942ELNS1_3gpuE9ELNS1_3repE0EEENS1_30default_config_static_selectorELNS0_4arch9wavefront6targetE0EEEvSK_,@function
_ZN7rocprim17ROCPRIM_400000_NS6detail17trampoline_kernelINS0_14default_configENS1_22reduce_config_selectorIN6thrust23THRUST_200600_302600_NS5tupleIblNS6_9null_typeES8_S8_S8_S8_S8_S8_S8_EEEEZNS1_11reduce_implILb1ES3_PS9_SC_S9_NS6_11hip_rocprim9__find_if7functorIS9_EEEE10hipError_tPvRmT1_T2_T3_mT4_P12ihipStream_tbEUlT_E1_NS1_11comp_targetILNS1_3genE5ELNS1_11target_archE942ELNS1_3gpuE9ELNS1_3repE0EEENS1_30default_config_static_selectorELNS0_4arch9wavefront6targetE0EEEvSK_: ; @_ZN7rocprim17ROCPRIM_400000_NS6detail17trampoline_kernelINS0_14default_configENS1_22reduce_config_selectorIN6thrust23THRUST_200600_302600_NS5tupleIblNS6_9null_typeES8_S8_S8_S8_S8_S8_S8_EEEEZNS1_11reduce_implILb1ES3_PS9_SC_S9_NS6_11hip_rocprim9__find_if7functorIS9_EEEE10hipError_tPvRmT1_T2_T3_mT4_P12ihipStream_tbEUlT_E1_NS1_11comp_targetILNS1_3genE5ELNS1_11target_archE942ELNS1_3gpuE9ELNS1_3repE0EEENS1_30default_config_static_selectorELNS0_4arch9wavefront6targetE0EEEvSK_
; %bb.0:
	.section	.rodata,"a",@progbits
	.p2align	6, 0x0
	.amdhsa_kernel _ZN7rocprim17ROCPRIM_400000_NS6detail17trampoline_kernelINS0_14default_configENS1_22reduce_config_selectorIN6thrust23THRUST_200600_302600_NS5tupleIblNS6_9null_typeES8_S8_S8_S8_S8_S8_S8_EEEEZNS1_11reduce_implILb1ES3_PS9_SC_S9_NS6_11hip_rocprim9__find_if7functorIS9_EEEE10hipError_tPvRmT1_T2_T3_mT4_P12ihipStream_tbEUlT_E1_NS1_11comp_targetILNS1_3genE5ELNS1_11target_archE942ELNS1_3gpuE9ELNS1_3repE0EEENS1_30default_config_static_selectorELNS0_4arch9wavefront6targetE0EEEvSK_
		.amdhsa_group_segment_fixed_size 0
		.amdhsa_private_segment_fixed_size 0
		.amdhsa_kernarg_size 56
		.amdhsa_user_sgpr_count 15
		.amdhsa_user_sgpr_dispatch_ptr 0
		.amdhsa_user_sgpr_queue_ptr 0
		.amdhsa_user_sgpr_kernarg_segment_ptr 1
		.amdhsa_user_sgpr_dispatch_id 0
		.amdhsa_user_sgpr_private_segment_size 0
		.amdhsa_wavefront_size32 1
		.amdhsa_uses_dynamic_stack 0
		.amdhsa_enable_private_segment 0
		.amdhsa_system_sgpr_workgroup_id_x 1
		.amdhsa_system_sgpr_workgroup_id_y 0
		.amdhsa_system_sgpr_workgroup_id_z 0
		.amdhsa_system_sgpr_workgroup_info 0
		.amdhsa_system_vgpr_workitem_id 0
		.amdhsa_next_free_vgpr 1
		.amdhsa_next_free_sgpr 1
		.amdhsa_reserve_vcc 0
		.amdhsa_float_round_mode_32 0
		.amdhsa_float_round_mode_16_64 0
		.amdhsa_float_denorm_mode_32 3
		.amdhsa_float_denorm_mode_16_64 3
		.amdhsa_dx10_clamp 1
		.amdhsa_ieee_mode 1
		.amdhsa_fp16_overflow 0
		.amdhsa_workgroup_processor_mode 1
		.amdhsa_memory_ordered 1
		.amdhsa_forward_progress 0
		.amdhsa_shared_vgpr_count 0
		.amdhsa_exception_fp_ieee_invalid_op 0
		.amdhsa_exception_fp_denorm_src 0
		.amdhsa_exception_fp_ieee_div_zero 0
		.amdhsa_exception_fp_ieee_overflow 0
		.amdhsa_exception_fp_ieee_underflow 0
		.amdhsa_exception_fp_ieee_inexact 0
		.amdhsa_exception_int_div_zero 0
	.end_amdhsa_kernel
	.section	.text._ZN7rocprim17ROCPRIM_400000_NS6detail17trampoline_kernelINS0_14default_configENS1_22reduce_config_selectorIN6thrust23THRUST_200600_302600_NS5tupleIblNS6_9null_typeES8_S8_S8_S8_S8_S8_S8_EEEEZNS1_11reduce_implILb1ES3_PS9_SC_S9_NS6_11hip_rocprim9__find_if7functorIS9_EEEE10hipError_tPvRmT1_T2_T3_mT4_P12ihipStream_tbEUlT_E1_NS1_11comp_targetILNS1_3genE5ELNS1_11target_archE942ELNS1_3gpuE9ELNS1_3repE0EEENS1_30default_config_static_selectorELNS0_4arch9wavefront6targetE0EEEvSK_,"axG",@progbits,_ZN7rocprim17ROCPRIM_400000_NS6detail17trampoline_kernelINS0_14default_configENS1_22reduce_config_selectorIN6thrust23THRUST_200600_302600_NS5tupleIblNS6_9null_typeES8_S8_S8_S8_S8_S8_S8_EEEEZNS1_11reduce_implILb1ES3_PS9_SC_S9_NS6_11hip_rocprim9__find_if7functorIS9_EEEE10hipError_tPvRmT1_T2_T3_mT4_P12ihipStream_tbEUlT_E1_NS1_11comp_targetILNS1_3genE5ELNS1_11target_archE942ELNS1_3gpuE9ELNS1_3repE0EEENS1_30default_config_static_selectorELNS0_4arch9wavefront6targetE0EEEvSK_,comdat
.Lfunc_end1181:
	.size	_ZN7rocprim17ROCPRIM_400000_NS6detail17trampoline_kernelINS0_14default_configENS1_22reduce_config_selectorIN6thrust23THRUST_200600_302600_NS5tupleIblNS6_9null_typeES8_S8_S8_S8_S8_S8_S8_EEEEZNS1_11reduce_implILb1ES3_PS9_SC_S9_NS6_11hip_rocprim9__find_if7functorIS9_EEEE10hipError_tPvRmT1_T2_T3_mT4_P12ihipStream_tbEUlT_E1_NS1_11comp_targetILNS1_3genE5ELNS1_11target_archE942ELNS1_3gpuE9ELNS1_3repE0EEENS1_30default_config_static_selectorELNS0_4arch9wavefront6targetE0EEEvSK_, .Lfunc_end1181-_ZN7rocprim17ROCPRIM_400000_NS6detail17trampoline_kernelINS0_14default_configENS1_22reduce_config_selectorIN6thrust23THRUST_200600_302600_NS5tupleIblNS6_9null_typeES8_S8_S8_S8_S8_S8_S8_EEEEZNS1_11reduce_implILb1ES3_PS9_SC_S9_NS6_11hip_rocprim9__find_if7functorIS9_EEEE10hipError_tPvRmT1_T2_T3_mT4_P12ihipStream_tbEUlT_E1_NS1_11comp_targetILNS1_3genE5ELNS1_11target_archE942ELNS1_3gpuE9ELNS1_3repE0EEENS1_30default_config_static_selectorELNS0_4arch9wavefront6targetE0EEEvSK_
                                        ; -- End function
	.section	.AMDGPU.csdata,"",@progbits
; Kernel info:
; codeLenInByte = 0
; NumSgprs: 0
; NumVgprs: 0
; ScratchSize: 0
; MemoryBound: 0
; FloatMode: 240
; IeeeMode: 1
; LDSByteSize: 0 bytes/workgroup (compile time only)
; SGPRBlocks: 0
; VGPRBlocks: 0
; NumSGPRsForWavesPerEU: 1
; NumVGPRsForWavesPerEU: 1
; Occupancy: 16
; WaveLimiterHint : 0
; COMPUTE_PGM_RSRC2:SCRATCH_EN: 0
; COMPUTE_PGM_RSRC2:USER_SGPR: 15
; COMPUTE_PGM_RSRC2:TRAP_HANDLER: 0
; COMPUTE_PGM_RSRC2:TGID_X_EN: 1
; COMPUTE_PGM_RSRC2:TGID_Y_EN: 0
; COMPUTE_PGM_RSRC2:TGID_Z_EN: 0
; COMPUTE_PGM_RSRC2:TIDIG_COMP_CNT: 0
	.section	.text._ZN7rocprim17ROCPRIM_400000_NS6detail17trampoline_kernelINS0_14default_configENS1_22reduce_config_selectorIN6thrust23THRUST_200600_302600_NS5tupleIblNS6_9null_typeES8_S8_S8_S8_S8_S8_S8_EEEEZNS1_11reduce_implILb1ES3_PS9_SC_S9_NS6_11hip_rocprim9__find_if7functorIS9_EEEE10hipError_tPvRmT1_T2_T3_mT4_P12ihipStream_tbEUlT_E1_NS1_11comp_targetILNS1_3genE4ELNS1_11target_archE910ELNS1_3gpuE8ELNS1_3repE0EEENS1_30default_config_static_selectorELNS0_4arch9wavefront6targetE0EEEvSK_,"axG",@progbits,_ZN7rocprim17ROCPRIM_400000_NS6detail17trampoline_kernelINS0_14default_configENS1_22reduce_config_selectorIN6thrust23THRUST_200600_302600_NS5tupleIblNS6_9null_typeES8_S8_S8_S8_S8_S8_S8_EEEEZNS1_11reduce_implILb1ES3_PS9_SC_S9_NS6_11hip_rocprim9__find_if7functorIS9_EEEE10hipError_tPvRmT1_T2_T3_mT4_P12ihipStream_tbEUlT_E1_NS1_11comp_targetILNS1_3genE4ELNS1_11target_archE910ELNS1_3gpuE8ELNS1_3repE0EEENS1_30default_config_static_selectorELNS0_4arch9wavefront6targetE0EEEvSK_,comdat
	.protected	_ZN7rocprim17ROCPRIM_400000_NS6detail17trampoline_kernelINS0_14default_configENS1_22reduce_config_selectorIN6thrust23THRUST_200600_302600_NS5tupleIblNS6_9null_typeES8_S8_S8_S8_S8_S8_S8_EEEEZNS1_11reduce_implILb1ES3_PS9_SC_S9_NS6_11hip_rocprim9__find_if7functorIS9_EEEE10hipError_tPvRmT1_T2_T3_mT4_P12ihipStream_tbEUlT_E1_NS1_11comp_targetILNS1_3genE4ELNS1_11target_archE910ELNS1_3gpuE8ELNS1_3repE0EEENS1_30default_config_static_selectorELNS0_4arch9wavefront6targetE0EEEvSK_ ; -- Begin function _ZN7rocprim17ROCPRIM_400000_NS6detail17trampoline_kernelINS0_14default_configENS1_22reduce_config_selectorIN6thrust23THRUST_200600_302600_NS5tupleIblNS6_9null_typeES8_S8_S8_S8_S8_S8_S8_EEEEZNS1_11reduce_implILb1ES3_PS9_SC_S9_NS6_11hip_rocprim9__find_if7functorIS9_EEEE10hipError_tPvRmT1_T2_T3_mT4_P12ihipStream_tbEUlT_E1_NS1_11comp_targetILNS1_3genE4ELNS1_11target_archE910ELNS1_3gpuE8ELNS1_3repE0EEENS1_30default_config_static_selectorELNS0_4arch9wavefront6targetE0EEEvSK_
	.globl	_ZN7rocprim17ROCPRIM_400000_NS6detail17trampoline_kernelINS0_14default_configENS1_22reduce_config_selectorIN6thrust23THRUST_200600_302600_NS5tupleIblNS6_9null_typeES8_S8_S8_S8_S8_S8_S8_EEEEZNS1_11reduce_implILb1ES3_PS9_SC_S9_NS6_11hip_rocprim9__find_if7functorIS9_EEEE10hipError_tPvRmT1_T2_T3_mT4_P12ihipStream_tbEUlT_E1_NS1_11comp_targetILNS1_3genE4ELNS1_11target_archE910ELNS1_3gpuE8ELNS1_3repE0EEENS1_30default_config_static_selectorELNS0_4arch9wavefront6targetE0EEEvSK_
	.p2align	8
	.type	_ZN7rocprim17ROCPRIM_400000_NS6detail17trampoline_kernelINS0_14default_configENS1_22reduce_config_selectorIN6thrust23THRUST_200600_302600_NS5tupleIblNS6_9null_typeES8_S8_S8_S8_S8_S8_S8_EEEEZNS1_11reduce_implILb1ES3_PS9_SC_S9_NS6_11hip_rocprim9__find_if7functorIS9_EEEE10hipError_tPvRmT1_T2_T3_mT4_P12ihipStream_tbEUlT_E1_NS1_11comp_targetILNS1_3genE4ELNS1_11target_archE910ELNS1_3gpuE8ELNS1_3repE0EEENS1_30default_config_static_selectorELNS0_4arch9wavefront6targetE0EEEvSK_,@function
_ZN7rocprim17ROCPRIM_400000_NS6detail17trampoline_kernelINS0_14default_configENS1_22reduce_config_selectorIN6thrust23THRUST_200600_302600_NS5tupleIblNS6_9null_typeES8_S8_S8_S8_S8_S8_S8_EEEEZNS1_11reduce_implILb1ES3_PS9_SC_S9_NS6_11hip_rocprim9__find_if7functorIS9_EEEE10hipError_tPvRmT1_T2_T3_mT4_P12ihipStream_tbEUlT_E1_NS1_11comp_targetILNS1_3genE4ELNS1_11target_archE910ELNS1_3gpuE8ELNS1_3repE0EEENS1_30default_config_static_selectorELNS0_4arch9wavefront6targetE0EEEvSK_: ; @_ZN7rocprim17ROCPRIM_400000_NS6detail17trampoline_kernelINS0_14default_configENS1_22reduce_config_selectorIN6thrust23THRUST_200600_302600_NS5tupleIblNS6_9null_typeES8_S8_S8_S8_S8_S8_S8_EEEEZNS1_11reduce_implILb1ES3_PS9_SC_S9_NS6_11hip_rocprim9__find_if7functorIS9_EEEE10hipError_tPvRmT1_T2_T3_mT4_P12ihipStream_tbEUlT_E1_NS1_11comp_targetILNS1_3genE4ELNS1_11target_archE910ELNS1_3gpuE8ELNS1_3repE0EEENS1_30default_config_static_selectorELNS0_4arch9wavefront6targetE0EEEvSK_
; %bb.0:
	.section	.rodata,"a",@progbits
	.p2align	6, 0x0
	.amdhsa_kernel _ZN7rocprim17ROCPRIM_400000_NS6detail17trampoline_kernelINS0_14default_configENS1_22reduce_config_selectorIN6thrust23THRUST_200600_302600_NS5tupleIblNS6_9null_typeES8_S8_S8_S8_S8_S8_S8_EEEEZNS1_11reduce_implILb1ES3_PS9_SC_S9_NS6_11hip_rocprim9__find_if7functorIS9_EEEE10hipError_tPvRmT1_T2_T3_mT4_P12ihipStream_tbEUlT_E1_NS1_11comp_targetILNS1_3genE4ELNS1_11target_archE910ELNS1_3gpuE8ELNS1_3repE0EEENS1_30default_config_static_selectorELNS0_4arch9wavefront6targetE0EEEvSK_
		.amdhsa_group_segment_fixed_size 0
		.amdhsa_private_segment_fixed_size 0
		.amdhsa_kernarg_size 56
		.amdhsa_user_sgpr_count 15
		.amdhsa_user_sgpr_dispatch_ptr 0
		.amdhsa_user_sgpr_queue_ptr 0
		.amdhsa_user_sgpr_kernarg_segment_ptr 1
		.amdhsa_user_sgpr_dispatch_id 0
		.amdhsa_user_sgpr_private_segment_size 0
		.amdhsa_wavefront_size32 1
		.amdhsa_uses_dynamic_stack 0
		.amdhsa_enable_private_segment 0
		.amdhsa_system_sgpr_workgroup_id_x 1
		.amdhsa_system_sgpr_workgroup_id_y 0
		.amdhsa_system_sgpr_workgroup_id_z 0
		.amdhsa_system_sgpr_workgroup_info 0
		.amdhsa_system_vgpr_workitem_id 0
		.amdhsa_next_free_vgpr 1
		.amdhsa_next_free_sgpr 1
		.amdhsa_reserve_vcc 0
		.amdhsa_float_round_mode_32 0
		.amdhsa_float_round_mode_16_64 0
		.amdhsa_float_denorm_mode_32 3
		.amdhsa_float_denorm_mode_16_64 3
		.amdhsa_dx10_clamp 1
		.amdhsa_ieee_mode 1
		.amdhsa_fp16_overflow 0
		.amdhsa_workgroup_processor_mode 1
		.amdhsa_memory_ordered 1
		.amdhsa_forward_progress 0
		.amdhsa_shared_vgpr_count 0
		.amdhsa_exception_fp_ieee_invalid_op 0
		.amdhsa_exception_fp_denorm_src 0
		.amdhsa_exception_fp_ieee_div_zero 0
		.amdhsa_exception_fp_ieee_overflow 0
		.amdhsa_exception_fp_ieee_underflow 0
		.amdhsa_exception_fp_ieee_inexact 0
		.amdhsa_exception_int_div_zero 0
	.end_amdhsa_kernel
	.section	.text._ZN7rocprim17ROCPRIM_400000_NS6detail17trampoline_kernelINS0_14default_configENS1_22reduce_config_selectorIN6thrust23THRUST_200600_302600_NS5tupleIblNS6_9null_typeES8_S8_S8_S8_S8_S8_S8_EEEEZNS1_11reduce_implILb1ES3_PS9_SC_S9_NS6_11hip_rocprim9__find_if7functorIS9_EEEE10hipError_tPvRmT1_T2_T3_mT4_P12ihipStream_tbEUlT_E1_NS1_11comp_targetILNS1_3genE4ELNS1_11target_archE910ELNS1_3gpuE8ELNS1_3repE0EEENS1_30default_config_static_selectorELNS0_4arch9wavefront6targetE0EEEvSK_,"axG",@progbits,_ZN7rocprim17ROCPRIM_400000_NS6detail17trampoline_kernelINS0_14default_configENS1_22reduce_config_selectorIN6thrust23THRUST_200600_302600_NS5tupleIblNS6_9null_typeES8_S8_S8_S8_S8_S8_S8_EEEEZNS1_11reduce_implILb1ES3_PS9_SC_S9_NS6_11hip_rocprim9__find_if7functorIS9_EEEE10hipError_tPvRmT1_T2_T3_mT4_P12ihipStream_tbEUlT_E1_NS1_11comp_targetILNS1_3genE4ELNS1_11target_archE910ELNS1_3gpuE8ELNS1_3repE0EEENS1_30default_config_static_selectorELNS0_4arch9wavefront6targetE0EEEvSK_,comdat
.Lfunc_end1182:
	.size	_ZN7rocprim17ROCPRIM_400000_NS6detail17trampoline_kernelINS0_14default_configENS1_22reduce_config_selectorIN6thrust23THRUST_200600_302600_NS5tupleIblNS6_9null_typeES8_S8_S8_S8_S8_S8_S8_EEEEZNS1_11reduce_implILb1ES3_PS9_SC_S9_NS6_11hip_rocprim9__find_if7functorIS9_EEEE10hipError_tPvRmT1_T2_T3_mT4_P12ihipStream_tbEUlT_E1_NS1_11comp_targetILNS1_3genE4ELNS1_11target_archE910ELNS1_3gpuE8ELNS1_3repE0EEENS1_30default_config_static_selectorELNS0_4arch9wavefront6targetE0EEEvSK_, .Lfunc_end1182-_ZN7rocprim17ROCPRIM_400000_NS6detail17trampoline_kernelINS0_14default_configENS1_22reduce_config_selectorIN6thrust23THRUST_200600_302600_NS5tupleIblNS6_9null_typeES8_S8_S8_S8_S8_S8_S8_EEEEZNS1_11reduce_implILb1ES3_PS9_SC_S9_NS6_11hip_rocprim9__find_if7functorIS9_EEEE10hipError_tPvRmT1_T2_T3_mT4_P12ihipStream_tbEUlT_E1_NS1_11comp_targetILNS1_3genE4ELNS1_11target_archE910ELNS1_3gpuE8ELNS1_3repE0EEENS1_30default_config_static_selectorELNS0_4arch9wavefront6targetE0EEEvSK_
                                        ; -- End function
	.section	.AMDGPU.csdata,"",@progbits
; Kernel info:
; codeLenInByte = 0
; NumSgprs: 0
; NumVgprs: 0
; ScratchSize: 0
; MemoryBound: 0
; FloatMode: 240
; IeeeMode: 1
; LDSByteSize: 0 bytes/workgroup (compile time only)
; SGPRBlocks: 0
; VGPRBlocks: 0
; NumSGPRsForWavesPerEU: 1
; NumVGPRsForWavesPerEU: 1
; Occupancy: 16
; WaveLimiterHint : 0
; COMPUTE_PGM_RSRC2:SCRATCH_EN: 0
; COMPUTE_PGM_RSRC2:USER_SGPR: 15
; COMPUTE_PGM_RSRC2:TRAP_HANDLER: 0
; COMPUTE_PGM_RSRC2:TGID_X_EN: 1
; COMPUTE_PGM_RSRC2:TGID_Y_EN: 0
; COMPUTE_PGM_RSRC2:TGID_Z_EN: 0
; COMPUTE_PGM_RSRC2:TIDIG_COMP_CNT: 0
	.section	.text._ZN7rocprim17ROCPRIM_400000_NS6detail17trampoline_kernelINS0_14default_configENS1_22reduce_config_selectorIN6thrust23THRUST_200600_302600_NS5tupleIblNS6_9null_typeES8_S8_S8_S8_S8_S8_S8_EEEEZNS1_11reduce_implILb1ES3_PS9_SC_S9_NS6_11hip_rocprim9__find_if7functorIS9_EEEE10hipError_tPvRmT1_T2_T3_mT4_P12ihipStream_tbEUlT_E1_NS1_11comp_targetILNS1_3genE3ELNS1_11target_archE908ELNS1_3gpuE7ELNS1_3repE0EEENS1_30default_config_static_selectorELNS0_4arch9wavefront6targetE0EEEvSK_,"axG",@progbits,_ZN7rocprim17ROCPRIM_400000_NS6detail17trampoline_kernelINS0_14default_configENS1_22reduce_config_selectorIN6thrust23THRUST_200600_302600_NS5tupleIblNS6_9null_typeES8_S8_S8_S8_S8_S8_S8_EEEEZNS1_11reduce_implILb1ES3_PS9_SC_S9_NS6_11hip_rocprim9__find_if7functorIS9_EEEE10hipError_tPvRmT1_T2_T3_mT4_P12ihipStream_tbEUlT_E1_NS1_11comp_targetILNS1_3genE3ELNS1_11target_archE908ELNS1_3gpuE7ELNS1_3repE0EEENS1_30default_config_static_selectorELNS0_4arch9wavefront6targetE0EEEvSK_,comdat
	.protected	_ZN7rocprim17ROCPRIM_400000_NS6detail17trampoline_kernelINS0_14default_configENS1_22reduce_config_selectorIN6thrust23THRUST_200600_302600_NS5tupleIblNS6_9null_typeES8_S8_S8_S8_S8_S8_S8_EEEEZNS1_11reduce_implILb1ES3_PS9_SC_S9_NS6_11hip_rocprim9__find_if7functorIS9_EEEE10hipError_tPvRmT1_T2_T3_mT4_P12ihipStream_tbEUlT_E1_NS1_11comp_targetILNS1_3genE3ELNS1_11target_archE908ELNS1_3gpuE7ELNS1_3repE0EEENS1_30default_config_static_selectorELNS0_4arch9wavefront6targetE0EEEvSK_ ; -- Begin function _ZN7rocprim17ROCPRIM_400000_NS6detail17trampoline_kernelINS0_14default_configENS1_22reduce_config_selectorIN6thrust23THRUST_200600_302600_NS5tupleIblNS6_9null_typeES8_S8_S8_S8_S8_S8_S8_EEEEZNS1_11reduce_implILb1ES3_PS9_SC_S9_NS6_11hip_rocprim9__find_if7functorIS9_EEEE10hipError_tPvRmT1_T2_T3_mT4_P12ihipStream_tbEUlT_E1_NS1_11comp_targetILNS1_3genE3ELNS1_11target_archE908ELNS1_3gpuE7ELNS1_3repE0EEENS1_30default_config_static_selectorELNS0_4arch9wavefront6targetE0EEEvSK_
	.globl	_ZN7rocprim17ROCPRIM_400000_NS6detail17trampoline_kernelINS0_14default_configENS1_22reduce_config_selectorIN6thrust23THRUST_200600_302600_NS5tupleIblNS6_9null_typeES8_S8_S8_S8_S8_S8_S8_EEEEZNS1_11reduce_implILb1ES3_PS9_SC_S9_NS6_11hip_rocprim9__find_if7functorIS9_EEEE10hipError_tPvRmT1_T2_T3_mT4_P12ihipStream_tbEUlT_E1_NS1_11comp_targetILNS1_3genE3ELNS1_11target_archE908ELNS1_3gpuE7ELNS1_3repE0EEENS1_30default_config_static_selectorELNS0_4arch9wavefront6targetE0EEEvSK_
	.p2align	8
	.type	_ZN7rocprim17ROCPRIM_400000_NS6detail17trampoline_kernelINS0_14default_configENS1_22reduce_config_selectorIN6thrust23THRUST_200600_302600_NS5tupleIblNS6_9null_typeES8_S8_S8_S8_S8_S8_S8_EEEEZNS1_11reduce_implILb1ES3_PS9_SC_S9_NS6_11hip_rocprim9__find_if7functorIS9_EEEE10hipError_tPvRmT1_T2_T3_mT4_P12ihipStream_tbEUlT_E1_NS1_11comp_targetILNS1_3genE3ELNS1_11target_archE908ELNS1_3gpuE7ELNS1_3repE0EEENS1_30default_config_static_selectorELNS0_4arch9wavefront6targetE0EEEvSK_,@function
_ZN7rocprim17ROCPRIM_400000_NS6detail17trampoline_kernelINS0_14default_configENS1_22reduce_config_selectorIN6thrust23THRUST_200600_302600_NS5tupleIblNS6_9null_typeES8_S8_S8_S8_S8_S8_S8_EEEEZNS1_11reduce_implILb1ES3_PS9_SC_S9_NS6_11hip_rocprim9__find_if7functorIS9_EEEE10hipError_tPvRmT1_T2_T3_mT4_P12ihipStream_tbEUlT_E1_NS1_11comp_targetILNS1_3genE3ELNS1_11target_archE908ELNS1_3gpuE7ELNS1_3repE0EEENS1_30default_config_static_selectorELNS0_4arch9wavefront6targetE0EEEvSK_: ; @_ZN7rocprim17ROCPRIM_400000_NS6detail17trampoline_kernelINS0_14default_configENS1_22reduce_config_selectorIN6thrust23THRUST_200600_302600_NS5tupleIblNS6_9null_typeES8_S8_S8_S8_S8_S8_S8_EEEEZNS1_11reduce_implILb1ES3_PS9_SC_S9_NS6_11hip_rocprim9__find_if7functorIS9_EEEE10hipError_tPvRmT1_T2_T3_mT4_P12ihipStream_tbEUlT_E1_NS1_11comp_targetILNS1_3genE3ELNS1_11target_archE908ELNS1_3gpuE7ELNS1_3repE0EEENS1_30default_config_static_selectorELNS0_4arch9wavefront6targetE0EEEvSK_
; %bb.0:
	.section	.rodata,"a",@progbits
	.p2align	6, 0x0
	.amdhsa_kernel _ZN7rocprim17ROCPRIM_400000_NS6detail17trampoline_kernelINS0_14default_configENS1_22reduce_config_selectorIN6thrust23THRUST_200600_302600_NS5tupleIblNS6_9null_typeES8_S8_S8_S8_S8_S8_S8_EEEEZNS1_11reduce_implILb1ES3_PS9_SC_S9_NS6_11hip_rocprim9__find_if7functorIS9_EEEE10hipError_tPvRmT1_T2_T3_mT4_P12ihipStream_tbEUlT_E1_NS1_11comp_targetILNS1_3genE3ELNS1_11target_archE908ELNS1_3gpuE7ELNS1_3repE0EEENS1_30default_config_static_selectorELNS0_4arch9wavefront6targetE0EEEvSK_
		.amdhsa_group_segment_fixed_size 0
		.amdhsa_private_segment_fixed_size 0
		.amdhsa_kernarg_size 56
		.amdhsa_user_sgpr_count 15
		.amdhsa_user_sgpr_dispatch_ptr 0
		.amdhsa_user_sgpr_queue_ptr 0
		.amdhsa_user_sgpr_kernarg_segment_ptr 1
		.amdhsa_user_sgpr_dispatch_id 0
		.amdhsa_user_sgpr_private_segment_size 0
		.amdhsa_wavefront_size32 1
		.amdhsa_uses_dynamic_stack 0
		.amdhsa_enable_private_segment 0
		.amdhsa_system_sgpr_workgroup_id_x 1
		.amdhsa_system_sgpr_workgroup_id_y 0
		.amdhsa_system_sgpr_workgroup_id_z 0
		.amdhsa_system_sgpr_workgroup_info 0
		.amdhsa_system_vgpr_workitem_id 0
		.amdhsa_next_free_vgpr 1
		.amdhsa_next_free_sgpr 1
		.amdhsa_reserve_vcc 0
		.amdhsa_float_round_mode_32 0
		.amdhsa_float_round_mode_16_64 0
		.amdhsa_float_denorm_mode_32 3
		.amdhsa_float_denorm_mode_16_64 3
		.amdhsa_dx10_clamp 1
		.amdhsa_ieee_mode 1
		.amdhsa_fp16_overflow 0
		.amdhsa_workgroup_processor_mode 1
		.amdhsa_memory_ordered 1
		.amdhsa_forward_progress 0
		.amdhsa_shared_vgpr_count 0
		.amdhsa_exception_fp_ieee_invalid_op 0
		.amdhsa_exception_fp_denorm_src 0
		.amdhsa_exception_fp_ieee_div_zero 0
		.amdhsa_exception_fp_ieee_overflow 0
		.amdhsa_exception_fp_ieee_underflow 0
		.amdhsa_exception_fp_ieee_inexact 0
		.amdhsa_exception_int_div_zero 0
	.end_amdhsa_kernel
	.section	.text._ZN7rocprim17ROCPRIM_400000_NS6detail17trampoline_kernelINS0_14default_configENS1_22reduce_config_selectorIN6thrust23THRUST_200600_302600_NS5tupleIblNS6_9null_typeES8_S8_S8_S8_S8_S8_S8_EEEEZNS1_11reduce_implILb1ES3_PS9_SC_S9_NS6_11hip_rocprim9__find_if7functorIS9_EEEE10hipError_tPvRmT1_T2_T3_mT4_P12ihipStream_tbEUlT_E1_NS1_11comp_targetILNS1_3genE3ELNS1_11target_archE908ELNS1_3gpuE7ELNS1_3repE0EEENS1_30default_config_static_selectorELNS0_4arch9wavefront6targetE0EEEvSK_,"axG",@progbits,_ZN7rocprim17ROCPRIM_400000_NS6detail17trampoline_kernelINS0_14default_configENS1_22reduce_config_selectorIN6thrust23THRUST_200600_302600_NS5tupleIblNS6_9null_typeES8_S8_S8_S8_S8_S8_S8_EEEEZNS1_11reduce_implILb1ES3_PS9_SC_S9_NS6_11hip_rocprim9__find_if7functorIS9_EEEE10hipError_tPvRmT1_T2_T3_mT4_P12ihipStream_tbEUlT_E1_NS1_11comp_targetILNS1_3genE3ELNS1_11target_archE908ELNS1_3gpuE7ELNS1_3repE0EEENS1_30default_config_static_selectorELNS0_4arch9wavefront6targetE0EEEvSK_,comdat
.Lfunc_end1183:
	.size	_ZN7rocprim17ROCPRIM_400000_NS6detail17trampoline_kernelINS0_14default_configENS1_22reduce_config_selectorIN6thrust23THRUST_200600_302600_NS5tupleIblNS6_9null_typeES8_S8_S8_S8_S8_S8_S8_EEEEZNS1_11reduce_implILb1ES3_PS9_SC_S9_NS6_11hip_rocprim9__find_if7functorIS9_EEEE10hipError_tPvRmT1_T2_T3_mT4_P12ihipStream_tbEUlT_E1_NS1_11comp_targetILNS1_3genE3ELNS1_11target_archE908ELNS1_3gpuE7ELNS1_3repE0EEENS1_30default_config_static_selectorELNS0_4arch9wavefront6targetE0EEEvSK_, .Lfunc_end1183-_ZN7rocprim17ROCPRIM_400000_NS6detail17trampoline_kernelINS0_14default_configENS1_22reduce_config_selectorIN6thrust23THRUST_200600_302600_NS5tupleIblNS6_9null_typeES8_S8_S8_S8_S8_S8_S8_EEEEZNS1_11reduce_implILb1ES3_PS9_SC_S9_NS6_11hip_rocprim9__find_if7functorIS9_EEEE10hipError_tPvRmT1_T2_T3_mT4_P12ihipStream_tbEUlT_E1_NS1_11comp_targetILNS1_3genE3ELNS1_11target_archE908ELNS1_3gpuE7ELNS1_3repE0EEENS1_30default_config_static_selectorELNS0_4arch9wavefront6targetE0EEEvSK_
                                        ; -- End function
	.section	.AMDGPU.csdata,"",@progbits
; Kernel info:
; codeLenInByte = 0
; NumSgprs: 0
; NumVgprs: 0
; ScratchSize: 0
; MemoryBound: 0
; FloatMode: 240
; IeeeMode: 1
; LDSByteSize: 0 bytes/workgroup (compile time only)
; SGPRBlocks: 0
; VGPRBlocks: 0
; NumSGPRsForWavesPerEU: 1
; NumVGPRsForWavesPerEU: 1
; Occupancy: 16
; WaveLimiterHint : 0
; COMPUTE_PGM_RSRC2:SCRATCH_EN: 0
; COMPUTE_PGM_RSRC2:USER_SGPR: 15
; COMPUTE_PGM_RSRC2:TRAP_HANDLER: 0
; COMPUTE_PGM_RSRC2:TGID_X_EN: 1
; COMPUTE_PGM_RSRC2:TGID_Y_EN: 0
; COMPUTE_PGM_RSRC2:TGID_Z_EN: 0
; COMPUTE_PGM_RSRC2:TIDIG_COMP_CNT: 0
	.section	.text._ZN7rocprim17ROCPRIM_400000_NS6detail17trampoline_kernelINS0_14default_configENS1_22reduce_config_selectorIN6thrust23THRUST_200600_302600_NS5tupleIblNS6_9null_typeES8_S8_S8_S8_S8_S8_S8_EEEEZNS1_11reduce_implILb1ES3_PS9_SC_S9_NS6_11hip_rocprim9__find_if7functorIS9_EEEE10hipError_tPvRmT1_T2_T3_mT4_P12ihipStream_tbEUlT_E1_NS1_11comp_targetILNS1_3genE2ELNS1_11target_archE906ELNS1_3gpuE6ELNS1_3repE0EEENS1_30default_config_static_selectorELNS0_4arch9wavefront6targetE0EEEvSK_,"axG",@progbits,_ZN7rocprim17ROCPRIM_400000_NS6detail17trampoline_kernelINS0_14default_configENS1_22reduce_config_selectorIN6thrust23THRUST_200600_302600_NS5tupleIblNS6_9null_typeES8_S8_S8_S8_S8_S8_S8_EEEEZNS1_11reduce_implILb1ES3_PS9_SC_S9_NS6_11hip_rocprim9__find_if7functorIS9_EEEE10hipError_tPvRmT1_T2_T3_mT4_P12ihipStream_tbEUlT_E1_NS1_11comp_targetILNS1_3genE2ELNS1_11target_archE906ELNS1_3gpuE6ELNS1_3repE0EEENS1_30default_config_static_selectorELNS0_4arch9wavefront6targetE0EEEvSK_,comdat
	.protected	_ZN7rocprim17ROCPRIM_400000_NS6detail17trampoline_kernelINS0_14default_configENS1_22reduce_config_selectorIN6thrust23THRUST_200600_302600_NS5tupleIblNS6_9null_typeES8_S8_S8_S8_S8_S8_S8_EEEEZNS1_11reduce_implILb1ES3_PS9_SC_S9_NS6_11hip_rocprim9__find_if7functorIS9_EEEE10hipError_tPvRmT1_T2_T3_mT4_P12ihipStream_tbEUlT_E1_NS1_11comp_targetILNS1_3genE2ELNS1_11target_archE906ELNS1_3gpuE6ELNS1_3repE0EEENS1_30default_config_static_selectorELNS0_4arch9wavefront6targetE0EEEvSK_ ; -- Begin function _ZN7rocprim17ROCPRIM_400000_NS6detail17trampoline_kernelINS0_14default_configENS1_22reduce_config_selectorIN6thrust23THRUST_200600_302600_NS5tupleIblNS6_9null_typeES8_S8_S8_S8_S8_S8_S8_EEEEZNS1_11reduce_implILb1ES3_PS9_SC_S9_NS6_11hip_rocprim9__find_if7functorIS9_EEEE10hipError_tPvRmT1_T2_T3_mT4_P12ihipStream_tbEUlT_E1_NS1_11comp_targetILNS1_3genE2ELNS1_11target_archE906ELNS1_3gpuE6ELNS1_3repE0EEENS1_30default_config_static_selectorELNS0_4arch9wavefront6targetE0EEEvSK_
	.globl	_ZN7rocprim17ROCPRIM_400000_NS6detail17trampoline_kernelINS0_14default_configENS1_22reduce_config_selectorIN6thrust23THRUST_200600_302600_NS5tupleIblNS6_9null_typeES8_S8_S8_S8_S8_S8_S8_EEEEZNS1_11reduce_implILb1ES3_PS9_SC_S9_NS6_11hip_rocprim9__find_if7functorIS9_EEEE10hipError_tPvRmT1_T2_T3_mT4_P12ihipStream_tbEUlT_E1_NS1_11comp_targetILNS1_3genE2ELNS1_11target_archE906ELNS1_3gpuE6ELNS1_3repE0EEENS1_30default_config_static_selectorELNS0_4arch9wavefront6targetE0EEEvSK_
	.p2align	8
	.type	_ZN7rocprim17ROCPRIM_400000_NS6detail17trampoline_kernelINS0_14default_configENS1_22reduce_config_selectorIN6thrust23THRUST_200600_302600_NS5tupleIblNS6_9null_typeES8_S8_S8_S8_S8_S8_S8_EEEEZNS1_11reduce_implILb1ES3_PS9_SC_S9_NS6_11hip_rocprim9__find_if7functorIS9_EEEE10hipError_tPvRmT1_T2_T3_mT4_P12ihipStream_tbEUlT_E1_NS1_11comp_targetILNS1_3genE2ELNS1_11target_archE906ELNS1_3gpuE6ELNS1_3repE0EEENS1_30default_config_static_selectorELNS0_4arch9wavefront6targetE0EEEvSK_,@function
_ZN7rocprim17ROCPRIM_400000_NS6detail17trampoline_kernelINS0_14default_configENS1_22reduce_config_selectorIN6thrust23THRUST_200600_302600_NS5tupleIblNS6_9null_typeES8_S8_S8_S8_S8_S8_S8_EEEEZNS1_11reduce_implILb1ES3_PS9_SC_S9_NS6_11hip_rocprim9__find_if7functorIS9_EEEE10hipError_tPvRmT1_T2_T3_mT4_P12ihipStream_tbEUlT_E1_NS1_11comp_targetILNS1_3genE2ELNS1_11target_archE906ELNS1_3gpuE6ELNS1_3repE0EEENS1_30default_config_static_selectorELNS0_4arch9wavefront6targetE0EEEvSK_: ; @_ZN7rocprim17ROCPRIM_400000_NS6detail17trampoline_kernelINS0_14default_configENS1_22reduce_config_selectorIN6thrust23THRUST_200600_302600_NS5tupleIblNS6_9null_typeES8_S8_S8_S8_S8_S8_S8_EEEEZNS1_11reduce_implILb1ES3_PS9_SC_S9_NS6_11hip_rocprim9__find_if7functorIS9_EEEE10hipError_tPvRmT1_T2_T3_mT4_P12ihipStream_tbEUlT_E1_NS1_11comp_targetILNS1_3genE2ELNS1_11target_archE906ELNS1_3gpuE6ELNS1_3repE0EEENS1_30default_config_static_selectorELNS0_4arch9wavefront6targetE0EEEvSK_
; %bb.0:
	.section	.rodata,"a",@progbits
	.p2align	6, 0x0
	.amdhsa_kernel _ZN7rocprim17ROCPRIM_400000_NS6detail17trampoline_kernelINS0_14default_configENS1_22reduce_config_selectorIN6thrust23THRUST_200600_302600_NS5tupleIblNS6_9null_typeES8_S8_S8_S8_S8_S8_S8_EEEEZNS1_11reduce_implILb1ES3_PS9_SC_S9_NS6_11hip_rocprim9__find_if7functorIS9_EEEE10hipError_tPvRmT1_T2_T3_mT4_P12ihipStream_tbEUlT_E1_NS1_11comp_targetILNS1_3genE2ELNS1_11target_archE906ELNS1_3gpuE6ELNS1_3repE0EEENS1_30default_config_static_selectorELNS0_4arch9wavefront6targetE0EEEvSK_
		.amdhsa_group_segment_fixed_size 0
		.amdhsa_private_segment_fixed_size 0
		.amdhsa_kernarg_size 56
		.amdhsa_user_sgpr_count 15
		.amdhsa_user_sgpr_dispatch_ptr 0
		.amdhsa_user_sgpr_queue_ptr 0
		.amdhsa_user_sgpr_kernarg_segment_ptr 1
		.amdhsa_user_sgpr_dispatch_id 0
		.amdhsa_user_sgpr_private_segment_size 0
		.amdhsa_wavefront_size32 1
		.amdhsa_uses_dynamic_stack 0
		.amdhsa_enable_private_segment 0
		.amdhsa_system_sgpr_workgroup_id_x 1
		.amdhsa_system_sgpr_workgroup_id_y 0
		.amdhsa_system_sgpr_workgroup_id_z 0
		.amdhsa_system_sgpr_workgroup_info 0
		.amdhsa_system_vgpr_workitem_id 0
		.amdhsa_next_free_vgpr 1
		.amdhsa_next_free_sgpr 1
		.amdhsa_reserve_vcc 0
		.amdhsa_float_round_mode_32 0
		.amdhsa_float_round_mode_16_64 0
		.amdhsa_float_denorm_mode_32 3
		.amdhsa_float_denorm_mode_16_64 3
		.amdhsa_dx10_clamp 1
		.amdhsa_ieee_mode 1
		.amdhsa_fp16_overflow 0
		.amdhsa_workgroup_processor_mode 1
		.amdhsa_memory_ordered 1
		.amdhsa_forward_progress 0
		.amdhsa_shared_vgpr_count 0
		.amdhsa_exception_fp_ieee_invalid_op 0
		.amdhsa_exception_fp_denorm_src 0
		.amdhsa_exception_fp_ieee_div_zero 0
		.amdhsa_exception_fp_ieee_overflow 0
		.amdhsa_exception_fp_ieee_underflow 0
		.amdhsa_exception_fp_ieee_inexact 0
		.amdhsa_exception_int_div_zero 0
	.end_amdhsa_kernel
	.section	.text._ZN7rocprim17ROCPRIM_400000_NS6detail17trampoline_kernelINS0_14default_configENS1_22reduce_config_selectorIN6thrust23THRUST_200600_302600_NS5tupleIblNS6_9null_typeES8_S8_S8_S8_S8_S8_S8_EEEEZNS1_11reduce_implILb1ES3_PS9_SC_S9_NS6_11hip_rocprim9__find_if7functorIS9_EEEE10hipError_tPvRmT1_T2_T3_mT4_P12ihipStream_tbEUlT_E1_NS1_11comp_targetILNS1_3genE2ELNS1_11target_archE906ELNS1_3gpuE6ELNS1_3repE0EEENS1_30default_config_static_selectorELNS0_4arch9wavefront6targetE0EEEvSK_,"axG",@progbits,_ZN7rocprim17ROCPRIM_400000_NS6detail17trampoline_kernelINS0_14default_configENS1_22reduce_config_selectorIN6thrust23THRUST_200600_302600_NS5tupleIblNS6_9null_typeES8_S8_S8_S8_S8_S8_S8_EEEEZNS1_11reduce_implILb1ES3_PS9_SC_S9_NS6_11hip_rocprim9__find_if7functorIS9_EEEE10hipError_tPvRmT1_T2_T3_mT4_P12ihipStream_tbEUlT_E1_NS1_11comp_targetILNS1_3genE2ELNS1_11target_archE906ELNS1_3gpuE6ELNS1_3repE0EEENS1_30default_config_static_selectorELNS0_4arch9wavefront6targetE0EEEvSK_,comdat
.Lfunc_end1184:
	.size	_ZN7rocprim17ROCPRIM_400000_NS6detail17trampoline_kernelINS0_14default_configENS1_22reduce_config_selectorIN6thrust23THRUST_200600_302600_NS5tupleIblNS6_9null_typeES8_S8_S8_S8_S8_S8_S8_EEEEZNS1_11reduce_implILb1ES3_PS9_SC_S9_NS6_11hip_rocprim9__find_if7functorIS9_EEEE10hipError_tPvRmT1_T2_T3_mT4_P12ihipStream_tbEUlT_E1_NS1_11comp_targetILNS1_3genE2ELNS1_11target_archE906ELNS1_3gpuE6ELNS1_3repE0EEENS1_30default_config_static_selectorELNS0_4arch9wavefront6targetE0EEEvSK_, .Lfunc_end1184-_ZN7rocprim17ROCPRIM_400000_NS6detail17trampoline_kernelINS0_14default_configENS1_22reduce_config_selectorIN6thrust23THRUST_200600_302600_NS5tupleIblNS6_9null_typeES8_S8_S8_S8_S8_S8_S8_EEEEZNS1_11reduce_implILb1ES3_PS9_SC_S9_NS6_11hip_rocprim9__find_if7functorIS9_EEEE10hipError_tPvRmT1_T2_T3_mT4_P12ihipStream_tbEUlT_E1_NS1_11comp_targetILNS1_3genE2ELNS1_11target_archE906ELNS1_3gpuE6ELNS1_3repE0EEENS1_30default_config_static_selectorELNS0_4arch9wavefront6targetE0EEEvSK_
                                        ; -- End function
	.section	.AMDGPU.csdata,"",@progbits
; Kernel info:
; codeLenInByte = 0
; NumSgprs: 0
; NumVgprs: 0
; ScratchSize: 0
; MemoryBound: 0
; FloatMode: 240
; IeeeMode: 1
; LDSByteSize: 0 bytes/workgroup (compile time only)
; SGPRBlocks: 0
; VGPRBlocks: 0
; NumSGPRsForWavesPerEU: 1
; NumVGPRsForWavesPerEU: 1
; Occupancy: 16
; WaveLimiterHint : 0
; COMPUTE_PGM_RSRC2:SCRATCH_EN: 0
; COMPUTE_PGM_RSRC2:USER_SGPR: 15
; COMPUTE_PGM_RSRC2:TRAP_HANDLER: 0
; COMPUTE_PGM_RSRC2:TGID_X_EN: 1
; COMPUTE_PGM_RSRC2:TGID_Y_EN: 0
; COMPUTE_PGM_RSRC2:TGID_Z_EN: 0
; COMPUTE_PGM_RSRC2:TIDIG_COMP_CNT: 0
	.section	.text._ZN7rocprim17ROCPRIM_400000_NS6detail17trampoline_kernelINS0_14default_configENS1_22reduce_config_selectorIN6thrust23THRUST_200600_302600_NS5tupleIblNS6_9null_typeES8_S8_S8_S8_S8_S8_S8_EEEEZNS1_11reduce_implILb1ES3_PS9_SC_S9_NS6_11hip_rocprim9__find_if7functorIS9_EEEE10hipError_tPvRmT1_T2_T3_mT4_P12ihipStream_tbEUlT_E1_NS1_11comp_targetILNS1_3genE10ELNS1_11target_archE1201ELNS1_3gpuE5ELNS1_3repE0EEENS1_30default_config_static_selectorELNS0_4arch9wavefront6targetE0EEEvSK_,"axG",@progbits,_ZN7rocprim17ROCPRIM_400000_NS6detail17trampoline_kernelINS0_14default_configENS1_22reduce_config_selectorIN6thrust23THRUST_200600_302600_NS5tupleIblNS6_9null_typeES8_S8_S8_S8_S8_S8_S8_EEEEZNS1_11reduce_implILb1ES3_PS9_SC_S9_NS6_11hip_rocprim9__find_if7functorIS9_EEEE10hipError_tPvRmT1_T2_T3_mT4_P12ihipStream_tbEUlT_E1_NS1_11comp_targetILNS1_3genE10ELNS1_11target_archE1201ELNS1_3gpuE5ELNS1_3repE0EEENS1_30default_config_static_selectorELNS0_4arch9wavefront6targetE0EEEvSK_,comdat
	.protected	_ZN7rocprim17ROCPRIM_400000_NS6detail17trampoline_kernelINS0_14default_configENS1_22reduce_config_selectorIN6thrust23THRUST_200600_302600_NS5tupleIblNS6_9null_typeES8_S8_S8_S8_S8_S8_S8_EEEEZNS1_11reduce_implILb1ES3_PS9_SC_S9_NS6_11hip_rocprim9__find_if7functorIS9_EEEE10hipError_tPvRmT1_T2_T3_mT4_P12ihipStream_tbEUlT_E1_NS1_11comp_targetILNS1_3genE10ELNS1_11target_archE1201ELNS1_3gpuE5ELNS1_3repE0EEENS1_30default_config_static_selectorELNS0_4arch9wavefront6targetE0EEEvSK_ ; -- Begin function _ZN7rocprim17ROCPRIM_400000_NS6detail17trampoline_kernelINS0_14default_configENS1_22reduce_config_selectorIN6thrust23THRUST_200600_302600_NS5tupleIblNS6_9null_typeES8_S8_S8_S8_S8_S8_S8_EEEEZNS1_11reduce_implILb1ES3_PS9_SC_S9_NS6_11hip_rocprim9__find_if7functorIS9_EEEE10hipError_tPvRmT1_T2_T3_mT4_P12ihipStream_tbEUlT_E1_NS1_11comp_targetILNS1_3genE10ELNS1_11target_archE1201ELNS1_3gpuE5ELNS1_3repE0EEENS1_30default_config_static_selectorELNS0_4arch9wavefront6targetE0EEEvSK_
	.globl	_ZN7rocprim17ROCPRIM_400000_NS6detail17trampoline_kernelINS0_14default_configENS1_22reduce_config_selectorIN6thrust23THRUST_200600_302600_NS5tupleIblNS6_9null_typeES8_S8_S8_S8_S8_S8_S8_EEEEZNS1_11reduce_implILb1ES3_PS9_SC_S9_NS6_11hip_rocprim9__find_if7functorIS9_EEEE10hipError_tPvRmT1_T2_T3_mT4_P12ihipStream_tbEUlT_E1_NS1_11comp_targetILNS1_3genE10ELNS1_11target_archE1201ELNS1_3gpuE5ELNS1_3repE0EEENS1_30default_config_static_selectorELNS0_4arch9wavefront6targetE0EEEvSK_
	.p2align	8
	.type	_ZN7rocprim17ROCPRIM_400000_NS6detail17trampoline_kernelINS0_14default_configENS1_22reduce_config_selectorIN6thrust23THRUST_200600_302600_NS5tupleIblNS6_9null_typeES8_S8_S8_S8_S8_S8_S8_EEEEZNS1_11reduce_implILb1ES3_PS9_SC_S9_NS6_11hip_rocprim9__find_if7functorIS9_EEEE10hipError_tPvRmT1_T2_T3_mT4_P12ihipStream_tbEUlT_E1_NS1_11comp_targetILNS1_3genE10ELNS1_11target_archE1201ELNS1_3gpuE5ELNS1_3repE0EEENS1_30default_config_static_selectorELNS0_4arch9wavefront6targetE0EEEvSK_,@function
_ZN7rocprim17ROCPRIM_400000_NS6detail17trampoline_kernelINS0_14default_configENS1_22reduce_config_selectorIN6thrust23THRUST_200600_302600_NS5tupleIblNS6_9null_typeES8_S8_S8_S8_S8_S8_S8_EEEEZNS1_11reduce_implILb1ES3_PS9_SC_S9_NS6_11hip_rocprim9__find_if7functorIS9_EEEE10hipError_tPvRmT1_T2_T3_mT4_P12ihipStream_tbEUlT_E1_NS1_11comp_targetILNS1_3genE10ELNS1_11target_archE1201ELNS1_3gpuE5ELNS1_3repE0EEENS1_30default_config_static_selectorELNS0_4arch9wavefront6targetE0EEEvSK_: ; @_ZN7rocprim17ROCPRIM_400000_NS6detail17trampoline_kernelINS0_14default_configENS1_22reduce_config_selectorIN6thrust23THRUST_200600_302600_NS5tupleIblNS6_9null_typeES8_S8_S8_S8_S8_S8_S8_EEEEZNS1_11reduce_implILb1ES3_PS9_SC_S9_NS6_11hip_rocprim9__find_if7functorIS9_EEEE10hipError_tPvRmT1_T2_T3_mT4_P12ihipStream_tbEUlT_E1_NS1_11comp_targetILNS1_3genE10ELNS1_11target_archE1201ELNS1_3gpuE5ELNS1_3repE0EEENS1_30default_config_static_selectorELNS0_4arch9wavefront6targetE0EEEvSK_
; %bb.0:
	.section	.rodata,"a",@progbits
	.p2align	6, 0x0
	.amdhsa_kernel _ZN7rocprim17ROCPRIM_400000_NS6detail17trampoline_kernelINS0_14default_configENS1_22reduce_config_selectorIN6thrust23THRUST_200600_302600_NS5tupleIblNS6_9null_typeES8_S8_S8_S8_S8_S8_S8_EEEEZNS1_11reduce_implILb1ES3_PS9_SC_S9_NS6_11hip_rocprim9__find_if7functorIS9_EEEE10hipError_tPvRmT1_T2_T3_mT4_P12ihipStream_tbEUlT_E1_NS1_11comp_targetILNS1_3genE10ELNS1_11target_archE1201ELNS1_3gpuE5ELNS1_3repE0EEENS1_30default_config_static_selectorELNS0_4arch9wavefront6targetE0EEEvSK_
		.amdhsa_group_segment_fixed_size 0
		.amdhsa_private_segment_fixed_size 0
		.amdhsa_kernarg_size 56
		.amdhsa_user_sgpr_count 15
		.amdhsa_user_sgpr_dispatch_ptr 0
		.amdhsa_user_sgpr_queue_ptr 0
		.amdhsa_user_sgpr_kernarg_segment_ptr 1
		.amdhsa_user_sgpr_dispatch_id 0
		.amdhsa_user_sgpr_private_segment_size 0
		.amdhsa_wavefront_size32 1
		.amdhsa_uses_dynamic_stack 0
		.amdhsa_enable_private_segment 0
		.amdhsa_system_sgpr_workgroup_id_x 1
		.amdhsa_system_sgpr_workgroup_id_y 0
		.amdhsa_system_sgpr_workgroup_id_z 0
		.amdhsa_system_sgpr_workgroup_info 0
		.amdhsa_system_vgpr_workitem_id 0
		.amdhsa_next_free_vgpr 1
		.amdhsa_next_free_sgpr 1
		.amdhsa_reserve_vcc 0
		.amdhsa_float_round_mode_32 0
		.amdhsa_float_round_mode_16_64 0
		.amdhsa_float_denorm_mode_32 3
		.amdhsa_float_denorm_mode_16_64 3
		.amdhsa_dx10_clamp 1
		.amdhsa_ieee_mode 1
		.amdhsa_fp16_overflow 0
		.amdhsa_workgroup_processor_mode 1
		.amdhsa_memory_ordered 1
		.amdhsa_forward_progress 0
		.amdhsa_shared_vgpr_count 0
		.amdhsa_exception_fp_ieee_invalid_op 0
		.amdhsa_exception_fp_denorm_src 0
		.amdhsa_exception_fp_ieee_div_zero 0
		.amdhsa_exception_fp_ieee_overflow 0
		.amdhsa_exception_fp_ieee_underflow 0
		.amdhsa_exception_fp_ieee_inexact 0
		.amdhsa_exception_int_div_zero 0
	.end_amdhsa_kernel
	.section	.text._ZN7rocprim17ROCPRIM_400000_NS6detail17trampoline_kernelINS0_14default_configENS1_22reduce_config_selectorIN6thrust23THRUST_200600_302600_NS5tupleIblNS6_9null_typeES8_S8_S8_S8_S8_S8_S8_EEEEZNS1_11reduce_implILb1ES3_PS9_SC_S9_NS6_11hip_rocprim9__find_if7functorIS9_EEEE10hipError_tPvRmT1_T2_T3_mT4_P12ihipStream_tbEUlT_E1_NS1_11comp_targetILNS1_3genE10ELNS1_11target_archE1201ELNS1_3gpuE5ELNS1_3repE0EEENS1_30default_config_static_selectorELNS0_4arch9wavefront6targetE0EEEvSK_,"axG",@progbits,_ZN7rocprim17ROCPRIM_400000_NS6detail17trampoline_kernelINS0_14default_configENS1_22reduce_config_selectorIN6thrust23THRUST_200600_302600_NS5tupleIblNS6_9null_typeES8_S8_S8_S8_S8_S8_S8_EEEEZNS1_11reduce_implILb1ES3_PS9_SC_S9_NS6_11hip_rocprim9__find_if7functorIS9_EEEE10hipError_tPvRmT1_T2_T3_mT4_P12ihipStream_tbEUlT_E1_NS1_11comp_targetILNS1_3genE10ELNS1_11target_archE1201ELNS1_3gpuE5ELNS1_3repE0EEENS1_30default_config_static_selectorELNS0_4arch9wavefront6targetE0EEEvSK_,comdat
.Lfunc_end1185:
	.size	_ZN7rocprim17ROCPRIM_400000_NS6detail17trampoline_kernelINS0_14default_configENS1_22reduce_config_selectorIN6thrust23THRUST_200600_302600_NS5tupleIblNS6_9null_typeES8_S8_S8_S8_S8_S8_S8_EEEEZNS1_11reduce_implILb1ES3_PS9_SC_S9_NS6_11hip_rocprim9__find_if7functorIS9_EEEE10hipError_tPvRmT1_T2_T3_mT4_P12ihipStream_tbEUlT_E1_NS1_11comp_targetILNS1_3genE10ELNS1_11target_archE1201ELNS1_3gpuE5ELNS1_3repE0EEENS1_30default_config_static_selectorELNS0_4arch9wavefront6targetE0EEEvSK_, .Lfunc_end1185-_ZN7rocprim17ROCPRIM_400000_NS6detail17trampoline_kernelINS0_14default_configENS1_22reduce_config_selectorIN6thrust23THRUST_200600_302600_NS5tupleIblNS6_9null_typeES8_S8_S8_S8_S8_S8_S8_EEEEZNS1_11reduce_implILb1ES3_PS9_SC_S9_NS6_11hip_rocprim9__find_if7functorIS9_EEEE10hipError_tPvRmT1_T2_T3_mT4_P12ihipStream_tbEUlT_E1_NS1_11comp_targetILNS1_3genE10ELNS1_11target_archE1201ELNS1_3gpuE5ELNS1_3repE0EEENS1_30default_config_static_selectorELNS0_4arch9wavefront6targetE0EEEvSK_
                                        ; -- End function
	.section	.AMDGPU.csdata,"",@progbits
; Kernel info:
; codeLenInByte = 0
; NumSgprs: 0
; NumVgprs: 0
; ScratchSize: 0
; MemoryBound: 0
; FloatMode: 240
; IeeeMode: 1
; LDSByteSize: 0 bytes/workgroup (compile time only)
; SGPRBlocks: 0
; VGPRBlocks: 0
; NumSGPRsForWavesPerEU: 1
; NumVGPRsForWavesPerEU: 1
; Occupancy: 16
; WaveLimiterHint : 0
; COMPUTE_PGM_RSRC2:SCRATCH_EN: 0
; COMPUTE_PGM_RSRC2:USER_SGPR: 15
; COMPUTE_PGM_RSRC2:TRAP_HANDLER: 0
; COMPUTE_PGM_RSRC2:TGID_X_EN: 1
; COMPUTE_PGM_RSRC2:TGID_Y_EN: 0
; COMPUTE_PGM_RSRC2:TGID_Z_EN: 0
; COMPUTE_PGM_RSRC2:TIDIG_COMP_CNT: 0
	.section	.text._ZN7rocprim17ROCPRIM_400000_NS6detail17trampoline_kernelINS0_14default_configENS1_22reduce_config_selectorIN6thrust23THRUST_200600_302600_NS5tupleIblNS6_9null_typeES8_S8_S8_S8_S8_S8_S8_EEEEZNS1_11reduce_implILb1ES3_PS9_SC_S9_NS6_11hip_rocprim9__find_if7functorIS9_EEEE10hipError_tPvRmT1_T2_T3_mT4_P12ihipStream_tbEUlT_E1_NS1_11comp_targetILNS1_3genE10ELNS1_11target_archE1200ELNS1_3gpuE4ELNS1_3repE0EEENS1_30default_config_static_selectorELNS0_4arch9wavefront6targetE0EEEvSK_,"axG",@progbits,_ZN7rocprim17ROCPRIM_400000_NS6detail17trampoline_kernelINS0_14default_configENS1_22reduce_config_selectorIN6thrust23THRUST_200600_302600_NS5tupleIblNS6_9null_typeES8_S8_S8_S8_S8_S8_S8_EEEEZNS1_11reduce_implILb1ES3_PS9_SC_S9_NS6_11hip_rocprim9__find_if7functorIS9_EEEE10hipError_tPvRmT1_T2_T3_mT4_P12ihipStream_tbEUlT_E1_NS1_11comp_targetILNS1_3genE10ELNS1_11target_archE1200ELNS1_3gpuE4ELNS1_3repE0EEENS1_30default_config_static_selectorELNS0_4arch9wavefront6targetE0EEEvSK_,comdat
	.protected	_ZN7rocprim17ROCPRIM_400000_NS6detail17trampoline_kernelINS0_14default_configENS1_22reduce_config_selectorIN6thrust23THRUST_200600_302600_NS5tupleIblNS6_9null_typeES8_S8_S8_S8_S8_S8_S8_EEEEZNS1_11reduce_implILb1ES3_PS9_SC_S9_NS6_11hip_rocprim9__find_if7functorIS9_EEEE10hipError_tPvRmT1_T2_T3_mT4_P12ihipStream_tbEUlT_E1_NS1_11comp_targetILNS1_3genE10ELNS1_11target_archE1200ELNS1_3gpuE4ELNS1_3repE0EEENS1_30default_config_static_selectorELNS0_4arch9wavefront6targetE0EEEvSK_ ; -- Begin function _ZN7rocprim17ROCPRIM_400000_NS6detail17trampoline_kernelINS0_14default_configENS1_22reduce_config_selectorIN6thrust23THRUST_200600_302600_NS5tupleIblNS6_9null_typeES8_S8_S8_S8_S8_S8_S8_EEEEZNS1_11reduce_implILb1ES3_PS9_SC_S9_NS6_11hip_rocprim9__find_if7functorIS9_EEEE10hipError_tPvRmT1_T2_T3_mT4_P12ihipStream_tbEUlT_E1_NS1_11comp_targetILNS1_3genE10ELNS1_11target_archE1200ELNS1_3gpuE4ELNS1_3repE0EEENS1_30default_config_static_selectorELNS0_4arch9wavefront6targetE0EEEvSK_
	.globl	_ZN7rocprim17ROCPRIM_400000_NS6detail17trampoline_kernelINS0_14default_configENS1_22reduce_config_selectorIN6thrust23THRUST_200600_302600_NS5tupleIblNS6_9null_typeES8_S8_S8_S8_S8_S8_S8_EEEEZNS1_11reduce_implILb1ES3_PS9_SC_S9_NS6_11hip_rocprim9__find_if7functorIS9_EEEE10hipError_tPvRmT1_T2_T3_mT4_P12ihipStream_tbEUlT_E1_NS1_11comp_targetILNS1_3genE10ELNS1_11target_archE1200ELNS1_3gpuE4ELNS1_3repE0EEENS1_30default_config_static_selectorELNS0_4arch9wavefront6targetE0EEEvSK_
	.p2align	8
	.type	_ZN7rocprim17ROCPRIM_400000_NS6detail17trampoline_kernelINS0_14default_configENS1_22reduce_config_selectorIN6thrust23THRUST_200600_302600_NS5tupleIblNS6_9null_typeES8_S8_S8_S8_S8_S8_S8_EEEEZNS1_11reduce_implILb1ES3_PS9_SC_S9_NS6_11hip_rocprim9__find_if7functorIS9_EEEE10hipError_tPvRmT1_T2_T3_mT4_P12ihipStream_tbEUlT_E1_NS1_11comp_targetILNS1_3genE10ELNS1_11target_archE1200ELNS1_3gpuE4ELNS1_3repE0EEENS1_30default_config_static_selectorELNS0_4arch9wavefront6targetE0EEEvSK_,@function
_ZN7rocprim17ROCPRIM_400000_NS6detail17trampoline_kernelINS0_14default_configENS1_22reduce_config_selectorIN6thrust23THRUST_200600_302600_NS5tupleIblNS6_9null_typeES8_S8_S8_S8_S8_S8_S8_EEEEZNS1_11reduce_implILb1ES3_PS9_SC_S9_NS6_11hip_rocprim9__find_if7functorIS9_EEEE10hipError_tPvRmT1_T2_T3_mT4_P12ihipStream_tbEUlT_E1_NS1_11comp_targetILNS1_3genE10ELNS1_11target_archE1200ELNS1_3gpuE4ELNS1_3repE0EEENS1_30default_config_static_selectorELNS0_4arch9wavefront6targetE0EEEvSK_: ; @_ZN7rocprim17ROCPRIM_400000_NS6detail17trampoline_kernelINS0_14default_configENS1_22reduce_config_selectorIN6thrust23THRUST_200600_302600_NS5tupleIblNS6_9null_typeES8_S8_S8_S8_S8_S8_S8_EEEEZNS1_11reduce_implILb1ES3_PS9_SC_S9_NS6_11hip_rocprim9__find_if7functorIS9_EEEE10hipError_tPvRmT1_T2_T3_mT4_P12ihipStream_tbEUlT_E1_NS1_11comp_targetILNS1_3genE10ELNS1_11target_archE1200ELNS1_3gpuE4ELNS1_3repE0EEENS1_30default_config_static_selectorELNS0_4arch9wavefront6targetE0EEEvSK_
; %bb.0:
	.section	.rodata,"a",@progbits
	.p2align	6, 0x0
	.amdhsa_kernel _ZN7rocprim17ROCPRIM_400000_NS6detail17trampoline_kernelINS0_14default_configENS1_22reduce_config_selectorIN6thrust23THRUST_200600_302600_NS5tupleIblNS6_9null_typeES8_S8_S8_S8_S8_S8_S8_EEEEZNS1_11reduce_implILb1ES3_PS9_SC_S9_NS6_11hip_rocprim9__find_if7functorIS9_EEEE10hipError_tPvRmT1_T2_T3_mT4_P12ihipStream_tbEUlT_E1_NS1_11comp_targetILNS1_3genE10ELNS1_11target_archE1200ELNS1_3gpuE4ELNS1_3repE0EEENS1_30default_config_static_selectorELNS0_4arch9wavefront6targetE0EEEvSK_
		.amdhsa_group_segment_fixed_size 0
		.amdhsa_private_segment_fixed_size 0
		.amdhsa_kernarg_size 56
		.amdhsa_user_sgpr_count 15
		.amdhsa_user_sgpr_dispatch_ptr 0
		.amdhsa_user_sgpr_queue_ptr 0
		.amdhsa_user_sgpr_kernarg_segment_ptr 1
		.amdhsa_user_sgpr_dispatch_id 0
		.amdhsa_user_sgpr_private_segment_size 0
		.amdhsa_wavefront_size32 1
		.amdhsa_uses_dynamic_stack 0
		.amdhsa_enable_private_segment 0
		.amdhsa_system_sgpr_workgroup_id_x 1
		.amdhsa_system_sgpr_workgroup_id_y 0
		.amdhsa_system_sgpr_workgroup_id_z 0
		.amdhsa_system_sgpr_workgroup_info 0
		.amdhsa_system_vgpr_workitem_id 0
		.amdhsa_next_free_vgpr 1
		.amdhsa_next_free_sgpr 1
		.amdhsa_reserve_vcc 0
		.amdhsa_float_round_mode_32 0
		.amdhsa_float_round_mode_16_64 0
		.amdhsa_float_denorm_mode_32 3
		.amdhsa_float_denorm_mode_16_64 3
		.amdhsa_dx10_clamp 1
		.amdhsa_ieee_mode 1
		.amdhsa_fp16_overflow 0
		.amdhsa_workgroup_processor_mode 1
		.amdhsa_memory_ordered 1
		.amdhsa_forward_progress 0
		.amdhsa_shared_vgpr_count 0
		.amdhsa_exception_fp_ieee_invalid_op 0
		.amdhsa_exception_fp_denorm_src 0
		.amdhsa_exception_fp_ieee_div_zero 0
		.amdhsa_exception_fp_ieee_overflow 0
		.amdhsa_exception_fp_ieee_underflow 0
		.amdhsa_exception_fp_ieee_inexact 0
		.amdhsa_exception_int_div_zero 0
	.end_amdhsa_kernel
	.section	.text._ZN7rocprim17ROCPRIM_400000_NS6detail17trampoline_kernelINS0_14default_configENS1_22reduce_config_selectorIN6thrust23THRUST_200600_302600_NS5tupleIblNS6_9null_typeES8_S8_S8_S8_S8_S8_S8_EEEEZNS1_11reduce_implILb1ES3_PS9_SC_S9_NS6_11hip_rocprim9__find_if7functorIS9_EEEE10hipError_tPvRmT1_T2_T3_mT4_P12ihipStream_tbEUlT_E1_NS1_11comp_targetILNS1_3genE10ELNS1_11target_archE1200ELNS1_3gpuE4ELNS1_3repE0EEENS1_30default_config_static_selectorELNS0_4arch9wavefront6targetE0EEEvSK_,"axG",@progbits,_ZN7rocprim17ROCPRIM_400000_NS6detail17trampoline_kernelINS0_14default_configENS1_22reduce_config_selectorIN6thrust23THRUST_200600_302600_NS5tupleIblNS6_9null_typeES8_S8_S8_S8_S8_S8_S8_EEEEZNS1_11reduce_implILb1ES3_PS9_SC_S9_NS6_11hip_rocprim9__find_if7functorIS9_EEEE10hipError_tPvRmT1_T2_T3_mT4_P12ihipStream_tbEUlT_E1_NS1_11comp_targetILNS1_3genE10ELNS1_11target_archE1200ELNS1_3gpuE4ELNS1_3repE0EEENS1_30default_config_static_selectorELNS0_4arch9wavefront6targetE0EEEvSK_,comdat
.Lfunc_end1186:
	.size	_ZN7rocprim17ROCPRIM_400000_NS6detail17trampoline_kernelINS0_14default_configENS1_22reduce_config_selectorIN6thrust23THRUST_200600_302600_NS5tupleIblNS6_9null_typeES8_S8_S8_S8_S8_S8_S8_EEEEZNS1_11reduce_implILb1ES3_PS9_SC_S9_NS6_11hip_rocprim9__find_if7functorIS9_EEEE10hipError_tPvRmT1_T2_T3_mT4_P12ihipStream_tbEUlT_E1_NS1_11comp_targetILNS1_3genE10ELNS1_11target_archE1200ELNS1_3gpuE4ELNS1_3repE0EEENS1_30default_config_static_selectorELNS0_4arch9wavefront6targetE0EEEvSK_, .Lfunc_end1186-_ZN7rocprim17ROCPRIM_400000_NS6detail17trampoline_kernelINS0_14default_configENS1_22reduce_config_selectorIN6thrust23THRUST_200600_302600_NS5tupleIblNS6_9null_typeES8_S8_S8_S8_S8_S8_S8_EEEEZNS1_11reduce_implILb1ES3_PS9_SC_S9_NS6_11hip_rocprim9__find_if7functorIS9_EEEE10hipError_tPvRmT1_T2_T3_mT4_P12ihipStream_tbEUlT_E1_NS1_11comp_targetILNS1_3genE10ELNS1_11target_archE1200ELNS1_3gpuE4ELNS1_3repE0EEENS1_30default_config_static_selectorELNS0_4arch9wavefront6targetE0EEEvSK_
                                        ; -- End function
	.section	.AMDGPU.csdata,"",@progbits
; Kernel info:
; codeLenInByte = 0
; NumSgprs: 0
; NumVgprs: 0
; ScratchSize: 0
; MemoryBound: 0
; FloatMode: 240
; IeeeMode: 1
; LDSByteSize: 0 bytes/workgroup (compile time only)
; SGPRBlocks: 0
; VGPRBlocks: 0
; NumSGPRsForWavesPerEU: 1
; NumVGPRsForWavesPerEU: 1
; Occupancy: 16
; WaveLimiterHint : 0
; COMPUTE_PGM_RSRC2:SCRATCH_EN: 0
; COMPUTE_PGM_RSRC2:USER_SGPR: 15
; COMPUTE_PGM_RSRC2:TRAP_HANDLER: 0
; COMPUTE_PGM_RSRC2:TGID_X_EN: 1
; COMPUTE_PGM_RSRC2:TGID_Y_EN: 0
; COMPUTE_PGM_RSRC2:TGID_Z_EN: 0
; COMPUTE_PGM_RSRC2:TIDIG_COMP_CNT: 0
	.section	.text._ZN7rocprim17ROCPRIM_400000_NS6detail17trampoline_kernelINS0_14default_configENS1_22reduce_config_selectorIN6thrust23THRUST_200600_302600_NS5tupleIblNS6_9null_typeES8_S8_S8_S8_S8_S8_S8_EEEEZNS1_11reduce_implILb1ES3_PS9_SC_S9_NS6_11hip_rocprim9__find_if7functorIS9_EEEE10hipError_tPvRmT1_T2_T3_mT4_P12ihipStream_tbEUlT_E1_NS1_11comp_targetILNS1_3genE9ELNS1_11target_archE1100ELNS1_3gpuE3ELNS1_3repE0EEENS1_30default_config_static_selectorELNS0_4arch9wavefront6targetE0EEEvSK_,"axG",@progbits,_ZN7rocprim17ROCPRIM_400000_NS6detail17trampoline_kernelINS0_14default_configENS1_22reduce_config_selectorIN6thrust23THRUST_200600_302600_NS5tupleIblNS6_9null_typeES8_S8_S8_S8_S8_S8_S8_EEEEZNS1_11reduce_implILb1ES3_PS9_SC_S9_NS6_11hip_rocprim9__find_if7functorIS9_EEEE10hipError_tPvRmT1_T2_T3_mT4_P12ihipStream_tbEUlT_E1_NS1_11comp_targetILNS1_3genE9ELNS1_11target_archE1100ELNS1_3gpuE3ELNS1_3repE0EEENS1_30default_config_static_selectorELNS0_4arch9wavefront6targetE0EEEvSK_,comdat
	.protected	_ZN7rocprim17ROCPRIM_400000_NS6detail17trampoline_kernelINS0_14default_configENS1_22reduce_config_selectorIN6thrust23THRUST_200600_302600_NS5tupleIblNS6_9null_typeES8_S8_S8_S8_S8_S8_S8_EEEEZNS1_11reduce_implILb1ES3_PS9_SC_S9_NS6_11hip_rocprim9__find_if7functorIS9_EEEE10hipError_tPvRmT1_T2_T3_mT4_P12ihipStream_tbEUlT_E1_NS1_11comp_targetILNS1_3genE9ELNS1_11target_archE1100ELNS1_3gpuE3ELNS1_3repE0EEENS1_30default_config_static_selectorELNS0_4arch9wavefront6targetE0EEEvSK_ ; -- Begin function _ZN7rocprim17ROCPRIM_400000_NS6detail17trampoline_kernelINS0_14default_configENS1_22reduce_config_selectorIN6thrust23THRUST_200600_302600_NS5tupleIblNS6_9null_typeES8_S8_S8_S8_S8_S8_S8_EEEEZNS1_11reduce_implILb1ES3_PS9_SC_S9_NS6_11hip_rocprim9__find_if7functorIS9_EEEE10hipError_tPvRmT1_T2_T3_mT4_P12ihipStream_tbEUlT_E1_NS1_11comp_targetILNS1_3genE9ELNS1_11target_archE1100ELNS1_3gpuE3ELNS1_3repE0EEENS1_30default_config_static_selectorELNS0_4arch9wavefront6targetE0EEEvSK_
	.globl	_ZN7rocprim17ROCPRIM_400000_NS6detail17trampoline_kernelINS0_14default_configENS1_22reduce_config_selectorIN6thrust23THRUST_200600_302600_NS5tupleIblNS6_9null_typeES8_S8_S8_S8_S8_S8_S8_EEEEZNS1_11reduce_implILb1ES3_PS9_SC_S9_NS6_11hip_rocprim9__find_if7functorIS9_EEEE10hipError_tPvRmT1_T2_T3_mT4_P12ihipStream_tbEUlT_E1_NS1_11comp_targetILNS1_3genE9ELNS1_11target_archE1100ELNS1_3gpuE3ELNS1_3repE0EEENS1_30default_config_static_selectorELNS0_4arch9wavefront6targetE0EEEvSK_
	.p2align	8
	.type	_ZN7rocprim17ROCPRIM_400000_NS6detail17trampoline_kernelINS0_14default_configENS1_22reduce_config_selectorIN6thrust23THRUST_200600_302600_NS5tupleIblNS6_9null_typeES8_S8_S8_S8_S8_S8_S8_EEEEZNS1_11reduce_implILb1ES3_PS9_SC_S9_NS6_11hip_rocprim9__find_if7functorIS9_EEEE10hipError_tPvRmT1_T2_T3_mT4_P12ihipStream_tbEUlT_E1_NS1_11comp_targetILNS1_3genE9ELNS1_11target_archE1100ELNS1_3gpuE3ELNS1_3repE0EEENS1_30default_config_static_selectorELNS0_4arch9wavefront6targetE0EEEvSK_,@function
_ZN7rocprim17ROCPRIM_400000_NS6detail17trampoline_kernelINS0_14default_configENS1_22reduce_config_selectorIN6thrust23THRUST_200600_302600_NS5tupleIblNS6_9null_typeES8_S8_S8_S8_S8_S8_S8_EEEEZNS1_11reduce_implILb1ES3_PS9_SC_S9_NS6_11hip_rocprim9__find_if7functorIS9_EEEE10hipError_tPvRmT1_T2_T3_mT4_P12ihipStream_tbEUlT_E1_NS1_11comp_targetILNS1_3genE9ELNS1_11target_archE1100ELNS1_3gpuE3ELNS1_3repE0EEENS1_30default_config_static_selectorELNS0_4arch9wavefront6targetE0EEEvSK_: ; @_ZN7rocprim17ROCPRIM_400000_NS6detail17trampoline_kernelINS0_14default_configENS1_22reduce_config_selectorIN6thrust23THRUST_200600_302600_NS5tupleIblNS6_9null_typeES8_S8_S8_S8_S8_S8_S8_EEEEZNS1_11reduce_implILb1ES3_PS9_SC_S9_NS6_11hip_rocprim9__find_if7functorIS9_EEEE10hipError_tPvRmT1_T2_T3_mT4_P12ihipStream_tbEUlT_E1_NS1_11comp_targetILNS1_3genE9ELNS1_11target_archE1100ELNS1_3gpuE3ELNS1_3repE0EEENS1_30default_config_static_selectorELNS0_4arch9wavefront6targetE0EEEvSK_
; %bb.0:
	s_mov_b32 s10, s15
	s_clause 0x3
	s_load_b32 s19, s[0:1], 0x4
	s_load_b128 s[12:15], s[0:1], 0x8
	s_load_b32 s18, s[0:1], 0x20
	s_load_b64 s[16:17], s[0:1], 0x28
	s_waitcnt lgkmcnt(0)
	s_cmp_lt_i32 s19, 4
	s_cbranch_scc1 .LBB1187_21
; %bb.1:
	s_cmp_gt_i32 s19, 7
	s_cbranch_scc0 .LBB1187_22
; %bb.2:
	s_cmp_eq_u32 s19, 8
	s_mov_b32 s20, 0
	s_cbranch_scc0 .LBB1187_23
; %bb.3:
	s_mov_b32 s11, 0
	s_lshl_b32 s4, s10, 11
	s_mov_b32 s5, s11
	s_lshr_b64 s[6:7], s[14:15], 11
	s_lshl_b64 s[2:3], s[4:5], 4
	s_delay_alu instid0(SALU_CYCLE_1)
	s_add_u32 s8, s12, s2
	s_addc_u32 s9, s13, s3
	s_cmp_lg_u64 s[6:7], s[10:11]
	s_cbranch_scc0 .LBB1187_44
; %bb.4:
	v_lshlrev_b32_e32 v7, 4, v0
	s_mov_b32 s3, exec_lo
	s_delay_alu instid0(VALU_DEP_1) | instskip(NEXT) | instid1(VALU_DEP_1)
	v_add_co_u32 v15, s2, s8, v7
	v_add_co_ci_u32_e64 v16, null, s9, 0, s2
	s_delay_alu instid0(VALU_DEP_2) | instskip(NEXT) | instid1(VALU_DEP_2)
	v_add_co_u32 v1, vcc_lo, 0x1000, v15
	v_add_co_ci_u32_e32 v2, vcc_lo, 0, v16, vcc_lo
	v_add_co_u32 v24, vcc_lo, v15, 0x2000
	v_add_co_ci_u32_e32 v25, vcc_lo, 0, v16, vcc_lo
	;; [unrolled: 2-line block ×5, first 2 shown]
	s_clause 0x3
	global_load_u8 v22, v7, s[8:9]
	global_load_b64 v[13:14], v[1:2], off offset:8
	global_load_b64 v[11:12], v[3:4], off offset:8
	;; [unrolled: 1-line block ×3, first 2 shown]
	v_add_co_u32 v1, vcc_lo, 0x4000, v15
	v_add_co_ci_u32_e32 v2, vcc_lo, 0, v16, vcc_lo
	v_add_co_u32 v3, vcc_lo, 0x5000, v15
	v_add_co_ci_u32_e32 v4, vcc_lo, 0, v16, vcc_lo
	v_add_co_u32 v5, vcc_lo, v15, 0x6000
	v_add_co_ci_u32_e32 v6, vcc_lo, 0, v16, vcc_lo
	v_add_co_u32 v26, vcc_lo, 0x6000, v15
	v_add_co_ci_u32_e32 v27, vcc_lo, 0, v16, vcc_lo
	v_add_co_u32 v28, vcc_lo, 0x7000, v15
	v_add_co_ci_u32_e32 v29, vcc_lo, 0, v16, vcc_lo
	s_clause 0xa
	global_load_u8 v23, v[24:25], off
	global_load_u8 v21, v[9:10], off offset:-4096
	global_load_u8 v20, v[9:10], off
	global_load_u8 v19, v[5:6], off offset:-4096
	global_load_u8 v18, v[5:6], off
	global_load_b64 v[9:10], v[1:2], off offset:8
	global_load_b64 v[5:6], v[3:4], off offset:8
	;; [unrolled: 1-line block ×3, first 2 shown]
	global_load_u8 v17, v[28:29], off
	global_load_u8 v24, v[24:25], off offset:-4096
	global_load_b64 v[1:2], v[28:29], off offset:8
	s_waitcnt vmcnt(14)
	v_and_b32_e32 v25, 1, v22
	s_delay_alu instid0(VALU_DEP_1)
	v_cmpx_eq_u32_e32 1, v25
	s_cbranch_execz .LBB1187_6
; %bb.5:
	global_load_b64 v[15:16], v[15:16], off offset:8
	s_waitcnt vmcnt(2)
	v_and_b32_e32 v24, 1, v24
	s_delay_alu instid0(VALU_DEP_1) | instskip(NEXT) | instid1(VALU_DEP_1)
	v_cmp_eq_u32_e64 s2, 1, v24
	v_cndmask_b32_e64 v24, v22, 1, s2
	s_waitcnt vmcnt(0)
	v_cmp_lt_i64_e32 vcc_lo, v[13:14], v[15:16]
	v_cndmask_b32_e32 v14, v16, v14, vcc_lo
	s_and_b32 vcc_lo, s2, vcc_lo
	v_cndmask_b32_e32 v13, v15, v13, vcc_lo
	s_delay_alu instid0(VALU_DEP_2)
	v_cndmask_b32_e64 v14, v16, v14, s2
.LBB1187_6:
	s_or_b32 exec_lo, exec_lo, s3
	s_waitcnt vmcnt(10)
	v_and_b32_e32 v15, 1, v23
	s_delay_alu instid0(VALU_DEP_2) | instskip(NEXT) | instid1(VALU_DEP_2)
	v_cmp_lt_i64_e32 vcc_lo, v[11:12], v[13:14]
	v_cmp_eq_u32_e64 s2, 1, v15
	s_waitcnt vmcnt(1)
	v_and_b32_e32 v15, 1, v24
	s_delay_alu instid0(VALU_DEP_2) | instskip(SKIP_1) | instid1(VALU_DEP_2)
	s_and_b32 vcc_lo, s2, vcc_lo
	v_cndmask_b32_e64 v16, v24, 1, s2
	v_cmp_eq_u32_e64 s2, 1, v15
	v_cndmask_b32_e32 v14, v14, v12, vcc_lo
	s_delay_alu instid0(VALU_DEP_2) | instskip(NEXT) | instid1(VALU_DEP_2)
	v_cndmask_b32_e64 v15, v23, v16, s2
	v_cndmask_b32_e64 v12, v12, v14, s2
	v_cndmask_b32_e32 v13, v13, v11, vcc_lo
	s_delay_alu instid0(VALU_DEP_1) | instskip(SKIP_1) | instid1(VALU_DEP_2)
	v_cndmask_b32_e64 v11, v11, v13, s2
	v_and_b32_e32 v13, 1, v21
	v_cmp_lt_i64_e32 vcc_lo, v[7:8], v[11:12]
	s_delay_alu instid0(VALU_DEP_2) | instskip(SKIP_1) | instid1(VALU_DEP_2)
	v_cmp_eq_u32_e64 s2, 1, v13
	v_and_b32_e32 v13, 1, v15
	v_cndmask_b32_e64 v14, v15, 1, s2
	s_and_b32 vcc_lo, s2, vcc_lo
	s_delay_alu instid0(VALU_DEP_2) | instskip(SKIP_1) | instid1(VALU_DEP_2)
	v_cmp_eq_u32_e64 s2, 1, v13
	v_dual_cndmask_b32 v11, v11, v7 :: v_dual_cndmask_b32 v12, v12, v8
	v_cndmask_b32_e64 v13, v21, v14, s2
	s_delay_alu instid0(VALU_DEP_2) | instskip(NEXT) | instid1(VALU_DEP_3)
	v_cndmask_b32_e64 v7, v7, v11, s2
	v_cndmask_b32_e64 v8, v8, v12, s2
	v_and_b32_e32 v11, 1, v20
	s_delay_alu instid0(VALU_DEP_2) | instskip(NEXT) | instid1(VALU_DEP_2)
	v_cmp_lt_i64_e32 vcc_lo, v[9:10], v[7:8]
	v_cmp_eq_u32_e64 s2, 1, v11
	v_and_b32_e32 v11, 1, v13
	s_delay_alu instid0(VALU_DEP_2) | instskip(SKIP_1) | instid1(VALU_DEP_2)
	s_and_b32 vcc_lo, s2, vcc_lo
	v_cndmask_b32_e64 v12, v13, 1, s2
	v_cmp_eq_u32_e64 s2, 1, v11
	v_dual_cndmask_b32 v7, v7, v9 :: v_dual_cndmask_b32 v8, v8, v10
	s_delay_alu instid0(VALU_DEP_2) | instskip(SKIP_1) | instid1(VALU_DEP_3)
	v_cndmask_b32_e64 v11, v20, v12, s2
	v_and_b32_e32 v12, 1, v19
	v_cndmask_b32_e64 v7, v9, v7, s2
	s_delay_alu instid0(VALU_DEP_4) | instskip(NEXT) | instid1(VALU_DEP_4)
	v_cndmask_b32_e64 v8, v10, v8, s2
	v_and_b32_e32 v9, 1, v11
	s_delay_alu instid0(VALU_DEP_4) | instskip(NEXT) | instid1(VALU_DEP_3)
	v_cmp_eq_u32_e32 vcc_lo, 1, v12
	v_cmp_lt_i64_e64 s2, v[5:6], v[7:8]
	s_delay_alu instid0(VALU_DEP_3) | instskip(SKIP_1) | instid1(VALU_DEP_3)
	v_cmp_eq_u32_e64 s3, 1, v9
	v_cndmask_b32_e64 v10, v11, 1, vcc_lo
	s_and_b32 vcc_lo, vcc_lo, s2
	v_dual_cndmask_b32 v7, v7, v5 :: v_dual_cndmask_b32 v8, v8, v6
	s_delay_alu instid0(VALU_DEP_2) | instskip(SKIP_1) | instid1(VALU_DEP_3)
	v_cndmask_b32_e64 v9, v19, v10, s3
	v_and_b32_e32 v10, 1, v18
	v_cndmask_b32_e64 v5, v5, v7, s3
	s_delay_alu instid0(VALU_DEP_4) | instskip(NEXT) | instid1(VALU_DEP_4)
	v_cndmask_b32_e64 v6, v6, v8, s3
	v_and_b32_e32 v11, 1, v9
	s_delay_alu instid0(VALU_DEP_4) | instskip(NEXT) | instid1(VALU_DEP_3)
	v_cmp_eq_u32_e32 vcc_lo, 1, v10
	v_cmp_lt_i64_e64 s3, v[3:4], v[5:6]
	s_delay_alu instid0(VALU_DEP_3) | instskip(SKIP_1) | instid1(VALU_DEP_3)
	v_cmp_eq_u32_e64 s2, 1, v11
	v_cndmask_b32_e64 v9, v9, 1, vcc_lo
	s_and_b32 vcc_lo, vcc_lo, s3
	s_delay_alu instid0(VALU_DEP_1) | instskip(SKIP_1) | instid1(VALU_DEP_2)
	v_cndmask_b32_e64 v7, v18, v9, s2
	v_dual_cndmask_b32 v5, v5, v3 :: v_dual_and_b32 v8, 1, v17
	v_dual_cndmask_b32 v6, v6, v4 :: v_dual_and_b32 v9, 1, v7
	s_delay_alu instid0(VALU_DEP_2) | instskip(NEXT) | instid1(VALU_DEP_3)
	v_cmp_eq_u32_e32 vcc_lo, 1, v8
	v_cndmask_b32_e64 v3, v3, v5, s2
	s_delay_alu instid0(VALU_DEP_3) | instskip(NEXT) | instid1(VALU_DEP_4)
	v_cndmask_b32_e64 v4, v4, v6, s2
	v_cmp_eq_u32_e64 s2, 1, v9
	v_cndmask_b32_e64 v7, v7, 1, vcc_lo
	s_waitcnt vmcnt(0)
	s_delay_alu instid0(VALU_DEP_3) | instskip(NEXT) | instid1(VALU_DEP_2)
	v_cmp_lt_i64_e64 s3, v[1:2], v[3:4]
	v_cndmask_b32_e64 v7, v17, v7, s2
	s_delay_alu instid0(VALU_DEP_2) | instskip(NEXT) | instid1(VALU_DEP_1)
	s_and_b32 vcc_lo, vcc_lo, s3
	v_and_b32_e32 v5, 0xff, v7
	v_dual_cndmask_b32 v3, v3, v1 :: v_dual_cndmask_b32 v4, v4, v2
	v_and_b32_e32 v7, 1, v7
	s_delay_alu instid0(VALU_DEP_3) | instskip(NEXT) | instid1(VALU_DEP_3)
	v_mov_b32_dpp v6, v5 quad_perm:[1,0,3,2] row_mask:0xf bank_mask:0xf
	v_cndmask_b32_e64 v1, v1, v3, s2
	s_delay_alu instid0(VALU_DEP_4) | instskip(NEXT) | instid1(VALU_DEP_4)
	v_cndmask_b32_e64 v2, v2, v4, s2
	v_cmp_eq_u32_e64 s3, 1, v7
	s_mov_b32 s2, exec_lo
	v_and_b32_e32 v8, 1, v6
	v_mov_b32_dpp v3, v1 quad_perm:[1,0,3,2] row_mask:0xf bank_mask:0xf
	v_mov_b32_dpp v4, v2 quad_perm:[1,0,3,2] row_mask:0xf bank_mask:0xf
	s_delay_alu instid0(VALU_DEP_3)
	v_cmpx_eq_u32_e32 1, v8
	s_xor_b32 s5, exec_lo, s2
; %bb.7:
	v_cndmask_b32_e64 v5, v6, 1, s3
	s_delay_alu instid0(VALU_DEP_3) | instskip(NEXT) | instid1(VALU_DEP_2)
	v_cmp_lt_i64_e32 vcc_lo, v[1:2], v[3:4]
	v_and_b32_e32 v6, 1, v5
	v_and_b32_e32 v5, 0xff, v5
	s_and_b32 vcc_lo, s3, vcc_lo
	s_and_not1_b32 s3, s3, exec_lo
	v_dual_cndmask_b32 v2, v4, v2 :: v_dual_cndmask_b32 v1, v3, v1
	v_cmp_eq_u32_e64 s2, 1, v6
	s_delay_alu instid0(VALU_DEP_1) | instskip(NEXT) | instid1(SALU_CYCLE_1)
	s_and_b32 s2, s2, exec_lo
	s_or_b32 s3, s3, s2
; %bb.8:
	s_or_b32 exec_lo, exec_lo, s5
	v_mov_b32_dpp v6, v5 quad_perm:[2,3,0,1] row_mask:0xf bank_mask:0xf
	v_mov_b32_dpp v3, v1 quad_perm:[2,3,0,1] row_mask:0xf bank_mask:0xf
	;; [unrolled: 1-line block ×3, first 2 shown]
	s_mov_b32 s5, exec_lo
	s_delay_alu instid0(VALU_DEP_3) | instskip(NEXT) | instid1(VALU_DEP_1)
	v_and_b32_e32 v7, 1, v6
	v_cmpx_eq_u32_e32 1, v7
; %bb.9:
	v_cndmask_b32_e64 v5, v6, 1, s3
	v_cmp_lt_i64_e32 vcc_lo, v[1:2], v[3:4]
	s_delay_alu instid0(VALU_DEP_2)
	v_and_b32_e32 v6, 1, v5
	v_and_b32_e32 v5, 0xff, v5
	s_and_b32 vcc_lo, s3, vcc_lo
	s_and_not1_b32 s3, s3, exec_lo
	v_dual_cndmask_b32 v2, v4, v2 :: v_dual_cndmask_b32 v1, v3, v1
	v_cmp_eq_u32_e64 s2, 1, v6
	s_delay_alu instid0(VALU_DEP_1) | instskip(NEXT) | instid1(SALU_CYCLE_1)
	s_and_b32 s2, s2, exec_lo
	s_or_b32 s3, s3, s2
; %bb.10:
	s_or_b32 exec_lo, exec_lo, s5
	v_mov_b32_dpp v6, v5 row_ror:4 row_mask:0xf bank_mask:0xf
	v_mov_b32_dpp v3, v1 row_ror:4 row_mask:0xf bank_mask:0xf
	v_mov_b32_dpp v4, v2 row_ror:4 row_mask:0xf bank_mask:0xf
	s_mov_b32 s5, exec_lo
	s_delay_alu instid0(VALU_DEP_3) | instskip(NEXT) | instid1(VALU_DEP_1)
	v_and_b32_e32 v7, 1, v6
	v_cmpx_eq_u32_e32 1, v7
; %bb.11:
	v_cndmask_b32_e64 v5, v6, 1, s3
	v_cmp_lt_i64_e32 vcc_lo, v[1:2], v[3:4]
	s_delay_alu instid0(VALU_DEP_2)
	v_and_b32_e32 v6, 1, v5
	v_and_b32_e32 v5, 0xff, v5
	s_and_b32 vcc_lo, s3, vcc_lo
	s_and_not1_b32 s3, s3, exec_lo
	v_dual_cndmask_b32 v2, v4, v2 :: v_dual_cndmask_b32 v1, v3, v1
	v_cmp_eq_u32_e64 s2, 1, v6
	s_delay_alu instid0(VALU_DEP_1) | instskip(NEXT) | instid1(SALU_CYCLE_1)
	s_and_b32 s2, s2, exec_lo
	s_or_b32 s3, s3, s2
; %bb.12:
	s_or_b32 exec_lo, exec_lo, s5
	v_mov_b32_dpp v6, v5 row_ror:8 row_mask:0xf bank_mask:0xf
	v_mov_b32_dpp v3, v1 row_ror:8 row_mask:0xf bank_mask:0xf
	v_mov_b32_dpp v4, v2 row_ror:8 row_mask:0xf bank_mask:0xf
	s_mov_b32 s5, exec_lo
	s_delay_alu instid0(VALU_DEP_3) | instskip(NEXT) | instid1(VALU_DEP_1)
	v_and_b32_e32 v7, 1, v6
	v_cmpx_eq_u32_e32 1, v7
; %bb.13:
	v_cndmask_b32_e64 v5, v6, 1, s3
	v_cmp_lt_i64_e32 vcc_lo, v[1:2], v[3:4]
	s_delay_alu instid0(VALU_DEP_2)
	v_and_b32_e32 v6, 1, v5
	v_and_b32_e32 v5, 0xff, v5
	s_and_b32 vcc_lo, s3, vcc_lo
	s_and_not1_b32 s3, s3, exec_lo
	v_dual_cndmask_b32 v2, v4, v2 :: v_dual_cndmask_b32 v1, v3, v1
	v_cmp_eq_u32_e64 s2, 1, v6
	s_delay_alu instid0(VALU_DEP_1) | instskip(NEXT) | instid1(SALU_CYCLE_1)
	s_and_b32 s2, s2, exec_lo
	s_or_b32 s3, s3, s2
; %bb.14:
	s_or_b32 exec_lo, exec_lo, s5
	ds_swizzle_b32 v6, v5 offset:swizzle(BROADCAST,32,15)
	ds_swizzle_b32 v3, v1 offset:swizzle(BROADCAST,32,15)
	;; [unrolled: 1-line block ×3, first 2 shown]
	s_mov_b32 s2, exec_lo
	s_waitcnt lgkmcnt(2)
	v_and_b32_e32 v7, 1, v6
	s_delay_alu instid0(VALU_DEP_1)
	v_cmpx_eq_u32_e32 1, v7
	s_cbranch_execz .LBB1187_16
; %bb.15:
	s_waitcnt lgkmcnt(0)
	v_cmp_lt_i64_e32 vcc_lo, v[1:2], v[3:4]
	v_and_b32_e32 v5, 0xff, v6
	s_delay_alu instid0(VALU_DEP_1)
	v_cndmask_b32_e64 v5, v5, 1, s3
	s_and_b32 vcc_lo, s3, vcc_lo
	v_dual_cndmask_b32 v1, v3, v1 :: v_dual_cndmask_b32 v2, v4, v2
.LBB1187_16:
	s_or_b32 exec_lo, exec_lo, s2
	s_waitcnt lgkmcnt(1)
	v_mov_b32_e32 v3, 0
	s_mov_b32 s2, exec_lo
	ds_bpermute_b32 v6, v3, v5 offset:124
	ds_bpermute_b32 v1, v3, v1 offset:124
	;; [unrolled: 1-line block ×3, first 2 shown]
	v_mbcnt_lo_u32_b32 v3, -1, 0
	s_delay_alu instid0(VALU_DEP_1)
	v_cmpx_eq_u32_e32 0, v3
	s_cbranch_execz .LBB1187_18
; %bb.17:
	s_waitcnt lgkmcnt(3)
	v_lshrrev_b32_e32 v4, 1, v0
	s_delay_alu instid0(VALU_DEP_1)
	v_and_b32_e32 v4, 0x70, v4
	s_waitcnt lgkmcnt(2)
	ds_store_b8 v4, v6 offset:384
	s_waitcnt lgkmcnt(1)
	ds_store_b64 v4, v[1:2] offset:392
.LBB1187_18:
	s_or_b32 exec_lo, exec_lo, s2
	s_delay_alu instid0(SALU_CYCLE_1)
	s_mov_b32 s5, exec_lo
	s_waitcnt lgkmcnt(0)
	s_barrier
	buffer_gl0_inv
	v_cmpx_gt_u32_e32 32, v0
	s_cbranch_execz .LBB1187_20
; %bb.19:
	v_and_b32_e32 v6, 7, v3
	s_delay_alu instid0(VALU_DEP_1)
	v_lshlrev_b32_e32 v1, 4, v6
	v_cmp_ne_u32_e32 vcc_lo, 7, v6
	ds_load_u8 v7, v1 offset:384
	ds_load_b64 v[1:2], v1 offset:392
	v_add_co_ci_u32_e32 v4, vcc_lo, 0, v3, vcc_lo
	v_cmp_gt_u32_e32 vcc_lo, 6, v6
	s_delay_alu instid0(VALU_DEP_2)
	v_lshlrev_b32_e32 v5, 2, v4
	v_cndmask_b32_e64 v10, 0, 1, vcc_lo
	s_waitcnt lgkmcnt(1)
	v_and_b32_e32 v4, 0xff, v7
	v_and_b32_e32 v11, 1, v7
	ds_bpermute_b32 v8, v5, v4
	s_waitcnt lgkmcnt(1)
	ds_bpermute_b32 v4, v5, v1
	ds_bpermute_b32 v5, v5, v2
	v_cmp_eq_u32_e64 s3, 1, v11
	s_waitcnt lgkmcnt(2)
	v_and_b32_e32 v9, 1, v8
	s_waitcnt lgkmcnt(0)
	v_cmp_lt_i64_e64 s2, v[4:5], v[1:2]
	s_delay_alu instid0(VALU_DEP_2) | instskip(SKIP_2) | instid1(VALU_DEP_4)
	v_cmp_eq_u32_e32 vcc_lo, 1, v9
	v_lshlrev_b32_e32 v9, 1, v10
	v_cndmask_b32_e64 v7, v7, 1, vcc_lo
	s_and_b32 vcc_lo, vcc_lo, s2
	v_dual_cndmask_b32 v1, v1, v4 :: v_dual_cndmask_b32 v2, v2, v5
	s_delay_alu instid0(VALU_DEP_2) | instskip(SKIP_2) | instid1(VALU_DEP_4)
	v_cndmask_b32_e64 v7, v8, v7, s3
	v_add_lshl_u32 v8, v9, v3, 2
	v_cmp_gt_u32_e32 vcc_lo, 4, v6
	v_cndmask_b32_e64 v1, v4, v1, s3
	v_cndmask_b32_e64 v2, v5, v2, s3
	v_and_b32_e32 v9, 0xff, v7
	v_and_b32_e32 v10, 1, v7
	v_cndmask_b32_e64 v6, 0, 1, vcc_lo
	ds_bpermute_b32 v4, v8, v1
	ds_bpermute_b32 v5, v8, v2
	;; [unrolled: 1-line block ×3, first 2 shown]
	v_cmp_eq_u32_e64 s3, 1, v10
	s_waitcnt lgkmcnt(1)
	v_cmp_lt_i64_e64 s2, v[4:5], v[1:2]
	s_waitcnt lgkmcnt(0)
	v_and_b32_e32 v8, 1, v9
	s_delay_alu instid0(VALU_DEP_1) | instskip(SKIP_1) | instid1(VALU_DEP_4)
	v_cmp_eq_u32_e32 vcc_lo, 1, v8
	v_cndmask_b32_e64 v7, v7, 1, vcc_lo
	s_and_b32 vcc_lo, vcc_lo, s2
	v_dual_cndmask_b32 v1, v1, v4 :: v_dual_cndmask_b32 v2, v2, v5
	s_delay_alu instid0(VALU_DEP_2) | instskip(NEXT) | instid1(VALU_DEP_2)
	v_cndmask_b32_e64 v7, v9, v7, s3
	v_cndmask_b32_e64 v1, v4, v1, s3
	v_lshlrev_b32_e32 v6, 2, v6
	s_delay_alu instid0(VALU_DEP_4) | instskip(NEXT) | instid1(VALU_DEP_2)
	v_cndmask_b32_e64 v2, v5, v2, s3
	v_add_lshl_u32 v6, v6, v3, 2
	v_and_b32_e32 v3, 0xff, v7
	ds_bpermute_b32 v4, v6, v2
	ds_bpermute_b32 v5, v6, v3
	;; [unrolled: 1-line block ×3, first 2 shown]
	s_waitcnt lgkmcnt(1)
	v_and_b32_e32 v6, 1, v5
	s_waitcnt lgkmcnt(0)
	v_cmp_lt_i64_e32 vcc_lo, v[3:4], v[1:2]
	s_delay_alu instid0(VALU_DEP_2) | instskip(SKIP_1) | instid1(VALU_DEP_2)
	v_cmp_eq_u32_e64 s2, 1, v6
	v_and_b32_e32 v6, 1, v7
	v_cndmask_b32_e64 v7, v7, 1, s2
	s_and_b32 vcc_lo, s2, vcc_lo
	s_delay_alu instid0(VALU_DEP_2) | instskip(SKIP_1) | instid1(VALU_DEP_2)
	v_cmp_eq_u32_e64 s2, 1, v6
	v_dual_cndmask_b32 v1, v1, v3 :: v_dual_cndmask_b32 v2, v2, v4
	v_cndmask_b32_e64 v5, v5, v7, s2
	s_delay_alu instid0(VALU_DEP_2) | instskip(NEXT) | instid1(VALU_DEP_3)
	v_cndmask_b32_e64 v1, v3, v1, s2
	v_cndmask_b32_e64 v2, v4, v2, s2
	s_delay_alu instid0(VALU_DEP_3)
	v_and_b32_e32 v6, 0xff, v5
.LBB1187_20:
	s_or_b32 exec_lo, exec_lo, s5
	s_branch .LBB1187_89
.LBB1187_21:
	s_mov_b32 s8, 0
                                        ; implicit-def: $vgpr3_vgpr4
                                        ; implicit-def: $vgpr5
	s_cbranch_execnz .LBB1187_133
	s_branch .LBB1187_206
.LBB1187_22:
	s_mov_b32 s20, -1
.LBB1187_23:
	s_mov_b32 s8, 0
                                        ; implicit-def: $vgpr3_vgpr4
                                        ; implicit-def: $vgpr5
	s_and_b32 vcc_lo, exec_lo, s20
	s_cbranch_vccz .LBB1187_94
.LBB1187_24:
	s_cmp_eq_u32 s19, 4
	s_cbranch_scc0 .LBB1187_43
; %bb.25:
	s_mov_b32 s11, 0
	s_lshl_b32 s6, s10, 10
	s_mov_b32 s7, s11
	s_lshr_b64 s[20:21], s[14:15], 10
	s_lshl_b64 s[2:3], s[6:7], 4
	s_delay_alu instid0(SALU_CYCLE_1)
	s_add_u32 s4, s12, s2
	s_addc_u32 s5, s13, s3
	s_cmp_lg_u64 s[20:21], s[10:11]
	s_cbranch_scc0 .LBB1187_95
; %bb.26:
	v_lshlrev_b32_e32 v1, 4, v0
	s_mov_b32 s3, exec_lo
	s_delay_alu instid0(VALU_DEP_1) | instskip(NEXT) | instid1(VALU_DEP_1)
	v_add_co_u32 v7, s2, s4, v1
	v_add_co_ci_u32_e64 v8, null, s5, 0, s2
	global_load_u8 v11, v1, s[4:5]
	v_add_co_u32 v1, vcc_lo, 0x1000, v7
	v_add_co_ci_u32_e32 v2, vcc_lo, 0, v8, vcc_lo
	v_add_co_u32 v12, vcc_lo, v7, 0x2000
	v_add_co_ci_u32_e32 v13, vcc_lo, 0, v8, vcc_lo
	s_waitcnt lgkmcnt(1)
	v_add_co_u32 v3, vcc_lo, 0x2000, v7
	s_waitcnt lgkmcnt(0)
	v_add_co_ci_u32_e32 v4, vcc_lo, 0, v8, vcc_lo
	v_add_co_u32 v14, vcc_lo, 0x3000, v7
	v_add_co_ci_u32_e32 v15, vcc_lo, 0, v8, vcc_lo
	s_clause 0x5
	global_load_u8 v10, v[12:13], off
	global_load_b64 v[5:6], v[1:2], off offset:8
	global_load_b64 v[3:4], v[3:4], off offset:8
	global_load_u8 v9, v[14:15], off
	global_load_u8 v12, v[12:13], off offset:-4096
	global_load_b64 v[1:2], v[14:15], off offset:8
	s_waitcnt vmcnt(6)
	v_and_b32_e32 v13, 1, v11
	s_delay_alu instid0(VALU_DEP_1)
	v_cmpx_eq_u32_e32 1, v13
	s_cbranch_execz .LBB1187_28
; %bb.27:
	global_load_b64 v[7:8], v[7:8], off offset:8
	s_waitcnt vmcnt(2)
	v_and_b32_e32 v12, 1, v12
	s_delay_alu instid0(VALU_DEP_1) | instskip(NEXT) | instid1(VALU_DEP_1)
	v_cmp_eq_u32_e64 s2, 1, v12
	v_cndmask_b32_e64 v12, v11, 1, s2
	s_waitcnt vmcnt(0)
	v_cmp_lt_i64_e32 vcc_lo, v[5:6], v[7:8]
	v_cndmask_b32_e32 v6, v8, v6, vcc_lo
	s_and_b32 vcc_lo, s2, vcc_lo
	v_cndmask_b32_e32 v5, v7, v5, vcc_lo
	s_delay_alu instid0(VALU_DEP_2)
	v_cndmask_b32_e64 v6, v8, v6, s2
.LBB1187_28:
	s_or_b32 exec_lo, exec_lo, s3
	s_waitcnt vmcnt(5)
	v_and_b32_e32 v7, 1, v10
	s_waitcnt vmcnt(3)
	v_cmp_lt_i64_e32 vcc_lo, v[3:4], v[5:6]
	s_delay_alu instid0(VALU_DEP_2) | instskip(SKIP_2) | instid1(VALU_DEP_2)
	v_cmp_eq_u32_e64 s2, 1, v7
	s_waitcnt vmcnt(1)
	v_and_b32_e32 v7, 1, v12
	v_cndmask_b32_e64 v8, v12, 1, s2
	s_and_b32 vcc_lo, s2, vcc_lo
	s_delay_alu instid0(VALU_DEP_2) | instskip(SKIP_1) | instid1(VALU_DEP_2)
	v_cmp_eq_u32_e64 s2, 1, v7
	v_dual_cndmask_b32 v5, v5, v3 :: v_dual_cndmask_b32 v6, v6, v4
	v_cndmask_b32_e64 v7, v10, v8, s2
	v_and_b32_e32 v8, 1, v9
	s_delay_alu instid0(VALU_DEP_3) | instskip(NEXT) | instid1(VALU_DEP_4)
	v_cndmask_b32_e64 v3, v3, v5, s2
	v_cndmask_b32_e64 v4, v4, v6, s2
	s_delay_alu instid0(VALU_DEP_4) | instskip(NEXT) | instid1(VALU_DEP_4)
	v_and_b32_e32 v5, 1, v7
	v_cmp_eq_u32_e32 vcc_lo, 1, v8
	s_waitcnt vmcnt(0)
	s_delay_alu instid0(VALU_DEP_3) | instskip(NEXT) | instid1(VALU_DEP_3)
	v_cmp_lt_i64_e64 s3, v[1:2], v[3:4]
	v_cmp_eq_u32_e64 s2, 1, v5
	v_cndmask_b32_e64 v7, v7, 1, vcc_lo
	s_delay_alu instid0(VALU_DEP_3) | instskip(NEXT) | instid1(VALU_DEP_1)
	s_and_b32 vcc_lo, vcc_lo, s3
	v_cndmask_b32_e64 v7, v9, v7, s2
	s_delay_alu instid0(VALU_DEP_1) | instskip(NEXT) | instid1(VALU_DEP_1)
	v_dual_cndmask_b32 v4, v4, v2 :: v_dual_and_b32 v5, 0xff, v7
	v_cndmask_b32_e64 v2, v2, v4, s2
	v_and_b32_e32 v7, 1, v7
	s_delay_alu instid0(VALU_DEP_3) | instskip(SKIP_1) | instid1(VALU_DEP_4)
	v_mov_b32_dpp v6, v5 quad_perm:[1,0,3,2] row_mask:0xf bank_mask:0xf
	v_cndmask_b32_e32 v3, v3, v1, vcc_lo
	v_mov_b32_dpp v4, v2 quad_perm:[1,0,3,2] row_mask:0xf bank_mask:0xf
	s_delay_alu instid0(VALU_DEP_4) | instskip(NEXT) | instid1(VALU_DEP_4)
	v_cmp_eq_u32_e64 s3, 1, v7
	v_and_b32_e32 v8, 1, v6
	s_delay_alu instid0(VALU_DEP_4) | instskip(SKIP_1) | instid1(VALU_DEP_1)
	v_cndmask_b32_e64 v1, v1, v3, s2
	s_mov_b32 s2, exec_lo
	v_mov_b32_dpp v3, v1 quad_perm:[1,0,3,2] row_mask:0xf bank_mask:0xf
	s_delay_alu instid0(VALU_DEP_3)
	v_cmpx_eq_u32_e32 1, v8
	s_xor_b32 s7, exec_lo, s2
; %bb.29:
	v_cndmask_b32_e64 v5, v6, 1, s3
	s_delay_alu instid0(VALU_DEP_3) | instskip(NEXT) | instid1(VALU_DEP_2)
	v_cmp_lt_i64_e32 vcc_lo, v[1:2], v[3:4]
	v_and_b32_e32 v6, 1, v5
	v_and_b32_e32 v5, 0xff, v5
	s_and_b32 vcc_lo, s3, vcc_lo
	s_and_not1_b32 s3, s3, exec_lo
	v_dual_cndmask_b32 v2, v4, v2 :: v_dual_cndmask_b32 v1, v3, v1
	v_cmp_eq_u32_e64 s2, 1, v6
	s_delay_alu instid0(VALU_DEP_1) | instskip(NEXT) | instid1(SALU_CYCLE_1)
	s_and_b32 s2, s2, exec_lo
	s_or_b32 s3, s3, s2
; %bb.30:
	s_or_b32 exec_lo, exec_lo, s7
	v_mov_b32_dpp v6, v5 quad_perm:[2,3,0,1] row_mask:0xf bank_mask:0xf
	v_mov_b32_dpp v3, v1 quad_perm:[2,3,0,1] row_mask:0xf bank_mask:0xf
	;; [unrolled: 1-line block ×3, first 2 shown]
	s_mov_b32 s7, exec_lo
	s_delay_alu instid0(VALU_DEP_3) | instskip(NEXT) | instid1(VALU_DEP_1)
	v_and_b32_e32 v7, 1, v6
	v_cmpx_eq_u32_e32 1, v7
; %bb.31:
	v_cndmask_b32_e64 v5, v6, 1, s3
	v_cmp_lt_i64_e32 vcc_lo, v[1:2], v[3:4]
	s_delay_alu instid0(VALU_DEP_2)
	v_and_b32_e32 v6, 1, v5
	v_and_b32_e32 v5, 0xff, v5
	s_and_b32 vcc_lo, s3, vcc_lo
	s_and_not1_b32 s3, s3, exec_lo
	v_dual_cndmask_b32 v2, v4, v2 :: v_dual_cndmask_b32 v1, v3, v1
	v_cmp_eq_u32_e64 s2, 1, v6
	s_delay_alu instid0(VALU_DEP_1) | instskip(NEXT) | instid1(SALU_CYCLE_1)
	s_and_b32 s2, s2, exec_lo
	s_or_b32 s3, s3, s2
; %bb.32:
	s_or_b32 exec_lo, exec_lo, s7
	v_mov_b32_dpp v6, v5 row_ror:4 row_mask:0xf bank_mask:0xf
	v_mov_b32_dpp v3, v1 row_ror:4 row_mask:0xf bank_mask:0xf
	;; [unrolled: 1-line block ×3, first 2 shown]
	s_mov_b32 s7, exec_lo
	s_delay_alu instid0(VALU_DEP_3) | instskip(NEXT) | instid1(VALU_DEP_1)
	v_and_b32_e32 v7, 1, v6
	v_cmpx_eq_u32_e32 1, v7
; %bb.33:
	v_cndmask_b32_e64 v5, v6, 1, s3
	v_cmp_lt_i64_e32 vcc_lo, v[1:2], v[3:4]
	s_delay_alu instid0(VALU_DEP_2)
	v_and_b32_e32 v6, 1, v5
	v_and_b32_e32 v5, 0xff, v5
	s_and_b32 vcc_lo, s3, vcc_lo
	s_and_not1_b32 s3, s3, exec_lo
	v_dual_cndmask_b32 v2, v4, v2 :: v_dual_cndmask_b32 v1, v3, v1
	v_cmp_eq_u32_e64 s2, 1, v6
	s_delay_alu instid0(VALU_DEP_1) | instskip(NEXT) | instid1(SALU_CYCLE_1)
	s_and_b32 s2, s2, exec_lo
	s_or_b32 s3, s3, s2
; %bb.34:
	s_or_b32 exec_lo, exec_lo, s7
	v_mov_b32_dpp v6, v5 row_ror:8 row_mask:0xf bank_mask:0xf
	v_mov_b32_dpp v3, v1 row_ror:8 row_mask:0xf bank_mask:0xf
	;; [unrolled: 1-line block ×3, first 2 shown]
	s_mov_b32 s7, exec_lo
	s_delay_alu instid0(VALU_DEP_3) | instskip(NEXT) | instid1(VALU_DEP_1)
	v_and_b32_e32 v7, 1, v6
	v_cmpx_eq_u32_e32 1, v7
; %bb.35:
	v_cndmask_b32_e64 v5, v6, 1, s3
	v_cmp_lt_i64_e32 vcc_lo, v[1:2], v[3:4]
	s_delay_alu instid0(VALU_DEP_2)
	v_and_b32_e32 v6, 1, v5
	v_and_b32_e32 v5, 0xff, v5
	s_and_b32 vcc_lo, s3, vcc_lo
	s_and_not1_b32 s3, s3, exec_lo
	v_dual_cndmask_b32 v2, v4, v2 :: v_dual_cndmask_b32 v1, v3, v1
	v_cmp_eq_u32_e64 s2, 1, v6
	s_delay_alu instid0(VALU_DEP_1) | instskip(NEXT) | instid1(SALU_CYCLE_1)
	s_and_b32 s2, s2, exec_lo
	s_or_b32 s3, s3, s2
; %bb.36:
	s_or_b32 exec_lo, exec_lo, s7
	ds_swizzle_b32 v6, v5 offset:swizzle(BROADCAST,32,15)
	ds_swizzle_b32 v3, v1 offset:swizzle(BROADCAST,32,15)
	ds_swizzle_b32 v4, v2 offset:swizzle(BROADCAST,32,15)
	s_mov_b32 s2, exec_lo
	s_waitcnt lgkmcnt(2)
	v_and_b32_e32 v7, 1, v6
	s_delay_alu instid0(VALU_DEP_1)
	v_cmpx_eq_u32_e32 1, v7
	s_cbranch_execz .LBB1187_38
; %bb.37:
	s_waitcnt lgkmcnt(0)
	v_cmp_lt_i64_e32 vcc_lo, v[1:2], v[3:4]
	v_and_b32_e32 v5, 0xff, v6
	s_delay_alu instid0(VALU_DEP_1)
	v_cndmask_b32_e64 v5, v5, 1, s3
	s_and_b32 vcc_lo, s3, vcc_lo
	v_dual_cndmask_b32 v1, v3, v1 :: v_dual_cndmask_b32 v2, v4, v2
.LBB1187_38:
	s_or_b32 exec_lo, exec_lo, s2
	s_waitcnt lgkmcnt(1)
	v_mov_b32_e32 v3, 0
	s_mov_b32 s2, exec_lo
	ds_bpermute_b32 v6, v3, v5 offset:124
	ds_bpermute_b32 v1, v3, v1 offset:124
	;; [unrolled: 1-line block ×3, first 2 shown]
	v_mbcnt_lo_u32_b32 v3, -1, 0
	s_delay_alu instid0(VALU_DEP_1)
	v_cmpx_eq_u32_e32 0, v3
	s_cbranch_execz .LBB1187_40
; %bb.39:
	s_waitcnt lgkmcnt(3)
	v_lshrrev_b32_e32 v4, 1, v0
	s_delay_alu instid0(VALU_DEP_1)
	v_and_b32_e32 v4, 0x70, v4
	s_waitcnt lgkmcnt(2)
	ds_store_b8 v4, v6 offset:256
	s_waitcnt lgkmcnt(1)
	ds_store_b64 v4, v[1:2] offset:264
.LBB1187_40:
	s_or_b32 exec_lo, exec_lo, s2
	s_delay_alu instid0(SALU_CYCLE_1)
	s_mov_b32 s7, exec_lo
	s_waitcnt lgkmcnt(0)
	s_barrier
	buffer_gl0_inv
	v_cmpx_gt_u32_e32 32, v0
	s_cbranch_execz .LBB1187_42
; %bb.41:
	v_and_b32_e32 v6, 7, v3
	s_delay_alu instid0(VALU_DEP_1)
	v_lshlrev_b32_e32 v1, 4, v6
	v_cmp_ne_u32_e32 vcc_lo, 7, v6
	ds_load_u8 v7, v1 offset:256
	ds_load_b64 v[1:2], v1 offset:264
	v_add_co_ci_u32_e32 v4, vcc_lo, 0, v3, vcc_lo
	v_cmp_gt_u32_e32 vcc_lo, 6, v6
	s_delay_alu instid0(VALU_DEP_2)
	v_lshlrev_b32_e32 v5, 2, v4
	v_cndmask_b32_e64 v10, 0, 1, vcc_lo
	s_waitcnt lgkmcnt(1)
	v_and_b32_e32 v4, 0xff, v7
	v_and_b32_e32 v11, 1, v7
	ds_bpermute_b32 v8, v5, v4
	s_waitcnt lgkmcnt(1)
	ds_bpermute_b32 v4, v5, v1
	ds_bpermute_b32 v5, v5, v2
	v_cmp_eq_u32_e64 s3, 1, v11
	s_waitcnt lgkmcnt(2)
	v_and_b32_e32 v9, 1, v8
	s_waitcnt lgkmcnt(0)
	v_cmp_lt_i64_e64 s2, v[4:5], v[1:2]
	s_delay_alu instid0(VALU_DEP_2) | instskip(SKIP_2) | instid1(VALU_DEP_4)
	v_cmp_eq_u32_e32 vcc_lo, 1, v9
	v_lshlrev_b32_e32 v9, 1, v10
	v_cndmask_b32_e64 v7, v7, 1, vcc_lo
	s_and_b32 vcc_lo, vcc_lo, s2
	v_dual_cndmask_b32 v1, v1, v4 :: v_dual_cndmask_b32 v2, v2, v5
	s_delay_alu instid0(VALU_DEP_2) | instskip(SKIP_2) | instid1(VALU_DEP_4)
	v_cndmask_b32_e64 v7, v8, v7, s3
	v_add_lshl_u32 v8, v9, v3, 2
	v_cmp_gt_u32_e32 vcc_lo, 4, v6
	v_cndmask_b32_e64 v1, v4, v1, s3
	v_cndmask_b32_e64 v2, v5, v2, s3
	v_and_b32_e32 v9, 0xff, v7
	v_and_b32_e32 v10, 1, v7
	v_cndmask_b32_e64 v6, 0, 1, vcc_lo
	ds_bpermute_b32 v4, v8, v1
	ds_bpermute_b32 v5, v8, v2
	;; [unrolled: 1-line block ×3, first 2 shown]
	v_cmp_eq_u32_e64 s3, 1, v10
	s_waitcnt lgkmcnt(1)
	v_cmp_lt_i64_e64 s2, v[4:5], v[1:2]
	s_waitcnt lgkmcnt(0)
	v_and_b32_e32 v8, 1, v9
	s_delay_alu instid0(VALU_DEP_1) | instskip(SKIP_1) | instid1(VALU_DEP_4)
	v_cmp_eq_u32_e32 vcc_lo, 1, v8
	v_cndmask_b32_e64 v7, v7, 1, vcc_lo
	s_and_b32 vcc_lo, vcc_lo, s2
	v_dual_cndmask_b32 v1, v1, v4 :: v_dual_cndmask_b32 v2, v2, v5
	s_delay_alu instid0(VALU_DEP_2) | instskip(NEXT) | instid1(VALU_DEP_2)
	v_cndmask_b32_e64 v7, v9, v7, s3
	v_cndmask_b32_e64 v1, v4, v1, s3
	v_lshlrev_b32_e32 v6, 2, v6
	s_delay_alu instid0(VALU_DEP_4) | instskip(NEXT) | instid1(VALU_DEP_2)
	v_cndmask_b32_e64 v2, v5, v2, s3
	v_add_lshl_u32 v6, v6, v3, 2
	v_and_b32_e32 v3, 0xff, v7
	ds_bpermute_b32 v4, v6, v2
	ds_bpermute_b32 v5, v6, v3
	;; [unrolled: 1-line block ×3, first 2 shown]
	s_waitcnt lgkmcnt(1)
	v_and_b32_e32 v6, 1, v5
	s_waitcnt lgkmcnt(0)
	v_cmp_lt_i64_e32 vcc_lo, v[3:4], v[1:2]
	s_delay_alu instid0(VALU_DEP_2) | instskip(SKIP_1) | instid1(VALU_DEP_2)
	v_cmp_eq_u32_e64 s2, 1, v6
	v_and_b32_e32 v6, 1, v7
	v_cndmask_b32_e64 v7, v7, 1, s2
	s_and_b32 vcc_lo, s2, vcc_lo
	s_delay_alu instid0(VALU_DEP_2) | instskip(SKIP_1) | instid1(VALU_DEP_2)
	v_cmp_eq_u32_e64 s2, 1, v6
	v_dual_cndmask_b32 v1, v1, v3 :: v_dual_cndmask_b32 v2, v2, v4
	v_cndmask_b32_e64 v5, v5, v7, s2
	s_delay_alu instid0(VALU_DEP_2) | instskip(NEXT) | instid1(VALU_DEP_3)
	v_cndmask_b32_e64 v1, v3, v1, s2
	v_cndmask_b32_e64 v2, v4, v2, s2
	s_delay_alu instid0(VALU_DEP_3)
	v_and_b32_e32 v6, 0xff, v5
.LBB1187_42:
	s_or_b32 exec_lo, exec_lo, s7
	s_branch .LBB1187_128
.LBB1187_43:
                                        ; implicit-def: $vgpr3_vgpr4
                                        ; implicit-def: $vgpr5
	s_branch .LBB1187_206
.LBB1187_44:
                                        ; implicit-def: $vgpr1_vgpr2
                                        ; implicit-def: $vgpr6
	s_cbranch_execz .LBB1187_89
; %bb.45:
	v_mov_b32_e32 v13, 0
	v_dual_mov_b32 v14, 0 :: v_dual_mov_b32 v23, 0
	s_delay_alu instid0(VALU_DEP_2) | instskip(SKIP_2) | instid1(VALU_DEP_3)
	v_mov_b32_e32 v1, v13
	v_mov_b32_e32 v17, 0
	s_sub_i32 s21, s14, s4
	v_mov_b32_e32 v2, v14
	s_mov_b32 s2, exec_lo
	v_cmpx_gt_u32_e64 s21, v0
; %bb.46:
	v_lshlrev_b32_e32 v1, 4, v0
	s_clause 0x1
	global_load_u8 v17, v1, s[8:9]
	global_load_b64 v[1:2], v1, s[8:9] offset:8
; %bb.47:
	s_or_b32 exec_lo, exec_lo, s2
	v_or_b32_e32 v3, 0x100, v0
	s_delay_alu instid0(VALU_DEP_1) | instskip(NEXT) | instid1(VALU_DEP_1)
	v_cmp_gt_u32_e64 s7, s21, v3
	s_and_saveexec_b32 s2, s7
; %bb.48:
	v_lshlrev_b32_e32 v3, 4, v3
	s_clause 0x1
	global_load_u8 v23, v3, s[8:9]
	global_load_b64 v[13:14], v3, s[8:9] offset:8
; %bb.49:
	s_or_b32 exec_lo, exec_lo, s2
	v_dual_mov_b32 v9, 0 :: v_dual_mov_b32 v24, 0
	v_dual_mov_b32 v10, 0 :: v_dual_mov_b32 v21, 0
	v_or_b32_e32 v3, 0x200, v0
	s_delay_alu instid0(VALU_DEP_2) | instskip(NEXT) | instid1(VALU_DEP_2)
	v_dual_mov_b32 v16, v10 :: v_dual_mov_b32 v15, v9
	v_cmp_gt_u32_e64 s6, s21, v3
	s_delay_alu instid0(VALU_DEP_1)
	s_and_saveexec_b32 s2, s6
; %bb.50:
	v_lshlrev_b32_e32 v3, 4, v3
	s_clause 0x1
	global_load_u8 v24, v3, s[8:9]
	global_load_b64 v[15:16], v3, s[8:9] offset:8
; %bb.51:
	s_or_b32 exec_lo, exec_lo, s2
	v_or_b32_e32 v3, 0x300, v0
	s_delay_alu instid0(VALU_DEP_1) | instskip(NEXT) | instid1(VALU_DEP_1)
	v_cmp_gt_u32_e64 s5, s21, v3
	s_and_saveexec_b32 s2, s5
; %bb.52:
	v_lshlrev_b32_e32 v3, 4, v3
	s_clause 0x1
	global_load_u8 v21, v3, s[8:9]
	global_load_b64 v[9:10], v3, s[8:9] offset:8
; %bb.53:
	s_or_b32 exec_lo, exec_lo, s2
	v_dual_mov_b32 v5, 0 :: v_dual_mov_b32 v22, 0
	v_dual_mov_b32 v6, 0 :: v_dual_mov_b32 v19, 0
	v_or_b32_e32 v3, 0x400, v0
	s_delay_alu instid0(VALU_DEP_2) | instskip(NEXT) | instid1(VALU_DEP_2)
	v_dual_mov_b32 v12, v6 :: v_dual_mov_b32 v11, v5
	v_cmp_gt_u32_e64 s4, s21, v3
	s_delay_alu instid0(VALU_DEP_1)
	s_and_saveexec_b32 s2, s4
; %bb.54:
	v_lshlrev_b32_e32 v3, 4, v3
	s_clause 0x1
	global_load_u8 v22, v3, s[8:9]
	global_load_b64 v[11:12], v3, s[8:9] offset:8
; %bb.55:
	s_or_b32 exec_lo, exec_lo, s2
	v_or_b32_e32 v3, 0x500, v0
	s_delay_alu instid0(VALU_DEP_1) | instskip(NEXT) | instid1(VALU_DEP_1)
	v_cmp_gt_u32_e64 s3, s21, v3
	s_and_saveexec_b32 s2, s3
; %bb.56:
	v_lshlrev_b32_e32 v3, 4, v3
	s_clause 0x1
	global_load_u8 v19, v3, s[8:9]
	global_load_b64 v[5:6], v3, s[8:9] offset:8
; %bb.57:
	s_or_b32 exec_lo, exec_lo, s2
	v_dual_mov_b32 v3, 0 :: v_dual_mov_b32 v18, 0
	v_mov_b32_e32 v4, 0
	v_or_b32_e32 v25, 0x600, v0
	v_mov_b32_e32 v20, 0
	s_delay_alu instid0(VALU_DEP_3) | instskip(NEXT) | instid1(VALU_DEP_3)
	v_dual_mov_b32 v8, v4 :: v_dual_mov_b32 v7, v3
	v_cmp_gt_u32_e64 s2, s21, v25
	s_delay_alu instid0(VALU_DEP_1)
	s_and_saveexec_b32 s22, s2
; %bb.58:
	v_lshlrev_b32_e32 v7, 4, v25
	s_clause 0x1
	global_load_u8 v20, v7, s[8:9]
	global_load_b64 v[7:8], v7, s[8:9] offset:8
; %bb.59:
	s_or_b32 exec_lo, exec_lo, s22
	v_or_b32_e32 v25, 0x700, v0
	s_delay_alu instid0(VALU_DEP_1)
	v_cmp_gt_u32_e32 vcc_lo, s21, v25
	s_and_saveexec_b32 s22, vcc_lo
	s_cbranch_execnz .LBB1187_238
; %bb.60:
	s_or_b32 exec_lo, exec_lo, s22
	s_and_saveexec_b32 s9, s7
	s_cbranch_execnz .LBB1187_239
.LBB1187_61:
	s_or_b32 exec_lo, exec_lo, s9
	s_and_saveexec_b32 s8, s6
	s_cbranch_execnz .LBB1187_240
.LBB1187_62:
	s_or_b32 exec_lo, exec_lo, s8
	s_and_saveexec_b32 s7, s5
	s_cbranch_execnz .LBB1187_241
.LBB1187_63:
	s_or_b32 exec_lo, exec_lo, s7
	s_and_saveexec_b32 s6, s4
	s_cbranch_execnz .LBB1187_242
.LBB1187_64:
	s_or_b32 exec_lo, exec_lo, s6
	s_and_saveexec_b32 s5, s3
	s_cbranch_execnz .LBB1187_243
.LBB1187_65:
	s_or_b32 exec_lo, exec_lo, s5
	s_and_saveexec_b32 s4, s2
	s_cbranch_execnz .LBB1187_244
.LBB1187_66:
	s_or_b32 exec_lo, exec_lo, s4
	s_and_saveexec_b32 s3, vcc_lo
	s_cbranch_execz .LBB1187_68
.LBB1187_67:
	s_waitcnt vmcnt(0)
	v_and_b32_e32 v5, 1, v18
	v_cmp_lt_i64_e32 vcc_lo, v[3:4], v[1:2]
	s_delay_alu instid0(VALU_DEP_2) | instskip(NEXT) | instid1(VALU_DEP_1)
	v_cmp_eq_u32_e64 s2, 1, v5
	s_and_b32 vcc_lo, s2, vcc_lo
	v_cndmask_b32_e64 v6, v17, 1, s2
	v_dual_cndmask_b32 v2, v2, v4 :: v_dual_and_b32 v5, 1, v17
	v_cndmask_b32_e32 v1, v1, v3, vcc_lo
	s_delay_alu instid0(VALU_DEP_2) | instskip(NEXT) | instid1(VALU_DEP_3)
	v_cmp_eq_u32_e32 vcc_lo, 1, v5
	v_cndmask_b32_e32 v2, v4, v2, vcc_lo
	v_cndmask_b32_e32 v17, v18, v6, vcc_lo
	s_delay_alu instid0(VALU_DEP_4)
	v_cndmask_b32_e32 v1, v3, v1, vcc_lo
.LBB1187_68:
	s_or_b32 exec_lo, exec_lo, s3
	s_waitcnt vmcnt(0)
	v_mbcnt_lo_u32_b32 v5, -1, 0
	v_and_b32_e32 v7, 0xe0, v0
	s_min_u32 s3, s21, 0x100
	v_and_b32_e32 v6, 0xff, v17
	s_delay_alu instid0(VALU_DEP_3) | instskip(NEXT) | instid1(VALU_DEP_3)
	v_cmp_ne_u32_e32 vcc_lo, 31, v5
	v_sub_nc_u32_e64 v8, s3, v7 clamp
	v_add_nc_u32_e32 v7, 1, v5
	v_add_co_ci_u32_e32 v3, vcc_lo, 0, v5, vcc_lo
	s_delay_alu instid0(VALU_DEP_2) | instskip(NEXT) | instid1(VALU_DEP_2)
	v_cmp_lt_u32_e32 vcc_lo, v7, v8
	v_dual_mov_b32 v7, v6 :: v_dual_lshlrev_b32 v4, 2, v3
	ds_bpermute_b32 v9, v4, v6
	ds_bpermute_b32 v3, v4, v1
	;; [unrolled: 1-line block ×3, first 2 shown]
	s_and_saveexec_b32 s2, vcc_lo
	s_delay_alu instid0(SALU_CYCLE_1)
	s_xor_b32 s4, exec_lo, s2
	s_cbranch_execz .LBB1187_70
; %bb.69:
	s_waitcnt lgkmcnt(2)
	v_and_b32_e32 v7, 1, v9
	s_waitcnt lgkmcnt(0)
	v_cmp_lt_i64_e32 vcc_lo, v[3:4], v[1:2]
	s_delay_alu instid0(VALU_DEP_2) | instskip(SKIP_1) | instid1(VALU_DEP_2)
	v_cmp_eq_u32_e64 s2, 1, v7
	v_and_b32_e32 v7, 1, v17
	v_cndmask_b32_e64 v6, v6, 1, s2
	s_and_b32 vcc_lo, s2, vcc_lo
	s_delay_alu instid0(VALU_DEP_2) | instskip(SKIP_1) | instid1(VALU_DEP_2)
	v_cmp_eq_u32_e64 s2, 1, v7
	v_dual_cndmask_b32 v2, v2, v4 :: v_dual_cndmask_b32 v1, v1, v3
	v_cndmask_b32_e64 v7, v9, v6, s2
	s_delay_alu instid0(VALU_DEP_2) | instskip(NEXT) | instid1(VALU_DEP_3)
	v_cndmask_b32_e64 v2, v4, v2, s2
	v_cndmask_b32_e64 v1, v3, v1, s2
	s_delay_alu instid0(VALU_DEP_3)
	v_and_b32_e32 v6, 0xff, v7
.LBB1187_70:
	s_or_b32 exec_lo, exec_lo, s4
	v_cmp_gt_u32_e32 vcc_lo, 30, v5
	v_add_nc_u32_e32 v10, 2, v5
	s_mov_b32 s4, exec_lo
	s_waitcnt lgkmcnt(1)
	v_cndmask_b32_e64 v3, 0, 1, vcc_lo
	s_delay_alu instid0(VALU_DEP_1) | instskip(SKIP_1) | instid1(VALU_DEP_1)
	v_lshlrev_b32_e32 v3, 1, v3
	s_waitcnt lgkmcnt(0)
	v_add_lshl_u32 v4, v3, v5, 2
	ds_bpermute_b32 v9, v4, v6
	ds_bpermute_b32 v3, v4, v1
	ds_bpermute_b32 v4, v4, v2
	v_cmpx_lt_u32_e64 v10, v8
	s_cbranch_execz .LBB1187_72
; %bb.71:
	s_waitcnt lgkmcnt(2)
	v_and_b32_e32 v6, 1, v9
	s_waitcnt lgkmcnt(0)
	v_cmp_lt_i64_e32 vcc_lo, v[3:4], v[1:2]
	s_delay_alu instid0(VALU_DEP_2) | instskip(SKIP_1) | instid1(VALU_DEP_2)
	v_cmp_eq_u32_e64 s2, 1, v6
	v_and_b32_e32 v6, 1, v7
	v_cndmask_b32_e64 v7, v7, 1, s2
	s_and_b32 vcc_lo, s2, vcc_lo
	s_delay_alu instid0(VALU_DEP_2) | instskip(SKIP_1) | instid1(VALU_DEP_2)
	v_cmp_eq_u32_e64 s2, 1, v6
	v_dual_cndmask_b32 v1, v1, v3 :: v_dual_cndmask_b32 v2, v2, v4
	v_cndmask_b32_e64 v7, v9, v7, s2
	s_delay_alu instid0(VALU_DEP_2) | instskip(NEXT) | instid1(VALU_DEP_3)
	v_cndmask_b32_e64 v1, v3, v1, s2
	v_cndmask_b32_e64 v2, v4, v2, s2
	s_delay_alu instid0(VALU_DEP_3)
	v_and_b32_e32 v6, 0xff, v7
.LBB1187_72:
	s_or_b32 exec_lo, exec_lo, s4
	v_cmp_gt_u32_e32 vcc_lo, 28, v5
	v_add_nc_u32_e32 v10, 4, v5
	s_mov_b32 s4, exec_lo
	s_waitcnt lgkmcnt(1)
	v_cndmask_b32_e64 v3, 0, 1, vcc_lo
	s_delay_alu instid0(VALU_DEP_1) | instskip(SKIP_1) | instid1(VALU_DEP_1)
	v_lshlrev_b32_e32 v3, 2, v3
	s_waitcnt lgkmcnt(0)
	v_add_lshl_u32 v4, v3, v5, 2
	ds_bpermute_b32 v9, v4, v6
	ds_bpermute_b32 v3, v4, v1
	ds_bpermute_b32 v4, v4, v2
	v_cmpx_lt_u32_e64 v10, v8
	s_cbranch_execz .LBB1187_74
; %bb.73:
	s_waitcnt lgkmcnt(2)
	v_and_b32_e32 v6, 1, v9
	s_waitcnt lgkmcnt(0)
	v_cmp_lt_i64_e32 vcc_lo, v[3:4], v[1:2]
	s_delay_alu instid0(VALU_DEP_2) | instskip(SKIP_1) | instid1(VALU_DEP_2)
	v_cmp_eq_u32_e64 s2, 1, v6
	v_and_b32_e32 v6, 1, v7
	v_cndmask_b32_e64 v7, v7, 1, s2
	s_and_b32 vcc_lo, s2, vcc_lo
	s_delay_alu instid0(VALU_DEP_2) | instskip(SKIP_1) | instid1(VALU_DEP_2)
	v_cmp_eq_u32_e64 s2, 1, v6
	v_dual_cndmask_b32 v1, v1, v3 :: v_dual_cndmask_b32 v2, v2, v4
	v_cndmask_b32_e64 v7, v9, v7, s2
	s_delay_alu instid0(VALU_DEP_2) | instskip(NEXT) | instid1(VALU_DEP_3)
	v_cndmask_b32_e64 v1, v3, v1, s2
	v_cndmask_b32_e64 v2, v4, v2, s2
	s_delay_alu instid0(VALU_DEP_3)
	v_and_b32_e32 v6, 0xff, v7
.LBB1187_74:
	s_or_b32 exec_lo, exec_lo, s4
	v_cmp_gt_u32_e32 vcc_lo, 24, v5
	v_add_nc_u32_e32 v10, 8, v5
	s_mov_b32 s4, exec_lo
	s_waitcnt lgkmcnt(1)
	v_cndmask_b32_e64 v3, 0, 1, vcc_lo
	s_delay_alu instid0(VALU_DEP_1) | instskip(SKIP_1) | instid1(VALU_DEP_1)
	v_lshlrev_b32_e32 v3, 3, v3
	s_waitcnt lgkmcnt(0)
	v_add_lshl_u32 v4, v3, v5, 2
	ds_bpermute_b32 v9, v4, v6
	ds_bpermute_b32 v3, v4, v1
	ds_bpermute_b32 v4, v4, v2
	v_cmpx_lt_u32_e64 v10, v8
	s_cbranch_execz .LBB1187_76
; %bb.75:
	s_waitcnt lgkmcnt(2)
	v_and_b32_e32 v6, 1, v9
	s_waitcnt lgkmcnt(0)
	v_cmp_lt_i64_e32 vcc_lo, v[3:4], v[1:2]
	s_delay_alu instid0(VALU_DEP_2) | instskip(SKIP_1) | instid1(VALU_DEP_2)
	v_cmp_eq_u32_e64 s2, 1, v6
	v_and_b32_e32 v6, 1, v7
	v_cndmask_b32_e64 v7, v7, 1, s2
	s_and_b32 vcc_lo, s2, vcc_lo
	s_delay_alu instid0(VALU_DEP_2) | instskip(SKIP_1) | instid1(VALU_DEP_2)
	v_cmp_eq_u32_e64 s2, 1, v6
	v_dual_cndmask_b32 v1, v1, v3 :: v_dual_cndmask_b32 v2, v2, v4
	v_cndmask_b32_e64 v7, v9, v7, s2
	s_delay_alu instid0(VALU_DEP_2) | instskip(NEXT) | instid1(VALU_DEP_3)
	v_cndmask_b32_e64 v1, v3, v1, s2
	v_cndmask_b32_e64 v2, v4, v2, s2
	s_delay_alu instid0(VALU_DEP_3)
	v_and_b32_e32 v6, 0xff, v7
.LBB1187_76:
	s_or_b32 exec_lo, exec_lo, s4
	v_cmp_gt_u32_e32 vcc_lo, 16, v5
	v_add_nc_u32_e32 v10, 16, v5
	s_mov_b32 s4, exec_lo
	s_waitcnt lgkmcnt(1)
	v_cndmask_b32_e64 v3, 0, 1, vcc_lo
	s_delay_alu instid0(VALU_DEP_1) | instskip(SKIP_1) | instid1(VALU_DEP_1)
	v_lshlrev_b32_e32 v3, 4, v3
	s_waitcnt lgkmcnt(0)
	v_add_lshl_u32 v4, v3, v5, 2
	ds_bpermute_b32 v9, v4, v6
	ds_bpermute_b32 v3, v4, v1
	ds_bpermute_b32 v4, v4, v2
	v_cmpx_lt_u32_e64 v10, v8
	s_cbranch_execz .LBB1187_78
; %bb.77:
	s_waitcnt lgkmcnt(2)
	v_and_b32_e32 v6, 1, v9
	s_waitcnt lgkmcnt(0)
	v_cmp_lt_i64_e32 vcc_lo, v[3:4], v[1:2]
	s_delay_alu instid0(VALU_DEP_2) | instskip(SKIP_1) | instid1(VALU_DEP_2)
	v_cmp_eq_u32_e64 s2, 1, v6
	v_and_b32_e32 v6, 1, v7
	v_cndmask_b32_e64 v7, v7, 1, s2
	s_and_b32 vcc_lo, s2, vcc_lo
	s_delay_alu instid0(VALU_DEP_2) | instskip(SKIP_1) | instid1(VALU_DEP_2)
	v_cmp_eq_u32_e64 s2, 1, v6
	v_dual_cndmask_b32 v1, v1, v3 :: v_dual_cndmask_b32 v2, v2, v4
	v_cndmask_b32_e64 v7, v9, v7, s2
	s_delay_alu instid0(VALU_DEP_2) | instskip(NEXT) | instid1(VALU_DEP_3)
	v_cndmask_b32_e64 v1, v3, v1, s2
	v_cndmask_b32_e64 v2, v4, v2, s2
	s_delay_alu instid0(VALU_DEP_3)
	v_and_b32_e32 v6, 0xff, v7
.LBB1187_78:
	s_or_b32 exec_lo, exec_lo, s4
	s_delay_alu instid0(SALU_CYCLE_1)
	s_mov_b32 s2, exec_lo
	v_cmpx_eq_u32_e32 0, v5
	s_cbranch_execz .LBB1187_80
; %bb.79:
	s_waitcnt lgkmcnt(1)
	v_lshrrev_b32_e32 v3, 1, v0
	s_delay_alu instid0(VALU_DEP_1)
	v_and_b32_e32 v3, 0x70, v3
	ds_store_b8 v3, v7 offset:512
	ds_store_b64 v3, v[1:2] offset:520
.LBB1187_80:
	s_or_b32 exec_lo, exec_lo, s2
	s_delay_alu instid0(SALU_CYCLE_1)
	s_mov_b32 s4, exec_lo
	s_waitcnt lgkmcnt(0)
	s_barrier
	buffer_gl0_inv
	v_cmpx_gt_u32_e32 8, v0
	s_cbranch_execz .LBB1187_88
; %bb.81:
	v_lshlrev_b32_e32 v1, 4, v5
	v_and_b32_e32 v8, 7, v5
	s_add_i32 s3, s3, 31
	s_mov_b32 s5, exec_lo
	s_lshr_b32 s3, s3, 5
	ds_load_u8 v7, v1 offset:512
	ds_load_b64 v[1:2], v1 offset:520
	v_cmp_ne_u32_e32 vcc_lo, 7, v8
	v_add_nc_u32_e32 v10, 1, v8
	v_add_co_ci_u32_e32 v3, vcc_lo, 0, v5, vcc_lo
	s_delay_alu instid0(VALU_DEP_1)
	v_lshlrev_b32_e32 v4, 2, v3
	s_waitcnt lgkmcnt(1)
	v_and_b32_e32 v6, 0xff, v7
	s_waitcnt lgkmcnt(0)
	ds_bpermute_b32 v3, v4, v1
	ds_bpermute_b32 v9, v4, v6
	;; [unrolled: 1-line block ×3, first 2 shown]
	v_cmpx_gt_u32_e64 s3, v10
	s_cbranch_execz .LBB1187_83
; %bb.82:
	s_waitcnt lgkmcnt(1)
	v_and_b32_e32 v6, 1, v9
	s_waitcnt lgkmcnt(0)
	v_cmp_lt_i64_e32 vcc_lo, v[3:4], v[1:2]
	s_delay_alu instid0(VALU_DEP_2) | instskip(SKIP_1) | instid1(VALU_DEP_2)
	v_cmp_eq_u32_e64 s2, 1, v6
	v_and_b32_e32 v6, 1, v7
	v_cndmask_b32_e64 v7, v7, 1, s2
	s_and_b32 vcc_lo, s2, vcc_lo
	s_delay_alu instid0(VALU_DEP_2) | instskip(SKIP_1) | instid1(VALU_DEP_2)
	v_cmp_eq_u32_e64 s2, 1, v6
	v_dual_cndmask_b32 v1, v1, v3 :: v_dual_cndmask_b32 v2, v2, v4
	v_cndmask_b32_e64 v7, v9, v7, s2
	s_delay_alu instid0(VALU_DEP_2) | instskip(NEXT) | instid1(VALU_DEP_3)
	v_cndmask_b32_e64 v1, v3, v1, s2
	v_cndmask_b32_e64 v2, v4, v2, s2
	s_delay_alu instid0(VALU_DEP_3)
	v_and_b32_e32 v6, 0xff, v7
.LBB1187_83:
	s_or_b32 exec_lo, exec_lo, s5
	v_cmp_gt_u32_e32 vcc_lo, 6, v8
	v_add_nc_u32_e32 v10, 2, v8
	s_mov_b32 s5, exec_lo
	s_waitcnt lgkmcnt(2)
	v_cndmask_b32_e64 v3, 0, 1, vcc_lo
	s_delay_alu instid0(VALU_DEP_1) | instskip(SKIP_1) | instid1(VALU_DEP_1)
	v_lshlrev_b32_e32 v3, 1, v3
	s_waitcnt lgkmcnt(0)
	v_add_lshl_u32 v4, v3, v5, 2
	ds_bpermute_b32 v9, v4, v6
	ds_bpermute_b32 v3, v4, v1
	;; [unrolled: 1-line block ×3, first 2 shown]
	v_cmpx_gt_u32_e64 s3, v10
	s_cbranch_execz .LBB1187_85
; %bb.84:
	s_waitcnt lgkmcnt(2)
	v_and_b32_e32 v6, 1, v9
	s_waitcnt lgkmcnt(0)
	v_cmp_lt_i64_e32 vcc_lo, v[3:4], v[1:2]
	s_delay_alu instid0(VALU_DEP_2) | instskip(SKIP_1) | instid1(VALU_DEP_2)
	v_cmp_eq_u32_e64 s2, 1, v6
	v_and_b32_e32 v6, 1, v7
	v_cndmask_b32_e64 v7, v7, 1, s2
	s_and_b32 vcc_lo, s2, vcc_lo
	s_delay_alu instid0(VALU_DEP_2) | instskip(SKIP_1) | instid1(VALU_DEP_2)
	v_cmp_eq_u32_e64 s2, 1, v6
	v_dual_cndmask_b32 v1, v1, v3 :: v_dual_cndmask_b32 v2, v2, v4
	v_cndmask_b32_e64 v7, v9, v7, s2
	s_delay_alu instid0(VALU_DEP_2) | instskip(NEXT) | instid1(VALU_DEP_3)
	v_cndmask_b32_e64 v1, v3, v1, s2
	v_cndmask_b32_e64 v2, v4, v2, s2
	s_delay_alu instid0(VALU_DEP_3)
	v_and_b32_e32 v6, 0xff, v7
.LBB1187_85:
	s_or_b32 exec_lo, exec_lo, s5
	v_cmp_gt_u32_e32 vcc_lo, 4, v8
	v_add_nc_u32_e32 v8, 4, v8
	s_waitcnt lgkmcnt(1)
	v_cndmask_b32_e64 v3, 0, 1, vcc_lo
	s_delay_alu instid0(VALU_DEP_2) | instskip(NEXT) | instid1(VALU_DEP_2)
	v_cmp_gt_u32_e32 vcc_lo, s3, v8
	v_lshlrev_b32_e32 v3, 2, v3
	s_waitcnt lgkmcnt(0)
	s_delay_alu instid0(VALU_DEP_1)
	v_add_lshl_u32 v4, v3, v5, 2
	ds_bpermute_b32 v5, v4, v6
	ds_bpermute_b32 v3, v4, v1
	;; [unrolled: 1-line block ×3, first 2 shown]
	s_and_saveexec_b32 s3, vcc_lo
	s_cbranch_execz .LBB1187_87
; %bb.86:
	s_waitcnt lgkmcnt(2)
	v_and_b32_e32 v6, 1, v5
	s_waitcnt lgkmcnt(0)
	v_cmp_lt_i64_e32 vcc_lo, v[3:4], v[1:2]
	s_delay_alu instid0(VALU_DEP_2) | instskip(SKIP_1) | instid1(VALU_DEP_2)
	v_cmp_eq_u32_e64 s2, 1, v6
	v_and_b32_e32 v6, 1, v7
	v_cndmask_b32_e64 v7, v7, 1, s2
	s_and_b32 vcc_lo, s2, vcc_lo
	s_delay_alu instid0(VALU_DEP_2) | instskip(SKIP_1) | instid1(VALU_DEP_2)
	v_cmp_eq_u32_e64 s2, 1, v6
	v_dual_cndmask_b32 v1, v1, v3 :: v_dual_cndmask_b32 v2, v2, v4
	v_cndmask_b32_e64 v5, v5, v7, s2
	s_delay_alu instid0(VALU_DEP_2) | instskip(NEXT) | instid1(VALU_DEP_3)
	v_cndmask_b32_e64 v1, v3, v1, s2
	v_cndmask_b32_e64 v2, v4, v2, s2
	s_delay_alu instid0(VALU_DEP_3)
	v_and_b32_e32 v6, 0xff, v5
.LBB1187_87:
	s_or_b32 exec_lo, exec_lo, s3
.LBB1187_88:
	s_delay_alu instid0(SALU_CYCLE_1)
	s_or_b32 exec_lo, exec_lo, s4
.LBB1187_89:
	s_mov_b32 s8, 0
                                        ; implicit-def: $vgpr3_vgpr4
                                        ; implicit-def: $vgpr5
	s_mov_b32 s2, exec_lo
	v_cmpx_eq_u32_e32 0, v0
	s_xor_b32 s4, exec_lo, s2
	s_cbranch_execz .LBB1187_93
; %bb.90:
	s_waitcnt lgkmcnt(0)
	v_dual_mov_b32 v3, s16 :: v_dual_mov_b32 v4, s17
	v_mov_b32_e32 v5, s18
	s_cmp_eq_u64 s[14:15], 0
	s_cbranch_scc1 .LBB1187_92
; %bb.91:
	v_and_b32_e32 v3, 1, v6
	v_cmp_gt_i64_e32 vcc_lo, s[16:17], v[1:2]
	s_bitcmp1_b32 s18, 0
	s_cselect_b32 s3, -1, 0
	s_delay_alu instid0(VALU_DEP_2) | instskip(NEXT) | instid1(VALU_DEP_1)
	v_cmp_eq_u32_e64 s2, 1, v3
	s_and_b32 vcc_lo, s2, vcc_lo
	v_cndmask_b32_e64 v3, s18, 1, s2
	v_cndmask_b32_e32 v7, s16, v1, vcc_lo
	v_cndmask_b32_e32 v4, s17, v2, vcc_lo
	s_delay_alu instid0(VALU_DEP_3) | instskip(NEXT) | instid1(VALU_DEP_3)
	v_cndmask_b32_e64 v5, v6, v3, s3
	v_cndmask_b32_e64 v3, v1, v7, s3
	s_delay_alu instid0(VALU_DEP_3)
	v_cndmask_b32_e64 v4, v2, v4, s3
.LBB1187_92:
	s_mov_b32 s8, exec_lo
.LBB1187_93:
	s_or_b32 exec_lo, exec_lo, s4
	s_delay_alu instid0(SALU_CYCLE_1)
	s_and_b32 vcc_lo, exec_lo, s20
	s_cbranch_vccnz .LBB1187_24
.LBB1187_94:
	s_branch .LBB1187_206
.LBB1187_95:
                                        ; implicit-def: $vgpr1_vgpr2
                                        ; implicit-def: $vgpr6
	s_cbranch_execz .LBB1187_128
; %bb.96:
	s_waitcnt lgkmcnt(2)
	v_mov_b32_e32 v5, 0
	v_dual_mov_b32 v6, 0 :: v_dual_mov_b32 v11, 0
	s_delay_alu instid0(VALU_DEP_2) | instskip(SKIP_2) | instid1(VALU_DEP_3)
	v_mov_b32_e32 v1, v5
	v_mov_b32_e32 v9, 0
	s_sub_i32 s6, s14, s6
	v_mov_b32_e32 v2, v6
	s_mov_b32 s2, exec_lo
	v_cmpx_gt_u32_e64 s6, v0
; %bb.97:
	v_lshlrev_b32_e32 v1, 4, v0
	s_clause 0x1
	global_load_u8 v9, v1, s[4:5]
	global_load_b64 v[1:2], v1, s[4:5] offset:8
; %bb.98:
	s_or_b32 exec_lo, exec_lo, s2
	s_waitcnt lgkmcnt(1)
	v_or_b32_e32 v3, 0x100, v0
	s_delay_alu instid0(VALU_DEP_1) | instskip(NEXT) | instid1(VALU_DEP_1)
	v_cmp_gt_u32_e64 s3, s6, v3
	s_and_saveexec_b32 s2, s3
; %bb.99:
	v_lshlrev_b32_e32 v3, 4, v3
	s_clause 0x1
	global_load_u8 v11, v3, s[4:5]
	global_load_b64 v[5:6], v3, s[4:5] offset:8
; %bb.100:
	s_or_b32 exec_lo, exec_lo, s2
	s_waitcnt lgkmcnt(0)
	v_dual_mov_b32 v3, 0 :: v_dual_mov_b32 v10, 0
	v_mov_b32_e32 v4, 0
	v_or_b32_e32 v13, 0x200, v0
	v_mov_b32_e32 v12, 0
	s_delay_alu instid0(VALU_DEP_3) | instskip(NEXT) | instid1(VALU_DEP_3)
	v_dual_mov_b32 v8, v4 :: v_dual_mov_b32 v7, v3
	v_cmp_gt_u32_e64 s2, s6, v13
	s_delay_alu instid0(VALU_DEP_1)
	s_and_saveexec_b32 s7, s2
; %bb.101:
	v_lshlrev_b32_e32 v7, 4, v13
	s_clause 0x1
	global_load_u8 v12, v7, s[4:5]
	global_load_b64 v[7:8], v7, s[4:5] offset:8
; %bb.102:
	s_or_b32 exec_lo, exec_lo, s7
	v_or_b32_e32 v13, 0x300, v0
	s_delay_alu instid0(VALU_DEP_1)
	v_cmp_gt_u32_e32 vcc_lo, s6, v13
	s_and_saveexec_b32 s7, vcc_lo
	s_cbranch_execnz .LBB1187_245
; %bb.103:
	s_or_b32 exec_lo, exec_lo, s7
	s_and_saveexec_b32 s5, s3
	s_cbranch_execnz .LBB1187_246
.LBB1187_104:
	s_or_b32 exec_lo, exec_lo, s5
	s_and_saveexec_b32 s4, s2
	s_cbranch_execnz .LBB1187_247
.LBB1187_105:
	s_or_b32 exec_lo, exec_lo, s4
	s_and_saveexec_b32 s3, vcc_lo
	s_cbranch_execz .LBB1187_107
.LBB1187_106:
	s_waitcnt vmcnt(0)
	v_and_b32_e32 v5, 1, v10
	v_cmp_lt_i64_e32 vcc_lo, v[3:4], v[1:2]
	s_delay_alu instid0(VALU_DEP_2) | instskip(NEXT) | instid1(VALU_DEP_1)
	v_cmp_eq_u32_e64 s2, 1, v5
	s_and_b32 vcc_lo, s2, vcc_lo
	v_cndmask_b32_e64 v6, v9, 1, s2
	v_dual_cndmask_b32 v2, v2, v4 :: v_dual_and_b32 v5, 1, v9
	v_cndmask_b32_e32 v1, v1, v3, vcc_lo
	s_delay_alu instid0(VALU_DEP_2) | instskip(NEXT) | instid1(VALU_DEP_3)
	v_cmp_eq_u32_e32 vcc_lo, 1, v5
	v_cndmask_b32_e32 v2, v4, v2, vcc_lo
	v_cndmask_b32_e32 v9, v10, v6, vcc_lo
	s_delay_alu instid0(VALU_DEP_4)
	v_cndmask_b32_e32 v1, v3, v1, vcc_lo
.LBB1187_107:
	s_or_b32 exec_lo, exec_lo, s3
	s_waitcnt vmcnt(0)
	v_mbcnt_lo_u32_b32 v5, -1, 0
	v_and_b32_e32 v7, 0xe0, v0
	s_min_u32 s3, s6, 0x100
	v_and_b32_e32 v6, 0xff, v9
	s_delay_alu instid0(VALU_DEP_3) | instskip(NEXT) | instid1(VALU_DEP_3)
	v_cmp_ne_u32_e32 vcc_lo, 31, v5
	v_sub_nc_u32_e64 v8, s3, v7 clamp
	v_add_nc_u32_e32 v7, 1, v5
	v_add_co_ci_u32_e32 v3, vcc_lo, 0, v5, vcc_lo
	s_delay_alu instid0(VALU_DEP_2) | instskip(NEXT) | instid1(VALU_DEP_2)
	v_cmp_lt_u32_e32 vcc_lo, v7, v8
	v_dual_mov_b32 v7, v6 :: v_dual_lshlrev_b32 v4, 2, v3
	ds_bpermute_b32 v10, v4, v6
	ds_bpermute_b32 v3, v4, v1
	;; [unrolled: 1-line block ×3, first 2 shown]
	s_and_saveexec_b32 s2, vcc_lo
	s_delay_alu instid0(SALU_CYCLE_1)
	s_xor_b32 s4, exec_lo, s2
	s_cbranch_execz .LBB1187_109
; %bb.108:
	s_waitcnt lgkmcnt(2)
	v_and_b32_e32 v7, 1, v10
	s_waitcnt lgkmcnt(0)
	v_cmp_lt_i64_e32 vcc_lo, v[3:4], v[1:2]
	s_delay_alu instid0(VALU_DEP_2) | instskip(SKIP_1) | instid1(VALU_DEP_2)
	v_cmp_eq_u32_e64 s2, 1, v7
	v_and_b32_e32 v7, 1, v9
	v_cndmask_b32_e64 v6, v6, 1, s2
	s_and_b32 vcc_lo, s2, vcc_lo
	s_delay_alu instid0(VALU_DEP_2) | instskip(SKIP_1) | instid1(VALU_DEP_2)
	v_cmp_eq_u32_e64 s2, 1, v7
	v_dual_cndmask_b32 v2, v2, v4 :: v_dual_cndmask_b32 v1, v1, v3
	v_cndmask_b32_e64 v7, v10, v6, s2
	s_delay_alu instid0(VALU_DEP_2) | instskip(NEXT) | instid1(VALU_DEP_3)
	v_cndmask_b32_e64 v2, v4, v2, s2
	v_cndmask_b32_e64 v1, v3, v1, s2
	s_delay_alu instid0(VALU_DEP_3)
	v_and_b32_e32 v6, 0xff, v7
.LBB1187_109:
	s_or_b32 exec_lo, exec_lo, s4
	v_cmp_gt_u32_e32 vcc_lo, 30, v5
	s_waitcnt lgkmcnt(2)
	v_add_nc_u32_e32 v10, 2, v5
	s_mov_b32 s4, exec_lo
	s_waitcnt lgkmcnt(1)
	v_cndmask_b32_e64 v3, 0, 1, vcc_lo
	s_delay_alu instid0(VALU_DEP_1) | instskip(SKIP_1) | instid1(VALU_DEP_1)
	v_lshlrev_b32_e32 v3, 1, v3
	s_waitcnt lgkmcnt(0)
	v_add_lshl_u32 v4, v3, v5, 2
	ds_bpermute_b32 v9, v4, v6
	ds_bpermute_b32 v3, v4, v1
	ds_bpermute_b32 v4, v4, v2
	v_cmpx_lt_u32_e64 v10, v8
	s_cbranch_execz .LBB1187_111
; %bb.110:
	s_waitcnt lgkmcnt(2)
	v_and_b32_e32 v6, 1, v9
	s_waitcnt lgkmcnt(0)
	v_cmp_lt_i64_e32 vcc_lo, v[3:4], v[1:2]
	s_delay_alu instid0(VALU_DEP_2) | instskip(SKIP_1) | instid1(VALU_DEP_2)
	v_cmp_eq_u32_e64 s2, 1, v6
	v_and_b32_e32 v6, 1, v7
	v_cndmask_b32_e64 v7, v7, 1, s2
	s_and_b32 vcc_lo, s2, vcc_lo
	s_delay_alu instid0(VALU_DEP_2) | instskip(SKIP_1) | instid1(VALU_DEP_2)
	v_cmp_eq_u32_e64 s2, 1, v6
	v_dual_cndmask_b32 v1, v1, v3 :: v_dual_cndmask_b32 v2, v2, v4
	v_cndmask_b32_e64 v7, v9, v7, s2
	s_delay_alu instid0(VALU_DEP_2) | instskip(NEXT) | instid1(VALU_DEP_3)
	v_cndmask_b32_e64 v1, v3, v1, s2
	v_cndmask_b32_e64 v2, v4, v2, s2
	s_delay_alu instid0(VALU_DEP_3)
	v_and_b32_e32 v6, 0xff, v7
.LBB1187_111:
	s_or_b32 exec_lo, exec_lo, s4
	v_cmp_gt_u32_e32 vcc_lo, 28, v5
	v_add_nc_u32_e32 v10, 4, v5
	s_mov_b32 s4, exec_lo
	s_waitcnt lgkmcnt(1)
	v_cndmask_b32_e64 v3, 0, 1, vcc_lo
	s_delay_alu instid0(VALU_DEP_1) | instskip(SKIP_1) | instid1(VALU_DEP_1)
	v_lshlrev_b32_e32 v3, 2, v3
	s_waitcnt lgkmcnt(0)
	v_add_lshl_u32 v4, v3, v5, 2
	ds_bpermute_b32 v9, v4, v6
	ds_bpermute_b32 v3, v4, v1
	ds_bpermute_b32 v4, v4, v2
	v_cmpx_lt_u32_e64 v10, v8
	s_cbranch_execz .LBB1187_113
; %bb.112:
	s_waitcnt lgkmcnt(2)
	v_and_b32_e32 v6, 1, v9
	s_waitcnt lgkmcnt(0)
	v_cmp_lt_i64_e32 vcc_lo, v[3:4], v[1:2]
	s_delay_alu instid0(VALU_DEP_2) | instskip(SKIP_1) | instid1(VALU_DEP_2)
	v_cmp_eq_u32_e64 s2, 1, v6
	v_and_b32_e32 v6, 1, v7
	v_cndmask_b32_e64 v7, v7, 1, s2
	s_and_b32 vcc_lo, s2, vcc_lo
	s_delay_alu instid0(VALU_DEP_2) | instskip(SKIP_1) | instid1(VALU_DEP_2)
	v_cmp_eq_u32_e64 s2, 1, v6
	v_dual_cndmask_b32 v1, v1, v3 :: v_dual_cndmask_b32 v2, v2, v4
	v_cndmask_b32_e64 v7, v9, v7, s2
	s_delay_alu instid0(VALU_DEP_2) | instskip(NEXT) | instid1(VALU_DEP_3)
	v_cndmask_b32_e64 v1, v3, v1, s2
	v_cndmask_b32_e64 v2, v4, v2, s2
	s_delay_alu instid0(VALU_DEP_3)
	v_and_b32_e32 v6, 0xff, v7
.LBB1187_113:
	s_or_b32 exec_lo, exec_lo, s4
	v_cmp_gt_u32_e32 vcc_lo, 24, v5
	;; [unrolled: 35-line block ×3, first 2 shown]
	v_add_nc_u32_e32 v10, 16, v5
	s_mov_b32 s4, exec_lo
	s_waitcnt lgkmcnt(1)
	v_cndmask_b32_e64 v3, 0, 1, vcc_lo
	s_delay_alu instid0(VALU_DEP_1) | instskip(SKIP_1) | instid1(VALU_DEP_1)
	v_lshlrev_b32_e32 v3, 4, v3
	s_waitcnt lgkmcnt(0)
	v_add_lshl_u32 v4, v3, v5, 2
	ds_bpermute_b32 v9, v4, v6
	ds_bpermute_b32 v3, v4, v1
	;; [unrolled: 1-line block ×3, first 2 shown]
	v_cmpx_lt_u32_e64 v10, v8
	s_cbranch_execz .LBB1187_117
; %bb.116:
	s_waitcnt lgkmcnt(2)
	v_and_b32_e32 v6, 1, v9
	s_waitcnt lgkmcnt(0)
	v_cmp_lt_i64_e32 vcc_lo, v[3:4], v[1:2]
	s_delay_alu instid0(VALU_DEP_2) | instskip(SKIP_1) | instid1(VALU_DEP_2)
	v_cmp_eq_u32_e64 s2, 1, v6
	v_and_b32_e32 v6, 1, v7
	v_cndmask_b32_e64 v7, v7, 1, s2
	s_and_b32 vcc_lo, s2, vcc_lo
	s_delay_alu instid0(VALU_DEP_2) | instskip(SKIP_1) | instid1(VALU_DEP_2)
	v_cmp_eq_u32_e64 s2, 1, v6
	v_dual_cndmask_b32 v1, v1, v3 :: v_dual_cndmask_b32 v2, v2, v4
	v_cndmask_b32_e64 v7, v9, v7, s2
	s_delay_alu instid0(VALU_DEP_2) | instskip(NEXT) | instid1(VALU_DEP_3)
	v_cndmask_b32_e64 v1, v3, v1, s2
	v_cndmask_b32_e64 v2, v4, v2, s2
	s_delay_alu instid0(VALU_DEP_3)
	v_and_b32_e32 v6, 0xff, v7
.LBB1187_117:
	s_or_b32 exec_lo, exec_lo, s4
	s_delay_alu instid0(SALU_CYCLE_1)
	s_mov_b32 s2, exec_lo
	v_cmpx_eq_u32_e32 0, v5
	s_cbranch_execz .LBB1187_119
; %bb.118:
	s_waitcnt lgkmcnt(1)
	v_lshrrev_b32_e32 v3, 1, v0
	s_delay_alu instid0(VALU_DEP_1)
	v_and_b32_e32 v3, 0x70, v3
	ds_store_b8 v3, v7 offset:512
	ds_store_b64 v3, v[1:2] offset:520
.LBB1187_119:
	s_or_b32 exec_lo, exec_lo, s2
	s_delay_alu instid0(SALU_CYCLE_1)
	s_mov_b32 s4, exec_lo
	s_waitcnt lgkmcnt(0)
	s_barrier
	buffer_gl0_inv
	v_cmpx_gt_u32_e32 8, v0
	s_cbranch_execz .LBB1187_127
; %bb.120:
	v_lshlrev_b32_e32 v1, 4, v5
	v_and_b32_e32 v8, 7, v5
	s_add_i32 s3, s3, 31
	s_mov_b32 s5, exec_lo
	s_lshr_b32 s3, s3, 5
	ds_load_u8 v7, v1 offset:512
	ds_load_b64 v[1:2], v1 offset:520
	v_cmp_ne_u32_e32 vcc_lo, 7, v8
	v_add_nc_u32_e32 v10, 1, v8
	v_add_co_ci_u32_e32 v3, vcc_lo, 0, v5, vcc_lo
	s_delay_alu instid0(VALU_DEP_1)
	v_lshlrev_b32_e32 v4, 2, v3
	s_waitcnt lgkmcnt(1)
	v_and_b32_e32 v6, 0xff, v7
	s_waitcnt lgkmcnt(0)
	ds_bpermute_b32 v3, v4, v1
	ds_bpermute_b32 v9, v4, v6
	;; [unrolled: 1-line block ×3, first 2 shown]
	v_cmpx_gt_u32_e64 s3, v10
	s_cbranch_execz .LBB1187_122
; %bb.121:
	s_waitcnt lgkmcnt(1)
	v_and_b32_e32 v6, 1, v9
	s_waitcnt lgkmcnt(0)
	v_cmp_lt_i64_e32 vcc_lo, v[3:4], v[1:2]
	s_delay_alu instid0(VALU_DEP_2) | instskip(SKIP_1) | instid1(VALU_DEP_2)
	v_cmp_eq_u32_e64 s2, 1, v6
	v_and_b32_e32 v6, 1, v7
	v_cndmask_b32_e64 v7, v7, 1, s2
	s_and_b32 vcc_lo, s2, vcc_lo
	s_delay_alu instid0(VALU_DEP_2) | instskip(SKIP_1) | instid1(VALU_DEP_2)
	v_cmp_eq_u32_e64 s2, 1, v6
	v_dual_cndmask_b32 v1, v1, v3 :: v_dual_cndmask_b32 v2, v2, v4
	v_cndmask_b32_e64 v7, v9, v7, s2
	s_delay_alu instid0(VALU_DEP_2) | instskip(NEXT) | instid1(VALU_DEP_3)
	v_cndmask_b32_e64 v1, v3, v1, s2
	v_cndmask_b32_e64 v2, v4, v2, s2
	s_delay_alu instid0(VALU_DEP_3)
	v_and_b32_e32 v6, 0xff, v7
.LBB1187_122:
	s_or_b32 exec_lo, exec_lo, s5
	v_cmp_gt_u32_e32 vcc_lo, 6, v8
	v_add_nc_u32_e32 v10, 2, v8
	s_mov_b32 s5, exec_lo
	s_waitcnt lgkmcnt(2)
	v_cndmask_b32_e64 v3, 0, 1, vcc_lo
	s_delay_alu instid0(VALU_DEP_1) | instskip(SKIP_1) | instid1(VALU_DEP_1)
	v_lshlrev_b32_e32 v3, 1, v3
	s_waitcnt lgkmcnt(0)
	v_add_lshl_u32 v4, v3, v5, 2
	ds_bpermute_b32 v9, v4, v6
	ds_bpermute_b32 v3, v4, v1
	;; [unrolled: 1-line block ×3, first 2 shown]
	v_cmpx_gt_u32_e64 s3, v10
	s_cbranch_execz .LBB1187_124
; %bb.123:
	s_waitcnt lgkmcnt(2)
	v_and_b32_e32 v6, 1, v9
	s_waitcnt lgkmcnt(0)
	v_cmp_lt_i64_e32 vcc_lo, v[3:4], v[1:2]
	s_delay_alu instid0(VALU_DEP_2) | instskip(SKIP_1) | instid1(VALU_DEP_2)
	v_cmp_eq_u32_e64 s2, 1, v6
	v_and_b32_e32 v6, 1, v7
	v_cndmask_b32_e64 v7, v7, 1, s2
	s_and_b32 vcc_lo, s2, vcc_lo
	s_delay_alu instid0(VALU_DEP_2) | instskip(SKIP_1) | instid1(VALU_DEP_2)
	v_cmp_eq_u32_e64 s2, 1, v6
	v_dual_cndmask_b32 v1, v1, v3 :: v_dual_cndmask_b32 v2, v2, v4
	v_cndmask_b32_e64 v7, v9, v7, s2
	s_delay_alu instid0(VALU_DEP_2) | instskip(NEXT) | instid1(VALU_DEP_3)
	v_cndmask_b32_e64 v1, v3, v1, s2
	v_cndmask_b32_e64 v2, v4, v2, s2
	s_delay_alu instid0(VALU_DEP_3)
	v_and_b32_e32 v6, 0xff, v7
.LBB1187_124:
	s_or_b32 exec_lo, exec_lo, s5
	v_cmp_gt_u32_e32 vcc_lo, 4, v8
	v_add_nc_u32_e32 v8, 4, v8
	s_waitcnt lgkmcnt(1)
	v_cndmask_b32_e64 v3, 0, 1, vcc_lo
	s_delay_alu instid0(VALU_DEP_2) | instskip(NEXT) | instid1(VALU_DEP_2)
	v_cmp_gt_u32_e32 vcc_lo, s3, v8
	v_lshlrev_b32_e32 v3, 2, v3
	s_waitcnt lgkmcnt(0)
	s_delay_alu instid0(VALU_DEP_1)
	v_add_lshl_u32 v4, v3, v5, 2
	ds_bpermute_b32 v5, v4, v6
	ds_bpermute_b32 v3, v4, v1
	;; [unrolled: 1-line block ×3, first 2 shown]
	s_and_saveexec_b32 s3, vcc_lo
	s_cbranch_execz .LBB1187_126
; %bb.125:
	s_waitcnt lgkmcnt(2)
	v_and_b32_e32 v6, 1, v5
	s_waitcnt lgkmcnt(0)
	v_cmp_lt_i64_e32 vcc_lo, v[3:4], v[1:2]
	s_delay_alu instid0(VALU_DEP_2) | instskip(SKIP_1) | instid1(VALU_DEP_2)
	v_cmp_eq_u32_e64 s2, 1, v6
	v_and_b32_e32 v6, 1, v7
	v_cndmask_b32_e64 v7, v7, 1, s2
	s_and_b32 vcc_lo, s2, vcc_lo
	s_delay_alu instid0(VALU_DEP_2) | instskip(SKIP_1) | instid1(VALU_DEP_2)
	v_cmp_eq_u32_e64 s2, 1, v6
	v_dual_cndmask_b32 v1, v1, v3 :: v_dual_cndmask_b32 v2, v2, v4
	v_cndmask_b32_e64 v5, v5, v7, s2
	s_delay_alu instid0(VALU_DEP_2) | instskip(NEXT) | instid1(VALU_DEP_3)
	v_cndmask_b32_e64 v1, v3, v1, s2
	v_cndmask_b32_e64 v2, v4, v2, s2
	s_delay_alu instid0(VALU_DEP_3)
	v_and_b32_e32 v6, 0xff, v5
.LBB1187_126:
	s_or_b32 exec_lo, exec_lo, s3
.LBB1187_127:
	s_delay_alu instid0(SALU_CYCLE_1)
	s_or_b32 exec_lo, exec_lo, s4
.LBB1187_128:
                                        ; implicit-def: $vgpr3_vgpr4
                                        ; implicit-def: $vgpr5
	s_delay_alu instid0(SALU_CYCLE_1)
	s_mov_b32 s2, exec_lo
	v_cmpx_eq_u32_e32 0, v0
	s_xor_b32 s4, exec_lo, s2
	s_cbranch_execz .LBB1187_132
; %bb.129:
	s_waitcnt lgkmcnt(0)
	v_dual_mov_b32 v3, s16 :: v_dual_mov_b32 v4, s17
	v_mov_b32_e32 v5, s18
	s_cmp_eq_u64 s[14:15], 0
	s_cbranch_scc1 .LBB1187_131
; %bb.130:
	v_and_b32_e32 v3, 1, v6
	v_cmp_gt_i64_e32 vcc_lo, s[16:17], v[1:2]
	s_bitcmp1_b32 s18, 0
	s_cselect_b32 s3, -1, 0
	s_delay_alu instid0(VALU_DEP_2) | instskip(NEXT) | instid1(VALU_DEP_1)
	v_cmp_eq_u32_e64 s2, 1, v3
	s_and_b32 vcc_lo, s2, vcc_lo
	v_cndmask_b32_e64 v3, s18, 1, s2
	v_cndmask_b32_e32 v7, s16, v1, vcc_lo
	v_cndmask_b32_e32 v4, s17, v2, vcc_lo
	s_delay_alu instid0(VALU_DEP_3) | instskip(NEXT) | instid1(VALU_DEP_3)
	v_cndmask_b32_e64 v5, v6, v3, s3
	v_cndmask_b32_e64 v3, v1, v7, s3
	s_delay_alu instid0(VALU_DEP_3)
	v_cndmask_b32_e64 v4, v2, v4, s3
.LBB1187_131:
	s_or_b32 s8, s8, exec_lo
.LBB1187_132:
	s_or_b32 exec_lo, exec_lo, s4
	s_branch .LBB1187_206
.LBB1187_133:
	s_cmp_gt_i32 s19, 1
	s_cbranch_scc0 .LBB1187_153
; %bb.134:
	s_cmp_eq_u32 s19, 2
	s_cbranch_scc0 .LBB1187_154
; %bb.135:
	s_mov_b32 s11, 0
	s_lshl_b32 s6, s10, 9
	s_mov_b32 s7, s11
	s_lshr_b64 s[20:21], s[14:15], 9
	s_lshl_b64 s[2:3], s[6:7], 4
	s_delay_alu instid0(SALU_CYCLE_1)
	s_add_u32 s4, s12, s2
	s_addc_u32 s5, s13, s3
	s_cmp_lg_u64 s[20:21], s[10:11]
	s_cbranch_scc0 .LBB1187_155
; %bb.136:
	v_lshlrev_b32_e32 v1, 4, v0
	s_mov_b32 s3, exec_lo
	s_waitcnt lgkmcnt(1)
	s_delay_alu instid0(VALU_DEP_1)
	v_add_co_u32 v3, s2, s4, v1
	s_waitcnt lgkmcnt(0)
	v_add_co_ci_u32_e64 v4, null, s5, 0, s2
	global_load_u8 v5, v1, s[4:5]
	v_add_co_u32 v1, vcc_lo, 0x1000, v3
	v_add_co_ci_u32_e32 v2, vcc_lo, 0, v4, vcc_lo
	s_clause 0x1
	global_load_u8 v6, v[1:2], off
	global_load_b64 v[1:2], v[1:2], off offset:8
	s_waitcnt vmcnt(2)
	v_and_b32_e32 v7, 1, v5
	s_delay_alu instid0(VALU_DEP_1)
	v_cmpx_eq_u32_e32 1, v7
	s_cbranch_execz .LBB1187_138
; %bb.137:
	global_load_b64 v[3:4], v[3:4], off offset:8
	s_waitcnt vmcnt(2)
	v_and_b32_e32 v6, 1, v6
	s_delay_alu instid0(VALU_DEP_1) | instskip(NEXT) | instid1(VALU_DEP_1)
	v_cmp_eq_u32_e64 s2, 1, v6
	v_cndmask_b32_e64 v6, v5, 1, s2
	s_waitcnt vmcnt(0)
	v_cmp_lt_i64_e32 vcc_lo, v[1:2], v[3:4]
	v_cndmask_b32_e32 v2, v4, v2, vcc_lo
	s_and_b32 vcc_lo, s2, vcc_lo
	v_cndmask_b32_e32 v1, v3, v1, vcc_lo
	s_delay_alu instid0(VALU_DEP_2)
	v_cndmask_b32_e64 v2, v4, v2, s2
.LBB1187_138:
	s_or_b32 exec_lo, exec_lo, s3
	s_waitcnt vmcnt(1)
	v_and_b32_e32 v5, 0xff, v6
	v_and_b32_e32 v6, 1, v6
	s_waitcnt vmcnt(0)
	v_mov_b32_dpp v3, v1 quad_perm:[1,0,3,2] row_mask:0xf bank_mask:0xf
	v_mov_b32_dpp v4, v2 quad_perm:[1,0,3,2] row_mask:0xf bank_mask:0xf
	s_mov_b32 s7, exec_lo
	v_mov_b32_dpp v7, v5 quad_perm:[1,0,3,2] row_mask:0xf bank_mask:0xf
	v_cmp_eq_u32_e64 s3, 1, v6
	s_delay_alu instid0(VALU_DEP_2) | instskip(NEXT) | instid1(VALU_DEP_1)
	v_and_b32_e32 v8, 1, v7
	v_cmpx_eq_u32_e32 1, v8
; %bb.139:
	s_delay_alu instid0(VALU_DEP_3) | instskip(SKIP_1) | instid1(VALU_DEP_2)
	v_cndmask_b32_e64 v5, v7, 1, s3
	v_cmp_lt_i64_e32 vcc_lo, v[1:2], v[3:4]
	v_and_b32_e32 v6, 1, v5
	v_and_b32_e32 v5, 0xff, v5
	s_and_b32 vcc_lo, s3, vcc_lo
	s_and_not1_b32 s3, s3, exec_lo
	v_dual_cndmask_b32 v2, v4, v2 :: v_dual_cndmask_b32 v1, v3, v1
	v_cmp_eq_u32_e64 s2, 1, v6
	s_delay_alu instid0(VALU_DEP_1) | instskip(NEXT) | instid1(SALU_CYCLE_1)
	s_and_b32 s2, s2, exec_lo
	s_or_b32 s3, s3, s2
; %bb.140:
	s_or_b32 exec_lo, exec_lo, s7
	v_mov_b32_dpp v6, v5 quad_perm:[2,3,0,1] row_mask:0xf bank_mask:0xf
	v_mov_b32_dpp v3, v1 quad_perm:[2,3,0,1] row_mask:0xf bank_mask:0xf
	;; [unrolled: 1-line block ×3, first 2 shown]
	s_mov_b32 s7, exec_lo
	s_delay_alu instid0(VALU_DEP_3) | instskip(NEXT) | instid1(VALU_DEP_1)
	v_and_b32_e32 v7, 1, v6
	v_cmpx_eq_u32_e32 1, v7
; %bb.141:
	v_cndmask_b32_e64 v5, v6, 1, s3
	v_cmp_lt_i64_e32 vcc_lo, v[1:2], v[3:4]
	s_delay_alu instid0(VALU_DEP_2)
	v_and_b32_e32 v6, 1, v5
	v_and_b32_e32 v5, 0xff, v5
	s_and_b32 vcc_lo, s3, vcc_lo
	s_and_not1_b32 s3, s3, exec_lo
	v_dual_cndmask_b32 v2, v4, v2 :: v_dual_cndmask_b32 v1, v3, v1
	v_cmp_eq_u32_e64 s2, 1, v6
	s_delay_alu instid0(VALU_DEP_1) | instskip(NEXT) | instid1(SALU_CYCLE_1)
	s_and_b32 s2, s2, exec_lo
	s_or_b32 s3, s3, s2
; %bb.142:
	s_or_b32 exec_lo, exec_lo, s7
	v_mov_b32_dpp v6, v5 row_ror:4 row_mask:0xf bank_mask:0xf
	v_mov_b32_dpp v3, v1 row_ror:4 row_mask:0xf bank_mask:0xf
	;; [unrolled: 1-line block ×3, first 2 shown]
	s_mov_b32 s7, exec_lo
	s_delay_alu instid0(VALU_DEP_3) | instskip(NEXT) | instid1(VALU_DEP_1)
	v_and_b32_e32 v7, 1, v6
	v_cmpx_eq_u32_e32 1, v7
; %bb.143:
	v_cndmask_b32_e64 v5, v6, 1, s3
	v_cmp_lt_i64_e32 vcc_lo, v[1:2], v[3:4]
	s_delay_alu instid0(VALU_DEP_2)
	v_and_b32_e32 v6, 1, v5
	v_and_b32_e32 v5, 0xff, v5
	s_and_b32 vcc_lo, s3, vcc_lo
	s_and_not1_b32 s3, s3, exec_lo
	v_dual_cndmask_b32 v2, v4, v2 :: v_dual_cndmask_b32 v1, v3, v1
	v_cmp_eq_u32_e64 s2, 1, v6
	s_delay_alu instid0(VALU_DEP_1) | instskip(NEXT) | instid1(SALU_CYCLE_1)
	s_and_b32 s2, s2, exec_lo
	s_or_b32 s3, s3, s2
; %bb.144:
	s_or_b32 exec_lo, exec_lo, s7
	v_mov_b32_dpp v6, v5 row_ror:8 row_mask:0xf bank_mask:0xf
	v_mov_b32_dpp v3, v1 row_ror:8 row_mask:0xf bank_mask:0xf
	;; [unrolled: 1-line block ×3, first 2 shown]
	s_mov_b32 s7, exec_lo
	s_delay_alu instid0(VALU_DEP_3) | instskip(NEXT) | instid1(VALU_DEP_1)
	v_and_b32_e32 v7, 1, v6
	v_cmpx_eq_u32_e32 1, v7
; %bb.145:
	v_cndmask_b32_e64 v5, v6, 1, s3
	v_cmp_lt_i64_e32 vcc_lo, v[1:2], v[3:4]
	s_delay_alu instid0(VALU_DEP_2)
	v_and_b32_e32 v6, 1, v5
	v_and_b32_e32 v5, 0xff, v5
	s_and_b32 vcc_lo, s3, vcc_lo
	s_and_not1_b32 s3, s3, exec_lo
	v_dual_cndmask_b32 v2, v4, v2 :: v_dual_cndmask_b32 v1, v3, v1
	v_cmp_eq_u32_e64 s2, 1, v6
	s_delay_alu instid0(VALU_DEP_1) | instskip(NEXT) | instid1(SALU_CYCLE_1)
	s_and_b32 s2, s2, exec_lo
	s_or_b32 s3, s3, s2
; %bb.146:
	s_or_b32 exec_lo, exec_lo, s7
	ds_swizzle_b32 v6, v5 offset:swizzle(BROADCAST,32,15)
	ds_swizzle_b32 v3, v1 offset:swizzle(BROADCAST,32,15)
	;; [unrolled: 1-line block ×3, first 2 shown]
	s_mov_b32 s2, exec_lo
	s_waitcnt lgkmcnt(2)
	v_and_b32_e32 v7, 1, v6
	s_delay_alu instid0(VALU_DEP_1)
	v_cmpx_eq_u32_e32 1, v7
	s_cbranch_execz .LBB1187_148
; %bb.147:
	s_waitcnt lgkmcnt(0)
	v_cmp_lt_i64_e32 vcc_lo, v[1:2], v[3:4]
	v_and_b32_e32 v5, 0xff, v6
	s_delay_alu instid0(VALU_DEP_1)
	v_cndmask_b32_e64 v5, v5, 1, s3
	s_and_b32 vcc_lo, s3, vcc_lo
	v_dual_cndmask_b32 v1, v3, v1 :: v_dual_cndmask_b32 v2, v4, v2
.LBB1187_148:
	s_or_b32 exec_lo, exec_lo, s2
	s_waitcnt lgkmcnt(1)
	v_mov_b32_e32 v3, 0
	s_mov_b32 s2, exec_lo
	ds_bpermute_b32 v6, v3, v5 offset:124
	ds_bpermute_b32 v1, v3, v1 offset:124
	;; [unrolled: 1-line block ×3, first 2 shown]
	v_mbcnt_lo_u32_b32 v3, -1, 0
	s_delay_alu instid0(VALU_DEP_1)
	v_cmpx_eq_u32_e32 0, v3
	s_cbranch_execz .LBB1187_150
; %bb.149:
	s_waitcnt lgkmcnt(3)
	v_lshrrev_b32_e32 v4, 1, v0
	s_delay_alu instid0(VALU_DEP_1)
	v_and_b32_e32 v4, 0x70, v4
	s_waitcnt lgkmcnt(2)
	ds_store_b8 v4, v6 offset:128
	s_waitcnt lgkmcnt(1)
	ds_store_b64 v4, v[1:2] offset:136
.LBB1187_150:
	s_or_b32 exec_lo, exec_lo, s2
	s_delay_alu instid0(SALU_CYCLE_1)
	s_mov_b32 s7, exec_lo
	s_waitcnt lgkmcnt(0)
	s_barrier
	buffer_gl0_inv
	v_cmpx_gt_u32_e32 32, v0
	s_cbranch_execz .LBB1187_152
; %bb.151:
	v_and_b32_e32 v6, 7, v3
	s_delay_alu instid0(VALU_DEP_1)
	v_lshlrev_b32_e32 v1, 4, v6
	v_cmp_ne_u32_e32 vcc_lo, 7, v6
	ds_load_u8 v7, v1 offset:128
	ds_load_b64 v[1:2], v1 offset:136
	v_add_co_ci_u32_e32 v4, vcc_lo, 0, v3, vcc_lo
	v_cmp_gt_u32_e32 vcc_lo, 6, v6
	s_delay_alu instid0(VALU_DEP_2)
	v_lshlrev_b32_e32 v5, 2, v4
	v_cndmask_b32_e64 v10, 0, 1, vcc_lo
	s_waitcnt lgkmcnt(1)
	v_and_b32_e32 v4, 0xff, v7
	v_and_b32_e32 v11, 1, v7
	ds_bpermute_b32 v8, v5, v4
	s_waitcnt lgkmcnt(1)
	ds_bpermute_b32 v4, v5, v1
	ds_bpermute_b32 v5, v5, v2
	v_cmp_eq_u32_e64 s3, 1, v11
	s_waitcnt lgkmcnt(2)
	v_and_b32_e32 v9, 1, v8
	s_waitcnt lgkmcnt(0)
	v_cmp_lt_i64_e64 s2, v[4:5], v[1:2]
	s_delay_alu instid0(VALU_DEP_2) | instskip(SKIP_2) | instid1(VALU_DEP_4)
	v_cmp_eq_u32_e32 vcc_lo, 1, v9
	v_lshlrev_b32_e32 v9, 1, v10
	v_cndmask_b32_e64 v7, v7, 1, vcc_lo
	s_and_b32 vcc_lo, vcc_lo, s2
	v_dual_cndmask_b32 v1, v1, v4 :: v_dual_cndmask_b32 v2, v2, v5
	s_delay_alu instid0(VALU_DEP_2) | instskip(SKIP_2) | instid1(VALU_DEP_4)
	v_cndmask_b32_e64 v7, v8, v7, s3
	v_add_lshl_u32 v8, v9, v3, 2
	v_cmp_gt_u32_e32 vcc_lo, 4, v6
	v_cndmask_b32_e64 v1, v4, v1, s3
	v_cndmask_b32_e64 v2, v5, v2, s3
	v_and_b32_e32 v9, 0xff, v7
	v_and_b32_e32 v10, 1, v7
	v_cndmask_b32_e64 v6, 0, 1, vcc_lo
	ds_bpermute_b32 v4, v8, v1
	ds_bpermute_b32 v5, v8, v2
	;; [unrolled: 1-line block ×3, first 2 shown]
	v_cmp_eq_u32_e64 s3, 1, v10
	s_waitcnt lgkmcnt(1)
	v_cmp_lt_i64_e64 s2, v[4:5], v[1:2]
	s_waitcnt lgkmcnt(0)
	v_and_b32_e32 v8, 1, v9
	s_delay_alu instid0(VALU_DEP_1) | instskip(SKIP_1) | instid1(VALU_DEP_4)
	v_cmp_eq_u32_e32 vcc_lo, 1, v8
	v_cndmask_b32_e64 v7, v7, 1, vcc_lo
	s_and_b32 vcc_lo, vcc_lo, s2
	v_dual_cndmask_b32 v1, v1, v4 :: v_dual_cndmask_b32 v2, v2, v5
	s_delay_alu instid0(VALU_DEP_2) | instskip(NEXT) | instid1(VALU_DEP_2)
	v_cndmask_b32_e64 v7, v9, v7, s3
	v_cndmask_b32_e64 v1, v4, v1, s3
	v_lshlrev_b32_e32 v6, 2, v6
	s_delay_alu instid0(VALU_DEP_4) | instskip(NEXT) | instid1(VALU_DEP_2)
	v_cndmask_b32_e64 v2, v5, v2, s3
	v_add_lshl_u32 v6, v6, v3, 2
	v_and_b32_e32 v3, 0xff, v7
	ds_bpermute_b32 v4, v6, v2
	ds_bpermute_b32 v5, v6, v3
	;; [unrolled: 1-line block ×3, first 2 shown]
	s_waitcnt lgkmcnt(1)
	v_and_b32_e32 v6, 1, v5
	s_waitcnt lgkmcnt(0)
	v_cmp_lt_i64_e32 vcc_lo, v[3:4], v[1:2]
	s_delay_alu instid0(VALU_DEP_2) | instskip(SKIP_1) | instid1(VALU_DEP_2)
	v_cmp_eq_u32_e64 s2, 1, v6
	v_and_b32_e32 v6, 1, v7
	v_cndmask_b32_e64 v7, v7, 1, s2
	s_and_b32 vcc_lo, s2, vcc_lo
	s_delay_alu instid0(VALU_DEP_2) | instskip(SKIP_1) | instid1(VALU_DEP_2)
	v_cmp_eq_u32_e64 s2, 1, v6
	v_dual_cndmask_b32 v1, v1, v3 :: v_dual_cndmask_b32 v2, v2, v4
	v_cndmask_b32_e64 v5, v5, v7, s2
	s_delay_alu instid0(VALU_DEP_2) | instskip(NEXT) | instid1(VALU_DEP_3)
	v_cndmask_b32_e64 v1, v3, v1, s2
	v_cndmask_b32_e64 v2, v4, v2, s2
	s_delay_alu instid0(VALU_DEP_3)
	v_and_b32_e32 v6, 0xff, v5
.LBB1187_152:
	s_or_b32 exec_lo, exec_lo, s7
	s_branch .LBB1187_183
.LBB1187_153:
                                        ; implicit-def: $vgpr3_vgpr4
                                        ; implicit-def: $vgpr5
	s_cbranch_execnz .LBB1187_188
	s_branch .LBB1187_206
.LBB1187_154:
                                        ; implicit-def: $vgpr3_vgpr4
                                        ; implicit-def: $vgpr5
	s_branch .LBB1187_206
.LBB1187_155:
                                        ; implicit-def: $vgpr1_vgpr2
                                        ; implicit-def: $vgpr6
	s_cbranch_execz .LBB1187_183
; %bb.156:
	s_waitcnt lgkmcnt(0)
	v_mov_b32_e32 v3, 0
	v_dual_mov_b32 v4, 0 :: v_dual_mov_b32 v5, 0
	s_delay_alu instid0(VALU_DEP_2) | instskip(SKIP_2) | instid1(VALU_DEP_3)
	v_mov_b32_e32 v1, v3
	v_mov_b32_e32 v7, 0
	s_sub_i32 s3, s14, s6
	v_mov_b32_e32 v2, v4
	s_mov_b32 s2, exec_lo
	v_cmpx_gt_u32_e64 s3, v0
; %bb.157:
	v_lshlrev_b32_e32 v1, 4, v0
	s_clause 0x1
	global_load_u8 v7, v1, s[4:5]
	global_load_b64 v[1:2], v1, s[4:5] offset:8
; %bb.158:
	s_or_b32 exec_lo, exec_lo, s2
	v_or_b32_e32 v6, 0x100, v0
	s_delay_alu instid0(VALU_DEP_1)
	v_cmp_gt_u32_e32 vcc_lo, s3, v6
	s_and_saveexec_b32 s2, vcc_lo
; %bb.159:
	v_lshlrev_b32_e32 v3, 4, v6
	s_clause 0x1
	global_load_u8 v5, v3, s[4:5]
	global_load_b64 v[3:4], v3, s[4:5] offset:8
; %bb.160:
	s_or_b32 exec_lo, exec_lo, s2
	s_and_saveexec_b32 s4, vcc_lo
	s_cbranch_execz .LBB1187_162
; %bb.161:
	s_waitcnt vmcnt(1)
	v_and_b32_e32 v6, 1, v5
	s_waitcnt vmcnt(0)
	v_cmp_lt_i64_e32 vcc_lo, v[3:4], v[1:2]
	s_delay_alu instid0(VALU_DEP_2) | instskip(NEXT) | instid1(VALU_DEP_1)
	v_cmp_eq_u32_e64 s2, 1, v6
	s_and_b32 vcc_lo, s2, vcc_lo
	v_cndmask_b32_e32 v1, v1, v3, vcc_lo
	v_and_b32_e32 v6, 1, v7
	v_cndmask_b32_e64 v7, v7, 1, s2
	v_cndmask_b32_e32 v2, v2, v4, vcc_lo
	s_delay_alu instid0(VALU_DEP_3) | instskip(NEXT) | instid1(VALU_DEP_2)
	v_cmp_eq_u32_e32 vcc_lo, 1, v6
	v_dual_cndmask_b32 v7, v5, v7 :: v_dual_cndmask_b32 v2, v4, v2
	v_cndmask_b32_e32 v1, v3, v1, vcc_lo
.LBB1187_162:
	s_or_b32 exec_lo, exec_lo, s4
	s_waitcnt vmcnt(1)
	v_mbcnt_lo_u32_b32 v5, -1, 0
	v_and_b32_e32 v6, 0xff, v7
	v_and_b32_e32 v8, 0xe0, v0
	s_min_u32 s3, s3, 0x100
	s_mov_b32 s4, exec_lo
	v_cmp_ne_u32_e32 vcc_lo, 31, v5
	v_add_nc_u32_e32 v10, 1, v5
	v_sub_nc_u32_e64 v8, s3, v8 clamp
	s_waitcnt vmcnt(0)
	v_add_co_ci_u32_e32 v3, vcc_lo, 0, v5, vcc_lo
	s_delay_alu instid0(VALU_DEP_1)
	v_lshlrev_b32_e32 v4, 2, v3
	ds_bpermute_b32 v9, v4, v6
	ds_bpermute_b32 v3, v4, v1
	ds_bpermute_b32 v4, v4, v2
	v_cmpx_lt_u32_e64 v10, v8
	s_cbranch_execz .LBB1187_164
; %bb.163:
	s_waitcnt lgkmcnt(2)
	v_and_b32_e32 v6, 1, v9
	s_waitcnt lgkmcnt(0)
	v_cmp_lt_i64_e32 vcc_lo, v[3:4], v[1:2]
	s_delay_alu instid0(VALU_DEP_2) | instskip(SKIP_1) | instid1(VALU_DEP_2)
	v_cmp_eq_u32_e64 s2, 1, v6
	v_and_b32_e32 v6, 1, v7
	v_cndmask_b32_e64 v7, v7, 1, s2
	s_and_b32 vcc_lo, s2, vcc_lo
	s_delay_alu instid0(VALU_DEP_2) | instskip(SKIP_1) | instid1(VALU_DEP_2)
	v_cmp_eq_u32_e64 s2, 1, v6
	v_dual_cndmask_b32 v1, v1, v3 :: v_dual_cndmask_b32 v2, v2, v4
	v_cndmask_b32_e64 v7, v9, v7, s2
	s_delay_alu instid0(VALU_DEP_2) | instskip(NEXT) | instid1(VALU_DEP_3)
	v_cndmask_b32_e64 v1, v3, v1, s2
	v_cndmask_b32_e64 v2, v4, v2, s2
	s_delay_alu instid0(VALU_DEP_3)
	v_and_b32_e32 v6, 0xff, v7
.LBB1187_164:
	s_or_b32 exec_lo, exec_lo, s4
	v_cmp_gt_u32_e32 vcc_lo, 30, v5
	v_add_nc_u32_e32 v10, 2, v5
	s_mov_b32 s4, exec_lo
	s_waitcnt lgkmcnt(1)
	v_cndmask_b32_e64 v3, 0, 1, vcc_lo
	s_delay_alu instid0(VALU_DEP_1) | instskip(SKIP_1) | instid1(VALU_DEP_1)
	v_lshlrev_b32_e32 v3, 1, v3
	s_waitcnt lgkmcnt(0)
	v_add_lshl_u32 v4, v3, v5, 2
	ds_bpermute_b32 v9, v4, v6
	ds_bpermute_b32 v3, v4, v1
	ds_bpermute_b32 v4, v4, v2
	v_cmpx_lt_u32_e64 v10, v8
	s_cbranch_execz .LBB1187_166
; %bb.165:
	s_waitcnt lgkmcnt(2)
	v_and_b32_e32 v6, 1, v9
	s_waitcnt lgkmcnt(0)
	v_cmp_lt_i64_e32 vcc_lo, v[3:4], v[1:2]
	s_delay_alu instid0(VALU_DEP_2) | instskip(SKIP_1) | instid1(VALU_DEP_2)
	v_cmp_eq_u32_e64 s2, 1, v6
	v_and_b32_e32 v6, 1, v7
	v_cndmask_b32_e64 v7, v7, 1, s2
	s_and_b32 vcc_lo, s2, vcc_lo
	s_delay_alu instid0(VALU_DEP_2) | instskip(SKIP_1) | instid1(VALU_DEP_2)
	v_cmp_eq_u32_e64 s2, 1, v6
	v_dual_cndmask_b32 v1, v1, v3 :: v_dual_cndmask_b32 v2, v2, v4
	v_cndmask_b32_e64 v7, v9, v7, s2
	s_delay_alu instid0(VALU_DEP_2) | instskip(NEXT) | instid1(VALU_DEP_3)
	v_cndmask_b32_e64 v1, v3, v1, s2
	v_cndmask_b32_e64 v2, v4, v2, s2
	s_delay_alu instid0(VALU_DEP_3)
	v_and_b32_e32 v6, 0xff, v7
.LBB1187_166:
	s_or_b32 exec_lo, exec_lo, s4
	v_cmp_gt_u32_e32 vcc_lo, 28, v5
	v_add_nc_u32_e32 v10, 4, v5
	s_mov_b32 s4, exec_lo
	s_waitcnt lgkmcnt(1)
	v_cndmask_b32_e64 v3, 0, 1, vcc_lo
	s_delay_alu instid0(VALU_DEP_1) | instskip(SKIP_1) | instid1(VALU_DEP_1)
	v_lshlrev_b32_e32 v3, 2, v3
	s_waitcnt lgkmcnt(0)
	v_add_lshl_u32 v4, v3, v5, 2
	;; [unrolled: 35-line block ×4, first 2 shown]
	ds_bpermute_b32 v9, v4, v6
	ds_bpermute_b32 v3, v4, v1
	;; [unrolled: 1-line block ×3, first 2 shown]
	v_cmpx_lt_u32_e64 v10, v8
	s_cbranch_execz .LBB1187_172
; %bb.171:
	s_waitcnt lgkmcnt(2)
	v_and_b32_e32 v6, 1, v9
	s_waitcnt lgkmcnt(0)
	v_cmp_lt_i64_e32 vcc_lo, v[3:4], v[1:2]
	s_delay_alu instid0(VALU_DEP_2) | instskip(SKIP_1) | instid1(VALU_DEP_2)
	v_cmp_eq_u32_e64 s2, 1, v6
	v_and_b32_e32 v6, 1, v7
	v_cndmask_b32_e64 v7, v7, 1, s2
	s_and_b32 vcc_lo, s2, vcc_lo
	s_delay_alu instid0(VALU_DEP_2) | instskip(SKIP_1) | instid1(VALU_DEP_2)
	v_cmp_eq_u32_e64 s2, 1, v6
	v_dual_cndmask_b32 v1, v1, v3 :: v_dual_cndmask_b32 v2, v2, v4
	v_cndmask_b32_e64 v7, v9, v7, s2
	s_delay_alu instid0(VALU_DEP_2) | instskip(NEXT) | instid1(VALU_DEP_3)
	v_cndmask_b32_e64 v1, v3, v1, s2
	v_cndmask_b32_e64 v2, v4, v2, s2
	s_delay_alu instid0(VALU_DEP_3)
	v_and_b32_e32 v6, 0xff, v7
.LBB1187_172:
	s_or_b32 exec_lo, exec_lo, s4
	s_delay_alu instid0(SALU_CYCLE_1)
	s_mov_b32 s2, exec_lo
	v_cmpx_eq_u32_e32 0, v5
	s_cbranch_execz .LBB1187_174
; %bb.173:
	s_waitcnt lgkmcnt(1)
	v_lshrrev_b32_e32 v3, 1, v0
	s_delay_alu instid0(VALU_DEP_1)
	v_and_b32_e32 v3, 0x70, v3
	ds_store_b8 v3, v7 offset:512
	ds_store_b64 v3, v[1:2] offset:520
.LBB1187_174:
	s_or_b32 exec_lo, exec_lo, s2
	s_delay_alu instid0(SALU_CYCLE_1)
	s_mov_b32 s4, exec_lo
	s_waitcnt lgkmcnt(0)
	s_barrier
	buffer_gl0_inv
	v_cmpx_gt_u32_e32 8, v0
	s_cbranch_execz .LBB1187_182
; %bb.175:
	v_lshlrev_b32_e32 v1, 4, v5
	v_and_b32_e32 v8, 7, v5
	s_add_i32 s3, s3, 31
	s_mov_b32 s5, exec_lo
	s_lshr_b32 s3, s3, 5
	ds_load_u8 v7, v1 offset:512
	ds_load_b64 v[1:2], v1 offset:520
	v_cmp_ne_u32_e32 vcc_lo, 7, v8
	v_add_nc_u32_e32 v10, 1, v8
	v_add_co_ci_u32_e32 v3, vcc_lo, 0, v5, vcc_lo
	s_delay_alu instid0(VALU_DEP_1)
	v_lshlrev_b32_e32 v4, 2, v3
	s_waitcnt lgkmcnt(1)
	v_and_b32_e32 v6, 0xff, v7
	s_waitcnt lgkmcnt(0)
	ds_bpermute_b32 v3, v4, v1
	ds_bpermute_b32 v9, v4, v6
	;; [unrolled: 1-line block ×3, first 2 shown]
	v_cmpx_gt_u32_e64 s3, v10
	s_cbranch_execz .LBB1187_177
; %bb.176:
	s_waitcnt lgkmcnt(1)
	v_and_b32_e32 v6, 1, v9
	s_waitcnt lgkmcnt(0)
	v_cmp_lt_i64_e32 vcc_lo, v[3:4], v[1:2]
	s_delay_alu instid0(VALU_DEP_2) | instskip(SKIP_1) | instid1(VALU_DEP_2)
	v_cmp_eq_u32_e64 s2, 1, v6
	v_and_b32_e32 v6, 1, v7
	v_cndmask_b32_e64 v7, v7, 1, s2
	s_and_b32 vcc_lo, s2, vcc_lo
	s_delay_alu instid0(VALU_DEP_2) | instskip(SKIP_1) | instid1(VALU_DEP_2)
	v_cmp_eq_u32_e64 s2, 1, v6
	v_dual_cndmask_b32 v1, v1, v3 :: v_dual_cndmask_b32 v2, v2, v4
	v_cndmask_b32_e64 v7, v9, v7, s2
	s_delay_alu instid0(VALU_DEP_2) | instskip(NEXT) | instid1(VALU_DEP_3)
	v_cndmask_b32_e64 v1, v3, v1, s2
	v_cndmask_b32_e64 v2, v4, v2, s2
	s_delay_alu instid0(VALU_DEP_3)
	v_and_b32_e32 v6, 0xff, v7
.LBB1187_177:
	s_or_b32 exec_lo, exec_lo, s5
	v_cmp_gt_u32_e32 vcc_lo, 6, v8
	v_add_nc_u32_e32 v10, 2, v8
	s_mov_b32 s5, exec_lo
	s_waitcnt lgkmcnt(2)
	v_cndmask_b32_e64 v3, 0, 1, vcc_lo
	s_delay_alu instid0(VALU_DEP_1) | instskip(SKIP_1) | instid1(VALU_DEP_1)
	v_lshlrev_b32_e32 v3, 1, v3
	s_waitcnt lgkmcnt(0)
	v_add_lshl_u32 v4, v3, v5, 2
	ds_bpermute_b32 v9, v4, v6
	ds_bpermute_b32 v3, v4, v1
	;; [unrolled: 1-line block ×3, first 2 shown]
	v_cmpx_gt_u32_e64 s3, v10
	s_cbranch_execz .LBB1187_179
; %bb.178:
	s_waitcnt lgkmcnt(2)
	v_and_b32_e32 v6, 1, v9
	s_waitcnt lgkmcnt(0)
	v_cmp_lt_i64_e32 vcc_lo, v[3:4], v[1:2]
	s_delay_alu instid0(VALU_DEP_2) | instskip(SKIP_1) | instid1(VALU_DEP_2)
	v_cmp_eq_u32_e64 s2, 1, v6
	v_and_b32_e32 v6, 1, v7
	v_cndmask_b32_e64 v7, v7, 1, s2
	s_and_b32 vcc_lo, s2, vcc_lo
	s_delay_alu instid0(VALU_DEP_2) | instskip(SKIP_1) | instid1(VALU_DEP_2)
	v_cmp_eq_u32_e64 s2, 1, v6
	v_dual_cndmask_b32 v1, v1, v3 :: v_dual_cndmask_b32 v2, v2, v4
	v_cndmask_b32_e64 v7, v9, v7, s2
	s_delay_alu instid0(VALU_DEP_2) | instskip(NEXT) | instid1(VALU_DEP_3)
	v_cndmask_b32_e64 v1, v3, v1, s2
	v_cndmask_b32_e64 v2, v4, v2, s2
	s_delay_alu instid0(VALU_DEP_3)
	v_and_b32_e32 v6, 0xff, v7
.LBB1187_179:
	s_or_b32 exec_lo, exec_lo, s5
	v_cmp_gt_u32_e32 vcc_lo, 4, v8
	v_add_nc_u32_e32 v8, 4, v8
	s_waitcnt lgkmcnt(1)
	v_cndmask_b32_e64 v3, 0, 1, vcc_lo
	s_delay_alu instid0(VALU_DEP_2) | instskip(NEXT) | instid1(VALU_DEP_2)
	v_cmp_gt_u32_e32 vcc_lo, s3, v8
	v_lshlrev_b32_e32 v3, 2, v3
	s_waitcnt lgkmcnt(0)
	s_delay_alu instid0(VALU_DEP_1)
	v_add_lshl_u32 v4, v3, v5, 2
	ds_bpermute_b32 v5, v4, v6
	ds_bpermute_b32 v3, v4, v1
	;; [unrolled: 1-line block ×3, first 2 shown]
	s_and_saveexec_b32 s3, vcc_lo
	s_cbranch_execz .LBB1187_181
; %bb.180:
	s_waitcnt lgkmcnt(2)
	v_and_b32_e32 v6, 1, v5
	s_waitcnt lgkmcnt(0)
	v_cmp_lt_i64_e32 vcc_lo, v[3:4], v[1:2]
	s_delay_alu instid0(VALU_DEP_2) | instskip(SKIP_1) | instid1(VALU_DEP_2)
	v_cmp_eq_u32_e64 s2, 1, v6
	v_and_b32_e32 v6, 1, v7
	v_cndmask_b32_e64 v7, v7, 1, s2
	s_and_b32 vcc_lo, s2, vcc_lo
	s_delay_alu instid0(VALU_DEP_2) | instskip(SKIP_1) | instid1(VALU_DEP_2)
	v_cmp_eq_u32_e64 s2, 1, v6
	v_dual_cndmask_b32 v1, v1, v3 :: v_dual_cndmask_b32 v2, v2, v4
	v_cndmask_b32_e64 v5, v5, v7, s2
	s_delay_alu instid0(VALU_DEP_2) | instskip(NEXT) | instid1(VALU_DEP_3)
	v_cndmask_b32_e64 v1, v3, v1, s2
	v_cndmask_b32_e64 v2, v4, v2, s2
	s_delay_alu instid0(VALU_DEP_3)
	v_and_b32_e32 v6, 0xff, v5
.LBB1187_181:
	s_or_b32 exec_lo, exec_lo, s3
.LBB1187_182:
	s_delay_alu instid0(SALU_CYCLE_1)
	s_or_b32 exec_lo, exec_lo, s4
.LBB1187_183:
                                        ; implicit-def: $vgpr3_vgpr4
                                        ; implicit-def: $vgpr5
	s_delay_alu instid0(SALU_CYCLE_1)
	s_mov_b32 s2, exec_lo
	v_cmpx_eq_u32_e32 0, v0
	s_xor_b32 s4, exec_lo, s2
	s_cbranch_execz .LBB1187_187
; %bb.184:
	s_waitcnt lgkmcnt(0)
	v_dual_mov_b32 v3, s16 :: v_dual_mov_b32 v4, s17
	v_mov_b32_e32 v5, s18
	s_cmp_eq_u64 s[14:15], 0
	s_cbranch_scc1 .LBB1187_186
; %bb.185:
	v_and_b32_e32 v3, 1, v6
	v_cmp_gt_i64_e32 vcc_lo, s[16:17], v[1:2]
	s_bitcmp1_b32 s18, 0
	s_cselect_b32 s3, -1, 0
	s_delay_alu instid0(VALU_DEP_2) | instskip(NEXT) | instid1(VALU_DEP_1)
	v_cmp_eq_u32_e64 s2, 1, v3
	s_and_b32 vcc_lo, s2, vcc_lo
	v_cndmask_b32_e64 v3, s18, 1, s2
	v_cndmask_b32_e32 v7, s16, v1, vcc_lo
	v_cndmask_b32_e32 v4, s17, v2, vcc_lo
	s_delay_alu instid0(VALU_DEP_3) | instskip(NEXT) | instid1(VALU_DEP_3)
	v_cndmask_b32_e64 v5, v6, v3, s3
	v_cndmask_b32_e64 v3, v1, v7, s3
	s_delay_alu instid0(VALU_DEP_3)
	v_cndmask_b32_e64 v4, v2, v4, s3
.LBB1187_186:
	s_or_b32 s8, s8, exec_lo
.LBB1187_187:
	s_or_b32 exec_lo, exec_lo, s4
	s_branch .LBB1187_206
.LBB1187_188:
	s_cmp_eq_u32 s19, 1
	s_cbranch_scc0 .LBB1187_205
; %bb.189:
	s_mov_b32 s5, 0
	s_lshr_b64 s[2:3], s[14:15], 8
	s_mov_b32 s11, s5
	s_lshl_b32 s4, s10, 8
	s_cmp_lg_u64 s[2:3], s[10:11]
	s_cbranch_scc0 .LBB1187_209
; %bb.190:
	s_lshl_b64 s[2:3], s[4:5], 4
	v_lshlrev_b32_e32 v1, 4, v0
	s_add_u32 s2, s12, s2
	s_addc_u32 s3, s13, s3
	s_mov_b32 s6, exec_lo
	s_waitcnt lgkmcnt(1)
	s_clause 0x1
	global_load_u8 v3, v1, s[2:3]
	global_load_b64 v[1:2], v1, s[2:3] offset:8
	s_waitcnt vmcnt(1)
	v_and_b32_e32 v5, 1, v3
	s_waitcnt vmcnt(0)
	v_mov_b32_dpp v3, v1 quad_perm:[1,0,3,2] row_mask:0xf bank_mask:0xf
	s_waitcnt lgkmcnt(0)
	v_mov_b32_dpp v4, v2 quad_perm:[1,0,3,2] row_mask:0xf bank_mask:0xf
	v_mov_b32_dpp v6, v5 quad_perm:[1,0,3,2] row_mask:0xf bank_mask:0xf
	v_cmp_eq_u32_e64 s3, 1, v5
	s_delay_alu instid0(VALU_DEP_2) | instskip(NEXT) | instid1(VALU_DEP_1)
	v_and_b32_e32 v7, 1, v6
	v_cmpx_eq_u32_e32 1, v7
; %bb.191:
	s_delay_alu instid0(VALU_DEP_3) | instskip(SKIP_1) | instid1(VALU_DEP_2)
	v_cndmask_b32_e64 v5, v6, 1, s3
	v_cmp_lt_i64_e32 vcc_lo, v[1:2], v[3:4]
	v_and_b32_e32 v6, 1, v5
	v_and_b32_e32 v5, 0xff, v5
	s_and_b32 vcc_lo, s3, vcc_lo
	s_and_not1_b32 s3, s3, exec_lo
	v_dual_cndmask_b32 v2, v4, v2 :: v_dual_cndmask_b32 v1, v3, v1
	v_cmp_eq_u32_e64 s2, 1, v6
	s_delay_alu instid0(VALU_DEP_1) | instskip(NEXT) | instid1(SALU_CYCLE_1)
	s_and_b32 s2, s2, exec_lo
	s_or_b32 s3, s3, s2
; %bb.192:
	s_or_b32 exec_lo, exec_lo, s6
	v_mov_b32_dpp v6, v5 quad_perm:[2,3,0,1] row_mask:0xf bank_mask:0xf
	v_mov_b32_dpp v3, v1 quad_perm:[2,3,0,1] row_mask:0xf bank_mask:0xf
	;; [unrolled: 1-line block ×3, first 2 shown]
	s_mov_b32 s6, exec_lo
	s_delay_alu instid0(VALU_DEP_3) | instskip(NEXT) | instid1(VALU_DEP_1)
	v_and_b32_e32 v7, 1, v6
	v_cmpx_eq_u32_e32 1, v7
; %bb.193:
	v_cndmask_b32_e64 v5, v6, 1, s3
	v_cmp_lt_i64_e32 vcc_lo, v[1:2], v[3:4]
	s_delay_alu instid0(VALU_DEP_2)
	v_and_b32_e32 v6, 1, v5
	v_and_b32_e32 v5, 0xff, v5
	s_and_b32 vcc_lo, s3, vcc_lo
	s_and_not1_b32 s3, s3, exec_lo
	v_dual_cndmask_b32 v2, v4, v2 :: v_dual_cndmask_b32 v1, v3, v1
	v_cmp_eq_u32_e64 s2, 1, v6
	s_delay_alu instid0(VALU_DEP_1) | instskip(NEXT) | instid1(SALU_CYCLE_1)
	s_and_b32 s2, s2, exec_lo
	s_or_b32 s3, s3, s2
; %bb.194:
	s_or_b32 exec_lo, exec_lo, s6
	v_mov_b32_dpp v6, v5 row_ror:4 row_mask:0xf bank_mask:0xf
	v_mov_b32_dpp v3, v1 row_ror:4 row_mask:0xf bank_mask:0xf
	;; [unrolled: 1-line block ×3, first 2 shown]
	s_mov_b32 s6, exec_lo
	s_delay_alu instid0(VALU_DEP_3) | instskip(NEXT) | instid1(VALU_DEP_1)
	v_and_b32_e32 v7, 1, v6
	v_cmpx_eq_u32_e32 1, v7
; %bb.195:
	v_cndmask_b32_e64 v5, v6, 1, s3
	v_cmp_lt_i64_e32 vcc_lo, v[1:2], v[3:4]
	s_delay_alu instid0(VALU_DEP_2)
	v_and_b32_e32 v6, 1, v5
	v_and_b32_e32 v5, 0xff, v5
	s_and_b32 vcc_lo, s3, vcc_lo
	s_and_not1_b32 s3, s3, exec_lo
	v_dual_cndmask_b32 v2, v4, v2 :: v_dual_cndmask_b32 v1, v3, v1
	v_cmp_eq_u32_e64 s2, 1, v6
	s_delay_alu instid0(VALU_DEP_1) | instskip(NEXT) | instid1(SALU_CYCLE_1)
	s_and_b32 s2, s2, exec_lo
	s_or_b32 s3, s3, s2
; %bb.196:
	s_or_b32 exec_lo, exec_lo, s6
	v_mov_b32_dpp v6, v5 row_ror:8 row_mask:0xf bank_mask:0xf
	v_mov_b32_dpp v3, v1 row_ror:8 row_mask:0xf bank_mask:0xf
	;; [unrolled: 1-line block ×3, first 2 shown]
	s_mov_b32 s6, exec_lo
	s_delay_alu instid0(VALU_DEP_3) | instskip(NEXT) | instid1(VALU_DEP_1)
	v_and_b32_e32 v7, 1, v6
	v_cmpx_eq_u32_e32 1, v7
; %bb.197:
	v_cndmask_b32_e64 v5, v6, 1, s3
	v_cmp_lt_i64_e32 vcc_lo, v[1:2], v[3:4]
	s_delay_alu instid0(VALU_DEP_2)
	v_and_b32_e32 v6, 1, v5
	v_and_b32_e32 v5, 0xff, v5
	s_and_b32 vcc_lo, s3, vcc_lo
	s_and_not1_b32 s3, s3, exec_lo
	v_dual_cndmask_b32 v2, v4, v2 :: v_dual_cndmask_b32 v1, v3, v1
	v_cmp_eq_u32_e64 s2, 1, v6
	s_delay_alu instid0(VALU_DEP_1) | instskip(NEXT) | instid1(SALU_CYCLE_1)
	s_and_b32 s2, s2, exec_lo
	s_or_b32 s3, s3, s2
; %bb.198:
	s_or_b32 exec_lo, exec_lo, s6
	ds_swizzle_b32 v6, v5 offset:swizzle(BROADCAST,32,15)
	ds_swizzle_b32 v3, v1 offset:swizzle(BROADCAST,32,15)
	;; [unrolled: 1-line block ×3, first 2 shown]
	s_mov_b32 s2, exec_lo
	s_waitcnt lgkmcnt(2)
	v_and_b32_e32 v7, 1, v6
	s_delay_alu instid0(VALU_DEP_1)
	v_cmpx_eq_u32_e32 1, v7
	s_cbranch_execz .LBB1187_200
; %bb.199:
	s_waitcnt lgkmcnt(0)
	v_cmp_lt_i64_e32 vcc_lo, v[1:2], v[3:4]
	v_and_b32_e32 v5, 0xff, v6
	s_delay_alu instid0(VALU_DEP_1)
	v_cndmask_b32_e64 v5, v5, 1, s3
	s_and_b32 vcc_lo, s3, vcc_lo
	v_dual_cndmask_b32 v1, v3, v1 :: v_dual_cndmask_b32 v2, v4, v2
.LBB1187_200:
	s_or_b32 exec_lo, exec_lo, s2
	s_waitcnt lgkmcnt(1)
	v_mov_b32_e32 v3, 0
	s_mov_b32 s2, exec_lo
	ds_bpermute_b32 v6, v3, v5 offset:124
	ds_bpermute_b32 v1, v3, v1 offset:124
	;; [unrolled: 1-line block ×3, first 2 shown]
	v_mbcnt_lo_u32_b32 v3, -1, 0
	s_delay_alu instid0(VALU_DEP_1)
	v_cmpx_eq_u32_e32 0, v3
	s_cbranch_execz .LBB1187_202
; %bb.201:
	s_waitcnt lgkmcnt(3)
	v_lshrrev_b32_e32 v4, 1, v0
	s_delay_alu instid0(VALU_DEP_1)
	v_and_b32_e32 v4, 0x70, v4
	s_waitcnt lgkmcnt(2)
	ds_store_b8 v4, v6
	s_waitcnt lgkmcnt(1)
	ds_store_b64 v4, v[1:2] offset:8
.LBB1187_202:
	s_or_b32 exec_lo, exec_lo, s2
	s_delay_alu instid0(SALU_CYCLE_1)
	s_mov_b32 s6, exec_lo
	s_waitcnt lgkmcnt(0)
	s_barrier
	buffer_gl0_inv
	v_cmpx_gt_u32_e32 32, v0
	s_cbranch_execz .LBB1187_204
; %bb.203:
	v_and_b32_e32 v6, 7, v3
	s_delay_alu instid0(VALU_DEP_1)
	v_lshlrev_b32_e32 v1, 4, v6
	v_cmp_ne_u32_e32 vcc_lo, 7, v6
	ds_load_u8 v7, v1
	ds_load_b64 v[1:2], v1 offset:8
	v_add_co_ci_u32_e32 v4, vcc_lo, 0, v3, vcc_lo
	v_cmp_gt_u32_e32 vcc_lo, 6, v6
	s_delay_alu instid0(VALU_DEP_2)
	v_lshlrev_b32_e32 v5, 2, v4
	v_cndmask_b32_e64 v10, 0, 1, vcc_lo
	s_waitcnt lgkmcnt(1)
	v_and_b32_e32 v4, 0xff, v7
	v_and_b32_e32 v11, 1, v7
	ds_bpermute_b32 v8, v5, v4
	s_waitcnt lgkmcnt(1)
	ds_bpermute_b32 v4, v5, v1
	ds_bpermute_b32 v5, v5, v2
	v_cmp_eq_u32_e64 s3, 1, v11
	s_waitcnt lgkmcnt(2)
	v_and_b32_e32 v9, 1, v8
	s_waitcnt lgkmcnt(0)
	v_cmp_lt_i64_e64 s2, v[4:5], v[1:2]
	s_delay_alu instid0(VALU_DEP_2) | instskip(SKIP_2) | instid1(VALU_DEP_4)
	v_cmp_eq_u32_e32 vcc_lo, 1, v9
	v_lshlrev_b32_e32 v9, 1, v10
	v_cndmask_b32_e64 v7, v7, 1, vcc_lo
	s_and_b32 vcc_lo, vcc_lo, s2
	v_dual_cndmask_b32 v1, v1, v4 :: v_dual_cndmask_b32 v2, v2, v5
	s_delay_alu instid0(VALU_DEP_2) | instskip(SKIP_2) | instid1(VALU_DEP_4)
	v_cndmask_b32_e64 v7, v8, v7, s3
	v_add_lshl_u32 v8, v9, v3, 2
	v_cmp_gt_u32_e32 vcc_lo, 4, v6
	v_cndmask_b32_e64 v1, v4, v1, s3
	v_cndmask_b32_e64 v2, v5, v2, s3
	v_and_b32_e32 v9, 0xff, v7
	v_and_b32_e32 v10, 1, v7
	v_cndmask_b32_e64 v6, 0, 1, vcc_lo
	ds_bpermute_b32 v4, v8, v1
	ds_bpermute_b32 v5, v8, v2
	;; [unrolled: 1-line block ×3, first 2 shown]
	v_cmp_eq_u32_e64 s3, 1, v10
	s_waitcnt lgkmcnt(1)
	v_cmp_lt_i64_e64 s2, v[4:5], v[1:2]
	s_waitcnt lgkmcnt(0)
	v_and_b32_e32 v8, 1, v9
	s_delay_alu instid0(VALU_DEP_1) | instskip(SKIP_1) | instid1(VALU_DEP_4)
	v_cmp_eq_u32_e32 vcc_lo, 1, v8
	v_cndmask_b32_e64 v7, v7, 1, vcc_lo
	s_and_b32 vcc_lo, vcc_lo, s2
	v_dual_cndmask_b32 v1, v1, v4 :: v_dual_cndmask_b32 v2, v2, v5
	s_delay_alu instid0(VALU_DEP_2) | instskip(NEXT) | instid1(VALU_DEP_2)
	v_cndmask_b32_e64 v7, v9, v7, s3
	v_cndmask_b32_e64 v1, v4, v1, s3
	v_lshlrev_b32_e32 v6, 2, v6
	s_delay_alu instid0(VALU_DEP_4) | instskip(NEXT) | instid1(VALU_DEP_2)
	v_cndmask_b32_e64 v2, v5, v2, s3
	v_add_lshl_u32 v6, v6, v3, 2
	v_and_b32_e32 v3, 0xff, v7
	ds_bpermute_b32 v4, v6, v2
	ds_bpermute_b32 v5, v6, v3
	;; [unrolled: 1-line block ×3, first 2 shown]
	s_waitcnt lgkmcnt(1)
	v_and_b32_e32 v6, 1, v5
	s_waitcnt lgkmcnt(0)
	v_cmp_lt_i64_e32 vcc_lo, v[3:4], v[1:2]
	s_delay_alu instid0(VALU_DEP_2) | instskip(SKIP_1) | instid1(VALU_DEP_2)
	v_cmp_eq_u32_e64 s2, 1, v6
	v_and_b32_e32 v6, 1, v7
	v_cndmask_b32_e64 v7, v7, 1, s2
	s_and_b32 vcc_lo, s2, vcc_lo
	s_delay_alu instid0(VALU_DEP_2) | instskip(SKIP_1) | instid1(VALU_DEP_2)
	v_cmp_eq_u32_e64 s2, 1, v6
	v_dual_cndmask_b32 v1, v1, v3 :: v_dual_cndmask_b32 v2, v2, v4
	v_cndmask_b32_e64 v5, v5, v7, s2
	s_delay_alu instid0(VALU_DEP_2) | instskip(NEXT) | instid1(VALU_DEP_3)
	v_cndmask_b32_e64 v1, v3, v1, s2
	v_cndmask_b32_e64 v2, v4, v2, s2
	s_delay_alu instid0(VALU_DEP_3)
	v_and_b32_e32 v6, 0xff, v5
.LBB1187_204:
	s_or_b32 exec_lo, exec_lo, s6
	s_branch .LBB1187_233
.LBB1187_205:
                                        ; implicit-def: $vgpr3_vgpr4
                                        ; implicit-def: $vgpr5
                                        ; implicit-def: $sgpr10_sgpr11
.LBB1187_206:
	s_and_saveexec_b32 s2, s8
	s_cbranch_execz .LBB1187_208
.LBB1187_207:
	s_load_b64 s[0:1], s[0:1], 0x18
	s_lshl_b64 s[2:3], s[10:11], 4
	v_mov_b32_e32 v0, 0
	s_waitcnt lgkmcnt(0)
	s_add_u32 s0, s0, s2
	s_addc_u32 s1, s1, s3
	s_clause 0x1
	global_store_b8 v0, v5, s[0:1]
	global_store_b64 v0, v[3:4], s[0:1] offset:8
.LBB1187_208:
	s_nop 0
	s_sendmsg sendmsg(MSG_DEALLOC_VGPRS)
	s_endpgm
.LBB1187_209:
                                        ; implicit-def: $vgpr1_vgpr2
                                        ; implicit-def: $vgpr6
	s_cbranch_execz .LBB1187_233
; %bb.210:
	v_mov_b32_e32 v1, 0
	v_dual_mov_b32 v2, 0 :: v_dual_mov_b32 v7, 0
	s_sub_i32 s2, s14, s4
	s_mov_b32 s3, exec_lo
	v_cmpx_gt_u32_e64 s2, v0
; %bb.211:
	s_lshl_b64 s[4:5], s[4:5], 4
	v_lshlrev_b32_e32 v1, 4, v0
	s_add_u32 s4, s12, s4
	s_addc_u32 s5, s13, s5
	s_clause 0x1
	global_load_u8 v7, v1, s[4:5]
	global_load_b64 v[1:2], v1, s[4:5] offset:8
; %bb.212:
	s_or_b32 exec_lo, exec_lo, s3
	s_waitcnt lgkmcnt(2)
	v_mbcnt_lo_u32_b32 v5, -1, 0
	s_waitcnt vmcnt(1)
	v_and_b32_e32 v6, 0xff, v7
	v_and_b32_e32 v8, 0xe0, v0
	s_min_u32 s3, s2, 0x100
	s_mov_b32 s4, exec_lo
	v_cmp_ne_u32_e32 vcc_lo, 31, v5
	v_add_nc_u32_e32 v10, 1, v5
	v_sub_nc_u32_e64 v8, s3, v8 clamp
	s_waitcnt lgkmcnt(1)
	v_add_co_ci_u32_e32 v3, vcc_lo, 0, v5, vcc_lo
	s_waitcnt lgkmcnt(0)
	s_delay_alu instid0(VALU_DEP_1)
	v_lshlrev_b32_e32 v4, 2, v3
	ds_bpermute_b32 v9, v4, v6
	s_waitcnt vmcnt(0)
	ds_bpermute_b32 v3, v4, v1
	ds_bpermute_b32 v4, v4, v2
	v_cmpx_lt_u32_e64 v10, v8
	s_cbranch_execz .LBB1187_214
; %bb.213:
	s_waitcnt lgkmcnt(2)
	v_and_b32_e32 v6, 1, v9
	s_waitcnt lgkmcnt(0)
	v_cmp_lt_i64_e32 vcc_lo, v[3:4], v[1:2]
	s_delay_alu instid0(VALU_DEP_2) | instskip(SKIP_1) | instid1(VALU_DEP_2)
	v_cmp_eq_u32_e64 s2, 1, v6
	v_and_b32_e32 v6, 1, v7
	v_cndmask_b32_e64 v7, v7, 1, s2
	s_and_b32 vcc_lo, s2, vcc_lo
	s_delay_alu instid0(VALU_DEP_2) | instskip(SKIP_1) | instid1(VALU_DEP_2)
	v_cmp_eq_u32_e64 s2, 1, v6
	v_dual_cndmask_b32 v1, v1, v3 :: v_dual_cndmask_b32 v2, v2, v4
	v_cndmask_b32_e64 v7, v9, v7, s2
	s_delay_alu instid0(VALU_DEP_2) | instskip(NEXT) | instid1(VALU_DEP_3)
	v_cndmask_b32_e64 v1, v3, v1, s2
	v_cndmask_b32_e64 v2, v4, v2, s2
	s_delay_alu instid0(VALU_DEP_3)
	v_and_b32_e32 v6, 0xff, v7
.LBB1187_214:
	s_or_b32 exec_lo, exec_lo, s4
	v_cmp_gt_u32_e32 vcc_lo, 30, v5
	v_add_nc_u32_e32 v10, 2, v5
	s_mov_b32 s4, exec_lo
	s_waitcnt lgkmcnt(1)
	v_cndmask_b32_e64 v3, 0, 1, vcc_lo
	s_delay_alu instid0(VALU_DEP_1) | instskip(SKIP_1) | instid1(VALU_DEP_1)
	v_lshlrev_b32_e32 v3, 1, v3
	s_waitcnt lgkmcnt(0)
	v_add_lshl_u32 v4, v3, v5, 2
	ds_bpermute_b32 v9, v4, v6
	ds_bpermute_b32 v3, v4, v1
	ds_bpermute_b32 v4, v4, v2
	v_cmpx_lt_u32_e64 v10, v8
	s_cbranch_execz .LBB1187_216
; %bb.215:
	s_waitcnt lgkmcnt(2)
	v_and_b32_e32 v6, 1, v9
	s_waitcnt lgkmcnt(0)
	v_cmp_lt_i64_e32 vcc_lo, v[3:4], v[1:2]
	s_delay_alu instid0(VALU_DEP_2) | instskip(SKIP_1) | instid1(VALU_DEP_2)
	v_cmp_eq_u32_e64 s2, 1, v6
	v_and_b32_e32 v6, 1, v7
	v_cndmask_b32_e64 v7, v7, 1, s2
	s_and_b32 vcc_lo, s2, vcc_lo
	s_delay_alu instid0(VALU_DEP_2) | instskip(SKIP_1) | instid1(VALU_DEP_2)
	v_cmp_eq_u32_e64 s2, 1, v6
	v_dual_cndmask_b32 v1, v1, v3 :: v_dual_cndmask_b32 v2, v2, v4
	v_cndmask_b32_e64 v7, v9, v7, s2
	s_delay_alu instid0(VALU_DEP_2) | instskip(NEXT) | instid1(VALU_DEP_3)
	v_cndmask_b32_e64 v1, v3, v1, s2
	v_cndmask_b32_e64 v2, v4, v2, s2
	s_delay_alu instid0(VALU_DEP_3)
	v_and_b32_e32 v6, 0xff, v7
.LBB1187_216:
	s_or_b32 exec_lo, exec_lo, s4
	v_cmp_gt_u32_e32 vcc_lo, 28, v5
	v_add_nc_u32_e32 v10, 4, v5
	s_mov_b32 s4, exec_lo
	s_waitcnt lgkmcnt(1)
	v_cndmask_b32_e64 v3, 0, 1, vcc_lo
	s_delay_alu instid0(VALU_DEP_1) | instskip(SKIP_1) | instid1(VALU_DEP_1)
	v_lshlrev_b32_e32 v3, 2, v3
	s_waitcnt lgkmcnt(0)
	v_add_lshl_u32 v4, v3, v5, 2
	ds_bpermute_b32 v9, v4, v6
	;; [unrolled: 35-line block ×4, first 2 shown]
	ds_bpermute_b32 v3, v4, v1
	ds_bpermute_b32 v4, v4, v2
	v_cmpx_lt_u32_e64 v10, v8
	s_cbranch_execz .LBB1187_222
; %bb.221:
	s_waitcnt lgkmcnt(2)
	v_and_b32_e32 v6, 1, v9
	s_waitcnt lgkmcnt(0)
	v_cmp_lt_i64_e32 vcc_lo, v[3:4], v[1:2]
	s_delay_alu instid0(VALU_DEP_2) | instskip(SKIP_1) | instid1(VALU_DEP_2)
	v_cmp_eq_u32_e64 s2, 1, v6
	v_and_b32_e32 v6, 1, v7
	v_cndmask_b32_e64 v7, v7, 1, s2
	s_and_b32 vcc_lo, s2, vcc_lo
	s_delay_alu instid0(VALU_DEP_2) | instskip(SKIP_1) | instid1(VALU_DEP_2)
	v_cmp_eq_u32_e64 s2, 1, v6
	v_dual_cndmask_b32 v1, v1, v3 :: v_dual_cndmask_b32 v2, v2, v4
	v_cndmask_b32_e64 v7, v9, v7, s2
	s_delay_alu instid0(VALU_DEP_2) | instskip(NEXT) | instid1(VALU_DEP_3)
	v_cndmask_b32_e64 v1, v3, v1, s2
	v_cndmask_b32_e64 v2, v4, v2, s2
	s_delay_alu instid0(VALU_DEP_3)
	v_and_b32_e32 v6, 0xff, v7
.LBB1187_222:
	s_or_b32 exec_lo, exec_lo, s4
	s_delay_alu instid0(SALU_CYCLE_1)
	s_mov_b32 s2, exec_lo
	v_cmpx_eq_u32_e32 0, v5
	s_cbranch_execz .LBB1187_224
; %bb.223:
	s_waitcnt lgkmcnt(1)
	v_lshrrev_b32_e32 v3, 1, v0
	s_delay_alu instid0(VALU_DEP_1)
	v_and_b32_e32 v3, 0x70, v3
	ds_store_b8 v3, v7 offset:512
	ds_store_b64 v3, v[1:2] offset:520
.LBB1187_224:
	s_or_b32 exec_lo, exec_lo, s2
	s_delay_alu instid0(SALU_CYCLE_1)
	s_mov_b32 s4, exec_lo
	s_waitcnt lgkmcnt(0)
	s_barrier
	buffer_gl0_inv
	v_cmpx_gt_u32_e32 8, v0
	s_cbranch_execz .LBB1187_232
; %bb.225:
	v_lshlrev_b32_e32 v1, 4, v5
	v_and_b32_e32 v8, 7, v5
	s_add_i32 s3, s3, 31
	s_mov_b32 s5, exec_lo
	s_lshr_b32 s3, s3, 5
	ds_load_u8 v7, v1 offset:512
	ds_load_b64 v[1:2], v1 offset:520
	v_cmp_ne_u32_e32 vcc_lo, 7, v8
	v_add_nc_u32_e32 v10, 1, v8
	v_add_co_ci_u32_e32 v3, vcc_lo, 0, v5, vcc_lo
	s_delay_alu instid0(VALU_DEP_1)
	v_lshlrev_b32_e32 v4, 2, v3
	s_waitcnt lgkmcnt(1)
	v_and_b32_e32 v6, 0xff, v7
	s_waitcnt lgkmcnt(0)
	ds_bpermute_b32 v3, v4, v1
	ds_bpermute_b32 v9, v4, v6
	;; [unrolled: 1-line block ×3, first 2 shown]
	v_cmpx_gt_u32_e64 s3, v10
	s_cbranch_execz .LBB1187_227
; %bb.226:
	s_waitcnt lgkmcnt(1)
	v_and_b32_e32 v6, 1, v9
	s_waitcnt lgkmcnt(0)
	v_cmp_lt_i64_e32 vcc_lo, v[3:4], v[1:2]
	s_delay_alu instid0(VALU_DEP_2) | instskip(SKIP_1) | instid1(VALU_DEP_2)
	v_cmp_eq_u32_e64 s2, 1, v6
	v_and_b32_e32 v6, 1, v7
	v_cndmask_b32_e64 v7, v7, 1, s2
	s_and_b32 vcc_lo, s2, vcc_lo
	s_delay_alu instid0(VALU_DEP_2) | instskip(SKIP_1) | instid1(VALU_DEP_2)
	v_cmp_eq_u32_e64 s2, 1, v6
	v_dual_cndmask_b32 v1, v1, v3 :: v_dual_cndmask_b32 v2, v2, v4
	v_cndmask_b32_e64 v7, v9, v7, s2
	s_delay_alu instid0(VALU_DEP_2) | instskip(NEXT) | instid1(VALU_DEP_3)
	v_cndmask_b32_e64 v1, v3, v1, s2
	v_cndmask_b32_e64 v2, v4, v2, s2
	s_delay_alu instid0(VALU_DEP_3)
	v_and_b32_e32 v6, 0xff, v7
.LBB1187_227:
	s_or_b32 exec_lo, exec_lo, s5
	v_cmp_gt_u32_e32 vcc_lo, 6, v8
	v_add_nc_u32_e32 v10, 2, v8
	s_mov_b32 s5, exec_lo
	s_waitcnt lgkmcnt(2)
	v_cndmask_b32_e64 v3, 0, 1, vcc_lo
	s_delay_alu instid0(VALU_DEP_1) | instskip(SKIP_1) | instid1(VALU_DEP_1)
	v_lshlrev_b32_e32 v3, 1, v3
	s_waitcnt lgkmcnt(0)
	v_add_lshl_u32 v4, v3, v5, 2
	ds_bpermute_b32 v9, v4, v6
	ds_bpermute_b32 v3, v4, v1
	ds_bpermute_b32 v4, v4, v2
	v_cmpx_gt_u32_e64 s3, v10
	s_cbranch_execz .LBB1187_229
; %bb.228:
	s_waitcnt lgkmcnt(2)
	v_and_b32_e32 v6, 1, v9
	s_waitcnt lgkmcnt(0)
	v_cmp_lt_i64_e32 vcc_lo, v[3:4], v[1:2]
	s_delay_alu instid0(VALU_DEP_2) | instskip(SKIP_1) | instid1(VALU_DEP_2)
	v_cmp_eq_u32_e64 s2, 1, v6
	v_and_b32_e32 v6, 1, v7
	v_cndmask_b32_e64 v7, v7, 1, s2
	s_and_b32 vcc_lo, s2, vcc_lo
	s_delay_alu instid0(VALU_DEP_2) | instskip(SKIP_1) | instid1(VALU_DEP_2)
	v_cmp_eq_u32_e64 s2, 1, v6
	v_dual_cndmask_b32 v1, v1, v3 :: v_dual_cndmask_b32 v2, v2, v4
	v_cndmask_b32_e64 v7, v9, v7, s2
	s_delay_alu instid0(VALU_DEP_2) | instskip(NEXT) | instid1(VALU_DEP_3)
	v_cndmask_b32_e64 v1, v3, v1, s2
	v_cndmask_b32_e64 v2, v4, v2, s2
	s_delay_alu instid0(VALU_DEP_3)
	v_and_b32_e32 v6, 0xff, v7
.LBB1187_229:
	s_or_b32 exec_lo, exec_lo, s5
	v_cmp_gt_u32_e32 vcc_lo, 4, v8
	v_add_nc_u32_e32 v8, 4, v8
	s_waitcnt lgkmcnt(1)
	v_cndmask_b32_e64 v3, 0, 1, vcc_lo
	s_delay_alu instid0(VALU_DEP_2) | instskip(NEXT) | instid1(VALU_DEP_2)
	v_cmp_gt_u32_e32 vcc_lo, s3, v8
	v_lshlrev_b32_e32 v3, 2, v3
	s_waitcnt lgkmcnt(0)
	s_delay_alu instid0(VALU_DEP_1)
	v_add_lshl_u32 v4, v3, v5, 2
	ds_bpermute_b32 v5, v4, v6
	ds_bpermute_b32 v3, v4, v1
	;; [unrolled: 1-line block ×3, first 2 shown]
	s_and_saveexec_b32 s3, vcc_lo
	s_cbranch_execz .LBB1187_231
; %bb.230:
	s_waitcnt lgkmcnt(2)
	v_and_b32_e32 v6, 1, v5
	s_waitcnt lgkmcnt(0)
	v_cmp_lt_i64_e32 vcc_lo, v[3:4], v[1:2]
	s_delay_alu instid0(VALU_DEP_2) | instskip(SKIP_1) | instid1(VALU_DEP_2)
	v_cmp_eq_u32_e64 s2, 1, v6
	v_and_b32_e32 v6, 1, v7
	v_cndmask_b32_e64 v7, v7, 1, s2
	s_and_b32 vcc_lo, s2, vcc_lo
	s_delay_alu instid0(VALU_DEP_2) | instskip(SKIP_1) | instid1(VALU_DEP_2)
	v_cmp_eq_u32_e64 s2, 1, v6
	v_dual_cndmask_b32 v1, v1, v3 :: v_dual_cndmask_b32 v2, v2, v4
	v_cndmask_b32_e64 v5, v5, v7, s2
	s_delay_alu instid0(VALU_DEP_2) | instskip(NEXT) | instid1(VALU_DEP_3)
	v_cndmask_b32_e64 v1, v3, v1, s2
	v_cndmask_b32_e64 v2, v4, v2, s2
	s_delay_alu instid0(VALU_DEP_3)
	v_and_b32_e32 v6, 0xff, v5
.LBB1187_231:
	s_or_b32 exec_lo, exec_lo, s3
.LBB1187_232:
	s_delay_alu instid0(SALU_CYCLE_1)
	s_or_b32 exec_lo, exec_lo, s4
.LBB1187_233:
	s_delay_alu instid0(SALU_CYCLE_1)
	s_mov_b32 s4, exec_lo
                                        ; implicit-def: $vgpr3_vgpr4
                                        ; implicit-def: $vgpr5
	v_cmpx_eq_u32_e32 0, v0
	s_cbranch_execz .LBB1187_237
; %bb.234:
	s_waitcnt lgkmcnt(0)
	v_dual_mov_b32 v3, s16 :: v_dual_mov_b32 v4, s17
	v_mov_b32_e32 v5, s18
	s_cmp_eq_u64 s[14:15], 0
	s_cbranch_scc1 .LBB1187_236
; %bb.235:
	v_and_b32_e32 v0, 1, v6
	v_cmp_gt_i64_e32 vcc_lo, s[16:17], v[1:2]
	s_bitcmp1_b32 s18, 0
	s_cselect_b32 s3, -1, 0
	s_delay_alu instid0(VALU_DEP_2) | instskip(NEXT) | instid1(VALU_DEP_1)
	v_cmp_eq_u32_e64 s2, 1, v0
	s_and_b32 vcc_lo, s2, vcc_lo
	v_cndmask_b32_e64 v0, s18, 1, s2
	v_cndmask_b32_e32 v3, s16, v1, vcc_lo
	v_cndmask_b32_e32 v4, s17, v2, vcc_lo
	s_delay_alu instid0(VALU_DEP_3) | instskip(NEXT) | instid1(VALU_DEP_3)
	v_cndmask_b32_e64 v5, v6, v0, s3
	v_cndmask_b32_e64 v3, v1, v3, s3
	s_delay_alu instid0(VALU_DEP_3)
	v_cndmask_b32_e64 v4, v2, v4, s3
.LBB1187_236:
	s_or_b32 s8, s8, exec_lo
.LBB1187_237:
	s_or_b32 exec_lo, exec_lo, s4
	s_and_saveexec_b32 s2, s8
	s_cbranch_execnz .LBB1187_207
	s_branch .LBB1187_208
.LBB1187_238:
	v_lshlrev_b32_e32 v3, 4, v25
	s_clause 0x1
	global_load_u8 v18, v3, s[8:9]
	global_load_b64 v[3:4], v3, s[8:9] offset:8
	s_or_b32 exec_lo, exec_lo, s22
	s_and_saveexec_b32 s9, s7
	s_cbranch_execz .LBB1187_61
.LBB1187_239:
	s_waitcnt vmcnt(1)
	v_and_b32_e32 v25, 1, v23
	s_waitcnt vmcnt(0)
	v_cmp_lt_i64_e64 s7, v[13:14], v[1:2]
	s_delay_alu instid0(VALU_DEP_2) | instskip(SKIP_1) | instid1(VALU_DEP_2)
	v_cmp_eq_u32_e64 s8, 1, v25
	v_and_b32_e32 v25, 1, v17
	s_and_b32 s7, s8, s7
	v_cndmask_b32_e64 v17, v17, 1, s8
	v_cndmask_b32_e64 v1, v1, v13, s7
	;; [unrolled: 1-line block ×3, first 2 shown]
	v_cmp_eq_u32_e64 s7, 1, v25
	s_delay_alu instid0(VALU_DEP_1) | instskip(NEXT) | instid1(VALU_DEP_3)
	v_cndmask_b32_e64 v17, v23, v17, s7
	v_cndmask_b32_e64 v2, v14, v2, s7
	;; [unrolled: 1-line block ×3, first 2 shown]
	s_or_b32 exec_lo, exec_lo, s9
	s_and_saveexec_b32 s8, s6
	s_cbranch_execz .LBB1187_62
.LBB1187_240:
	s_waitcnt vmcnt(0)
	v_and_b32_e32 v13, 1, v24
	v_cmp_lt_i64_e64 s6, v[15:16], v[1:2]
	s_delay_alu instid0(VALU_DEP_2) | instskip(SKIP_1) | instid1(VALU_DEP_2)
	v_cmp_eq_u32_e64 s7, 1, v13
	v_and_b32_e32 v13, 1, v17
	s_and_b32 s6, s7, s6
	v_cndmask_b32_e64 v14, v17, 1, s7
	v_cndmask_b32_e64 v1, v1, v15, s6
	;; [unrolled: 1-line block ×3, first 2 shown]
	v_cmp_eq_u32_e64 s6, 1, v13
	s_delay_alu instid0(VALU_DEP_1) | instskip(NEXT) | instid1(VALU_DEP_3)
	v_cndmask_b32_e64 v17, v24, v14, s6
	v_cndmask_b32_e64 v2, v16, v2, s6
	;; [unrolled: 1-line block ×3, first 2 shown]
	s_or_b32 exec_lo, exec_lo, s8
	s_and_saveexec_b32 s7, s5
	s_cbranch_execz .LBB1187_63
.LBB1187_241:
	s_waitcnt vmcnt(0)
	v_and_b32_e32 v13, 1, v21
	v_cmp_lt_i64_e64 s5, v[9:10], v[1:2]
	s_delay_alu instid0(VALU_DEP_2) | instskip(SKIP_1) | instid1(VALU_DEP_2)
	v_cmp_eq_u32_e64 s6, 1, v13
	v_and_b32_e32 v13, 1, v17
	s_and_b32 s5, s6, s5
	v_cndmask_b32_e64 v14, v17, 1, s6
	v_cndmask_b32_e64 v1, v1, v9, s5
	;; [unrolled: 1-line block ×3, first 2 shown]
	v_cmp_eq_u32_e64 s5, 1, v13
	s_delay_alu instid0(VALU_DEP_1) | instskip(NEXT) | instid1(VALU_DEP_3)
	v_cndmask_b32_e64 v17, v21, v14, s5
	v_cndmask_b32_e64 v2, v10, v2, s5
	;; [unrolled: 1-line block ×3, first 2 shown]
	s_or_b32 exec_lo, exec_lo, s7
	s_and_saveexec_b32 s6, s4
	s_cbranch_execz .LBB1187_64
.LBB1187_242:
	s_waitcnt vmcnt(0)
	v_and_b32_e32 v9, 1, v22
	v_cmp_lt_i64_e64 s4, v[11:12], v[1:2]
	s_delay_alu instid0(VALU_DEP_2) | instskip(SKIP_1) | instid1(VALU_DEP_2)
	v_cmp_eq_u32_e64 s5, 1, v9
	v_and_b32_e32 v9, 1, v17
	s_and_b32 s4, s5, s4
	v_cndmask_b32_e64 v10, v17, 1, s5
	v_cndmask_b32_e64 v1, v1, v11, s4
	;; [unrolled: 1-line block ×3, first 2 shown]
	v_cmp_eq_u32_e64 s4, 1, v9
	s_delay_alu instid0(VALU_DEP_1) | instskip(NEXT) | instid1(VALU_DEP_3)
	v_cndmask_b32_e64 v17, v22, v10, s4
	v_cndmask_b32_e64 v2, v12, v2, s4
	;; [unrolled: 1-line block ×3, first 2 shown]
	s_or_b32 exec_lo, exec_lo, s6
	s_and_saveexec_b32 s5, s3
	s_cbranch_execz .LBB1187_65
.LBB1187_243:
	s_waitcnt vmcnt(0)
	v_and_b32_e32 v9, 1, v19
	v_cmp_lt_i64_e64 s3, v[5:6], v[1:2]
	s_delay_alu instid0(VALU_DEP_2) | instskip(SKIP_1) | instid1(VALU_DEP_2)
	v_cmp_eq_u32_e64 s4, 1, v9
	v_and_b32_e32 v9, 1, v17
	s_and_b32 s3, s4, s3
	v_cndmask_b32_e64 v10, v17, 1, s4
	v_cndmask_b32_e64 v1, v1, v5, s3
	;; [unrolled: 1-line block ×3, first 2 shown]
	v_cmp_eq_u32_e64 s3, 1, v9
	s_delay_alu instid0(VALU_DEP_1) | instskip(NEXT) | instid1(VALU_DEP_3)
	v_cndmask_b32_e64 v17, v19, v10, s3
	v_cndmask_b32_e64 v2, v6, v2, s3
	;; [unrolled: 1-line block ×3, first 2 shown]
	s_or_b32 exec_lo, exec_lo, s5
	s_and_saveexec_b32 s4, s2
	s_cbranch_execz .LBB1187_66
.LBB1187_244:
	s_waitcnt vmcnt(0)
	v_and_b32_e32 v5, 1, v20
	v_cmp_lt_i64_e64 s2, v[7:8], v[1:2]
	s_delay_alu instid0(VALU_DEP_2) | instskip(SKIP_1) | instid1(VALU_DEP_2)
	v_cmp_eq_u32_e64 s3, 1, v5
	v_and_b32_e32 v5, 1, v17
	s_and_b32 s2, s3, s2
	v_cndmask_b32_e64 v6, v17, 1, s3
	v_cndmask_b32_e64 v1, v1, v7, s2
	;; [unrolled: 1-line block ×3, first 2 shown]
	v_cmp_eq_u32_e64 s2, 1, v5
	s_delay_alu instid0(VALU_DEP_1) | instskip(NEXT) | instid1(VALU_DEP_3)
	v_cndmask_b32_e64 v17, v20, v6, s2
	v_cndmask_b32_e64 v2, v8, v2, s2
	;; [unrolled: 1-line block ×3, first 2 shown]
	s_or_b32 exec_lo, exec_lo, s4
	s_and_saveexec_b32 s3, vcc_lo
	s_cbranch_execnz .LBB1187_67
	s_branch .LBB1187_68
.LBB1187_245:
	v_lshlrev_b32_e32 v3, 4, v13
	s_clause 0x1
	global_load_u8 v10, v3, s[4:5]
	global_load_b64 v[3:4], v3, s[4:5] offset:8
	s_or_b32 exec_lo, exec_lo, s7
	s_and_saveexec_b32 s5, s3
	s_cbranch_execz .LBB1187_104
.LBB1187_246:
	s_waitcnt vmcnt(1)
	v_and_b32_e32 v13, 1, v11
	s_waitcnt vmcnt(0)
	v_cmp_lt_i64_e64 s3, v[5:6], v[1:2]
	s_delay_alu instid0(VALU_DEP_2) | instskip(SKIP_1) | instid1(VALU_DEP_2)
	v_cmp_eq_u32_e64 s4, 1, v13
	v_and_b32_e32 v13, 1, v9
	s_and_b32 s3, s4, s3
	v_cndmask_b32_e64 v9, v9, 1, s4
	v_cndmask_b32_e64 v1, v1, v5, s3
	;; [unrolled: 1-line block ×3, first 2 shown]
	v_cmp_eq_u32_e64 s3, 1, v13
	s_delay_alu instid0(VALU_DEP_1) | instskip(NEXT) | instid1(VALU_DEP_3)
	v_cndmask_b32_e64 v9, v11, v9, s3
	v_cndmask_b32_e64 v2, v6, v2, s3
	;; [unrolled: 1-line block ×3, first 2 shown]
	s_or_b32 exec_lo, exec_lo, s5
	s_and_saveexec_b32 s4, s2
	s_cbranch_execz .LBB1187_105
.LBB1187_247:
	s_waitcnt vmcnt(0)
	v_and_b32_e32 v5, 1, v12
	v_cmp_lt_i64_e64 s2, v[7:8], v[1:2]
	s_delay_alu instid0(VALU_DEP_2) | instskip(SKIP_1) | instid1(VALU_DEP_2)
	v_cmp_eq_u32_e64 s3, 1, v5
	v_and_b32_e32 v5, 1, v9
	s_and_b32 s2, s3, s2
	v_cndmask_b32_e64 v6, v9, 1, s3
	v_cndmask_b32_e64 v1, v1, v7, s2
	;; [unrolled: 1-line block ×3, first 2 shown]
	v_cmp_eq_u32_e64 s2, 1, v5
	s_delay_alu instid0(VALU_DEP_1) | instskip(NEXT) | instid1(VALU_DEP_3)
	v_cndmask_b32_e64 v9, v12, v6, s2
	v_cndmask_b32_e64 v2, v8, v2, s2
	;; [unrolled: 1-line block ×3, first 2 shown]
	s_or_b32 exec_lo, exec_lo, s4
	s_and_saveexec_b32 s3, vcc_lo
	s_cbranch_execnz .LBB1187_106
	s_branch .LBB1187_107
	.section	.rodata,"a",@progbits
	.p2align	6, 0x0
	.amdhsa_kernel _ZN7rocprim17ROCPRIM_400000_NS6detail17trampoline_kernelINS0_14default_configENS1_22reduce_config_selectorIN6thrust23THRUST_200600_302600_NS5tupleIblNS6_9null_typeES8_S8_S8_S8_S8_S8_S8_EEEEZNS1_11reduce_implILb1ES3_PS9_SC_S9_NS6_11hip_rocprim9__find_if7functorIS9_EEEE10hipError_tPvRmT1_T2_T3_mT4_P12ihipStream_tbEUlT_E1_NS1_11comp_targetILNS1_3genE9ELNS1_11target_archE1100ELNS1_3gpuE3ELNS1_3repE0EEENS1_30default_config_static_selectorELNS0_4arch9wavefront6targetE0EEEvSK_
		.amdhsa_group_segment_fixed_size 640
		.amdhsa_private_segment_fixed_size 0
		.amdhsa_kernarg_size 56
		.amdhsa_user_sgpr_count 15
		.amdhsa_user_sgpr_dispatch_ptr 0
		.amdhsa_user_sgpr_queue_ptr 0
		.amdhsa_user_sgpr_kernarg_segment_ptr 1
		.amdhsa_user_sgpr_dispatch_id 0
		.amdhsa_user_sgpr_private_segment_size 0
		.amdhsa_wavefront_size32 1
		.amdhsa_uses_dynamic_stack 0
		.amdhsa_enable_private_segment 0
		.amdhsa_system_sgpr_workgroup_id_x 1
		.amdhsa_system_sgpr_workgroup_id_y 0
		.amdhsa_system_sgpr_workgroup_id_z 0
		.amdhsa_system_sgpr_workgroup_info 0
		.amdhsa_system_vgpr_workitem_id 0
		.amdhsa_next_free_vgpr 30
		.amdhsa_next_free_sgpr 23
		.amdhsa_reserve_vcc 1
		.amdhsa_float_round_mode_32 0
		.amdhsa_float_round_mode_16_64 0
		.amdhsa_float_denorm_mode_32 3
		.amdhsa_float_denorm_mode_16_64 3
		.amdhsa_dx10_clamp 1
		.amdhsa_ieee_mode 1
		.amdhsa_fp16_overflow 0
		.amdhsa_workgroup_processor_mode 1
		.amdhsa_memory_ordered 1
		.amdhsa_forward_progress 0
		.amdhsa_shared_vgpr_count 0
		.amdhsa_exception_fp_ieee_invalid_op 0
		.amdhsa_exception_fp_denorm_src 0
		.amdhsa_exception_fp_ieee_div_zero 0
		.amdhsa_exception_fp_ieee_overflow 0
		.amdhsa_exception_fp_ieee_underflow 0
		.amdhsa_exception_fp_ieee_inexact 0
		.amdhsa_exception_int_div_zero 0
	.end_amdhsa_kernel
	.section	.text._ZN7rocprim17ROCPRIM_400000_NS6detail17trampoline_kernelINS0_14default_configENS1_22reduce_config_selectorIN6thrust23THRUST_200600_302600_NS5tupleIblNS6_9null_typeES8_S8_S8_S8_S8_S8_S8_EEEEZNS1_11reduce_implILb1ES3_PS9_SC_S9_NS6_11hip_rocprim9__find_if7functorIS9_EEEE10hipError_tPvRmT1_T2_T3_mT4_P12ihipStream_tbEUlT_E1_NS1_11comp_targetILNS1_3genE9ELNS1_11target_archE1100ELNS1_3gpuE3ELNS1_3repE0EEENS1_30default_config_static_selectorELNS0_4arch9wavefront6targetE0EEEvSK_,"axG",@progbits,_ZN7rocprim17ROCPRIM_400000_NS6detail17trampoline_kernelINS0_14default_configENS1_22reduce_config_selectorIN6thrust23THRUST_200600_302600_NS5tupleIblNS6_9null_typeES8_S8_S8_S8_S8_S8_S8_EEEEZNS1_11reduce_implILb1ES3_PS9_SC_S9_NS6_11hip_rocprim9__find_if7functorIS9_EEEE10hipError_tPvRmT1_T2_T3_mT4_P12ihipStream_tbEUlT_E1_NS1_11comp_targetILNS1_3genE9ELNS1_11target_archE1100ELNS1_3gpuE3ELNS1_3repE0EEENS1_30default_config_static_selectorELNS0_4arch9wavefront6targetE0EEEvSK_,comdat
.Lfunc_end1187:
	.size	_ZN7rocprim17ROCPRIM_400000_NS6detail17trampoline_kernelINS0_14default_configENS1_22reduce_config_selectorIN6thrust23THRUST_200600_302600_NS5tupleIblNS6_9null_typeES8_S8_S8_S8_S8_S8_S8_EEEEZNS1_11reduce_implILb1ES3_PS9_SC_S9_NS6_11hip_rocprim9__find_if7functorIS9_EEEE10hipError_tPvRmT1_T2_T3_mT4_P12ihipStream_tbEUlT_E1_NS1_11comp_targetILNS1_3genE9ELNS1_11target_archE1100ELNS1_3gpuE3ELNS1_3repE0EEENS1_30default_config_static_selectorELNS0_4arch9wavefront6targetE0EEEvSK_, .Lfunc_end1187-_ZN7rocprim17ROCPRIM_400000_NS6detail17trampoline_kernelINS0_14default_configENS1_22reduce_config_selectorIN6thrust23THRUST_200600_302600_NS5tupleIblNS6_9null_typeES8_S8_S8_S8_S8_S8_S8_EEEEZNS1_11reduce_implILb1ES3_PS9_SC_S9_NS6_11hip_rocprim9__find_if7functorIS9_EEEE10hipError_tPvRmT1_T2_T3_mT4_P12ihipStream_tbEUlT_E1_NS1_11comp_targetILNS1_3genE9ELNS1_11target_archE1100ELNS1_3gpuE3ELNS1_3repE0EEENS1_30default_config_static_selectorELNS0_4arch9wavefront6targetE0EEEvSK_
                                        ; -- End function
	.section	.AMDGPU.csdata,"",@progbits
; Kernel info:
; codeLenInByte = 16132
; NumSgprs: 25
; NumVgprs: 30
; ScratchSize: 0
; MemoryBound: 0
; FloatMode: 240
; IeeeMode: 1
; LDSByteSize: 640 bytes/workgroup (compile time only)
; SGPRBlocks: 3
; VGPRBlocks: 3
; NumSGPRsForWavesPerEU: 25
; NumVGPRsForWavesPerEU: 30
; Occupancy: 16
; WaveLimiterHint : 1
; COMPUTE_PGM_RSRC2:SCRATCH_EN: 0
; COMPUTE_PGM_RSRC2:USER_SGPR: 15
; COMPUTE_PGM_RSRC2:TRAP_HANDLER: 0
; COMPUTE_PGM_RSRC2:TGID_X_EN: 1
; COMPUTE_PGM_RSRC2:TGID_Y_EN: 0
; COMPUTE_PGM_RSRC2:TGID_Z_EN: 0
; COMPUTE_PGM_RSRC2:TIDIG_COMP_CNT: 0
	.section	.text._ZN7rocprim17ROCPRIM_400000_NS6detail17trampoline_kernelINS0_14default_configENS1_22reduce_config_selectorIN6thrust23THRUST_200600_302600_NS5tupleIblNS6_9null_typeES8_S8_S8_S8_S8_S8_S8_EEEEZNS1_11reduce_implILb1ES3_PS9_SC_S9_NS6_11hip_rocprim9__find_if7functorIS9_EEEE10hipError_tPvRmT1_T2_T3_mT4_P12ihipStream_tbEUlT_E1_NS1_11comp_targetILNS1_3genE8ELNS1_11target_archE1030ELNS1_3gpuE2ELNS1_3repE0EEENS1_30default_config_static_selectorELNS0_4arch9wavefront6targetE0EEEvSK_,"axG",@progbits,_ZN7rocprim17ROCPRIM_400000_NS6detail17trampoline_kernelINS0_14default_configENS1_22reduce_config_selectorIN6thrust23THRUST_200600_302600_NS5tupleIblNS6_9null_typeES8_S8_S8_S8_S8_S8_S8_EEEEZNS1_11reduce_implILb1ES3_PS9_SC_S9_NS6_11hip_rocprim9__find_if7functorIS9_EEEE10hipError_tPvRmT1_T2_T3_mT4_P12ihipStream_tbEUlT_E1_NS1_11comp_targetILNS1_3genE8ELNS1_11target_archE1030ELNS1_3gpuE2ELNS1_3repE0EEENS1_30default_config_static_selectorELNS0_4arch9wavefront6targetE0EEEvSK_,comdat
	.protected	_ZN7rocprim17ROCPRIM_400000_NS6detail17trampoline_kernelINS0_14default_configENS1_22reduce_config_selectorIN6thrust23THRUST_200600_302600_NS5tupleIblNS6_9null_typeES8_S8_S8_S8_S8_S8_S8_EEEEZNS1_11reduce_implILb1ES3_PS9_SC_S9_NS6_11hip_rocprim9__find_if7functorIS9_EEEE10hipError_tPvRmT1_T2_T3_mT4_P12ihipStream_tbEUlT_E1_NS1_11comp_targetILNS1_3genE8ELNS1_11target_archE1030ELNS1_3gpuE2ELNS1_3repE0EEENS1_30default_config_static_selectorELNS0_4arch9wavefront6targetE0EEEvSK_ ; -- Begin function _ZN7rocprim17ROCPRIM_400000_NS6detail17trampoline_kernelINS0_14default_configENS1_22reduce_config_selectorIN6thrust23THRUST_200600_302600_NS5tupleIblNS6_9null_typeES8_S8_S8_S8_S8_S8_S8_EEEEZNS1_11reduce_implILb1ES3_PS9_SC_S9_NS6_11hip_rocprim9__find_if7functorIS9_EEEE10hipError_tPvRmT1_T2_T3_mT4_P12ihipStream_tbEUlT_E1_NS1_11comp_targetILNS1_3genE8ELNS1_11target_archE1030ELNS1_3gpuE2ELNS1_3repE0EEENS1_30default_config_static_selectorELNS0_4arch9wavefront6targetE0EEEvSK_
	.globl	_ZN7rocprim17ROCPRIM_400000_NS6detail17trampoline_kernelINS0_14default_configENS1_22reduce_config_selectorIN6thrust23THRUST_200600_302600_NS5tupleIblNS6_9null_typeES8_S8_S8_S8_S8_S8_S8_EEEEZNS1_11reduce_implILb1ES3_PS9_SC_S9_NS6_11hip_rocprim9__find_if7functorIS9_EEEE10hipError_tPvRmT1_T2_T3_mT4_P12ihipStream_tbEUlT_E1_NS1_11comp_targetILNS1_3genE8ELNS1_11target_archE1030ELNS1_3gpuE2ELNS1_3repE0EEENS1_30default_config_static_selectorELNS0_4arch9wavefront6targetE0EEEvSK_
	.p2align	8
	.type	_ZN7rocprim17ROCPRIM_400000_NS6detail17trampoline_kernelINS0_14default_configENS1_22reduce_config_selectorIN6thrust23THRUST_200600_302600_NS5tupleIblNS6_9null_typeES8_S8_S8_S8_S8_S8_S8_EEEEZNS1_11reduce_implILb1ES3_PS9_SC_S9_NS6_11hip_rocprim9__find_if7functorIS9_EEEE10hipError_tPvRmT1_T2_T3_mT4_P12ihipStream_tbEUlT_E1_NS1_11comp_targetILNS1_3genE8ELNS1_11target_archE1030ELNS1_3gpuE2ELNS1_3repE0EEENS1_30default_config_static_selectorELNS0_4arch9wavefront6targetE0EEEvSK_,@function
_ZN7rocprim17ROCPRIM_400000_NS6detail17trampoline_kernelINS0_14default_configENS1_22reduce_config_selectorIN6thrust23THRUST_200600_302600_NS5tupleIblNS6_9null_typeES8_S8_S8_S8_S8_S8_S8_EEEEZNS1_11reduce_implILb1ES3_PS9_SC_S9_NS6_11hip_rocprim9__find_if7functorIS9_EEEE10hipError_tPvRmT1_T2_T3_mT4_P12ihipStream_tbEUlT_E1_NS1_11comp_targetILNS1_3genE8ELNS1_11target_archE1030ELNS1_3gpuE2ELNS1_3repE0EEENS1_30default_config_static_selectorELNS0_4arch9wavefront6targetE0EEEvSK_: ; @_ZN7rocprim17ROCPRIM_400000_NS6detail17trampoline_kernelINS0_14default_configENS1_22reduce_config_selectorIN6thrust23THRUST_200600_302600_NS5tupleIblNS6_9null_typeES8_S8_S8_S8_S8_S8_S8_EEEEZNS1_11reduce_implILb1ES3_PS9_SC_S9_NS6_11hip_rocprim9__find_if7functorIS9_EEEE10hipError_tPvRmT1_T2_T3_mT4_P12ihipStream_tbEUlT_E1_NS1_11comp_targetILNS1_3genE8ELNS1_11target_archE1030ELNS1_3gpuE2ELNS1_3repE0EEENS1_30default_config_static_selectorELNS0_4arch9wavefront6targetE0EEEvSK_
; %bb.0:
	.section	.rodata,"a",@progbits
	.p2align	6, 0x0
	.amdhsa_kernel _ZN7rocprim17ROCPRIM_400000_NS6detail17trampoline_kernelINS0_14default_configENS1_22reduce_config_selectorIN6thrust23THRUST_200600_302600_NS5tupleIblNS6_9null_typeES8_S8_S8_S8_S8_S8_S8_EEEEZNS1_11reduce_implILb1ES3_PS9_SC_S9_NS6_11hip_rocprim9__find_if7functorIS9_EEEE10hipError_tPvRmT1_T2_T3_mT4_P12ihipStream_tbEUlT_E1_NS1_11comp_targetILNS1_3genE8ELNS1_11target_archE1030ELNS1_3gpuE2ELNS1_3repE0EEENS1_30default_config_static_selectorELNS0_4arch9wavefront6targetE0EEEvSK_
		.amdhsa_group_segment_fixed_size 0
		.amdhsa_private_segment_fixed_size 0
		.amdhsa_kernarg_size 56
		.amdhsa_user_sgpr_count 15
		.amdhsa_user_sgpr_dispatch_ptr 0
		.amdhsa_user_sgpr_queue_ptr 0
		.amdhsa_user_sgpr_kernarg_segment_ptr 1
		.amdhsa_user_sgpr_dispatch_id 0
		.amdhsa_user_sgpr_private_segment_size 0
		.amdhsa_wavefront_size32 1
		.amdhsa_uses_dynamic_stack 0
		.amdhsa_enable_private_segment 0
		.amdhsa_system_sgpr_workgroup_id_x 1
		.amdhsa_system_sgpr_workgroup_id_y 0
		.amdhsa_system_sgpr_workgroup_id_z 0
		.amdhsa_system_sgpr_workgroup_info 0
		.amdhsa_system_vgpr_workitem_id 0
		.amdhsa_next_free_vgpr 1
		.amdhsa_next_free_sgpr 1
		.amdhsa_reserve_vcc 0
		.amdhsa_float_round_mode_32 0
		.amdhsa_float_round_mode_16_64 0
		.amdhsa_float_denorm_mode_32 3
		.amdhsa_float_denorm_mode_16_64 3
		.amdhsa_dx10_clamp 1
		.amdhsa_ieee_mode 1
		.amdhsa_fp16_overflow 0
		.amdhsa_workgroup_processor_mode 1
		.amdhsa_memory_ordered 1
		.amdhsa_forward_progress 0
		.amdhsa_shared_vgpr_count 0
		.amdhsa_exception_fp_ieee_invalid_op 0
		.amdhsa_exception_fp_denorm_src 0
		.amdhsa_exception_fp_ieee_div_zero 0
		.amdhsa_exception_fp_ieee_overflow 0
		.amdhsa_exception_fp_ieee_underflow 0
		.amdhsa_exception_fp_ieee_inexact 0
		.amdhsa_exception_int_div_zero 0
	.end_amdhsa_kernel
	.section	.text._ZN7rocprim17ROCPRIM_400000_NS6detail17trampoline_kernelINS0_14default_configENS1_22reduce_config_selectorIN6thrust23THRUST_200600_302600_NS5tupleIblNS6_9null_typeES8_S8_S8_S8_S8_S8_S8_EEEEZNS1_11reduce_implILb1ES3_PS9_SC_S9_NS6_11hip_rocprim9__find_if7functorIS9_EEEE10hipError_tPvRmT1_T2_T3_mT4_P12ihipStream_tbEUlT_E1_NS1_11comp_targetILNS1_3genE8ELNS1_11target_archE1030ELNS1_3gpuE2ELNS1_3repE0EEENS1_30default_config_static_selectorELNS0_4arch9wavefront6targetE0EEEvSK_,"axG",@progbits,_ZN7rocprim17ROCPRIM_400000_NS6detail17trampoline_kernelINS0_14default_configENS1_22reduce_config_selectorIN6thrust23THRUST_200600_302600_NS5tupleIblNS6_9null_typeES8_S8_S8_S8_S8_S8_S8_EEEEZNS1_11reduce_implILb1ES3_PS9_SC_S9_NS6_11hip_rocprim9__find_if7functorIS9_EEEE10hipError_tPvRmT1_T2_T3_mT4_P12ihipStream_tbEUlT_E1_NS1_11comp_targetILNS1_3genE8ELNS1_11target_archE1030ELNS1_3gpuE2ELNS1_3repE0EEENS1_30default_config_static_selectorELNS0_4arch9wavefront6targetE0EEEvSK_,comdat
.Lfunc_end1188:
	.size	_ZN7rocprim17ROCPRIM_400000_NS6detail17trampoline_kernelINS0_14default_configENS1_22reduce_config_selectorIN6thrust23THRUST_200600_302600_NS5tupleIblNS6_9null_typeES8_S8_S8_S8_S8_S8_S8_EEEEZNS1_11reduce_implILb1ES3_PS9_SC_S9_NS6_11hip_rocprim9__find_if7functorIS9_EEEE10hipError_tPvRmT1_T2_T3_mT4_P12ihipStream_tbEUlT_E1_NS1_11comp_targetILNS1_3genE8ELNS1_11target_archE1030ELNS1_3gpuE2ELNS1_3repE0EEENS1_30default_config_static_selectorELNS0_4arch9wavefront6targetE0EEEvSK_, .Lfunc_end1188-_ZN7rocprim17ROCPRIM_400000_NS6detail17trampoline_kernelINS0_14default_configENS1_22reduce_config_selectorIN6thrust23THRUST_200600_302600_NS5tupleIblNS6_9null_typeES8_S8_S8_S8_S8_S8_S8_EEEEZNS1_11reduce_implILb1ES3_PS9_SC_S9_NS6_11hip_rocprim9__find_if7functorIS9_EEEE10hipError_tPvRmT1_T2_T3_mT4_P12ihipStream_tbEUlT_E1_NS1_11comp_targetILNS1_3genE8ELNS1_11target_archE1030ELNS1_3gpuE2ELNS1_3repE0EEENS1_30default_config_static_selectorELNS0_4arch9wavefront6targetE0EEEvSK_
                                        ; -- End function
	.section	.AMDGPU.csdata,"",@progbits
; Kernel info:
; codeLenInByte = 0
; NumSgprs: 0
; NumVgprs: 0
; ScratchSize: 0
; MemoryBound: 0
; FloatMode: 240
; IeeeMode: 1
; LDSByteSize: 0 bytes/workgroup (compile time only)
; SGPRBlocks: 0
; VGPRBlocks: 0
; NumSGPRsForWavesPerEU: 1
; NumVGPRsForWavesPerEU: 1
; Occupancy: 16
; WaveLimiterHint : 0
; COMPUTE_PGM_RSRC2:SCRATCH_EN: 0
; COMPUTE_PGM_RSRC2:USER_SGPR: 15
; COMPUTE_PGM_RSRC2:TRAP_HANDLER: 0
; COMPUTE_PGM_RSRC2:TGID_X_EN: 1
; COMPUTE_PGM_RSRC2:TGID_Y_EN: 0
; COMPUTE_PGM_RSRC2:TGID_Z_EN: 0
; COMPUTE_PGM_RSRC2:TIDIG_COMP_CNT: 0
	.section	.text._ZN7rocprim17ROCPRIM_400000_NS6detail17trampoline_kernelINS0_14default_configENS1_22reduce_config_selectorIN6thrust23THRUST_200600_302600_NS5tupleIblNS6_9null_typeES8_S8_S8_S8_S8_S8_S8_EEEEZNS1_11reduce_implILb1ES3_NS6_12zip_iteratorINS7_INS6_11hip_rocprim26transform_input_iterator_tIbNSD_35transform_pair_of_input_iterators_tIbNS6_6detail15normal_iteratorINS6_10device_ptrIlEEEENS6_17counting_iteratorIlNS6_11use_defaultESM_SM_EENS6_8equal_toIlEEEENSG_9not_fun_tINSD_8identityEEEEENSD_19counting_iterator_tIlEES8_S8_S8_S8_S8_S8_S8_S8_EEEEPS9_S9_NSD_9__find_if7functorIS9_EEEE10hipError_tPvRmT1_T2_T3_mT4_P12ihipStream_tbEUlT_E0_NS1_11comp_targetILNS1_3genE0ELNS1_11target_archE4294967295ELNS1_3gpuE0ELNS1_3repE0EEENS1_30default_config_static_selectorELNS0_4arch9wavefront6targetE0EEEvS16_,"axG",@progbits,_ZN7rocprim17ROCPRIM_400000_NS6detail17trampoline_kernelINS0_14default_configENS1_22reduce_config_selectorIN6thrust23THRUST_200600_302600_NS5tupleIblNS6_9null_typeES8_S8_S8_S8_S8_S8_S8_EEEEZNS1_11reduce_implILb1ES3_NS6_12zip_iteratorINS7_INS6_11hip_rocprim26transform_input_iterator_tIbNSD_35transform_pair_of_input_iterators_tIbNS6_6detail15normal_iteratorINS6_10device_ptrIlEEEENS6_17counting_iteratorIlNS6_11use_defaultESM_SM_EENS6_8equal_toIlEEEENSG_9not_fun_tINSD_8identityEEEEENSD_19counting_iterator_tIlEES8_S8_S8_S8_S8_S8_S8_S8_EEEEPS9_S9_NSD_9__find_if7functorIS9_EEEE10hipError_tPvRmT1_T2_T3_mT4_P12ihipStream_tbEUlT_E0_NS1_11comp_targetILNS1_3genE0ELNS1_11target_archE4294967295ELNS1_3gpuE0ELNS1_3repE0EEENS1_30default_config_static_selectorELNS0_4arch9wavefront6targetE0EEEvS16_,comdat
	.protected	_ZN7rocprim17ROCPRIM_400000_NS6detail17trampoline_kernelINS0_14default_configENS1_22reduce_config_selectorIN6thrust23THRUST_200600_302600_NS5tupleIblNS6_9null_typeES8_S8_S8_S8_S8_S8_S8_EEEEZNS1_11reduce_implILb1ES3_NS6_12zip_iteratorINS7_INS6_11hip_rocprim26transform_input_iterator_tIbNSD_35transform_pair_of_input_iterators_tIbNS6_6detail15normal_iteratorINS6_10device_ptrIlEEEENS6_17counting_iteratorIlNS6_11use_defaultESM_SM_EENS6_8equal_toIlEEEENSG_9not_fun_tINSD_8identityEEEEENSD_19counting_iterator_tIlEES8_S8_S8_S8_S8_S8_S8_S8_EEEEPS9_S9_NSD_9__find_if7functorIS9_EEEE10hipError_tPvRmT1_T2_T3_mT4_P12ihipStream_tbEUlT_E0_NS1_11comp_targetILNS1_3genE0ELNS1_11target_archE4294967295ELNS1_3gpuE0ELNS1_3repE0EEENS1_30default_config_static_selectorELNS0_4arch9wavefront6targetE0EEEvS16_ ; -- Begin function _ZN7rocprim17ROCPRIM_400000_NS6detail17trampoline_kernelINS0_14default_configENS1_22reduce_config_selectorIN6thrust23THRUST_200600_302600_NS5tupleIblNS6_9null_typeES8_S8_S8_S8_S8_S8_S8_EEEEZNS1_11reduce_implILb1ES3_NS6_12zip_iteratorINS7_INS6_11hip_rocprim26transform_input_iterator_tIbNSD_35transform_pair_of_input_iterators_tIbNS6_6detail15normal_iteratorINS6_10device_ptrIlEEEENS6_17counting_iteratorIlNS6_11use_defaultESM_SM_EENS6_8equal_toIlEEEENSG_9not_fun_tINSD_8identityEEEEENSD_19counting_iterator_tIlEES8_S8_S8_S8_S8_S8_S8_S8_EEEEPS9_S9_NSD_9__find_if7functorIS9_EEEE10hipError_tPvRmT1_T2_T3_mT4_P12ihipStream_tbEUlT_E0_NS1_11comp_targetILNS1_3genE0ELNS1_11target_archE4294967295ELNS1_3gpuE0ELNS1_3repE0EEENS1_30default_config_static_selectorELNS0_4arch9wavefront6targetE0EEEvS16_
	.globl	_ZN7rocprim17ROCPRIM_400000_NS6detail17trampoline_kernelINS0_14default_configENS1_22reduce_config_selectorIN6thrust23THRUST_200600_302600_NS5tupleIblNS6_9null_typeES8_S8_S8_S8_S8_S8_S8_EEEEZNS1_11reduce_implILb1ES3_NS6_12zip_iteratorINS7_INS6_11hip_rocprim26transform_input_iterator_tIbNSD_35transform_pair_of_input_iterators_tIbNS6_6detail15normal_iteratorINS6_10device_ptrIlEEEENS6_17counting_iteratorIlNS6_11use_defaultESM_SM_EENS6_8equal_toIlEEEENSG_9not_fun_tINSD_8identityEEEEENSD_19counting_iterator_tIlEES8_S8_S8_S8_S8_S8_S8_S8_EEEEPS9_S9_NSD_9__find_if7functorIS9_EEEE10hipError_tPvRmT1_T2_T3_mT4_P12ihipStream_tbEUlT_E0_NS1_11comp_targetILNS1_3genE0ELNS1_11target_archE4294967295ELNS1_3gpuE0ELNS1_3repE0EEENS1_30default_config_static_selectorELNS0_4arch9wavefront6targetE0EEEvS16_
	.p2align	8
	.type	_ZN7rocprim17ROCPRIM_400000_NS6detail17trampoline_kernelINS0_14default_configENS1_22reduce_config_selectorIN6thrust23THRUST_200600_302600_NS5tupleIblNS6_9null_typeES8_S8_S8_S8_S8_S8_S8_EEEEZNS1_11reduce_implILb1ES3_NS6_12zip_iteratorINS7_INS6_11hip_rocprim26transform_input_iterator_tIbNSD_35transform_pair_of_input_iterators_tIbNS6_6detail15normal_iteratorINS6_10device_ptrIlEEEENS6_17counting_iteratorIlNS6_11use_defaultESM_SM_EENS6_8equal_toIlEEEENSG_9not_fun_tINSD_8identityEEEEENSD_19counting_iterator_tIlEES8_S8_S8_S8_S8_S8_S8_S8_EEEEPS9_S9_NSD_9__find_if7functorIS9_EEEE10hipError_tPvRmT1_T2_T3_mT4_P12ihipStream_tbEUlT_E0_NS1_11comp_targetILNS1_3genE0ELNS1_11target_archE4294967295ELNS1_3gpuE0ELNS1_3repE0EEENS1_30default_config_static_selectorELNS0_4arch9wavefront6targetE0EEEvS16_,@function
_ZN7rocprim17ROCPRIM_400000_NS6detail17trampoline_kernelINS0_14default_configENS1_22reduce_config_selectorIN6thrust23THRUST_200600_302600_NS5tupleIblNS6_9null_typeES8_S8_S8_S8_S8_S8_S8_EEEEZNS1_11reduce_implILb1ES3_NS6_12zip_iteratorINS7_INS6_11hip_rocprim26transform_input_iterator_tIbNSD_35transform_pair_of_input_iterators_tIbNS6_6detail15normal_iteratorINS6_10device_ptrIlEEEENS6_17counting_iteratorIlNS6_11use_defaultESM_SM_EENS6_8equal_toIlEEEENSG_9not_fun_tINSD_8identityEEEEENSD_19counting_iterator_tIlEES8_S8_S8_S8_S8_S8_S8_S8_EEEEPS9_S9_NSD_9__find_if7functorIS9_EEEE10hipError_tPvRmT1_T2_T3_mT4_P12ihipStream_tbEUlT_E0_NS1_11comp_targetILNS1_3genE0ELNS1_11target_archE4294967295ELNS1_3gpuE0ELNS1_3repE0EEENS1_30default_config_static_selectorELNS0_4arch9wavefront6targetE0EEEvS16_: ; @_ZN7rocprim17ROCPRIM_400000_NS6detail17trampoline_kernelINS0_14default_configENS1_22reduce_config_selectorIN6thrust23THRUST_200600_302600_NS5tupleIblNS6_9null_typeES8_S8_S8_S8_S8_S8_S8_EEEEZNS1_11reduce_implILb1ES3_NS6_12zip_iteratorINS7_INS6_11hip_rocprim26transform_input_iterator_tIbNSD_35transform_pair_of_input_iterators_tIbNS6_6detail15normal_iteratorINS6_10device_ptrIlEEEENS6_17counting_iteratorIlNS6_11use_defaultESM_SM_EENS6_8equal_toIlEEEENSG_9not_fun_tINSD_8identityEEEEENSD_19counting_iterator_tIlEES8_S8_S8_S8_S8_S8_S8_S8_EEEEPS9_S9_NSD_9__find_if7functorIS9_EEEE10hipError_tPvRmT1_T2_T3_mT4_P12ihipStream_tbEUlT_E0_NS1_11comp_targetILNS1_3genE0ELNS1_11target_archE4294967295ELNS1_3gpuE0ELNS1_3repE0EEENS1_30default_config_static_selectorELNS0_4arch9wavefront6targetE0EEEvS16_
; %bb.0:
	.section	.rodata,"a",@progbits
	.p2align	6, 0x0
	.amdhsa_kernel _ZN7rocprim17ROCPRIM_400000_NS6detail17trampoline_kernelINS0_14default_configENS1_22reduce_config_selectorIN6thrust23THRUST_200600_302600_NS5tupleIblNS6_9null_typeES8_S8_S8_S8_S8_S8_S8_EEEEZNS1_11reduce_implILb1ES3_NS6_12zip_iteratorINS7_INS6_11hip_rocprim26transform_input_iterator_tIbNSD_35transform_pair_of_input_iterators_tIbNS6_6detail15normal_iteratorINS6_10device_ptrIlEEEENS6_17counting_iteratorIlNS6_11use_defaultESM_SM_EENS6_8equal_toIlEEEENSG_9not_fun_tINSD_8identityEEEEENSD_19counting_iterator_tIlEES8_S8_S8_S8_S8_S8_S8_S8_EEEEPS9_S9_NSD_9__find_if7functorIS9_EEEE10hipError_tPvRmT1_T2_T3_mT4_P12ihipStream_tbEUlT_E0_NS1_11comp_targetILNS1_3genE0ELNS1_11target_archE4294967295ELNS1_3gpuE0ELNS1_3repE0EEENS1_30default_config_static_selectorELNS0_4arch9wavefront6targetE0EEEvS16_
		.amdhsa_group_segment_fixed_size 0
		.amdhsa_private_segment_fixed_size 0
		.amdhsa_kernarg_size 104
		.amdhsa_user_sgpr_count 15
		.amdhsa_user_sgpr_dispatch_ptr 0
		.amdhsa_user_sgpr_queue_ptr 0
		.amdhsa_user_sgpr_kernarg_segment_ptr 1
		.amdhsa_user_sgpr_dispatch_id 0
		.amdhsa_user_sgpr_private_segment_size 0
		.amdhsa_wavefront_size32 1
		.amdhsa_uses_dynamic_stack 0
		.amdhsa_enable_private_segment 0
		.amdhsa_system_sgpr_workgroup_id_x 1
		.amdhsa_system_sgpr_workgroup_id_y 0
		.amdhsa_system_sgpr_workgroup_id_z 0
		.amdhsa_system_sgpr_workgroup_info 0
		.amdhsa_system_vgpr_workitem_id 0
		.amdhsa_next_free_vgpr 1
		.amdhsa_next_free_sgpr 1
		.amdhsa_reserve_vcc 0
		.amdhsa_float_round_mode_32 0
		.amdhsa_float_round_mode_16_64 0
		.amdhsa_float_denorm_mode_32 3
		.amdhsa_float_denorm_mode_16_64 3
		.amdhsa_dx10_clamp 1
		.amdhsa_ieee_mode 1
		.amdhsa_fp16_overflow 0
		.amdhsa_workgroup_processor_mode 1
		.amdhsa_memory_ordered 1
		.amdhsa_forward_progress 0
		.amdhsa_shared_vgpr_count 0
		.amdhsa_exception_fp_ieee_invalid_op 0
		.amdhsa_exception_fp_denorm_src 0
		.amdhsa_exception_fp_ieee_div_zero 0
		.amdhsa_exception_fp_ieee_overflow 0
		.amdhsa_exception_fp_ieee_underflow 0
		.amdhsa_exception_fp_ieee_inexact 0
		.amdhsa_exception_int_div_zero 0
	.end_amdhsa_kernel
	.section	.text._ZN7rocprim17ROCPRIM_400000_NS6detail17trampoline_kernelINS0_14default_configENS1_22reduce_config_selectorIN6thrust23THRUST_200600_302600_NS5tupleIblNS6_9null_typeES8_S8_S8_S8_S8_S8_S8_EEEEZNS1_11reduce_implILb1ES3_NS6_12zip_iteratorINS7_INS6_11hip_rocprim26transform_input_iterator_tIbNSD_35transform_pair_of_input_iterators_tIbNS6_6detail15normal_iteratorINS6_10device_ptrIlEEEENS6_17counting_iteratorIlNS6_11use_defaultESM_SM_EENS6_8equal_toIlEEEENSG_9not_fun_tINSD_8identityEEEEENSD_19counting_iterator_tIlEES8_S8_S8_S8_S8_S8_S8_S8_EEEEPS9_S9_NSD_9__find_if7functorIS9_EEEE10hipError_tPvRmT1_T2_T3_mT4_P12ihipStream_tbEUlT_E0_NS1_11comp_targetILNS1_3genE0ELNS1_11target_archE4294967295ELNS1_3gpuE0ELNS1_3repE0EEENS1_30default_config_static_selectorELNS0_4arch9wavefront6targetE0EEEvS16_,"axG",@progbits,_ZN7rocprim17ROCPRIM_400000_NS6detail17trampoline_kernelINS0_14default_configENS1_22reduce_config_selectorIN6thrust23THRUST_200600_302600_NS5tupleIblNS6_9null_typeES8_S8_S8_S8_S8_S8_S8_EEEEZNS1_11reduce_implILb1ES3_NS6_12zip_iteratorINS7_INS6_11hip_rocprim26transform_input_iterator_tIbNSD_35transform_pair_of_input_iterators_tIbNS6_6detail15normal_iteratorINS6_10device_ptrIlEEEENS6_17counting_iteratorIlNS6_11use_defaultESM_SM_EENS6_8equal_toIlEEEENSG_9not_fun_tINSD_8identityEEEEENSD_19counting_iterator_tIlEES8_S8_S8_S8_S8_S8_S8_S8_EEEEPS9_S9_NSD_9__find_if7functorIS9_EEEE10hipError_tPvRmT1_T2_T3_mT4_P12ihipStream_tbEUlT_E0_NS1_11comp_targetILNS1_3genE0ELNS1_11target_archE4294967295ELNS1_3gpuE0ELNS1_3repE0EEENS1_30default_config_static_selectorELNS0_4arch9wavefront6targetE0EEEvS16_,comdat
.Lfunc_end1189:
	.size	_ZN7rocprim17ROCPRIM_400000_NS6detail17trampoline_kernelINS0_14default_configENS1_22reduce_config_selectorIN6thrust23THRUST_200600_302600_NS5tupleIblNS6_9null_typeES8_S8_S8_S8_S8_S8_S8_EEEEZNS1_11reduce_implILb1ES3_NS6_12zip_iteratorINS7_INS6_11hip_rocprim26transform_input_iterator_tIbNSD_35transform_pair_of_input_iterators_tIbNS6_6detail15normal_iteratorINS6_10device_ptrIlEEEENS6_17counting_iteratorIlNS6_11use_defaultESM_SM_EENS6_8equal_toIlEEEENSG_9not_fun_tINSD_8identityEEEEENSD_19counting_iterator_tIlEES8_S8_S8_S8_S8_S8_S8_S8_EEEEPS9_S9_NSD_9__find_if7functorIS9_EEEE10hipError_tPvRmT1_T2_T3_mT4_P12ihipStream_tbEUlT_E0_NS1_11comp_targetILNS1_3genE0ELNS1_11target_archE4294967295ELNS1_3gpuE0ELNS1_3repE0EEENS1_30default_config_static_selectorELNS0_4arch9wavefront6targetE0EEEvS16_, .Lfunc_end1189-_ZN7rocprim17ROCPRIM_400000_NS6detail17trampoline_kernelINS0_14default_configENS1_22reduce_config_selectorIN6thrust23THRUST_200600_302600_NS5tupleIblNS6_9null_typeES8_S8_S8_S8_S8_S8_S8_EEEEZNS1_11reduce_implILb1ES3_NS6_12zip_iteratorINS7_INS6_11hip_rocprim26transform_input_iterator_tIbNSD_35transform_pair_of_input_iterators_tIbNS6_6detail15normal_iteratorINS6_10device_ptrIlEEEENS6_17counting_iteratorIlNS6_11use_defaultESM_SM_EENS6_8equal_toIlEEEENSG_9not_fun_tINSD_8identityEEEEENSD_19counting_iterator_tIlEES8_S8_S8_S8_S8_S8_S8_S8_EEEEPS9_S9_NSD_9__find_if7functorIS9_EEEE10hipError_tPvRmT1_T2_T3_mT4_P12ihipStream_tbEUlT_E0_NS1_11comp_targetILNS1_3genE0ELNS1_11target_archE4294967295ELNS1_3gpuE0ELNS1_3repE0EEENS1_30default_config_static_selectorELNS0_4arch9wavefront6targetE0EEEvS16_
                                        ; -- End function
	.section	.AMDGPU.csdata,"",@progbits
; Kernel info:
; codeLenInByte = 0
; NumSgprs: 0
; NumVgprs: 0
; ScratchSize: 0
; MemoryBound: 0
; FloatMode: 240
; IeeeMode: 1
; LDSByteSize: 0 bytes/workgroup (compile time only)
; SGPRBlocks: 0
; VGPRBlocks: 0
; NumSGPRsForWavesPerEU: 1
; NumVGPRsForWavesPerEU: 1
; Occupancy: 16
; WaveLimiterHint : 0
; COMPUTE_PGM_RSRC2:SCRATCH_EN: 0
; COMPUTE_PGM_RSRC2:USER_SGPR: 15
; COMPUTE_PGM_RSRC2:TRAP_HANDLER: 0
; COMPUTE_PGM_RSRC2:TGID_X_EN: 1
; COMPUTE_PGM_RSRC2:TGID_Y_EN: 0
; COMPUTE_PGM_RSRC2:TGID_Z_EN: 0
; COMPUTE_PGM_RSRC2:TIDIG_COMP_CNT: 0
	.section	.text._ZN7rocprim17ROCPRIM_400000_NS6detail17trampoline_kernelINS0_14default_configENS1_22reduce_config_selectorIN6thrust23THRUST_200600_302600_NS5tupleIblNS6_9null_typeES8_S8_S8_S8_S8_S8_S8_EEEEZNS1_11reduce_implILb1ES3_NS6_12zip_iteratorINS7_INS6_11hip_rocprim26transform_input_iterator_tIbNSD_35transform_pair_of_input_iterators_tIbNS6_6detail15normal_iteratorINS6_10device_ptrIlEEEENS6_17counting_iteratorIlNS6_11use_defaultESM_SM_EENS6_8equal_toIlEEEENSG_9not_fun_tINSD_8identityEEEEENSD_19counting_iterator_tIlEES8_S8_S8_S8_S8_S8_S8_S8_EEEEPS9_S9_NSD_9__find_if7functorIS9_EEEE10hipError_tPvRmT1_T2_T3_mT4_P12ihipStream_tbEUlT_E0_NS1_11comp_targetILNS1_3genE5ELNS1_11target_archE942ELNS1_3gpuE9ELNS1_3repE0EEENS1_30default_config_static_selectorELNS0_4arch9wavefront6targetE0EEEvS16_,"axG",@progbits,_ZN7rocprim17ROCPRIM_400000_NS6detail17trampoline_kernelINS0_14default_configENS1_22reduce_config_selectorIN6thrust23THRUST_200600_302600_NS5tupleIblNS6_9null_typeES8_S8_S8_S8_S8_S8_S8_EEEEZNS1_11reduce_implILb1ES3_NS6_12zip_iteratorINS7_INS6_11hip_rocprim26transform_input_iterator_tIbNSD_35transform_pair_of_input_iterators_tIbNS6_6detail15normal_iteratorINS6_10device_ptrIlEEEENS6_17counting_iteratorIlNS6_11use_defaultESM_SM_EENS6_8equal_toIlEEEENSG_9not_fun_tINSD_8identityEEEEENSD_19counting_iterator_tIlEES8_S8_S8_S8_S8_S8_S8_S8_EEEEPS9_S9_NSD_9__find_if7functorIS9_EEEE10hipError_tPvRmT1_T2_T3_mT4_P12ihipStream_tbEUlT_E0_NS1_11comp_targetILNS1_3genE5ELNS1_11target_archE942ELNS1_3gpuE9ELNS1_3repE0EEENS1_30default_config_static_selectorELNS0_4arch9wavefront6targetE0EEEvS16_,comdat
	.protected	_ZN7rocprim17ROCPRIM_400000_NS6detail17trampoline_kernelINS0_14default_configENS1_22reduce_config_selectorIN6thrust23THRUST_200600_302600_NS5tupleIblNS6_9null_typeES8_S8_S8_S8_S8_S8_S8_EEEEZNS1_11reduce_implILb1ES3_NS6_12zip_iteratorINS7_INS6_11hip_rocprim26transform_input_iterator_tIbNSD_35transform_pair_of_input_iterators_tIbNS6_6detail15normal_iteratorINS6_10device_ptrIlEEEENS6_17counting_iteratorIlNS6_11use_defaultESM_SM_EENS6_8equal_toIlEEEENSG_9not_fun_tINSD_8identityEEEEENSD_19counting_iterator_tIlEES8_S8_S8_S8_S8_S8_S8_S8_EEEEPS9_S9_NSD_9__find_if7functorIS9_EEEE10hipError_tPvRmT1_T2_T3_mT4_P12ihipStream_tbEUlT_E0_NS1_11comp_targetILNS1_3genE5ELNS1_11target_archE942ELNS1_3gpuE9ELNS1_3repE0EEENS1_30default_config_static_selectorELNS0_4arch9wavefront6targetE0EEEvS16_ ; -- Begin function _ZN7rocprim17ROCPRIM_400000_NS6detail17trampoline_kernelINS0_14default_configENS1_22reduce_config_selectorIN6thrust23THRUST_200600_302600_NS5tupleIblNS6_9null_typeES8_S8_S8_S8_S8_S8_S8_EEEEZNS1_11reduce_implILb1ES3_NS6_12zip_iteratorINS7_INS6_11hip_rocprim26transform_input_iterator_tIbNSD_35transform_pair_of_input_iterators_tIbNS6_6detail15normal_iteratorINS6_10device_ptrIlEEEENS6_17counting_iteratorIlNS6_11use_defaultESM_SM_EENS6_8equal_toIlEEEENSG_9not_fun_tINSD_8identityEEEEENSD_19counting_iterator_tIlEES8_S8_S8_S8_S8_S8_S8_S8_EEEEPS9_S9_NSD_9__find_if7functorIS9_EEEE10hipError_tPvRmT1_T2_T3_mT4_P12ihipStream_tbEUlT_E0_NS1_11comp_targetILNS1_3genE5ELNS1_11target_archE942ELNS1_3gpuE9ELNS1_3repE0EEENS1_30default_config_static_selectorELNS0_4arch9wavefront6targetE0EEEvS16_
	.globl	_ZN7rocprim17ROCPRIM_400000_NS6detail17trampoline_kernelINS0_14default_configENS1_22reduce_config_selectorIN6thrust23THRUST_200600_302600_NS5tupleIblNS6_9null_typeES8_S8_S8_S8_S8_S8_S8_EEEEZNS1_11reduce_implILb1ES3_NS6_12zip_iteratorINS7_INS6_11hip_rocprim26transform_input_iterator_tIbNSD_35transform_pair_of_input_iterators_tIbNS6_6detail15normal_iteratorINS6_10device_ptrIlEEEENS6_17counting_iteratorIlNS6_11use_defaultESM_SM_EENS6_8equal_toIlEEEENSG_9not_fun_tINSD_8identityEEEEENSD_19counting_iterator_tIlEES8_S8_S8_S8_S8_S8_S8_S8_EEEEPS9_S9_NSD_9__find_if7functorIS9_EEEE10hipError_tPvRmT1_T2_T3_mT4_P12ihipStream_tbEUlT_E0_NS1_11comp_targetILNS1_3genE5ELNS1_11target_archE942ELNS1_3gpuE9ELNS1_3repE0EEENS1_30default_config_static_selectorELNS0_4arch9wavefront6targetE0EEEvS16_
	.p2align	8
	.type	_ZN7rocprim17ROCPRIM_400000_NS6detail17trampoline_kernelINS0_14default_configENS1_22reduce_config_selectorIN6thrust23THRUST_200600_302600_NS5tupleIblNS6_9null_typeES8_S8_S8_S8_S8_S8_S8_EEEEZNS1_11reduce_implILb1ES3_NS6_12zip_iteratorINS7_INS6_11hip_rocprim26transform_input_iterator_tIbNSD_35transform_pair_of_input_iterators_tIbNS6_6detail15normal_iteratorINS6_10device_ptrIlEEEENS6_17counting_iteratorIlNS6_11use_defaultESM_SM_EENS6_8equal_toIlEEEENSG_9not_fun_tINSD_8identityEEEEENSD_19counting_iterator_tIlEES8_S8_S8_S8_S8_S8_S8_S8_EEEEPS9_S9_NSD_9__find_if7functorIS9_EEEE10hipError_tPvRmT1_T2_T3_mT4_P12ihipStream_tbEUlT_E0_NS1_11comp_targetILNS1_3genE5ELNS1_11target_archE942ELNS1_3gpuE9ELNS1_3repE0EEENS1_30default_config_static_selectorELNS0_4arch9wavefront6targetE0EEEvS16_,@function
_ZN7rocprim17ROCPRIM_400000_NS6detail17trampoline_kernelINS0_14default_configENS1_22reduce_config_selectorIN6thrust23THRUST_200600_302600_NS5tupleIblNS6_9null_typeES8_S8_S8_S8_S8_S8_S8_EEEEZNS1_11reduce_implILb1ES3_NS6_12zip_iteratorINS7_INS6_11hip_rocprim26transform_input_iterator_tIbNSD_35transform_pair_of_input_iterators_tIbNS6_6detail15normal_iteratorINS6_10device_ptrIlEEEENS6_17counting_iteratorIlNS6_11use_defaultESM_SM_EENS6_8equal_toIlEEEENSG_9not_fun_tINSD_8identityEEEEENSD_19counting_iterator_tIlEES8_S8_S8_S8_S8_S8_S8_S8_EEEEPS9_S9_NSD_9__find_if7functorIS9_EEEE10hipError_tPvRmT1_T2_T3_mT4_P12ihipStream_tbEUlT_E0_NS1_11comp_targetILNS1_3genE5ELNS1_11target_archE942ELNS1_3gpuE9ELNS1_3repE0EEENS1_30default_config_static_selectorELNS0_4arch9wavefront6targetE0EEEvS16_: ; @_ZN7rocprim17ROCPRIM_400000_NS6detail17trampoline_kernelINS0_14default_configENS1_22reduce_config_selectorIN6thrust23THRUST_200600_302600_NS5tupleIblNS6_9null_typeES8_S8_S8_S8_S8_S8_S8_EEEEZNS1_11reduce_implILb1ES3_NS6_12zip_iteratorINS7_INS6_11hip_rocprim26transform_input_iterator_tIbNSD_35transform_pair_of_input_iterators_tIbNS6_6detail15normal_iteratorINS6_10device_ptrIlEEEENS6_17counting_iteratorIlNS6_11use_defaultESM_SM_EENS6_8equal_toIlEEEENSG_9not_fun_tINSD_8identityEEEEENSD_19counting_iterator_tIlEES8_S8_S8_S8_S8_S8_S8_S8_EEEEPS9_S9_NSD_9__find_if7functorIS9_EEEE10hipError_tPvRmT1_T2_T3_mT4_P12ihipStream_tbEUlT_E0_NS1_11comp_targetILNS1_3genE5ELNS1_11target_archE942ELNS1_3gpuE9ELNS1_3repE0EEENS1_30default_config_static_selectorELNS0_4arch9wavefront6targetE0EEEvS16_
; %bb.0:
	.section	.rodata,"a",@progbits
	.p2align	6, 0x0
	.amdhsa_kernel _ZN7rocprim17ROCPRIM_400000_NS6detail17trampoline_kernelINS0_14default_configENS1_22reduce_config_selectorIN6thrust23THRUST_200600_302600_NS5tupleIblNS6_9null_typeES8_S8_S8_S8_S8_S8_S8_EEEEZNS1_11reduce_implILb1ES3_NS6_12zip_iteratorINS7_INS6_11hip_rocprim26transform_input_iterator_tIbNSD_35transform_pair_of_input_iterators_tIbNS6_6detail15normal_iteratorINS6_10device_ptrIlEEEENS6_17counting_iteratorIlNS6_11use_defaultESM_SM_EENS6_8equal_toIlEEEENSG_9not_fun_tINSD_8identityEEEEENSD_19counting_iterator_tIlEES8_S8_S8_S8_S8_S8_S8_S8_EEEEPS9_S9_NSD_9__find_if7functorIS9_EEEE10hipError_tPvRmT1_T2_T3_mT4_P12ihipStream_tbEUlT_E0_NS1_11comp_targetILNS1_3genE5ELNS1_11target_archE942ELNS1_3gpuE9ELNS1_3repE0EEENS1_30default_config_static_selectorELNS0_4arch9wavefront6targetE0EEEvS16_
		.amdhsa_group_segment_fixed_size 0
		.amdhsa_private_segment_fixed_size 0
		.amdhsa_kernarg_size 104
		.amdhsa_user_sgpr_count 15
		.amdhsa_user_sgpr_dispatch_ptr 0
		.amdhsa_user_sgpr_queue_ptr 0
		.amdhsa_user_sgpr_kernarg_segment_ptr 1
		.amdhsa_user_sgpr_dispatch_id 0
		.amdhsa_user_sgpr_private_segment_size 0
		.amdhsa_wavefront_size32 1
		.amdhsa_uses_dynamic_stack 0
		.amdhsa_enable_private_segment 0
		.amdhsa_system_sgpr_workgroup_id_x 1
		.amdhsa_system_sgpr_workgroup_id_y 0
		.amdhsa_system_sgpr_workgroup_id_z 0
		.amdhsa_system_sgpr_workgroup_info 0
		.amdhsa_system_vgpr_workitem_id 0
		.amdhsa_next_free_vgpr 1
		.amdhsa_next_free_sgpr 1
		.amdhsa_reserve_vcc 0
		.amdhsa_float_round_mode_32 0
		.amdhsa_float_round_mode_16_64 0
		.amdhsa_float_denorm_mode_32 3
		.amdhsa_float_denorm_mode_16_64 3
		.amdhsa_dx10_clamp 1
		.amdhsa_ieee_mode 1
		.amdhsa_fp16_overflow 0
		.amdhsa_workgroup_processor_mode 1
		.amdhsa_memory_ordered 1
		.amdhsa_forward_progress 0
		.amdhsa_shared_vgpr_count 0
		.amdhsa_exception_fp_ieee_invalid_op 0
		.amdhsa_exception_fp_denorm_src 0
		.amdhsa_exception_fp_ieee_div_zero 0
		.amdhsa_exception_fp_ieee_overflow 0
		.amdhsa_exception_fp_ieee_underflow 0
		.amdhsa_exception_fp_ieee_inexact 0
		.amdhsa_exception_int_div_zero 0
	.end_amdhsa_kernel
	.section	.text._ZN7rocprim17ROCPRIM_400000_NS6detail17trampoline_kernelINS0_14default_configENS1_22reduce_config_selectorIN6thrust23THRUST_200600_302600_NS5tupleIblNS6_9null_typeES8_S8_S8_S8_S8_S8_S8_EEEEZNS1_11reduce_implILb1ES3_NS6_12zip_iteratorINS7_INS6_11hip_rocprim26transform_input_iterator_tIbNSD_35transform_pair_of_input_iterators_tIbNS6_6detail15normal_iteratorINS6_10device_ptrIlEEEENS6_17counting_iteratorIlNS6_11use_defaultESM_SM_EENS6_8equal_toIlEEEENSG_9not_fun_tINSD_8identityEEEEENSD_19counting_iterator_tIlEES8_S8_S8_S8_S8_S8_S8_S8_EEEEPS9_S9_NSD_9__find_if7functorIS9_EEEE10hipError_tPvRmT1_T2_T3_mT4_P12ihipStream_tbEUlT_E0_NS1_11comp_targetILNS1_3genE5ELNS1_11target_archE942ELNS1_3gpuE9ELNS1_3repE0EEENS1_30default_config_static_selectorELNS0_4arch9wavefront6targetE0EEEvS16_,"axG",@progbits,_ZN7rocprim17ROCPRIM_400000_NS6detail17trampoline_kernelINS0_14default_configENS1_22reduce_config_selectorIN6thrust23THRUST_200600_302600_NS5tupleIblNS6_9null_typeES8_S8_S8_S8_S8_S8_S8_EEEEZNS1_11reduce_implILb1ES3_NS6_12zip_iteratorINS7_INS6_11hip_rocprim26transform_input_iterator_tIbNSD_35transform_pair_of_input_iterators_tIbNS6_6detail15normal_iteratorINS6_10device_ptrIlEEEENS6_17counting_iteratorIlNS6_11use_defaultESM_SM_EENS6_8equal_toIlEEEENSG_9not_fun_tINSD_8identityEEEEENSD_19counting_iterator_tIlEES8_S8_S8_S8_S8_S8_S8_S8_EEEEPS9_S9_NSD_9__find_if7functorIS9_EEEE10hipError_tPvRmT1_T2_T3_mT4_P12ihipStream_tbEUlT_E0_NS1_11comp_targetILNS1_3genE5ELNS1_11target_archE942ELNS1_3gpuE9ELNS1_3repE0EEENS1_30default_config_static_selectorELNS0_4arch9wavefront6targetE0EEEvS16_,comdat
.Lfunc_end1190:
	.size	_ZN7rocprim17ROCPRIM_400000_NS6detail17trampoline_kernelINS0_14default_configENS1_22reduce_config_selectorIN6thrust23THRUST_200600_302600_NS5tupleIblNS6_9null_typeES8_S8_S8_S8_S8_S8_S8_EEEEZNS1_11reduce_implILb1ES3_NS6_12zip_iteratorINS7_INS6_11hip_rocprim26transform_input_iterator_tIbNSD_35transform_pair_of_input_iterators_tIbNS6_6detail15normal_iteratorINS6_10device_ptrIlEEEENS6_17counting_iteratorIlNS6_11use_defaultESM_SM_EENS6_8equal_toIlEEEENSG_9not_fun_tINSD_8identityEEEEENSD_19counting_iterator_tIlEES8_S8_S8_S8_S8_S8_S8_S8_EEEEPS9_S9_NSD_9__find_if7functorIS9_EEEE10hipError_tPvRmT1_T2_T3_mT4_P12ihipStream_tbEUlT_E0_NS1_11comp_targetILNS1_3genE5ELNS1_11target_archE942ELNS1_3gpuE9ELNS1_3repE0EEENS1_30default_config_static_selectorELNS0_4arch9wavefront6targetE0EEEvS16_, .Lfunc_end1190-_ZN7rocprim17ROCPRIM_400000_NS6detail17trampoline_kernelINS0_14default_configENS1_22reduce_config_selectorIN6thrust23THRUST_200600_302600_NS5tupleIblNS6_9null_typeES8_S8_S8_S8_S8_S8_S8_EEEEZNS1_11reduce_implILb1ES3_NS6_12zip_iteratorINS7_INS6_11hip_rocprim26transform_input_iterator_tIbNSD_35transform_pair_of_input_iterators_tIbNS6_6detail15normal_iteratorINS6_10device_ptrIlEEEENS6_17counting_iteratorIlNS6_11use_defaultESM_SM_EENS6_8equal_toIlEEEENSG_9not_fun_tINSD_8identityEEEEENSD_19counting_iterator_tIlEES8_S8_S8_S8_S8_S8_S8_S8_EEEEPS9_S9_NSD_9__find_if7functorIS9_EEEE10hipError_tPvRmT1_T2_T3_mT4_P12ihipStream_tbEUlT_E0_NS1_11comp_targetILNS1_3genE5ELNS1_11target_archE942ELNS1_3gpuE9ELNS1_3repE0EEENS1_30default_config_static_selectorELNS0_4arch9wavefront6targetE0EEEvS16_
                                        ; -- End function
	.section	.AMDGPU.csdata,"",@progbits
; Kernel info:
; codeLenInByte = 0
; NumSgprs: 0
; NumVgprs: 0
; ScratchSize: 0
; MemoryBound: 0
; FloatMode: 240
; IeeeMode: 1
; LDSByteSize: 0 bytes/workgroup (compile time only)
; SGPRBlocks: 0
; VGPRBlocks: 0
; NumSGPRsForWavesPerEU: 1
; NumVGPRsForWavesPerEU: 1
; Occupancy: 16
; WaveLimiterHint : 0
; COMPUTE_PGM_RSRC2:SCRATCH_EN: 0
; COMPUTE_PGM_RSRC2:USER_SGPR: 15
; COMPUTE_PGM_RSRC2:TRAP_HANDLER: 0
; COMPUTE_PGM_RSRC2:TGID_X_EN: 1
; COMPUTE_PGM_RSRC2:TGID_Y_EN: 0
; COMPUTE_PGM_RSRC2:TGID_Z_EN: 0
; COMPUTE_PGM_RSRC2:TIDIG_COMP_CNT: 0
	.section	.text._ZN7rocprim17ROCPRIM_400000_NS6detail17trampoline_kernelINS0_14default_configENS1_22reduce_config_selectorIN6thrust23THRUST_200600_302600_NS5tupleIblNS6_9null_typeES8_S8_S8_S8_S8_S8_S8_EEEEZNS1_11reduce_implILb1ES3_NS6_12zip_iteratorINS7_INS6_11hip_rocprim26transform_input_iterator_tIbNSD_35transform_pair_of_input_iterators_tIbNS6_6detail15normal_iteratorINS6_10device_ptrIlEEEENS6_17counting_iteratorIlNS6_11use_defaultESM_SM_EENS6_8equal_toIlEEEENSG_9not_fun_tINSD_8identityEEEEENSD_19counting_iterator_tIlEES8_S8_S8_S8_S8_S8_S8_S8_EEEEPS9_S9_NSD_9__find_if7functorIS9_EEEE10hipError_tPvRmT1_T2_T3_mT4_P12ihipStream_tbEUlT_E0_NS1_11comp_targetILNS1_3genE4ELNS1_11target_archE910ELNS1_3gpuE8ELNS1_3repE0EEENS1_30default_config_static_selectorELNS0_4arch9wavefront6targetE0EEEvS16_,"axG",@progbits,_ZN7rocprim17ROCPRIM_400000_NS6detail17trampoline_kernelINS0_14default_configENS1_22reduce_config_selectorIN6thrust23THRUST_200600_302600_NS5tupleIblNS6_9null_typeES8_S8_S8_S8_S8_S8_S8_EEEEZNS1_11reduce_implILb1ES3_NS6_12zip_iteratorINS7_INS6_11hip_rocprim26transform_input_iterator_tIbNSD_35transform_pair_of_input_iterators_tIbNS6_6detail15normal_iteratorINS6_10device_ptrIlEEEENS6_17counting_iteratorIlNS6_11use_defaultESM_SM_EENS6_8equal_toIlEEEENSG_9not_fun_tINSD_8identityEEEEENSD_19counting_iterator_tIlEES8_S8_S8_S8_S8_S8_S8_S8_EEEEPS9_S9_NSD_9__find_if7functorIS9_EEEE10hipError_tPvRmT1_T2_T3_mT4_P12ihipStream_tbEUlT_E0_NS1_11comp_targetILNS1_3genE4ELNS1_11target_archE910ELNS1_3gpuE8ELNS1_3repE0EEENS1_30default_config_static_selectorELNS0_4arch9wavefront6targetE0EEEvS16_,comdat
	.protected	_ZN7rocprim17ROCPRIM_400000_NS6detail17trampoline_kernelINS0_14default_configENS1_22reduce_config_selectorIN6thrust23THRUST_200600_302600_NS5tupleIblNS6_9null_typeES8_S8_S8_S8_S8_S8_S8_EEEEZNS1_11reduce_implILb1ES3_NS6_12zip_iteratorINS7_INS6_11hip_rocprim26transform_input_iterator_tIbNSD_35transform_pair_of_input_iterators_tIbNS6_6detail15normal_iteratorINS6_10device_ptrIlEEEENS6_17counting_iteratorIlNS6_11use_defaultESM_SM_EENS6_8equal_toIlEEEENSG_9not_fun_tINSD_8identityEEEEENSD_19counting_iterator_tIlEES8_S8_S8_S8_S8_S8_S8_S8_EEEEPS9_S9_NSD_9__find_if7functorIS9_EEEE10hipError_tPvRmT1_T2_T3_mT4_P12ihipStream_tbEUlT_E0_NS1_11comp_targetILNS1_3genE4ELNS1_11target_archE910ELNS1_3gpuE8ELNS1_3repE0EEENS1_30default_config_static_selectorELNS0_4arch9wavefront6targetE0EEEvS16_ ; -- Begin function _ZN7rocprim17ROCPRIM_400000_NS6detail17trampoline_kernelINS0_14default_configENS1_22reduce_config_selectorIN6thrust23THRUST_200600_302600_NS5tupleIblNS6_9null_typeES8_S8_S8_S8_S8_S8_S8_EEEEZNS1_11reduce_implILb1ES3_NS6_12zip_iteratorINS7_INS6_11hip_rocprim26transform_input_iterator_tIbNSD_35transform_pair_of_input_iterators_tIbNS6_6detail15normal_iteratorINS6_10device_ptrIlEEEENS6_17counting_iteratorIlNS6_11use_defaultESM_SM_EENS6_8equal_toIlEEEENSG_9not_fun_tINSD_8identityEEEEENSD_19counting_iterator_tIlEES8_S8_S8_S8_S8_S8_S8_S8_EEEEPS9_S9_NSD_9__find_if7functorIS9_EEEE10hipError_tPvRmT1_T2_T3_mT4_P12ihipStream_tbEUlT_E0_NS1_11comp_targetILNS1_3genE4ELNS1_11target_archE910ELNS1_3gpuE8ELNS1_3repE0EEENS1_30default_config_static_selectorELNS0_4arch9wavefront6targetE0EEEvS16_
	.globl	_ZN7rocprim17ROCPRIM_400000_NS6detail17trampoline_kernelINS0_14default_configENS1_22reduce_config_selectorIN6thrust23THRUST_200600_302600_NS5tupleIblNS6_9null_typeES8_S8_S8_S8_S8_S8_S8_EEEEZNS1_11reduce_implILb1ES3_NS6_12zip_iteratorINS7_INS6_11hip_rocprim26transform_input_iterator_tIbNSD_35transform_pair_of_input_iterators_tIbNS6_6detail15normal_iteratorINS6_10device_ptrIlEEEENS6_17counting_iteratorIlNS6_11use_defaultESM_SM_EENS6_8equal_toIlEEEENSG_9not_fun_tINSD_8identityEEEEENSD_19counting_iterator_tIlEES8_S8_S8_S8_S8_S8_S8_S8_EEEEPS9_S9_NSD_9__find_if7functorIS9_EEEE10hipError_tPvRmT1_T2_T3_mT4_P12ihipStream_tbEUlT_E0_NS1_11comp_targetILNS1_3genE4ELNS1_11target_archE910ELNS1_3gpuE8ELNS1_3repE0EEENS1_30default_config_static_selectorELNS0_4arch9wavefront6targetE0EEEvS16_
	.p2align	8
	.type	_ZN7rocprim17ROCPRIM_400000_NS6detail17trampoline_kernelINS0_14default_configENS1_22reduce_config_selectorIN6thrust23THRUST_200600_302600_NS5tupleIblNS6_9null_typeES8_S8_S8_S8_S8_S8_S8_EEEEZNS1_11reduce_implILb1ES3_NS6_12zip_iteratorINS7_INS6_11hip_rocprim26transform_input_iterator_tIbNSD_35transform_pair_of_input_iterators_tIbNS6_6detail15normal_iteratorINS6_10device_ptrIlEEEENS6_17counting_iteratorIlNS6_11use_defaultESM_SM_EENS6_8equal_toIlEEEENSG_9not_fun_tINSD_8identityEEEEENSD_19counting_iterator_tIlEES8_S8_S8_S8_S8_S8_S8_S8_EEEEPS9_S9_NSD_9__find_if7functorIS9_EEEE10hipError_tPvRmT1_T2_T3_mT4_P12ihipStream_tbEUlT_E0_NS1_11comp_targetILNS1_3genE4ELNS1_11target_archE910ELNS1_3gpuE8ELNS1_3repE0EEENS1_30default_config_static_selectorELNS0_4arch9wavefront6targetE0EEEvS16_,@function
_ZN7rocprim17ROCPRIM_400000_NS6detail17trampoline_kernelINS0_14default_configENS1_22reduce_config_selectorIN6thrust23THRUST_200600_302600_NS5tupleIblNS6_9null_typeES8_S8_S8_S8_S8_S8_S8_EEEEZNS1_11reduce_implILb1ES3_NS6_12zip_iteratorINS7_INS6_11hip_rocprim26transform_input_iterator_tIbNSD_35transform_pair_of_input_iterators_tIbNS6_6detail15normal_iteratorINS6_10device_ptrIlEEEENS6_17counting_iteratorIlNS6_11use_defaultESM_SM_EENS6_8equal_toIlEEEENSG_9not_fun_tINSD_8identityEEEEENSD_19counting_iterator_tIlEES8_S8_S8_S8_S8_S8_S8_S8_EEEEPS9_S9_NSD_9__find_if7functorIS9_EEEE10hipError_tPvRmT1_T2_T3_mT4_P12ihipStream_tbEUlT_E0_NS1_11comp_targetILNS1_3genE4ELNS1_11target_archE910ELNS1_3gpuE8ELNS1_3repE0EEENS1_30default_config_static_selectorELNS0_4arch9wavefront6targetE0EEEvS16_: ; @_ZN7rocprim17ROCPRIM_400000_NS6detail17trampoline_kernelINS0_14default_configENS1_22reduce_config_selectorIN6thrust23THRUST_200600_302600_NS5tupleIblNS6_9null_typeES8_S8_S8_S8_S8_S8_S8_EEEEZNS1_11reduce_implILb1ES3_NS6_12zip_iteratorINS7_INS6_11hip_rocprim26transform_input_iterator_tIbNSD_35transform_pair_of_input_iterators_tIbNS6_6detail15normal_iteratorINS6_10device_ptrIlEEEENS6_17counting_iteratorIlNS6_11use_defaultESM_SM_EENS6_8equal_toIlEEEENSG_9not_fun_tINSD_8identityEEEEENSD_19counting_iterator_tIlEES8_S8_S8_S8_S8_S8_S8_S8_EEEEPS9_S9_NSD_9__find_if7functorIS9_EEEE10hipError_tPvRmT1_T2_T3_mT4_P12ihipStream_tbEUlT_E0_NS1_11comp_targetILNS1_3genE4ELNS1_11target_archE910ELNS1_3gpuE8ELNS1_3repE0EEENS1_30default_config_static_selectorELNS0_4arch9wavefront6targetE0EEEvS16_
; %bb.0:
	.section	.rodata,"a",@progbits
	.p2align	6, 0x0
	.amdhsa_kernel _ZN7rocprim17ROCPRIM_400000_NS6detail17trampoline_kernelINS0_14default_configENS1_22reduce_config_selectorIN6thrust23THRUST_200600_302600_NS5tupleIblNS6_9null_typeES8_S8_S8_S8_S8_S8_S8_EEEEZNS1_11reduce_implILb1ES3_NS6_12zip_iteratorINS7_INS6_11hip_rocprim26transform_input_iterator_tIbNSD_35transform_pair_of_input_iterators_tIbNS6_6detail15normal_iteratorINS6_10device_ptrIlEEEENS6_17counting_iteratorIlNS6_11use_defaultESM_SM_EENS6_8equal_toIlEEEENSG_9not_fun_tINSD_8identityEEEEENSD_19counting_iterator_tIlEES8_S8_S8_S8_S8_S8_S8_S8_EEEEPS9_S9_NSD_9__find_if7functorIS9_EEEE10hipError_tPvRmT1_T2_T3_mT4_P12ihipStream_tbEUlT_E0_NS1_11comp_targetILNS1_3genE4ELNS1_11target_archE910ELNS1_3gpuE8ELNS1_3repE0EEENS1_30default_config_static_selectorELNS0_4arch9wavefront6targetE0EEEvS16_
		.amdhsa_group_segment_fixed_size 0
		.amdhsa_private_segment_fixed_size 0
		.amdhsa_kernarg_size 104
		.amdhsa_user_sgpr_count 15
		.amdhsa_user_sgpr_dispatch_ptr 0
		.amdhsa_user_sgpr_queue_ptr 0
		.amdhsa_user_sgpr_kernarg_segment_ptr 1
		.amdhsa_user_sgpr_dispatch_id 0
		.amdhsa_user_sgpr_private_segment_size 0
		.amdhsa_wavefront_size32 1
		.amdhsa_uses_dynamic_stack 0
		.amdhsa_enable_private_segment 0
		.amdhsa_system_sgpr_workgroup_id_x 1
		.amdhsa_system_sgpr_workgroup_id_y 0
		.amdhsa_system_sgpr_workgroup_id_z 0
		.amdhsa_system_sgpr_workgroup_info 0
		.amdhsa_system_vgpr_workitem_id 0
		.amdhsa_next_free_vgpr 1
		.amdhsa_next_free_sgpr 1
		.amdhsa_reserve_vcc 0
		.amdhsa_float_round_mode_32 0
		.amdhsa_float_round_mode_16_64 0
		.amdhsa_float_denorm_mode_32 3
		.amdhsa_float_denorm_mode_16_64 3
		.amdhsa_dx10_clamp 1
		.amdhsa_ieee_mode 1
		.amdhsa_fp16_overflow 0
		.amdhsa_workgroup_processor_mode 1
		.amdhsa_memory_ordered 1
		.amdhsa_forward_progress 0
		.amdhsa_shared_vgpr_count 0
		.amdhsa_exception_fp_ieee_invalid_op 0
		.amdhsa_exception_fp_denorm_src 0
		.amdhsa_exception_fp_ieee_div_zero 0
		.amdhsa_exception_fp_ieee_overflow 0
		.amdhsa_exception_fp_ieee_underflow 0
		.amdhsa_exception_fp_ieee_inexact 0
		.amdhsa_exception_int_div_zero 0
	.end_amdhsa_kernel
	.section	.text._ZN7rocprim17ROCPRIM_400000_NS6detail17trampoline_kernelINS0_14default_configENS1_22reduce_config_selectorIN6thrust23THRUST_200600_302600_NS5tupleIblNS6_9null_typeES8_S8_S8_S8_S8_S8_S8_EEEEZNS1_11reduce_implILb1ES3_NS6_12zip_iteratorINS7_INS6_11hip_rocprim26transform_input_iterator_tIbNSD_35transform_pair_of_input_iterators_tIbNS6_6detail15normal_iteratorINS6_10device_ptrIlEEEENS6_17counting_iteratorIlNS6_11use_defaultESM_SM_EENS6_8equal_toIlEEEENSG_9not_fun_tINSD_8identityEEEEENSD_19counting_iterator_tIlEES8_S8_S8_S8_S8_S8_S8_S8_EEEEPS9_S9_NSD_9__find_if7functorIS9_EEEE10hipError_tPvRmT1_T2_T3_mT4_P12ihipStream_tbEUlT_E0_NS1_11comp_targetILNS1_3genE4ELNS1_11target_archE910ELNS1_3gpuE8ELNS1_3repE0EEENS1_30default_config_static_selectorELNS0_4arch9wavefront6targetE0EEEvS16_,"axG",@progbits,_ZN7rocprim17ROCPRIM_400000_NS6detail17trampoline_kernelINS0_14default_configENS1_22reduce_config_selectorIN6thrust23THRUST_200600_302600_NS5tupleIblNS6_9null_typeES8_S8_S8_S8_S8_S8_S8_EEEEZNS1_11reduce_implILb1ES3_NS6_12zip_iteratorINS7_INS6_11hip_rocprim26transform_input_iterator_tIbNSD_35transform_pair_of_input_iterators_tIbNS6_6detail15normal_iteratorINS6_10device_ptrIlEEEENS6_17counting_iteratorIlNS6_11use_defaultESM_SM_EENS6_8equal_toIlEEEENSG_9not_fun_tINSD_8identityEEEEENSD_19counting_iterator_tIlEES8_S8_S8_S8_S8_S8_S8_S8_EEEEPS9_S9_NSD_9__find_if7functorIS9_EEEE10hipError_tPvRmT1_T2_T3_mT4_P12ihipStream_tbEUlT_E0_NS1_11comp_targetILNS1_3genE4ELNS1_11target_archE910ELNS1_3gpuE8ELNS1_3repE0EEENS1_30default_config_static_selectorELNS0_4arch9wavefront6targetE0EEEvS16_,comdat
.Lfunc_end1191:
	.size	_ZN7rocprim17ROCPRIM_400000_NS6detail17trampoline_kernelINS0_14default_configENS1_22reduce_config_selectorIN6thrust23THRUST_200600_302600_NS5tupleIblNS6_9null_typeES8_S8_S8_S8_S8_S8_S8_EEEEZNS1_11reduce_implILb1ES3_NS6_12zip_iteratorINS7_INS6_11hip_rocprim26transform_input_iterator_tIbNSD_35transform_pair_of_input_iterators_tIbNS6_6detail15normal_iteratorINS6_10device_ptrIlEEEENS6_17counting_iteratorIlNS6_11use_defaultESM_SM_EENS6_8equal_toIlEEEENSG_9not_fun_tINSD_8identityEEEEENSD_19counting_iterator_tIlEES8_S8_S8_S8_S8_S8_S8_S8_EEEEPS9_S9_NSD_9__find_if7functorIS9_EEEE10hipError_tPvRmT1_T2_T3_mT4_P12ihipStream_tbEUlT_E0_NS1_11comp_targetILNS1_3genE4ELNS1_11target_archE910ELNS1_3gpuE8ELNS1_3repE0EEENS1_30default_config_static_selectorELNS0_4arch9wavefront6targetE0EEEvS16_, .Lfunc_end1191-_ZN7rocprim17ROCPRIM_400000_NS6detail17trampoline_kernelINS0_14default_configENS1_22reduce_config_selectorIN6thrust23THRUST_200600_302600_NS5tupleIblNS6_9null_typeES8_S8_S8_S8_S8_S8_S8_EEEEZNS1_11reduce_implILb1ES3_NS6_12zip_iteratorINS7_INS6_11hip_rocprim26transform_input_iterator_tIbNSD_35transform_pair_of_input_iterators_tIbNS6_6detail15normal_iteratorINS6_10device_ptrIlEEEENS6_17counting_iteratorIlNS6_11use_defaultESM_SM_EENS6_8equal_toIlEEEENSG_9not_fun_tINSD_8identityEEEEENSD_19counting_iterator_tIlEES8_S8_S8_S8_S8_S8_S8_S8_EEEEPS9_S9_NSD_9__find_if7functorIS9_EEEE10hipError_tPvRmT1_T2_T3_mT4_P12ihipStream_tbEUlT_E0_NS1_11comp_targetILNS1_3genE4ELNS1_11target_archE910ELNS1_3gpuE8ELNS1_3repE0EEENS1_30default_config_static_selectorELNS0_4arch9wavefront6targetE0EEEvS16_
                                        ; -- End function
	.section	.AMDGPU.csdata,"",@progbits
; Kernel info:
; codeLenInByte = 0
; NumSgprs: 0
; NumVgprs: 0
; ScratchSize: 0
; MemoryBound: 0
; FloatMode: 240
; IeeeMode: 1
; LDSByteSize: 0 bytes/workgroup (compile time only)
; SGPRBlocks: 0
; VGPRBlocks: 0
; NumSGPRsForWavesPerEU: 1
; NumVGPRsForWavesPerEU: 1
; Occupancy: 16
; WaveLimiterHint : 0
; COMPUTE_PGM_RSRC2:SCRATCH_EN: 0
; COMPUTE_PGM_RSRC2:USER_SGPR: 15
; COMPUTE_PGM_RSRC2:TRAP_HANDLER: 0
; COMPUTE_PGM_RSRC2:TGID_X_EN: 1
; COMPUTE_PGM_RSRC2:TGID_Y_EN: 0
; COMPUTE_PGM_RSRC2:TGID_Z_EN: 0
; COMPUTE_PGM_RSRC2:TIDIG_COMP_CNT: 0
	.section	.text._ZN7rocprim17ROCPRIM_400000_NS6detail17trampoline_kernelINS0_14default_configENS1_22reduce_config_selectorIN6thrust23THRUST_200600_302600_NS5tupleIblNS6_9null_typeES8_S8_S8_S8_S8_S8_S8_EEEEZNS1_11reduce_implILb1ES3_NS6_12zip_iteratorINS7_INS6_11hip_rocprim26transform_input_iterator_tIbNSD_35transform_pair_of_input_iterators_tIbNS6_6detail15normal_iteratorINS6_10device_ptrIlEEEENS6_17counting_iteratorIlNS6_11use_defaultESM_SM_EENS6_8equal_toIlEEEENSG_9not_fun_tINSD_8identityEEEEENSD_19counting_iterator_tIlEES8_S8_S8_S8_S8_S8_S8_S8_EEEEPS9_S9_NSD_9__find_if7functorIS9_EEEE10hipError_tPvRmT1_T2_T3_mT4_P12ihipStream_tbEUlT_E0_NS1_11comp_targetILNS1_3genE3ELNS1_11target_archE908ELNS1_3gpuE7ELNS1_3repE0EEENS1_30default_config_static_selectorELNS0_4arch9wavefront6targetE0EEEvS16_,"axG",@progbits,_ZN7rocprim17ROCPRIM_400000_NS6detail17trampoline_kernelINS0_14default_configENS1_22reduce_config_selectorIN6thrust23THRUST_200600_302600_NS5tupleIblNS6_9null_typeES8_S8_S8_S8_S8_S8_S8_EEEEZNS1_11reduce_implILb1ES3_NS6_12zip_iteratorINS7_INS6_11hip_rocprim26transform_input_iterator_tIbNSD_35transform_pair_of_input_iterators_tIbNS6_6detail15normal_iteratorINS6_10device_ptrIlEEEENS6_17counting_iteratorIlNS6_11use_defaultESM_SM_EENS6_8equal_toIlEEEENSG_9not_fun_tINSD_8identityEEEEENSD_19counting_iterator_tIlEES8_S8_S8_S8_S8_S8_S8_S8_EEEEPS9_S9_NSD_9__find_if7functorIS9_EEEE10hipError_tPvRmT1_T2_T3_mT4_P12ihipStream_tbEUlT_E0_NS1_11comp_targetILNS1_3genE3ELNS1_11target_archE908ELNS1_3gpuE7ELNS1_3repE0EEENS1_30default_config_static_selectorELNS0_4arch9wavefront6targetE0EEEvS16_,comdat
	.protected	_ZN7rocprim17ROCPRIM_400000_NS6detail17trampoline_kernelINS0_14default_configENS1_22reduce_config_selectorIN6thrust23THRUST_200600_302600_NS5tupleIblNS6_9null_typeES8_S8_S8_S8_S8_S8_S8_EEEEZNS1_11reduce_implILb1ES3_NS6_12zip_iteratorINS7_INS6_11hip_rocprim26transform_input_iterator_tIbNSD_35transform_pair_of_input_iterators_tIbNS6_6detail15normal_iteratorINS6_10device_ptrIlEEEENS6_17counting_iteratorIlNS6_11use_defaultESM_SM_EENS6_8equal_toIlEEEENSG_9not_fun_tINSD_8identityEEEEENSD_19counting_iterator_tIlEES8_S8_S8_S8_S8_S8_S8_S8_EEEEPS9_S9_NSD_9__find_if7functorIS9_EEEE10hipError_tPvRmT1_T2_T3_mT4_P12ihipStream_tbEUlT_E0_NS1_11comp_targetILNS1_3genE3ELNS1_11target_archE908ELNS1_3gpuE7ELNS1_3repE0EEENS1_30default_config_static_selectorELNS0_4arch9wavefront6targetE0EEEvS16_ ; -- Begin function _ZN7rocprim17ROCPRIM_400000_NS6detail17trampoline_kernelINS0_14default_configENS1_22reduce_config_selectorIN6thrust23THRUST_200600_302600_NS5tupleIblNS6_9null_typeES8_S8_S8_S8_S8_S8_S8_EEEEZNS1_11reduce_implILb1ES3_NS6_12zip_iteratorINS7_INS6_11hip_rocprim26transform_input_iterator_tIbNSD_35transform_pair_of_input_iterators_tIbNS6_6detail15normal_iteratorINS6_10device_ptrIlEEEENS6_17counting_iteratorIlNS6_11use_defaultESM_SM_EENS6_8equal_toIlEEEENSG_9not_fun_tINSD_8identityEEEEENSD_19counting_iterator_tIlEES8_S8_S8_S8_S8_S8_S8_S8_EEEEPS9_S9_NSD_9__find_if7functorIS9_EEEE10hipError_tPvRmT1_T2_T3_mT4_P12ihipStream_tbEUlT_E0_NS1_11comp_targetILNS1_3genE3ELNS1_11target_archE908ELNS1_3gpuE7ELNS1_3repE0EEENS1_30default_config_static_selectorELNS0_4arch9wavefront6targetE0EEEvS16_
	.globl	_ZN7rocprim17ROCPRIM_400000_NS6detail17trampoline_kernelINS0_14default_configENS1_22reduce_config_selectorIN6thrust23THRUST_200600_302600_NS5tupleIblNS6_9null_typeES8_S8_S8_S8_S8_S8_S8_EEEEZNS1_11reduce_implILb1ES3_NS6_12zip_iteratorINS7_INS6_11hip_rocprim26transform_input_iterator_tIbNSD_35transform_pair_of_input_iterators_tIbNS6_6detail15normal_iteratorINS6_10device_ptrIlEEEENS6_17counting_iteratorIlNS6_11use_defaultESM_SM_EENS6_8equal_toIlEEEENSG_9not_fun_tINSD_8identityEEEEENSD_19counting_iterator_tIlEES8_S8_S8_S8_S8_S8_S8_S8_EEEEPS9_S9_NSD_9__find_if7functorIS9_EEEE10hipError_tPvRmT1_T2_T3_mT4_P12ihipStream_tbEUlT_E0_NS1_11comp_targetILNS1_3genE3ELNS1_11target_archE908ELNS1_3gpuE7ELNS1_3repE0EEENS1_30default_config_static_selectorELNS0_4arch9wavefront6targetE0EEEvS16_
	.p2align	8
	.type	_ZN7rocprim17ROCPRIM_400000_NS6detail17trampoline_kernelINS0_14default_configENS1_22reduce_config_selectorIN6thrust23THRUST_200600_302600_NS5tupleIblNS6_9null_typeES8_S8_S8_S8_S8_S8_S8_EEEEZNS1_11reduce_implILb1ES3_NS6_12zip_iteratorINS7_INS6_11hip_rocprim26transform_input_iterator_tIbNSD_35transform_pair_of_input_iterators_tIbNS6_6detail15normal_iteratorINS6_10device_ptrIlEEEENS6_17counting_iteratorIlNS6_11use_defaultESM_SM_EENS6_8equal_toIlEEEENSG_9not_fun_tINSD_8identityEEEEENSD_19counting_iterator_tIlEES8_S8_S8_S8_S8_S8_S8_S8_EEEEPS9_S9_NSD_9__find_if7functorIS9_EEEE10hipError_tPvRmT1_T2_T3_mT4_P12ihipStream_tbEUlT_E0_NS1_11comp_targetILNS1_3genE3ELNS1_11target_archE908ELNS1_3gpuE7ELNS1_3repE0EEENS1_30default_config_static_selectorELNS0_4arch9wavefront6targetE0EEEvS16_,@function
_ZN7rocprim17ROCPRIM_400000_NS6detail17trampoline_kernelINS0_14default_configENS1_22reduce_config_selectorIN6thrust23THRUST_200600_302600_NS5tupleIblNS6_9null_typeES8_S8_S8_S8_S8_S8_S8_EEEEZNS1_11reduce_implILb1ES3_NS6_12zip_iteratorINS7_INS6_11hip_rocprim26transform_input_iterator_tIbNSD_35transform_pair_of_input_iterators_tIbNS6_6detail15normal_iteratorINS6_10device_ptrIlEEEENS6_17counting_iteratorIlNS6_11use_defaultESM_SM_EENS6_8equal_toIlEEEENSG_9not_fun_tINSD_8identityEEEEENSD_19counting_iterator_tIlEES8_S8_S8_S8_S8_S8_S8_S8_EEEEPS9_S9_NSD_9__find_if7functorIS9_EEEE10hipError_tPvRmT1_T2_T3_mT4_P12ihipStream_tbEUlT_E0_NS1_11comp_targetILNS1_3genE3ELNS1_11target_archE908ELNS1_3gpuE7ELNS1_3repE0EEENS1_30default_config_static_selectorELNS0_4arch9wavefront6targetE0EEEvS16_: ; @_ZN7rocprim17ROCPRIM_400000_NS6detail17trampoline_kernelINS0_14default_configENS1_22reduce_config_selectorIN6thrust23THRUST_200600_302600_NS5tupleIblNS6_9null_typeES8_S8_S8_S8_S8_S8_S8_EEEEZNS1_11reduce_implILb1ES3_NS6_12zip_iteratorINS7_INS6_11hip_rocprim26transform_input_iterator_tIbNSD_35transform_pair_of_input_iterators_tIbNS6_6detail15normal_iteratorINS6_10device_ptrIlEEEENS6_17counting_iteratorIlNS6_11use_defaultESM_SM_EENS6_8equal_toIlEEEENSG_9not_fun_tINSD_8identityEEEEENSD_19counting_iterator_tIlEES8_S8_S8_S8_S8_S8_S8_S8_EEEEPS9_S9_NSD_9__find_if7functorIS9_EEEE10hipError_tPvRmT1_T2_T3_mT4_P12ihipStream_tbEUlT_E0_NS1_11comp_targetILNS1_3genE3ELNS1_11target_archE908ELNS1_3gpuE7ELNS1_3repE0EEENS1_30default_config_static_selectorELNS0_4arch9wavefront6targetE0EEEvS16_
; %bb.0:
	.section	.rodata,"a",@progbits
	.p2align	6, 0x0
	.amdhsa_kernel _ZN7rocprim17ROCPRIM_400000_NS6detail17trampoline_kernelINS0_14default_configENS1_22reduce_config_selectorIN6thrust23THRUST_200600_302600_NS5tupleIblNS6_9null_typeES8_S8_S8_S8_S8_S8_S8_EEEEZNS1_11reduce_implILb1ES3_NS6_12zip_iteratorINS7_INS6_11hip_rocprim26transform_input_iterator_tIbNSD_35transform_pair_of_input_iterators_tIbNS6_6detail15normal_iteratorINS6_10device_ptrIlEEEENS6_17counting_iteratorIlNS6_11use_defaultESM_SM_EENS6_8equal_toIlEEEENSG_9not_fun_tINSD_8identityEEEEENSD_19counting_iterator_tIlEES8_S8_S8_S8_S8_S8_S8_S8_EEEEPS9_S9_NSD_9__find_if7functorIS9_EEEE10hipError_tPvRmT1_T2_T3_mT4_P12ihipStream_tbEUlT_E0_NS1_11comp_targetILNS1_3genE3ELNS1_11target_archE908ELNS1_3gpuE7ELNS1_3repE0EEENS1_30default_config_static_selectorELNS0_4arch9wavefront6targetE0EEEvS16_
		.amdhsa_group_segment_fixed_size 0
		.amdhsa_private_segment_fixed_size 0
		.amdhsa_kernarg_size 104
		.amdhsa_user_sgpr_count 15
		.amdhsa_user_sgpr_dispatch_ptr 0
		.amdhsa_user_sgpr_queue_ptr 0
		.amdhsa_user_sgpr_kernarg_segment_ptr 1
		.amdhsa_user_sgpr_dispatch_id 0
		.amdhsa_user_sgpr_private_segment_size 0
		.amdhsa_wavefront_size32 1
		.amdhsa_uses_dynamic_stack 0
		.amdhsa_enable_private_segment 0
		.amdhsa_system_sgpr_workgroup_id_x 1
		.amdhsa_system_sgpr_workgroup_id_y 0
		.amdhsa_system_sgpr_workgroup_id_z 0
		.amdhsa_system_sgpr_workgroup_info 0
		.amdhsa_system_vgpr_workitem_id 0
		.amdhsa_next_free_vgpr 1
		.amdhsa_next_free_sgpr 1
		.amdhsa_reserve_vcc 0
		.amdhsa_float_round_mode_32 0
		.amdhsa_float_round_mode_16_64 0
		.amdhsa_float_denorm_mode_32 3
		.amdhsa_float_denorm_mode_16_64 3
		.amdhsa_dx10_clamp 1
		.amdhsa_ieee_mode 1
		.amdhsa_fp16_overflow 0
		.amdhsa_workgroup_processor_mode 1
		.amdhsa_memory_ordered 1
		.amdhsa_forward_progress 0
		.amdhsa_shared_vgpr_count 0
		.amdhsa_exception_fp_ieee_invalid_op 0
		.amdhsa_exception_fp_denorm_src 0
		.amdhsa_exception_fp_ieee_div_zero 0
		.amdhsa_exception_fp_ieee_overflow 0
		.amdhsa_exception_fp_ieee_underflow 0
		.amdhsa_exception_fp_ieee_inexact 0
		.amdhsa_exception_int_div_zero 0
	.end_amdhsa_kernel
	.section	.text._ZN7rocprim17ROCPRIM_400000_NS6detail17trampoline_kernelINS0_14default_configENS1_22reduce_config_selectorIN6thrust23THRUST_200600_302600_NS5tupleIblNS6_9null_typeES8_S8_S8_S8_S8_S8_S8_EEEEZNS1_11reduce_implILb1ES3_NS6_12zip_iteratorINS7_INS6_11hip_rocprim26transform_input_iterator_tIbNSD_35transform_pair_of_input_iterators_tIbNS6_6detail15normal_iteratorINS6_10device_ptrIlEEEENS6_17counting_iteratorIlNS6_11use_defaultESM_SM_EENS6_8equal_toIlEEEENSG_9not_fun_tINSD_8identityEEEEENSD_19counting_iterator_tIlEES8_S8_S8_S8_S8_S8_S8_S8_EEEEPS9_S9_NSD_9__find_if7functorIS9_EEEE10hipError_tPvRmT1_T2_T3_mT4_P12ihipStream_tbEUlT_E0_NS1_11comp_targetILNS1_3genE3ELNS1_11target_archE908ELNS1_3gpuE7ELNS1_3repE0EEENS1_30default_config_static_selectorELNS0_4arch9wavefront6targetE0EEEvS16_,"axG",@progbits,_ZN7rocprim17ROCPRIM_400000_NS6detail17trampoline_kernelINS0_14default_configENS1_22reduce_config_selectorIN6thrust23THRUST_200600_302600_NS5tupleIblNS6_9null_typeES8_S8_S8_S8_S8_S8_S8_EEEEZNS1_11reduce_implILb1ES3_NS6_12zip_iteratorINS7_INS6_11hip_rocprim26transform_input_iterator_tIbNSD_35transform_pair_of_input_iterators_tIbNS6_6detail15normal_iteratorINS6_10device_ptrIlEEEENS6_17counting_iteratorIlNS6_11use_defaultESM_SM_EENS6_8equal_toIlEEEENSG_9not_fun_tINSD_8identityEEEEENSD_19counting_iterator_tIlEES8_S8_S8_S8_S8_S8_S8_S8_EEEEPS9_S9_NSD_9__find_if7functorIS9_EEEE10hipError_tPvRmT1_T2_T3_mT4_P12ihipStream_tbEUlT_E0_NS1_11comp_targetILNS1_3genE3ELNS1_11target_archE908ELNS1_3gpuE7ELNS1_3repE0EEENS1_30default_config_static_selectorELNS0_4arch9wavefront6targetE0EEEvS16_,comdat
.Lfunc_end1192:
	.size	_ZN7rocprim17ROCPRIM_400000_NS6detail17trampoline_kernelINS0_14default_configENS1_22reduce_config_selectorIN6thrust23THRUST_200600_302600_NS5tupleIblNS6_9null_typeES8_S8_S8_S8_S8_S8_S8_EEEEZNS1_11reduce_implILb1ES3_NS6_12zip_iteratorINS7_INS6_11hip_rocprim26transform_input_iterator_tIbNSD_35transform_pair_of_input_iterators_tIbNS6_6detail15normal_iteratorINS6_10device_ptrIlEEEENS6_17counting_iteratorIlNS6_11use_defaultESM_SM_EENS6_8equal_toIlEEEENSG_9not_fun_tINSD_8identityEEEEENSD_19counting_iterator_tIlEES8_S8_S8_S8_S8_S8_S8_S8_EEEEPS9_S9_NSD_9__find_if7functorIS9_EEEE10hipError_tPvRmT1_T2_T3_mT4_P12ihipStream_tbEUlT_E0_NS1_11comp_targetILNS1_3genE3ELNS1_11target_archE908ELNS1_3gpuE7ELNS1_3repE0EEENS1_30default_config_static_selectorELNS0_4arch9wavefront6targetE0EEEvS16_, .Lfunc_end1192-_ZN7rocprim17ROCPRIM_400000_NS6detail17trampoline_kernelINS0_14default_configENS1_22reduce_config_selectorIN6thrust23THRUST_200600_302600_NS5tupleIblNS6_9null_typeES8_S8_S8_S8_S8_S8_S8_EEEEZNS1_11reduce_implILb1ES3_NS6_12zip_iteratorINS7_INS6_11hip_rocprim26transform_input_iterator_tIbNSD_35transform_pair_of_input_iterators_tIbNS6_6detail15normal_iteratorINS6_10device_ptrIlEEEENS6_17counting_iteratorIlNS6_11use_defaultESM_SM_EENS6_8equal_toIlEEEENSG_9not_fun_tINSD_8identityEEEEENSD_19counting_iterator_tIlEES8_S8_S8_S8_S8_S8_S8_S8_EEEEPS9_S9_NSD_9__find_if7functorIS9_EEEE10hipError_tPvRmT1_T2_T3_mT4_P12ihipStream_tbEUlT_E0_NS1_11comp_targetILNS1_3genE3ELNS1_11target_archE908ELNS1_3gpuE7ELNS1_3repE0EEENS1_30default_config_static_selectorELNS0_4arch9wavefront6targetE0EEEvS16_
                                        ; -- End function
	.section	.AMDGPU.csdata,"",@progbits
; Kernel info:
; codeLenInByte = 0
; NumSgprs: 0
; NumVgprs: 0
; ScratchSize: 0
; MemoryBound: 0
; FloatMode: 240
; IeeeMode: 1
; LDSByteSize: 0 bytes/workgroup (compile time only)
; SGPRBlocks: 0
; VGPRBlocks: 0
; NumSGPRsForWavesPerEU: 1
; NumVGPRsForWavesPerEU: 1
; Occupancy: 16
; WaveLimiterHint : 0
; COMPUTE_PGM_RSRC2:SCRATCH_EN: 0
; COMPUTE_PGM_RSRC2:USER_SGPR: 15
; COMPUTE_PGM_RSRC2:TRAP_HANDLER: 0
; COMPUTE_PGM_RSRC2:TGID_X_EN: 1
; COMPUTE_PGM_RSRC2:TGID_Y_EN: 0
; COMPUTE_PGM_RSRC2:TGID_Z_EN: 0
; COMPUTE_PGM_RSRC2:TIDIG_COMP_CNT: 0
	.section	.text._ZN7rocprim17ROCPRIM_400000_NS6detail17trampoline_kernelINS0_14default_configENS1_22reduce_config_selectorIN6thrust23THRUST_200600_302600_NS5tupleIblNS6_9null_typeES8_S8_S8_S8_S8_S8_S8_EEEEZNS1_11reduce_implILb1ES3_NS6_12zip_iteratorINS7_INS6_11hip_rocprim26transform_input_iterator_tIbNSD_35transform_pair_of_input_iterators_tIbNS6_6detail15normal_iteratorINS6_10device_ptrIlEEEENS6_17counting_iteratorIlNS6_11use_defaultESM_SM_EENS6_8equal_toIlEEEENSG_9not_fun_tINSD_8identityEEEEENSD_19counting_iterator_tIlEES8_S8_S8_S8_S8_S8_S8_S8_EEEEPS9_S9_NSD_9__find_if7functorIS9_EEEE10hipError_tPvRmT1_T2_T3_mT4_P12ihipStream_tbEUlT_E0_NS1_11comp_targetILNS1_3genE2ELNS1_11target_archE906ELNS1_3gpuE6ELNS1_3repE0EEENS1_30default_config_static_selectorELNS0_4arch9wavefront6targetE0EEEvS16_,"axG",@progbits,_ZN7rocprim17ROCPRIM_400000_NS6detail17trampoline_kernelINS0_14default_configENS1_22reduce_config_selectorIN6thrust23THRUST_200600_302600_NS5tupleIblNS6_9null_typeES8_S8_S8_S8_S8_S8_S8_EEEEZNS1_11reduce_implILb1ES3_NS6_12zip_iteratorINS7_INS6_11hip_rocprim26transform_input_iterator_tIbNSD_35transform_pair_of_input_iterators_tIbNS6_6detail15normal_iteratorINS6_10device_ptrIlEEEENS6_17counting_iteratorIlNS6_11use_defaultESM_SM_EENS6_8equal_toIlEEEENSG_9not_fun_tINSD_8identityEEEEENSD_19counting_iterator_tIlEES8_S8_S8_S8_S8_S8_S8_S8_EEEEPS9_S9_NSD_9__find_if7functorIS9_EEEE10hipError_tPvRmT1_T2_T3_mT4_P12ihipStream_tbEUlT_E0_NS1_11comp_targetILNS1_3genE2ELNS1_11target_archE906ELNS1_3gpuE6ELNS1_3repE0EEENS1_30default_config_static_selectorELNS0_4arch9wavefront6targetE0EEEvS16_,comdat
	.protected	_ZN7rocprim17ROCPRIM_400000_NS6detail17trampoline_kernelINS0_14default_configENS1_22reduce_config_selectorIN6thrust23THRUST_200600_302600_NS5tupleIblNS6_9null_typeES8_S8_S8_S8_S8_S8_S8_EEEEZNS1_11reduce_implILb1ES3_NS6_12zip_iteratorINS7_INS6_11hip_rocprim26transform_input_iterator_tIbNSD_35transform_pair_of_input_iterators_tIbNS6_6detail15normal_iteratorINS6_10device_ptrIlEEEENS6_17counting_iteratorIlNS6_11use_defaultESM_SM_EENS6_8equal_toIlEEEENSG_9not_fun_tINSD_8identityEEEEENSD_19counting_iterator_tIlEES8_S8_S8_S8_S8_S8_S8_S8_EEEEPS9_S9_NSD_9__find_if7functorIS9_EEEE10hipError_tPvRmT1_T2_T3_mT4_P12ihipStream_tbEUlT_E0_NS1_11comp_targetILNS1_3genE2ELNS1_11target_archE906ELNS1_3gpuE6ELNS1_3repE0EEENS1_30default_config_static_selectorELNS0_4arch9wavefront6targetE0EEEvS16_ ; -- Begin function _ZN7rocprim17ROCPRIM_400000_NS6detail17trampoline_kernelINS0_14default_configENS1_22reduce_config_selectorIN6thrust23THRUST_200600_302600_NS5tupleIblNS6_9null_typeES8_S8_S8_S8_S8_S8_S8_EEEEZNS1_11reduce_implILb1ES3_NS6_12zip_iteratorINS7_INS6_11hip_rocprim26transform_input_iterator_tIbNSD_35transform_pair_of_input_iterators_tIbNS6_6detail15normal_iteratorINS6_10device_ptrIlEEEENS6_17counting_iteratorIlNS6_11use_defaultESM_SM_EENS6_8equal_toIlEEEENSG_9not_fun_tINSD_8identityEEEEENSD_19counting_iterator_tIlEES8_S8_S8_S8_S8_S8_S8_S8_EEEEPS9_S9_NSD_9__find_if7functorIS9_EEEE10hipError_tPvRmT1_T2_T3_mT4_P12ihipStream_tbEUlT_E0_NS1_11comp_targetILNS1_3genE2ELNS1_11target_archE906ELNS1_3gpuE6ELNS1_3repE0EEENS1_30default_config_static_selectorELNS0_4arch9wavefront6targetE0EEEvS16_
	.globl	_ZN7rocprim17ROCPRIM_400000_NS6detail17trampoline_kernelINS0_14default_configENS1_22reduce_config_selectorIN6thrust23THRUST_200600_302600_NS5tupleIblNS6_9null_typeES8_S8_S8_S8_S8_S8_S8_EEEEZNS1_11reduce_implILb1ES3_NS6_12zip_iteratorINS7_INS6_11hip_rocprim26transform_input_iterator_tIbNSD_35transform_pair_of_input_iterators_tIbNS6_6detail15normal_iteratorINS6_10device_ptrIlEEEENS6_17counting_iteratorIlNS6_11use_defaultESM_SM_EENS6_8equal_toIlEEEENSG_9not_fun_tINSD_8identityEEEEENSD_19counting_iterator_tIlEES8_S8_S8_S8_S8_S8_S8_S8_EEEEPS9_S9_NSD_9__find_if7functorIS9_EEEE10hipError_tPvRmT1_T2_T3_mT4_P12ihipStream_tbEUlT_E0_NS1_11comp_targetILNS1_3genE2ELNS1_11target_archE906ELNS1_3gpuE6ELNS1_3repE0EEENS1_30default_config_static_selectorELNS0_4arch9wavefront6targetE0EEEvS16_
	.p2align	8
	.type	_ZN7rocprim17ROCPRIM_400000_NS6detail17trampoline_kernelINS0_14default_configENS1_22reduce_config_selectorIN6thrust23THRUST_200600_302600_NS5tupleIblNS6_9null_typeES8_S8_S8_S8_S8_S8_S8_EEEEZNS1_11reduce_implILb1ES3_NS6_12zip_iteratorINS7_INS6_11hip_rocprim26transform_input_iterator_tIbNSD_35transform_pair_of_input_iterators_tIbNS6_6detail15normal_iteratorINS6_10device_ptrIlEEEENS6_17counting_iteratorIlNS6_11use_defaultESM_SM_EENS6_8equal_toIlEEEENSG_9not_fun_tINSD_8identityEEEEENSD_19counting_iterator_tIlEES8_S8_S8_S8_S8_S8_S8_S8_EEEEPS9_S9_NSD_9__find_if7functorIS9_EEEE10hipError_tPvRmT1_T2_T3_mT4_P12ihipStream_tbEUlT_E0_NS1_11comp_targetILNS1_3genE2ELNS1_11target_archE906ELNS1_3gpuE6ELNS1_3repE0EEENS1_30default_config_static_selectorELNS0_4arch9wavefront6targetE0EEEvS16_,@function
_ZN7rocprim17ROCPRIM_400000_NS6detail17trampoline_kernelINS0_14default_configENS1_22reduce_config_selectorIN6thrust23THRUST_200600_302600_NS5tupleIblNS6_9null_typeES8_S8_S8_S8_S8_S8_S8_EEEEZNS1_11reduce_implILb1ES3_NS6_12zip_iteratorINS7_INS6_11hip_rocprim26transform_input_iterator_tIbNSD_35transform_pair_of_input_iterators_tIbNS6_6detail15normal_iteratorINS6_10device_ptrIlEEEENS6_17counting_iteratorIlNS6_11use_defaultESM_SM_EENS6_8equal_toIlEEEENSG_9not_fun_tINSD_8identityEEEEENSD_19counting_iterator_tIlEES8_S8_S8_S8_S8_S8_S8_S8_EEEEPS9_S9_NSD_9__find_if7functorIS9_EEEE10hipError_tPvRmT1_T2_T3_mT4_P12ihipStream_tbEUlT_E0_NS1_11comp_targetILNS1_3genE2ELNS1_11target_archE906ELNS1_3gpuE6ELNS1_3repE0EEENS1_30default_config_static_selectorELNS0_4arch9wavefront6targetE0EEEvS16_: ; @_ZN7rocprim17ROCPRIM_400000_NS6detail17trampoline_kernelINS0_14default_configENS1_22reduce_config_selectorIN6thrust23THRUST_200600_302600_NS5tupleIblNS6_9null_typeES8_S8_S8_S8_S8_S8_S8_EEEEZNS1_11reduce_implILb1ES3_NS6_12zip_iteratorINS7_INS6_11hip_rocprim26transform_input_iterator_tIbNSD_35transform_pair_of_input_iterators_tIbNS6_6detail15normal_iteratorINS6_10device_ptrIlEEEENS6_17counting_iteratorIlNS6_11use_defaultESM_SM_EENS6_8equal_toIlEEEENSG_9not_fun_tINSD_8identityEEEEENSD_19counting_iterator_tIlEES8_S8_S8_S8_S8_S8_S8_S8_EEEEPS9_S9_NSD_9__find_if7functorIS9_EEEE10hipError_tPvRmT1_T2_T3_mT4_P12ihipStream_tbEUlT_E0_NS1_11comp_targetILNS1_3genE2ELNS1_11target_archE906ELNS1_3gpuE6ELNS1_3repE0EEENS1_30default_config_static_selectorELNS0_4arch9wavefront6targetE0EEEvS16_
; %bb.0:
	.section	.rodata,"a",@progbits
	.p2align	6, 0x0
	.amdhsa_kernel _ZN7rocprim17ROCPRIM_400000_NS6detail17trampoline_kernelINS0_14default_configENS1_22reduce_config_selectorIN6thrust23THRUST_200600_302600_NS5tupleIblNS6_9null_typeES8_S8_S8_S8_S8_S8_S8_EEEEZNS1_11reduce_implILb1ES3_NS6_12zip_iteratorINS7_INS6_11hip_rocprim26transform_input_iterator_tIbNSD_35transform_pair_of_input_iterators_tIbNS6_6detail15normal_iteratorINS6_10device_ptrIlEEEENS6_17counting_iteratorIlNS6_11use_defaultESM_SM_EENS6_8equal_toIlEEEENSG_9not_fun_tINSD_8identityEEEEENSD_19counting_iterator_tIlEES8_S8_S8_S8_S8_S8_S8_S8_EEEEPS9_S9_NSD_9__find_if7functorIS9_EEEE10hipError_tPvRmT1_T2_T3_mT4_P12ihipStream_tbEUlT_E0_NS1_11comp_targetILNS1_3genE2ELNS1_11target_archE906ELNS1_3gpuE6ELNS1_3repE0EEENS1_30default_config_static_selectorELNS0_4arch9wavefront6targetE0EEEvS16_
		.amdhsa_group_segment_fixed_size 0
		.amdhsa_private_segment_fixed_size 0
		.amdhsa_kernarg_size 104
		.amdhsa_user_sgpr_count 15
		.amdhsa_user_sgpr_dispatch_ptr 0
		.amdhsa_user_sgpr_queue_ptr 0
		.amdhsa_user_sgpr_kernarg_segment_ptr 1
		.amdhsa_user_sgpr_dispatch_id 0
		.amdhsa_user_sgpr_private_segment_size 0
		.amdhsa_wavefront_size32 1
		.amdhsa_uses_dynamic_stack 0
		.amdhsa_enable_private_segment 0
		.amdhsa_system_sgpr_workgroup_id_x 1
		.amdhsa_system_sgpr_workgroup_id_y 0
		.amdhsa_system_sgpr_workgroup_id_z 0
		.amdhsa_system_sgpr_workgroup_info 0
		.amdhsa_system_vgpr_workitem_id 0
		.amdhsa_next_free_vgpr 1
		.amdhsa_next_free_sgpr 1
		.amdhsa_reserve_vcc 0
		.amdhsa_float_round_mode_32 0
		.amdhsa_float_round_mode_16_64 0
		.amdhsa_float_denorm_mode_32 3
		.amdhsa_float_denorm_mode_16_64 3
		.amdhsa_dx10_clamp 1
		.amdhsa_ieee_mode 1
		.amdhsa_fp16_overflow 0
		.amdhsa_workgroup_processor_mode 1
		.amdhsa_memory_ordered 1
		.amdhsa_forward_progress 0
		.amdhsa_shared_vgpr_count 0
		.amdhsa_exception_fp_ieee_invalid_op 0
		.amdhsa_exception_fp_denorm_src 0
		.amdhsa_exception_fp_ieee_div_zero 0
		.amdhsa_exception_fp_ieee_overflow 0
		.amdhsa_exception_fp_ieee_underflow 0
		.amdhsa_exception_fp_ieee_inexact 0
		.amdhsa_exception_int_div_zero 0
	.end_amdhsa_kernel
	.section	.text._ZN7rocprim17ROCPRIM_400000_NS6detail17trampoline_kernelINS0_14default_configENS1_22reduce_config_selectorIN6thrust23THRUST_200600_302600_NS5tupleIblNS6_9null_typeES8_S8_S8_S8_S8_S8_S8_EEEEZNS1_11reduce_implILb1ES3_NS6_12zip_iteratorINS7_INS6_11hip_rocprim26transform_input_iterator_tIbNSD_35transform_pair_of_input_iterators_tIbNS6_6detail15normal_iteratorINS6_10device_ptrIlEEEENS6_17counting_iteratorIlNS6_11use_defaultESM_SM_EENS6_8equal_toIlEEEENSG_9not_fun_tINSD_8identityEEEEENSD_19counting_iterator_tIlEES8_S8_S8_S8_S8_S8_S8_S8_EEEEPS9_S9_NSD_9__find_if7functorIS9_EEEE10hipError_tPvRmT1_T2_T3_mT4_P12ihipStream_tbEUlT_E0_NS1_11comp_targetILNS1_3genE2ELNS1_11target_archE906ELNS1_3gpuE6ELNS1_3repE0EEENS1_30default_config_static_selectorELNS0_4arch9wavefront6targetE0EEEvS16_,"axG",@progbits,_ZN7rocprim17ROCPRIM_400000_NS6detail17trampoline_kernelINS0_14default_configENS1_22reduce_config_selectorIN6thrust23THRUST_200600_302600_NS5tupleIblNS6_9null_typeES8_S8_S8_S8_S8_S8_S8_EEEEZNS1_11reduce_implILb1ES3_NS6_12zip_iteratorINS7_INS6_11hip_rocprim26transform_input_iterator_tIbNSD_35transform_pair_of_input_iterators_tIbNS6_6detail15normal_iteratorINS6_10device_ptrIlEEEENS6_17counting_iteratorIlNS6_11use_defaultESM_SM_EENS6_8equal_toIlEEEENSG_9not_fun_tINSD_8identityEEEEENSD_19counting_iterator_tIlEES8_S8_S8_S8_S8_S8_S8_S8_EEEEPS9_S9_NSD_9__find_if7functorIS9_EEEE10hipError_tPvRmT1_T2_T3_mT4_P12ihipStream_tbEUlT_E0_NS1_11comp_targetILNS1_3genE2ELNS1_11target_archE906ELNS1_3gpuE6ELNS1_3repE0EEENS1_30default_config_static_selectorELNS0_4arch9wavefront6targetE0EEEvS16_,comdat
.Lfunc_end1193:
	.size	_ZN7rocprim17ROCPRIM_400000_NS6detail17trampoline_kernelINS0_14default_configENS1_22reduce_config_selectorIN6thrust23THRUST_200600_302600_NS5tupleIblNS6_9null_typeES8_S8_S8_S8_S8_S8_S8_EEEEZNS1_11reduce_implILb1ES3_NS6_12zip_iteratorINS7_INS6_11hip_rocprim26transform_input_iterator_tIbNSD_35transform_pair_of_input_iterators_tIbNS6_6detail15normal_iteratorINS6_10device_ptrIlEEEENS6_17counting_iteratorIlNS6_11use_defaultESM_SM_EENS6_8equal_toIlEEEENSG_9not_fun_tINSD_8identityEEEEENSD_19counting_iterator_tIlEES8_S8_S8_S8_S8_S8_S8_S8_EEEEPS9_S9_NSD_9__find_if7functorIS9_EEEE10hipError_tPvRmT1_T2_T3_mT4_P12ihipStream_tbEUlT_E0_NS1_11comp_targetILNS1_3genE2ELNS1_11target_archE906ELNS1_3gpuE6ELNS1_3repE0EEENS1_30default_config_static_selectorELNS0_4arch9wavefront6targetE0EEEvS16_, .Lfunc_end1193-_ZN7rocprim17ROCPRIM_400000_NS6detail17trampoline_kernelINS0_14default_configENS1_22reduce_config_selectorIN6thrust23THRUST_200600_302600_NS5tupleIblNS6_9null_typeES8_S8_S8_S8_S8_S8_S8_EEEEZNS1_11reduce_implILb1ES3_NS6_12zip_iteratorINS7_INS6_11hip_rocprim26transform_input_iterator_tIbNSD_35transform_pair_of_input_iterators_tIbNS6_6detail15normal_iteratorINS6_10device_ptrIlEEEENS6_17counting_iteratorIlNS6_11use_defaultESM_SM_EENS6_8equal_toIlEEEENSG_9not_fun_tINSD_8identityEEEEENSD_19counting_iterator_tIlEES8_S8_S8_S8_S8_S8_S8_S8_EEEEPS9_S9_NSD_9__find_if7functorIS9_EEEE10hipError_tPvRmT1_T2_T3_mT4_P12ihipStream_tbEUlT_E0_NS1_11comp_targetILNS1_3genE2ELNS1_11target_archE906ELNS1_3gpuE6ELNS1_3repE0EEENS1_30default_config_static_selectorELNS0_4arch9wavefront6targetE0EEEvS16_
                                        ; -- End function
	.section	.AMDGPU.csdata,"",@progbits
; Kernel info:
; codeLenInByte = 0
; NumSgprs: 0
; NumVgprs: 0
; ScratchSize: 0
; MemoryBound: 0
; FloatMode: 240
; IeeeMode: 1
; LDSByteSize: 0 bytes/workgroup (compile time only)
; SGPRBlocks: 0
; VGPRBlocks: 0
; NumSGPRsForWavesPerEU: 1
; NumVGPRsForWavesPerEU: 1
; Occupancy: 16
; WaveLimiterHint : 0
; COMPUTE_PGM_RSRC2:SCRATCH_EN: 0
; COMPUTE_PGM_RSRC2:USER_SGPR: 15
; COMPUTE_PGM_RSRC2:TRAP_HANDLER: 0
; COMPUTE_PGM_RSRC2:TGID_X_EN: 1
; COMPUTE_PGM_RSRC2:TGID_Y_EN: 0
; COMPUTE_PGM_RSRC2:TGID_Z_EN: 0
; COMPUTE_PGM_RSRC2:TIDIG_COMP_CNT: 0
	.section	.text._ZN7rocprim17ROCPRIM_400000_NS6detail17trampoline_kernelINS0_14default_configENS1_22reduce_config_selectorIN6thrust23THRUST_200600_302600_NS5tupleIblNS6_9null_typeES8_S8_S8_S8_S8_S8_S8_EEEEZNS1_11reduce_implILb1ES3_NS6_12zip_iteratorINS7_INS6_11hip_rocprim26transform_input_iterator_tIbNSD_35transform_pair_of_input_iterators_tIbNS6_6detail15normal_iteratorINS6_10device_ptrIlEEEENS6_17counting_iteratorIlNS6_11use_defaultESM_SM_EENS6_8equal_toIlEEEENSG_9not_fun_tINSD_8identityEEEEENSD_19counting_iterator_tIlEES8_S8_S8_S8_S8_S8_S8_S8_EEEEPS9_S9_NSD_9__find_if7functorIS9_EEEE10hipError_tPvRmT1_T2_T3_mT4_P12ihipStream_tbEUlT_E0_NS1_11comp_targetILNS1_3genE10ELNS1_11target_archE1201ELNS1_3gpuE5ELNS1_3repE0EEENS1_30default_config_static_selectorELNS0_4arch9wavefront6targetE0EEEvS16_,"axG",@progbits,_ZN7rocprim17ROCPRIM_400000_NS6detail17trampoline_kernelINS0_14default_configENS1_22reduce_config_selectorIN6thrust23THRUST_200600_302600_NS5tupleIblNS6_9null_typeES8_S8_S8_S8_S8_S8_S8_EEEEZNS1_11reduce_implILb1ES3_NS6_12zip_iteratorINS7_INS6_11hip_rocprim26transform_input_iterator_tIbNSD_35transform_pair_of_input_iterators_tIbNS6_6detail15normal_iteratorINS6_10device_ptrIlEEEENS6_17counting_iteratorIlNS6_11use_defaultESM_SM_EENS6_8equal_toIlEEEENSG_9not_fun_tINSD_8identityEEEEENSD_19counting_iterator_tIlEES8_S8_S8_S8_S8_S8_S8_S8_EEEEPS9_S9_NSD_9__find_if7functorIS9_EEEE10hipError_tPvRmT1_T2_T3_mT4_P12ihipStream_tbEUlT_E0_NS1_11comp_targetILNS1_3genE10ELNS1_11target_archE1201ELNS1_3gpuE5ELNS1_3repE0EEENS1_30default_config_static_selectorELNS0_4arch9wavefront6targetE0EEEvS16_,comdat
	.protected	_ZN7rocprim17ROCPRIM_400000_NS6detail17trampoline_kernelINS0_14default_configENS1_22reduce_config_selectorIN6thrust23THRUST_200600_302600_NS5tupleIblNS6_9null_typeES8_S8_S8_S8_S8_S8_S8_EEEEZNS1_11reduce_implILb1ES3_NS6_12zip_iteratorINS7_INS6_11hip_rocprim26transform_input_iterator_tIbNSD_35transform_pair_of_input_iterators_tIbNS6_6detail15normal_iteratorINS6_10device_ptrIlEEEENS6_17counting_iteratorIlNS6_11use_defaultESM_SM_EENS6_8equal_toIlEEEENSG_9not_fun_tINSD_8identityEEEEENSD_19counting_iterator_tIlEES8_S8_S8_S8_S8_S8_S8_S8_EEEEPS9_S9_NSD_9__find_if7functorIS9_EEEE10hipError_tPvRmT1_T2_T3_mT4_P12ihipStream_tbEUlT_E0_NS1_11comp_targetILNS1_3genE10ELNS1_11target_archE1201ELNS1_3gpuE5ELNS1_3repE0EEENS1_30default_config_static_selectorELNS0_4arch9wavefront6targetE0EEEvS16_ ; -- Begin function _ZN7rocprim17ROCPRIM_400000_NS6detail17trampoline_kernelINS0_14default_configENS1_22reduce_config_selectorIN6thrust23THRUST_200600_302600_NS5tupleIblNS6_9null_typeES8_S8_S8_S8_S8_S8_S8_EEEEZNS1_11reduce_implILb1ES3_NS6_12zip_iteratorINS7_INS6_11hip_rocprim26transform_input_iterator_tIbNSD_35transform_pair_of_input_iterators_tIbNS6_6detail15normal_iteratorINS6_10device_ptrIlEEEENS6_17counting_iteratorIlNS6_11use_defaultESM_SM_EENS6_8equal_toIlEEEENSG_9not_fun_tINSD_8identityEEEEENSD_19counting_iterator_tIlEES8_S8_S8_S8_S8_S8_S8_S8_EEEEPS9_S9_NSD_9__find_if7functorIS9_EEEE10hipError_tPvRmT1_T2_T3_mT4_P12ihipStream_tbEUlT_E0_NS1_11comp_targetILNS1_3genE10ELNS1_11target_archE1201ELNS1_3gpuE5ELNS1_3repE0EEENS1_30default_config_static_selectorELNS0_4arch9wavefront6targetE0EEEvS16_
	.globl	_ZN7rocprim17ROCPRIM_400000_NS6detail17trampoline_kernelINS0_14default_configENS1_22reduce_config_selectorIN6thrust23THRUST_200600_302600_NS5tupleIblNS6_9null_typeES8_S8_S8_S8_S8_S8_S8_EEEEZNS1_11reduce_implILb1ES3_NS6_12zip_iteratorINS7_INS6_11hip_rocprim26transform_input_iterator_tIbNSD_35transform_pair_of_input_iterators_tIbNS6_6detail15normal_iteratorINS6_10device_ptrIlEEEENS6_17counting_iteratorIlNS6_11use_defaultESM_SM_EENS6_8equal_toIlEEEENSG_9not_fun_tINSD_8identityEEEEENSD_19counting_iterator_tIlEES8_S8_S8_S8_S8_S8_S8_S8_EEEEPS9_S9_NSD_9__find_if7functorIS9_EEEE10hipError_tPvRmT1_T2_T3_mT4_P12ihipStream_tbEUlT_E0_NS1_11comp_targetILNS1_3genE10ELNS1_11target_archE1201ELNS1_3gpuE5ELNS1_3repE0EEENS1_30default_config_static_selectorELNS0_4arch9wavefront6targetE0EEEvS16_
	.p2align	8
	.type	_ZN7rocprim17ROCPRIM_400000_NS6detail17trampoline_kernelINS0_14default_configENS1_22reduce_config_selectorIN6thrust23THRUST_200600_302600_NS5tupleIblNS6_9null_typeES8_S8_S8_S8_S8_S8_S8_EEEEZNS1_11reduce_implILb1ES3_NS6_12zip_iteratorINS7_INS6_11hip_rocprim26transform_input_iterator_tIbNSD_35transform_pair_of_input_iterators_tIbNS6_6detail15normal_iteratorINS6_10device_ptrIlEEEENS6_17counting_iteratorIlNS6_11use_defaultESM_SM_EENS6_8equal_toIlEEEENSG_9not_fun_tINSD_8identityEEEEENSD_19counting_iterator_tIlEES8_S8_S8_S8_S8_S8_S8_S8_EEEEPS9_S9_NSD_9__find_if7functorIS9_EEEE10hipError_tPvRmT1_T2_T3_mT4_P12ihipStream_tbEUlT_E0_NS1_11comp_targetILNS1_3genE10ELNS1_11target_archE1201ELNS1_3gpuE5ELNS1_3repE0EEENS1_30default_config_static_selectorELNS0_4arch9wavefront6targetE0EEEvS16_,@function
_ZN7rocprim17ROCPRIM_400000_NS6detail17trampoline_kernelINS0_14default_configENS1_22reduce_config_selectorIN6thrust23THRUST_200600_302600_NS5tupleIblNS6_9null_typeES8_S8_S8_S8_S8_S8_S8_EEEEZNS1_11reduce_implILb1ES3_NS6_12zip_iteratorINS7_INS6_11hip_rocprim26transform_input_iterator_tIbNSD_35transform_pair_of_input_iterators_tIbNS6_6detail15normal_iteratorINS6_10device_ptrIlEEEENS6_17counting_iteratorIlNS6_11use_defaultESM_SM_EENS6_8equal_toIlEEEENSG_9not_fun_tINSD_8identityEEEEENSD_19counting_iterator_tIlEES8_S8_S8_S8_S8_S8_S8_S8_EEEEPS9_S9_NSD_9__find_if7functorIS9_EEEE10hipError_tPvRmT1_T2_T3_mT4_P12ihipStream_tbEUlT_E0_NS1_11comp_targetILNS1_3genE10ELNS1_11target_archE1201ELNS1_3gpuE5ELNS1_3repE0EEENS1_30default_config_static_selectorELNS0_4arch9wavefront6targetE0EEEvS16_: ; @_ZN7rocprim17ROCPRIM_400000_NS6detail17trampoline_kernelINS0_14default_configENS1_22reduce_config_selectorIN6thrust23THRUST_200600_302600_NS5tupleIblNS6_9null_typeES8_S8_S8_S8_S8_S8_S8_EEEEZNS1_11reduce_implILb1ES3_NS6_12zip_iteratorINS7_INS6_11hip_rocprim26transform_input_iterator_tIbNSD_35transform_pair_of_input_iterators_tIbNS6_6detail15normal_iteratorINS6_10device_ptrIlEEEENS6_17counting_iteratorIlNS6_11use_defaultESM_SM_EENS6_8equal_toIlEEEENSG_9not_fun_tINSD_8identityEEEEENSD_19counting_iterator_tIlEES8_S8_S8_S8_S8_S8_S8_S8_EEEEPS9_S9_NSD_9__find_if7functorIS9_EEEE10hipError_tPvRmT1_T2_T3_mT4_P12ihipStream_tbEUlT_E0_NS1_11comp_targetILNS1_3genE10ELNS1_11target_archE1201ELNS1_3gpuE5ELNS1_3repE0EEENS1_30default_config_static_selectorELNS0_4arch9wavefront6targetE0EEEvS16_
; %bb.0:
	.section	.rodata,"a",@progbits
	.p2align	6, 0x0
	.amdhsa_kernel _ZN7rocprim17ROCPRIM_400000_NS6detail17trampoline_kernelINS0_14default_configENS1_22reduce_config_selectorIN6thrust23THRUST_200600_302600_NS5tupleIblNS6_9null_typeES8_S8_S8_S8_S8_S8_S8_EEEEZNS1_11reduce_implILb1ES3_NS6_12zip_iteratorINS7_INS6_11hip_rocprim26transform_input_iterator_tIbNSD_35transform_pair_of_input_iterators_tIbNS6_6detail15normal_iteratorINS6_10device_ptrIlEEEENS6_17counting_iteratorIlNS6_11use_defaultESM_SM_EENS6_8equal_toIlEEEENSG_9not_fun_tINSD_8identityEEEEENSD_19counting_iterator_tIlEES8_S8_S8_S8_S8_S8_S8_S8_EEEEPS9_S9_NSD_9__find_if7functorIS9_EEEE10hipError_tPvRmT1_T2_T3_mT4_P12ihipStream_tbEUlT_E0_NS1_11comp_targetILNS1_3genE10ELNS1_11target_archE1201ELNS1_3gpuE5ELNS1_3repE0EEENS1_30default_config_static_selectorELNS0_4arch9wavefront6targetE0EEEvS16_
		.amdhsa_group_segment_fixed_size 0
		.amdhsa_private_segment_fixed_size 0
		.amdhsa_kernarg_size 104
		.amdhsa_user_sgpr_count 15
		.amdhsa_user_sgpr_dispatch_ptr 0
		.amdhsa_user_sgpr_queue_ptr 0
		.amdhsa_user_sgpr_kernarg_segment_ptr 1
		.amdhsa_user_sgpr_dispatch_id 0
		.amdhsa_user_sgpr_private_segment_size 0
		.amdhsa_wavefront_size32 1
		.amdhsa_uses_dynamic_stack 0
		.amdhsa_enable_private_segment 0
		.amdhsa_system_sgpr_workgroup_id_x 1
		.amdhsa_system_sgpr_workgroup_id_y 0
		.amdhsa_system_sgpr_workgroup_id_z 0
		.amdhsa_system_sgpr_workgroup_info 0
		.amdhsa_system_vgpr_workitem_id 0
		.amdhsa_next_free_vgpr 1
		.amdhsa_next_free_sgpr 1
		.amdhsa_reserve_vcc 0
		.amdhsa_float_round_mode_32 0
		.amdhsa_float_round_mode_16_64 0
		.amdhsa_float_denorm_mode_32 3
		.amdhsa_float_denorm_mode_16_64 3
		.amdhsa_dx10_clamp 1
		.amdhsa_ieee_mode 1
		.amdhsa_fp16_overflow 0
		.amdhsa_workgroup_processor_mode 1
		.amdhsa_memory_ordered 1
		.amdhsa_forward_progress 0
		.amdhsa_shared_vgpr_count 0
		.amdhsa_exception_fp_ieee_invalid_op 0
		.amdhsa_exception_fp_denorm_src 0
		.amdhsa_exception_fp_ieee_div_zero 0
		.amdhsa_exception_fp_ieee_overflow 0
		.amdhsa_exception_fp_ieee_underflow 0
		.amdhsa_exception_fp_ieee_inexact 0
		.amdhsa_exception_int_div_zero 0
	.end_amdhsa_kernel
	.section	.text._ZN7rocprim17ROCPRIM_400000_NS6detail17trampoline_kernelINS0_14default_configENS1_22reduce_config_selectorIN6thrust23THRUST_200600_302600_NS5tupleIblNS6_9null_typeES8_S8_S8_S8_S8_S8_S8_EEEEZNS1_11reduce_implILb1ES3_NS6_12zip_iteratorINS7_INS6_11hip_rocprim26transform_input_iterator_tIbNSD_35transform_pair_of_input_iterators_tIbNS6_6detail15normal_iteratorINS6_10device_ptrIlEEEENS6_17counting_iteratorIlNS6_11use_defaultESM_SM_EENS6_8equal_toIlEEEENSG_9not_fun_tINSD_8identityEEEEENSD_19counting_iterator_tIlEES8_S8_S8_S8_S8_S8_S8_S8_EEEEPS9_S9_NSD_9__find_if7functorIS9_EEEE10hipError_tPvRmT1_T2_T3_mT4_P12ihipStream_tbEUlT_E0_NS1_11comp_targetILNS1_3genE10ELNS1_11target_archE1201ELNS1_3gpuE5ELNS1_3repE0EEENS1_30default_config_static_selectorELNS0_4arch9wavefront6targetE0EEEvS16_,"axG",@progbits,_ZN7rocprim17ROCPRIM_400000_NS6detail17trampoline_kernelINS0_14default_configENS1_22reduce_config_selectorIN6thrust23THRUST_200600_302600_NS5tupleIblNS6_9null_typeES8_S8_S8_S8_S8_S8_S8_EEEEZNS1_11reduce_implILb1ES3_NS6_12zip_iteratorINS7_INS6_11hip_rocprim26transform_input_iterator_tIbNSD_35transform_pair_of_input_iterators_tIbNS6_6detail15normal_iteratorINS6_10device_ptrIlEEEENS6_17counting_iteratorIlNS6_11use_defaultESM_SM_EENS6_8equal_toIlEEEENSG_9not_fun_tINSD_8identityEEEEENSD_19counting_iterator_tIlEES8_S8_S8_S8_S8_S8_S8_S8_EEEEPS9_S9_NSD_9__find_if7functorIS9_EEEE10hipError_tPvRmT1_T2_T3_mT4_P12ihipStream_tbEUlT_E0_NS1_11comp_targetILNS1_3genE10ELNS1_11target_archE1201ELNS1_3gpuE5ELNS1_3repE0EEENS1_30default_config_static_selectorELNS0_4arch9wavefront6targetE0EEEvS16_,comdat
.Lfunc_end1194:
	.size	_ZN7rocprim17ROCPRIM_400000_NS6detail17trampoline_kernelINS0_14default_configENS1_22reduce_config_selectorIN6thrust23THRUST_200600_302600_NS5tupleIblNS6_9null_typeES8_S8_S8_S8_S8_S8_S8_EEEEZNS1_11reduce_implILb1ES3_NS6_12zip_iteratorINS7_INS6_11hip_rocprim26transform_input_iterator_tIbNSD_35transform_pair_of_input_iterators_tIbNS6_6detail15normal_iteratorINS6_10device_ptrIlEEEENS6_17counting_iteratorIlNS6_11use_defaultESM_SM_EENS6_8equal_toIlEEEENSG_9not_fun_tINSD_8identityEEEEENSD_19counting_iterator_tIlEES8_S8_S8_S8_S8_S8_S8_S8_EEEEPS9_S9_NSD_9__find_if7functorIS9_EEEE10hipError_tPvRmT1_T2_T3_mT4_P12ihipStream_tbEUlT_E0_NS1_11comp_targetILNS1_3genE10ELNS1_11target_archE1201ELNS1_3gpuE5ELNS1_3repE0EEENS1_30default_config_static_selectorELNS0_4arch9wavefront6targetE0EEEvS16_, .Lfunc_end1194-_ZN7rocprim17ROCPRIM_400000_NS6detail17trampoline_kernelINS0_14default_configENS1_22reduce_config_selectorIN6thrust23THRUST_200600_302600_NS5tupleIblNS6_9null_typeES8_S8_S8_S8_S8_S8_S8_EEEEZNS1_11reduce_implILb1ES3_NS6_12zip_iteratorINS7_INS6_11hip_rocprim26transform_input_iterator_tIbNSD_35transform_pair_of_input_iterators_tIbNS6_6detail15normal_iteratorINS6_10device_ptrIlEEEENS6_17counting_iteratorIlNS6_11use_defaultESM_SM_EENS6_8equal_toIlEEEENSG_9not_fun_tINSD_8identityEEEEENSD_19counting_iterator_tIlEES8_S8_S8_S8_S8_S8_S8_S8_EEEEPS9_S9_NSD_9__find_if7functorIS9_EEEE10hipError_tPvRmT1_T2_T3_mT4_P12ihipStream_tbEUlT_E0_NS1_11comp_targetILNS1_3genE10ELNS1_11target_archE1201ELNS1_3gpuE5ELNS1_3repE0EEENS1_30default_config_static_selectorELNS0_4arch9wavefront6targetE0EEEvS16_
                                        ; -- End function
	.section	.AMDGPU.csdata,"",@progbits
; Kernel info:
; codeLenInByte = 0
; NumSgprs: 0
; NumVgprs: 0
; ScratchSize: 0
; MemoryBound: 0
; FloatMode: 240
; IeeeMode: 1
; LDSByteSize: 0 bytes/workgroup (compile time only)
; SGPRBlocks: 0
; VGPRBlocks: 0
; NumSGPRsForWavesPerEU: 1
; NumVGPRsForWavesPerEU: 1
; Occupancy: 16
; WaveLimiterHint : 0
; COMPUTE_PGM_RSRC2:SCRATCH_EN: 0
; COMPUTE_PGM_RSRC2:USER_SGPR: 15
; COMPUTE_PGM_RSRC2:TRAP_HANDLER: 0
; COMPUTE_PGM_RSRC2:TGID_X_EN: 1
; COMPUTE_PGM_RSRC2:TGID_Y_EN: 0
; COMPUTE_PGM_RSRC2:TGID_Z_EN: 0
; COMPUTE_PGM_RSRC2:TIDIG_COMP_CNT: 0
	.section	.text._ZN7rocprim17ROCPRIM_400000_NS6detail17trampoline_kernelINS0_14default_configENS1_22reduce_config_selectorIN6thrust23THRUST_200600_302600_NS5tupleIblNS6_9null_typeES8_S8_S8_S8_S8_S8_S8_EEEEZNS1_11reduce_implILb1ES3_NS6_12zip_iteratorINS7_INS6_11hip_rocprim26transform_input_iterator_tIbNSD_35transform_pair_of_input_iterators_tIbNS6_6detail15normal_iteratorINS6_10device_ptrIlEEEENS6_17counting_iteratorIlNS6_11use_defaultESM_SM_EENS6_8equal_toIlEEEENSG_9not_fun_tINSD_8identityEEEEENSD_19counting_iterator_tIlEES8_S8_S8_S8_S8_S8_S8_S8_EEEEPS9_S9_NSD_9__find_if7functorIS9_EEEE10hipError_tPvRmT1_T2_T3_mT4_P12ihipStream_tbEUlT_E0_NS1_11comp_targetILNS1_3genE10ELNS1_11target_archE1200ELNS1_3gpuE4ELNS1_3repE0EEENS1_30default_config_static_selectorELNS0_4arch9wavefront6targetE0EEEvS16_,"axG",@progbits,_ZN7rocprim17ROCPRIM_400000_NS6detail17trampoline_kernelINS0_14default_configENS1_22reduce_config_selectorIN6thrust23THRUST_200600_302600_NS5tupleIblNS6_9null_typeES8_S8_S8_S8_S8_S8_S8_EEEEZNS1_11reduce_implILb1ES3_NS6_12zip_iteratorINS7_INS6_11hip_rocprim26transform_input_iterator_tIbNSD_35transform_pair_of_input_iterators_tIbNS6_6detail15normal_iteratorINS6_10device_ptrIlEEEENS6_17counting_iteratorIlNS6_11use_defaultESM_SM_EENS6_8equal_toIlEEEENSG_9not_fun_tINSD_8identityEEEEENSD_19counting_iterator_tIlEES8_S8_S8_S8_S8_S8_S8_S8_EEEEPS9_S9_NSD_9__find_if7functorIS9_EEEE10hipError_tPvRmT1_T2_T3_mT4_P12ihipStream_tbEUlT_E0_NS1_11comp_targetILNS1_3genE10ELNS1_11target_archE1200ELNS1_3gpuE4ELNS1_3repE0EEENS1_30default_config_static_selectorELNS0_4arch9wavefront6targetE0EEEvS16_,comdat
	.protected	_ZN7rocprim17ROCPRIM_400000_NS6detail17trampoline_kernelINS0_14default_configENS1_22reduce_config_selectorIN6thrust23THRUST_200600_302600_NS5tupleIblNS6_9null_typeES8_S8_S8_S8_S8_S8_S8_EEEEZNS1_11reduce_implILb1ES3_NS6_12zip_iteratorINS7_INS6_11hip_rocprim26transform_input_iterator_tIbNSD_35transform_pair_of_input_iterators_tIbNS6_6detail15normal_iteratorINS6_10device_ptrIlEEEENS6_17counting_iteratorIlNS6_11use_defaultESM_SM_EENS6_8equal_toIlEEEENSG_9not_fun_tINSD_8identityEEEEENSD_19counting_iterator_tIlEES8_S8_S8_S8_S8_S8_S8_S8_EEEEPS9_S9_NSD_9__find_if7functorIS9_EEEE10hipError_tPvRmT1_T2_T3_mT4_P12ihipStream_tbEUlT_E0_NS1_11comp_targetILNS1_3genE10ELNS1_11target_archE1200ELNS1_3gpuE4ELNS1_3repE0EEENS1_30default_config_static_selectorELNS0_4arch9wavefront6targetE0EEEvS16_ ; -- Begin function _ZN7rocprim17ROCPRIM_400000_NS6detail17trampoline_kernelINS0_14default_configENS1_22reduce_config_selectorIN6thrust23THRUST_200600_302600_NS5tupleIblNS6_9null_typeES8_S8_S8_S8_S8_S8_S8_EEEEZNS1_11reduce_implILb1ES3_NS6_12zip_iteratorINS7_INS6_11hip_rocprim26transform_input_iterator_tIbNSD_35transform_pair_of_input_iterators_tIbNS6_6detail15normal_iteratorINS6_10device_ptrIlEEEENS6_17counting_iteratorIlNS6_11use_defaultESM_SM_EENS6_8equal_toIlEEEENSG_9not_fun_tINSD_8identityEEEEENSD_19counting_iterator_tIlEES8_S8_S8_S8_S8_S8_S8_S8_EEEEPS9_S9_NSD_9__find_if7functorIS9_EEEE10hipError_tPvRmT1_T2_T3_mT4_P12ihipStream_tbEUlT_E0_NS1_11comp_targetILNS1_3genE10ELNS1_11target_archE1200ELNS1_3gpuE4ELNS1_3repE0EEENS1_30default_config_static_selectorELNS0_4arch9wavefront6targetE0EEEvS16_
	.globl	_ZN7rocprim17ROCPRIM_400000_NS6detail17trampoline_kernelINS0_14default_configENS1_22reduce_config_selectorIN6thrust23THRUST_200600_302600_NS5tupleIblNS6_9null_typeES8_S8_S8_S8_S8_S8_S8_EEEEZNS1_11reduce_implILb1ES3_NS6_12zip_iteratorINS7_INS6_11hip_rocprim26transform_input_iterator_tIbNSD_35transform_pair_of_input_iterators_tIbNS6_6detail15normal_iteratorINS6_10device_ptrIlEEEENS6_17counting_iteratorIlNS6_11use_defaultESM_SM_EENS6_8equal_toIlEEEENSG_9not_fun_tINSD_8identityEEEEENSD_19counting_iterator_tIlEES8_S8_S8_S8_S8_S8_S8_S8_EEEEPS9_S9_NSD_9__find_if7functorIS9_EEEE10hipError_tPvRmT1_T2_T3_mT4_P12ihipStream_tbEUlT_E0_NS1_11comp_targetILNS1_3genE10ELNS1_11target_archE1200ELNS1_3gpuE4ELNS1_3repE0EEENS1_30default_config_static_selectorELNS0_4arch9wavefront6targetE0EEEvS16_
	.p2align	8
	.type	_ZN7rocprim17ROCPRIM_400000_NS6detail17trampoline_kernelINS0_14default_configENS1_22reduce_config_selectorIN6thrust23THRUST_200600_302600_NS5tupleIblNS6_9null_typeES8_S8_S8_S8_S8_S8_S8_EEEEZNS1_11reduce_implILb1ES3_NS6_12zip_iteratorINS7_INS6_11hip_rocprim26transform_input_iterator_tIbNSD_35transform_pair_of_input_iterators_tIbNS6_6detail15normal_iteratorINS6_10device_ptrIlEEEENS6_17counting_iteratorIlNS6_11use_defaultESM_SM_EENS6_8equal_toIlEEEENSG_9not_fun_tINSD_8identityEEEEENSD_19counting_iterator_tIlEES8_S8_S8_S8_S8_S8_S8_S8_EEEEPS9_S9_NSD_9__find_if7functorIS9_EEEE10hipError_tPvRmT1_T2_T3_mT4_P12ihipStream_tbEUlT_E0_NS1_11comp_targetILNS1_3genE10ELNS1_11target_archE1200ELNS1_3gpuE4ELNS1_3repE0EEENS1_30default_config_static_selectorELNS0_4arch9wavefront6targetE0EEEvS16_,@function
_ZN7rocprim17ROCPRIM_400000_NS6detail17trampoline_kernelINS0_14default_configENS1_22reduce_config_selectorIN6thrust23THRUST_200600_302600_NS5tupleIblNS6_9null_typeES8_S8_S8_S8_S8_S8_S8_EEEEZNS1_11reduce_implILb1ES3_NS6_12zip_iteratorINS7_INS6_11hip_rocprim26transform_input_iterator_tIbNSD_35transform_pair_of_input_iterators_tIbNS6_6detail15normal_iteratorINS6_10device_ptrIlEEEENS6_17counting_iteratorIlNS6_11use_defaultESM_SM_EENS6_8equal_toIlEEEENSG_9not_fun_tINSD_8identityEEEEENSD_19counting_iterator_tIlEES8_S8_S8_S8_S8_S8_S8_S8_EEEEPS9_S9_NSD_9__find_if7functorIS9_EEEE10hipError_tPvRmT1_T2_T3_mT4_P12ihipStream_tbEUlT_E0_NS1_11comp_targetILNS1_3genE10ELNS1_11target_archE1200ELNS1_3gpuE4ELNS1_3repE0EEENS1_30default_config_static_selectorELNS0_4arch9wavefront6targetE0EEEvS16_: ; @_ZN7rocprim17ROCPRIM_400000_NS6detail17trampoline_kernelINS0_14default_configENS1_22reduce_config_selectorIN6thrust23THRUST_200600_302600_NS5tupleIblNS6_9null_typeES8_S8_S8_S8_S8_S8_S8_EEEEZNS1_11reduce_implILb1ES3_NS6_12zip_iteratorINS7_INS6_11hip_rocprim26transform_input_iterator_tIbNSD_35transform_pair_of_input_iterators_tIbNS6_6detail15normal_iteratorINS6_10device_ptrIlEEEENS6_17counting_iteratorIlNS6_11use_defaultESM_SM_EENS6_8equal_toIlEEEENSG_9not_fun_tINSD_8identityEEEEENSD_19counting_iterator_tIlEES8_S8_S8_S8_S8_S8_S8_S8_EEEEPS9_S9_NSD_9__find_if7functorIS9_EEEE10hipError_tPvRmT1_T2_T3_mT4_P12ihipStream_tbEUlT_E0_NS1_11comp_targetILNS1_3genE10ELNS1_11target_archE1200ELNS1_3gpuE4ELNS1_3repE0EEENS1_30default_config_static_selectorELNS0_4arch9wavefront6targetE0EEEvS16_
; %bb.0:
	.section	.rodata,"a",@progbits
	.p2align	6, 0x0
	.amdhsa_kernel _ZN7rocprim17ROCPRIM_400000_NS6detail17trampoline_kernelINS0_14default_configENS1_22reduce_config_selectorIN6thrust23THRUST_200600_302600_NS5tupleIblNS6_9null_typeES8_S8_S8_S8_S8_S8_S8_EEEEZNS1_11reduce_implILb1ES3_NS6_12zip_iteratorINS7_INS6_11hip_rocprim26transform_input_iterator_tIbNSD_35transform_pair_of_input_iterators_tIbNS6_6detail15normal_iteratorINS6_10device_ptrIlEEEENS6_17counting_iteratorIlNS6_11use_defaultESM_SM_EENS6_8equal_toIlEEEENSG_9not_fun_tINSD_8identityEEEEENSD_19counting_iterator_tIlEES8_S8_S8_S8_S8_S8_S8_S8_EEEEPS9_S9_NSD_9__find_if7functorIS9_EEEE10hipError_tPvRmT1_T2_T3_mT4_P12ihipStream_tbEUlT_E0_NS1_11comp_targetILNS1_3genE10ELNS1_11target_archE1200ELNS1_3gpuE4ELNS1_3repE0EEENS1_30default_config_static_selectorELNS0_4arch9wavefront6targetE0EEEvS16_
		.amdhsa_group_segment_fixed_size 0
		.amdhsa_private_segment_fixed_size 0
		.amdhsa_kernarg_size 104
		.amdhsa_user_sgpr_count 15
		.amdhsa_user_sgpr_dispatch_ptr 0
		.amdhsa_user_sgpr_queue_ptr 0
		.amdhsa_user_sgpr_kernarg_segment_ptr 1
		.amdhsa_user_sgpr_dispatch_id 0
		.amdhsa_user_sgpr_private_segment_size 0
		.amdhsa_wavefront_size32 1
		.amdhsa_uses_dynamic_stack 0
		.amdhsa_enable_private_segment 0
		.amdhsa_system_sgpr_workgroup_id_x 1
		.amdhsa_system_sgpr_workgroup_id_y 0
		.amdhsa_system_sgpr_workgroup_id_z 0
		.amdhsa_system_sgpr_workgroup_info 0
		.amdhsa_system_vgpr_workitem_id 0
		.amdhsa_next_free_vgpr 1
		.amdhsa_next_free_sgpr 1
		.amdhsa_reserve_vcc 0
		.amdhsa_float_round_mode_32 0
		.amdhsa_float_round_mode_16_64 0
		.amdhsa_float_denorm_mode_32 3
		.amdhsa_float_denorm_mode_16_64 3
		.amdhsa_dx10_clamp 1
		.amdhsa_ieee_mode 1
		.amdhsa_fp16_overflow 0
		.amdhsa_workgroup_processor_mode 1
		.amdhsa_memory_ordered 1
		.amdhsa_forward_progress 0
		.amdhsa_shared_vgpr_count 0
		.amdhsa_exception_fp_ieee_invalid_op 0
		.amdhsa_exception_fp_denorm_src 0
		.amdhsa_exception_fp_ieee_div_zero 0
		.amdhsa_exception_fp_ieee_overflow 0
		.amdhsa_exception_fp_ieee_underflow 0
		.amdhsa_exception_fp_ieee_inexact 0
		.amdhsa_exception_int_div_zero 0
	.end_amdhsa_kernel
	.section	.text._ZN7rocprim17ROCPRIM_400000_NS6detail17trampoline_kernelINS0_14default_configENS1_22reduce_config_selectorIN6thrust23THRUST_200600_302600_NS5tupleIblNS6_9null_typeES8_S8_S8_S8_S8_S8_S8_EEEEZNS1_11reduce_implILb1ES3_NS6_12zip_iteratorINS7_INS6_11hip_rocprim26transform_input_iterator_tIbNSD_35transform_pair_of_input_iterators_tIbNS6_6detail15normal_iteratorINS6_10device_ptrIlEEEENS6_17counting_iteratorIlNS6_11use_defaultESM_SM_EENS6_8equal_toIlEEEENSG_9not_fun_tINSD_8identityEEEEENSD_19counting_iterator_tIlEES8_S8_S8_S8_S8_S8_S8_S8_EEEEPS9_S9_NSD_9__find_if7functorIS9_EEEE10hipError_tPvRmT1_T2_T3_mT4_P12ihipStream_tbEUlT_E0_NS1_11comp_targetILNS1_3genE10ELNS1_11target_archE1200ELNS1_3gpuE4ELNS1_3repE0EEENS1_30default_config_static_selectorELNS0_4arch9wavefront6targetE0EEEvS16_,"axG",@progbits,_ZN7rocprim17ROCPRIM_400000_NS6detail17trampoline_kernelINS0_14default_configENS1_22reduce_config_selectorIN6thrust23THRUST_200600_302600_NS5tupleIblNS6_9null_typeES8_S8_S8_S8_S8_S8_S8_EEEEZNS1_11reduce_implILb1ES3_NS6_12zip_iteratorINS7_INS6_11hip_rocprim26transform_input_iterator_tIbNSD_35transform_pair_of_input_iterators_tIbNS6_6detail15normal_iteratorINS6_10device_ptrIlEEEENS6_17counting_iteratorIlNS6_11use_defaultESM_SM_EENS6_8equal_toIlEEEENSG_9not_fun_tINSD_8identityEEEEENSD_19counting_iterator_tIlEES8_S8_S8_S8_S8_S8_S8_S8_EEEEPS9_S9_NSD_9__find_if7functorIS9_EEEE10hipError_tPvRmT1_T2_T3_mT4_P12ihipStream_tbEUlT_E0_NS1_11comp_targetILNS1_3genE10ELNS1_11target_archE1200ELNS1_3gpuE4ELNS1_3repE0EEENS1_30default_config_static_selectorELNS0_4arch9wavefront6targetE0EEEvS16_,comdat
.Lfunc_end1195:
	.size	_ZN7rocprim17ROCPRIM_400000_NS6detail17trampoline_kernelINS0_14default_configENS1_22reduce_config_selectorIN6thrust23THRUST_200600_302600_NS5tupleIblNS6_9null_typeES8_S8_S8_S8_S8_S8_S8_EEEEZNS1_11reduce_implILb1ES3_NS6_12zip_iteratorINS7_INS6_11hip_rocprim26transform_input_iterator_tIbNSD_35transform_pair_of_input_iterators_tIbNS6_6detail15normal_iteratorINS6_10device_ptrIlEEEENS6_17counting_iteratorIlNS6_11use_defaultESM_SM_EENS6_8equal_toIlEEEENSG_9not_fun_tINSD_8identityEEEEENSD_19counting_iterator_tIlEES8_S8_S8_S8_S8_S8_S8_S8_EEEEPS9_S9_NSD_9__find_if7functorIS9_EEEE10hipError_tPvRmT1_T2_T3_mT4_P12ihipStream_tbEUlT_E0_NS1_11comp_targetILNS1_3genE10ELNS1_11target_archE1200ELNS1_3gpuE4ELNS1_3repE0EEENS1_30default_config_static_selectorELNS0_4arch9wavefront6targetE0EEEvS16_, .Lfunc_end1195-_ZN7rocprim17ROCPRIM_400000_NS6detail17trampoline_kernelINS0_14default_configENS1_22reduce_config_selectorIN6thrust23THRUST_200600_302600_NS5tupleIblNS6_9null_typeES8_S8_S8_S8_S8_S8_S8_EEEEZNS1_11reduce_implILb1ES3_NS6_12zip_iteratorINS7_INS6_11hip_rocprim26transform_input_iterator_tIbNSD_35transform_pair_of_input_iterators_tIbNS6_6detail15normal_iteratorINS6_10device_ptrIlEEEENS6_17counting_iteratorIlNS6_11use_defaultESM_SM_EENS6_8equal_toIlEEEENSG_9not_fun_tINSD_8identityEEEEENSD_19counting_iterator_tIlEES8_S8_S8_S8_S8_S8_S8_S8_EEEEPS9_S9_NSD_9__find_if7functorIS9_EEEE10hipError_tPvRmT1_T2_T3_mT4_P12ihipStream_tbEUlT_E0_NS1_11comp_targetILNS1_3genE10ELNS1_11target_archE1200ELNS1_3gpuE4ELNS1_3repE0EEENS1_30default_config_static_selectorELNS0_4arch9wavefront6targetE0EEEvS16_
                                        ; -- End function
	.section	.AMDGPU.csdata,"",@progbits
; Kernel info:
; codeLenInByte = 0
; NumSgprs: 0
; NumVgprs: 0
; ScratchSize: 0
; MemoryBound: 0
; FloatMode: 240
; IeeeMode: 1
; LDSByteSize: 0 bytes/workgroup (compile time only)
; SGPRBlocks: 0
; VGPRBlocks: 0
; NumSGPRsForWavesPerEU: 1
; NumVGPRsForWavesPerEU: 1
; Occupancy: 16
; WaveLimiterHint : 0
; COMPUTE_PGM_RSRC2:SCRATCH_EN: 0
; COMPUTE_PGM_RSRC2:USER_SGPR: 15
; COMPUTE_PGM_RSRC2:TRAP_HANDLER: 0
; COMPUTE_PGM_RSRC2:TGID_X_EN: 1
; COMPUTE_PGM_RSRC2:TGID_Y_EN: 0
; COMPUTE_PGM_RSRC2:TGID_Z_EN: 0
; COMPUTE_PGM_RSRC2:TIDIG_COMP_CNT: 0
	.section	.text._ZN7rocprim17ROCPRIM_400000_NS6detail17trampoline_kernelINS0_14default_configENS1_22reduce_config_selectorIN6thrust23THRUST_200600_302600_NS5tupleIblNS6_9null_typeES8_S8_S8_S8_S8_S8_S8_EEEEZNS1_11reduce_implILb1ES3_NS6_12zip_iteratorINS7_INS6_11hip_rocprim26transform_input_iterator_tIbNSD_35transform_pair_of_input_iterators_tIbNS6_6detail15normal_iteratorINS6_10device_ptrIlEEEENS6_17counting_iteratorIlNS6_11use_defaultESM_SM_EENS6_8equal_toIlEEEENSG_9not_fun_tINSD_8identityEEEEENSD_19counting_iterator_tIlEES8_S8_S8_S8_S8_S8_S8_S8_EEEEPS9_S9_NSD_9__find_if7functorIS9_EEEE10hipError_tPvRmT1_T2_T3_mT4_P12ihipStream_tbEUlT_E0_NS1_11comp_targetILNS1_3genE9ELNS1_11target_archE1100ELNS1_3gpuE3ELNS1_3repE0EEENS1_30default_config_static_selectorELNS0_4arch9wavefront6targetE0EEEvS16_,"axG",@progbits,_ZN7rocprim17ROCPRIM_400000_NS6detail17trampoline_kernelINS0_14default_configENS1_22reduce_config_selectorIN6thrust23THRUST_200600_302600_NS5tupleIblNS6_9null_typeES8_S8_S8_S8_S8_S8_S8_EEEEZNS1_11reduce_implILb1ES3_NS6_12zip_iteratorINS7_INS6_11hip_rocprim26transform_input_iterator_tIbNSD_35transform_pair_of_input_iterators_tIbNS6_6detail15normal_iteratorINS6_10device_ptrIlEEEENS6_17counting_iteratorIlNS6_11use_defaultESM_SM_EENS6_8equal_toIlEEEENSG_9not_fun_tINSD_8identityEEEEENSD_19counting_iterator_tIlEES8_S8_S8_S8_S8_S8_S8_S8_EEEEPS9_S9_NSD_9__find_if7functorIS9_EEEE10hipError_tPvRmT1_T2_T3_mT4_P12ihipStream_tbEUlT_E0_NS1_11comp_targetILNS1_3genE9ELNS1_11target_archE1100ELNS1_3gpuE3ELNS1_3repE0EEENS1_30default_config_static_selectorELNS0_4arch9wavefront6targetE0EEEvS16_,comdat
	.protected	_ZN7rocprim17ROCPRIM_400000_NS6detail17trampoline_kernelINS0_14default_configENS1_22reduce_config_selectorIN6thrust23THRUST_200600_302600_NS5tupleIblNS6_9null_typeES8_S8_S8_S8_S8_S8_S8_EEEEZNS1_11reduce_implILb1ES3_NS6_12zip_iteratorINS7_INS6_11hip_rocprim26transform_input_iterator_tIbNSD_35transform_pair_of_input_iterators_tIbNS6_6detail15normal_iteratorINS6_10device_ptrIlEEEENS6_17counting_iteratorIlNS6_11use_defaultESM_SM_EENS6_8equal_toIlEEEENSG_9not_fun_tINSD_8identityEEEEENSD_19counting_iterator_tIlEES8_S8_S8_S8_S8_S8_S8_S8_EEEEPS9_S9_NSD_9__find_if7functorIS9_EEEE10hipError_tPvRmT1_T2_T3_mT4_P12ihipStream_tbEUlT_E0_NS1_11comp_targetILNS1_3genE9ELNS1_11target_archE1100ELNS1_3gpuE3ELNS1_3repE0EEENS1_30default_config_static_selectorELNS0_4arch9wavefront6targetE0EEEvS16_ ; -- Begin function _ZN7rocprim17ROCPRIM_400000_NS6detail17trampoline_kernelINS0_14default_configENS1_22reduce_config_selectorIN6thrust23THRUST_200600_302600_NS5tupleIblNS6_9null_typeES8_S8_S8_S8_S8_S8_S8_EEEEZNS1_11reduce_implILb1ES3_NS6_12zip_iteratorINS7_INS6_11hip_rocprim26transform_input_iterator_tIbNSD_35transform_pair_of_input_iterators_tIbNS6_6detail15normal_iteratorINS6_10device_ptrIlEEEENS6_17counting_iteratorIlNS6_11use_defaultESM_SM_EENS6_8equal_toIlEEEENSG_9not_fun_tINSD_8identityEEEEENSD_19counting_iterator_tIlEES8_S8_S8_S8_S8_S8_S8_S8_EEEEPS9_S9_NSD_9__find_if7functorIS9_EEEE10hipError_tPvRmT1_T2_T3_mT4_P12ihipStream_tbEUlT_E0_NS1_11comp_targetILNS1_3genE9ELNS1_11target_archE1100ELNS1_3gpuE3ELNS1_3repE0EEENS1_30default_config_static_selectorELNS0_4arch9wavefront6targetE0EEEvS16_
	.globl	_ZN7rocprim17ROCPRIM_400000_NS6detail17trampoline_kernelINS0_14default_configENS1_22reduce_config_selectorIN6thrust23THRUST_200600_302600_NS5tupleIblNS6_9null_typeES8_S8_S8_S8_S8_S8_S8_EEEEZNS1_11reduce_implILb1ES3_NS6_12zip_iteratorINS7_INS6_11hip_rocprim26transform_input_iterator_tIbNSD_35transform_pair_of_input_iterators_tIbNS6_6detail15normal_iteratorINS6_10device_ptrIlEEEENS6_17counting_iteratorIlNS6_11use_defaultESM_SM_EENS6_8equal_toIlEEEENSG_9not_fun_tINSD_8identityEEEEENSD_19counting_iterator_tIlEES8_S8_S8_S8_S8_S8_S8_S8_EEEEPS9_S9_NSD_9__find_if7functorIS9_EEEE10hipError_tPvRmT1_T2_T3_mT4_P12ihipStream_tbEUlT_E0_NS1_11comp_targetILNS1_3genE9ELNS1_11target_archE1100ELNS1_3gpuE3ELNS1_3repE0EEENS1_30default_config_static_selectorELNS0_4arch9wavefront6targetE0EEEvS16_
	.p2align	8
	.type	_ZN7rocprim17ROCPRIM_400000_NS6detail17trampoline_kernelINS0_14default_configENS1_22reduce_config_selectorIN6thrust23THRUST_200600_302600_NS5tupleIblNS6_9null_typeES8_S8_S8_S8_S8_S8_S8_EEEEZNS1_11reduce_implILb1ES3_NS6_12zip_iteratorINS7_INS6_11hip_rocprim26transform_input_iterator_tIbNSD_35transform_pair_of_input_iterators_tIbNS6_6detail15normal_iteratorINS6_10device_ptrIlEEEENS6_17counting_iteratorIlNS6_11use_defaultESM_SM_EENS6_8equal_toIlEEEENSG_9not_fun_tINSD_8identityEEEEENSD_19counting_iterator_tIlEES8_S8_S8_S8_S8_S8_S8_S8_EEEEPS9_S9_NSD_9__find_if7functorIS9_EEEE10hipError_tPvRmT1_T2_T3_mT4_P12ihipStream_tbEUlT_E0_NS1_11comp_targetILNS1_3genE9ELNS1_11target_archE1100ELNS1_3gpuE3ELNS1_3repE0EEENS1_30default_config_static_selectorELNS0_4arch9wavefront6targetE0EEEvS16_,@function
_ZN7rocprim17ROCPRIM_400000_NS6detail17trampoline_kernelINS0_14default_configENS1_22reduce_config_selectorIN6thrust23THRUST_200600_302600_NS5tupleIblNS6_9null_typeES8_S8_S8_S8_S8_S8_S8_EEEEZNS1_11reduce_implILb1ES3_NS6_12zip_iteratorINS7_INS6_11hip_rocprim26transform_input_iterator_tIbNSD_35transform_pair_of_input_iterators_tIbNS6_6detail15normal_iteratorINS6_10device_ptrIlEEEENS6_17counting_iteratorIlNS6_11use_defaultESM_SM_EENS6_8equal_toIlEEEENSG_9not_fun_tINSD_8identityEEEEENSD_19counting_iterator_tIlEES8_S8_S8_S8_S8_S8_S8_S8_EEEEPS9_S9_NSD_9__find_if7functorIS9_EEEE10hipError_tPvRmT1_T2_T3_mT4_P12ihipStream_tbEUlT_E0_NS1_11comp_targetILNS1_3genE9ELNS1_11target_archE1100ELNS1_3gpuE3ELNS1_3repE0EEENS1_30default_config_static_selectorELNS0_4arch9wavefront6targetE0EEEvS16_: ; @_ZN7rocprim17ROCPRIM_400000_NS6detail17trampoline_kernelINS0_14default_configENS1_22reduce_config_selectorIN6thrust23THRUST_200600_302600_NS5tupleIblNS6_9null_typeES8_S8_S8_S8_S8_S8_S8_EEEEZNS1_11reduce_implILb1ES3_NS6_12zip_iteratorINS7_INS6_11hip_rocprim26transform_input_iterator_tIbNSD_35transform_pair_of_input_iterators_tIbNS6_6detail15normal_iteratorINS6_10device_ptrIlEEEENS6_17counting_iteratorIlNS6_11use_defaultESM_SM_EENS6_8equal_toIlEEEENSG_9not_fun_tINSD_8identityEEEEENSD_19counting_iterator_tIlEES8_S8_S8_S8_S8_S8_S8_S8_EEEEPS9_S9_NSD_9__find_if7functorIS9_EEEE10hipError_tPvRmT1_T2_T3_mT4_P12ihipStream_tbEUlT_E0_NS1_11comp_targetILNS1_3genE9ELNS1_11target_archE1100ELNS1_3gpuE3ELNS1_3repE0EEENS1_30default_config_static_selectorELNS0_4arch9wavefront6targetE0EEEvS16_
; %bb.0:
	s_mov_b32 s16, s15
	s_clause 0x2
	s_load_b256 s[4:11], s[0:1], 0x20
	s_load_b128 s[24:27], s[0:1], 0x0
	s_load_b128 s[12:15], s[0:1], 0x40
	s_mov_b32 s21, 0
	v_lshlrev_b32_e32 v5, 3, v0
	s_mov_b32 s17, s21
	s_waitcnt lgkmcnt(0)
	s_lshl_b64 s[2:3], s[6:7], 3
	s_delay_alu instid0(SALU_CYCLE_1)
	s_add_u32 s18, s24, s2
	s_addc_u32 s19, s25, s3
	s_add_u32 s24, s6, s26
	s_addc_u32 s22, s7, s27
	;; [unrolled: 2-line block ×3, first 2 shown]
	s_lshl_b32 s20, s16, 10
	s_lshr_b64 s[6:7], s[8:9], 10
	s_lshl_b64 s[2:3], s[20:21], 3
	s_delay_alu instid0(SALU_CYCLE_1)
	s_add_u32 s18, s18, s2
	s_addc_u32 s19, s19, s3
	s_cmp_lg_u64 s[6:7], s[16:17]
	s_cbranch_scc0 .LBB1196_16
; %bb.1:
	v_add_co_u32 v3, s2, s18, v5
	s_delay_alu instid0(VALU_DEP_1)
	v_add_co_ci_u32_e64 v4, null, s19, 0, s2
	global_load_b64 v[1:2], v5, s[18:19] offset:2048
	v_add_co_u32 v3, vcc_lo, 0x1000, v3
	v_add_co_ci_u32_e32 v4, vcc_lo, 0, v4, vcc_lo
	v_or_b32_e32 v16, s20, v0
	v_mov_b32_e32 v11, s21
	s_clause 0x2
	global_load_b64 v[6:7], v5, s[18:19]
	global_load_b64 v[8:9], v[3:4], off
	global_load_b64 v[3:4], v[3:4], off offset:2048
	v_mov_b32_e32 v17, 0x100
	v_add_co_u32 v10, vcc_lo, s24, v16
	v_add_co_ci_u32_e32 v11, vcc_lo, s22, v11, vcc_lo
	s_delay_alu instid0(VALU_DEP_2) | instskip(NEXT) | instid1(VALU_DEP_2)
	v_add_co_u32 v12, vcc_lo, 0x100, v10
	v_add_co_ci_u32_e32 v13, vcc_lo, 0, v11, vcc_lo
	v_add_co_u32 v14, vcc_lo, 0x200, v10
	v_add_co_ci_u32_e32 v15, vcc_lo, 0, v11, vcc_lo
	s_waitcnt vmcnt(3)
	s_delay_alu instid0(VALU_DEP_3) | instskip(SKIP_1) | instid1(VALU_DEP_1)
	v_cmp_ne_u64_e32 vcc_lo, v[1:2], v[12:13]
	v_add_co_u32 v1, s2, 0x300, v10
	v_add_co_ci_u32_e64 v2, s2, 0, v11, s2
	s_waitcnt vmcnt(2)
	v_cmp_ne_u64_e64 s2, v[6:7], v[10:11]
	v_cndmask_b32_e32 v12, 0x200, v17, vcc_lo
	s_waitcnt vmcnt(1)
	v_cmp_ne_u64_e64 s3, v[8:9], v[14:15]
	s_waitcnt vmcnt(0)
	v_cmp_ne_u64_e64 s4, v[3:4], v[1:2]
	v_mov_b32_e32 v1, s21
	v_cndmask_b32_e64 v6, v12, 0, s2
	s_or_b32 s2, s2, vcc_lo
	s_delay_alu instid0(SALU_CYCLE_1)
	s_or_b32 vcc_lo, s2, s3
	s_delay_alu instid0(VALU_DEP_3) | instid1(SALU_CYCLE_1)
	s_or_b32 s3, vcc_lo, s4
	s_delay_alu instid0(VALU_DEP_1) | instskip(SKIP_3) | instid1(VALU_DEP_3)
	v_cndmask_b32_e32 v2, 0x300, v6, vcc_lo
	v_add_co_u32 v3, vcc_lo, s23, v16
	v_cndmask_b32_e64 v6, 0, 1, s3
	v_add_co_ci_u32_e32 v4, vcc_lo, s5, v1, vcc_lo
	v_add_co_u32 v1, vcc_lo, v3, v2
	s_delay_alu instid0(VALU_DEP_3) | instskip(NEXT) | instid1(VALU_DEP_3)
	v_mov_b32_dpp v7, v6 quad_perm:[1,0,3,2] row_mask:0xf bank_mask:0xf
	v_add_co_ci_u32_e32 v2, vcc_lo, 0, v4, vcc_lo
	s_delay_alu instid0(VALU_DEP_3) | instskip(SKIP_1) | instid1(VALU_DEP_3)
	v_mov_b32_dpp v3, v1 quad_perm:[1,0,3,2] row_mask:0xf bank_mask:0xf
	s_mov_b32 s4, exec_lo
	v_and_b32_e32 v8, 1, v7
	s_delay_alu instid0(VALU_DEP_3) | instskip(NEXT) | instid1(VALU_DEP_2)
	v_mov_b32_dpp v4, v2 quad_perm:[1,0,3,2] row_mask:0xf bank_mask:0xf
	v_cmpx_eq_u32_e32 1, v8
; %bb.2:
	v_cndmask_b32_e64 v6, v7, 1, s3
	s_delay_alu instid0(VALU_DEP_3) | instskip(NEXT) | instid1(VALU_DEP_2)
	v_cmp_lt_i64_e32 vcc_lo, v[1:2], v[3:4]
	v_and_b32_e32 v7, 1, v6
	v_and_b32_e32 v6, 0xff, v6
	s_and_b32 vcc_lo, s3, vcc_lo
	s_and_not1_b32 s3, s3, exec_lo
	v_dual_cndmask_b32 v2, v4, v2 :: v_dual_cndmask_b32 v1, v3, v1
	v_cmp_eq_u32_e64 s2, 1, v7
	s_delay_alu instid0(VALU_DEP_1) | instskip(NEXT) | instid1(SALU_CYCLE_1)
	s_and_b32 s2, s2, exec_lo
	s_or_b32 s3, s3, s2
; %bb.3:
	s_or_b32 exec_lo, exec_lo, s4
	v_mov_b32_dpp v7, v6 quad_perm:[2,3,0,1] row_mask:0xf bank_mask:0xf
	v_mov_b32_dpp v3, v1 quad_perm:[2,3,0,1] row_mask:0xf bank_mask:0xf
	;; [unrolled: 1-line block ×3, first 2 shown]
	s_mov_b32 s4, exec_lo
	s_delay_alu instid0(VALU_DEP_3) | instskip(NEXT) | instid1(VALU_DEP_1)
	v_and_b32_e32 v8, 1, v7
	v_cmpx_eq_u32_e32 1, v8
; %bb.4:
	v_cndmask_b32_e64 v6, v7, 1, s3
	v_cmp_lt_i64_e32 vcc_lo, v[1:2], v[3:4]
	s_delay_alu instid0(VALU_DEP_2)
	v_and_b32_e32 v7, 1, v6
	v_and_b32_e32 v6, 0xff, v6
	s_and_b32 vcc_lo, s3, vcc_lo
	s_and_not1_b32 s3, s3, exec_lo
	v_dual_cndmask_b32 v2, v4, v2 :: v_dual_cndmask_b32 v1, v3, v1
	v_cmp_eq_u32_e64 s2, 1, v7
	s_delay_alu instid0(VALU_DEP_1) | instskip(NEXT) | instid1(SALU_CYCLE_1)
	s_and_b32 s2, s2, exec_lo
	s_or_b32 s3, s3, s2
; %bb.5:
	s_or_b32 exec_lo, exec_lo, s4
	v_mov_b32_dpp v7, v6 row_ror:4 row_mask:0xf bank_mask:0xf
	v_mov_b32_dpp v3, v1 row_ror:4 row_mask:0xf bank_mask:0xf
	;; [unrolled: 1-line block ×3, first 2 shown]
	s_mov_b32 s4, exec_lo
	s_delay_alu instid0(VALU_DEP_3) | instskip(NEXT) | instid1(VALU_DEP_1)
	v_and_b32_e32 v8, 1, v7
	v_cmpx_eq_u32_e32 1, v8
; %bb.6:
	v_cndmask_b32_e64 v6, v7, 1, s3
	v_cmp_lt_i64_e32 vcc_lo, v[1:2], v[3:4]
	s_delay_alu instid0(VALU_DEP_2)
	v_and_b32_e32 v7, 1, v6
	v_and_b32_e32 v6, 0xff, v6
	s_and_b32 vcc_lo, s3, vcc_lo
	s_and_not1_b32 s3, s3, exec_lo
	v_dual_cndmask_b32 v2, v4, v2 :: v_dual_cndmask_b32 v1, v3, v1
	v_cmp_eq_u32_e64 s2, 1, v7
	s_delay_alu instid0(VALU_DEP_1) | instskip(NEXT) | instid1(SALU_CYCLE_1)
	s_and_b32 s2, s2, exec_lo
	s_or_b32 s3, s3, s2
; %bb.7:
	s_or_b32 exec_lo, exec_lo, s4
	v_mov_b32_dpp v7, v6 row_ror:8 row_mask:0xf bank_mask:0xf
	v_mov_b32_dpp v3, v1 row_ror:8 row_mask:0xf bank_mask:0xf
	;; [unrolled: 1-line block ×3, first 2 shown]
	s_mov_b32 s4, exec_lo
	s_delay_alu instid0(VALU_DEP_3) | instskip(NEXT) | instid1(VALU_DEP_1)
	v_and_b32_e32 v8, 1, v7
	v_cmpx_eq_u32_e32 1, v8
; %bb.8:
	v_cndmask_b32_e64 v6, v7, 1, s3
	v_cmp_lt_i64_e32 vcc_lo, v[1:2], v[3:4]
	s_delay_alu instid0(VALU_DEP_2)
	v_and_b32_e32 v7, 1, v6
	v_and_b32_e32 v6, 0xff, v6
	s_and_b32 vcc_lo, s3, vcc_lo
	s_and_not1_b32 s3, s3, exec_lo
	v_dual_cndmask_b32 v2, v4, v2 :: v_dual_cndmask_b32 v1, v3, v1
	v_cmp_eq_u32_e64 s2, 1, v7
	s_delay_alu instid0(VALU_DEP_1) | instskip(NEXT) | instid1(SALU_CYCLE_1)
	s_and_b32 s2, s2, exec_lo
	s_or_b32 s3, s3, s2
; %bb.9:
	s_or_b32 exec_lo, exec_lo, s4
	ds_swizzle_b32 v7, v6 offset:swizzle(BROADCAST,32,15)
	ds_swizzle_b32 v3, v1 offset:swizzle(BROADCAST,32,15)
	;; [unrolled: 1-line block ×3, first 2 shown]
	s_mov_b32 s2, exec_lo
	s_waitcnt lgkmcnt(2)
	v_and_b32_e32 v8, 1, v7
	s_delay_alu instid0(VALU_DEP_1)
	v_cmpx_eq_u32_e32 1, v8
	s_cbranch_execz .LBB1196_11
; %bb.10:
	s_waitcnt lgkmcnt(0)
	v_cmp_lt_i64_e32 vcc_lo, v[1:2], v[3:4]
	s_and_b32 vcc_lo, s3, vcc_lo
	v_dual_cndmask_b32 v1, v3, v1 :: v_dual_and_b32 v6, 0xff, v7
	v_cndmask_b32_e32 v2, v4, v2, vcc_lo
	s_delay_alu instid0(VALU_DEP_2)
	v_cndmask_b32_e64 v6, v6, 1, s3
.LBB1196_11:
	s_or_b32 exec_lo, exec_lo, s2
	s_waitcnt lgkmcnt(1)
	v_mov_b32_e32 v3, 0
	s_mov_b32 s2, exec_lo
	ds_bpermute_b32 v6, v3, v6 offset:124
	ds_bpermute_b32 v1, v3, v1 offset:124
	;; [unrolled: 1-line block ×3, first 2 shown]
	v_mbcnt_lo_u32_b32 v3, -1, 0
	s_delay_alu instid0(VALU_DEP_1)
	v_cmpx_eq_u32_e32 0, v3
	s_cbranch_execz .LBB1196_13
; %bb.12:
	s_waitcnt lgkmcnt(3)
	v_lshrrev_b32_e32 v4, 1, v0
	s_delay_alu instid0(VALU_DEP_1)
	v_and_b32_e32 v4, 0x70, v4
	s_waitcnt lgkmcnt(2)
	ds_store_b8 v4, v6
	s_waitcnt lgkmcnt(1)
	ds_store_b64 v4, v[1:2] offset:8
.LBB1196_13:
	s_or_b32 exec_lo, exec_lo, s2
	s_delay_alu instid0(SALU_CYCLE_1)
	s_mov_b32 s4, exec_lo
	s_waitcnt lgkmcnt(0)
	s_barrier
	buffer_gl0_inv
	v_cmpx_gt_u32_e32 32, v0
	s_cbranch_execz .LBB1196_15
; %bb.14:
	v_and_b32_e32 v4, 7, v3
	s_delay_alu instid0(VALU_DEP_1)
	v_lshlrev_b32_e32 v1, 4, v4
	v_cmp_ne_u32_e32 vcc_lo, 7, v4
	ds_load_u8 v8, v1
	ds_load_b64 v[1:2], v1 offset:8
	v_add_co_ci_u32_e32 v6, vcc_lo, 0, v3, vcc_lo
	v_cmp_gt_u32_e32 vcc_lo, 6, v4
	s_delay_alu instid0(VALU_DEP_2)
	v_lshlrev_b32_e32 v7, 2, v6
	v_cndmask_b32_e64 v11, 0, 1, vcc_lo
	s_waitcnt lgkmcnt(1)
	v_and_b32_e32 v6, 0xff, v8
	v_and_b32_e32 v12, 1, v8
	ds_bpermute_b32 v9, v7, v6
	s_waitcnt lgkmcnt(1)
	ds_bpermute_b32 v6, v7, v1
	ds_bpermute_b32 v7, v7, v2
	v_cmp_eq_u32_e64 s3, 1, v12
	s_waitcnt lgkmcnt(2)
	v_and_b32_e32 v10, 1, v9
	s_waitcnt lgkmcnt(0)
	v_cmp_lt_i64_e64 s2, v[6:7], v[1:2]
	s_delay_alu instid0(VALU_DEP_2) | instskip(SKIP_2) | instid1(VALU_DEP_4)
	v_cmp_eq_u32_e32 vcc_lo, 1, v10
	v_lshlrev_b32_e32 v10, 1, v11
	v_cndmask_b32_e64 v8, v8, 1, vcc_lo
	s_and_b32 vcc_lo, vcc_lo, s2
	v_dual_cndmask_b32 v1, v1, v6 :: v_dual_cndmask_b32 v2, v2, v7
	s_delay_alu instid0(VALU_DEP_2) | instskip(SKIP_2) | instid1(VALU_DEP_4)
	v_cndmask_b32_e64 v8, v9, v8, s3
	v_add_lshl_u32 v9, v10, v3, 2
	v_cmp_gt_u32_e32 vcc_lo, 4, v4
	v_cndmask_b32_e64 v1, v6, v1, s3
	v_cndmask_b32_e64 v2, v7, v2, s3
	v_and_b32_e32 v10, 0xff, v8
	v_and_b32_e32 v11, 1, v8
	v_cndmask_b32_e64 v4, 0, 1, vcc_lo
	ds_bpermute_b32 v6, v9, v1
	ds_bpermute_b32 v7, v9, v2
	;; [unrolled: 1-line block ×3, first 2 shown]
	v_cmp_eq_u32_e64 s3, 1, v11
	v_lshlrev_b32_e32 v4, 2, v4
	s_delay_alu instid0(VALU_DEP_1) | instskip(SKIP_4) | instid1(VALU_DEP_1)
	v_add_lshl_u32 v4, v4, v3, 2
	s_waitcnt lgkmcnt(1)
	v_cmp_lt_i64_e64 s2, v[6:7], v[1:2]
	s_waitcnt lgkmcnt(0)
	v_and_b32_e32 v9, 1, v10
	v_cmp_eq_u32_e32 vcc_lo, 1, v9
	v_cndmask_b32_e64 v8, v8, 1, vcc_lo
	s_delay_alu instid0(VALU_DEP_4) | instskip(SKIP_1) | instid1(VALU_DEP_2)
	s_and_b32 vcc_lo, vcc_lo, s2
	v_dual_cndmask_b32 v2, v2, v7 :: v_dual_cndmask_b32 v1, v1, v6
	v_cndmask_b32_e64 v8, v10, v8, s3
	s_delay_alu instid0(VALU_DEP_2) | instskip(NEXT) | instid1(VALU_DEP_3)
	v_cndmask_b32_e64 v2, v7, v2, s3
	v_cndmask_b32_e64 v1, v6, v1, s3
	s_delay_alu instid0(VALU_DEP_3)
	v_and_b32_e32 v3, 0xff, v8
	ds_bpermute_b32 v6, v4, v3
	ds_bpermute_b32 v3, v4, v1
	;; [unrolled: 1-line block ×3, first 2 shown]
	s_waitcnt lgkmcnt(2)
	v_and_b32_e32 v7, 1, v6
	s_waitcnt lgkmcnt(0)
	v_cmp_lt_i64_e32 vcc_lo, v[3:4], v[1:2]
	s_delay_alu instid0(VALU_DEP_2) | instskip(SKIP_1) | instid1(VALU_DEP_2)
	v_cmp_eq_u32_e64 s2, 1, v7
	v_and_b32_e32 v7, 1, v8
	v_cndmask_b32_e64 v8, v8, 1, s2
	s_and_b32 vcc_lo, s2, vcc_lo
	s_delay_alu instid0(VALU_DEP_2) | instskip(SKIP_1) | instid1(VALU_DEP_2)
	v_cmp_eq_u32_e64 s2, 1, v7
	v_dual_cndmask_b32 v1, v1, v3 :: v_dual_cndmask_b32 v2, v2, v4
	v_cndmask_b32_e64 v6, v6, v8, s2
	s_delay_alu instid0(VALU_DEP_2) | instskip(NEXT) | instid1(VALU_DEP_3)
	v_cndmask_b32_e64 v1, v3, v1, s2
	v_cndmask_b32_e64 v2, v4, v2, s2
	s_delay_alu instid0(VALU_DEP_3)
	v_and_b32_e32 v6, 0xff, v6
.LBB1196_15:
	s_or_b32 exec_lo, exec_lo, s4
	s_load_b64 s[6:7], s[0:1], 0x58
	s_branch .LBB1196_49
.LBB1196_16:
                                        ; implicit-def: $vgpr1_vgpr2
                                        ; implicit-def: $vgpr6
	s_load_b64 s[6:7], s[0:1], 0x58
	s_cbranch_execz .LBB1196_49
; %bb.17:
	v_dual_mov_b32 v3, 0 :: v_dual_mov_b32 v10, 0
	v_dual_mov_b32 v4, 0 :: v_dual_mov_b32 v9, 0
	s_sub_i32 s21, s8, s20
	s_add_u32 s4, s24, s20
	s_delay_alu instid0(VALU_DEP_1)
	v_dual_mov_b32 v1, v3 :: v_dual_mov_b32 v2, v4
	s_addc_u32 s22, s22, 0
	s_add_u32 s20, s23, s20
	s_addc_u32 s5, s5, 0
	s_mov_b32 s2, exec_lo
	v_cmpx_gt_u32_e64 s21, v0
	s_cbranch_execz .LBB1196_19
; %bb.18:
	global_load_b64 v[6:7], v5, s[18:19]
	v_add_co_u32 v8, s3, s4, v0
	s_delay_alu instid0(VALU_DEP_1) | instskip(SKIP_1) | instid1(VALU_DEP_1)
	v_add_co_ci_u32_e64 v9, null, s22, 0, s3
	v_add_co_u32 v1, s3, s20, v0
	v_add_co_ci_u32_e64 v2, null, s5, 0, s3
	s_waitcnt vmcnt(0)
	s_delay_alu instid0(VALU_DEP_3)
	v_cmp_ne_u64_e32 vcc_lo, v[6:7], v[8:9]
	v_cndmask_b32_e64 v9, 0, 1, vcc_lo
.LBB1196_19:
	s_or_b32 exec_lo, exec_lo, s2
	v_or_b32_e32 v6, 0x100, v0
	s_delay_alu instid0(VALU_DEP_1)
	v_cmp_gt_u32_e32 vcc_lo, s21, v6
	s_and_saveexec_b32 s3, vcc_lo
	s_cbranch_execz .LBB1196_21
; %bb.20:
	global_load_b64 v[7:8], v5, s[18:19] offset:2048
	v_add_co_u32 v10, s2, s4, v6
	s_delay_alu instid0(VALU_DEP_1) | instskip(SKIP_1) | instid1(VALU_DEP_1)
	v_add_co_ci_u32_e64 v11, null, s22, 0, s2
	v_add_co_u32 v3, s2, s20, v6
	v_add_co_ci_u32_e64 v4, null, s5, 0, s2
	s_waitcnt vmcnt(0)
	s_delay_alu instid0(VALU_DEP_3) | instskip(NEXT) | instid1(VALU_DEP_1)
	v_cmp_ne_u64_e64 s2, v[7:8], v[10:11]
	v_cndmask_b32_e64 v10, 0, 1, s2
.LBB1196_21:
	s_or_b32 exec_lo, exec_lo, s3
	v_dual_mov_b32 v5, 0 :: v_dual_mov_b32 v12, 0
	v_dual_mov_b32 v6, 0 :: v_dual_mov_b32 v11, 0
	v_or_b32_e32 v13, 0x200, v0
	s_delay_alu instid0(VALU_DEP_2) | instskip(NEXT) | instid1(VALU_DEP_2)
	v_dual_mov_b32 v8, v6 :: v_dual_mov_b32 v7, v5
	v_cmp_gt_u32_e64 s2, s21, v13
	s_delay_alu instid0(VALU_DEP_1)
	s_and_saveexec_b32 s23, s2
	s_cbranch_execz .LBB1196_23
; %bb.22:
	v_lshlrev_b32_e32 v7, 3, v13
	v_add_co_u32 v16, s3, s4, v13
	s_delay_alu instid0(VALU_DEP_1) | instskip(SKIP_2) | instid1(VALU_DEP_1)
	v_add_co_ci_u32_e64 v17, null, s22, 0, s3
	global_load_b64 v[14:15], v7, s[18:19]
	v_add_co_u32 v7, s3, s20, v13
	v_add_co_ci_u32_e64 v8, null, s5, 0, s3
	s_waitcnt vmcnt(0)
	v_cmp_ne_u64_e64 s3, v[14:15], v[16:17]
	s_delay_alu instid0(VALU_DEP_1)
	v_cndmask_b32_e64 v12, 0, 1, s3
.LBB1196_23:
	s_or_b32 exec_lo, exec_lo, s23
	v_or_b32_e32 v13, 0x300, v0
	s_delay_alu instid0(VALU_DEP_1) | instskip(NEXT) | instid1(VALU_DEP_1)
	v_cmp_gt_u32_e64 s3, s21, v13
	s_and_saveexec_b32 s23, s3
	s_cbranch_execnz .LBB1196_52
; %bb.24:
	s_or_b32 exec_lo, exec_lo, s23
	s_and_saveexec_b32 s5, vcc_lo
	s_cbranch_execnz .LBB1196_53
.LBB1196_25:
	s_or_b32 exec_lo, exec_lo, s5
	s_and_saveexec_b32 s4, s2
	s_cbranch_execnz .LBB1196_54
.LBB1196_26:
	s_or_b32 exec_lo, exec_lo, s4
	s_and_saveexec_b32 s4, s3
.LBB1196_27:
	v_and_b32_e32 v3, 1, v11
	v_cmp_lt_i64_e32 vcc_lo, v[5:6], v[1:2]
	s_delay_alu instid0(VALU_DEP_2) | instskip(NEXT) | instid1(VALU_DEP_1)
	v_cmp_eq_u32_e64 s2, 1, v3
	s_and_b32 vcc_lo, s2, vcc_lo
	v_cndmask_b32_e64 v4, v9, 1, s2
	v_dual_cndmask_b32 v2, v2, v6 :: v_dual_and_b32 v3, 1, v9
	v_cndmask_b32_e32 v1, v1, v5, vcc_lo
	s_delay_alu instid0(VALU_DEP_2) | instskip(NEXT) | instid1(VALU_DEP_3)
	v_cmp_eq_u32_e32 vcc_lo, 1, v3
	v_dual_cndmask_b32 v2, v6, v2 :: v_dual_cndmask_b32 v9, v11, v4
	s_delay_alu instid0(VALU_DEP_3)
	v_cndmask_b32_e32 v1, v5, v1, vcc_lo
.LBB1196_28:
	s_or_b32 exec_lo, exec_lo, s4
	v_mbcnt_lo_u32_b32 v5, -1, 0
	v_and_b32_e32 v7, 0xe0, v0
	s_min_u32 s3, s21, 0x100
	v_and_b32_e32 v6, 0xffff, v9
	s_delay_alu instid0(VALU_DEP_3) | instskip(NEXT) | instid1(VALU_DEP_3)
	v_cmp_ne_u32_e32 vcc_lo, 31, v5
	v_sub_nc_u32_e64 v8, s3, v7 clamp
	v_add_nc_u32_e32 v7, 1, v5
	v_add_co_ci_u32_e32 v3, vcc_lo, 0, v5, vcc_lo
	s_delay_alu instid0(VALU_DEP_2) | instskip(NEXT) | instid1(VALU_DEP_2)
	v_cmp_lt_u32_e32 vcc_lo, v7, v8
	v_dual_mov_b32 v7, v6 :: v_dual_lshlrev_b32 v4, 2, v3
	ds_bpermute_b32 v10, v4, v6
	ds_bpermute_b32 v3, v4, v1
	;; [unrolled: 1-line block ×3, first 2 shown]
	s_and_saveexec_b32 s2, vcc_lo
	s_delay_alu instid0(SALU_CYCLE_1)
	s_xor_b32 s4, exec_lo, s2
	s_cbranch_execz .LBB1196_30
; %bb.29:
	s_waitcnt lgkmcnt(0)
	v_and_b32_e32 v7, 1, v10
	v_cmp_lt_i64_e32 vcc_lo, v[3:4], v[1:2]
	s_delay_alu instid0(VALU_DEP_2) | instskip(SKIP_1) | instid1(VALU_DEP_2)
	v_cmp_eq_u32_e64 s2, 1, v7
	v_and_b32_e32 v7, 1, v9
	v_cndmask_b32_e64 v6, v6, 1, s2
	s_and_b32 vcc_lo, s2, vcc_lo
	s_delay_alu instid0(VALU_DEP_2) | instskip(SKIP_1) | instid1(VALU_DEP_2)
	v_cmp_eq_u32_e64 s2, 1, v7
	v_dual_cndmask_b32 v2, v2, v4 :: v_dual_cndmask_b32 v1, v1, v3
	v_cndmask_b32_e64 v7, v10, v6, s2
	s_delay_alu instid0(VALU_DEP_2) | instskip(NEXT) | instid1(VALU_DEP_3)
	v_cndmask_b32_e64 v2, v4, v2, s2
	v_cndmask_b32_e64 v1, v3, v1, s2
	s_delay_alu instid0(VALU_DEP_3)
	v_and_b32_e32 v6, 0xff, v7
.LBB1196_30:
	s_or_b32 exec_lo, exec_lo, s4
	v_cmp_gt_u32_e32 vcc_lo, 30, v5
	s_waitcnt lgkmcnt(0)
	v_add_nc_u32_e32 v10, 2, v5
	s_mov_b32 s4, exec_lo
	v_cndmask_b32_e64 v3, 0, 1, vcc_lo
	s_delay_alu instid0(VALU_DEP_1) | instskip(NEXT) | instid1(VALU_DEP_1)
	v_lshlrev_b32_e32 v3, 1, v3
	v_add_lshl_u32 v4, v3, v5, 2
	ds_bpermute_b32 v9, v4, v6
	ds_bpermute_b32 v3, v4, v1
	ds_bpermute_b32 v4, v4, v2
	v_cmpx_lt_u32_e64 v10, v8
	s_cbranch_execz .LBB1196_32
; %bb.31:
	s_waitcnt lgkmcnt(2)
	v_and_b32_e32 v6, 1, v9
	s_waitcnt lgkmcnt(0)
	v_cmp_lt_i64_e32 vcc_lo, v[3:4], v[1:2]
	s_delay_alu instid0(VALU_DEP_2) | instskip(SKIP_1) | instid1(VALU_DEP_2)
	v_cmp_eq_u32_e64 s2, 1, v6
	v_and_b32_e32 v6, 1, v7
	v_cndmask_b32_e64 v7, v7, 1, s2
	s_and_b32 vcc_lo, s2, vcc_lo
	s_delay_alu instid0(VALU_DEP_2) | instskip(SKIP_1) | instid1(VALU_DEP_2)
	v_cmp_eq_u32_e64 s2, 1, v6
	v_dual_cndmask_b32 v1, v1, v3 :: v_dual_cndmask_b32 v2, v2, v4
	v_cndmask_b32_e64 v7, v9, v7, s2
	s_delay_alu instid0(VALU_DEP_2) | instskip(NEXT) | instid1(VALU_DEP_3)
	v_cndmask_b32_e64 v1, v3, v1, s2
	v_cndmask_b32_e64 v2, v4, v2, s2
	s_delay_alu instid0(VALU_DEP_3)
	v_and_b32_e32 v6, 0xff, v7
.LBB1196_32:
	s_or_b32 exec_lo, exec_lo, s4
	v_cmp_gt_u32_e32 vcc_lo, 28, v5
	v_add_nc_u32_e32 v10, 4, v5
	s_mov_b32 s4, exec_lo
	s_waitcnt lgkmcnt(1)
	v_cndmask_b32_e64 v3, 0, 1, vcc_lo
	s_delay_alu instid0(VALU_DEP_1) | instskip(SKIP_1) | instid1(VALU_DEP_1)
	v_lshlrev_b32_e32 v3, 2, v3
	s_waitcnt lgkmcnt(0)
	v_add_lshl_u32 v4, v3, v5, 2
	ds_bpermute_b32 v9, v4, v6
	ds_bpermute_b32 v3, v4, v1
	ds_bpermute_b32 v4, v4, v2
	v_cmpx_lt_u32_e64 v10, v8
	s_cbranch_execz .LBB1196_34
; %bb.33:
	s_waitcnt lgkmcnt(2)
	v_and_b32_e32 v6, 1, v9
	s_waitcnt lgkmcnt(0)
	v_cmp_lt_i64_e32 vcc_lo, v[3:4], v[1:2]
	s_delay_alu instid0(VALU_DEP_2) | instskip(SKIP_1) | instid1(VALU_DEP_2)
	v_cmp_eq_u32_e64 s2, 1, v6
	v_and_b32_e32 v6, 1, v7
	v_cndmask_b32_e64 v7, v7, 1, s2
	s_and_b32 vcc_lo, s2, vcc_lo
	s_delay_alu instid0(VALU_DEP_2) | instskip(SKIP_1) | instid1(VALU_DEP_2)
	v_cmp_eq_u32_e64 s2, 1, v6
	v_dual_cndmask_b32 v1, v1, v3 :: v_dual_cndmask_b32 v2, v2, v4
	v_cndmask_b32_e64 v7, v9, v7, s2
	s_delay_alu instid0(VALU_DEP_2) | instskip(NEXT) | instid1(VALU_DEP_3)
	v_cndmask_b32_e64 v1, v3, v1, s2
	v_cndmask_b32_e64 v2, v4, v2, s2
	s_delay_alu instid0(VALU_DEP_3)
	v_and_b32_e32 v6, 0xff, v7
.LBB1196_34:
	s_or_b32 exec_lo, exec_lo, s4
	v_cmp_gt_u32_e32 vcc_lo, 24, v5
	v_add_nc_u32_e32 v10, 8, v5
	s_mov_b32 s4, exec_lo
	s_waitcnt lgkmcnt(1)
	v_cndmask_b32_e64 v3, 0, 1, vcc_lo
	s_delay_alu instid0(VALU_DEP_1) | instskip(SKIP_1) | instid1(VALU_DEP_1)
	v_lshlrev_b32_e32 v3, 3, v3
	s_waitcnt lgkmcnt(0)
	;; [unrolled: 35-line block ×3, first 2 shown]
	v_add_lshl_u32 v4, v3, v5, 2
	ds_bpermute_b32 v9, v4, v6
	ds_bpermute_b32 v3, v4, v1
	;; [unrolled: 1-line block ×3, first 2 shown]
	v_cmpx_lt_u32_e64 v10, v8
	s_cbranch_execz .LBB1196_38
; %bb.37:
	s_waitcnt lgkmcnt(2)
	v_and_b32_e32 v6, 1, v9
	s_waitcnt lgkmcnt(0)
	v_cmp_lt_i64_e32 vcc_lo, v[3:4], v[1:2]
	s_delay_alu instid0(VALU_DEP_2) | instskip(SKIP_1) | instid1(VALU_DEP_2)
	v_cmp_eq_u32_e64 s2, 1, v6
	v_and_b32_e32 v6, 1, v7
	v_cndmask_b32_e64 v7, v7, 1, s2
	s_and_b32 vcc_lo, s2, vcc_lo
	s_delay_alu instid0(VALU_DEP_2) | instskip(SKIP_1) | instid1(VALU_DEP_2)
	v_cmp_eq_u32_e64 s2, 1, v6
	v_dual_cndmask_b32 v1, v1, v3 :: v_dual_cndmask_b32 v2, v2, v4
	v_cndmask_b32_e64 v7, v9, v7, s2
	s_delay_alu instid0(VALU_DEP_2) | instskip(NEXT) | instid1(VALU_DEP_3)
	v_cndmask_b32_e64 v1, v3, v1, s2
	v_cndmask_b32_e64 v2, v4, v2, s2
	s_delay_alu instid0(VALU_DEP_3)
	v_and_b32_e32 v6, 0xff, v7
.LBB1196_38:
	s_or_b32 exec_lo, exec_lo, s4
	s_delay_alu instid0(SALU_CYCLE_1)
	s_mov_b32 s2, exec_lo
	v_cmpx_eq_u32_e32 0, v5
	s_cbranch_execz .LBB1196_40
; %bb.39:
	s_waitcnt lgkmcnt(1)
	v_lshrrev_b32_e32 v3, 1, v0
	s_delay_alu instid0(VALU_DEP_1)
	v_and_b32_e32 v3, 0x70, v3
	ds_store_b8 v3, v7 offset:128
	ds_store_b64 v3, v[1:2] offset:136
.LBB1196_40:
	s_or_b32 exec_lo, exec_lo, s2
	s_delay_alu instid0(SALU_CYCLE_1)
	s_mov_b32 s4, exec_lo
	s_waitcnt lgkmcnt(0)
	s_barrier
	buffer_gl0_inv
	v_cmpx_gt_u32_e32 8, v0
	s_cbranch_execz .LBB1196_48
; %bb.41:
	v_lshlrev_b32_e32 v1, 4, v5
	v_and_b32_e32 v8, 7, v5
	s_add_i32 s3, s3, 31
	s_mov_b32 s5, exec_lo
	s_lshr_b32 s3, s3, 5
	ds_load_u8 v7, v1 offset:128
	ds_load_b64 v[1:2], v1 offset:136
	v_cmp_ne_u32_e32 vcc_lo, 7, v8
	v_add_nc_u32_e32 v10, 1, v8
	v_add_co_ci_u32_e32 v3, vcc_lo, 0, v5, vcc_lo
	s_delay_alu instid0(VALU_DEP_1)
	v_lshlrev_b32_e32 v4, 2, v3
	s_waitcnt lgkmcnt(1)
	v_and_b32_e32 v6, 0xff, v7
	s_waitcnt lgkmcnt(0)
	ds_bpermute_b32 v3, v4, v1
	ds_bpermute_b32 v9, v4, v6
	;; [unrolled: 1-line block ×3, first 2 shown]
	v_cmpx_gt_u32_e64 s3, v10
	s_cbranch_execz .LBB1196_43
; %bb.42:
	s_waitcnt lgkmcnt(1)
	v_and_b32_e32 v6, 1, v9
	s_waitcnt lgkmcnt(0)
	v_cmp_lt_i64_e32 vcc_lo, v[3:4], v[1:2]
	s_delay_alu instid0(VALU_DEP_2) | instskip(SKIP_1) | instid1(VALU_DEP_2)
	v_cmp_eq_u32_e64 s2, 1, v6
	v_and_b32_e32 v6, 1, v7
	v_cndmask_b32_e64 v7, v7, 1, s2
	s_and_b32 vcc_lo, s2, vcc_lo
	s_delay_alu instid0(VALU_DEP_2) | instskip(SKIP_1) | instid1(VALU_DEP_2)
	v_cmp_eq_u32_e64 s2, 1, v6
	v_dual_cndmask_b32 v1, v1, v3 :: v_dual_cndmask_b32 v2, v2, v4
	v_cndmask_b32_e64 v7, v9, v7, s2
	s_delay_alu instid0(VALU_DEP_2) | instskip(NEXT) | instid1(VALU_DEP_3)
	v_cndmask_b32_e64 v1, v3, v1, s2
	v_cndmask_b32_e64 v2, v4, v2, s2
	s_delay_alu instid0(VALU_DEP_3)
	v_and_b32_e32 v6, 0xff, v7
.LBB1196_43:
	s_or_b32 exec_lo, exec_lo, s5
	v_cmp_gt_u32_e32 vcc_lo, 6, v8
	v_add_nc_u32_e32 v10, 2, v8
	s_mov_b32 s5, exec_lo
	s_waitcnt lgkmcnt(2)
	v_cndmask_b32_e64 v3, 0, 1, vcc_lo
	s_delay_alu instid0(VALU_DEP_1) | instskip(SKIP_1) | instid1(VALU_DEP_1)
	v_lshlrev_b32_e32 v3, 1, v3
	s_waitcnt lgkmcnt(0)
	v_add_lshl_u32 v4, v3, v5, 2
	ds_bpermute_b32 v9, v4, v6
	ds_bpermute_b32 v3, v4, v1
	;; [unrolled: 1-line block ×3, first 2 shown]
	v_cmpx_gt_u32_e64 s3, v10
	s_cbranch_execz .LBB1196_45
; %bb.44:
	s_waitcnt lgkmcnt(2)
	v_and_b32_e32 v6, 1, v9
	s_waitcnt lgkmcnt(0)
	v_cmp_lt_i64_e32 vcc_lo, v[3:4], v[1:2]
	s_delay_alu instid0(VALU_DEP_2) | instskip(SKIP_1) | instid1(VALU_DEP_2)
	v_cmp_eq_u32_e64 s2, 1, v6
	v_and_b32_e32 v6, 1, v7
	v_cndmask_b32_e64 v7, v7, 1, s2
	s_and_b32 vcc_lo, s2, vcc_lo
	s_delay_alu instid0(VALU_DEP_2) | instskip(SKIP_1) | instid1(VALU_DEP_2)
	v_cmp_eq_u32_e64 s2, 1, v6
	v_dual_cndmask_b32 v1, v1, v3 :: v_dual_cndmask_b32 v2, v2, v4
	v_cndmask_b32_e64 v7, v9, v7, s2
	s_delay_alu instid0(VALU_DEP_2) | instskip(NEXT) | instid1(VALU_DEP_3)
	v_cndmask_b32_e64 v1, v3, v1, s2
	v_cndmask_b32_e64 v2, v4, v2, s2
	s_delay_alu instid0(VALU_DEP_3)
	v_and_b32_e32 v6, 0xff, v7
.LBB1196_45:
	s_or_b32 exec_lo, exec_lo, s5
	v_cmp_gt_u32_e32 vcc_lo, 4, v8
	v_add_nc_u32_e32 v8, 4, v8
	s_waitcnt lgkmcnt(1)
	v_cndmask_b32_e64 v3, 0, 1, vcc_lo
	s_delay_alu instid0(VALU_DEP_2) | instskip(NEXT) | instid1(VALU_DEP_2)
	v_cmp_gt_u32_e32 vcc_lo, s3, v8
	v_lshlrev_b32_e32 v3, 2, v3
	s_waitcnt lgkmcnt(0)
	s_delay_alu instid0(VALU_DEP_1)
	v_add_lshl_u32 v4, v3, v5, 2
	ds_bpermute_b32 v5, v4, v6
	ds_bpermute_b32 v3, v4, v1
	;; [unrolled: 1-line block ×3, first 2 shown]
	s_and_saveexec_b32 s3, vcc_lo
	s_cbranch_execz .LBB1196_47
; %bb.46:
	s_waitcnt lgkmcnt(2)
	v_and_b32_e32 v6, 1, v5
	s_waitcnt lgkmcnt(0)
	v_cmp_lt_i64_e32 vcc_lo, v[3:4], v[1:2]
	s_delay_alu instid0(VALU_DEP_2) | instskip(SKIP_1) | instid1(VALU_DEP_2)
	v_cmp_eq_u32_e64 s2, 1, v6
	v_and_b32_e32 v6, 1, v7
	v_cndmask_b32_e64 v7, v7, 1, s2
	s_and_b32 vcc_lo, s2, vcc_lo
	s_delay_alu instid0(VALU_DEP_2) | instskip(SKIP_1) | instid1(VALU_DEP_2)
	v_cmp_eq_u32_e64 s2, 1, v6
	v_dual_cndmask_b32 v1, v1, v3 :: v_dual_cndmask_b32 v2, v2, v4
	v_cndmask_b32_e64 v5, v5, v7, s2
	s_delay_alu instid0(VALU_DEP_2) | instskip(NEXT) | instid1(VALU_DEP_3)
	v_cndmask_b32_e64 v1, v3, v1, s2
	v_cndmask_b32_e64 v2, v4, v2, s2
	s_delay_alu instid0(VALU_DEP_3)
	v_and_b32_e32 v6, 0xff, v5
.LBB1196_47:
	s_or_b32 exec_lo, exec_lo, s3
.LBB1196_48:
	s_delay_alu instid0(SALU_CYCLE_1)
	s_or_b32 exec_lo, exec_lo, s4
.LBB1196_49:
	s_load_b32 s0, s[0:1], 0x50
	s_mov_b32 s1, exec_lo
	v_cmpx_eq_u32_e32 0, v0
	s_cbranch_execz .LBB1196_51
; %bb.50:
	s_mul_i32 s1, s14, s13
	s_mul_hi_u32 s2, s14, s12
	s_mul_i32 s3, s15, s12
	s_add_i32 s1, s2, s1
	s_mul_i32 s2, s14, s12
	s_add_i32 s3, s1, s3
	v_mov_b32_e32 v0, 0
	s_lshl_b64 s[2:3], s[2:3], 4
	s_delay_alu instid0(SALU_CYCLE_1)
	s_add_u32 s1, s10, s2
	s_addc_u32 s4, s11, s3
	s_cmp_eq_u64 s[8:9], 0
	s_cselect_b32 s5, -1, 0
	s_lshl_b64 s[2:3], s[16:17], 4
	s_waitcnt lgkmcnt(0)
	v_cndmask_b32_e64 v3, v6, s0, s5
	v_cndmask_b32_e64 v2, v2, s7, s5
	;; [unrolled: 1-line block ×3, first 2 shown]
	s_add_u32 s0, s1, s2
	s_addc_u32 s1, s4, s3
	s_clause 0x1
	global_store_b8 v0, v3, s[0:1]
	global_store_b64 v0, v[1:2], s[0:1] offset:8
.LBB1196_51:
	s_nop 0
	s_sendmsg sendmsg(MSG_DEALLOC_VGPRS)
	s_endpgm
.LBB1196_52:
	v_lshlrev_b32_e32 v5, 3, v13
	v_add_co_u32 v16, s4, s4, v13
	s_delay_alu instid0(VALU_DEP_1) | instskip(SKIP_2) | instid1(VALU_DEP_1)
	v_add_co_ci_u32_e64 v17, null, s22, 0, s4
	global_load_b64 v[14:15], v5, s[18:19]
	v_add_co_u32 v5, s4, s20, v13
	v_add_co_ci_u32_e64 v6, null, s5, 0, s4
	s_waitcnt vmcnt(0)
	v_cmp_ne_u64_e64 s4, v[14:15], v[16:17]
	s_delay_alu instid0(VALU_DEP_1)
	v_cndmask_b32_e64 v11, 0, 1, s4
	s_or_b32 exec_lo, exec_lo, s23
	s_and_saveexec_b32 s5, vcc_lo
	s_cbranch_execz .LBB1196_25
.LBB1196_53:
	v_and_b32_e32 v13, 1, v10
	v_cmp_lt_i64_e32 vcc_lo, v[3:4], v[1:2]
	s_delay_alu instid0(VALU_DEP_2) | instskip(NEXT) | instid1(VALU_DEP_1)
	v_cmp_eq_u32_e64 s4, 1, v13
	s_and_b32 vcc_lo, s4, vcc_lo
	v_dual_cndmask_b32 v2, v2, v4 :: v_dual_and_b32 v13, 1, v9
	v_cndmask_b32_e64 v9, v9, 1, s4
	v_cndmask_b32_e32 v1, v1, v3, vcc_lo
	s_delay_alu instid0(VALU_DEP_3) | instskip(NEXT) | instid1(VALU_DEP_3)
	v_cmp_eq_u32_e32 vcc_lo, 1, v13
	v_dual_cndmask_b32 v2, v4, v2 :: v_dual_cndmask_b32 v9, v10, v9
	s_delay_alu instid0(VALU_DEP_3)
	v_cndmask_b32_e32 v1, v3, v1, vcc_lo
	s_or_b32 exec_lo, exec_lo, s5
	s_and_saveexec_b32 s4, s2
	s_cbranch_execz .LBB1196_26
.LBB1196_54:
	v_and_b32_e32 v3, 1, v12
	v_cmp_lt_i64_e32 vcc_lo, v[7:8], v[1:2]
	s_delay_alu instid0(VALU_DEP_2) | instskip(NEXT) | instid1(VALU_DEP_1)
	v_cmp_eq_u32_e64 s2, 1, v3
	s_and_b32 vcc_lo, s2, vcc_lo
	v_dual_cndmask_b32 v2, v2, v8 :: v_dual_and_b32 v3, 1, v9
	v_cndmask_b32_e64 v4, v9, 1, s2
	v_cndmask_b32_e32 v1, v1, v7, vcc_lo
	s_delay_alu instid0(VALU_DEP_3) | instskip(NEXT) | instid1(VALU_DEP_3)
	v_cmp_eq_u32_e32 vcc_lo, 1, v3
	v_cndmask_b32_e32 v9, v12, v4, vcc_lo
	s_delay_alu instid0(VALU_DEP_3)
	v_dual_cndmask_b32 v2, v8, v2 :: v_dual_cndmask_b32 v1, v7, v1
	s_or_b32 exec_lo, exec_lo, s4
	s_and_saveexec_b32 s4, s3
	s_cbranch_execnz .LBB1196_27
	s_branch .LBB1196_28
	.section	.rodata,"a",@progbits
	.p2align	6, 0x0
	.amdhsa_kernel _ZN7rocprim17ROCPRIM_400000_NS6detail17trampoline_kernelINS0_14default_configENS1_22reduce_config_selectorIN6thrust23THRUST_200600_302600_NS5tupleIblNS6_9null_typeES8_S8_S8_S8_S8_S8_S8_EEEEZNS1_11reduce_implILb1ES3_NS6_12zip_iteratorINS7_INS6_11hip_rocprim26transform_input_iterator_tIbNSD_35transform_pair_of_input_iterators_tIbNS6_6detail15normal_iteratorINS6_10device_ptrIlEEEENS6_17counting_iteratorIlNS6_11use_defaultESM_SM_EENS6_8equal_toIlEEEENSG_9not_fun_tINSD_8identityEEEEENSD_19counting_iterator_tIlEES8_S8_S8_S8_S8_S8_S8_S8_EEEEPS9_S9_NSD_9__find_if7functorIS9_EEEE10hipError_tPvRmT1_T2_T3_mT4_P12ihipStream_tbEUlT_E0_NS1_11comp_targetILNS1_3genE9ELNS1_11target_archE1100ELNS1_3gpuE3ELNS1_3repE0EEENS1_30default_config_static_selectorELNS0_4arch9wavefront6targetE0EEEvS16_
		.amdhsa_group_segment_fixed_size 256
		.amdhsa_private_segment_fixed_size 0
		.amdhsa_kernarg_size 104
		.amdhsa_user_sgpr_count 15
		.amdhsa_user_sgpr_dispatch_ptr 0
		.amdhsa_user_sgpr_queue_ptr 0
		.amdhsa_user_sgpr_kernarg_segment_ptr 1
		.amdhsa_user_sgpr_dispatch_id 0
		.amdhsa_user_sgpr_private_segment_size 0
		.amdhsa_wavefront_size32 1
		.amdhsa_uses_dynamic_stack 0
		.amdhsa_enable_private_segment 0
		.amdhsa_system_sgpr_workgroup_id_x 1
		.amdhsa_system_sgpr_workgroup_id_y 0
		.amdhsa_system_sgpr_workgroup_id_z 0
		.amdhsa_system_sgpr_workgroup_info 0
		.amdhsa_system_vgpr_workitem_id 0
		.amdhsa_next_free_vgpr 18
		.amdhsa_next_free_sgpr 28
		.amdhsa_reserve_vcc 1
		.amdhsa_float_round_mode_32 0
		.amdhsa_float_round_mode_16_64 0
		.amdhsa_float_denorm_mode_32 3
		.amdhsa_float_denorm_mode_16_64 3
		.amdhsa_dx10_clamp 1
		.amdhsa_ieee_mode 1
		.amdhsa_fp16_overflow 0
		.amdhsa_workgroup_processor_mode 1
		.amdhsa_memory_ordered 1
		.amdhsa_forward_progress 0
		.amdhsa_shared_vgpr_count 0
		.amdhsa_exception_fp_ieee_invalid_op 0
		.amdhsa_exception_fp_denorm_src 0
		.amdhsa_exception_fp_ieee_div_zero 0
		.amdhsa_exception_fp_ieee_overflow 0
		.amdhsa_exception_fp_ieee_underflow 0
		.amdhsa_exception_fp_ieee_inexact 0
		.amdhsa_exception_int_div_zero 0
	.end_amdhsa_kernel
	.section	.text._ZN7rocprim17ROCPRIM_400000_NS6detail17trampoline_kernelINS0_14default_configENS1_22reduce_config_selectorIN6thrust23THRUST_200600_302600_NS5tupleIblNS6_9null_typeES8_S8_S8_S8_S8_S8_S8_EEEEZNS1_11reduce_implILb1ES3_NS6_12zip_iteratorINS7_INS6_11hip_rocprim26transform_input_iterator_tIbNSD_35transform_pair_of_input_iterators_tIbNS6_6detail15normal_iteratorINS6_10device_ptrIlEEEENS6_17counting_iteratorIlNS6_11use_defaultESM_SM_EENS6_8equal_toIlEEEENSG_9not_fun_tINSD_8identityEEEEENSD_19counting_iterator_tIlEES8_S8_S8_S8_S8_S8_S8_S8_EEEEPS9_S9_NSD_9__find_if7functorIS9_EEEE10hipError_tPvRmT1_T2_T3_mT4_P12ihipStream_tbEUlT_E0_NS1_11comp_targetILNS1_3genE9ELNS1_11target_archE1100ELNS1_3gpuE3ELNS1_3repE0EEENS1_30default_config_static_selectorELNS0_4arch9wavefront6targetE0EEEvS16_,"axG",@progbits,_ZN7rocprim17ROCPRIM_400000_NS6detail17trampoline_kernelINS0_14default_configENS1_22reduce_config_selectorIN6thrust23THRUST_200600_302600_NS5tupleIblNS6_9null_typeES8_S8_S8_S8_S8_S8_S8_EEEEZNS1_11reduce_implILb1ES3_NS6_12zip_iteratorINS7_INS6_11hip_rocprim26transform_input_iterator_tIbNSD_35transform_pair_of_input_iterators_tIbNS6_6detail15normal_iteratorINS6_10device_ptrIlEEEENS6_17counting_iteratorIlNS6_11use_defaultESM_SM_EENS6_8equal_toIlEEEENSG_9not_fun_tINSD_8identityEEEEENSD_19counting_iterator_tIlEES8_S8_S8_S8_S8_S8_S8_S8_EEEEPS9_S9_NSD_9__find_if7functorIS9_EEEE10hipError_tPvRmT1_T2_T3_mT4_P12ihipStream_tbEUlT_E0_NS1_11comp_targetILNS1_3genE9ELNS1_11target_archE1100ELNS1_3gpuE3ELNS1_3repE0EEENS1_30default_config_static_selectorELNS0_4arch9wavefront6targetE0EEEvS16_,comdat
.Lfunc_end1196:
	.size	_ZN7rocprim17ROCPRIM_400000_NS6detail17trampoline_kernelINS0_14default_configENS1_22reduce_config_selectorIN6thrust23THRUST_200600_302600_NS5tupleIblNS6_9null_typeES8_S8_S8_S8_S8_S8_S8_EEEEZNS1_11reduce_implILb1ES3_NS6_12zip_iteratorINS7_INS6_11hip_rocprim26transform_input_iterator_tIbNSD_35transform_pair_of_input_iterators_tIbNS6_6detail15normal_iteratorINS6_10device_ptrIlEEEENS6_17counting_iteratorIlNS6_11use_defaultESM_SM_EENS6_8equal_toIlEEEENSG_9not_fun_tINSD_8identityEEEEENSD_19counting_iterator_tIlEES8_S8_S8_S8_S8_S8_S8_S8_EEEEPS9_S9_NSD_9__find_if7functorIS9_EEEE10hipError_tPvRmT1_T2_T3_mT4_P12ihipStream_tbEUlT_E0_NS1_11comp_targetILNS1_3genE9ELNS1_11target_archE1100ELNS1_3gpuE3ELNS1_3repE0EEENS1_30default_config_static_selectorELNS0_4arch9wavefront6targetE0EEEvS16_, .Lfunc_end1196-_ZN7rocprim17ROCPRIM_400000_NS6detail17trampoline_kernelINS0_14default_configENS1_22reduce_config_selectorIN6thrust23THRUST_200600_302600_NS5tupleIblNS6_9null_typeES8_S8_S8_S8_S8_S8_S8_EEEEZNS1_11reduce_implILb1ES3_NS6_12zip_iteratorINS7_INS6_11hip_rocprim26transform_input_iterator_tIbNSD_35transform_pair_of_input_iterators_tIbNS6_6detail15normal_iteratorINS6_10device_ptrIlEEEENS6_17counting_iteratorIlNS6_11use_defaultESM_SM_EENS6_8equal_toIlEEEENSG_9not_fun_tINSD_8identityEEEEENSD_19counting_iterator_tIlEES8_S8_S8_S8_S8_S8_S8_S8_EEEEPS9_S9_NSD_9__find_if7functorIS9_EEEE10hipError_tPvRmT1_T2_T3_mT4_P12ihipStream_tbEUlT_E0_NS1_11comp_targetILNS1_3genE9ELNS1_11target_archE1100ELNS1_3gpuE3ELNS1_3repE0EEENS1_30default_config_static_selectorELNS0_4arch9wavefront6targetE0EEEvS16_
                                        ; -- End function
	.section	.AMDGPU.csdata,"",@progbits
; Kernel info:
; codeLenInByte = 4116
; NumSgprs: 30
; NumVgprs: 18
; ScratchSize: 0
; MemoryBound: 0
; FloatMode: 240
; IeeeMode: 1
; LDSByteSize: 256 bytes/workgroup (compile time only)
; SGPRBlocks: 3
; VGPRBlocks: 2
; NumSGPRsForWavesPerEU: 30
; NumVGPRsForWavesPerEU: 18
; Occupancy: 16
; WaveLimiterHint : 1
; COMPUTE_PGM_RSRC2:SCRATCH_EN: 0
; COMPUTE_PGM_RSRC2:USER_SGPR: 15
; COMPUTE_PGM_RSRC2:TRAP_HANDLER: 0
; COMPUTE_PGM_RSRC2:TGID_X_EN: 1
; COMPUTE_PGM_RSRC2:TGID_Y_EN: 0
; COMPUTE_PGM_RSRC2:TGID_Z_EN: 0
; COMPUTE_PGM_RSRC2:TIDIG_COMP_CNT: 0
	.section	.text._ZN7rocprim17ROCPRIM_400000_NS6detail17trampoline_kernelINS0_14default_configENS1_22reduce_config_selectorIN6thrust23THRUST_200600_302600_NS5tupleIblNS6_9null_typeES8_S8_S8_S8_S8_S8_S8_EEEEZNS1_11reduce_implILb1ES3_NS6_12zip_iteratorINS7_INS6_11hip_rocprim26transform_input_iterator_tIbNSD_35transform_pair_of_input_iterators_tIbNS6_6detail15normal_iteratorINS6_10device_ptrIlEEEENS6_17counting_iteratorIlNS6_11use_defaultESM_SM_EENS6_8equal_toIlEEEENSG_9not_fun_tINSD_8identityEEEEENSD_19counting_iterator_tIlEES8_S8_S8_S8_S8_S8_S8_S8_EEEEPS9_S9_NSD_9__find_if7functorIS9_EEEE10hipError_tPvRmT1_T2_T3_mT4_P12ihipStream_tbEUlT_E0_NS1_11comp_targetILNS1_3genE8ELNS1_11target_archE1030ELNS1_3gpuE2ELNS1_3repE0EEENS1_30default_config_static_selectorELNS0_4arch9wavefront6targetE0EEEvS16_,"axG",@progbits,_ZN7rocprim17ROCPRIM_400000_NS6detail17trampoline_kernelINS0_14default_configENS1_22reduce_config_selectorIN6thrust23THRUST_200600_302600_NS5tupleIblNS6_9null_typeES8_S8_S8_S8_S8_S8_S8_EEEEZNS1_11reduce_implILb1ES3_NS6_12zip_iteratorINS7_INS6_11hip_rocprim26transform_input_iterator_tIbNSD_35transform_pair_of_input_iterators_tIbNS6_6detail15normal_iteratorINS6_10device_ptrIlEEEENS6_17counting_iteratorIlNS6_11use_defaultESM_SM_EENS6_8equal_toIlEEEENSG_9not_fun_tINSD_8identityEEEEENSD_19counting_iterator_tIlEES8_S8_S8_S8_S8_S8_S8_S8_EEEEPS9_S9_NSD_9__find_if7functorIS9_EEEE10hipError_tPvRmT1_T2_T3_mT4_P12ihipStream_tbEUlT_E0_NS1_11comp_targetILNS1_3genE8ELNS1_11target_archE1030ELNS1_3gpuE2ELNS1_3repE0EEENS1_30default_config_static_selectorELNS0_4arch9wavefront6targetE0EEEvS16_,comdat
	.protected	_ZN7rocprim17ROCPRIM_400000_NS6detail17trampoline_kernelINS0_14default_configENS1_22reduce_config_selectorIN6thrust23THRUST_200600_302600_NS5tupleIblNS6_9null_typeES8_S8_S8_S8_S8_S8_S8_EEEEZNS1_11reduce_implILb1ES3_NS6_12zip_iteratorINS7_INS6_11hip_rocprim26transform_input_iterator_tIbNSD_35transform_pair_of_input_iterators_tIbNS6_6detail15normal_iteratorINS6_10device_ptrIlEEEENS6_17counting_iteratorIlNS6_11use_defaultESM_SM_EENS6_8equal_toIlEEEENSG_9not_fun_tINSD_8identityEEEEENSD_19counting_iterator_tIlEES8_S8_S8_S8_S8_S8_S8_S8_EEEEPS9_S9_NSD_9__find_if7functorIS9_EEEE10hipError_tPvRmT1_T2_T3_mT4_P12ihipStream_tbEUlT_E0_NS1_11comp_targetILNS1_3genE8ELNS1_11target_archE1030ELNS1_3gpuE2ELNS1_3repE0EEENS1_30default_config_static_selectorELNS0_4arch9wavefront6targetE0EEEvS16_ ; -- Begin function _ZN7rocprim17ROCPRIM_400000_NS6detail17trampoline_kernelINS0_14default_configENS1_22reduce_config_selectorIN6thrust23THRUST_200600_302600_NS5tupleIblNS6_9null_typeES8_S8_S8_S8_S8_S8_S8_EEEEZNS1_11reduce_implILb1ES3_NS6_12zip_iteratorINS7_INS6_11hip_rocprim26transform_input_iterator_tIbNSD_35transform_pair_of_input_iterators_tIbNS6_6detail15normal_iteratorINS6_10device_ptrIlEEEENS6_17counting_iteratorIlNS6_11use_defaultESM_SM_EENS6_8equal_toIlEEEENSG_9not_fun_tINSD_8identityEEEEENSD_19counting_iterator_tIlEES8_S8_S8_S8_S8_S8_S8_S8_EEEEPS9_S9_NSD_9__find_if7functorIS9_EEEE10hipError_tPvRmT1_T2_T3_mT4_P12ihipStream_tbEUlT_E0_NS1_11comp_targetILNS1_3genE8ELNS1_11target_archE1030ELNS1_3gpuE2ELNS1_3repE0EEENS1_30default_config_static_selectorELNS0_4arch9wavefront6targetE0EEEvS16_
	.globl	_ZN7rocprim17ROCPRIM_400000_NS6detail17trampoline_kernelINS0_14default_configENS1_22reduce_config_selectorIN6thrust23THRUST_200600_302600_NS5tupleIblNS6_9null_typeES8_S8_S8_S8_S8_S8_S8_EEEEZNS1_11reduce_implILb1ES3_NS6_12zip_iteratorINS7_INS6_11hip_rocprim26transform_input_iterator_tIbNSD_35transform_pair_of_input_iterators_tIbNS6_6detail15normal_iteratorINS6_10device_ptrIlEEEENS6_17counting_iteratorIlNS6_11use_defaultESM_SM_EENS6_8equal_toIlEEEENSG_9not_fun_tINSD_8identityEEEEENSD_19counting_iterator_tIlEES8_S8_S8_S8_S8_S8_S8_S8_EEEEPS9_S9_NSD_9__find_if7functorIS9_EEEE10hipError_tPvRmT1_T2_T3_mT4_P12ihipStream_tbEUlT_E0_NS1_11comp_targetILNS1_3genE8ELNS1_11target_archE1030ELNS1_3gpuE2ELNS1_3repE0EEENS1_30default_config_static_selectorELNS0_4arch9wavefront6targetE0EEEvS16_
	.p2align	8
	.type	_ZN7rocprim17ROCPRIM_400000_NS6detail17trampoline_kernelINS0_14default_configENS1_22reduce_config_selectorIN6thrust23THRUST_200600_302600_NS5tupleIblNS6_9null_typeES8_S8_S8_S8_S8_S8_S8_EEEEZNS1_11reduce_implILb1ES3_NS6_12zip_iteratorINS7_INS6_11hip_rocprim26transform_input_iterator_tIbNSD_35transform_pair_of_input_iterators_tIbNS6_6detail15normal_iteratorINS6_10device_ptrIlEEEENS6_17counting_iteratorIlNS6_11use_defaultESM_SM_EENS6_8equal_toIlEEEENSG_9not_fun_tINSD_8identityEEEEENSD_19counting_iterator_tIlEES8_S8_S8_S8_S8_S8_S8_S8_EEEEPS9_S9_NSD_9__find_if7functorIS9_EEEE10hipError_tPvRmT1_T2_T3_mT4_P12ihipStream_tbEUlT_E0_NS1_11comp_targetILNS1_3genE8ELNS1_11target_archE1030ELNS1_3gpuE2ELNS1_3repE0EEENS1_30default_config_static_selectorELNS0_4arch9wavefront6targetE0EEEvS16_,@function
_ZN7rocprim17ROCPRIM_400000_NS6detail17trampoline_kernelINS0_14default_configENS1_22reduce_config_selectorIN6thrust23THRUST_200600_302600_NS5tupleIblNS6_9null_typeES8_S8_S8_S8_S8_S8_S8_EEEEZNS1_11reduce_implILb1ES3_NS6_12zip_iteratorINS7_INS6_11hip_rocprim26transform_input_iterator_tIbNSD_35transform_pair_of_input_iterators_tIbNS6_6detail15normal_iteratorINS6_10device_ptrIlEEEENS6_17counting_iteratorIlNS6_11use_defaultESM_SM_EENS6_8equal_toIlEEEENSG_9not_fun_tINSD_8identityEEEEENSD_19counting_iterator_tIlEES8_S8_S8_S8_S8_S8_S8_S8_EEEEPS9_S9_NSD_9__find_if7functorIS9_EEEE10hipError_tPvRmT1_T2_T3_mT4_P12ihipStream_tbEUlT_E0_NS1_11comp_targetILNS1_3genE8ELNS1_11target_archE1030ELNS1_3gpuE2ELNS1_3repE0EEENS1_30default_config_static_selectorELNS0_4arch9wavefront6targetE0EEEvS16_: ; @_ZN7rocprim17ROCPRIM_400000_NS6detail17trampoline_kernelINS0_14default_configENS1_22reduce_config_selectorIN6thrust23THRUST_200600_302600_NS5tupleIblNS6_9null_typeES8_S8_S8_S8_S8_S8_S8_EEEEZNS1_11reduce_implILb1ES3_NS6_12zip_iteratorINS7_INS6_11hip_rocprim26transform_input_iterator_tIbNSD_35transform_pair_of_input_iterators_tIbNS6_6detail15normal_iteratorINS6_10device_ptrIlEEEENS6_17counting_iteratorIlNS6_11use_defaultESM_SM_EENS6_8equal_toIlEEEENSG_9not_fun_tINSD_8identityEEEEENSD_19counting_iterator_tIlEES8_S8_S8_S8_S8_S8_S8_S8_EEEEPS9_S9_NSD_9__find_if7functorIS9_EEEE10hipError_tPvRmT1_T2_T3_mT4_P12ihipStream_tbEUlT_E0_NS1_11comp_targetILNS1_3genE8ELNS1_11target_archE1030ELNS1_3gpuE2ELNS1_3repE0EEENS1_30default_config_static_selectorELNS0_4arch9wavefront6targetE0EEEvS16_
; %bb.0:
	.section	.rodata,"a",@progbits
	.p2align	6, 0x0
	.amdhsa_kernel _ZN7rocprim17ROCPRIM_400000_NS6detail17trampoline_kernelINS0_14default_configENS1_22reduce_config_selectorIN6thrust23THRUST_200600_302600_NS5tupleIblNS6_9null_typeES8_S8_S8_S8_S8_S8_S8_EEEEZNS1_11reduce_implILb1ES3_NS6_12zip_iteratorINS7_INS6_11hip_rocprim26transform_input_iterator_tIbNSD_35transform_pair_of_input_iterators_tIbNS6_6detail15normal_iteratorINS6_10device_ptrIlEEEENS6_17counting_iteratorIlNS6_11use_defaultESM_SM_EENS6_8equal_toIlEEEENSG_9not_fun_tINSD_8identityEEEEENSD_19counting_iterator_tIlEES8_S8_S8_S8_S8_S8_S8_S8_EEEEPS9_S9_NSD_9__find_if7functorIS9_EEEE10hipError_tPvRmT1_T2_T3_mT4_P12ihipStream_tbEUlT_E0_NS1_11comp_targetILNS1_3genE8ELNS1_11target_archE1030ELNS1_3gpuE2ELNS1_3repE0EEENS1_30default_config_static_selectorELNS0_4arch9wavefront6targetE0EEEvS16_
		.amdhsa_group_segment_fixed_size 0
		.amdhsa_private_segment_fixed_size 0
		.amdhsa_kernarg_size 104
		.amdhsa_user_sgpr_count 15
		.amdhsa_user_sgpr_dispatch_ptr 0
		.amdhsa_user_sgpr_queue_ptr 0
		.amdhsa_user_sgpr_kernarg_segment_ptr 1
		.amdhsa_user_sgpr_dispatch_id 0
		.amdhsa_user_sgpr_private_segment_size 0
		.amdhsa_wavefront_size32 1
		.amdhsa_uses_dynamic_stack 0
		.amdhsa_enable_private_segment 0
		.amdhsa_system_sgpr_workgroup_id_x 1
		.amdhsa_system_sgpr_workgroup_id_y 0
		.amdhsa_system_sgpr_workgroup_id_z 0
		.amdhsa_system_sgpr_workgroup_info 0
		.amdhsa_system_vgpr_workitem_id 0
		.amdhsa_next_free_vgpr 1
		.amdhsa_next_free_sgpr 1
		.amdhsa_reserve_vcc 0
		.amdhsa_float_round_mode_32 0
		.amdhsa_float_round_mode_16_64 0
		.amdhsa_float_denorm_mode_32 3
		.amdhsa_float_denorm_mode_16_64 3
		.amdhsa_dx10_clamp 1
		.amdhsa_ieee_mode 1
		.amdhsa_fp16_overflow 0
		.amdhsa_workgroup_processor_mode 1
		.amdhsa_memory_ordered 1
		.amdhsa_forward_progress 0
		.amdhsa_shared_vgpr_count 0
		.amdhsa_exception_fp_ieee_invalid_op 0
		.amdhsa_exception_fp_denorm_src 0
		.amdhsa_exception_fp_ieee_div_zero 0
		.amdhsa_exception_fp_ieee_overflow 0
		.amdhsa_exception_fp_ieee_underflow 0
		.amdhsa_exception_fp_ieee_inexact 0
		.amdhsa_exception_int_div_zero 0
	.end_amdhsa_kernel
	.section	.text._ZN7rocprim17ROCPRIM_400000_NS6detail17trampoline_kernelINS0_14default_configENS1_22reduce_config_selectorIN6thrust23THRUST_200600_302600_NS5tupleIblNS6_9null_typeES8_S8_S8_S8_S8_S8_S8_EEEEZNS1_11reduce_implILb1ES3_NS6_12zip_iteratorINS7_INS6_11hip_rocprim26transform_input_iterator_tIbNSD_35transform_pair_of_input_iterators_tIbNS6_6detail15normal_iteratorINS6_10device_ptrIlEEEENS6_17counting_iteratorIlNS6_11use_defaultESM_SM_EENS6_8equal_toIlEEEENSG_9not_fun_tINSD_8identityEEEEENSD_19counting_iterator_tIlEES8_S8_S8_S8_S8_S8_S8_S8_EEEEPS9_S9_NSD_9__find_if7functorIS9_EEEE10hipError_tPvRmT1_T2_T3_mT4_P12ihipStream_tbEUlT_E0_NS1_11comp_targetILNS1_3genE8ELNS1_11target_archE1030ELNS1_3gpuE2ELNS1_3repE0EEENS1_30default_config_static_selectorELNS0_4arch9wavefront6targetE0EEEvS16_,"axG",@progbits,_ZN7rocprim17ROCPRIM_400000_NS6detail17trampoline_kernelINS0_14default_configENS1_22reduce_config_selectorIN6thrust23THRUST_200600_302600_NS5tupleIblNS6_9null_typeES8_S8_S8_S8_S8_S8_S8_EEEEZNS1_11reduce_implILb1ES3_NS6_12zip_iteratorINS7_INS6_11hip_rocprim26transform_input_iterator_tIbNSD_35transform_pair_of_input_iterators_tIbNS6_6detail15normal_iteratorINS6_10device_ptrIlEEEENS6_17counting_iteratorIlNS6_11use_defaultESM_SM_EENS6_8equal_toIlEEEENSG_9not_fun_tINSD_8identityEEEEENSD_19counting_iterator_tIlEES8_S8_S8_S8_S8_S8_S8_S8_EEEEPS9_S9_NSD_9__find_if7functorIS9_EEEE10hipError_tPvRmT1_T2_T3_mT4_P12ihipStream_tbEUlT_E0_NS1_11comp_targetILNS1_3genE8ELNS1_11target_archE1030ELNS1_3gpuE2ELNS1_3repE0EEENS1_30default_config_static_selectorELNS0_4arch9wavefront6targetE0EEEvS16_,comdat
.Lfunc_end1197:
	.size	_ZN7rocprim17ROCPRIM_400000_NS6detail17trampoline_kernelINS0_14default_configENS1_22reduce_config_selectorIN6thrust23THRUST_200600_302600_NS5tupleIblNS6_9null_typeES8_S8_S8_S8_S8_S8_S8_EEEEZNS1_11reduce_implILb1ES3_NS6_12zip_iteratorINS7_INS6_11hip_rocprim26transform_input_iterator_tIbNSD_35transform_pair_of_input_iterators_tIbNS6_6detail15normal_iteratorINS6_10device_ptrIlEEEENS6_17counting_iteratorIlNS6_11use_defaultESM_SM_EENS6_8equal_toIlEEEENSG_9not_fun_tINSD_8identityEEEEENSD_19counting_iterator_tIlEES8_S8_S8_S8_S8_S8_S8_S8_EEEEPS9_S9_NSD_9__find_if7functorIS9_EEEE10hipError_tPvRmT1_T2_T3_mT4_P12ihipStream_tbEUlT_E0_NS1_11comp_targetILNS1_3genE8ELNS1_11target_archE1030ELNS1_3gpuE2ELNS1_3repE0EEENS1_30default_config_static_selectorELNS0_4arch9wavefront6targetE0EEEvS16_, .Lfunc_end1197-_ZN7rocprim17ROCPRIM_400000_NS6detail17trampoline_kernelINS0_14default_configENS1_22reduce_config_selectorIN6thrust23THRUST_200600_302600_NS5tupleIblNS6_9null_typeES8_S8_S8_S8_S8_S8_S8_EEEEZNS1_11reduce_implILb1ES3_NS6_12zip_iteratorINS7_INS6_11hip_rocprim26transform_input_iterator_tIbNSD_35transform_pair_of_input_iterators_tIbNS6_6detail15normal_iteratorINS6_10device_ptrIlEEEENS6_17counting_iteratorIlNS6_11use_defaultESM_SM_EENS6_8equal_toIlEEEENSG_9not_fun_tINSD_8identityEEEEENSD_19counting_iterator_tIlEES8_S8_S8_S8_S8_S8_S8_S8_EEEEPS9_S9_NSD_9__find_if7functorIS9_EEEE10hipError_tPvRmT1_T2_T3_mT4_P12ihipStream_tbEUlT_E0_NS1_11comp_targetILNS1_3genE8ELNS1_11target_archE1030ELNS1_3gpuE2ELNS1_3repE0EEENS1_30default_config_static_selectorELNS0_4arch9wavefront6targetE0EEEvS16_
                                        ; -- End function
	.section	.AMDGPU.csdata,"",@progbits
; Kernel info:
; codeLenInByte = 0
; NumSgprs: 0
; NumVgprs: 0
; ScratchSize: 0
; MemoryBound: 0
; FloatMode: 240
; IeeeMode: 1
; LDSByteSize: 0 bytes/workgroup (compile time only)
; SGPRBlocks: 0
; VGPRBlocks: 0
; NumSGPRsForWavesPerEU: 1
; NumVGPRsForWavesPerEU: 1
; Occupancy: 16
; WaveLimiterHint : 0
; COMPUTE_PGM_RSRC2:SCRATCH_EN: 0
; COMPUTE_PGM_RSRC2:USER_SGPR: 15
; COMPUTE_PGM_RSRC2:TRAP_HANDLER: 0
; COMPUTE_PGM_RSRC2:TGID_X_EN: 1
; COMPUTE_PGM_RSRC2:TGID_Y_EN: 0
; COMPUTE_PGM_RSRC2:TGID_Z_EN: 0
; COMPUTE_PGM_RSRC2:TIDIG_COMP_CNT: 0
	.section	.text._ZN7rocprim17ROCPRIM_400000_NS6detail17trampoline_kernelINS0_14default_configENS1_22reduce_config_selectorIN6thrust23THRUST_200600_302600_NS5tupleIblNS6_9null_typeES8_S8_S8_S8_S8_S8_S8_EEEEZNS1_11reduce_implILb1ES3_NS6_12zip_iteratorINS7_INS6_11hip_rocprim26transform_input_iterator_tIbNSD_35transform_pair_of_input_iterators_tIbNS6_6detail15normal_iteratorINS6_10device_ptrIlEEEENS6_17counting_iteratorIlNS6_11use_defaultESM_SM_EENS6_8equal_toIlEEEENSG_9not_fun_tINSD_8identityEEEEENSD_19counting_iterator_tIlEES8_S8_S8_S8_S8_S8_S8_S8_EEEEPS9_S9_NSD_9__find_if7functorIS9_EEEE10hipError_tPvRmT1_T2_T3_mT4_P12ihipStream_tbEUlT_E1_NS1_11comp_targetILNS1_3genE0ELNS1_11target_archE4294967295ELNS1_3gpuE0ELNS1_3repE0EEENS1_30default_config_static_selectorELNS0_4arch9wavefront6targetE0EEEvS16_,"axG",@progbits,_ZN7rocprim17ROCPRIM_400000_NS6detail17trampoline_kernelINS0_14default_configENS1_22reduce_config_selectorIN6thrust23THRUST_200600_302600_NS5tupleIblNS6_9null_typeES8_S8_S8_S8_S8_S8_S8_EEEEZNS1_11reduce_implILb1ES3_NS6_12zip_iteratorINS7_INS6_11hip_rocprim26transform_input_iterator_tIbNSD_35transform_pair_of_input_iterators_tIbNS6_6detail15normal_iteratorINS6_10device_ptrIlEEEENS6_17counting_iteratorIlNS6_11use_defaultESM_SM_EENS6_8equal_toIlEEEENSG_9not_fun_tINSD_8identityEEEEENSD_19counting_iterator_tIlEES8_S8_S8_S8_S8_S8_S8_S8_EEEEPS9_S9_NSD_9__find_if7functorIS9_EEEE10hipError_tPvRmT1_T2_T3_mT4_P12ihipStream_tbEUlT_E1_NS1_11comp_targetILNS1_3genE0ELNS1_11target_archE4294967295ELNS1_3gpuE0ELNS1_3repE0EEENS1_30default_config_static_selectorELNS0_4arch9wavefront6targetE0EEEvS16_,comdat
	.protected	_ZN7rocprim17ROCPRIM_400000_NS6detail17trampoline_kernelINS0_14default_configENS1_22reduce_config_selectorIN6thrust23THRUST_200600_302600_NS5tupleIblNS6_9null_typeES8_S8_S8_S8_S8_S8_S8_EEEEZNS1_11reduce_implILb1ES3_NS6_12zip_iteratorINS7_INS6_11hip_rocprim26transform_input_iterator_tIbNSD_35transform_pair_of_input_iterators_tIbNS6_6detail15normal_iteratorINS6_10device_ptrIlEEEENS6_17counting_iteratorIlNS6_11use_defaultESM_SM_EENS6_8equal_toIlEEEENSG_9not_fun_tINSD_8identityEEEEENSD_19counting_iterator_tIlEES8_S8_S8_S8_S8_S8_S8_S8_EEEEPS9_S9_NSD_9__find_if7functorIS9_EEEE10hipError_tPvRmT1_T2_T3_mT4_P12ihipStream_tbEUlT_E1_NS1_11comp_targetILNS1_3genE0ELNS1_11target_archE4294967295ELNS1_3gpuE0ELNS1_3repE0EEENS1_30default_config_static_selectorELNS0_4arch9wavefront6targetE0EEEvS16_ ; -- Begin function _ZN7rocprim17ROCPRIM_400000_NS6detail17trampoline_kernelINS0_14default_configENS1_22reduce_config_selectorIN6thrust23THRUST_200600_302600_NS5tupleIblNS6_9null_typeES8_S8_S8_S8_S8_S8_S8_EEEEZNS1_11reduce_implILb1ES3_NS6_12zip_iteratorINS7_INS6_11hip_rocprim26transform_input_iterator_tIbNSD_35transform_pair_of_input_iterators_tIbNS6_6detail15normal_iteratorINS6_10device_ptrIlEEEENS6_17counting_iteratorIlNS6_11use_defaultESM_SM_EENS6_8equal_toIlEEEENSG_9not_fun_tINSD_8identityEEEEENSD_19counting_iterator_tIlEES8_S8_S8_S8_S8_S8_S8_S8_EEEEPS9_S9_NSD_9__find_if7functorIS9_EEEE10hipError_tPvRmT1_T2_T3_mT4_P12ihipStream_tbEUlT_E1_NS1_11comp_targetILNS1_3genE0ELNS1_11target_archE4294967295ELNS1_3gpuE0ELNS1_3repE0EEENS1_30default_config_static_selectorELNS0_4arch9wavefront6targetE0EEEvS16_
	.globl	_ZN7rocprim17ROCPRIM_400000_NS6detail17trampoline_kernelINS0_14default_configENS1_22reduce_config_selectorIN6thrust23THRUST_200600_302600_NS5tupleIblNS6_9null_typeES8_S8_S8_S8_S8_S8_S8_EEEEZNS1_11reduce_implILb1ES3_NS6_12zip_iteratorINS7_INS6_11hip_rocprim26transform_input_iterator_tIbNSD_35transform_pair_of_input_iterators_tIbNS6_6detail15normal_iteratorINS6_10device_ptrIlEEEENS6_17counting_iteratorIlNS6_11use_defaultESM_SM_EENS6_8equal_toIlEEEENSG_9not_fun_tINSD_8identityEEEEENSD_19counting_iterator_tIlEES8_S8_S8_S8_S8_S8_S8_S8_EEEEPS9_S9_NSD_9__find_if7functorIS9_EEEE10hipError_tPvRmT1_T2_T3_mT4_P12ihipStream_tbEUlT_E1_NS1_11comp_targetILNS1_3genE0ELNS1_11target_archE4294967295ELNS1_3gpuE0ELNS1_3repE0EEENS1_30default_config_static_selectorELNS0_4arch9wavefront6targetE0EEEvS16_
	.p2align	8
	.type	_ZN7rocprim17ROCPRIM_400000_NS6detail17trampoline_kernelINS0_14default_configENS1_22reduce_config_selectorIN6thrust23THRUST_200600_302600_NS5tupleIblNS6_9null_typeES8_S8_S8_S8_S8_S8_S8_EEEEZNS1_11reduce_implILb1ES3_NS6_12zip_iteratorINS7_INS6_11hip_rocprim26transform_input_iterator_tIbNSD_35transform_pair_of_input_iterators_tIbNS6_6detail15normal_iteratorINS6_10device_ptrIlEEEENS6_17counting_iteratorIlNS6_11use_defaultESM_SM_EENS6_8equal_toIlEEEENSG_9not_fun_tINSD_8identityEEEEENSD_19counting_iterator_tIlEES8_S8_S8_S8_S8_S8_S8_S8_EEEEPS9_S9_NSD_9__find_if7functorIS9_EEEE10hipError_tPvRmT1_T2_T3_mT4_P12ihipStream_tbEUlT_E1_NS1_11comp_targetILNS1_3genE0ELNS1_11target_archE4294967295ELNS1_3gpuE0ELNS1_3repE0EEENS1_30default_config_static_selectorELNS0_4arch9wavefront6targetE0EEEvS16_,@function
_ZN7rocprim17ROCPRIM_400000_NS6detail17trampoline_kernelINS0_14default_configENS1_22reduce_config_selectorIN6thrust23THRUST_200600_302600_NS5tupleIblNS6_9null_typeES8_S8_S8_S8_S8_S8_S8_EEEEZNS1_11reduce_implILb1ES3_NS6_12zip_iteratorINS7_INS6_11hip_rocprim26transform_input_iterator_tIbNSD_35transform_pair_of_input_iterators_tIbNS6_6detail15normal_iteratorINS6_10device_ptrIlEEEENS6_17counting_iteratorIlNS6_11use_defaultESM_SM_EENS6_8equal_toIlEEEENSG_9not_fun_tINSD_8identityEEEEENSD_19counting_iterator_tIlEES8_S8_S8_S8_S8_S8_S8_S8_EEEEPS9_S9_NSD_9__find_if7functorIS9_EEEE10hipError_tPvRmT1_T2_T3_mT4_P12ihipStream_tbEUlT_E1_NS1_11comp_targetILNS1_3genE0ELNS1_11target_archE4294967295ELNS1_3gpuE0ELNS1_3repE0EEENS1_30default_config_static_selectorELNS0_4arch9wavefront6targetE0EEEvS16_: ; @_ZN7rocprim17ROCPRIM_400000_NS6detail17trampoline_kernelINS0_14default_configENS1_22reduce_config_selectorIN6thrust23THRUST_200600_302600_NS5tupleIblNS6_9null_typeES8_S8_S8_S8_S8_S8_S8_EEEEZNS1_11reduce_implILb1ES3_NS6_12zip_iteratorINS7_INS6_11hip_rocprim26transform_input_iterator_tIbNSD_35transform_pair_of_input_iterators_tIbNS6_6detail15normal_iteratorINS6_10device_ptrIlEEEENS6_17counting_iteratorIlNS6_11use_defaultESM_SM_EENS6_8equal_toIlEEEENSG_9not_fun_tINSD_8identityEEEEENSD_19counting_iterator_tIlEES8_S8_S8_S8_S8_S8_S8_S8_EEEEPS9_S9_NSD_9__find_if7functorIS9_EEEE10hipError_tPvRmT1_T2_T3_mT4_P12ihipStream_tbEUlT_E1_NS1_11comp_targetILNS1_3genE0ELNS1_11target_archE4294967295ELNS1_3gpuE0ELNS1_3repE0EEENS1_30default_config_static_selectorELNS0_4arch9wavefront6targetE0EEEvS16_
; %bb.0:
	.section	.rodata,"a",@progbits
	.p2align	6, 0x0
	.amdhsa_kernel _ZN7rocprim17ROCPRIM_400000_NS6detail17trampoline_kernelINS0_14default_configENS1_22reduce_config_selectorIN6thrust23THRUST_200600_302600_NS5tupleIblNS6_9null_typeES8_S8_S8_S8_S8_S8_S8_EEEEZNS1_11reduce_implILb1ES3_NS6_12zip_iteratorINS7_INS6_11hip_rocprim26transform_input_iterator_tIbNSD_35transform_pair_of_input_iterators_tIbNS6_6detail15normal_iteratorINS6_10device_ptrIlEEEENS6_17counting_iteratorIlNS6_11use_defaultESM_SM_EENS6_8equal_toIlEEEENSG_9not_fun_tINSD_8identityEEEEENSD_19counting_iterator_tIlEES8_S8_S8_S8_S8_S8_S8_S8_EEEEPS9_S9_NSD_9__find_if7functorIS9_EEEE10hipError_tPvRmT1_T2_T3_mT4_P12ihipStream_tbEUlT_E1_NS1_11comp_targetILNS1_3genE0ELNS1_11target_archE4294967295ELNS1_3gpuE0ELNS1_3repE0EEENS1_30default_config_static_selectorELNS0_4arch9wavefront6targetE0EEEvS16_
		.amdhsa_group_segment_fixed_size 0
		.amdhsa_private_segment_fixed_size 0
		.amdhsa_kernarg_size 88
		.amdhsa_user_sgpr_count 15
		.amdhsa_user_sgpr_dispatch_ptr 0
		.amdhsa_user_sgpr_queue_ptr 0
		.amdhsa_user_sgpr_kernarg_segment_ptr 1
		.amdhsa_user_sgpr_dispatch_id 0
		.amdhsa_user_sgpr_private_segment_size 0
		.amdhsa_wavefront_size32 1
		.amdhsa_uses_dynamic_stack 0
		.amdhsa_enable_private_segment 0
		.amdhsa_system_sgpr_workgroup_id_x 1
		.amdhsa_system_sgpr_workgroup_id_y 0
		.amdhsa_system_sgpr_workgroup_id_z 0
		.amdhsa_system_sgpr_workgroup_info 0
		.amdhsa_system_vgpr_workitem_id 0
		.amdhsa_next_free_vgpr 1
		.amdhsa_next_free_sgpr 1
		.amdhsa_reserve_vcc 0
		.amdhsa_float_round_mode_32 0
		.amdhsa_float_round_mode_16_64 0
		.amdhsa_float_denorm_mode_32 3
		.amdhsa_float_denorm_mode_16_64 3
		.amdhsa_dx10_clamp 1
		.amdhsa_ieee_mode 1
		.amdhsa_fp16_overflow 0
		.amdhsa_workgroup_processor_mode 1
		.amdhsa_memory_ordered 1
		.amdhsa_forward_progress 0
		.amdhsa_shared_vgpr_count 0
		.amdhsa_exception_fp_ieee_invalid_op 0
		.amdhsa_exception_fp_denorm_src 0
		.amdhsa_exception_fp_ieee_div_zero 0
		.amdhsa_exception_fp_ieee_overflow 0
		.amdhsa_exception_fp_ieee_underflow 0
		.amdhsa_exception_fp_ieee_inexact 0
		.amdhsa_exception_int_div_zero 0
	.end_amdhsa_kernel
	.section	.text._ZN7rocprim17ROCPRIM_400000_NS6detail17trampoline_kernelINS0_14default_configENS1_22reduce_config_selectorIN6thrust23THRUST_200600_302600_NS5tupleIblNS6_9null_typeES8_S8_S8_S8_S8_S8_S8_EEEEZNS1_11reduce_implILb1ES3_NS6_12zip_iteratorINS7_INS6_11hip_rocprim26transform_input_iterator_tIbNSD_35transform_pair_of_input_iterators_tIbNS6_6detail15normal_iteratorINS6_10device_ptrIlEEEENS6_17counting_iteratorIlNS6_11use_defaultESM_SM_EENS6_8equal_toIlEEEENSG_9not_fun_tINSD_8identityEEEEENSD_19counting_iterator_tIlEES8_S8_S8_S8_S8_S8_S8_S8_EEEEPS9_S9_NSD_9__find_if7functorIS9_EEEE10hipError_tPvRmT1_T2_T3_mT4_P12ihipStream_tbEUlT_E1_NS1_11comp_targetILNS1_3genE0ELNS1_11target_archE4294967295ELNS1_3gpuE0ELNS1_3repE0EEENS1_30default_config_static_selectorELNS0_4arch9wavefront6targetE0EEEvS16_,"axG",@progbits,_ZN7rocprim17ROCPRIM_400000_NS6detail17trampoline_kernelINS0_14default_configENS1_22reduce_config_selectorIN6thrust23THRUST_200600_302600_NS5tupleIblNS6_9null_typeES8_S8_S8_S8_S8_S8_S8_EEEEZNS1_11reduce_implILb1ES3_NS6_12zip_iteratorINS7_INS6_11hip_rocprim26transform_input_iterator_tIbNSD_35transform_pair_of_input_iterators_tIbNS6_6detail15normal_iteratorINS6_10device_ptrIlEEEENS6_17counting_iteratorIlNS6_11use_defaultESM_SM_EENS6_8equal_toIlEEEENSG_9not_fun_tINSD_8identityEEEEENSD_19counting_iterator_tIlEES8_S8_S8_S8_S8_S8_S8_S8_EEEEPS9_S9_NSD_9__find_if7functorIS9_EEEE10hipError_tPvRmT1_T2_T3_mT4_P12ihipStream_tbEUlT_E1_NS1_11comp_targetILNS1_3genE0ELNS1_11target_archE4294967295ELNS1_3gpuE0ELNS1_3repE0EEENS1_30default_config_static_selectorELNS0_4arch9wavefront6targetE0EEEvS16_,comdat
.Lfunc_end1198:
	.size	_ZN7rocprim17ROCPRIM_400000_NS6detail17trampoline_kernelINS0_14default_configENS1_22reduce_config_selectorIN6thrust23THRUST_200600_302600_NS5tupleIblNS6_9null_typeES8_S8_S8_S8_S8_S8_S8_EEEEZNS1_11reduce_implILb1ES3_NS6_12zip_iteratorINS7_INS6_11hip_rocprim26transform_input_iterator_tIbNSD_35transform_pair_of_input_iterators_tIbNS6_6detail15normal_iteratorINS6_10device_ptrIlEEEENS6_17counting_iteratorIlNS6_11use_defaultESM_SM_EENS6_8equal_toIlEEEENSG_9not_fun_tINSD_8identityEEEEENSD_19counting_iterator_tIlEES8_S8_S8_S8_S8_S8_S8_S8_EEEEPS9_S9_NSD_9__find_if7functorIS9_EEEE10hipError_tPvRmT1_T2_T3_mT4_P12ihipStream_tbEUlT_E1_NS1_11comp_targetILNS1_3genE0ELNS1_11target_archE4294967295ELNS1_3gpuE0ELNS1_3repE0EEENS1_30default_config_static_selectorELNS0_4arch9wavefront6targetE0EEEvS16_, .Lfunc_end1198-_ZN7rocprim17ROCPRIM_400000_NS6detail17trampoline_kernelINS0_14default_configENS1_22reduce_config_selectorIN6thrust23THRUST_200600_302600_NS5tupleIblNS6_9null_typeES8_S8_S8_S8_S8_S8_S8_EEEEZNS1_11reduce_implILb1ES3_NS6_12zip_iteratorINS7_INS6_11hip_rocprim26transform_input_iterator_tIbNSD_35transform_pair_of_input_iterators_tIbNS6_6detail15normal_iteratorINS6_10device_ptrIlEEEENS6_17counting_iteratorIlNS6_11use_defaultESM_SM_EENS6_8equal_toIlEEEENSG_9not_fun_tINSD_8identityEEEEENSD_19counting_iterator_tIlEES8_S8_S8_S8_S8_S8_S8_S8_EEEEPS9_S9_NSD_9__find_if7functorIS9_EEEE10hipError_tPvRmT1_T2_T3_mT4_P12ihipStream_tbEUlT_E1_NS1_11comp_targetILNS1_3genE0ELNS1_11target_archE4294967295ELNS1_3gpuE0ELNS1_3repE0EEENS1_30default_config_static_selectorELNS0_4arch9wavefront6targetE0EEEvS16_
                                        ; -- End function
	.section	.AMDGPU.csdata,"",@progbits
; Kernel info:
; codeLenInByte = 0
; NumSgprs: 0
; NumVgprs: 0
; ScratchSize: 0
; MemoryBound: 0
; FloatMode: 240
; IeeeMode: 1
; LDSByteSize: 0 bytes/workgroup (compile time only)
; SGPRBlocks: 0
; VGPRBlocks: 0
; NumSGPRsForWavesPerEU: 1
; NumVGPRsForWavesPerEU: 1
; Occupancy: 16
; WaveLimiterHint : 0
; COMPUTE_PGM_RSRC2:SCRATCH_EN: 0
; COMPUTE_PGM_RSRC2:USER_SGPR: 15
; COMPUTE_PGM_RSRC2:TRAP_HANDLER: 0
; COMPUTE_PGM_RSRC2:TGID_X_EN: 1
; COMPUTE_PGM_RSRC2:TGID_Y_EN: 0
; COMPUTE_PGM_RSRC2:TGID_Z_EN: 0
; COMPUTE_PGM_RSRC2:TIDIG_COMP_CNT: 0
	.section	.text._ZN7rocprim17ROCPRIM_400000_NS6detail17trampoline_kernelINS0_14default_configENS1_22reduce_config_selectorIN6thrust23THRUST_200600_302600_NS5tupleIblNS6_9null_typeES8_S8_S8_S8_S8_S8_S8_EEEEZNS1_11reduce_implILb1ES3_NS6_12zip_iteratorINS7_INS6_11hip_rocprim26transform_input_iterator_tIbNSD_35transform_pair_of_input_iterators_tIbNS6_6detail15normal_iteratorINS6_10device_ptrIlEEEENS6_17counting_iteratorIlNS6_11use_defaultESM_SM_EENS6_8equal_toIlEEEENSG_9not_fun_tINSD_8identityEEEEENSD_19counting_iterator_tIlEES8_S8_S8_S8_S8_S8_S8_S8_EEEEPS9_S9_NSD_9__find_if7functorIS9_EEEE10hipError_tPvRmT1_T2_T3_mT4_P12ihipStream_tbEUlT_E1_NS1_11comp_targetILNS1_3genE5ELNS1_11target_archE942ELNS1_3gpuE9ELNS1_3repE0EEENS1_30default_config_static_selectorELNS0_4arch9wavefront6targetE0EEEvS16_,"axG",@progbits,_ZN7rocprim17ROCPRIM_400000_NS6detail17trampoline_kernelINS0_14default_configENS1_22reduce_config_selectorIN6thrust23THRUST_200600_302600_NS5tupleIblNS6_9null_typeES8_S8_S8_S8_S8_S8_S8_EEEEZNS1_11reduce_implILb1ES3_NS6_12zip_iteratorINS7_INS6_11hip_rocprim26transform_input_iterator_tIbNSD_35transform_pair_of_input_iterators_tIbNS6_6detail15normal_iteratorINS6_10device_ptrIlEEEENS6_17counting_iteratorIlNS6_11use_defaultESM_SM_EENS6_8equal_toIlEEEENSG_9not_fun_tINSD_8identityEEEEENSD_19counting_iterator_tIlEES8_S8_S8_S8_S8_S8_S8_S8_EEEEPS9_S9_NSD_9__find_if7functorIS9_EEEE10hipError_tPvRmT1_T2_T3_mT4_P12ihipStream_tbEUlT_E1_NS1_11comp_targetILNS1_3genE5ELNS1_11target_archE942ELNS1_3gpuE9ELNS1_3repE0EEENS1_30default_config_static_selectorELNS0_4arch9wavefront6targetE0EEEvS16_,comdat
	.protected	_ZN7rocprim17ROCPRIM_400000_NS6detail17trampoline_kernelINS0_14default_configENS1_22reduce_config_selectorIN6thrust23THRUST_200600_302600_NS5tupleIblNS6_9null_typeES8_S8_S8_S8_S8_S8_S8_EEEEZNS1_11reduce_implILb1ES3_NS6_12zip_iteratorINS7_INS6_11hip_rocprim26transform_input_iterator_tIbNSD_35transform_pair_of_input_iterators_tIbNS6_6detail15normal_iteratorINS6_10device_ptrIlEEEENS6_17counting_iteratorIlNS6_11use_defaultESM_SM_EENS6_8equal_toIlEEEENSG_9not_fun_tINSD_8identityEEEEENSD_19counting_iterator_tIlEES8_S8_S8_S8_S8_S8_S8_S8_EEEEPS9_S9_NSD_9__find_if7functorIS9_EEEE10hipError_tPvRmT1_T2_T3_mT4_P12ihipStream_tbEUlT_E1_NS1_11comp_targetILNS1_3genE5ELNS1_11target_archE942ELNS1_3gpuE9ELNS1_3repE0EEENS1_30default_config_static_selectorELNS0_4arch9wavefront6targetE0EEEvS16_ ; -- Begin function _ZN7rocprim17ROCPRIM_400000_NS6detail17trampoline_kernelINS0_14default_configENS1_22reduce_config_selectorIN6thrust23THRUST_200600_302600_NS5tupleIblNS6_9null_typeES8_S8_S8_S8_S8_S8_S8_EEEEZNS1_11reduce_implILb1ES3_NS6_12zip_iteratorINS7_INS6_11hip_rocprim26transform_input_iterator_tIbNSD_35transform_pair_of_input_iterators_tIbNS6_6detail15normal_iteratorINS6_10device_ptrIlEEEENS6_17counting_iteratorIlNS6_11use_defaultESM_SM_EENS6_8equal_toIlEEEENSG_9not_fun_tINSD_8identityEEEEENSD_19counting_iterator_tIlEES8_S8_S8_S8_S8_S8_S8_S8_EEEEPS9_S9_NSD_9__find_if7functorIS9_EEEE10hipError_tPvRmT1_T2_T3_mT4_P12ihipStream_tbEUlT_E1_NS1_11comp_targetILNS1_3genE5ELNS1_11target_archE942ELNS1_3gpuE9ELNS1_3repE0EEENS1_30default_config_static_selectorELNS0_4arch9wavefront6targetE0EEEvS16_
	.globl	_ZN7rocprim17ROCPRIM_400000_NS6detail17trampoline_kernelINS0_14default_configENS1_22reduce_config_selectorIN6thrust23THRUST_200600_302600_NS5tupleIblNS6_9null_typeES8_S8_S8_S8_S8_S8_S8_EEEEZNS1_11reduce_implILb1ES3_NS6_12zip_iteratorINS7_INS6_11hip_rocprim26transform_input_iterator_tIbNSD_35transform_pair_of_input_iterators_tIbNS6_6detail15normal_iteratorINS6_10device_ptrIlEEEENS6_17counting_iteratorIlNS6_11use_defaultESM_SM_EENS6_8equal_toIlEEEENSG_9not_fun_tINSD_8identityEEEEENSD_19counting_iterator_tIlEES8_S8_S8_S8_S8_S8_S8_S8_EEEEPS9_S9_NSD_9__find_if7functorIS9_EEEE10hipError_tPvRmT1_T2_T3_mT4_P12ihipStream_tbEUlT_E1_NS1_11comp_targetILNS1_3genE5ELNS1_11target_archE942ELNS1_3gpuE9ELNS1_3repE0EEENS1_30default_config_static_selectorELNS0_4arch9wavefront6targetE0EEEvS16_
	.p2align	8
	.type	_ZN7rocprim17ROCPRIM_400000_NS6detail17trampoline_kernelINS0_14default_configENS1_22reduce_config_selectorIN6thrust23THRUST_200600_302600_NS5tupleIblNS6_9null_typeES8_S8_S8_S8_S8_S8_S8_EEEEZNS1_11reduce_implILb1ES3_NS6_12zip_iteratorINS7_INS6_11hip_rocprim26transform_input_iterator_tIbNSD_35transform_pair_of_input_iterators_tIbNS6_6detail15normal_iteratorINS6_10device_ptrIlEEEENS6_17counting_iteratorIlNS6_11use_defaultESM_SM_EENS6_8equal_toIlEEEENSG_9not_fun_tINSD_8identityEEEEENSD_19counting_iterator_tIlEES8_S8_S8_S8_S8_S8_S8_S8_EEEEPS9_S9_NSD_9__find_if7functorIS9_EEEE10hipError_tPvRmT1_T2_T3_mT4_P12ihipStream_tbEUlT_E1_NS1_11comp_targetILNS1_3genE5ELNS1_11target_archE942ELNS1_3gpuE9ELNS1_3repE0EEENS1_30default_config_static_selectorELNS0_4arch9wavefront6targetE0EEEvS16_,@function
_ZN7rocprim17ROCPRIM_400000_NS6detail17trampoline_kernelINS0_14default_configENS1_22reduce_config_selectorIN6thrust23THRUST_200600_302600_NS5tupleIblNS6_9null_typeES8_S8_S8_S8_S8_S8_S8_EEEEZNS1_11reduce_implILb1ES3_NS6_12zip_iteratorINS7_INS6_11hip_rocprim26transform_input_iterator_tIbNSD_35transform_pair_of_input_iterators_tIbNS6_6detail15normal_iteratorINS6_10device_ptrIlEEEENS6_17counting_iteratorIlNS6_11use_defaultESM_SM_EENS6_8equal_toIlEEEENSG_9not_fun_tINSD_8identityEEEEENSD_19counting_iterator_tIlEES8_S8_S8_S8_S8_S8_S8_S8_EEEEPS9_S9_NSD_9__find_if7functorIS9_EEEE10hipError_tPvRmT1_T2_T3_mT4_P12ihipStream_tbEUlT_E1_NS1_11comp_targetILNS1_3genE5ELNS1_11target_archE942ELNS1_3gpuE9ELNS1_3repE0EEENS1_30default_config_static_selectorELNS0_4arch9wavefront6targetE0EEEvS16_: ; @_ZN7rocprim17ROCPRIM_400000_NS6detail17trampoline_kernelINS0_14default_configENS1_22reduce_config_selectorIN6thrust23THRUST_200600_302600_NS5tupleIblNS6_9null_typeES8_S8_S8_S8_S8_S8_S8_EEEEZNS1_11reduce_implILb1ES3_NS6_12zip_iteratorINS7_INS6_11hip_rocprim26transform_input_iterator_tIbNSD_35transform_pair_of_input_iterators_tIbNS6_6detail15normal_iteratorINS6_10device_ptrIlEEEENS6_17counting_iteratorIlNS6_11use_defaultESM_SM_EENS6_8equal_toIlEEEENSG_9not_fun_tINSD_8identityEEEEENSD_19counting_iterator_tIlEES8_S8_S8_S8_S8_S8_S8_S8_EEEEPS9_S9_NSD_9__find_if7functorIS9_EEEE10hipError_tPvRmT1_T2_T3_mT4_P12ihipStream_tbEUlT_E1_NS1_11comp_targetILNS1_3genE5ELNS1_11target_archE942ELNS1_3gpuE9ELNS1_3repE0EEENS1_30default_config_static_selectorELNS0_4arch9wavefront6targetE0EEEvS16_
; %bb.0:
	.section	.rodata,"a",@progbits
	.p2align	6, 0x0
	.amdhsa_kernel _ZN7rocprim17ROCPRIM_400000_NS6detail17trampoline_kernelINS0_14default_configENS1_22reduce_config_selectorIN6thrust23THRUST_200600_302600_NS5tupleIblNS6_9null_typeES8_S8_S8_S8_S8_S8_S8_EEEEZNS1_11reduce_implILb1ES3_NS6_12zip_iteratorINS7_INS6_11hip_rocprim26transform_input_iterator_tIbNSD_35transform_pair_of_input_iterators_tIbNS6_6detail15normal_iteratorINS6_10device_ptrIlEEEENS6_17counting_iteratorIlNS6_11use_defaultESM_SM_EENS6_8equal_toIlEEEENSG_9not_fun_tINSD_8identityEEEEENSD_19counting_iterator_tIlEES8_S8_S8_S8_S8_S8_S8_S8_EEEEPS9_S9_NSD_9__find_if7functorIS9_EEEE10hipError_tPvRmT1_T2_T3_mT4_P12ihipStream_tbEUlT_E1_NS1_11comp_targetILNS1_3genE5ELNS1_11target_archE942ELNS1_3gpuE9ELNS1_3repE0EEENS1_30default_config_static_selectorELNS0_4arch9wavefront6targetE0EEEvS16_
		.amdhsa_group_segment_fixed_size 0
		.amdhsa_private_segment_fixed_size 0
		.amdhsa_kernarg_size 88
		.amdhsa_user_sgpr_count 15
		.amdhsa_user_sgpr_dispatch_ptr 0
		.amdhsa_user_sgpr_queue_ptr 0
		.amdhsa_user_sgpr_kernarg_segment_ptr 1
		.amdhsa_user_sgpr_dispatch_id 0
		.amdhsa_user_sgpr_private_segment_size 0
		.amdhsa_wavefront_size32 1
		.amdhsa_uses_dynamic_stack 0
		.amdhsa_enable_private_segment 0
		.amdhsa_system_sgpr_workgroup_id_x 1
		.amdhsa_system_sgpr_workgroup_id_y 0
		.amdhsa_system_sgpr_workgroup_id_z 0
		.amdhsa_system_sgpr_workgroup_info 0
		.amdhsa_system_vgpr_workitem_id 0
		.amdhsa_next_free_vgpr 1
		.amdhsa_next_free_sgpr 1
		.amdhsa_reserve_vcc 0
		.amdhsa_float_round_mode_32 0
		.amdhsa_float_round_mode_16_64 0
		.amdhsa_float_denorm_mode_32 3
		.amdhsa_float_denorm_mode_16_64 3
		.amdhsa_dx10_clamp 1
		.amdhsa_ieee_mode 1
		.amdhsa_fp16_overflow 0
		.amdhsa_workgroup_processor_mode 1
		.amdhsa_memory_ordered 1
		.amdhsa_forward_progress 0
		.amdhsa_shared_vgpr_count 0
		.amdhsa_exception_fp_ieee_invalid_op 0
		.amdhsa_exception_fp_denorm_src 0
		.amdhsa_exception_fp_ieee_div_zero 0
		.amdhsa_exception_fp_ieee_overflow 0
		.amdhsa_exception_fp_ieee_underflow 0
		.amdhsa_exception_fp_ieee_inexact 0
		.amdhsa_exception_int_div_zero 0
	.end_amdhsa_kernel
	.section	.text._ZN7rocprim17ROCPRIM_400000_NS6detail17trampoline_kernelINS0_14default_configENS1_22reduce_config_selectorIN6thrust23THRUST_200600_302600_NS5tupleIblNS6_9null_typeES8_S8_S8_S8_S8_S8_S8_EEEEZNS1_11reduce_implILb1ES3_NS6_12zip_iteratorINS7_INS6_11hip_rocprim26transform_input_iterator_tIbNSD_35transform_pair_of_input_iterators_tIbNS6_6detail15normal_iteratorINS6_10device_ptrIlEEEENS6_17counting_iteratorIlNS6_11use_defaultESM_SM_EENS6_8equal_toIlEEEENSG_9not_fun_tINSD_8identityEEEEENSD_19counting_iterator_tIlEES8_S8_S8_S8_S8_S8_S8_S8_EEEEPS9_S9_NSD_9__find_if7functorIS9_EEEE10hipError_tPvRmT1_T2_T3_mT4_P12ihipStream_tbEUlT_E1_NS1_11comp_targetILNS1_3genE5ELNS1_11target_archE942ELNS1_3gpuE9ELNS1_3repE0EEENS1_30default_config_static_selectorELNS0_4arch9wavefront6targetE0EEEvS16_,"axG",@progbits,_ZN7rocprim17ROCPRIM_400000_NS6detail17trampoline_kernelINS0_14default_configENS1_22reduce_config_selectorIN6thrust23THRUST_200600_302600_NS5tupleIblNS6_9null_typeES8_S8_S8_S8_S8_S8_S8_EEEEZNS1_11reduce_implILb1ES3_NS6_12zip_iteratorINS7_INS6_11hip_rocprim26transform_input_iterator_tIbNSD_35transform_pair_of_input_iterators_tIbNS6_6detail15normal_iteratorINS6_10device_ptrIlEEEENS6_17counting_iteratorIlNS6_11use_defaultESM_SM_EENS6_8equal_toIlEEEENSG_9not_fun_tINSD_8identityEEEEENSD_19counting_iterator_tIlEES8_S8_S8_S8_S8_S8_S8_S8_EEEEPS9_S9_NSD_9__find_if7functorIS9_EEEE10hipError_tPvRmT1_T2_T3_mT4_P12ihipStream_tbEUlT_E1_NS1_11comp_targetILNS1_3genE5ELNS1_11target_archE942ELNS1_3gpuE9ELNS1_3repE0EEENS1_30default_config_static_selectorELNS0_4arch9wavefront6targetE0EEEvS16_,comdat
.Lfunc_end1199:
	.size	_ZN7rocprim17ROCPRIM_400000_NS6detail17trampoline_kernelINS0_14default_configENS1_22reduce_config_selectorIN6thrust23THRUST_200600_302600_NS5tupleIblNS6_9null_typeES8_S8_S8_S8_S8_S8_S8_EEEEZNS1_11reduce_implILb1ES3_NS6_12zip_iteratorINS7_INS6_11hip_rocprim26transform_input_iterator_tIbNSD_35transform_pair_of_input_iterators_tIbNS6_6detail15normal_iteratorINS6_10device_ptrIlEEEENS6_17counting_iteratorIlNS6_11use_defaultESM_SM_EENS6_8equal_toIlEEEENSG_9not_fun_tINSD_8identityEEEEENSD_19counting_iterator_tIlEES8_S8_S8_S8_S8_S8_S8_S8_EEEEPS9_S9_NSD_9__find_if7functorIS9_EEEE10hipError_tPvRmT1_T2_T3_mT4_P12ihipStream_tbEUlT_E1_NS1_11comp_targetILNS1_3genE5ELNS1_11target_archE942ELNS1_3gpuE9ELNS1_3repE0EEENS1_30default_config_static_selectorELNS0_4arch9wavefront6targetE0EEEvS16_, .Lfunc_end1199-_ZN7rocprim17ROCPRIM_400000_NS6detail17trampoline_kernelINS0_14default_configENS1_22reduce_config_selectorIN6thrust23THRUST_200600_302600_NS5tupleIblNS6_9null_typeES8_S8_S8_S8_S8_S8_S8_EEEEZNS1_11reduce_implILb1ES3_NS6_12zip_iteratorINS7_INS6_11hip_rocprim26transform_input_iterator_tIbNSD_35transform_pair_of_input_iterators_tIbNS6_6detail15normal_iteratorINS6_10device_ptrIlEEEENS6_17counting_iteratorIlNS6_11use_defaultESM_SM_EENS6_8equal_toIlEEEENSG_9not_fun_tINSD_8identityEEEEENSD_19counting_iterator_tIlEES8_S8_S8_S8_S8_S8_S8_S8_EEEEPS9_S9_NSD_9__find_if7functorIS9_EEEE10hipError_tPvRmT1_T2_T3_mT4_P12ihipStream_tbEUlT_E1_NS1_11comp_targetILNS1_3genE5ELNS1_11target_archE942ELNS1_3gpuE9ELNS1_3repE0EEENS1_30default_config_static_selectorELNS0_4arch9wavefront6targetE0EEEvS16_
                                        ; -- End function
	.section	.AMDGPU.csdata,"",@progbits
; Kernel info:
; codeLenInByte = 0
; NumSgprs: 0
; NumVgprs: 0
; ScratchSize: 0
; MemoryBound: 0
; FloatMode: 240
; IeeeMode: 1
; LDSByteSize: 0 bytes/workgroup (compile time only)
; SGPRBlocks: 0
; VGPRBlocks: 0
; NumSGPRsForWavesPerEU: 1
; NumVGPRsForWavesPerEU: 1
; Occupancy: 16
; WaveLimiterHint : 0
; COMPUTE_PGM_RSRC2:SCRATCH_EN: 0
; COMPUTE_PGM_RSRC2:USER_SGPR: 15
; COMPUTE_PGM_RSRC2:TRAP_HANDLER: 0
; COMPUTE_PGM_RSRC2:TGID_X_EN: 1
; COMPUTE_PGM_RSRC2:TGID_Y_EN: 0
; COMPUTE_PGM_RSRC2:TGID_Z_EN: 0
; COMPUTE_PGM_RSRC2:TIDIG_COMP_CNT: 0
	.section	.text._ZN7rocprim17ROCPRIM_400000_NS6detail17trampoline_kernelINS0_14default_configENS1_22reduce_config_selectorIN6thrust23THRUST_200600_302600_NS5tupleIblNS6_9null_typeES8_S8_S8_S8_S8_S8_S8_EEEEZNS1_11reduce_implILb1ES3_NS6_12zip_iteratorINS7_INS6_11hip_rocprim26transform_input_iterator_tIbNSD_35transform_pair_of_input_iterators_tIbNS6_6detail15normal_iteratorINS6_10device_ptrIlEEEENS6_17counting_iteratorIlNS6_11use_defaultESM_SM_EENS6_8equal_toIlEEEENSG_9not_fun_tINSD_8identityEEEEENSD_19counting_iterator_tIlEES8_S8_S8_S8_S8_S8_S8_S8_EEEEPS9_S9_NSD_9__find_if7functorIS9_EEEE10hipError_tPvRmT1_T2_T3_mT4_P12ihipStream_tbEUlT_E1_NS1_11comp_targetILNS1_3genE4ELNS1_11target_archE910ELNS1_3gpuE8ELNS1_3repE0EEENS1_30default_config_static_selectorELNS0_4arch9wavefront6targetE0EEEvS16_,"axG",@progbits,_ZN7rocprim17ROCPRIM_400000_NS6detail17trampoline_kernelINS0_14default_configENS1_22reduce_config_selectorIN6thrust23THRUST_200600_302600_NS5tupleIblNS6_9null_typeES8_S8_S8_S8_S8_S8_S8_EEEEZNS1_11reduce_implILb1ES3_NS6_12zip_iteratorINS7_INS6_11hip_rocprim26transform_input_iterator_tIbNSD_35transform_pair_of_input_iterators_tIbNS6_6detail15normal_iteratorINS6_10device_ptrIlEEEENS6_17counting_iteratorIlNS6_11use_defaultESM_SM_EENS6_8equal_toIlEEEENSG_9not_fun_tINSD_8identityEEEEENSD_19counting_iterator_tIlEES8_S8_S8_S8_S8_S8_S8_S8_EEEEPS9_S9_NSD_9__find_if7functorIS9_EEEE10hipError_tPvRmT1_T2_T3_mT4_P12ihipStream_tbEUlT_E1_NS1_11comp_targetILNS1_3genE4ELNS1_11target_archE910ELNS1_3gpuE8ELNS1_3repE0EEENS1_30default_config_static_selectorELNS0_4arch9wavefront6targetE0EEEvS16_,comdat
	.protected	_ZN7rocprim17ROCPRIM_400000_NS6detail17trampoline_kernelINS0_14default_configENS1_22reduce_config_selectorIN6thrust23THRUST_200600_302600_NS5tupleIblNS6_9null_typeES8_S8_S8_S8_S8_S8_S8_EEEEZNS1_11reduce_implILb1ES3_NS6_12zip_iteratorINS7_INS6_11hip_rocprim26transform_input_iterator_tIbNSD_35transform_pair_of_input_iterators_tIbNS6_6detail15normal_iteratorINS6_10device_ptrIlEEEENS6_17counting_iteratorIlNS6_11use_defaultESM_SM_EENS6_8equal_toIlEEEENSG_9not_fun_tINSD_8identityEEEEENSD_19counting_iterator_tIlEES8_S8_S8_S8_S8_S8_S8_S8_EEEEPS9_S9_NSD_9__find_if7functorIS9_EEEE10hipError_tPvRmT1_T2_T3_mT4_P12ihipStream_tbEUlT_E1_NS1_11comp_targetILNS1_3genE4ELNS1_11target_archE910ELNS1_3gpuE8ELNS1_3repE0EEENS1_30default_config_static_selectorELNS0_4arch9wavefront6targetE0EEEvS16_ ; -- Begin function _ZN7rocprim17ROCPRIM_400000_NS6detail17trampoline_kernelINS0_14default_configENS1_22reduce_config_selectorIN6thrust23THRUST_200600_302600_NS5tupleIblNS6_9null_typeES8_S8_S8_S8_S8_S8_S8_EEEEZNS1_11reduce_implILb1ES3_NS6_12zip_iteratorINS7_INS6_11hip_rocprim26transform_input_iterator_tIbNSD_35transform_pair_of_input_iterators_tIbNS6_6detail15normal_iteratorINS6_10device_ptrIlEEEENS6_17counting_iteratorIlNS6_11use_defaultESM_SM_EENS6_8equal_toIlEEEENSG_9not_fun_tINSD_8identityEEEEENSD_19counting_iterator_tIlEES8_S8_S8_S8_S8_S8_S8_S8_EEEEPS9_S9_NSD_9__find_if7functorIS9_EEEE10hipError_tPvRmT1_T2_T3_mT4_P12ihipStream_tbEUlT_E1_NS1_11comp_targetILNS1_3genE4ELNS1_11target_archE910ELNS1_3gpuE8ELNS1_3repE0EEENS1_30default_config_static_selectorELNS0_4arch9wavefront6targetE0EEEvS16_
	.globl	_ZN7rocprim17ROCPRIM_400000_NS6detail17trampoline_kernelINS0_14default_configENS1_22reduce_config_selectorIN6thrust23THRUST_200600_302600_NS5tupleIblNS6_9null_typeES8_S8_S8_S8_S8_S8_S8_EEEEZNS1_11reduce_implILb1ES3_NS6_12zip_iteratorINS7_INS6_11hip_rocprim26transform_input_iterator_tIbNSD_35transform_pair_of_input_iterators_tIbNS6_6detail15normal_iteratorINS6_10device_ptrIlEEEENS6_17counting_iteratorIlNS6_11use_defaultESM_SM_EENS6_8equal_toIlEEEENSG_9not_fun_tINSD_8identityEEEEENSD_19counting_iterator_tIlEES8_S8_S8_S8_S8_S8_S8_S8_EEEEPS9_S9_NSD_9__find_if7functorIS9_EEEE10hipError_tPvRmT1_T2_T3_mT4_P12ihipStream_tbEUlT_E1_NS1_11comp_targetILNS1_3genE4ELNS1_11target_archE910ELNS1_3gpuE8ELNS1_3repE0EEENS1_30default_config_static_selectorELNS0_4arch9wavefront6targetE0EEEvS16_
	.p2align	8
	.type	_ZN7rocprim17ROCPRIM_400000_NS6detail17trampoline_kernelINS0_14default_configENS1_22reduce_config_selectorIN6thrust23THRUST_200600_302600_NS5tupleIblNS6_9null_typeES8_S8_S8_S8_S8_S8_S8_EEEEZNS1_11reduce_implILb1ES3_NS6_12zip_iteratorINS7_INS6_11hip_rocprim26transform_input_iterator_tIbNSD_35transform_pair_of_input_iterators_tIbNS6_6detail15normal_iteratorINS6_10device_ptrIlEEEENS6_17counting_iteratorIlNS6_11use_defaultESM_SM_EENS6_8equal_toIlEEEENSG_9not_fun_tINSD_8identityEEEEENSD_19counting_iterator_tIlEES8_S8_S8_S8_S8_S8_S8_S8_EEEEPS9_S9_NSD_9__find_if7functorIS9_EEEE10hipError_tPvRmT1_T2_T3_mT4_P12ihipStream_tbEUlT_E1_NS1_11comp_targetILNS1_3genE4ELNS1_11target_archE910ELNS1_3gpuE8ELNS1_3repE0EEENS1_30default_config_static_selectorELNS0_4arch9wavefront6targetE0EEEvS16_,@function
_ZN7rocprim17ROCPRIM_400000_NS6detail17trampoline_kernelINS0_14default_configENS1_22reduce_config_selectorIN6thrust23THRUST_200600_302600_NS5tupleIblNS6_9null_typeES8_S8_S8_S8_S8_S8_S8_EEEEZNS1_11reduce_implILb1ES3_NS6_12zip_iteratorINS7_INS6_11hip_rocprim26transform_input_iterator_tIbNSD_35transform_pair_of_input_iterators_tIbNS6_6detail15normal_iteratorINS6_10device_ptrIlEEEENS6_17counting_iteratorIlNS6_11use_defaultESM_SM_EENS6_8equal_toIlEEEENSG_9not_fun_tINSD_8identityEEEEENSD_19counting_iterator_tIlEES8_S8_S8_S8_S8_S8_S8_S8_EEEEPS9_S9_NSD_9__find_if7functorIS9_EEEE10hipError_tPvRmT1_T2_T3_mT4_P12ihipStream_tbEUlT_E1_NS1_11comp_targetILNS1_3genE4ELNS1_11target_archE910ELNS1_3gpuE8ELNS1_3repE0EEENS1_30default_config_static_selectorELNS0_4arch9wavefront6targetE0EEEvS16_: ; @_ZN7rocprim17ROCPRIM_400000_NS6detail17trampoline_kernelINS0_14default_configENS1_22reduce_config_selectorIN6thrust23THRUST_200600_302600_NS5tupleIblNS6_9null_typeES8_S8_S8_S8_S8_S8_S8_EEEEZNS1_11reduce_implILb1ES3_NS6_12zip_iteratorINS7_INS6_11hip_rocprim26transform_input_iterator_tIbNSD_35transform_pair_of_input_iterators_tIbNS6_6detail15normal_iteratorINS6_10device_ptrIlEEEENS6_17counting_iteratorIlNS6_11use_defaultESM_SM_EENS6_8equal_toIlEEEENSG_9not_fun_tINSD_8identityEEEEENSD_19counting_iterator_tIlEES8_S8_S8_S8_S8_S8_S8_S8_EEEEPS9_S9_NSD_9__find_if7functorIS9_EEEE10hipError_tPvRmT1_T2_T3_mT4_P12ihipStream_tbEUlT_E1_NS1_11comp_targetILNS1_3genE4ELNS1_11target_archE910ELNS1_3gpuE8ELNS1_3repE0EEENS1_30default_config_static_selectorELNS0_4arch9wavefront6targetE0EEEvS16_
; %bb.0:
	.section	.rodata,"a",@progbits
	.p2align	6, 0x0
	.amdhsa_kernel _ZN7rocprim17ROCPRIM_400000_NS6detail17trampoline_kernelINS0_14default_configENS1_22reduce_config_selectorIN6thrust23THRUST_200600_302600_NS5tupleIblNS6_9null_typeES8_S8_S8_S8_S8_S8_S8_EEEEZNS1_11reduce_implILb1ES3_NS6_12zip_iteratorINS7_INS6_11hip_rocprim26transform_input_iterator_tIbNSD_35transform_pair_of_input_iterators_tIbNS6_6detail15normal_iteratorINS6_10device_ptrIlEEEENS6_17counting_iteratorIlNS6_11use_defaultESM_SM_EENS6_8equal_toIlEEEENSG_9not_fun_tINSD_8identityEEEEENSD_19counting_iterator_tIlEES8_S8_S8_S8_S8_S8_S8_S8_EEEEPS9_S9_NSD_9__find_if7functorIS9_EEEE10hipError_tPvRmT1_T2_T3_mT4_P12ihipStream_tbEUlT_E1_NS1_11comp_targetILNS1_3genE4ELNS1_11target_archE910ELNS1_3gpuE8ELNS1_3repE0EEENS1_30default_config_static_selectorELNS0_4arch9wavefront6targetE0EEEvS16_
		.amdhsa_group_segment_fixed_size 0
		.amdhsa_private_segment_fixed_size 0
		.amdhsa_kernarg_size 88
		.amdhsa_user_sgpr_count 15
		.amdhsa_user_sgpr_dispatch_ptr 0
		.amdhsa_user_sgpr_queue_ptr 0
		.amdhsa_user_sgpr_kernarg_segment_ptr 1
		.amdhsa_user_sgpr_dispatch_id 0
		.amdhsa_user_sgpr_private_segment_size 0
		.amdhsa_wavefront_size32 1
		.amdhsa_uses_dynamic_stack 0
		.amdhsa_enable_private_segment 0
		.amdhsa_system_sgpr_workgroup_id_x 1
		.amdhsa_system_sgpr_workgroup_id_y 0
		.amdhsa_system_sgpr_workgroup_id_z 0
		.amdhsa_system_sgpr_workgroup_info 0
		.amdhsa_system_vgpr_workitem_id 0
		.amdhsa_next_free_vgpr 1
		.amdhsa_next_free_sgpr 1
		.amdhsa_reserve_vcc 0
		.amdhsa_float_round_mode_32 0
		.amdhsa_float_round_mode_16_64 0
		.amdhsa_float_denorm_mode_32 3
		.amdhsa_float_denorm_mode_16_64 3
		.amdhsa_dx10_clamp 1
		.amdhsa_ieee_mode 1
		.amdhsa_fp16_overflow 0
		.amdhsa_workgroup_processor_mode 1
		.amdhsa_memory_ordered 1
		.amdhsa_forward_progress 0
		.amdhsa_shared_vgpr_count 0
		.amdhsa_exception_fp_ieee_invalid_op 0
		.amdhsa_exception_fp_denorm_src 0
		.amdhsa_exception_fp_ieee_div_zero 0
		.amdhsa_exception_fp_ieee_overflow 0
		.amdhsa_exception_fp_ieee_underflow 0
		.amdhsa_exception_fp_ieee_inexact 0
		.amdhsa_exception_int_div_zero 0
	.end_amdhsa_kernel
	.section	.text._ZN7rocprim17ROCPRIM_400000_NS6detail17trampoline_kernelINS0_14default_configENS1_22reduce_config_selectorIN6thrust23THRUST_200600_302600_NS5tupleIblNS6_9null_typeES8_S8_S8_S8_S8_S8_S8_EEEEZNS1_11reduce_implILb1ES3_NS6_12zip_iteratorINS7_INS6_11hip_rocprim26transform_input_iterator_tIbNSD_35transform_pair_of_input_iterators_tIbNS6_6detail15normal_iteratorINS6_10device_ptrIlEEEENS6_17counting_iteratorIlNS6_11use_defaultESM_SM_EENS6_8equal_toIlEEEENSG_9not_fun_tINSD_8identityEEEEENSD_19counting_iterator_tIlEES8_S8_S8_S8_S8_S8_S8_S8_EEEEPS9_S9_NSD_9__find_if7functorIS9_EEEE10hipError_tPvRmT1_T2_T3_mT4_P12ihipStream_tbEUlT_E1_NS1_11comp_targetILNS1_3genE4ELNS1_11target_archE910ELNS1_3gpuE8ELNS1_3repE0EEENS1_30default_config_static_selectorELNS0_4arch9wavefront6targetE0EEEvS16_,"axG",@progbits,_ZN7rocprim17ROCPRIM_400000_NS6detail17trampoline_kernelINS0_14default_configENS1_22reduce_config_selectorIN6thrust23THRUST_200600_302600_NS5tupleIblNS6_9null_typeES8_S8_S8_S8_S8_S8_S8_EEEEZNS1_11reduce_implILb1ES3_NS6_12zip_iteratorINS7_INS6_11hip_rocprim26transform_input_iterator_tIbNSD_35transform_pair_of_input_iterators_tIbNS6_6detail15normal_iteratorINS6_10device_ptrIlEEEENS6_17counting_iteratorIlNS6_11use_defaultESM_SM_EENS6_8equal_toIlEEEENSG_9not_fun_tINSD_8identityEEEEENSD_19counting_iterator_tIlEES8_S8_S8_S8_S8_S8_S8_S8_EEEEPS9_S9_NSD_9__find_if7functorIS9_EEEE10hipError_tPvRmT1_T2_T3_mT4_P12ihipStream_tbEUlT_E1_NS1_11comp_targetILNS1_3genE4ELNS1_11target_archE910ELNS1_3gpuE8ELNS1_3repE0EEENS1_30default_config_static_selectorELNS0_4arch9wavefront6targetE0EEEvS16_,comdat
.Lfunc_end1200:
	.size	_ZN7rocprim17ROCPRIM_400000_NS6detail17trampoline_kernelINS0_14default_configENS1_22reduce_config_selectorIN6thrust23THRUST_200600_302600_NS5tupleIblNS6_9null_typeES8_S8_S8_S8_S8_S8_S8_EEEEZNS1_11reduce_implILb1ES3_NS6_12zip_iteratorINS7_INS6_11hip_rocprim26transform_input_iterator_tIbNSD_35transform_pair_of_input_iterators_tIbNS6_6detail15normal_iteratorINS6_10device_ptrIlEEEENS6_17counting_iteratorIlNS6_11use_defaultESM_SM_EENS6_8equal_toIlEEEENSG_9not_fun_tINSD_8identityEEEEENSD_19counting_iterator_tIlEES8_S8_S8_S8_S8_S8_S8_S8_EEEEPS9_S9_NSD_9__find_if7functorIS9_EEEE10hipError_tPvRmT1_T2_T3_mT4_P12ihipStream_tbEUlT_E1_NS1_11comp_targetILNS1_3genE4ELNS1_11target_archE910ELNS1_3gpuE8ELNS1_3repE0EEENS1_30default_config_static_selectorELNS0_4arch9wavefront6targetE0EEEvS16_, .Lfunc_end1200-_ZN7rocprim17ROCPRIM_400000_NS6detail17trampoline_kernelINS0_14default_configENS1_22reduce_config_selectorIN6thrust23THRUST_200600_302600_NS5tupleIblNS6_9null_typeES8_S8_S8_S8_S8_S8_S8_EEEEZNS1_11reduce_implILb1ES3_NS6_12zip_iteratorINS7_INS6_11hip_rocprim26transform_input_iterator_tIbNSD_35transform_pair_of_input_iterators_tIbNS6_6detail15normal_iteratorINS6_10device_ptrIlEEEENS6_17counting_iteratorIlNS6_11use_defaultESM_SM_EENS6_8equal_toIlEEEENSG_9not_fun_tINSD_8identityEEEEENSD_19counting_iterator_tIlEES8_S8_S8_S8_S8_S8_S8_S8_EEEEPS9_S9_NSD_9__find_if7functorIS9_EEEE10hipError_tPvRmT1_T2_T3_mT4_P12ihipStream_tbEUlT_E1_NS1_11comp_targetILNS1_3genE4ELNS1_11target_archE910ELNS1_3gpuE8ELNS1_3repE0EEENS1_30default_config_static_selectorELNS0_4arch9wavefront6targetE0EEEvS16_
                                        ; -- End function
	.section	.AMDGPU.csdata,"",@progbits
; Kernel info:
; codeLenInByte = 0
; NumSgprs: 0
; NumVgprs: 0
; ScratchSize: 0
; MemoryBound: 0
; FloatMode: 240
; IeeeMode: 1
; LDSByteSize: 0 bytes/workgroup (compile time only)
; SGPRBlocks: 0
; VGPRBlocks: 0
; NumSGPRsForWavesPerEU: 1
; NumVGPRsForWavesPerEU: 1
; Occupancy: 16
; WaveLimiterHint : 0
; COMPUTE_PGM_RSRC2:SCRATCH_EN: 0
; COMPUTE_PGM_RSRC2:USER_SGPR: 15
; COMPUTE_PGM_RSRC2:TRAP_HANDLER: 0
; COMPUTE_PGM_RSRC2:TGID_X_EN: 1
; COMPUTE_PGM_RSRC2:TGID_Y_EN: 0
; COMPUTE_PGM_RSRC2:TGID_Z_EN: 0
; COMPUTE_PGM_RSRC2:TIDIG_COMP_CNT: 0
	.section	.text._ZN7rocprim17ROCPRIM_400000_NS6detail17trampoline_kernelINS0_14default_configENS1_22reduce_config_selectorIN6thrust23THRUST_200600_302600_NS5tupleIblNS6_9null_typeES8_S8_S8_S8_S8_S8_S8_EEEEZNS1_11reduce_implILb1ES3_NS6_12zip_iteratorINS7_INS6_11hip_rocprim26transform_input_iterator_tIbNSD_35transform_pair_of_input_iterators_tIbNS6_6detail15normal_iteratorINS6_10device_ptrIlEEEENS6_17counting_iteratorIlNS6_11use_defaultESM_SM_EENS6_8equal_toIlEEEENSG_9not_fun_tINSD_8identityEEEEENSD_19counting_iterator_tIlEES8_S8_S8_S8_S8_S8_S8_S8_EEEEPS9_S9_NSD_9__find_if7functorIS9_EEEE10hipError_tPvRmT1_T2_T3_mT4_P12ihipStream_tbEUlT_E1_NS1_11comp_targetILNS1_3genE3ELNS1_11target_archE908ELNS1_3gpuE7ELNS1_3repE0EEENS1_30default_config_static_selectorELNS0_4arch9wavefront6targetE0EEEvS16_,"axG",@progbits,_ZN7rocprim17ROCPRIM_400000_NS6detail17trampoline_kernelINS0_14default_configENS1_22reduce_config_selectorIN6thrust23THRUST_200600_302600_NS5tupleIblNS6_9null_typeES8_S8_S8_S8_S8_S8_S8_EEEEZNS1_11reduce_implILb1ES3_NS6_12zip_iteratorINS7_INS6_11hip_rocprim26transform_input_iterator_tIbNSD_35transform_pair_of_input_iterators_tIbNS6_6detail15normal_iteratorINS6_10device_ptrIlEEEENS6_17counting_iteratorIlNS6_11use_defaultESM_SM_EENS6_8equal_toIlEEEENSG_9not_fun_tINSD_8identityEEEEENSD_19counting_iterator_tIlEES8_S8_S8_S8_S8_S8_S8_S8_EEEEPS9_S9_NSD_9__find_if7functorIS9_EEEE10hipError_tPvRmT1_T2_T3_mT4_P12ihipStream_tbEUlT_E1_NS1_11comp_targetILNS1_3genE3ELNS1_11target_archE908ELNS1_3gpuE7ELNS1_3repE0EEENS1_30default_config_static_selectorELNS0_4arch9wavefront6targetE0EEEvS16_,comdat
	.protected	_ZN7rocprim17ROCPRIM_400000_NS6detail17trampoline_kernelINS0_14default_configENS1_22reduce_config_selectorIN6thrust23THRUST_200600_302600_NS5tupleIblNS6_9null_typeES8_S8_S8_S8_S8_S8_S8_EEEEZNS1_11reduce_implILb1ES3_NS6_12zip_iteratorINS7_INS6_11hip_rocprim26transform_input_iterator_tIbNSD_35transform_pair_of_input_iterators_tIbNS6_6detail15normal_iteratorINS6_10device_ptrIlEEEENS6_17counting_iteratorIlNS6_11use_defaultESM_SM_EENS6_8equal_toIlEEEENSG_9not_fun_tINSD_8identityEEEEENSD_19counting_iterator_tIlEES8_S8_S8_S8_S8_S8_S8_S8_EEEEPS9_S9_NSD_9__find_if7functorIS9_EEEE10hipError_tPvRmT1_T2_T3_mT4_P12ihipStream_tbEUlT_E1_NS1_11comp_targetILNS1_3genE3ELNS1_11target_archE908ELNS1_3gpuE7ELNS1_3repE0EEENS1_30default_config_static_selectorELNS0_4arch9wavefront6targetE0EEEvS16_ ; -- Begin function _ZN7rocprim17ROCPRIM_400000_NS6detail17trampoline_kernelINS0_14default_configENS1_22reduce_config_selectorIN6thrust23THRUST_200600_302600_NS5tupleIblNS6_9null_typeES8_S8_S8_S8_S8_S8_S8_EEEEZNS1_11reduce_implILb1ES3_NS6_12zip_iteratorINS7_INS6_11hip_rocprim26transform_input_iterator_tIbNSD_35transform_pair_of_input_iterators_tIbNS6_6detail15normal_iteratorINS6_10device_ptrIlEEEENS6_17counting_iteratorIlNS6_11use_defaultESM_SM_EENS6_8equal_toIlEEEENSG_9not_fun_tINSD_8identityEEEEENSD_19counting_iterator_tIlEES8_S8_S8_S8_S8_S8_S8_S8_EEEEPS9_S9_NSD_9__find_if7functorIS9_EEEE10hipError_tPvRmT1_T2_T3_mT4_P12ihipStream_tbEUlT_E1_NS1_11comp_targetILNS1_3genE3ELNS1_11target_archE908ELNS1_3gpuE7ELNS1_3repE0EEENS1_30default_config_static_selectorELNS0_4arch9wavefront6targetE0EEEvS16_
	.globl	_ZN7rocprim17ROCPRIM_400000_NS6detail17trampoline_kernelINS0_14default_configENS1_22reduce_config_selectorIN6thrust23THRUST_200600_302600_NS5tupleIblNS6_9null_typeES8_S8_S8_S8_S8_S8_S8_EEEEZNS1_11reduce_implILb1ES3_NS6_12zip_iteratorINS7_INS6_11hip_rocprim26transform_input_iterator_tIbNSD_35transform_pair_of_input_iterators_tIbNS6_6detail15normal_iteratorINS6_10device_ptrIlEEEENS6_17counting_iteratorIlNS6_11use_defaultESM_SM_EENS6_8equal_toIlEEEENSG_9not_fun_tINSD_8identityEEEEENSD_19counting_iterator_tIlEES8_S8_S8_S8_S8_S8_S8_S8_EEEEPS9_S9_NSD_9__find_if7functorIS9_EEEE10hipError_tPvRmT1_T2_T3_mT4_P12ihipStream_tbEUlT_E1_NS1_11comp_targetILNS1_3genE3ELNS1_11target_archE908ELNS1_3gpuE7ELNS1_3repE0EEENS1_30default_config_static_selectorELNS0_4arch9wavefront6targetE0EEEvS16_
	.p2align	8
	.type	_ZN7rocprim17ROCPRIM_400000_NS6detail17trampoline_kernelINS0_14default_configENS1_22reduce_config_selectorIN6thrust23THRUST_200600_302600_NS5tupleIblNS6_9null_typeES8_S8_S8_S8_S8_S8_S8_EEEEZNS1_11reduce_implILb1ES3_NS6_12zip_iteratorINS7_INS6_11hip_rocprim26transform_input_iterator_tIbNSD_35transform_pair_of_input_iterators_tIbNS6_6detail15normal_iteratorINS6_10device_ptrIlEEEENS6_17counting_iteratorIlNS6_11use_defaultESM_SM_EENS6_8equal_toIlEEEENSG_9not_fun_tINSD_8identityEEEEENSD_19counting_iterator_tIlEES8_S8_S8_S8_S8_S8_S8_S8_EEEEPS9_S9_NSD_9__find_if7functorIS9_EEEE10hipError_tPvRmT1_T2_T3_mT4_P12ihipStream_tbEUlT_E1_NS1_11comp_targetILNS1_3genE3ELNS1_11target_archE908ELNS1_3gpuE7ELNS1_3repE0EEENS1_30default_config_static_selectorELNS0_4arch9wavefront6targetE0EEEvS16_,@function
_ZN7rocprim17ROCPRIM_400000_NS6detail17trampoline_kernelINS0_14default_configENS1_22reduce_config_selectorIN6thrust23THRUST_200600_302600_NS5tupleIblNS6_9null_typeES8_S8_S8_S8_S8_S8_S8_EEEEZNS1_11reduce_implILb1ES3_NS6_12zip_iteratorINS7_INS6_11hip_rocprim26transform_input_iterator_tIbNSD_35transform_pair_of_input_iterators_tIbNS6_6detail15normal_iteratorINS6_10device_ptrIlEEEENS6_17counting_iteratorIlNS6_11use_defaultESM_SM_EENS6_8equal_toIlEEEENSG_9not_fun_tINSD_8identityEEEEENSD_19counting_iterator_tIlEES8_S8_S8_S8_S8_S8_S8_S8_EEEEPS9_S9_NSD_9__find_if7functorIS9_EEEE10hipError_tPvRmT1_T2_T3_mT4_P12ihipStream_tbEUlT_E1_NS1_11comp_targetILNS1_3genE3ELNS1_11target_archE908ELNS1_3gpuE7ELNS1_3repE0EEENS1_30default_config_static_selectorELNS0_4arch9wavefront6targetE0EEEvS16_: ; @_ZN7rocprim17ROCPRIM_400000_NS6detail17trampoline_kernelINS0_14default_configENS1_22reduce_config_selectorIN6thrust23THRUST_200600_302600_NS5tupleIblNS6_9null_typeES8_S8_S8_S8_S8_S8_S8_EEEEZNS1_11reduce_implILb1ES3_NS6_12zip_iteratorINS7_INS6_11hip_rocprim26transform_input_iterator_tIbNSD_35transform_pair_of_input_iterators_tIbNS6_6detail15normal_iteratorINS6_10device_ptrIlEEEENS6_17counting_iteratorIlNS6_11use_defaultESM_SM_EENS6_8equal_toIlEEEENSG_9not_fun_tINSD_8identityEEEEENSD_19counting_iterator_tIlEES8_S8_S8_S8_S8_S8_S8_S8_EEEEPS9_S9_NSD_9__find_if7functorIS9_EEEE10hipError_tPvRmT1_T2_T3_mT4_P12ihipStream_tbEUlT_E1_NS1_11comp_targetILNS1_3genE3ELNS1_11target_archE908ELNS1_3gpuE7ELNS1_3repE0EEENS1_30default_config_static_selectorELNS0_4arch9wavefront6targetE0EEEvS16_
; %bb.0:
	.section	.rodata,"a",@progbits
	.p2align	6, 0x0
	.amdhsa_kernel _ZN7rocprim17ROCPRIM_400000_NS6detail17trampoline_kernelINS0_14default_configENS1_22reduce_config_selectorIN6thrust23THRUST_200600_302600_NS5tupleIblNS6_9null_typeES8_S8_S8_S8_S8_S8_S8_EEEEZNS1_11reduce_implILb1ES3_NS6_12zip_iteratorINS7_INS6_11hip_rocprim26transform_input_iterator_tIbNSD_35transform_pair_of_input_iterators_tIbNS6_6detail15normal_iteratorINS6_10device_ptrIlEEEENS6_17counting_iteratorIlNS6_11use_defaultESM_SM_EENS6_8equal_toIlEEEENSG_9not_fun_tINSD_8identityEEEEENSD_19counting_iterator_tIlEES8_S8_S8_S8_S8_S8_S8_S8_EEEEPS9_S9_NSD_9__find_if7functorIS9_EEEE10hipError_tPvRmT1_T2_T3_mT4_P12ihipStream_tbEUlT_E1_NS1_11comp_targetILNS1_3genE3ELNS1_11target_archE908ELNS1_3gpuE7ELNS1_3repE0EEENS1_30default_config_static_selectorELNS0_4arch9wavefront6targetE0EEEvS16_
		.amdhsa_group_segment_fixed_size 0
		.amdhsa_private_segment_fixed_size 0
		.amdhsa_kernarg_size 88
		.amdhsa_user_sgpr_count 15
		.amdhsa_user_sgpr_dispatch_ptr 0
		.amdhsa_user_sgpr_queue_ptr 0
		.amdhsa_user_sgpr_kernarg_segment_ptr 1
		.amdhsa_user_sgpr_dispatch_id 0
		.amdhsa_user_sgpr_private_segment_size 0
		.amdhsa_wavefront_size32 1
		.amdhsa_uses_dynamic_stack 0
		.amdhsa_enable_private_segment 0
		.amdhsa_system_sgpr_workgroup_id_x 1
		.amdhsa_system_sgpr_workgroup_id_y 0
		.amdhsa_system_sgpr_workgroup_id_z 0
		.amdhsa_system_sgpr_workgroup_info 0
		.amdhsa_system_vgpr_workitem_id 0
		.amdhsa_next_free_vgpr 1
		.amdhsa_next_free_sgpr 1
		.amdhsa_reserve_vcc 0
		.amdhsa_float_round_mode_32 0
		.amdhsa_float_round_mode_16_64 0
		.amdhsa_float_denorm_mode_32 3
		.amdhsa_float_denorm_mode_16_64 3
		.amdhsa_dx10_clamp 1
		.amdhsa_ieee_mode 1
		.amdhsa_fp16_overflow 0
		.amdhsa_workgroup_processor_mode 1
		.amdhsa_memory_ordered 1
		.amdhsa_forward_progress 0
		.amdhsa_shared_vgpr_count 0
		.amdhsa_exception_fp_ieee_invalid_op 0
		.amdhsa_exception_fp_denorm_src 0
		.amdhsa_exception_fp_ieee_div_zero 0
		.amdhsa_exception_fp_ieee_overflow 0
		.amdhsa_exception_fp_ieee_underflow 0
		.amdhsa_exception_fp_ieee_inexact 0
		.amdhsa_exception_int_div_zero 0
	.end_amdhsa_kernel
	.section	.text._ZN7rocprim17ROCPRIM_400000_NS6detail17trampoline_kernelINS0_14default_configENS1_22reduce_config_selectorIN6thrust23THRUST_200600_302600_NS5tupleIblNS6_9null_typeES8_S8_S8_S8_S8_S8_S8_EEEEZNS1_11reduce_implILb1ES3_NS6_12zip_iteratorINS7_INS6_11hip_rocprim26transform_input_iterator_tIbNSD_35transform_pair_of_input_iterators_tIbNS6_6detail15normal_iteratorINS6_10device_ptrIlEEEENS6_17counting_iteratorIlNS6_11use_defaultESM_SM_EENS6_8equal_toIlEEEENSG_9not_fun_tINSD_8identityEEEEENSD_19counting_iterator_tIlEES8_S8_S8_S8_S8_S8_S8_S8_EEEEPS9_S9_NSD_9__find_if7functorIS9_EEEE10hipError_tPvRmT1_T2_T3_mT4_P12ihipStream_tbEUlT_E1_NS1_11comp_targetILNS1_3genE3ELNS1_11target_archE908ELNS1_3gpuE7ELNS1_3repE0EEENS1_30default_config_static_selectorELNS0_4arch9wavefront6targetE0EEEvS16_,"axG",@progbits,_ZN7rocprim17ROCPRIM_400000_NS6detail17trampoline_kernelINS0_14default_configENS1_22reduce_config_selectorIN6thrust23THRUST_200600_302600_NS5tupleIblNS6_9null_typeES8_S8_S8_S8_S8_S8_S8_EEEEZNS1_11reduce_implILb1ES3_NS6_12zip_iteratorINS7_INS6_11hip_rocprim26transform_input_iterator_tIbNSD_35transform_pair_of_input_iterators_tIbNS6_6detail15normal_iteratorINS6_10device_ptrIlEEEENS6_17counting_iteratorIlNS6_11use_defaultESM_SM_EENS6_8equal_toIlEEEENSG_9not_fun_tINSD_8identityEEEEENSD_19counting_iterator_tIlEES8_S8_S8_S8_S8_S8_S8_S8_EEEEPS9_S9_NSD_9__find_if7functorIS9_EEEE10hipError_tPvRmT1_T2_T3_mT4_P12ihipStream_tbEUlT_E1_NS1_11comp_targetILNS1_3genE3ELNS1_11target_archE908ELNS1_3gpuE7ELNS1_3repE0EEENS1_30default_config_static_selectorELNS0_4arch9wavefront6targetE0EEEvS16_,comdat
.Lfunc_end1201:
	.size	_ZN7rocprim17ROCPRIM_400000_NS6detail17trampoline_kernelINS0_14default_configENS1_22reduce_config_selectorIN6thrust23THRUST_200600_302600_NS5tupleIblNS6_9null_typeES8_S8_S8_S8_S8_S8_S8_EEEEZNS1_11reduce_implILb1ES3_NS6_12zip_iteratorINS7_INS6_11hip_rocprim26transform_input_iterator_tIbNSD_35transform_pair_of_input_iterators_tIbNS6_6detail15normal_iteratorINS6_10device_ptrIlEEEENS6_17counting_iteratorIlNS6_11use_defaultESM_SM_EENS6_8equal_toIlEEEENSG_9not_fun_tINSD_8identityEEEEENSD_19counting_iterator_tIlEES8_S8_S8_S8_S8_S8_S8_S8_EEEEPS9_S9_NSD_9__find_if7functorIS9_EEEE10hipError_tPvRmT1_T2_T3_mT4_P12ihipStream_tbEUlT_E1_NS1_11comp_targetILNS1_3genE3ELNS1_11target_archE908ELNS1_3gpuE7ELNS1_3repE0EEENS1_30default_config_static_selectorELNS0_4arch9wavefront6targetE0EEEvS16_, .Lfunc_end1201-_ZN7rocprim17ROCPRIM_400000_NS6detail17trampoline_kernelINS0_14default_configENS1_22reduce_config_selectorIN6thrust23THRUST_200600_302600_NS5tupleIblNS6_9null_typeES8_S8_S8_S8_S8_S8_S8_EEEEZNS1_11reduce_implILb1ES3_NS6_12zip_iteratorINS7_INS6_11hip_rocprim26transform_input_iterator_tIbNSD_35transform_pair_of_input_iterators_tIbNS6_6detail15normal_iteratorINS6_10device_ptrIlEEEENS6_17counting_iteratorIlNS6_11use_defaultESM_SM_EENS6_8equal_toIlEEEENSG_9not_fun_tINSD_8identityEEEEENSD_19counting_iterator_tIlEES8_S8_S8_S8_S8_S8_S8_S8_EEEEPS9_S9_NSD_9__find_if7functorIS9_EEEE10hipError_tPvRmT1_T2_T3_mT4_P12ihipStream_tbEUlT_E1_NS1_11comp_targetILNS1_3genE3ELNS1_11target_archE908ELNS1_3gpuE7ELNS1_3repE0EEENS1_30default_config_static_selectorELNS0_4arch9wavefront6targetE0EEEvS16_
                                        ; -- End function
	.section	.AMDGPU.csdata,"",@progbits
; Kernel info:
; codeLenInByte = 0
; NumSgprs: 0
; NumVgprs: 0
; ScratchSize: 0
; MemoryBound: 0
; FloatMode: 240
; IeeeMode: 1
; LDSByteSize: 0 bytes/workgroup (compile time only)
; SGPRBlocks: 0
; VGPRBlocks: 0
; NumSGPRsForWavesPerEU: 1
; NumVGPRsForWavesPerEU: 1
; Occupancy: 16
; WaveLimiterHint : 0
; COMPUTE_PGM_RSRC2:SCRATCH_EN: 0
; COMPUTE_PGM_RSRC2:USER_SGPR: 15
; COMPUTE_PGM_RSRC2:TRAP_HANDLER: 0
; COMPUTE_PGM_RSRC2:TGID_X_EN: 1
; COMPUTE_PGM_RSRC2:TGID_Y_EN: 0
; COMPUTE_PGM_RSRC2:TGID_Z_EN: 0
; COMPUTE_PGM_RSRC2:TIDIG_COMP_CNT: 0
	.section	.text._ZN7rocprim17ROCPRIM_400000_NS6detail17trampoline_kernelINS0_14default_configENS1_22reduce_config_selectorIN6thrust23THRUST_200600_302600_NS5tupleIblNS6_9null_typeES8_S8_S8_S8_S8_S8_S8_EEEEZNS1_11reduce_implILb1ES3_NS6_12zip_iteratorINS7_INS6_11hip_rocprim26transform_input_iterator_tIbNSD_35transform_pair_of_input_iterators_tIbNS6_6detail15normal_iteratorINS6_10device_ptrIlEEEENS6_17counting_iteratorIlNS6_11use_defaultESM_SM_EENS6_8equal_toIlEEEENSG_9not_fun_tINSD_8identityEEEEENSD_19counting_iterator_tIlEES8_S8_S8_S8_S8_S8_S8_S8_EEEEPS9_S9_NSD_9__find_if7functorIS9_EEEE10hipError_tPvRmT1_T2_T3_mT4_P12ihipStream_tbEUlT_E1_NS1_11comp_targetILNS1_3genE2ELNS1_11target_archE906ELNS1_3gpuE6ELNS1_3repE0EEENS1_30default_config_static_selectorELNS0_4arch9wavefront6targetE0EEEvS16_,"axG",@progbits,_ZN7rocprim17ROCPRIM_400000_NS6detail17trampoline_kernelINS0_14default_configENS1_22reduce_config_selectorIN6thrust23THRUST_200600_302600_NS5tupleIblNS6_9null_typeES8_S8_S8_S8_S8_S8_S8_EEEEZNS1_11reduce_implILb1ES3_NS6_12zip_iteratorINS7_INS6_11hip_rocprim26transform_input_iterator_tIbNSD_35transform_pair_of_input_iterators_tIbNS6_6detail15normal_iteratorINS6_10device_ptrIlEEEENS6_17counting_iteratorIlNS6_11use_defaultESM_SM_EENS6_8equal_toIlEEEENSG_9not_fun_tINSD_8identityEEEEENSD_19counting_iterator_tIlEES8_S8_S8_S8_S8_S8_S8_S8_EEEEPS9_S9_NSD_9__find_if7functorIS9_EEEE10hipError_tPvRmT1_T2_T3_mT4_P12ihipStream_tbEUlT_E1_NS1_11comp_targetILNS1_3genE2ELNS1_11target_archE906ELNS1_3gpuE6ELNS1_3repE0EEENS1_30default_config_static_selectorELNS0_4arch9wavefront6targetE0EEEvS16_,comdat
	.protected	_ZN7rocprim17ROCPRIM_400000_NS6detail17trampoline_kernelINS0_14default_configENS1_22reduce_config_selectorIN6thrust23THRUST_200600_302600_NS5tupleIblNS6_9null_typeES8_S8_S8_S8_S8_S8_S8_EEEEZNS1_11reduce_implILb1ES3_NS6_12zip_iteratorINS7_INS6_11hip_rocprim26transform_input_iterator_tIbNSD_35transform_pair_of_input_iterators_tIbNS6_6detail15normal_iteratorINS6_10device_ptrIlEEEENS6_17counting_iteratorIlNS6_11use_defaultESM_SM_EENS6_8equal_toIlEEEENSG_9not_fun_tINSD_8identityEEEEENSD_19counting_iterator_tIlEES8_S8_S8_S8_S8_S8_S8_S8_EEEEPS9_S9_NSD_9__find_if7functorIS9_EEEE10hipError_tPvRmT1_T2_T3_mT4_P12ihipStream_tbEUlT_E1_NS1_11comp_targetILNS1_3genE2ELNS1_11target_archE906ELNS1_3gpuE6ELNS1_3repE0EEENS1_30default_config_static_selectorELNS0_4arch9wavefront6targetE0EEEvS16_ ; -- Begin function _ZN7rocprim17ROCPRIM_400000_NS6detail17trampoline_kernelINS0_14default_configENS1_22reduce_config_selectorIN6thrust23THRUST_200600_302600_NS5tupleIblNS6_9null_typeES8_S8_S8_S8_S8_S8_S8_EEEEZNS1_11reduce_implILb1ES3_NS6_12zip_iteratorINS7_INS6_11hip_rocprim26transform_input_iterator_tIbNSD_35transform_pair_of_input_iterators_tIbNS6_6detail15normal_iteratorINS6_10device_ptrIlEEEENS6_17counting_iteratorIlNS6_11use_defaultESM_SM_EENS6_8equal_toIlEEEENSG_9not_fun_tINSD_8identityEEEEENSD_19counting_iterator_tIlEES8_S8_S8_S8_S8_S8_S8_S8_EEEEPS9_S9_NSD_9__find_if7functorIS9_EEEE10hipError_tPvRmT1_T2_T3_mT4_P12ihipStream_tbEUlT_E1_NS1_11comp_targetILNS1_3genE2ELNS1_11target_archE906ELNS1_3gpuE6ELNS1_3repE0EEENS1_30default_config_static_selectorELNS0_4arch9wavefront6targetE0EEEvS16_
	.globl	_ZN7rocprim17ROCPRIM_400000_NS6detail17trampoline_kernelINS0_14default_configENS1_22reduce_config_selectorIN6thrust23THRUST_200600_302600_NS5tupleIblNS6_9null_typeES8_S8_S8_S8_S8_S8_S8_EEEEZNS1_11reduce_implILb1ES3_NS6_12zip_iteratorINS7_INS6_11hip_rocprim26transform_input_iterator_tIbNSD_35transform_pair_of_input_iterators_tIbNS6_6detail15normal_iteratorINS6_10device_ptrIlEEEENS6_17counting_iteratorIlNS6_11use_defaultESM_SM_EENS6_8equal_toIlEEEENSG_9not_fun_tINSD_8identityEEEEENSD_19counting_iterator_tIlEES8_S8_S8_S8_S8_S8_S8_S8_EEEEPS9_S9_NSD_9__find_if7functorIS9_EEEE10hipError_tPvRmT1_T2_T3_mT4_P12ihipStream_tbEUlT_E1_NS1_11comp_targetILNS1_3genE2ELNS1_11target_archE906ELNS1_3gpuE6ELNS1_3repE0EEENS1_30default_config_static_selectorELNS0_4arch9wavefront6targetE0EEEvS16_
	.p2align	8
	.type	_ZN7rocprim17ROCPRIM_400000_NS6detail17trampoline_kernelINS0_14default_configENS1_22reduce_config_selectorIN6thrust23THRUST_200600_302600_NS5tupleIblNS6_9null_typeES8_S8_S8_S8_S8_S8_S8_EEEEZNS1_11reduce_implILb1ES3_NS6_12zip_iteratorINS7_INS6_11hip_rocprim26transform_input_iterator_tIbNSD_35transform_pair_of_input_iterators_tIbNS6_6detail15normal_iteratorINS6_10device_ptrIlEEEENS6_17counting_iteratorIlNS6_11use_defaultESM_SM_EENS6_8equal_toIlEEEENSG_9not_fun_tINSD_8identityEEEEENSD_19counting_iterator_tIlEES8_S8_S8_S8_S8_S8_S8_S8_EEEEPS9_S9_NSD_9__find_if7functorIS9_EEEE10hipError_tPvRmT1_T2_T3_mT4_P12ihipStream_tbEUlT_E1_NS1_11comp_targetILNS1_3genE2ELNS1_11target_archE906ELNS1_3gpuE6ELNS1_3repE0EEENS1_30default_config_static_selectorELNS0_4arch9wavefront6targetE0EEEvS16_,@function
_ZN7rocprim17ROCPRIM_400000_NS6detail17trampoline_kernelINS0_14default_configENS1_22reduce_config_selectorIN6thrust23THRUST_200600_302600_NS5tupleIblNS6_9null_typeES8_S8_S8_S8_S8_S8_S8_EEEEZNS1_11reduce_implILb1ES3_NS6_12zip_iteratorINS7_INS6_11hip_rocprim26transform_input_iterator_tIbNSD_35transform_pair_of_input_iterators_tIbNS6_6detail15normal_iteratorINS6_10device_ptrIlEEEENS6_17counting_iteratorIlNS6_11use_defaultESM_SM_EENS6_8equal_toIlEEEENSG_9not_fun_tINSD_8identityEEEEENSD_19counting_iterator_tIlEES8_S8_S8_S8_S8_S8_S8_S8_EEEEPS9_S9_NSD_9__find_if7functorIS9_EEEE10hipError_tPvRmT1_T2_T3_mT4_P12ihipStream_tbEUlT_E1_NS1_11comp_targetILNS1_3genE2ELNS1_11target_archE906ELNS1_3gpuE6ELNS1_3repE0EEENS1_30default_config_static_selectorELNS0_4arch9wavefront6targetE0EEEvS16_: ; @_ZN7rocprim17ROCPRIM_400000_NS6detail17trampoline_kernelINS0_14default_configENS1_22reduce_config_selectorIN6thrust23THRUST_200600_302600_NS5tupleIblNS6_9null_typeES8_S8_S8_S8_S8_S8_S8_EEEEZNS1_11reduce_implILb1ES3_NS6_12zip_iteratorINS7_INS6_11hip_rocprim26transform_input_iterator_tIbNSD_35transform_pair_of_input_iterators_tIbNS6_6detail15normal_iteratorINS6_10device_ptrIlEEEENS6_17counting_iteratorIlNS6_11use_defaultESM_SM_EENS6_8equal_toIlEEEENSG_9not_fun_tINSD_8identityEEEEENSD_19counting_iterator_tIlEES8_S8_S8_S8_S8_S8_S8_S8_EEEEPS9_S9_NSD_9__find_if7functorIS9_EEEE10hipError_tPvRmT1_T2_T3_mT4_P12ihipStream_tbEUlT_E1_NS1_11comp_targetILNS1_3genE2ELNS1_11target_archE906ELNS1_3gpuE6ELNS1_3repE0EEENS1_30default_config_static_selectorELNS0_4arch9wavefront6targetE0EEEvS16_
; %bb.0:
	.section	.rodata,"a",@progbits
	.p2align	6, 0x0
	.amdhsa_kernel _ZN7rocprim17ROCPRIM_400000_NS6detail17trampoline_kernelINS0_14default_configENS1_22reduce_config_selectorIN6thrust23THRUST_200600_302600_NS5tupleIblNS6_9null_typeES8_S8_S8_S8_S8_S8_S8_EEEEZNS1_11reduce_implILb1ES3_NS6_12zip_iteratorINS7_INS6_11hip_rocprim26transform_input_iterator_tIbNSD_35transform_pair_of_input_iterators_tIbNS6_6detail15normal_iteratorINS6_10device_ptrIlEEEENS6_17counting_iteratorIlNS6_11use_defaultESM_SM_EENS6_8equal_toIlEEEENSG_9not_fun_tINSD_8identityEEEEENSD_19counting_iterator_tIlEES8_S8_S8_S8_S8_S8_S8_S8_EEEEPS9_S9_NSD_9__find_if7functorIS9_EEEE10hipError_tPvRmT1_T2_T3_mT4_P12ihipStream_tbEUlT_E1_NS1_11comp_targetILNS1_3genE2ELNS1_11target_archE906ELNS1_3gpuE6ELNS1_3repE0EEENS1_30default_config_static_selectorELNS0_4arch9wavefront6targetE0EEEvS16_
		.amdhsa_group_segment_fixed_size 0
		.amdhsa_private_segment_fixed_size 0
		.amdhsa_kernarg_size 88
		.amdhsa_user_sgpr_count 15
		.amdhsa_user_sgpr_dispatch_ptr 0
		.amdhsa_user_sgpr_queue_ptr 0
		.amdhsa_user_sgpr_kernarg_segment_ptr 1
		.amdhsa_user_sgpr_dispatch_id 0
		.amdhsa_user_sgpr_private_segment_size 0
		.amdhsa_wavefront_size32 1
		.amdhsa_uses_dynamic_stack 0
		.amdhsa_enable_private_segment 0
		.amdhsa_system_sgpr_workgroup_id_x 1
		.amdhsa_system_sgpr_workgroup_id_y 0
		.amdhsa_system_sgpr_workgroup_id_z 0
		.amdhsa_system_sgpr_workgroup_info 0
		.amdhsa_system_vgpr_workitem_id 0
		.amdhsa_next_free_vgpr 1
		.amdhsa_next_free_sgpr 1
		.amdhsa_reserve_vcc 0
		.amdhsa_float_round_mode_32 0
		.amdhsa_float_round_mode_16_64 0
		.amdhsa_float_denorm_mode_32 3
		.amdhsa_float_denorm_mode_16_64 3
		.amdhsa_dx10_clamp 1
		.amdhsa_ieee_mode 1
		.amdhsa_fp16_overflow 0
		.amdhsa_workgroup_processor_mode 1
		.amdhsa_memory_ordered 1
		.amdhsa_forward_progress 0
		.amdhsa_shared_vgpr_count 0
		.amdhsa_exception_fp_ieee_invalid_op 0
		.amdhsa_exception_fp_denorm_src 0
		.amdhsa_exception_fp_ieee_div_zero 0
		.amdhsa_exception_fp_ieee_overflow 0
		.amdhsa_exception_fp_ieee_underflow 0
		.amdhsa_exception_fp_ieee_inexact 0
		.amdhsa_exception_int_div_zero 0
	.end_amdhsa_kernel
	.section	.text._ZN7rocprim17ROCPRIM_400000_NS6detail17trampoline_kernelINS0_14default_configENS1_22reduce_config_selectorIN6thrust23THRUST_200600_302600_NS5tupleIblNS6_9null_typeES8_S8_S8_S8_S8_S8_S8_EEEEZNS1_11reduce_implILb1ES3_NS6_12zip_iteratorINS7_INS6_11hip_rocprim26transform_input_iterator_tIbNSD_35transform_pair_of_input_iterators_tIbNS6_6detail15normal_iteratorINS6_10device_ptrIlEEEENS6_17counting_iteratorIlNS6_11use_defaultESM_SM_EENS6_8equal_toIlEEEENSG_9not_fun_tINSD_8identityEEEEENSD_19counting_iterator_tIlEES8_S8_S8_S8_S8_S8_S8_S8_EEEEPS9_S9_NSD_9__find_if7functorIS9_EEEE10hipError_tPvRmT1_T2_T3_mT4_P12ihipStream_tbEUlT_E1_NS1_11comp_targetILNS1_3genE2ELNS1_11target_archE906ELNS1_3gpuE6ELNS1_3repE0EEENS1_30default_config_static_selectorELNS0_4arch9wavefront6targetE0EEEvS16_,"axG",@progbits,_ZN7rocprim17ROCPRIM_400000_NS6detail17trampoline_kernelINS0_14default_configENS1_22reduce_config_selectorIN6thrust23THRUST_200600_302600_NS5tupleIblNS6_9null_typeES8_S8_S8_S8_S8_S8_S8_EEEEZNS1_11reduce_implILb1ES3_NS6_12zip_iteratorINS7_INS6_11hip_rocprim26transform_input_iterator_tIbNSD_35transform_pair_of_input_iterators_tIbNS6_6detail15normal_iteratorINS6_10device_ptrIlEEEENS6_17counting_iteratorIlNS6_11use_defaultESM_SM_EENS6_8equal_toIlEEEENSG_9not_fun_tINSD_8identityEEEEENSD_19counting_iterator_tIlEES8_S8_S8_S8_S8_S8_S8_S8_EEEEPS9_S9_NSD_9__find_if7functorIS9_EEEE10hipError_tPvRmT1_T2_T3_mT4_P12ihipStream_tbEUlT_E1_NS1_11comp_targetILNS1_3genE2ELNS1_11target_archE906ELNS1_3gpuE6ELNS1_3repE0EEENS1_30default_config_static_selectorELNS0_4arch9wavefront6targetE0EEEvS16_,comdat
.Lfunc_end1202:
	.size	_ZN7rocprim17ROCPRIM_400000_NS6detail17trampoline_kernelINS0_14default_configENS1_22reduce_config_selectorIN6thrust23THRUST_200600_302600_NS5tupleIblNS6_9null_typeES8_S8_S8_S8_S8_S8_S8_EEEEZNS1_11reduce_implILb1ES3_NS6_12zip_iteratorINS7_INS6_11hip_rocprim26transform_input_iterator_tIbNSD_35transform_pair_of_input_iterators_tIbNS6_6detail15normal_iteratorINS6_10device_ptrIlEEEENS6_17counting_iteratorIlNS6_11use_defaultESM_SM_EENS6_8equal_toIlEEEENSG_9not_fun_tINSD_8identityEEEEENSD_19counting_iterator_tIlEES8_S8_S8_S8_S8_S8_S8_S8_EEEEPS9_S9_NSD_9__find_if7functorIS9_EEEE10hipError_tPvRmT1_T2_T3_mT4_P12ihipStream_tbEUlT_E1_NS1_11comp_targetILNS1_3genE2ELNS1_11target_archE906ELNS1_3gpuE6ELNS1_3repE0EEENS1_30default_config_static_selectorELNS0_4arch9wavefront6targetE0EEEvS16_, .Lfunc_end1202-_ZN7rocprim17ROCPRIM_400000_NS6detail17trampoline_kernelINS0_14default_configENS1_22reduce_config_selectorIN6thrust23THRUST_200600_302600_NS5tupleIblNS6_9null_typeES8_S8_S8_S8_S8_S8_S8_EEEEZNS1_11reduce_implILb1ES3_NS6_12zip_iteratorINS7_INS6_11hip_rocprim26transform_input_iterator_tIbNSD_35transform_pair_of_input_iterators_tIbNS6_6detail15normal_iteratorINS6_10device_ptrIlEEEENS6_17counting_iteratorIlNS6_11use_defaultESM_SM_EENS6_8equal_toIlEEEENSG_9not_fun_tINSD_8identityEEEEENSD_19counting_iterator_tIlEES8_S8_S8_S8_S8_S8_S8_S8_EEEEPS9_S9_NSD_9__find_if7functorIS9_EEEE10hipError_tPvRmT1_T2_T3_mT4_P12ihipStream_tbEUlT_E1_NS1_11comp_targetILNS1_3genE2ELNS1_11target_archE906ELNS1_3gpuE6ELNS1_3repE0EEENS1_30default_config_static_selectorELNS0_4arch9wavefront6targetE0EEEvS16_
                                        ; -- End function
	.section	.AMDGPU.csdata,"",@progbits
; Kernel info:
; codeLenInByte = 0
; NumSgprs: 0
; NumVgprs: 0
; ScratchSize: 0
; MemoryBound: 0
; FloatMode: 240
; IeeeMode: 1
; LDSByteSize: 0 bytes/workgroup (compile time only)
; SGPRBlocks: 0
; VGPRBlocks: 0
; NumSGPRsForWavesPerEU: 1
; NumVGPRsForWavesPerEU: 1
; Occupancy: 16
; WaveLimiterHint : 0
; COMPUTE_PGM_RSRC2:SCRATCH_EN: 0
; COMPUTE_PGM_RSRC2:USER_SGPR: 15
; COMPUTE_PGM_RSRC2:TRAP_HANDLER: 0
; COMPUTE_PGM_RSRC2:TGID_X_EN: 1
; COMPUTE_PGM_RSRC2:TGID_Y_EN: 0
; COMPUTE_PGM_RSRC2:TGID_Z_EN: 0
; COMPUTE_PGM_RSRC2:TIDIG_COMP_CNT: 0
	.section	.text._ZN7rocprim17ROCPRIM_400000_NS6detail17trampoline_kernelINS0_14default_configENS1_22reduce_config_selectorIN6thrust23THRUST_200600_302600_NS5tupleIblNS6_9null_typeES8_S8_S8_S8_S8_S8_S8_EEEEZNS1_11reduce_implILb1ES3_NS6_12zip_iteratorINS7_INS6_11hip_rocprim26transform_input_iterator_tIbNSD_35transform_pair_of_input_iterators_tIbNS6_6detail15normal_iteratorINS6_10device_ptrIlEEEENS6_17counting_iteratorIlNS6_11use_defaultESM_SM_EENS6_8equal_toIlEEEENSG_9not_fun_tINSD_8identityEEEEENSD_19counting_iterator_tIlEES8_S8_S8_S8_S8_S8_S8_S8_EEEEPS9_S9_NSD_9__find_if7functorIS9_EEEE10hipError_tPvRmT1_T2_T3_mT4_P12ihipStream_tbEUlT_E1_NS1_11comp_targetILNS1_3genE10ELNS1_11target_archE1201ELNS1_3gpuE5ELNS1_3repE0EEENS1_30default_config_static_selectorELNS0_4arch9wavefront6targetE0EEEvS16_,"axG",@progbits,_ZN7rocprim17ROCPRIM_400000_NS6detail17trampoline_kernelINS0_14default_configENS1_22reduce_config_selectorIN6thrust23THRUST_200600_302600_NS5tupleIblNS6_9null_typeES8_S8_S8_S8_S8_S8_S8_EEEEZNS1_11reduce_implILb1ES3_NS6_12zip_iteratorINS7_INS6_11hip_rocprim26transform_input_iterator_tIbNSD_35transform_pair_of_input_iterators_tIbNS6_6detail15normal_iteratorINS6_10device_ptrIlEEEENS6_17counting_iteratorIlNS6_11use_defaultESM_SM_EENS6_8equal_toIlEEEENSG_9not_fun_tINSD_8identityEEEEENSD_19counting_iterator_tIlEES8_S8_S8_S8_S8_S8_S8_S8_EEEEPS9_S9_NSD_9__find_if7functorIS9_EEEE10hipError_tPvRmT1_T2_T3_mT4_P12ihipStream_tbEUlT_E1_NS1_11comp_targetILNS1_3genE10ELNS1_11target_archE1201ELNS1_3gpuE5ELNS1_3repE0EEENS1_30default_config_static_selectorELNS0_4arch9wavefront6targetE0EEEvS16_,comdat
	.protected	_ZN7rocprim17ROCPRIM_400000_NS6detail17trampoline_kernelINS0_14default_configENS1_22reduce_config_selectorIN6thrust23THRUST_200600_302600_NS5tupleIblNS6_9null_typeES8_S8_S8_S8_S8_S8_S8_EEEEZNS1_11reduce_implILb1ES3_NS6_12zip_iteratorINS7_INS6_11hip_rocprim26transform_input_iterator_tIbNSD_35transform_pair_of_input_iterators_tIbNS6_6detail15normal_iteratorINS6_10device_ptrIlEEEENS6_17counting_iteratorIlNS6_11use_defaultESM_SM_EENS6_8equal_toIlEEEENSG_9not_fun_tINSD_8identityEEEEENSD_19counting_iterator_tIlEES8_S8_S8_S8_S8_S8_S8_S8_EEEEPS9_S9_NSD_9__find_if7functorIS9_EEEE10hipError_tPvRmT1_T2_T3_mT4_P12ihipStream_tbEUlT_E1_NS1_11comp_targetILNS1_3genE10ELNS1_11target_archE1201ELNS1_3gpuE5ELNS1_3repE0EEENS1_30default_config_static_selectorELNS0_4arch9wavefront6targetE0EEEvS16_ ; -- Begin function _ZN7rocprim17ROCPRIM_400000_NS6detail17trampoline_kernelINS0_14default_configENS1_22reduce_config_selectorIN6thrust23THRUST_200600_302600_NS5tupleIblNS6_9null_typeES8_S8_S8_S8_S8_S8_S8_EEEEZNS1_11reduce_implILb1ES3_NS6_12zip_iteratorINS7_INS6_11hip_rocprim26transform_input_iterator_tIbNSD_35transform_pair_of_input_iterators_tIbNS6_6detail15normal_iteratorINS6_10device_ptrIlEEEENS6_17counting_iteratorIlNS6_11use_defaultESM_SM_EENS6_8equal_toIlEEEENSG_9not_fun_tINSD_8identityEEEEENSD_19counting_iterator_tIlEES8_S8_S8_S8_S8_S8_S8_S8_EEEEPS9_S9_NSD_9__find_if7functorIS9_EEEE10hipError_tPvRmT1_T2_T3_mT4_P12ihipStream_tbEUlT_E1_NS1_11comp_targetILNS1_3genE10ELNS1_11target_archE1201ELNS1_3gpuE5ELNS1_3repE0EEENS1_30default_config_static_selectorELNS0_4arch9wavefront6targetE0EEEvS16_
	.globl	_ZN7rocprim17ROCPRIM_400000_NS6detail17trampoline_kernelINS0_14default_configENS1_22reduce_config_selectorIN6thrust23THRUST_200600_302600_NS5tupleIblNS6_9null_typeES8_S8_S8_S8_S8_S8_S8_EEEEZNS1_11reduce_implILb1ES3_NS6_12zip_iteratorINS7_INS6_11hip_rocprim26transform_input_iterator_tIbNSD_35transform_pair_of_input_iterators_tIbNS6_6detail15normal_iteratorINS6_10device_ptrIlEEEENS6_17counting_iteratorIlNS6_11use_defaultESM_SM_EENS6_8equal_toIlEEEENSG_9not_fun_tINSD_8identityEEEEENSD_19counting_iterator_tIlEES8_S8_S8_S8_S8_S8_S8_S8_EEEEPS9_S9_NSD_9__find_if7functorIS9_EEEE10hipError_tPvRmT1_T2_T3_mT4_P12ihipStream_tbEUlT_E1_NS1_11comp_targetILNS1_3genE10ELNS1_11target_archE1201ELNS1_3gpuE5ELNS1_3repE0EEENS1_30default_config_static_selectorELNS0_4arch9wavefront6targetE0EEEvS16_
	.p2align	8
	.type	_ZN7rocprim17ROCPRIM_400000_NS6detail17trampoline_kernelINS0_14default_configENS1_22reduce_config_selectorIN6thrust23THRUST_200600_302600_NS5tupleIblNS6_9null_typeES8_S8_S8_S8_S8_S8_S8_EEEEZNS1_11reduce_implILb1ES3_NS6_12zip_iteratorINS7_INS6_11hip_rocprim26transform_input_iterator_tIbNSD_35transform_pair_of_input_iterators_tIbNS6_6detail15normal_iteratorINS6_10device_ptrIlEEEENS6_17counting_iteratorIlNS6_11use_defaultESM_SM_EENS6_8equal_toIlEEEENSG_9not_fun_tINSD_8identityEEEEENSD_19counting_iterator_tIlEES8_S8_S8_S8_S8_S8_S8_S8_EEEEPS9_S9_NSD_9__find_if7functorIS9_EEEE10hipError_tPvRmT1_T2_T3_mT4_P12ihipStream_tbEUlT_E1_NS1_11comp_targetILNS1_3genE10ELNS1_11target_archE1201ELNS1_3gpuE5ELNS1_3repE0EEENS1_30default_config_static_selectorELNS0_4arch9wavefront6targetE0EEEvS16_,@function
_ZN7rocprim17ROCPRIM_400000_NS6detail17trampoline_kernelINS0_14default_configENS1_22reduce_config_selectorIN6thrust23THRUST_200600_302600_NS5tupleIblNS6_9null_typeES8_S8_S8_S8_S8_S8_S8_EEEEZNS1_11reduce_implILb1ES3_NS6_12zip_iteratorINS7_INS6_11hip_rocprim26transform_input_iterator_tIbNSD_35transform_pair_of_input_iterators_tIbNS6_6detail15normal_iteratorINS6_10device_ptrIlEEEENS6_17counting_iteratorIlNS6_11use_defaultESM_SM_EENS6_8equal_toIlEEEENSG_9not_fun_tINSD_8identityEEEEENSD_19counting_iterator_tIlEES8_S8_S8_S8_S8_S8_S8_S8_EEEEPS9_S9_NSD_9__find_if7functorIS9_EEEE10hipError_tPvRmT1_T2_T3_mT4_P12ihipStream_tbEUlT_E1_NS1_11comp_targetILNS1_3genE10ELNS1_11target_archE1201ELNS1_3gpuE5ELNS1_3repE0EEENS1_30default_config_static_selectorELNS0_4arch9wavefront6targetE0EEEvS16_: ; @_ZN7rocprim17ROCPRIM_400000_NS6detail17trampoline_kernelINS0_14default_configENS1_22reduce_config_selectorIN6thrust23THRUST_200600_302600_NS5tupleIblNS6_9null_typeES8_S8_S8_S8_S8_S8_S8_EEEEZNS1_11reduce_implILb1ES3_NS6_12zip_iteratorINS7_INS6_11hip_rocprim26transform_input_iterator_tIbNSD_35transform_pair_of_input_iterators_tIbNS6_6detail15normal_iteratorINS6_10device_ptrIlEEEENS6_17counting_iteratorIlNS6_11use_defaultESM_SM_EENS6_8equal_toIlEEEENSG_9not_fun_tINSD_8identityEEEEENSD_19counting_iterator_tIlEES8_S8_S8_S8_S8_S8_S8_S8_EEEEPS9_S9_NSD_9__find_if7functorIS9_EEEE10hipError_tPvRmT1_T2_T3_mT4_P12ihipStream_tbEUlT_E1_NS1_11comp_targetILNS1_3genE10ELNS1_11target_archE1201ELNS1_3gpuE5ELNS1_3repE0EEENS1_30default_config_static_selectorELNS0_4arch9wavefront6targetE0EEEvS16_
; %bb.0:
	.section	.rodata,"a",@progbits
	.p2align	6, 0x0
	.amdhsa_kernel _ZN7rocprim17ROCPRIM_400000_NS6detail17trampoline_kernelINS0_14default_configENS1_22reduce_config_selectorIN6thrust23THRUST_200600_302600_NS5tupleIblNS6_9null_typeES8_S8_S8_S8_S8_S8_S8_EEEEZNS1_11reduce_implILb1ES3_NS6_12zip_iteratorINS7_INS6_11hip_rocprim26transform_input_iterator_tIbNSD_35transform_pair_of_input_iterators_tIbNS6_6detail15normal_iteratorINS6_10device_ptrIlEEEENS6_17counting_iteratorIlNS6_11use_defaultESM_SM_EENS6_8equal_toIlEEEENSG_9not_fun_tINSD_8identityEEEEENSD_19counting_iterator_tIlEES8_S8_S8_S8_S8_S8_S8_S8_EEEEPS9_S9_NSD_9__find_if7functorIS9_EEEE10hipError_tPvRmT1_T2_T3_mT4_P12ihipStream_tbEUlT_E1_NS1_11comp_targetILNS1_3genE10ELNS1_11target_archE1201ELNS1_3gpuE5ELNS1_3repE0EEENS1_30default_config_static_selectorELNS0_4arch9wavefront6targetE0EEEvS16_
		.amdhsa_group_segment_fixed_size 0
		.amdhsa_private_segment_fixed_size 0
		.amdhsa_kernarg_size 88
		.amdhsa_user_sgpr_count 15
		.amdhsa_user_sgpr_dispatch_ptr 0
		.amdhsa_user_sgpr_queue_ptr 0
		.amdhsa_user_sgpr_kernarg_segment_ptr 1
		.amdhsa_user_sgpr_dispatch_id 0
		.amdhsa_user_sgpr_private_segment_size 0
		.amdhsa_wavefront_size32 1
		.amdhsa_uses_dynamic_stack 0
		.amdhsa_enable_private_segment 0
		.amdhsa_system_sgpr_workgroup_id_x 1
		.amdhsa_system_sgpr_workgroup_id_y 0
		.amdhsa_system_sgpr_workgroup_id_z 0
		.amdhsa_system_sgpr_workgroup_info 0
		.amdhsa_system_vgpr_workitem_id 0
		.amdhsa_next_free_vgpr 1
		.amdhsa_next_free_sgpr 1
		.amdhsa_reserve_vcc 0
		.amdhsa_float_round_mode_32 0
		.amdhsa_float_round_mode_16_64 0
		.amdhsa_float_denorm_mode_32 3
		.amdhsa_float_denorm_mode_16_64 3
		.amdhsa_dx10_clamp 1
		.amdhsa_ieee_mode 1
		.amdhsa_fp16_overflow 0
		.amdhsa_workgroup_processor_mode 1
		.amdhsa_memory_ordered 1
		.amdhsa_forward_progress 0
		.amdhsa_shared_vgpr_count 0
		.amdhsa_exception_fp_ieee_invalid_op 0
		.amdhsa_exception_fp_denorm_src 0
		.amdhsa_exception_fp_ieee_div_zero 0
		.amdhsa_exception_fp_ieee_overflow 0
		.amdhsa_exception_fp_ieee_underflow 0
		.amdhsa_exception_fp_ieee_inexact 0
		.amdhsa_exception_int_div_zero 0
	.end_amdhsa_kernel
	.section	.text._ZN7rocprim17ROCPRIM_400000_NS6detail17trampoline_kernelINS0_14default_configENS1_22reduce_config_selectorIN6thrust23THRUST_200600_302600_NS5tupleIblNS6_9null_typeES8_S8_S8_S8_S8_S8_S8_EEEEZNS1_11reduce_implILb1ES3_NS6_12zip_iteratorINS7_INS6_11hip_rocprim26transform_input_iterator_tIbNSD_35transform_pair_of_input_iterators_tIbNS6_6detail15normal_iteratorINS6_10device_ptrIlEEEENS6_17counting_iteratorIlNS6_11use_defaultESM_SM_EENS6_8equal_toIlEEEENSG_9not_fun_tINSD_8identityEEEEENSD_19counting_iterator_tIlEES8_S8_S8_S8_S8_S8_S8_S8_EEEEPS9_S9_NSD_9__find_if7functorIS9_EEEE10hipError_tPvRmT1_T2_T3_mT4_P12ihipStream_tbEUlT_E1_NS1_11comp_targetILNS1_3genE10ELNS1_11target_archE1201ELNS1_3gpuE5ELNS1_3repE0EEENS1_30default_config_static_selectorELNS0_4arch9wavefront6targetE0EEEvS16_,"axG",@progbits,_ZN7rocprim17ROCPRIM_400000_NS6detail17trampoline_kernelINS0_14default_configENS1_22reduce_config_selectorIN6thrust23THRUST_200600_302600_NS5tupleIblNS6_9null_typeES8_S8_S8_S8_S8_S8_S8_EEEEZNS1_11reduce_implILb1ES3_NS6_12zip_iteratorINS7_INS6_11hip_rocprim26transform_input_iterator_tIbNSD_35transform_pair_of_input_iterators_tIbNS6_6detail15normal_iteratorINS6_10device_ptrIlEEEENS6_17counting_iteratorIlNS6_11use_defaultESM_SM_EENS6_8equal_toIlEEEENSG_9not_fun_tINSD_8identityEEEEENSD_19counting_iterator_tIlEES8_S8_S8_S8_S8_S8_S8_S8_EEEEPS9_S9_NSD_9__find_if7functorIS9_EEEE10hipError_tPvRmT1_T2_T3_mT4_P12ihipStream_tbEUlT_E1_NS1_11comp_targetILNS1_3genE10ELNS1_11target_archE1201ELNS1_3gpuE5ELNS1_3repE0EEENS1_30default_config_static_selectorELNS0_4arch9wavefront6targetE0EEEvS16_,comdat
.Lfunc_end1203:
	.size	_ZN7rocprim17ROCPRIM_400000_NS6detail17trampoline_kernelINS0_14default_configENS1_22reduce_config_selectorIN6thrust23THRUST_200600_302600_NS5tupleIblNS6_9null_typeES8_S8_S8_S8_S8_S8_S8_EEEEZNS1_11reduce_implILb1ES3_NS6_12zip_iteratorINS7_INS6_11hip_rocprim26transform_input_iterator_tIbNSD_35transform_pair_of_input_iterators_tIbNS6_6detail15normal_iteratorINS6_10device_ptrIlEEEENS6_17counting_iteratorIlNS6_11use_defaultESM_SM_EENS6_8equal_toIlEEEENSG_9not_fun_tINSD_8identityEEEEENSD_19counting_iterator_tIlEES8_S8_S8_S8_S8_S8_S8_S8_EEEEPS9_S9_NSD_9__find_if7functorIS9_EEEE10hipError_tPvRmT1_T2_T3_mT4_P12ihipStream_tbEUlT_E1_NS1_11comp_targetILNS1_3genE10ELNS1_11target_archE1201ELNS1_3gpuE5ELNS1_3repE0EEENS1_30default_config_static_selectorELNS0_4arch9wavefront6targetE0EEEvS16_, .Lfunc_end1203-_ZN7rocprim17ROCPRIM_400000_NS6detail17trampoline_kernelINS0_14default_configENS1_22reduce_config_selectorIN6thrust23THRUST_200600_302600_NS5tupleIblNS6_9null_typeES8_S8_S8_S8_S8_S8_S8_EEEEZNS1_11reduce_implILb1ES3_NS6_12zip_iteratorINS7_INS6_11hip_rocprim26transform_input_iterator_tIbNSD_35transform_pair_of_input_iterators_tIbNS6_6detail15normal_iteratorINS6_10device_ptrIlEEEENS6_17counting_iteratorIlNS6_11use_defaultESM_SM_EENS6_8equal_toIlEEEENSG_9not_fun_tINSD_8identityEEEEENSD_19counting_iterator_tIlEES8_S8_S8_S8_S8_S8_S8_S8_EEEEPS9_S9_NSD_9__find_if7functorIS9_EEEE10hipError_tPvRmT1_T2_T3_mT4_P12ihipStream_tbEUlT_E1_NS1_11comp_targetILNS1_3genE10ELNS1_11target_archE1201ELNS1_3gpuE5ELNS1_3repE0EEENS1_30default_config_static_selectorELNS0_4arch9wavefront6targetE0EEEvS16_
                                        ; -- End function
	.section	.AMDGPU.csdata,"",@progbits
; Kernel info:
; codeLenInByte = 0
; NumSgprs: 0
; NumVgprs: 0
; ScratchSize: 0
; MemoryBound: 0
; FloatMode: 240
; IeeeMode: 1
; LDSByteSize: 0 bytes/workgroup (compile time only)
; SGPRBlocks: 0
; VGPRBlocks: 0
; NumSGPRsForWavesPerEU: 1
; NumVGPRsForWavesPerEU: 1
; Occupancy: 16
; WaveLimiterHint : 0
; COMPUTE_PGM_RSRC2:SCRATCH_EN: 0
; COMPUTE_PGM_RSRC2:USER_SGPR: 15
; COMPUTE_PGM_RSRC2:TRAP_HANDLER: 0
; COMPUTE_PGM_RSRC2:TGID_X_EN: 1
; COMPUTE_PGM_RSRC2:TGID_Y_EN: 0
; COMPUTE_PGM_RSRC2:TGID_Z_EN: 0
; COMPUTE_PGM_RSRC2:TIDIG_COMP_CNT: 0
	.section	.text._ZN7rocprim17ROCPRIM_400000_NS6detail17trampoline_kernelINS0_14default_configENS1_22reduce_config_selectorIN6thrust23THRUST_200600_302600_NS5tupleIblNS6_9null_typeES8_S8_S8_S8_S8_S8_S8_EEEEZNS1_11reduce_implILb1ES3_NS6_12zip_iteratorINS7_INS6_11hip_rocprim26transform_input_iterator_tIbNSD_35transform_pair_of_input_iterators_tIbNS6_6detail15normal_iteratorINS6_10device_ptrIlEEEENS6_17counting_iteratorIlNS6_11use_defaultESM_SM_EENS6_8equal_toIlEEEENSG_9not_fun_tINSD_8identityEEEEENSD_19counting_iterator_tIlEES8_S8_S8_S8_S8_S8_S8_S8_EEEEPS9_S9_NSD_9__find_if7functorIS9_EEEE10hipError_tPvRmT1_T2_T3_mT4_P12ihipStream_tbEUlT_E1_NS1_11comp_targetILNS1_3genE10ELNS1_11target_archE1200ELNS1_3gpuE4ELNS1_3repE0EEENS1_30default_config_static_selectorELNS0_4arch9wavefront6targetE0EEEvS16_,"axG",@progbits,_ZN7rocprim17ROCPRIM_400000_NS6detail17trampoline_kernelINS0_14default_configENS1_22reduce_config_selectorIN6thrust23THRUST_200600_302600_NS5tupleIblNS6_9null_typeES8_S8_S8_S8_S8_S8_S8_EEEEZNS1_11reduce_implILb1ES3_NS6_12zip_iteratorINS7_INS6_11hip_rocprim26transform_input_iterator_tIbNSD_35transform_pair_of_input_iterators_tIbNS6_6detail15normal_iteratorINS6_10device_ptrIlEEEENS6_17counting_iteratorIlNS6_11use_defaultESM_SM_EENS6_8equal_toIlEEEENSG_9not_fun_tINSD_8identityEEEEENSD_19counting_iterator_tIlEES8_S8_S8_S8_S8_S8_S8_S8_EEEEPS9_S9_NSD_9__find_if7functorIS9_EEEE10hipError_tPvRmT1_T2_T3_mT4_P12ihipStream_tbEUlT_E1_NS1_11comp_targetILNS1_3genE10ELNS1_11target_archE1200ELNS1_3gpuE4ELNS1_3repE0EEENS1_30default_config_static_selectorELNS0_4arch9wavefront6targetE0EEEvS16_,comdat
	.protected	_ZN7rocprim17ROCPRIM_400000_NS6detail17trampoline_kernelINS0_14default_configENS1_22reduce_config_selectorIN6thrust23THRUST_200600_302600_NS5tupleIblNS6_9null_typeES8_S8_S8_S8_S8_S8_S8_EEEEZNS1_11reduce_implILb1ES3_NS6_12zip_iteratorINS7_INS6_11hip_rocprim26transform_input_iterator_tIbNSD_35transform_pair_of_input_iterators_tIbNS6_6detail15normal_iteratorINS6_10device_ptrIlEEEENS6_17counting_iteratorIlNS6_11use_defaultESM_SM_EENS6_8equal_toIlEEEENSG_9not_fun_tINSD_8identityEEEEENSD_19counting_iterator_tIlEES8_S8_S8_S8_S8_S8_S8_S8_EEEEPS9_S9_NSD_9__find_if7functorIS9_EEEE10hipError_tPvRmT1_T2_T3_mT4_P12ihipStream_tbEUlT_E1_NS1_11comp_targetILNS1_3genE10ELNS1_11target_archE1200ELNS1_3gpuE4ELNS1_3repE0EEENS1_30default_config_static_selectorELNS0_4arch9wavefront6targetE0EEEvS16_ ; -- Begin function _ZN7rocprim17ROCPRIM_400000_NS6detail17trampoline_kernelINS0_14default_configENS1_22reduce_config_selectorIN6thrust23THRUST_200600_302600_NS5tupleIblNS6_9null_typeES8_S8_S8_S8_S8_S8_S8_EEEEZNS1_11reduce_implILb1ES3_NS6_12zip_iteratorINS7_INS6_11hip_rocprim26transform_input_iterator_tIbNSD_35transform_pair_of_input_iterators_tIbNS6_6detail15normal_iteratorINS6_10device_ptrIlEEEENS6_17counting_iteratorIlNS6_11use_defaultESM_SM_EENS6_8equal_toIlEEEENSG_9not_fun_tINSD_8identityEEEEENSD_19counting_iterator_tIlEES8_S8_S8_S8_S8_S8_S8_S8_EEEEPS9_S9_NSD_9__find_if7functorIS9_EEEE10hipError_tPvRmT1_T2_T3_mT4_P12ihipStream_tbEUlT_E1_NS1_11comp_targetILNS1_3genE10ELNS1_11target_archE1200ELNS1_3gpuE4ELNS1_3repE0EEENS1_30default_config_static_selectorELNS0_4arch9wavefront6targetE0EEEvS16_
	.globl	_ZN7rocprim17ROCPRIM_400000_NS6detail17trampoline_kernelINS0_14default_configENS1_22reduce_config_selectorIN6thrust23THRUST_200600_302600_NS5tupleIblNS6_9null_typeES8_S8_S8_S8_S8_S8_S8_EEEEZNS1_11reduce_implILb1ES3_NS6_12zip_iteratorINS7_INS6_11hip_rocprim26transform_input_iterator_tIbNSD_35transform_pair_of_input_iterators_tIbNS6_6detail15normal_iteratorINS6_10device_ptrIlEEEENS6_17counting_iteratorIlNS6_11use_defaultESM_SM_EENS6_8equal_toIlEEEENSG_9not_fun_tINSD_8identityEEEEENSD_19counting_iterator_tIlEES8_S8_S8_S8_S8_S8_S8_S8_EEEEPS9_S9_NSD_9__find_if7functorIS9_EEEE10hipError_tPvRmT1_T2_T3_mT4_P12ihipStream_tbEUlT_E1_NS1_11comp_targetILNS1_3genE10ELNS1_11target_archE1200ELNS1_3gpuE4ELNS1_3repE0EEENS1_30default_config_static_selectorELNS0_4arch9wavefront6targetE0EEEvS16_
	.p2align	8
	.type	_ZN7rocprim17ROCPRIM_400000_NS6detail17trampoline_kernelINS0_14default_configENS1_22reduce_config_selectorIN6thrust23THRUST_200600_302600_NS5tupleIblNS6_9null_typeES8_S8_S8_S8_S8_S8_S8_EEEEZNS1_11reduce_implILb1ES3_NS6_12zip_iteratorINS7_INS6_11hip_rocprim26transform_input_iterator_tIbNSD_35transform_pair_of_input_iterators_tIbNS6_6detail15normal_iteratorINS6_10device_ptrIlEEEENS6_17counting_iteratorIlNS6_11use_defaultESM_SM_EENS6_8equal_toIlEEEENSG_9not_fun_tINSD_8identityEEEEENSD_19counting_iterator_tIlEES8_S8_S8_S8_S8_S8_S8_S8_EEEEPS9_S9_NSD_9__find_if7functorIS9_EEEE10hipError_tPvRmT1_T2_T3_mT4_P12ihipStream_tbEUlT_E1_NS1_11comp_targetILNS1_3genE10ELNS1_11target_archE1200ELNS1_3gpuE4ELNS1_3repE0EEENS1_30default_config_static_selectorELNS0_4arch9wavefront6targetE0EEEvS16_,@function
_ZN7rocprim17ROCPRIM_400000_NS6detail17trampoline_kernelINS0_14default_configENS1_22reduce_config_selectorIN6thrust23THRUST_200600_302600_NS5tupleIblNS6_9null_typeES8_S8_S8_S8_S8_S8_S8_EEEEZNS1_11reduce_implILb1ES3_NS6_12zip_iteratorINS7_INS6_11hip_rocprim26transform_input_iterator_tIbNSD_35transform_pair_of_input_iterators_tIbNS6_6detail15normal_iteratorINS6_10device_ptrIlEEEENS6_17counting_iteratorIlNS6_11use_defaultESM_SM_EENS6_8equal_toIlEEEENSG_9not_fun_tINSD_8identityEEEEENSD_19counting_iterator_tIlEES8_S8_S8_S8_S8_S8_S8_S8_EEEEPS9_S9_NSD_9__find_if7functorIS9_EEEE10hipError_tPvRmT1_T2_T3_mT4_P12ihipStream_tbEUlT_E1_NS1_11comp_targetILNS1_3genE10ELNS1_11target_archE1200ELNS1_3gpuE4ELNS1_3repE0EEENS1_30default_config_static_selectorELNS0_4arch9wavefront6targetE0EEEvS16_: ; @_ZN7rocprim17ROCPRIM_400000_NS6detail17trampoline_kernelINS0_14default_configENS1_22reduce_config_selectorIN6thrust23THRUST_200600_302600_NS5tupleIblNS6_9null_typeES8_S8_S8_S8_S8_S8_S8_EEEEZNS1_11reduce_implILb1ES3_NS6_12zip_iteratorINS7_INS6_11hip_rocprim26transform_input_iterator_tIbNSD_35transform_pair_of_input_iterators_tIbNS6_6detail15normal_iteratorINS6_10device_ptrIlEEEENS6_17counting_iteratorIlNS6_11use_defaultESM_SM_EENS6_8equal_toIlEEEENSG_9not_fun_tINSD_8identityEEEEENSD_19counting_iterator_tIlEES8_S8_S8_S8_S8_S8_S8_S8_EEEEPS9_S9_NSD_9__find_if7functorIS9_EEEE10hipError_tPvRmT1_T2_T3_mT4_P12ihipStream_tbEUlT_E1_NS1_11comp_targetILNS1_3genE10ELNS1_11target_archE1200ELNS1_3gpuE4ELNS1_3repE0EEENS1_30default_config_static_selectorELNS0_4arch9wavefront6targetE0EEEvS16_
; %bb.0:
	.section	.rodata,"a",@progbits
	.p2align	6, 0x0
	.amdhsa_kernel _ZN7rocprim17ROCPRIM_400000_NS6detail17trampoline_kernelINS0_14default_configENS1_22reduce_config_selectorIN6thrust23THRUST_200600_302600_NS5tupleIblNS6_9null_typeES8_S8_S8_S8_S8_S8_S8_EEEEZNS1_11reduce_implILb1ES3_NS6_12zip_iteratorINS7_INS6_11hip_rocprim26transform_input_iterator_tIbNSD_35transform_pair_of_input_iterators_tIbNS6_6detail15normal_iteratorINS6_10device_ptrIlEEEENS6_17counting_iteratorIlNS6_11use_defaultESM_SM_EENS6_8equal_toIlEEEENSG_9not_fun_tINSD_8identityEEEEENSD_19counting_iterator_tIlEES8_S8_S8_S8_S8_S8_S8_S8_EEEEPS9_S9_NSD_9__find_if7functorIS9_EEEE10hipError_tPvRmT1_T2_T3_mT4_P12ihipStream_tbEUlT_E1_NS1_11comp_targetILNS1_3genE10ELNS1_11target_archE1200ELNS1_3gpuE4ELNS1_3repE0EEENS1_30default_config_static_selectorELNS0_4arch9wavefront6targetE0EEEvS16_
		.amdhsa_group_segment_fixed_size 0
		.amdhsa_private_segment_fixed_size 0
		.amdhsa_kernarg_size 88
		.amdhsa_user_sgpr_count 15
		.amdhsa_user_sgpr_dispatch_ptr 0
		.amdhsa_user_sgpr_queue_ptr 0
		.amdhsa_user_sgpr_kernarg_segment_ptr 1
		.amdhsa_user_sgpr_dispatch_id 0
		.amdhsa_user_sgpr_private_segment_size 0
		.amdhsa_wavefront_size32 1
		.amdhsa_uses_dynamic_stack 0
		.amdhsa_enable_private_segment 0
		.amdhsa_system_sgpr_workgroup_id_x 1
		.amdhsa_system_sgpr_workgroup_id_y 0
		.amdhsa_system_sgpr_workgroup_id_z 0
		.amdhsa_system_sgpr_workgroup_info 0
		.amdhsa_system_vgpr_workitem_id 0
		.amdhsa_next_free_vgpr 1
		.amdhsa_next_free_sgpr 1
		.amdhsa_reserve_vcc 0
		.amdhsa_float_round_mode_32 0
		.amdhsa_float_round_mode_16_64 0
		.amdhsa_float_denorm_mode_32 3
		.amdhsa_float_denorm_mode_16_64 3
		.amdhsa_dx10_clamp 1
		.amdhsa_ieee_mode 1
		.amdhsa_fp16_overflow 0
		.amdhsa_workgroup_processor_mode 1
		.amdhsa_memory_ordered 1
		.amdhsa_forward_progress 0
		.amdhsa_shared_vgpr_count 0
		.amdhsa_exception_fp_ieee_invalid_op 0
		.amdhsa_exception_fp_denorm_src 0
		.amdhsa_exception_fp_ieee_div_zero 0
		.amdhsa_exception_fp_ieee_overflow 0
		.amdhsa_exception_fp_ieee_underflow 0
		.amdhsa_exception_fp_ieee_inexact 0
		.amdhsa_exception_int_div_zero 0
	.end_amdhsa_kernel
	.section	.text._ZN7rocprim17ROCPRIM_400000_NS6detail17trampoline_kernelINS0_14default_configENS1_22reduce_config_selectorIN6thrust23THRUST_200600_302600_NS5tupleIblNS6_9null_typeES8_S8_S8_S8_S8_S8_S8_EEEEZNS1_11reduce_implILb1ES3_NS6_12zip_iteratorINS7_INS6_11hip_rocprim26transform_input_iterator_tIbNSD_35transform_pair_of_input_iterators_tIbNS6_6detail15normal_iteratorINS6_10device_ptrIlEEEENS6_17counting_iteratorIlNS6_11use_defaultESM_SM_EENS6_8equal_toIlEEEENSG_9not_fun_tINSD_8identityEEEEENSD_19counting_iterator_tIlEES8_S8_S8_S8_S8_S8_S8_S8_EEEEPS9_S9_NSD_9__find_if7functorIS9_EEEE10hipError_tPvRmT1_T2_T3_mT4_P12ihipStream_tbEUlT_E1_NS1_11comp_targetILNS1_3genE10ELNS1_11target_archE1200ELNS1_3gpuE4ELNS1_3repE0EEENS1_30default_config_static_selectorELNS0_4arch9wavefront6targetE0EEEvS16_,"axG",@progbits,_ZN7rocprim17ROCPRIM_400000_NS6detail17trampoline_kernelINS0_14default_configENS1_22reduce_config_selectorIN6thrust23THRUST_200600_302600_NS5tupleIblNS6_9null_typeES8_S8_S8_S8_S8_S8_S8_EEEEZNS1_11reduce_implILb1ES3_NS6_12zip_iteratorINS7_INS6_11hip_rocprim26transform_input_iterator_tIbNSD_35transform_pair_of_input_iterators_tIbNS6_6detail15normal_iteratorINS6_10device_ptrIlEEEENS6_17counting_iteratorIlNS6_11use_defaultESM_SM_EENS6_8equal_toIlEEEENSG_9not_fun_tINSD_8identityEEEEENSD_19counting_iterator_tIlEES8_S8_S8_S8_S8_S8_S8_S8_EEEEPS9_S9_NSD_9__find_if7functorIS9_EEEE10hipError_tPvRmT1_T2_T3_mT4_P12ihipStream_tbEUlT_E1_NS1_11comp_targetILNS1_3genE10ELNS1_11target_archE1200ELNS1_3gpuE4ELNS1_3repE0EEENS1_30default_config_static_selectorELNS0_4arch9wavefront6targetE0EEEvS16_,comdat
.Lfunc_end1204:
	.size	_ZN7rocprim17ROCPRIM_400000_NS6detail17trampoline_kernelINS0_14default_configENS1_22reduce_config_selectorIN6thrust23THRUST_200600_302600_NS5tupleIblNS6_9null_typeES8_S8_S8_S8_S8_S8_S8_EEEEZNS1_11reduce_implILb1ES3_NS6_12zip_iteratorINS7_INS6_11hip_rocprim26transform_input_iterator_tIbNSD_35transform_pair_of_input_iterators_tIbNS6_6detail15normal_iteratorINS6_10device_ptrIlEEEENS6_17counting_iteratorIlNS6_11use_defaultESM_SM_EENS6_8equal_toIlEEEENSG_9not_fun_tINSD_8identityEEEEENSD_19counting_iterator_tIlEES8_S8_S8_S8_S8_S8_S8_S8_EEEEPS9_S9_NSD_9__find_if7functorIS9_EEEE10hipError_tPvRmT1_T2_T3_mT4_P12ihipStream_tbEUlT_E1_NS1_11comp_targetILNS1_3genE10ELNS1_11target_archE1200ELNS1_3gpuE4ELNS1_3repE0EEENS1_30default_config_static_selectorELNS0_4arch9wavefront6targetE0EEEvS16_, .Lfunc_end1204-_ZN7rocprim17ROCPRIM_400000_NS6detail17trampoline_kernelINS0_14default_configENS1_22reduce_config_selectorIN6thrust23THRUST_200600_302600_NS5tupleIblNS6_9null_typeES8_S8_S8_S8_S8_S8_S8_EEEEZNS1_11reduce_implILb1ES3_NS6_12zip_iteratorINS7_INS6_11hip_rocprim26transform_input_iterator_tIbNSD_35transform_pair_of_input_iterators_tIbNS6_6detail15normal_iteratorINS6_10device_ptrIlEEEENS6_17counting_iteratorIlNS6_11use_defaultESM_SM_EENS6_8equal_toIlEEEENSG_9not_fun_tINSD_8identityEEEEENSD_19counting_iterator_tIlEES8_S8_S8_S8_S8_S8_S8_S8_EEEEPS9_S9_NSD_9__find_if7functorIS9_EEEE10hipError_tPvRmT1_T2_T3_mT4_P12ihipStream_tbEUlT_E1_NS1_11comp_targetILNS1_3genE10ELNS1_11target_archE1200ELNS1_3gpuE4ELNS1_3repE0EEENS1_30default_config_static_selectorELNS0_4arch9wavefront6targetE0EEEvS16_
                                        ; -- End function
	.section	.AMDGPU.csdata,"",@progbits
; Kernel info:
; codeLenInByte = 0
; NumSgprs: 0
; NumVgprs: 0
; ScratchSize: 0
; MemoryBound: 0
; FloatMode: 240
; IeeeMode: 1
; LDSByteSize: 0 bytes/workgroup (compile time only)
; SGPRBlocks: 0
; VGPRBlocks: 0
; NumSGPRsForWavesPerEU: 1
; NumVGPRsForWavesPerEU: 1
; Occupancy: 16
; WaveLimiterHint : 0
; COMPUTE_PGM_RSRC2:SCRATCH_EN: 0
; COMPUTE_PGM_RSRC2:USER_SGPR: 15
; COMPUTE_PGM_RSRC2:TRAP_HANDLER: 0
; COMPUTE_PGM_RSRC2:TGID_X_EN: 1
; COMPUTE_PGM_RSRC2:TGID_Y_EN: 0
; COMPUTE_PGM_RSRC2:TGID_Z_EN: 0
; COMPUTE_PGM_RSRC2:TIDIG_COMP_CNT: 0
	.section	.text._ZN7rocprim17ROCPRIM_400000_NS6detail17trampoline_kernelINS0_14default_configENS1_22reduce_config_selectorIN6thrust23THRUST_200600_302600_NS5tupleIblNS6_9null_typeES8_S8_S8_S8_S8_S8_S8_EEEEZNS1_11reduce_implILb1ES3_NS6_12zip_iteratorINS7_INS6_11hip_rocprim26transform_input_iterator_tIbNSD_35transform_pair_of_input_iterators_tIbNS6_6detail15normal_iteratorINS6_10device_ptrIlEEEENS6_17counting_iteratorIlNS6_11use_defaultESM_SM_EENS6_8equal_toIlEEEENSG_9not_fun_tINSD_8identityEEEEENSD_19counting_iterator_tIlEES8_S8_S8_S8_S8_S8_S8_S8_EEEEPS9_S9_NSD_9__find_if7functorIS9_EEEE10hipError_tPvRmT1_T2_T3_mT4_P12ihipStream_tbEUlT_E1_NS1_11comp_targetILNS1_3genE9ELNS1_11target_archE1100ELNS1_3gpuE3ELNS1_3repE0EEENS1_30default_config_static_selectorELNS0_4arch9wavefront6targetE0EEEvS16_,"axG",@progbits,_ZN7rocprim17ROCPRIM_400000_NS6detail17trampoline_kernelINS0_14default_configENS1_22reduce_config_selectorIN6thrust23THRUST_200600_302600_NS5tupleIblNS6_9null_typeES8_S8_S8_S8_S8_S8_S8_EEEEZNS1_11reduce_implILb1ES3_NS6_12zip_iteratorINS7_INS6_11hip_rocprim26transform_input_iterator_tIbNSD_35transform_pair_of_input_iterators_tIbNS6_6detail15normal_iteratorINS6_10device_ptrIlEEEENS6_17counting_iteratorIlNS6_11use_defaultESM_SM_EENS6_8equal_toIlEEEENSG_9not_fun_tINSD_8identityEEEEENSD_19counting_iterator_tIlEES8_S8_S8_S8_S8_S8_S8_S8_EEEEPS9_S9_NSD_9__find_if7functorIS9_EEEE10hipError_tPvRmT1_T2_T3_mT4_P12ihipStream_tbEUlT_E1_NS1_11comp_targetILNS1_3genE9ELNS1_11target_archE1100ELNS1_3gpuE3ELNS1_3repE0EEENS1_30default_config_static_selectorELNS0_4arch9wavefront6targetE0EEEvS16_,comdat
	.protected	_ZN7rocprim17ROCPRIM_400000_NS6detail17trampoline_kernelINS0_14default_configENS1_22reduce_config_selectorIN6thrust23THRUST_200600_302600_NS5tupleIblNS6_9null_typeES8_S8_S8_S8_S8_S8_S8_EEEEZNS1_11reduce_implILb1ES3_NS6_12zip_iteratorINS7_INS6_11hip_rocprim26transform_input_iterator_tIbNSD_35transform_pair_of_input_iterators_tIbNS6_6detail15normal_iteratorINS6_10device_ptrIlEEEENS6_17counting_iteratorIlNS6_11use_defaultESM_SM_EENS6_8equal_toIlEEEENSG_9not_fun_tINSD_8identityEEEEENSD_19counting_iterator_tIlEES8_S8_S8_S8_S8_S8_S8_S8_EEEEPS9_S9_NSD_9__find_if7functorIS9_EEEE10hipError_tPvRmT1_T2_T3_mT4_P12ihipStream_tbEUlT_E1_NS1_11comp_targetILNS1_3genE9ELNS1_11target_archE1100ELNS1_3gpuE3ELNS1_3repE0EEENS1_30default_config_static_selectorELNS0_4arch9wavefront6targetE0EEEvS16_ ; -- Begin function _ZN7rocprim17ROCPRIM_400000_NS6detail17trampoline_kernelINS0_14default_configENS1_22reduce_config_selectorIN6thrust23THRUST_200600_302600_NS5tupleIblNS6_9null_typeES8_S8_S8_S8_S8_S8_S8_EEEEZNS1_11reduce_implILb1ES3_NS6_12zip_iteratorINS7_INS6_11hip_rocprim26transform_input_iterator_tIbNSD_35transform_pair_of_input_iterators_tIbNS6_6detail15normal_iteratorINS6_10device_ptrIlEEEENS6_17counting_iteratorIlNS6_11use_defaultESM_SM_EENS6_8equal_toIlEEEENSG_9not_fun_tINSD_8identityEEEEENSD_19counting_iterator_tIlEES8_S8_S8_S8_S8_S8_S8_S8_EEEEPS9_S9_NSD_9__find_if7functorIS9_EEEE10hipError_tPvRmT1_T2_T3_mT4_P12ihipStream_tbEUlT_E1_NS1_11comp_targetILNS1_3genE9ELNS1_11target_archE1100ELNS1_3gpuE3ELNS1_3repE0EEENS1_30default_config_static_selectorELNS0_4arch9wavefront6targetE0EEEvS16_
	.globl	_ZN7rocprim17ROCPRIM_400000_NS6detail17trampoline_kernelINS0_14default_configENS1_22reduce_config_selectorIN6thrust23THRUST_200600_302600_NS5tupleIblNS6_9null_typeES8_S8_S8_S8_S8_S8_S8_EEEEZNS1_11reduce_implILb1ES3_NS6_12zip_iteratorINS7_INS6_11hip_rocprim26transform_input_iterator_tIbNSD_35transform_pair_of_input_iterators_tIbNS6_6detail15normal_iteratorINS6_10device_ptrIlEEEENS6_17counting_iteratorIlNS6_11use_defaultESM_SM_EENS6_8equal_toIlEEEENSG_9not_fun_tINSD_8identityEEEEENSD_19counting_iterator_tIlEES8_S8_S8_S8_S8_S8_S8_S8_EEEEPS9_S9_NSD_9__find_if7functorIS9_EEEE10hipError_tPvRmT1_T2_T3_mT4_P12ihipStream_tbEUlT_E1_NS1_11comp_targetILNS1_3genE9ELNS1_11target_archE1100ELNS1_3gpuE3ELNS1_3repE0EEENS1_30default_config_static_selectorELNS0_4arch9wavefront6targetE0EEEvS16_
	.p2align	8
	.type	_ZN7rocprim17ROCPRIM_400000_NS6detail17trampoline_kernelINS0_14default_configENS1_22reduce_config_selectorIN6thrust23THRUST_200600_302600_NS5tupleIblNS6_9null_typeES8_S8_S8_S8_S8_S8_S8_EEEEZNS1_11reduce_implILb1ES3_NS6_12zip_iteratorINS7_INS6_11hip_rocprim26transform_input_iterator_tIbNSD_35transform_pair_of_input_iterators_tIbNS6_6detail15normal_iteratorINS6_10device_ptrIlEEEENS6_17counting_iteratorIlNS6_11use_defaultESM_SM_EENS6_8equal_toIlEEEENSG_9not_fun_tINSD_8identityEEEEENSD_19counting_iterator_tIlEES8_S8_S8_S8_S8_S8_S8_S8_EEEEPS9_S9_NSD_9__find_if7functorIS9_EEEE10hipError_tPvRmT1_T2_T3_mT4_P12ihipStream_tbEUlT_E1_NS1_11comp_targetILNS1_3genE9ELNS1_11target_archE1100ELNS1_3gpuE3ELNS1_3repE0EEENS1_30default_config_static_selectorELNS0_4arch9wavefront6targetE0EEEvS16_,@function
_ZN7rocprim17ROCPRIM_400000_NS6detail17trampoline_kernelINS0_14default_configENS1_22reduce_config_selectorIN6thrust23THRUST_200600_302600_NS5tupleIblNS6_9null_typeES8_S8_S8_S8_S8_S8_S8_EEEEZNS1_11reduce_implILb1ES3_NS6_12zip_iteratorINS7_INS6_11hip_rocprim26transform_input_iterator_tIbNSD_35transform_pair_of_input_iterators_tIbNS6_6detail15normal_iteratorINS6_10device_ptrIlEEEENS6_17counting_iteratorIlNS6_11use_defaultESM_SM_EENS6_8equal_toIlEEEENSG_9not_fun_tINSD_8identityEEEEENSD_19counting_iterator_tIlEES8_S8_S8_S8_S8_S8_S8_S8_EEEEPS9_S9_NSD_9__find_if7functorIS9_EEEE10hipError_tPvRmT1_T2_T3_mT4_P12ihipStream_tbEUlT_E1_NS1_11comp_targetILNS1_3genE9ELNS1_11target_archE1100ELNS1_3gpuE3ELNS1_3repE0EEENS1_30default_config_static_selectorELNS0_4arch9wavefront6targetE0EEEvS16_: ; @_ZN7rocprim17ROCPRIM_400000_NS6detail17trampoline_kernelINS0_14default_configENS1_22reduce_config_selectorIN6thrust23THRUST_200600_302600_NS5tupleIblNS6_9null_typeES8_S8_S8_S8_S8_S8_S8_EEEEZNS1_11reduce_implILb1ES3_NS6_12zip_iteratorINS7_INS6_11hip_rocprim26transform_input_iterator_tIbNSD_35transform_pair_of_input_iterators_tIbNS6_6detail15normal_iteratorINS6_10device_ptrIlEEEENS6_17counting_iteratorIlNS6_11use_defaultESM_SM_EENS6_8equal_toIlEEEENSG_9not_fun_tINSD_8identityEEEEENSD_19counting_iterator_tIlEES8_S8_S8_S8_S8_S8_S8_S8_EEEEPS9_S9_NSD_9__find_if7functorIS9_EEEE10hipError_tPvRmT1_T2_T3_mT4_P12ihipStream_tbEUlT_E1_NS1_11comp_targetILNS1_3genE9ELNS1_11target_archE1100ELNS1_3gpuE3ELNS1_3repE0EEENS1_30default_config_static_selectorELNS0_4arch9wavefront6targetE0EEEvS16_
; %bb.0:
	s_mov_b32 s10, s15
	s_clause 0x4
	s_load_b32 s23, s[0:1], 0x4
	s_load_b128 s[16:19], s[0:1], 0x8
	s_load_b128 s[12:15], s[0:1], 0x28
	s_load_b32 s22, s[0:1], 0x40
	s_load_b64 s[20:21], s[0:1], 0x48
	s_waitcnt lgkmcnt(0)
	s_cmp_lt_i32 s23, 4
	s_cbranch_scc1 .LBB1205_19
; %bb.1:
	s_cmp_gt_i32 s23, 7
	s_cbranch_scc0 .LBB1205_20
; %bb.2:
	s_cmp_eq_u32 s23, 8
	s_mov_b32 s25, 0
	s_cbranch_scc0 .LBB1205_21
; %bb.3:
	s_mov_b32 s11, 0
	s_lshl_b32 s6, s10, 11
	s_mov_b32 s7, s11
	s_lshr_b64 s[4:5], s[14:15], 11
	s_lshl_b64 s[2:3], s[6:7], 3
	s_delay_alu instid0(SALU_CYCLE_1)
	s_add_u32 s8, s16, s2
	s_addc_u32 s9, s17, s3
	s_cmp_lg_u64 s[4:5], s[10:11]
	s_cbranch_scc0 .LBB1205_40
; %bb.4:
	v_dual_mov_b32 v18, s7 :: v_dual_lshlrev_b32 v3, 3, v0
	v_or_b32_e32 v31, s6, v0
	v_mov_b32_e32 v32, 0x100
	v_mov_b32_e32 v33, 0x300
	s_delay_alu instid0(VALU_DEP_4) | instskip(NEXT) | instid1(VALU_DEP_1)
	v_add_co_u32 v13, s2, s8, v3
	v_add_co_ci_u32_e64 v14, null, s9, 0, s2
	s_clause 0x1
	global_load_b64 v[1:2], v3, s[8:9]
	global_load_b64 v[3:4], v3, s[8:9] offset:2048
	v_add_co_u32 v5, vcc_lo, 0x1000, v13
	v_add_co_ci_u32_e32 v6, vcc_lo, 0, v14, vcc_lo
	v_add_co_u32 v7, vcc_lo, v13, 0x2000
	v_add_co_ci_u32_e32 v8, vcc_lo, 0, v14, vcc_lo
	v_add_co_u32 v9, vcc_lo, 0x2000, v13
	global_load_b64 v[5:6], v[5:6], off offset:2048
	v_add_co_ci_u32_e32 v10, vcc_lo, 0, v14, vcc_lo
	v_add_co_u32 v13, vcc_lo, 0x3000, v13
	v_add_co_ci_u32_e32 v14, vcc_lo, 0, v14, vcc_lo
	s_clause 0x4
	global_load_b64 v[11:12], v[7:8], off offset:-4096
	global_load_b64 v[7:8], v[7:8], off
	global_load_b64 v[9:10], v[9:10], off offset:2048
	global_load_b64 v[15:16], v[13:14], off
	global_load_b64 v[13:14], v[13:14], off offset:2048
	v_add_co_u32 v17, vcc_lo, s18, v31
	v_add_co_ci_u32_e32 v18, vcc_lo, s19, v18, vcc_lo
	v_mov_b32_e32 v34, 0x500
	s_delay_alu instid0(VALU_DEP_3) | instskip(NEXT) | instid1(VALU_DEP_3)
	v_add_co_u32 v19, vcc_lo, 0x100, v17
	v_add_co_ci_u32_e32 v20, vcc_lo, 0, v18, vcc_lo
	v_add_co_u32 v21, vcc_lo, 0x200, v17
	v_add_co_ci_u32_e32 v22, vcc_lo, 0, v18, vcc_lo
	;; [unrolled: 2-line block ×6, first 2 shown]
	s_waitcnt vmcnt(7)
	v_cmp_ne_u64_e64 s2, v[1:2], v[17:18]
	s_waitcnt vmcnt(6)
	v_cmp_ne_u64_e32 vcc_lo, v[3:4], v[19:20]
	v_add_co_u32 v1, s3, 0x700, v17
	s_delay_alu instid0(VALU_DEP_1) | instskip(SKIP_2) | instid1(VALU_DEP_1)
	v_add_co_ci_u32_e64 v2, s3, 0, v18, s3
	v_cndmask_b32_e32 v3, 0x200, v32, vcc_lo
	s_or_b32 s5, s2, vcc_lo
	v_cndmask_b32_e64 v3, v3, 0, s2
	s_waitcnt vmcnt(5)
	v_cmp_ne_u64_e64 s2, v[5:6], v[23:24]
	s_waitcnt vmcnt(4)
	v_cmp_ne_u64_e32 vcc_lo, v[11:12], v[21:22]
	s_waitcnt vmcnt(2)
	v_cmp_ne_u64_e64 s4, v[9:10], v[27:28]
	s_delay_alu instid0(VALU_DEP_3) | instskip(SKIP_2) | instid1(VALU_DEP_3)
	v_cndmask_b32_e64 v4, 0x400, v33, s2
	v_cmp_ne_u64_e64 s3, v[7:8], v[25:26]
	s_or_b32 vcc_lo, s5, vcc_lo
	v_cndmask_b32_e64 v5, 0x600, v34, s4
	s_delay_alu instid0(VALU_DEP_3)
	v_cndmask_b32_e32 v3, v4, v3, vcc_lo
	s_or_b32 s2, vcc_lo, s2
	s_waitcnt vmcnt(1)
	v_cmp_ne_u64_e64 s5, v[15:16], v[29:30]
	s_or_b32 s2, s2, s3
	s_waitcnt vmcnt(0)
	v_cmp_ne_u64_e32 vcc_lo, v[13:14], v[1:2]
	v_cndmask_b32_e64 v1, v5, v3, s2
	s_or_b32 s2, s2, s4
	v_mov_b32_e32 v2, s7
	s_or_b32 s2, s2, s5
	s_mov_b32 s4, exec_lo
	v_cndmask_b32_e64 v1, 0x700, v1, s2
	s_or_b32 s3, s2, vcc_lo
	v_add_co_u32 v3, vcc_lo, s12, v31
	v_cndmask_b32_e64 v5, 0, 1, s3
	v_add_co_ci_u32_e32 v2, vcc_lo, s13, v2, vcc_lo
	s_delay_alu instid0(VALU_DEP_3) | instskip(NEXT) | instid1(VALU_DEP_3)
	v_add_co_u32 v1, vcc_lo, v3, v1
	v_mov_b32_dpp v6, v5 quad_perm:[1,0,3,2] row_mask:0xf bank_mask:0xf
	s_delay_alu instid0(VALU_DEP_3) | instskip(NEXT) | instid1(VALU_DEP_3)
	v_add_co_ci_u32_e32 v2, vcc_lo, 0, v2, vcc_lo
	v_mov_b32_dpp v3, v1 quad_perm:[1,0,3,2] row_mask:0xf bank_mask:0xf
	s_delay_alu instid0(VALU_DEP_3) | instskip(NEXT) | instid1(VALU_DEP_3)
	v_and_b32_e32 v7, 1, v6
	v_mov_b32_dpp v4, v2 quad_perm:[1,0,3,2] row_mask:0xf bank_mask:0xf
	s_delay_alu instid0(VALU_DEP_2)
	v_cmpx_eq_u32_e32 1, v7
; %bb.5:
	v_cndmask_b32_e64 v5, v6, 1, s3
	s_delay_alu instid0(VALU_DEP_3) | instskip(NEXT) | instid1(VALU_DEP_2)
	v_cmp_lt_i64_e32 vcc_lo, v[1:2], v[3:4]
	v_and_b32_e32 v6, 1, v5
	v_and_b32_e32 v5, 0xff, v5
	s_and_b32 vcc_lo, s3, vcc_lo
	s_and_not1_b32 s3, s3, exec_lo
	v_dual_cndmask_b32 v2, v4, v2 :: v_dual_cndmask_b32 v1, v3, v1
	v_cmp_eq_u32_e64 s2, 1, v6
	s_delay_alu instid0(VALU_DEP_1) | instskip(NEXT) | instid1(SALU_CYCLE_1)
	s_and_b32 s2, s2, exec_lo
	s_or_b32 s3, s3, s2
; %bb.6:
	s_or_b32 exec_lo, exec_lo, s4
	v_mov_b32_dpp v6, v5 quad_perm:[2,3,0,1] row_mask:0xf bank_mask:0xf
	v_mov_b32_dpp v3, v1 quad_perm:[2,3,0,1] row_mask:0xf bank_mask:0xf
	;; [unrolled: 1-line block ×3, first 2 shown]
	s_mov_b32 s4, exec_lo
	s_delay_alu instid0(VALU_DEP_3) | instskip(NEXT) | instid1(VALU_DEP_1)
	v_and_b32_e32 v7, 1, v6
	v_cmpx_eq_u32_e32 1, v7
; %bb.7:
	v_cndmask_b32_e64 v5, v6, 1, s3
	v_cmp_lt_i64_e32 vcc_lo, v[1:2], v[3:4]
	s_delay_alu instid0(VALU_DEP_2)
	v_and_b32_e32 v6, 1, v5
	v_and_b32_e32 v5, 0xff, v5
	s_and_b32 vcc_lo, s3, vcc_lo
	s_and_not1_b32 s3, s3, exec_lo
	v_dual_cndmask_b32 v2, v4, v2 :: v_dual_cndmask_b32 v1, v3, v1
	v_cmp_eq_u32_e64 s2, 1, v6
	s_delay_alu instid0(VALU_DEP_1) | instskip(NEXT) | instid1(SALU_CYCLE_1)
	s_and_b32 s2, s2, exec_lo
	s_or_b32 s3, s3, s2
; %bb.8:
	s_or_b32 exec_lo, exec_lo, s4
	v_mov_b32_dpp v6, v5 row_ror:4 row_mask:0xf bank_mask:0xf
	v_mov_b32_dpp v3, v1 row_ror:4 row_mask:0xf bank_mask:0xf
	;; [unrolled: 1-line block ×3, first 2 shown]
	s_mov_b32 s4, exec_lo
	s_delay_alu instid0(VALU_DEP_3) | instskip(NEXT) | instid1(VALU_DEP_1)
	v_and_b32_e32 v7, 1, v6
	v_cmpx_eq_u32_e32 1, v7
; %bb.9:
	v_cndmask_b32_e64 v5, v6, 1, s3
	v_cmp_lt_i64_e32 vcc_lo, v[1:2], v[3:4]
	s_delay_alu instid0(VALU_DEP_2)
	v_and_b32_e32 v6, 1, v5
	v_and_b32_e32 v5, 0xff, v5
	s_and_b32 vcc_lo, s3, vcc_lo
	s_and_not1_b32 s3, s3, exec_lo
	v_dual_cndmask_b32 v2, v4, v2 :: v_dual_cndmask_b32 v1, v3, v1
	v_cmp_eq_u32_e64 s2, 1, v6
	s_delay_alu instid0(VALU_DEP_1) | instskip(NEXT) | instid1(SALU_CYCLE_1)
	s_and_b32 s2, s2, exec_lo
	s_or_b32 s3, s3, s2
; %bb.10:
	s_or_b32 exec_lo, exec_lo, s4
	v_mov_b32_dpp v6, v5 row_ror:8 row_mask:0xf bank_mask:0xf
	v_mov_b32_dpp v3, v1 row_ror:8 row_mask:0xf bank_mask:0xf
	;; [unrolled: 1-line block ×3, first 2 shown]
	s_mov_b32 s4, exec_lo
	s_delay_alu instid0(VALU_DEP_3) | instskip(NEXT) | instid1(VALU_DEP_1)
	v_and_b32_e32 v7, 1, v6
	v_cmpx_eq_u32_e32 1, v7
; %bb.11:
	v_cndmask_b32_e64 v5, v6, 1, s3
	v_cmp_lt_i64_e32 vcc_lo, v[1:2], v[3:4]
	s_delay_alu instid0(VALU_DEP_2)
	v_and_b32_e32 v6, 1, v5
	v_and_b32_e32 v5, 0xff, v5
	s_and_b32 vcc_lo, s3, vcc_lo
	s_and_not1_b32 s3, s3, exec_lo
	v_dual_cndmask_b32 v2, v4, v2 :: v_dual_cndmask_b32 v1, v3, v1
	v_cmp_eq_u32_e64 s2, 1, v6
	s_delay_alu instid0(VALU_DEP_1) | instskip(NEXT) | instid1(SALU_CYCLE_1)
	s_and_b32 s2, s2, exec_lo
	s_or_b32 s3, s3, s2
; %bb.12:
	s_or_b32 exec_lo, exec_lo, s4
	ds_swizzle_b32 v6, v5 offset:swizzle(BROADCAST,32,15)
	ds_swizzle_b32 v3, v1 offset:swizzle(BROADCAST,32,15)
	;; [unrolled: 1-line block ×3, first 2 shown]
	s_mov_b32 s2, exec_lo
	s_waitcnt lgkmcnt(2)
	v_and_b32_e32 v7, 1, v6
	s_delay_alu instid0(VALU_DEP_1)
	v_cmpx_eq_u32_e32 1, v7
	s_cbranch_execz .LBB1205_14
; %bb.13:
	s_waitcnt lgkmcnt(0)
	v_cmp_lt_i64_e32 vcc_lo, v[1:2], v[3:4]
	v_and_b32_e32 v5, 0xff, v6
	s_delay_alu instid0(VALU_DEP_1)
	v_cndmask_b32_e64 v5, v5, 1, s3
	s_and_b32 vcc_lo, s3, vcc_lo
	v_dual_cndmask_b32 v1, v3, v1 :: v_dual_cndmask_b32 v2, v4, v2
.LBB1205_14:
	s_or_b32 exec_lo, exec_lo, s2
	s_waitcnt lgkmcnt(1)
	v_mov_b32_e32 v3, 0
	s_mov_b32 s2, exec_lo
	ds_bpermute_b32 v6, v3, v5 offset:124
	ds_bpermute_b32 v1, v3, v1 offset:124
	;; [unrolled: 1-line block ×3, first 2 shown]
	v_mbcnt_lo_u32_b32 v3, -1, 0
	s_delay_alu instid0(VALU_DEP_1)
	v_cmpx_eq_u32_e32 0, v3
	s_cbranch_execz .LBB1205_16
; %bb.15:
	s_waitcnt lgkmcnt(3)
	v_lshrrev_b32_e32 v4, 1, v0
	s_delay_alu instid0(VALU_DEP_1)
	v_and_b32_e32 v4, 0x70, v4
	s_waitcnt lgkmcnt(2)
	ds_store_b8 v4, v6 offset:384
	s_waitcnt lgkmcnt(1)
	ds_store_b64 v4, v[1:2] offset:392
.LBB1205_16:
	s_or_b32 exec_lo, exec_lo, s2
	s_delay_alu instid0(SALU_CYCLE_1)
	s_mov_b32 s4, exec_lo
	s_waitcnt lgkmcnt(0)
	s_barrier
	buffer_gl0_inv
	v_cmpx_gt_u32_e32 32, v0
	s_cbranch_execz .LBB1205_18
; %bb.17:
	v_and_b32_e32 v6, 7, v3
	s_delay_alu instid0(VALU_DEP_1)
	v_lshlrev_b32_e32 v1, 4, v6
	v_cmp_ne_u32_e32 vcc_lo, 7, v6
	ds_load_u8 v7, v1 offset:384
	ds_load_b64 v[1:2], v1 offset:392
	v_add_co_ci_u32_e32 v4, vcc_lo, 0, v3, vcc_lo
	v_cmp_gt_u32_e32 vcc_lo, 6, v6
	s_delay_alu instid0(VALU_DEP_2)
	v_lshlrev_b32_e32 v5, 2, v4
	v_cndmask_b32_e64 v10, 0, 1, vcc_lo
	s_waitcnt lgkmcnt(1)
	v_and_b32_e32 v4, 0xff, v7
	v_and_b32_e32 v11, 1, v7
	ds_bpermute_b32 v8, v5, v4
	s_waitcnt lgkmcnt(1)
	ds_bpermute_b32 v4, v5, v1
	ds_bpermute_b32 v5, v5, v2
	v_cmp_eq_u32_e64 s3, 1, v11
	s_waitcnt lgkmcnt(2)
	v_and_b32_e32 v9, 1, v8
	s_waitcnt lgkmcnt(0)
	v_cmp_lt_i64_e64 s2, v[4:5], v[1:2]
	s_delay_alu instid0(VALU_DEP_2) | instskip(SKIP_2) | instid1(VALU_DEP_4)
	v_cmp_eq_u32_e32 vcc_lo, 1, v9
	v_lshlrev_b32_e32 v9, 1, v10
	v_cndmask_b32_e64 v7, v7, 1, vcc_lo
	s_and_b32 vcc_lo, vcc_lo, s2
	v_dual_cndmask_b32 v1, v1, v4 :: v_dual_cndmask_b32 v2, v2, v5
	s_delay_alu instid0(VALU_DEP_2) | instskip(SKIP_2) | instid1(VALU_DEP_4)
	v_cndmask_b32_e64 v7, v8, v7, s3
	v_add_lshl_u32 v8, v9, v3, 2
	v_cmp_gt_u32_e32 vcc_lo, 4, v6
	v_cndmask_b32_e64 v1, v4, v1, s3
	v_cndmask_b32_e64 v2, v5, v2, s3
	v_and_b32_e32 v9, 0xff, v7
	v_and_b32_e32 v10, 1, v7
	v_cndmask_b32_e64 v6, 0, 1, vcc_lo
	ds_bpermute_b32 v4, v8, v1
	ds_bpermute_b32 v5, v8, v2
	ds_bpermute_b32 v9, v8, v9
	v_cmp_eq_u32_e64 s3, 1, v10
	s_waitcnt lgkmcnt(1)
	v_cmp_lt_i64_e64 s2, v[4:5], v[1:2]
	s_waitcnt lgkmcnt(0)
	v_and_b32_e32 v8, 1, v9
	s_delay_alu instid0(VALU_DEP_1) | instskip(SKIP_1) | instid1(VALU_DEP_4)
	v_cmp_eq_u32_e32 vcc_lo, 1, v8
	v_cndmask_b32_e64 v7, v7, 1, vcc_lo
	s_and_b32 vcc_lo, vcc_lo, s2
	v_dual_cndmask_b32 v1, v1, v4 :: v_dual_cndmask_b32 v2, v2, v5
	s_delay_alu instid0(VALU_DEP_2) | instskip(NEXT) | instid1(VALU_DEP_2)
	v_cndmask_b32_e64 v7, v9, v7, s3
	v_cndmask_b32_e64 v1, v4, v1, s3
	v_lshlrev_b32_e32 v6, 2, v6
	s_delay_alu instid0(VALU_DEP_4) | instskip(NEXT) | instid1(VALU_DEP_2)
	v_cndmask_b32_e64 v2, v5, v2, s3
	v_add_lshl_u32 v6, v6, v3, 2
	v_and_b32_e32 v3, 0xff, v7
	ds_bpermute_b32 v4, v6, v2
	ds_bpermute_b32 v5, v6, v3
	;; [unrolled: 1-line block ×3, first 2 shown]
	s_waitcnt lgkmcnt(1)
	v_and_b32_e32 v6, 1, v5
	s_waitcnt lgkmcnt(0)
	v_cmp_lt_i64_e32 vcc_lo, v[3:4], v[1:2]
	s_delay_alu instid0(VALU_DEP_2) | instskip(SKIP_1) | instid1(VALU_DEP_2)
	v_cmp_eq_u32_e64 s2, 1, v6
	v_and_b32_e32 v6, 1, v7
	v_cndmask_b32_e64 v7, v7, 1, s2
	s_and_b32 vcc_lo, s2, vcc_lo
	s_delay_alu instid0(VALU_DEP_2) | instskip(SKIP_1) | instid1(VALU_DEP_2)
	v_cmp_eq_u32_e64 s2, 1, v6
	v_dual_cndmask_b32 v1, v1, v3 :: v_dual_cndmask_b32 v2, v2, v4
	v_cndmask_b32_e64 v5, v5, v7, s2
	s_delay_alu instid0(VALU_DEP_2) | instskip(NEXT) | instid1(VALU_DEP_3)
	v_cndmask_b32_e64 v1, v3, v1, s2
	v_cndmask_b32_e64 v2, v4, v2, s2
	s_delay_alu instid0(VALU_DEP_3)
	v_and_b32_e32 v6, 0xff, v5
.LBB1205_18:
	s_or_b32 exec_lo, exec_lo, s4
	s_branch .LBB1205_85
.LBB1205_19:
	s_mov_b32 s24, 0
                                        ; implicit-def: $vgpr3_vgpr4
                                        ; implicit-def: $vgpr5
	s_cbranch_execnz .LBB1205_129
	s_branch .LBB1205_200
.LBB1205_20:
	s_mov_b32 s25, -1
.LBB1205_21:
	s_mov_b32 s24, 0
                                        ; implicit-def: $vgpr3_vgpr4
                                        ; implicit-def: $vgpr5
	s_and_b32 vcc_lo, exec_lo, s25
	s_cbranch_vccz .LBB1205_90
.LBB1205_22:
	s_cmp_eq_u32 s23, 4
	s_cbranch_scc0 .LBB1205_39
; %bb.23:
	s_mov_b32 s11, 0
	s_lshl_b32 s8, s10, 10
	s_mov_b32 s9, s11
	s_lshr_b64 s[4:5], s[14:15], 10
	s_lshl_b64 s[2:3], s[8:9], 3
	s_delay_alu instid0(SALU_CYCLE_1)
	s_add_u32 s6, s16, s2
	s_addc_u32 s7, s17, s3
	s_cmp_lg_u64 s[4:5], s[10:11]
	s_cbranch_scc0 .LBB1205_91
; %bb.24:
	s_waitcnt lgkmcnt(2)
	v_dual_mov_b32 v10, s9 :: v_dual_lshlrev_b32 v5, 3, v0
	v_or_b32_e32 v15, s8, v0
	v_mov_b32_e32 v16, 0x100
	s_waitcnt lgkmcnt(1)
	s_delay_alu instid0(VALU_DEP_3)
	v_add_co_u32 v3, s2, s6, v5
	s_waitcnt lgkmcnt(0)
	v_add_co_ci_u32_e64 v4, null, s7, 0, s2
	global_load_b64 v[1:2], v5, s[6:7] offset:2048
	v_add_co_u32 v3, vcc_lo, 0x1000, v3
	v_add_co_ci_u32_e32 v4, vcc_lo, 0, v4, vcc_lo
	v_add_co_u32 v9, vcc_lo, s18, v15
	s_clause 0x2
	global_load_b64 v[5:6], v5, s[6:7]
	global_load_b64 v[7:8], v[3:4], off
	global_load_b64 v[3:4], v[3:4], off offset:2048
	v_add_co_ci_u32_e32 v10, vcc_lo, s19, v10, vcc_lo
	v_add_co_u32 v11, vcc_lo, 0x100, v9
	s_delay_alu instid0(VALU_DEP_2) | instskip(SKIP_3) | instid1(VALU_DEP_3)
	v_add_co_ci_u32_e32 v12, vcc_lo, 0, v10, vcc_lo
	v_add_co_u32 v13, vcc_lo, 0x200, v9
	v_add_co_ci_u32_e32 v14, vcc_lo, 0, v10, vcc_lo
	s_waitcnt vmcnt(3)
	v_cmp_ne_u64_e32 vcc_lo, v[1:2], v[11:12]
	v_add_co_u32 v1, s2, 0x300, v9
	s_delay_alu instid0(VALU_DEP_1)
	v_add_co_ci_u32_e64 v2, s2, 0, v10, s2
	s_waitcnt vmcnt(2)
	v_cmp_ne_u64_e64 s2, v[5:6], v[9:10]
	s_waitcnt vmcnt(1)
	v_cmp_ne_u64_e64 s3, v[7:8], v[13:14]
	s_waitcnt vmcnt(0)
	v_cmp_ne_u64_e64 s4, v[3:4], v[1:2]
	v_mov_b32_e32 v1, s9
	v_cndmask_b32_e32 v11, 0x200, v16, vcc_lo
	s_delay_alu instid0(VALU_DEP_1) | instskip(SKIP_1) | instid1(SALU_CYCLE_1)
	v_cndmask_b32_e64 v5, v11, 0, s2
	s_or_b32 s2, s2, vcc_lo
	s_or_b32 vcc_lo, s2, s3
	s_delay_alu instid0(SALU_CYCLE_1) | instskip(NEXT) | instid1(VALU_DEP_1)
	s_or_b32 s3, vcc_lo, s4
	v_cndmask_b32_e32 v2, 0x300, v5, vcc_lo
	v_cndmask_b32_e64 v5, 0, 1, s3
	v_add_co_u32 v3, vcc_lo, s12, v15
	v_add_co_ci_u32_e32 v4, vcc_lo, s13, v1, vcc_lo
	s_delay_alu instid0(VALU_DEP_3) | instskip(SKIP_1) | instid1(VALU_DEP_1)
	v_mov_b32_dpp v6, v5 quad_perm:[1,0,3,2] row_mask:0xf bank_mask:0xf
	s_mov_b32 s4, exec_lo
	v_and_b32_e32 v7, 1, v6
	v_add_co_u32 v1, vcc_lo, v3, v2
	v_add_co_ci_u32_e32 v2, vcc_lo, 0, v4, vcc_lo
	s_delay_alu instid0(VALU_DEP_2) | instskip(NEXT) | instid1(VALU_DEP_2)
	v_mov_b32_dpp v3, v1 quad_perm:[1,0,3,2] row_mask:0xf bank_mask:0xf
	v_mov_b32_dpp v4, v2 quad_perm:[1,0,3,2] row_mask:0xf bank_mask:0xf
	v_cmpx_eq_u32_e32 1, v7
; %bb.25:
	v_cndmask_b32_e64 v5, v6, 1, s3
	s_delay_alu instid0(VALU_DEP_3) | instskip(NEXT) | instid1(VALU_DEP_2)
	v_cmp_lt_i64_e32 vcc_lo, v[1:2], v[3:4]
	v_and_b32_e32 v6, 1, v5
	v_and_b32_e32 v5, 0xff, v5
	s_and_b32 vcc_lo, s3, vcc_lo
	s_and_not1_b32 s3, s3, exec_lo
	v_dual_cndmask_b32 v2, v4, v2 :: v_dual_cndmask_b32 v1, v3, v1
	v_cmp_eq_u32_e64 s2, 1, v6
	s_delay_alu instid0(VALU_DEP_1) | instskip(NEXT) | instid1(SALU_CYCLE_1)
	s_and_b32 s2, s2, exec_lo
	s_or_b32 s3, s3, s2
; %bb.26:
	s_or_b32 exec_lo, exec_lo, s4
	v_mov_b32_dpp v6, v5 quad_perm:[2,3,0,1] row_mask:0xf bank_mask:0xf
	v_mov_b32_dpp v3, v1 quad_perm:[2,3,0,1] row_mask:0xf bank_mask:0xf
	v_mov_b32_dpp v4, v2 quad_perm:[2,3,0,1] row_mask:0xf bank_mask:0xf
	s_mov_b32 s4, exec_lo
	s_delay_alu instid0(VALU_DEP_3) | instskip(NEXT) | instid1(VALU_DEP_1)
	v_and_b32_e32 v7, 1, v6
	v_cmpx_eq_u32_e32 1, v7
; %bb.27:
	v_cndmask_b32_e64 v5, v6, 1, s3
	v_cmp_lt_i64_e32 vcc_lo, v[1:2], v[3:4]
	s_delay_alu instid0(VALU_DEP_2)
	v_and_b32_e32 v6, 1, v5
	v_and_b32_e32 v5, 0xff, v5
	s_and_b32 vcc_lo, s3, vcc_lo
	s_and_not1_b32 s3, s3, exec_lo
	v_dual_cndmask_b32 v2, v4, v2 :: v_dual_cndmask_b32 v1, v3, v1
	v_cmp_eq_u32_e64 s2, 1, v6
	s_delay_alu instid0(VALU_DEP_1) | instskip(NEXT) | instid1(SALU_CYCLE_1)
	s_and_b32 s2, s2, exec_lo
	s_or_b32 s3, s3, s2
; %bb.28:
	s_or_b32 exec_lo, exec_lo, s4
	v_mov_b32_dpp v6, v5 row_ror:4 row_mask:0xf bank_mask:0xf
	v_mov_b32_dpp v3, v1 row_ror:4 row_mask:0xf bank_mask:0xf
	;; [unrolled: 1-line block ×3, first 2 shown]
	s_mov_b32 s4, exec_lo
	s_delay_alu instid0(VALU_DEP_3) | instskip(NEXT) | instid1(VALU_DEP_1)
	v_and_b32_e32 v7, 1, v6
	v_cmpx_eq_u32_e32 1, v7
; %bb.29:
	v_cndmask_b32_e64 v5, v6, 1, s3
	v_cmp_lt_i64_e32 vcc_lo, v[1:2], v[3:4]
	s_delay_alu instid0(VALU_DEP_2)
	v_and_b32_e32 v6, 1, v5
	v_and_b32_e32 v5, 0xff, v5
	s_and_b32 vcc_lo, s3, vcc_lo
	s_and_not1_b32 s3, s3, exec_lo
	v_dual_cndmask_b32 v2, v4, v2 :: v_dual_cndmask_b32 v1, v3, v1
	v_cmp_eq_u32_e64 s2, 1, v6
	s_delay_alu instid0(VALU_DEP_1) | instskip(NEXT) | instid1(SALU_CYCLE_1)
	s_and_b32 s2, s2, exec_lo
	s_or_b32 s3, s3, s2
; %bb.30:
	s_or_b32 exec_lo, exec_lo, s4
	v_mov_b32_dpp v6, v5 row_ror:8 row_mask:0xf bank_mask:0xf
	v_mov_b32_dpp v3, v1 row_ror:8 row_mask:0xf bank_mask:0xf
	;; [unrolled: 1-line block ×3, first 2 shown]
	s_mov_b32 s4, exec_lo
	s_delay_alu instid0(VALU_DEP_3) | instskip(NEXT) | instid1(VALU_DEP_1)
	v_and_b32_e32 v7, 1, v6
	v_cmpx_eq_u32_e32 1, v7
; %bb.31:
	v_cndmask_b32_e64 v5, v6, 1, s3
	v_cmp_lt_i64_e32 vcc_lo, v[1:2], v[3:4]
	s_delay_alu instid0(VALU_DEP_2)
	v_and_b32_e32 v6, 1, v5
	v_and_b32_e32 v5, 0xff, v5
	s_and_b32 vcc_lo, s3, vcc_lo
	s_and_not1_b32 s3, s3, exec_lo
	v_dual_cndmask_b32 v2, v4, v2 :: v_dual_cndmask_b32 v1, v3, v1
	v_cmp_eq_u32_e64 s2, 1, v6
	s_delay_alu instid0(VALU_DEP_1) | instskip(NEXT) | instid1(SALU_CYCLE_1)
	s_and_b32 s2, s2, exec_lo
	s_or_b32 s3, s3, s2
; %bb.32:
	s_or_b32 exec_lo, exec_lo, s4
	ds_swizzle_b32 v6, v5 offset:swizzle(BROADCAST,32,15)
	ds_swizzle_b32 v3, v1 offset:swizzle(BROADCAST,32,15)
	ds_swizzle_b32 v4, v2 offset:swizzle(BROADCAST,32,15)
	s_mov_b32 s2, exec_lo
	s_waitcnt lgkmcnt(2)
	v_and_b32_e32 v7, 1, v6
	s_delay_alu instid0(VALU_DEP_1)
	v_cmpx_eq_u32_e32 1, v7
	s_cbranch_execz .LBB1205_34
; %bb.33:
	s_waitcnt lgkmcnt(0)
	v_cmp_lt_i64_e32 vcc_lo, v[1:2], v[3:4]
	v_and_b32_e32 v5, 0xff, v6
	s_delay_alu instid0(VALU_DEP_1)
	v_cndmask_b32_e64 v5, v5, 1, s3
	s_and_b32 vcc_lo, s3, vcc_lo
	v_dual_cndmask_b32 v1, v3, v1 :: v_dual_cndmask_b32 v2, v4, v2
.LBB1205_34:
	s_or_b32 exec_lo, exec_lo, s2
	s_waitcnt lgkmcnt(1)
	v_mov_b32_e32 v3, 0
	s_mov_b32 s2, exec_lo
	ds_bpermute_b32 v6, v3, v5 offset:124
	ds_bpermute_b32 v1, v3, v1 offset:124
	;; [unrolled: 1-line block ×3, first 2 shown]
	v_mbcnt_lo_u32_b32 v3, -1, 0
	s_delay_alu instid0(VALU_DEP_1)
	v_cmpx_eq_u32_e32 0, v3
	s_cbranch_execz .LBB1205_36
; %bb.35:
	s_waitcnt lgkmcnt(3)
	v_lshrrev_b32_e32 v4, 1, v0
	s_delay_alu instid0(VALU_DEP_1)
	v_and_b32_e32 v4, 0x70, v4
	s_waitcnt lgkmcnt(2)
	ds_store_b8 v4, v6 offset:256
	s_waitcnt lgkmcnt(1)
	ds_store_b64 v4, v[1:2] offset:264
.LBB1205_36:
	s_or_b32 exec_lo, exec_lo, s2
	s_delay_alu instid0(SALU_CYCLE_1)
	s_mov_b32 s4, exec_lo
	s_waitcnt lgkmcnt(0)
	s_barrier
	buffer_gl0_inv
	v_cmpx_gt_u32_e32 32, v0
	s_cbranch_execz .LBB1205_38
; %bb.37:
	v_and_b32_e32 v6, 7, v3
	s_delay_alu instid0(VALU_DEP_1)
	v_lshlrev_b32_e32 v1, 4, v6
	v_cmp_ne_u32_e32 vcc_lo, 7, v6
	ds_load_u8 v7, v1 offset:256
	ds_load_b64 v[1:2], v1 offset:264
	v_add_co_ci_u32_e32 v4, vcc_lo, 0, v3, vcc_lo
	v_cmp_gt_u32_e32 vcc_lo, 6, v6
	s_delay_alu instid0(VALU_DEP_2)
	v_lshlrev_b32_e32 v5, 2, v4
	v_cndmask_b32_e64 v10, 0, 1, vcc_lo
	s_waitcnt lgkmcnt(1)
	v_and_b32_e32 v4, 0xff, v7
	v_and_b32_e32 v11, 1, v7
	ds_bpermute_b32 v8, v5, v4
	s_waitcnt lgkmcnt(1)
	ds_bpermute_b32 v4, v5, v1
	ds_bpermute_b32 v5, v5, v2
	v_cmp_eq_u32_e64 s3, 1, v11
	s_waitcnt lgkmcnt(2)
	v_and_b32_e32 v9, 1, v8
	s_waitcnt lgkmcnt(0)
	v_cmp_lt_i64_e64 s2, v[4:5], v[1:2]
	s_delay_alu instid0(VALU_DEP_2) | instskip(SKIP_2) | instid1(VALU_DEP_4)
	v_cmp_eq_u32_e32 vcc_lo, 1, v9
	v_lshlrev_b32_e32 v9, 1, v10
	v_cndmask_b32_e64 v7, v7, 1, vcc_lo
	s_and_b32 vcc_lo, vcc_lo, s2
	v_dual_cndmask_b32 v1, v1, v4 :: v_dual_cndmask_b32 v2, v2, v5
	s_delay_alu instid0(VALU_DEP_2) | instskip(SKIP_2) | instid1(VALU_DEP_4)
	v_cndmask_b32_e64 v7, v8, v7, s3
	v_add_lshl_u32 v8, v9, v3, 2
	v_cmp_gt_u32_e32 vcc_lo, 4, v6
	v_cndmask_b32_e64 v1, v4, v1, s3
	v_cndmask_b32_e64 v2, v5, v2, s3
	v_and_b32_e32 v9, 0xff, v7
	v_and_b32_e32 v10, 1, v7
	v_cndmask_b32_e64 v6, 0, 1, vcc_lo
	ds_bpermute_b32 v4, v8, v1
	ds_bpermute_b32 v5, v8, v2
	;; [unrolled: 1-line block ×3, first 2 shown]
	v_cmp_eq_u32_e64 s3, 1, v10
	s_waitcnt lgkmcnt(1)
	v_cmp_lt_i64_e64 s2, v[4:5], v[1:2]
	s_waitcnt lgkmcnt(0)
	v_and_b32_e32 v8, 1, v9
	s_delay_alu instid0(VALU_DEP_1) | instskip(SKIP_1) | instid1(VALU_DEP_4)
	v_cmp_eq_u32_e32 vcc_lo, 1, v8
	v_cndmask_b32_e64 v7, v7, 1, vcc_lo
	s_and_b32 vcc_lo, vcc_lo, s2
	v_dual_cndmask_b32 v1, v1, v4 :: v_dual_cndmask_b32 v2, v2, v5
	s_delay_alu instid0(VALU_DEP_2) | instskip(NEXT) | instid1(VALU_DEP_2)
	v_cndmask_b32_e64 v7, v9, v7, s3
	v_cndmask_b32_e64 v1, v4, v1, s3
	v_lshlrev_b32_e32 v6, 2, v6
	s_delay_alu instid0(VALU_DEP_4) | instskip(NEXT) | instid1(VALU_DEP_2)
	v_cndmask_b32_e64 v2, v5, v2, s3
	v_add_lshl_u32 v6, v6, v3, 2
	v_and_b32_e32 v3, 0xff, v7
	ds_bpermute_b32 v4, v6, v2
	ds_bpermute_b32 v5, v6, v3
	;; [unrolled: 1-line block ×3, first 2 shown]
	s_waitcnt lgkmcnt(1)
	v_and_b32_e32 v6, 1, v5
	s_waitcnt lgkmcnt(0)
	v_cmp_lt_i64_e32 vcc_lo, v[3:4], v[1:2]
	s_delay_alu instid0(VALU_DEP_2) | instskip(SKIP_1) | instid1(VALU_DEP_2)
	v_cmp_eq_u32_e64 s2, 1, v6
	v_and_b32_e32 v6, 1, v7
	v_cndmask_b32_e64 v7, v7, 1, s2
	s_and_b32 vcc_lo, s2, vcc_lo
	s_delay_alu instid0(VALU_DEP_2) | instskip(SKIP_1) | instid1(VALU_DEP_2)
	v_cmp_eq_u32_e64 s2, 1, v6
	v_dual_cndmask_b32 v1, v1, v3 :: v_dual_cndmask_b32 v2, v2, v4
	v_cndmask_b32_e64 v5, v5, v7, s2
	s_delay_alu instid0(VALU_DEP_2) | instskip(NEXT) | instid1(VALU_DEP_3)
	v_cndmask_b32_e64 v1, v3, v1, s2
	v_cndmask_b32_e64 v2, v4, v2, s2
	s_delay_alu instid0(VALU_DEP_3)
	v_and_b32_e32 v6, 0xff, v5
.LBB1205_38:
	s_or_b32 exec_lo, exec_lo, s4
	s_branch .LBB1205_124
.LBB1205_39:
                                        ; implicit-def: $vgpr3_vgpr4
                                        ; implicit-def: $vgpr5
	s_branch .LBB1205_200
.LBB1205_40:
                                        ; implicit-def: $vgpr1_vgpr2
                                        ; implicit-def: $vgpr6
	s_cbranch_execz .LBB1205_85
; %bb.41:
	v_dual_mov_b32 v3, 0 :: v_dual_mov_b32 v18, 0
	v_dual_mov_b32 v4, 0 :: v_dual_mov_b32 v17, 0
	s_sub_i32 s24, s14, s6
	s_add_u32 s26, s18, s6
	s_delay_alu instid0(VALU_DEP_1)
	v_dual_mov_b32 v1, v3 :: v_dual_mov_b32 v2, v4
	s_addc_u32 s27, s19, 0
	s_add_u32 s28, s12, s6
	s_addc_u32 s29, s13, 0
	s_mov_b32 s2, exec_lo
	v_cmpx_gt_u32_e64 s24, v0
	s_cbranch_execz .LBB1205_43
; %bb.42:
	v_lshlrev_b32_e32 v1, 3, v0
	v_add_co_u32 v7, s3, s26, v0
	s_delay_alu instid0(VALU_DEP_1) | instskip(SKIP_2) | instid1(VALU_DEP_1)
	v_add_co_ci_u32_e64 v8, null, s27, 0, s3
	global_load_b64 v[5:6], v1, s[8:9]
	v_add_co_u32 v1, s3, s28, v0
	v_add_co_ci_u32_e64 v2, null, s29, 0, s3
	s_waitcnt vmcnt(0)
	v_cmp_ne_u64_e32 vcc_lo, v[5:6], v[7:8]
	v_cndmask_b32_e64 v17, 0, 1, vcc_lo
.LBB1205_43:
	s_or_b32 exec_lo, exec_lo, s2
	v_or_b32_e32 v5, 0x100, v0
	s_delay_alu instid0(VALU_DEP_1)
	v_cmp_gt_u32_e32 vcc_lo, s24, v5
	s_and_saveexec_b32 s3, vcc_lo
	s_cbranch_execz .LBB1205_45
; %bb.44:
	v_lshlrev_b32_e32 v3, 3, v0
	v_add_co_u32 v8, s2, s26, v5
	s_delay_alu instid0(VALU_DEP_1) | instskip(SKIP_2) | instid1(VALU_DEP_1)
	v_add_co_ci_u32_e64 v9, null, s27, 0, s2
	global_load_b64 v[6:7], v3, s[8:9] offset:2048
	v_add_co_u32 v3, s2, s28, v5
	v_add_co_ci_u32_e64 v4, null, s29, 0, s2
	s_waitcnt vmcnt(0)
	v_cmp_ne_u64_e64 s2, v[6:7], v[8:9]
	s_delay_alu instid0(VALU_DEP_1)
	v_cndmask_b32_e64 v18, 0, 1, s2
.LBB1205_45:
	s_or_b32 exec_lo, exec_lo, s3
	v_dual_mov_b32 v5, 0 :: v_dual_mov_b32 v22, 0
	v_dual_mov_b32 v6, 0 :: v_dual_mov_b32 v19, 0
	v_or_b32_e32 v7, 0x200, v0
	s_delay_alu instid0(VALU_DEP_2) | instskip(NEXT) | instid1(VALU_DEP_2)
	v_dual_mov_b32 v12, v6 :: v_dual_mov_b32 v11, v5
	v_cmp_gt_u32_e64 s2, s24, v7
	s_delay_alu instid0(VALU_DEP_1)
	s_and_saveexec_b32 s4, s2
	s_cbranch_execz .LBB1205_47
; %bb.46:
	v_lshlrev_b32_e32 v8, 3, v7
	v_add_co_u32 v13, s3, s26, v7
	s_delay_alu instid0(VALU_DEP_1) | instskip(SKIP_2) | instid1(VALU_DEP_1)
	v_add_co_ci_u32_e64 v14, null, s27, 0, s3
	global_load_b64 v[8:9], v8, s[8:9]
	v_add_co_u32 v11, s3, s28, v7
	v_add_co_ci_u32_e64 v12, null, s29, 0, s3
	s_waitcnt vmcnt(0)
	v_cmp_ne_u64_e64 s3, v[8:9], v[13:14]
	s_delay_alu instid0(VALU_DEP_1)
	v_cndmask_b32_e64 v22, 0, 1, s3
.LBB1205_47:
	s_or_b32 exec_lo, exec_lo, s4
	v_or_b32_e32 v7, 0x300, v0
	s_delay_alu instid0(VALU_DEP_1) | instskip(NEXT) | instid1(VALU_DEP_1)
	v_cmp_gt_u32_e64 s3, s24, v7
	s_and_saveexec_b32 s5, s3
	s_cbranch_execz .LBB1205_49
; %bb.48:
	v_lshlrev_b32_e32 v5, 3, v7
	v_add_co_u32 v13, s4, s26, v7
	s_delay_alu instid0(VALU_DEP_1) | instskip(SKIP_2) | instid1(VALU_DEP_1)
	v_add_co_ci_u32_e64 v14, null, s27, 0, s4
	global_load_b64 v[8:9], v5, s[8:9]
	v_add_co_u32 v5, s4, s28, v7
	v_add_co_ci_u32_e64 v6, null, s29, 0, s4
	s_waitcnt vmcnt(0)
	v_cmp_ne_u64_e64 s4, v[8:9], v[13:14]
	s_delay_alu instid0(VALU_DEP_1)
	v_cndmask_b32_e64 v19, 0, 1, s4
.LBB1205_49:
	s_or_b32 exec_lo, exec_lo, s5
	v_dual_mov_b32 v7, 0 :: v_dual_mov_b32 v20, 0
	v_dual_mov_b32 v8, 0 :: v_dual_mov_b32 v23, 0
	v_or_b32_e32 v9, 0x400, v0
	s_delay_alu instid0(VALU_DEP_2) | instskip(NEXT) | instid1(VALU_DEP_2)
	v_dual_mov_b32 v14, v8 :: v_dual_mov_b32 v13, v7
	v_cmp_gt_u32_e64 s4, s24, v9
	s_delay_alu instid0(VALU_DEP_1)
	s_and_saveexec_b32 s6, s4
	s_cbranch_execz .LBB1205_51
; %bb.50:
	v_lshlrev_b32_e32 v10, 3, v9
	v_add_co_u32 v23, s5, s26, v9
	s_delay_alu instid0(VALU_DEP_1) | instskip(SKIP_2) | instid1(VALU_DEP_1)
	v_add_co_ci_u32_e64 v24, null, s27, 0, s5
	global_load_b64 v[15:16], v10, s[8:9]
	v_add_co_u32 v13, s5, s28, v9
	v_add_co_ci_u32_e64 v14, null, s29, 0, s5
	s_waitcnt vmcnt(0)
	v_cmp_ne_u64_e64 s5, v[15:16], v[23:24]
	s_delay_alu instid0(VALU_DEP_1)
	v_cndmask_b32_e64 v23, 0, 1, s5
.LBB1205_51:
	s_or_b32 exec_lo, exec_lo, s6
	v_or_b32_e32 v9, 0x500, v0
	s_delay_alu instid0(VALU_DEP_1) | instskip(NEXT) | instid1(VALU_DEP_1)
	v_cmp_gt_u32_e64 s5, s24, v9
	s_and_saveexec_b32 s7, s5
	s_cbranch_execz .LBB1205_53
; %bb.52:
	v_lshlrev_b32_e32 v7, 3, v9
	v_add_co_u32 v20, s6, s26, v9
	s_delay_alu instid0(VALU_DEP_1) | instskip(SKIP_2) | instid1(VALU_DEP_1)
	v_add_co_ci_u32_e64 v21, null, s27, 0, s6
	global_load_b64 v[15:16], v7, s[8:9]
	v_add_co_u32 v7, s6, s28, v9
	v_add_co_ci_u32_e64 v8, null, s29, 0, s6
	s_waitcnt vmcnt(0)
	v_cmp_ne_u64_e64 s6, v[15:16], v[20:21]
	s_delay_alu instid0(VALU_DEP_1)
	v_cndmask_b32_e64 v20, 0, 1, s6
.LBB1205_53:
	s_or_b32 exec_lo, exec_lo, s7
	v_dual_mov_b32 v9, 0 :: v_dual_mov_b32 v24, 0
	v_or_b32_e32 v25, 0x600, v0
	v_dual_mov_b32 v10, 0 :: v_dual_mov_b32 v21, 0
	s_delay_alu instid0(VALU_DEP_2) | instskip(NEXT) | instid1(VALU_DEP_2)
	v_cmp_gt_u32_e64 s6, s24, v25
	v_dual_mov_b32 v16, v10 :: v_dual_mov_b32 v15, v9
	s_delay_alu instid0(VALU_DEP_2)
	s_and_saveexec_b32 s30, s6
	s_cbranch_execz .LBB1205_55
; %bb.54:
	v_lshlrev_b32_e32 v15, 3, v25
	v_add_co_u32 v28, s7, s26, v25
	s_delay_alu instid0(VALU_DEP_1) | instskip(SKIP_2) | instid1(VALU_DEP_1)
	v_add_co_ci_u32_e64 v29, null, s27, 0, s7
	global_load_b64 v[26:27], v15, s[8:9]
	v_add_co_u32 v15, s7, s28, v25
	v_add_co_ci_u32_e64 v16, null, s29, 0, s7
	s_waitcnt vmcnt(0)
	v_cmp_ne_u64_e64 s7, v[26:27], v[28:29]
	s_delay_alu instid0(VALU_DEP_1)
	v_cndmask_b32_e64 v24, 0, 1, s7
.LBB1205_55:
	s_or_b32 exec_lo, exec_lo, s30
	v_or_b32_e32 v25, 0x700, v0
	s_delay_alu instid0(VALU_DEP_1) | instskip(NEXT) | instid1(VALU_DEP_1)
	v_cmp_gt_u32_e64 s7, s24, v25
	s_and_saveexec_b32 s30, s7
	s_cbranch_execnz .LBB1205_232
; %bb.56:
	s_or_b32 exec_lo, exec_lo, s30
	s_and_saveexec_b32 s9, vcc_lo
	s_cbranch_execnz .LBB1205_233
.LBB1205_57:
	s_or_b32 exec_lo, exec_lo, s9
	s_and_saveexec_b32 s8, s2
	s_cbranch_execnz .LBB1205_234
.LBB1205_58:
	s_or_b32 exec_lo, exec_lo, s8
	s_and_saveexec_b32 s8, s3
	s_cbranch_execnz .LBB1205_235
.LBB1205_59:
	s_or_b32 exec_lo, exec_lo, s8
	s_and_saveexec_b32 s3, s4
	s_cbranch_execnz .LBB1205_236
.LBB1205_60:
	s_or_b32 exec_lo, exec_lo, s3
	s_and_saveexec_b32 s3, s5
	s_cbranch_execnz .LBB1205_237
.LBB1205_61:
	s_or_b32 exec_lo, exec_lo, s3
	s_and_saveexec_b32 s3, s6
	s_cbranch_execnz .LBB1205_238
.LBB1205_62:
	s_or_b32 exec_lo, exec_lo, s3
	s_and_saveexec_b32 s3, s7
.LBB1205_63:
	v_and_b32_e32 v3, 1, v21
	v_cmp_lt_i64_e32 vcc_lo, v[9:10], v[1:2]
	s_delay_alu instid0(VALU_DEP_2) | instskip(NEXT) | instid1(VALU_DEP_1)
	v_cmp_eq_u32_e64 s2, 1, v3
	s_and_b32 vcc_lo, s2, vcc_lo
	v_cndmask_b32_e64 v4, v17, 1, s2
	v_dual_cndmask_b32 v2, v2, v10 :: v_dual_and_b32 v3, 1, v17
	v_cndmask_b32_e32 v1, v1, v9, vcc_lo
	s_delay_alu instid0(VALU_DEP_2) | instskip(NEXT) | instid1(VALU_DEP_3)
	v_cmp_eq_u32_e32 vcc_lo, 1, v3
	v_dual_cndmask_b32 v2, v10, v2 :: v_dual_cndmask_b32 v17, v21, v4
	s_delay_alu instid0(VALU_DEP_3)
	v_cndmask_b32_e32 v1, v9, v1, vcc_lo
.LBB1205_64:
	s_or_b32 exec_lo, exec_lo, s3
	v_mbcnt_lo_u32_b32 v5, -1, 0
	v_and_b32_e32 v7, 0xe0, v0
	s_min_u32 s3, s24, 0x100
	v_and_b32_e32 v6, 0xffff, v17
	s_delay_alu instid0(VALU_DEP_3) | instskip(NEXT) | instid1(VALU_DEP_3)
	v_cmp_ne_u32_e32 vcc_lo, 31, v5
	v_sub_nc_u32_e64 v8, s3, v7 clamp
	v_add_nc_u32_e32 v7, 1, v5
	v_add_co_ci_u32_e32 v3, vcc_lo, 0, v5, vcc_lo
	s_delay_alu instid0(VALU_DEP_2) | instskip(NEXT) | instid1(VALU_DEP_2)
	v_cmp_lt_u32_e32 vcc_lo, v7, v8
	v_dual_mov_b32 v7, v6 :: v_dual_lshlrev_b32 v4, 2, v3
	ds_bpermute_b32 v9, v4, v6
	ds_bpermute_b32 v3, v4, v1
	;; [unrolled: 1-line block ×3, first 2 shown]
	s_and_saveexec_b32 s2, vcc_lo
	s_delay_alu instid0(SALU_CYCLE_1)
	s_xor_b32 s4, exec_lo, s2
	s_cbranch_execz .LBB1205_66
; %bb.65:
	s_waitcnt lgkmcnt(2)
	v_and_b32_e32 v7, 1, v9
	s_waitcnt lgkmcnt(0)
	v_cmp_lt_i64_e32 vcc_lo, v[3:4], v[1:2]
	s_delay_alu instid0(VALU_DEP_2) | instskip(SKIP_1) | instid1(VALU_DEP_2)
	v_cmp_eq_u32_e64 s2, 1, v7
	v_and_b32_e32 v7, 1, v17
	v_cndmask_b32_e64 v6, v6, 1, s2
	s_and_b32 vcc_lo, s2, vcc_lo
	s_delay_alu instid0(VALU_DEP_2) | instskip(SKIP_1) | instid1(VALU_DEP_2)
	v_cmp_eq_u32_e64 s2, 1, v7
	v_dual_cndmask_b32 v2, v2, v4 :: v_dual_cndmask_b32 v1, v1, v3
	v_cndmask_b32_e64 v7, v9, v6, s2
	s_delay_alu instid0(VALU_DEP_2) | instskip(NEXT) | instid1(VALU_DEP_3)
	v_cndmask_b32_e64 v2, v4, v2, s2
	v_cndmask_b32_e64 v1, v3, v1, s2
	s_delay_alu instid0(VALU_DEP_3)
	v_and_b32_e32 v6, 0xff, v7
.LBB1205_66:
	s_or_b32 exec_lo, exec_lo, s4
	v_cmp_gt_u32_e32 vcc_lo, 30, v5
	v_add_nc_u32_e32 v10, 2, v5
	s_mov_b32 s4, exec_lo
	s_waitcnt lgkmcnt(1)
	v_cndmask_b32_e64 v3, 0, 1, vcc_lo
	s_delay_alu instid0(VALU_DEP_1) | instskip(SKIP_1) | instid1(VALU_DEP_1)
	v_lshlrev_b32_e32 v3, 1, v3
	s_waitcnt lgkmcnt(0)
	v_add_lshl_u32 v4, v3, v5, 2
	ds_bpermute_b32 v9, v4, v6
	ds_bpermute_b32 v3, v4, v1
	ds_bpermute_b32 v4, v4, v2
	v_cmpx_lt_u32_e64 v10, v8
	s_cbranch_execz .LBB1205_68
; %bb.67:
	s_waitcnt lgkmcnt(2)
	v_and_b32_e32 v6, 1, v9
	s_waitcnt lgkmcnt(0)
	v_cmp_lt_i64_e32 vcc_lo, v[3:4], v[1:2]
	s_delay_alu instid0(VALU_DEP_2) | instskip(SKIP_1) | instid1(VALU_DEP_2)
	v_cmp_eq_u32_e64 s2, 1, v6
	v_and_b32_e32 v6, 1, v7
	v_cndmask_b32_e64 v7, v7, 1, s2
	s_and_b32 vcc_lo, s2, vcc_lo
	s_delay_alu instid0(VALU_DEP_2) | instskip(SKIP_1) | instid1(VALU_DEP_2)
	v_cmp_eq_u32_e64 s2, 1, v6
	v_dual_cndmask_b32 v1, v1, v3 :: v_dual_cndmask_b32 v2, v2, v4
	v_cndmask_b32_e64 v7, v9, v7, s2
	s_delay_alu instid0(VALU_DEP_2) | instskip(NEXT) | instid1(VALU_DEP_3)
	v_cndmask_b32_e64 v1, v3, v1, s2
	v_cndmask_b32_e64 v2, v4, v2, s2
	s_delay_alu instid0(VALU_DEP_3)
	v_and_b32_e32 v6, 0xff, v7
.LBB1205_68:
	s_or_b32 exec_lo, exec_lo, s4
	v_cmp_gt_u32_e32 vcc_lo, 28, v5
	v_add_nc_u32_e32 v10, 4, v5
	s_mov_b32 s4, exec_lo
	s_waitcnt lgkmcnt(1)
	v_cndmask_b32_e64 v3, 0, 1, vcc_lo
	s_delay_alu instid0(VALU_DEP_1) | instskip(SKIP_1) | instid1(VALU_DEP_1)
	v_lshlrev_b32_e32 v3, 2, v3
	s_waitcnt lgkmcnt(0)
	v_add_lshl_u32 v4, v3, v5, 2
	ds_bpermute_b32 v9, v4, v6
	ds_bpermute_b32 v3, v4, v1
	ds_bpermute_b32 v4, v4, v2
	v_cmpx_lt_u32_e64 v10, v8
	;; [unrolled: 35-line block ×4, first 2 shown]
	s_cbranch_execz .LBB1205_74
; %bb.73:
	s_waitcnt lgkmcnt(2)
	v_and_b32_e32 v6, 1, v9
	s_waitcnt lgkmcnt(0)
	v_cmp_lt_i64_e32 vcc_lo, v[3:4], v[1:2]
	s_delay_alu instid0(VALU_DEP_2) | instskip(SKIP_1) | instid1(VALU_DEP_2)
	v_cmp_eq_u32_e64 s2, 1, v6
	v_and_b32_e32 v6, 1, v7
	v_cndmask_b32_e64 v7, v7, 1, s2
	s_and_b32 vcc_lo, s2, vcc_lo
	s_delay_alu instid0(VALU_DEP_2) | instskip(SKIP_1) | instid1(VALU_DEP_2)
	v_cmp_eq_u32_e64 s2, 1, v6
	v_dual_cndmask_b32 v1, v1, v3 :: v_dual_cndmask_b32 v2, v2, v4
	v_cndmask_b32_e64 v7, v9, v7, s2
	s_delay_alu instid0(VALU_DEP_2) | instskip(NEXT) | instid1(VALU_DEP_3)
	v_cndmask_b32_e64 v1, v3, v1, s2
	v_cndmask_b32_e64 v2, v4, v2, s2
	s_delay_alu instid0(VALU_DEP_3)
	v_and_b32_e32 v6, 0xff, v7
.LBB1205_74:
	s_or_b32 exec_lo, exec_lo, s4
	s_delay_alu instid0(SALU_CYCLE_1)
	s_mov_b32 s2, exec_lo
	v_cmpx_eq_u32_e32 0, v5
	s_cbranch_execz .LBB1205_76
; %bb.75:
	s_waitcnt lgkmcnt(1)
	v_lshrrev_b32_e32 v3, 1, v0
	s_delay_alu instid0(VALU_DEP_1)
	v_and_b32_e32 v3, 0x70, v3
	ds_store_b8 v3, v7 offset:512
	ds_store_b64 v3, v[1:2] offset:520
.LBB1205_76:
	s_or_b32 exec_lo, exec_lo, s2
	s_delay_alu instid0(SALU_CYCLE_1)
	s_mov_b32 s4, exec_lo
	s_waitcnt lgkmcnt(0)
	s_barrier
	buffer_gl0_inv
	v_cmpx_gt_u32_e32 8, v0
	s_cbranch_execz .LBB1205_84
; %bb.77:
	v_lshlrev_b32_e32 v1, 4, v5
	v_and_b32_e32 v8, 7, v5
	s_add_i32 s3, s3, 31
	s_mov_b32 s5, exec_lo
	s_lshr_b32 s3, s3, 5
	ds_load_u8 v7, v1 offset:512
	ds_load_b64 v[1:2], v1 offset:520
	v_cmp_ne_u32_e32 vcc_lo, 7, v8
	v_add_nc_u32_e32 v10, 1, v8
	v_add_co_ci_u32_e32 v3, vcc_lo, 0, v5, vcc_lo
	s_delay_alu instid0(VALU_DEP_1)
	v_lshlrev_b32_e32 v4, 2, v3
	s_waitcnt lgkmcnt(1)
	v_and_b32_e32 v6, 0xff, v7
	s_waitcnt lgkmcnt(0)
	ds_bpermute_b32 v3, v4, v1
	ds_bpermute_b32 v9, v4, v6
	;; [unrolled: 1-line block ×3, first 2 shown]
	v_cmpx_gt_u32_e64 s3, v10
	s_cbranch_execz .LBB1205_79
; %bb.78:
	s_waitcnt lgkmcnt(1)
	v_and_b32_e32 v6, 1, v9
	s_waitcnt lgkmcnt(0)
	v_cmp_lt_i64_e32 vcc_lo, v[3:4], v[1:2]
	s_delay_alu instid0(VALU_DEP_2) | instskip(SKIP_1) | instid1(VALU_DEP_2)
	v_cmp_eq_u32_e64 s2, 1, v6
	v_and_b32_e32 v6, 1, v7
	v_cndmask_b32_e64 v7, v7, 1, s2
	s_and_b32 vcc_lo, s2, vcc_lo
	s_delay_alu instid0(VALU_DEP_2) | instskip(SKIP_1) | instid1(VALU_DEP_2)
	v_cmp_eq_u32_e64 s2, 1, v6
	v_dual_cndmask_b32 v1, v1, v3 :: v_dual_cndmask_b32 v2, v2, v4
	v_cndmask_b32_e64 v7, v9, v7, s2
	s_delay_alu instid0(VALU_DEP_2) | instskip(NEXT) | instid1(VALU_DEP_3)
	v_cndmask_b32_e64 v1, v3, v1, s2
	v_cndmask_b32_e64 v2, v4, v2, s2
	s_delay_alu instid0(VALU_DEP_3)
	v_and_b32_e32 v6, 0xff, v7
.LBB1205_79:
	s_or_b32 exec_lo, exec_lo, s5
	v_cmp_gt_u32_e32 vcc_lo, 6, v8
	v_add_nc_u32_e32 v10, 2, v8
	s_mov_b32 s5, exec_lo
	s_waitcnt lgkmcnt(2)
	v_cndmask_b32_e64 v3, 0, 1, vcc_lo
	s_delay_alu instid0(VALU_DEP_1) | instskip(SKIP_1) | instid1(VALU_DEP_1)
	v_lshlrev_b32_e32 v3, 1, v3
	s_waitcnt lgkmcnt(0)
	v_add_lshl_u32 v4, v3, v5, 2
	ds_bpermute_b32 v9, v4, v6
	ds_bpermute_b32 v3, v4, v1
	;; [unrolled: 1-line block ×3, first 2 shown]
	v_cmpx_gt_u32_e64 s3, v10
	s_cbranch_execz .LBB1205_81
; %bb.80:
	s_waitcnt lgkmcnt(2)
	v_and_b32_e32 v6, 1, v9
	s_waitcnt lgkmcnt(0)
	v_cmp_lt_i64_e32 vcc_lo, v[3:4], v[1:2]
	s_delay_alu instid0(VALU_DEP_2) | instskip(SKIP_1) | instid1(VALU_DEP_2)
	v_cmp_eq_u32_e64 s2, 1, v6
	v_and_b32_e32 v6, 1, v7
	v_cndmask_b32_e64 v7, v7, 1, s2
	s_and_b32 vcc_lo, s2, vcc_lo
	s_delay_alu instid0(VALU_DEP_2) | instskip(SKIP_1) | instid1(VALU_DEP_2)
	v_cmp_eq_u32_e64 s2, 1, v6
	v_dual_cndmask_b32 v1, v1, v3 :: v_dual_cndmask_b32 v2, v2, v4
	v_cndmask_b32_e64 v7, v9, v7, s2
	s_delay_alu instid0(VALU_DEP_2) | instskip(NEXT) | instid1(VALU_DEP_3)
	v_cndmask_b32_e64 v1, v3, v1, s2
	v_cndmask_b32_e64 v2, v4, v2, s2
	s_delay_alu instid0(VALU_DEP_3)
	v_and_b32_e32 v6, 0xff, v7
.LBB1205_81:
	s_or_b32 exec_lo, exec_lo, s5
	v_cmp_gt_u32_e32 vcc_lo, 4, v8
	v_add_nc_u32_e32 v8, 4, v8
	s_waitcnt lgkmcnt(1)
	v_cndmask_b32_e64 v3, 0, 1, vcc_lo
	s_delay_alu instid0(VALU_DEP_2) | instskip(NEXT) | instid1(VALU_DEP_2)
	v_cmp_gt_u32_e32 vcc_lo, s3, v8
	v_lshlrev_b32_e32 v3, 2, v3
	s_waitcnt lgkmcnt(0)
	s_delay_alu instid0(VALU_DEP_1)
	v_add_lshl_u32 v4, v3, v5, 2
	ds_bpermute_b32 v5, v4, v6
	ds_bpermute_b32 v3, v4, v1
	;; [unrolled: 1-line block ×3, first 2 shown]
	s_and_saveexec_b32 s3, vcc_lo
	s_cbranch_execz .LBB1205_83
; %bb.82:
	s_waitcnt lgkmcnt(2)
	v_and_b32_e32 v6, 1, v5
	s_waitcnt lgkmcnt(0)
	v_cmp_lt_i64_e32 vcc_lo, v[3:4], v[1:2]
	s_delay_alu instid0(VALU_DEP_2) | instskip(SKIP_1) | instid1(VALU_DEP_2)
	v_cmp_eq_u32_e64 s2, 1, v6
	v_and_b32_e32 v6, 1, v7
	v_cndmask_b32_e64 v7, v7, 1, s2
	s_and_b32 vcc_lo, s2, vcc_lo
	s_delay_alu instid0(VALU_DEP_2) | instskip(SKIP_1) | instid1(VALU_DEP_2)
	v_cmp_eq_u32_e64 s2, 1, v6
	v_dual_cndmask_b32 v1, v1, v3 :: v_dual_cndmask_b32 v2, v2, v4
	v_cndmask_b32_e64 v5, v5, v7, s2
	s_delay_alu instid0(VALU_DEP_2) | instskip(NEXT) | instid1(VALU_DEP_3)
	v_cndmask_b32_e64 v1, v3, v1, s2
	v_cndmask_b32_e64 v2, v4, v2, s2
	s_delay_alu instid0(VALU_DEP_3)
	v_and_b32_e32 v6, 0xff, v5
.LBB1205_83:
	s_or_b32 exec_lo, exec_lo, s3
.LBB1205_84:
	s_delay_alu instid0(SALU_CYCLE_1)
	s_or_b32 exec_lo, exec_lo, s4
.LBB1205_85:
	s_mov_b32 s24, 0
                                        ; implicit-def: $vgpr3_vgpr4
                                        ; implicit-def: $vgpr5
	s_mov_b32 s2, exec_lo
	v_cmpx_eq_u32_e32 0, v0
	s_xor_b32 s4, exec_lo, s2
	s_cbranch_execz .LBB1205_89
; %bb.86:
	s_waitcnt lgkmcnt(0)
	v_dual_mov_b32 v3, s20 :: v_dual_mov_b32 v4, s21
	v_mov_b32_e32 v5, s22
	s_cmp_eq_u64 s[14:15], 0
	s_cbranch_scc1 .LBB1205_88
; %bb.87:
	v_and_b32_e32 v3, 1, v6
	v_cmp_gt_i64_e32 vcc_lo, s[20:21], v[1:2]
	s_bitcmp1_b32 s22, 0
	s_cselect_b32 s3, -1, 0
	s_delay_alu instid0(VALU_DEP_2) | instskip(NEXT) | instid1(VALU_DEP_1)
	v_cmp_eq_u32_e64 s2, 1, v3
	s_and_b32 vcc_lo, s2, vcc_lo
	v_cndmask_b32_e64 v3, s22, 1, s2
	v_cndmask_b32_e32 v7, s20, v1, vcc_lo
	v_cndmask_b32_e32 v4, s21, v2, vcc_lo
	s_delay_alu instid0(VALU_DEP_3) | instskip(NEXT) | instid1(VALU_DEP_3)
	v_cndmask_b32_e64 v5, v6, v3, s3
	v_cndmask_b32_e64 v3, v1, v7, s3
	s_delay_alu instid0(VALU_DEP_3)
	v_cndmask_b32_e64 v4, v2, v4, s3
.LBB1205_88:
	s_mov_b32 s24, exec_lo
.LBB1205_89:
	s_or_b32 exec_lo, exec_lo, s4
	s_delay_alu instid0(SALU_CYCLE_1)
	s_and_b32 vcc_lo, exec_lo, s25
	s_cbranch_vccnz .LBB1205_22
.LBB1205_90:
	s_branch .LBB1205_200
.LBB1205_91:
                                        ; implicit-def: $vgpr1_vgpr2
                                        ; implicit-def: $vgpr6
	s_cbranch_execz .LBB1205_124
; %bb.92:
	s_waitcnt lgkmcnt(0)
	v_dual_mov_b32 v3, 0 :: v_dual_mov_b32 v10, 0
	v_dual_mov_b32 v4, 0 :: v_dual_mov_b32 v9, 0
	s_sub_i32 s5, s14, s8
	s_add_u32 s4, s18, s8
	s_delay_alu instid0(VALU_DEP_1)
	v_dual_mov_b32 v1, v3 :: v_dual_mov_b32 v2, v4
	s_addc_u32 s9, s19, 0
	s_add_u32 s8, s12, s8
	s_addc_u32 s25, s13, 0
	s_mov_b32 s2, exec_lo
	v_cmpx_gt_u32_e64 s5, v0
	s_cbranch_execz .LBB1205_94
; %bb.93:
	v_lshlrev_b32_e32 v1, 3, v0
	v_add_co_u32 v7, s3, s4, v0
	s_delay_alu instid0(VALU_DEP_1) | instskip(SKIP_2) | instid1(VALU_DEP_1)
	v_add_co_ci_u32_e64 v8, null, s9, 0, s3
	global_load_b64 v[5:6], v1, s[6:7]
	v_add_co_u32 v1, s3, s8, v0
	v_add_co_ci_u32_e64 v2, null, s25, 0, s3
	s_waitcnt vmcnt(0)
	v_cmp_ne_u64_e32 vcc_lo, v[5:6], v[7:8]
	v_cndmask_b32_e64 v9, 0, 1, vcc_lo
.LBB1205_94:
	s_or_b32 exec_lo, exec_lo, s2
	v_or_b32_e32 v5, 0x100, v0
	s_delay_alu instid0(VALU_DEP_1)
	v_cmp_gt_u32_e32 vcc_lo, s5, v5
	s_and_saveexec_b32 s3, vcc_lo
	s_cbranch_execz .LBB1205_96
; %bb.95:
	v_lshlrev_b32_e32 v3, 3, v0
	v_add_co_u32 v10, s2, s4, v5
	s_delay_alu instid0(VALU_DEP_1) | instskip(SKIP_2) | instid1(VALU_DEP_1)
	v_add_co_ci_u32_e64 v11, null, s9, 0, s2
	global_load_b64 v[6:7], v3, s[6:7] offset:2048
	v_add_co_u32 v3, s2, s8, v5
	v_add_co_ci_u32_e64 v4, null, s25, 0, s2
	s_waitcnt vmcnt(0)
	v_cmp_ne_u64_e64 s2, v[6:7], v[10:11]
	s_delay_alu instid0(VALU_DEP_1)
	v_cndmask_b32_e64 v10, 0, 1, s2
.LBB1205_96:
	s_or_b32 exec_lo, exec_lo, s3
	v_dual_mov_b32 v5, 0 :: v_dual_mov_b32 v12, 0
	v_dual_mov_b32 v6, 0 :: v_dual_mov_b32 v11, 0
	v_or_b32_e32 v13, 0x200, v0
	s_delay_alu instid0(VALU_DEP_2) | instskip(NEXT) | instid1(VALU_DEP_2)
	v_dual_mov_b32 v8, v6 :: v_dual_mov_b32 v7, v5
	v_cmp_gt_u32_e64 s2, s5, v13
	s_delay_alu instid0(VALU_DEP_1)
	s_and_saveexec_b32 s26, s2
	s_cbranch_execz .LBB1205_98
; %bb.97:
	v_lshlrev_b32_e32 v7, 3, v13
	v_add_co_u32 v16, s3, s4, v13
	s_delay_alu instid0(VALU_DEP_1) | instskip(SKIP_2) | instid1(VALU_DEP_1)
	v_add_co_ci_u32_e64 v17, null, s9, 0, s3
	global_load_b64 v[14:15], v7, s[6:7]
	v_add_co_u32 v7, s3, s8, v13
	v_add_co_ci_u32_e64 v8, null, s25, 0, s3
	s_waitcnt vmcnt(0)
	v_cmp_ne_u64_e64 s3, v[14:15], v[16:17]
	s_delay_alu instid0(VALU_DEP_1)
	v_cndmask_b32_e64 v12, 0, 1, s3
.LBB1205_98:
	s_or_b32 exec_lo, exec_lo, s26
	v_or_b32_e32 v13, 0x300, v0
	s_delay_alu instid0(VALU_DEP_1) | instskip(NEXT) | instid1(VALU_DEP_1)
	v_cmp_gt_u32_e64 s3, s5, v13
	s_and_saveexec_b32 s26, s3
	s_cbranch_execnz .LBB1205_239
; %bb.99:
	s_or_b32 exec_lo, exec_lo, s26
	s_and_saveexec_b32 s6, vcc_lo
	s_cbranch_execnz .LBB1205_240
.LBB1205_100:
	s_or_b32 exec_lo, exec_lo, s6
	s_and_saveexec_b32 s4, s2
	s_cbranch_execnz .LBB1205_241
.LBB1205_101:
	s_or_b32 exec_lo, exec_lo, s4
	s_and_saveexec_b32 s4, s3
.LBB1205_102:
	v_and_b32_e32 v3, 1, v11
	v_cmp_lt_i64_e32 vcc_lo, v[5:6], v[1:2]
	s_delay_alu instid0(VALU_DEP_2) | instskip(NEXT) | instid1(VALU_DEP_1)
	v_cmp_eq_u32_e64 s2, 1, v3
	s_and_b32 vcc_lo, s2, vcc_lo
	v_cndmask_b32_e64 v4, v9, 1, s2
	v_dual_cndmask_b32 v2, v2, v6 :: v_dual_and_b32 v3, 1, v9
	v_cndmask_b32_e32 v1, v1, v5, vcc_lo
	s_delay_alu instid0(VALU_DEP_2) | instskip(NEXT) | instid1(VALU_DEP_3)
	v_cmp_eq_u32_e32 vcc_lo, 1, v3
	v_dual_cndmask_b32 v2, v6, v2 :: v_dual_cndmask_b32 v9, v11, v4
	s_delay_alu instid0(VALU_DEP_3)
	v_cndmask_b32_e32 v1, v5, v1, vcc_lo
.LBB1205_103:
	s_or_b32 exec_lo, exec_lo, s4
	v_mbcnt_lo_u32_b32 v5, -1, 0
	v_and_b32_e32 v7, 0xe0, v0
	s_min_u32 s3, s5, 0x100
	v_and_b32_e32 v6, 0xffff, v9
	s_delay_alu instid0(VALU_DEP_3) | instskip(NEXT) | instid1(VALU_DEP_3)
	v_cmp_ne_u32_e32 vcc_lo, 31, v5
	v_sub_nc_u32_e64 v8, s3, v7 clamp
	v_add_nc_u32_e32 v7, 1, v5
	v_add_co_ci_u32_e32 v3, vcc_lo, 0, v5, vcc_lo
	s_delay_alu instid0(VALU_DEP_2) | instskip(NEXT) | instid1(VALU_DEP_2)
	v_cmp_lt_u32_e32 vcc_lo, v7, v8
	v_dual_mov_b32 v7, v6 :: v_dual_lshlrev_b32 v4, 2, v3
	ds_bpermute_b32 v10, v4, v6
	ds_bpermute_b32 v3, v4, v1
	;; [unrolled: 1-line block ×3, first 2 shown]
	s_and_saveexec_b32 s2, vcc_lo
	s_delay_alu instid0(SALU_CYCLE_1)
	s_xor_b32 s4, exec_lo, s2
	s_cbranch_execz .LBB1205_105
; %bb.104:
	s_waitcnt lgkmcnt(2)
	v_and_b32_e32 v7, 1, v10
	s_waitcnt lgkmcnt(0)
	v_cmp_lt_i64_e32 vcc_lo, v[3:4], v[1:2]
	s_delay_alu instid0(VALU_DEP_2) | instskip(SKIP_1) | instid1(VALU_DEP_2)
	v_cmp_eq_u32_e64 s2, 1, v7
	v_and_b32_e32 v7, 1, v9
	v_cndmask_b32_e64 v6, v6, 1, s2
	s_and_b32 vcc_lo, s2, vcc_lo
	s_delay_alu instid0(VALU_DEP_2) | instskip(SKIP_1) | instid1(VALU_DEP_2)
	v_cmp_eq_u32_e64 s2, 1, v7
	v_dual_cndmask_b32 v2, v2, v4 :: v_dual_cndmask_b32 v1, v1, v3
	v_cndmask_b32_e64 v7, v10, v6, s2
	s_delay_alu instid0(VALU_DEP_2) | instskip(NEXT) | instid1(VALU_DEP_3)
	v_cndmask_b32_e64 v2, v4, v2, s2
	v_cndmask_b32_e64 v1, v3, v1, s2
	s_delay_alu instid0(VALU_DEP_3)
	v_and_b32_e32 v6, 0xff, v7
.LBB1205_105:
	s_or_b32 exec_lo, exec_lo, s4
	v_cmp_gt_u32_e32 vcc_lo, 30, v5
	s_waitcnt lgkmcnt(2)
	v_add_nc_u32_e32 v10, 2, v5
	s_mov_b32 s4, exec_lo
	s_waitcnt lgkmcnt(1)
	v_cndmask_b32_e64 v3, 0, 1, vcc_lo
	s_delay_alu instid0(VALU_DEP_1) | instskip(SKIP_1) | instid1(VALU_DEP_1)
	v_lshlrev_b32_e32 v3, 1, v3
	s_waitcnt lgkmcnt(0)
	v_add_lshl_u32 v4, v3, v5, 2
	ds_bpermute_b32 v9, v4, v6
	ds_bpermute_b32 v3, v4, v1
	ds_bpermute_b32 v4, v4, v2
	v_cmpx_lt_u32_e64 v10, v8
	s_cbranch_execz .LBB1205_107
; %bb.106:
	s_waitcnt lgkmcnt(2)
	v_and_b32_e32 v6, 1, v9
	s_waitcnt lgkmcnt(0)
	v_cmp_lt_i64_e32 vcc_lo, v[3:4], v[1:2]
	s_delay_alu instid0(VALU_DEP_2) | instskip(SKIP_1) | instid1(VALU_DEP_2)
	v_cmp_eq_u32_e64 s2, 1, v6
	v_and_b32_e32 v6, 1, v7
	v_cndmask_b32_e64 v7, v7, 1, s2
	s_and_b32 vcc_lo, s2, vcc_lo
	s_delay_alu instid0(VALU_DEP_2) | instskip(SKIP_1) | instid1(VALU_DEP_2)
	v_cmp_eq_u32_e64 s2, 1, v6
	v_dual_cndmask_b32 v1, v1, v3 :: v_dual_cndmask_b32 v2, v2, v4
	v_cndmask_b32_e64 v7, v9, v7, s2
	s_delay_alu instid0(VALU_DEP_2) | instskip(NEXT) | instid1(VALU_DEP_3)
	v_cndmask_b32_e64 v1, v3, v1, s2
	v_cndmask_b32_e64 v2, v4, v2, s2
	s_delay_alu instid0(VALU_DEP_3)
	v_and_b32_e32 v6, 0xff, v7
.LBB1205_107:
	s_or_b32 exec_lo, exec_lo, s4
	v_cmp_gt_u32_e32 vcc_lo, 28, v5
	v_add_nc_u32_e32 v10, 4, v5
	s_mov_b32 s4, exec_lo
	s_waitcnt lgkmcnt(1)
	v_cndmask_b32_e64 v3, 0, 1, vcc_lo
	s_delay_alu instid0(VALU_DEP_1) | instskip(SKIP_1) | instid1(VALU_DEP_1)
	v_lshlrev_b32_e32 v3, 2, v3
	s_waitcnt lgkmcnt(0)
	v_add_lshl_u32 v4, v3, v5, 2
	ds_bpermute_b32 v9, v4, v6
	ds_bpermute_b32 v3, v4, v1
	ds_bpermute_b32 v4, v4, v2
	v_cmpx_lt_u32_e64 v10, v8
	s_cbranch_execz .LBB1205_109
; %bb.108:
	s_waitcnt lgkmcnt(2)
	v_and_b32_e32 v6, 1, v9
	s_waitcnt lgkmcnt(0)
	v_cmp_lt_i64_e32 vcc_lo, v[3:4], v[1:2]
	s_delay_alu instid0(VALU_DEP_2) | instskip(SKIP_1) | instid1(VALU_DEP_2)
	v_cmp_eq_u32_e64 s2, 1, v6
	v_and_b32_e32 v6, 1, v7
	v_cndmask_b32_e64 v7, v7, 1, s2
	s_and_b32 vcc_lo, s2, vcc_lo
	s_delay_alu instid0(VALU_DEP_2) | instskip(SKIP_1) | instid1(VALU_DEP_2)
	v_cmp_eq_u32_e64 s2, 1, v6
	v_dual_cndmask_b32 v1, v1, v3 :: v_dual_cndmask_b32 v2, v2, v4
	v_cndmask_b32_e64 v7, v9, v7, s2
	s_delay_alu instid0(VALU_DEP_2) | instskip(NEXT) | instid1(VALU_DEP_3)
	v_cndmask_b32_e64 v1, v3, v1, s2
	v_cndmask_b32_e64 v2, v4, v2, s2
	s_delay_alu instid0(VALU_DEP_3)
	v_and_b32_e32 v6, 0xff, v7
.LBB1205_109:
	s_or_b32 exec_lo, exec_lo, s4
	v_cmp_gt_u32_e32 vcc_lo, 24, v5
	;; [unrolled: 35-line block ×3, first 2 shown]
	v_add_nc_u32_e32 v10, 16, v5
	s_mov_b32 s4, exec_lo
	s_waitcnt lgkmcnt(1)
	v_cndmask_b32_e64 v3, 0, 1, vcc_lo
	s_delay_alu instid0(VALU_DEP_1) | instskip(SKIP_1) | instid1(VALU_DEP_1)
	v_lshlrev_b32_e32 v3, 4, v3
	s_waitcnt lgkmcnt(0)
	v_add_lshl_u32 v4, v3, v5, 2
	ds_bpermute_b32 v9, v4, v6
	ds_bpermute_b32 v3, v4, v1
	;; [unrolled: 1-line block ×3, first 2 shown]
	v_cmpx_lt_u32_e64 v10, v8
	s_cbranch_execz .LBB1205_113
; %bb.112:
	s_waitcnt lgkmcnt(2)
	v_and_b32_e32 v6, 1, v9
	s_waitcnt lgkmcnt(0)
	v_cmp_lt_i64_e32 vcc_lo, v[3:4], v[1:2]
	s_delay_alu instid0(VALU_DEP_2) | instskip(SKIP_1) | instid1(VALU_DEP_2)
	v_cmp_eq_u32_e64 s2, 1, v6
	v_and_b32_e32 v6, 1, v7
	v_cndmask_b32_e64 v7, v7, 1, s2
	s_and_b32 vcc_lo, s2, vcc_lo
	s_delay_alu instid0(VALU_DEP_2) | instskip(SKIP_1) | instid1(VALU_DEP_2)
	v_cmp_eq_u32_e64 s2, 1, v6
	v_dual_cndmask_b32 v1, v1, v3 :: v_dual_cndmask_b32 v2, v2, v4
	v_cndmask_b32_e64 v7, v9, v7, s2
	s_delay_alu instid0(VALU_DEP_2) | instskip(NEXT) | instid1(VALU_DEP_3)
	v_cndmask_b32_e64 v1, v3, v1, s2
	v_cndmask_b32_e64 v2, v4, v2, s2
	s_delay_alu instid0(VALU_DEP_3)
	v_and_b32_e32 v6, 0xff, v7
.LBB1205_113:
	s_or_b32 exec_lo, exec_lo, s4
	s_delay_alu instid0(SALU_CYCLE_1)
	s_mov_b32 s2, exec_lo
	v_cmpx_eq_u32_e32 0, v5
	s_cbranch_execz .LBB1205_115
; %bb.114:
	s_waitcnt lgkmcnt(1)
	v_lshrrev_b32_e32 v3, 1, v0
	s_delay_alu instid0(VALU_DEP_1)
	v_and_b32_e32 v3, 0x70, v3
	ds_store_b8 v3, v7 offset:512
	ds_store_b64 v3, v[1:2] offset:520
.LBB1205_115:
	s_or_b32 exec_lo, exec_lo, s2
	s_delay_alu instid0(SALU_CYCLE_1)
	s_mov_b32 s4, exec_lo
	s_waitcnt lgkmcnt(0)
	s_barrier
	buffer_gl0_inv
	v_cmpx_gt_u32_e32 8, v0
	s_cbranch_execz .LBB1205_123
; %bb.116:
	v_lshlrev_b32_e32 v1, 4, v5
	v_and_b32_e32 v8, 7, v5
	s_add_i32 s3, s3, 31
	s_mov_b32 s5, exec_lo
	s_lshr_b32 s3, s3, 5
	ds_load_u8 v7, v1 offset:512
	ds_load_b64 v[1:2], v1 offset:520
	v_cmp_ne_u32_e32 vcc_lo, 7, v8
	v_add_nc_u32_e32 v10, 1, v8
	v_add_co_ci_u32_e32 v3, vcc_lo, 0, v5, vcc_lo
	s_delay_alu instid0(VALU_DEP_1)
	v_lshlrev_b32_e32 v4, 2, v3
	s_waitcnt lgkmcnt(1)
	v_and_b32_e32 v6, 0xff, v7
	s_waitcnt lgkmcnt(0)
	ds_bpermute_b32 v3, v4, v1
	ds_bpermute_b32 v9, v4, v6
	;; [unrolled: 1-line block ×3, first 2 shown]
	v_cmpx_gt_u32_e64 s3, v10
	s_cbranch_execz .LBB1205_118
; %bb.117:
	s_waitcnt lgkmcnt(1)
	v_and_b32_e32 v6, 1, v9
	s_waitcnt lgkmcnt(0)
	v_cmp_lt_i64_e32 vcc_lo, v[3:4], v[1:2]
	s_delay_alu instid0(VALU_DEP_2) | instskip(SKIP_1) | instid1(VALU_DEP_2)
	v_cmp_eq_u32_e64 s2, 1, v6
	v_and_b32_e32 v6, 1, v7
	v_cndmask_b32_e64 v7, v7, 1, s2
	s_and_b32 vcc_lo, s2, vcc_lo
	s_delay_alu instid0(VALU_DEP_2) | instskip(SKIP_1) | instid1(VALU_DEP_2)
	v_cmp_eq_u32_e64 s2, 1, v6
	v_dual_cndmask_b32 v1, v1, v3 :: v_dual_cndmask_b32 v2, v2, v4
	v_cndmask_b32_e64 v7, v9, v7, s2
	s_delay_alu instid0(VALU_DEP_2) | instskip(NEXT) | instid1(VALU_DEP_3)
	v_cndmask_b32_e64 v1, v3, v1, s2
	v_cndmask_b32_e64 v2, v4, v2, s2
	s_delay_alu instid0(VALU_DEP_3)
	v_and_b32_e32 v6, 0xff, v7
.LBB1205_118:
	s_or_b32 exec_lo, exec_lo, s5
	v_cmp_gt_u32_e32 vcc_lo, 6, v8
	v_add_nc_u32_e32 v10, 2, v8
	s_mov_b32 s5, exec_lo
	s_waitcnt lgkmcnt(2)
	v_cndmask_b32_e64 v3, 0, 1, vcc_lo
	s_delay_alu instid0(VALU_DEP_1) | instskip(SKIP_1) | instid1(VALU_DEP_1)
	v_lshlrev_b32_e32 v3, 1, v3
	s_waitcnt lgkmcnt(0)
	v_add_lshl_u32 v4, v3, v5, 2
	ds_bpermute_b32 v9, v4, v6
	ds_bpermute_b32 v3, v4, v1
	;; [unrolled: 1-line block ×3, first 2 shown]
	v_cmpx_gt_u32_e64 s3, v10
	s_cbranch_execz .LBB1205_120
; %bb.119:
	s_waitcnt lgkmcnt(2)
	v_and_b32_e32 v6, 1, v9
	s_waitcnt lgkmcnt(0)
	v_cmp_lt_i64_e32 vcc_lo, v[3:4], v[1:2]
	s_delay_alu instid0(VALU_DEP_2) | instskip(SKIP_1) | instid1(VALU_DEP_2)
	v_cmp_eq_u32_e64 s2, 1, v6
	v_and_b32_e32 v6, 1, v7
	v_cndmask_b32_e64 v7, v7, 1, s2
	s_and_b32 vcc_lo, s2, vcc_lo
	s_delay_alu instid0(VALU_DEP_2) | instskip(SKIP_1) | instid1(VALU_DEP_2)
	v_cmp_eq_u32_e64 s2, 1, v6
	v_dual_cndmask_b32 v1, v1, v3 :: v_dual_cndmask_b32 v2, v2, v4
	v_cndmask_b32_e64 v7, v9, v7, s2
	s_delay_alu instid0(VALU_DEP_2) | instskip(NEXT) | instid1(VALU_DEP_3)
	v_cndmask_b32_e64 v1, v3, v1, s2
	v_cndmask_b32_e64 v2, v4, v2, s2
	s_delay_alu instid0(VALU_DEP_3)
	v_and_b32_e32 v6, 0xff, v7
.LBB1205_120:
	s_or_b32 exec_lo, exec_lo, s5
	v_cmp_gt_u32_e32 vcc_lo, 4, v8
	v_add_nc_u32_e32 v8, 4, v8
	s_waitcnt lgkmcnt(1)
	v_cndmask_b32_e64 v3, 0, 1, vcc_lo
	s_delay_alu instid0(VALU_DEP_2) | instskip(NEXT) | instid1(VALU_DEP_2)
	v_cmp_gt_u32_e32 vcc_lo, s3, v8
	v_lshlrev_b32_e32 v3, 2, v3
	s_waitcnt lgkmcnt(0)
	s_delay_alu instid0(VALU_DEP_1)
	v_add_lshl_u32 v4, v3, v5, 2
	ds_bpermute_b32 v5, v4, v6
	ds_bpermute_b32 v3, v4, v1
	;; [unrolled: 1-line block ×3, first 2 shown]
	s_and_saveexec_b32 s3, vcc_lo
	s_cbranch_execz .LBB1205_122
; %bb.121:
	s_waitcnt lgkmcnt(2)
	v_and_b32_e32 v6, 1, v5
	s_waitcnt lgkmcnt(0)
	v_cmp_lt_i64_e32 vcc_lo, v[3:4], v[1:2]
	s_delay_alu instid0(VALU_DEP_2) | instskip(SKIP_1) | instid1(VALU_DEP_2)
	v_cmp_eq_u32_e64 s2, 1, v6
	v_and_b32_e32 v6, 1, v7
	v_cndmask_b32_e64 v7, v7, 1, s2
	s_and_b32 vcc_lo, s2, vcc_lo
	s_delay_alu instid0(VALU_DEP_2) | instskip(SKIP_1) | instid1(VALU_DEP_2)
	v_cmp_eq_u32_e64 s2, 1, v6
	v_dual_cndmask_b32 v1, v1, v3 :: v_dual_cndmask_b32 v2, v2, v4
	v_cndmask_b32_e64 v5, v5, v7, s2
	s_delay_alu instid0(VALU_DEP_2) | instskip(NEXT) | instid1(VALU_DEP_3)
	v_cndmask_b32_e64 v1, v3, v1, s2
	v_cndmask_b32_e64 v2, v4, v2, s2
	s_delay_alu instid0(VALU_DEP_3)
	v_and_b32_e32 v6, 0xff, v5
.LBB1205_122:
	s_or_b32 exec_lo, exec_lo, s3
.LBB1205_123:
	s_delay_alu instid0(SALU_CYCLE_1)
	s_or_b32 exec_lo, exec_lo, s4
.LBB1205_124:
                                        ; implicit-def: $vgpr3_vgpr4
                                        ; implicit-def: $vgpr5
	s_delay_alu instid0(SALU_CYCLE_1)
	s_mov_b32 s2, exec_lo
	v_cmpx_eq_u32_e32 0, v0
	s_xor_b32 s4, exec_lo, s2
	s_cbranch_execz .LBB1205_128
; %bb.125:
	s_waitcnt lgkmcnt(0)
	v_dual_mov_b32 v3, s20 :: v_dual_mov_b32 v4, s21
	v_mov_b32_e32 v5, s22
	s_cmp_eq_u64 s[14:15], 0
	s_cbranch_scc1 .LBB1205_127
; %bb.126:
	v_and_b32_e32 v3, 1, v6
	v_cmp_gt_i64_e32 vcc_lo, s[20:21], v[1:2]
	s_bitcmp1_b32 s22, 0
	s_cselect_b32 s3, -1, 0
	s_delay_alu instid0(VALU_DEP_2) | instskip(NEXT) | instid1(VALU_DEP_1)
	v_cmp_eq_u32_e64 s2, 1, v3
	s_and_b32 vcc_lo, s2, vcc_lo
	v_cndmask_b32_e64 v3, s22, 1, s2
	v_cndmask_b32_e32 v7, s20, v1, vcc_lo
	v_cndmask_b32_e32 v4, s21, v2, vcc_lo
	s_delay_alu instid0(VALU_DEP_3) | instskip(NEXT) | instid1(VALU_DEP_3)
	v_cndmask_b32_e64 v5, v6, v3, s3
	v_cndmask_b32_e64 v3, v1, v7, s3
	s_delay_alu instid0(VALU_DEP_3)
	v_cndmask_b32_e64 v4, v2, v4, s3
.LBB1205_127:
	s_or_b32 s24, s24, exec_lo
.LBB1205_128:
	s_or_b32 exec_lo, exec_lo, s4
	s_branch .LBB1205_200
.LBB1205_129:
	s_cmp_gt_i32 s23, 1
	s_cbranch_scc0 .LBB1205_147
; %bb.130:
	s_cmp_eq_u32 s23, 2
	s_cbranch_scc0 .LBB1205_148
; %bb.131:
	s_mov_b32 s11, 0
	s_lshl_b32 s6, s10, 9
	s_mov_b32 s7, s11
	s_lshr_b64 s[8:9], s[14:15], 9
	s_lshl_b64 s[2:3], s[6:7], 3
	s_delay_alu instid0(SALU_CYCLE_1)
	s_add_u32 s4, s16, s2
	s_addc_u32 s5, s17, s3
	s_cmp_lg_u64 s[8:9], s[10:11]
	s_cbranch_scc0 .LBB1205_149
; %bb.132:
	s_waitcnt lgkmcnt(1)
	v_lshlrev_b32_e32 v3, 3, v0
	v_add_co_u32 v7, s2, s6, v0
	s_delay_alu instid0(VALU_DEP_1)
	v_add_co_ci_u32_e64 v8, null, 0, 0, s2
	global_load_b64 v[1:2], v3, s[4:5] offset:2048
	s_waitcnt lgkmcnt(0)
	global_load_b64 v[3:4], v3, s[4:5]
	v_add_co_u32 v5, vcc_lo, s18, v7
	v_add_co_ci_u32_e32 v6, vcc_lo, s19, v8, vcc_lo
	v_add_co_u32 v9, vcc_lo, s12, v7
	v_add_co_ci_u32_e32 v10, vcc_lo, s13, v8, vcc_lo
	s_delay_alu instid0(VALU_DEP_4) | instskip(NEXT) | instid1(VALU_DEP_4)
	v_add_co_u32 v7, vcc_lo, 0x100, v5
	v_add_co_ci_u32_e32 v8, vcc_lo, 0, v6, vcc_lo
	s_delay_alu instid0(VALU_DEP_4) | instskip(NEXT) | instid1(VALU_DEP_4)
	v_add_co_u32 v11, vcc_lo, 0x100, v9
	v_add_co_ci_u32_e32 v12, vcc_lo, 0, v10, vcc_lo
	s_mov_b32 s7, exec_lo
	s_waitcnt vmcnt(1)
	v_cmp_ne_u64_e32 vcc_lo, v[1:2], v[7:8]
	s_waitcnt vmcnt(0)
	v_cmp_ne_u64_e64 s2, v[3:4], v[5:6]
	s_delay_alu instid0(VALU_DEP_1) | instskip(SKIP_3) | instid1(VALU_DEP_3)
	s_or_b32 s3, s2, vcc_lo
	v_cndmask_b32_e64 v2, v12, v10, s2
	v_cndmask_b32_e64 v5, 0, 1, s3
	;; [unrolled: 1-line block ×3, first 2 shown]
	v_mov_b32_dpp v4, v2 quad_perm:[1,0,3,2] row_mask:0xf bank_mask:0xf
	s_delay_alu instid0(VALU_DEP_3) | instskip(NEXT) | instid1(VALU_DEP_3)
	v_mov_b32_dpp v6, v5 quad_perm:[1,0,3,2] row_mask:0xf bank_mask:0xf
	v_mov_b32_dpp v3, v1 quad_perm:[1,0,3,2] row_mask:0xf bank_mask:0xf
	s_delay_alu instid0(VALU_DEP_2) | instskip(NEXT) | instid1(VALU_DEP_1)
	v_and_b32_e32 v7, 1, v6
	v_cmpx_eq_u32_e32 1, v7
; %bb.133:
	v_cndmask_b32_e64 v5, v6, 1, s3
	s_delay_alu instid0(VALU_DEP_4) | instskip(NEXT) | instid1(VALU_DEP_2)
	v_cmp_lt_i64_e32 vcc_lo, v[1:2], v[3:4]
	v_and_b32_e32 v6, 1, v5
	v_and_b32_e32 v5, 0xff, v5
	s_and_b32 vcc_lo, s3, vcc_lo
	s_and_not1_b32 s3, s3, exec_lo
	v_dual_cndmask_b32 v2, v4, v2 :: v_dual_cndmask_b32 v1, v3, v1
	v_cmp_eq_u32_e64 s2, 1, v6
	s_delay_alu instid0(VALU_DEP_1) | instskip(NEXT) | instid1(SALU_CYCLE_1)
	s_and_b32 s2, s2, exec_lo
	s_or_b32 s3, s3, s2
; %bb.134:
	s_or_b32 exec_lo, exec_lo, s7
	v_mov_b32_dpp v6, v5 quad_perm:[2,3,0,1] row_mask:0xf bank_mask:0xf
	v_mov_b32_dpp v3, v1 quad_perm:[2,3,0,1] row_mask:0xf bank_mask:0xf
	;; [unrolled: 1-line block ×3, first 2 shown]
	s_mov_b32 s7, exec_lo
	s_delay_alu instid0(VALU_DEP_3) | instskip(NEXT) | instid1(VALU_DEP_1)
	v_and_b32_e32 v7, 1, v6
	v_cmpx_eq_u32_e32 1, v7
; %bb.135:
	v_cndmask_b32_e64 v5, v6, 1, s3
	v_cmp_lt_i64_e32 vcc_lo, v[1:2], v[3:4]
	s_delay_alu instid0(VALU_DEP_2)
	v_and_b32_e32 v6, 1, v5
	v_and_b32_e32 v5, 0xff, v5
	s_and_b32 vcc_lo, s3, vcc_lo
	s_and_not1_b32 s3, s3, exec_lo
	v_dual_cndmask_b32 v2, v4, v2 :: v_dual_cndmask_b32 v1, v3, v1
	v_cmp_eq_u32_e64 s2, 1, v6
	s_delay_alu instid0(VALU_DEP_1) | instskip(NEXT) | instid1(SALU_CYCLE_1)
	s_and_b32 s2, s2, exec_lo
	s_or_b32 s3, s3, s2
; %bb.136:
	s_or_b32 exec_lo, exec_lo, s7
	v_mov_b32_dpp v6, v5 row_ror:4 row_mask:0xf bank_mask:0xf
	v_mov_b32_dpp v3, v1 row_ror:4 row_mask:0xf bank_mask:0xf
	;; [unrolled: 1-line block ×3, first 2 shown]
	s_mov_b32 s7, exec_lo
	s_delay_alu instid0(VALU_DEP_3) | instskip(NEXT) | instid1(VALU_DEP_1)
	v_and_b32_e32 v7, 1, v6
	v_cmpx_eq_u32_e32 1, v7
; %bb.137:
	v_cndmask_b32_e64 v5, v6, 1, s3
	v_cmp_lt_i64_e32 vcc_lo, v[1:2], v[3:4]
	s_delay_alu instid0(VALU_DEP_2)
	v_and_b32_e32 v6, 1, v5
	v_and_b32_e32 v5, 0xff, v5
	s_and_b32 vcc_lo, s3, vcc_lo
	s_and_not1_b32 s3, s3, exec_lo
	v_dual_cndmask_b32 v2, v4, v2 :: v_dual_cndmask_b32 v1, v3, v1
	v_cmp_eq_u32_e64 s2, 1, v6
	s_delay_alu instid0(VALU_DEP_1) | instskip(NEXT) | instid1(SALU_CYCLE_1)
	s_and_b32 s2, s2, exec_lo
	s_or_b32 s3, s3, s2
; %bb.138:
	s_or_b32 exec_lo, exec_lo, s7
	v_mov_b32_dpp v6, v5 row_ror:8 row_mask:0xf bank_mask:0xf
	v_mov_b32_dpp v3, v1 row_ror:8 row_mask:0xf bank_mask:0xf
	;; [unrolled: 1-line block ×3, first 2 shown]
	s_mov_b32 s7, exec_lo
	s_delay_alu instid0(VALU_DEP_3) | instskip(NEXT) | instid1(VALU_DEP_1)
	v_and_b32_e32 v7, 1, v6
	v_cmpx_eq_u32_e32 1, v7
; %bb.139:
	v_cndmask_b32_e64 v5, v6, 1, s3
	v_cmp_lt_i64_e32 vcc_lo, v[1:2], v[3:4]
	s_delay_alu instid0(VALU_DEP_2)
	v_and_b32_e32 v6, 1, v5
	v_and_b32_e32 v5, 0xff, v5
	s_and_b32 vcc_lo, s3, vcc_lo
	s_and_not1_b32 s3, s3, exec_lo
	v_dual_cndmask_b32 v2, v4, v2 :: v_dual_cndmask_b32 v1, v3, v1
	v_cmp_eq_u32_e64 s2, 1, v6
	s_delay_alu instid0(VALU_DEP_1) | instskip(NEXT) | instid1(SALU_CYCLE_1)
	s_and_b32 s2, s2, exec_lo
	s_or_b32 s3, s3, s2
; %bb.140:
	s_or_b32 exec_lo, exec_lo, s7
	ds_swizzle_b32 v6, v5 offset:swizzle(BROADCAST,32,15)
	ds_swizzle_b32 v3, v1 offset:swizzle(BROADCAST,32,15)
	;; [unrolled: 1-line block ×3, first 2 shown]
	s_mov_b32 s2, exec_lo
	s_waitcnt lgkmcnt(2)
	v_and_b32_e32 v7, 1, v6
	s_delay_alu instid0(VALU_DEP_1)
	v_cmpx_eq_u32_e32 1, v7
	s_cbranch_execz .LBB1205_142
; %bb.141:
	s_waitcnt lgkmcnt(0)
	v_cmp_lt_i64_e32 vcc_lo, v[1:2], v[3:4]
	v_and_b32_e32 v5, 0xff, v6
	s_delay_alu instid0(VALU_DEP_1)
	v_cndmask_b32_e64 v5, v5, 1, s3
	s_and_b32 vcc_lo, s3, vcc_lo
	v_dual_cndmask_b32 v1, v3, v1 :: v_dual_cndmask_b32 v2, v4, v2
.LBB1205_142:
	s_or_b32 exec_lo, exec_lo, s2
	s_waitcnt lgkmcnt(1)
	v_mov_b32_e32 v3, 0
	s_mov_b32 s2, exec_lo
	ds_bpermute_b32 v6, v3, v5 offset:124
	ds_bpermute_b32 v1, v3, v1 offset:124
	;; [unrolled: 1-line block ×3, first 2 shown]
	v_mbcnt_lo_u32_b32 v3, -1, 0
	s_delay_alu instid0(VALU_DEP_1)
	v_cmpx_eq_u32_e32 0, v3
	s_cbranch_execz .LBB1205_144
; %bb.143:
	s_waitcnt lgkmcnt(3)
	v_lshrrev_b32_e32 v4, 1, v0
	s_delay_alu instid0(VALU_DEP_1)
	v_and_b32_e32 v4, 0x70, v4
	s_waitcnt lgkmcnt(2)
	ds_store_b8 v4, v6 offset:128
	s_waitcnt lgkmcnt(1)
	ds_store_b64 v4, v[1:2] offset:136
.LBB1205_144:
	s_or_b32 exec_lo, exec_lo, s2
	s_delay_alu instid0(SALU_CYCLE_1)
	s_mov_b32 s7, exec_lo
	s_waitcnt lgkmcnt(0)
	s_barrier
	buffer_gl0_inv
	v_cmpx_gt_u32_e32 32, v0
	s_cbranch_execz .LBB1205_146
; %bb.145:
	v_and_b32_e32 v6, 7, v3
	s_delay_alu instid0(VALU_DEP_1)
	v_lshlrev_b32_e32 v1, 4, v6
	v_cmp_ne_u32_e32 vcc_lo, 7, v6
	ds_load_u8 v7, v1 offset:128
	ds_load_b64 v[1:2], v1 offset:136
	v_add_co_ci_u32_e32 v4, vcc_lo, 0, v3, vcc_lo
	v_cmp_gt_u32_e32 vcc_lo, 6, v6
	s_delay_alu instid0(VALU_DEP_2)
	v_lshlrev_b32_e32 v5, 2, v4
	v_cndmask_b32_e64 v10, 0, 1, vcc_lo
	s_waitcnt lgkmcnt(1)
	v_and_b32_e32 v4, 0xff, v7
	v_and_b32_e32 v11, 1, v7
	ds_bpermute_b32 v8, v5, v4
	s_waitcnt lgkmcnt(1)
	ds_bpermute_b32 v4, v5, v1
	ds_bpermute_b32 v5, v5, v2
	v_cmp_eq_u32_e64 s3, 1, v11
	s_waitcnt lgkmcnt(2)
	v_and_b32_e32 v9, 1, v8
	s_waitcnt lgkmcnt(0)
	v_cmp_lt_i64_e64 s2, v[4:5], v[1:2]
	s_delay_alu instid0(VALU_DEP_2) | instskip(SKIP_2) | instid1(VALU_DEP_4)
	v_cmp_eq_u32_e32 vcc_lo, 1, v9
	v_lshlrev_b32_e32 v9, 1, v10
	v_cndmask_b32_e64 v7, v7, 1, vcc_lo
	s_and_b32 vcc_lo, vcc_lo, s2
	v_dual_cndmask_b32 v1, v1, v4 :: v_dual_cndmask_b32 v2, v2, v5
	s_delay_alu instid0(VALU_DEP_2) | instskip(SKIP_2) | instid1(VALU_DEP_4)
	v_cndmask_b32_e64 v7, v8, v7, s3
	v_add_lshl_u32 v8, v9, v3, 2
	v_cmp_gt_u32_e32 vcc_lo, 4, v6
	v_cndmask_b32_e64 v1, v4, v1, s3
	v_cndmask_b32_e64 v2, v5, v2, s3
	v_and_b32_e32 v9, 0xff, v7
	v_and_b32_e32 v10, 1, v7
	v_cndmask_b32_e64 v6, 0, 1, vcc_lo
	ds_bpermute_b32 v4, v8, v1
	ds_bpermute_b32 v5, v8, v2
	;; [unrolled: 1-line block ×3, first 2 shown]
	v_cmp_eq_u32_e64 s3, 1, v10
	s_waitcnt lgkmcnt(1)
	v_cmp_lt_i64_e64 s2, v[4:5], v[1:2]
	s_waitcnt lgkmcnt(0)
	v_and_b32_e32 v8, 1, v9
	s_delay_alu instid0(VALU_DEP_1) | instskip(SKIP_1) | instid1(VALU_DEP_4)
	v_cmp_eq_u32_e32 vcc_lo, 1, v8
	v_cndmask_b32_e64 v7, v7, 1, vcc_lo
	s_and_b32 vcc_lo, vcc_lo, s2
	v_dual_cndmask_b32 v1, v1, v4 :: v_dual_cndmask_b32 v2, v2, v5
	s_delay_alu instid0(VALU_DEP_2) | instskip(NEXT) | instid1(VALU_DEP_2)
	v_cndmask_b32_e64 v7, v9, v7, s3
	v_cndmask_b32_e64 v1, v4, v1, s3
	v_lshlrev_b32_e32 v6, 2, v6
	s_delay_alu instid0(VALU_DEP_4) | instskip(NEXT) | instid1(VALU_DEP_2)
	v_cndmask_b32_e64 v2, v5, v2, s3
	v_add_lshl_u32 v6, v6, v3, 2
	v_and_b32_e32 v3, 0xff, v7
	ds_bpermute_b32 v4, v6, v2
	ds_bpermute_b32 v5, v6, v3
	;; [unrolled: 1-line block ×3, first 2 shown]
	s_waitcnt lgkmcnt(1)
	v_and_b32_e32 v6, 1, v5
	s_waitcnt lgkmcnt(0)
	v_cmp_lt_i64_e32 vcc_lo, v[3:4], v[1:2]
	s_delay_alu instid0(VALU_DEP_2) | instskip(SKIP_1) | instid1(VALU_DEP_2)
	v_cmp_eq_u32_e64 s2, 1, v6
	v_and_b32_e32 v6, 1, v7
	v_cndmask_b32_e64 v7, v7, 1, s2
	s_and_b32 vcc_lo, s2, vcc_lo
	s_delay_alu instid0(VALU_DEP_2) | instskip(SKIP_1) | instid1(VALU_DEP_2)
	v_cmp_eq_u32_e64 s2, 1, v6
	v_dual_cndmask_b32 v1, v1, v3 :: v_dual_cndmask_b32 v2, v2, v4
	v_cndmask_b32_e64 v5, v5, v7, s2
	s_delay_alu instid0(VALU_DEP_2) | instskip(NEXT) | instid1(VALU_DEP_3)
	v_cndmask_b32_e64 v1, v3, v1, s2
	v_cndmask_b32_e64 v2, v4, v2, s2
	s_delay_alu instid0(VALU_DEP_3)
	v_and_b32_e32 v6, 0xff, v5
.LBB1205_146:
	s_or_b32 exec_lo, exec_lo, s7
	s_branch .LBB1205_177
.LBB1205_147:
                                        ; implicit-def: $vgpr3_vgpr4
                                        ; implicit-def: $vgpr5
	s_cbranch_execnz .LBB1205_182
	s_branch .LBB1205_200
.LBB1205_148:
                                        ; implicit-def: $vgpr3_vgpr4
                                        ; implicit-def: $vgpr5
	s_branch .LBB1205_200
.LBB1205_149:
                                        ; implicit-def: $vgpr1_vgpr2
                                        ; implicit-def: $vgpr6
	s_cbranch_execz .LBB1205_177
; %bb.150:
	s_waitcnt lgkmcnt(0)
	v_mov_b32_e32 v3, 0
	v_dual_mov_b32 v4, 0 :: v_dual_mov_b32 v5, 0
	s_sub_i32 s3, s14, s6
	s_add_u32 s2, s18, s6
	s_delay_alu instid0(VALU_DEP_1)
	v_dual_mov_b32 v1, v3 :: v_dual_mov_b32 v2, v4
	v_mov_b32_e32 v7, 0
	s_addc_u32 s7, s19, 0
	s_add_u32 s6, s12, s6
	s_addc_u32 s8, s13, 0
	s_mov_b32 s9, exec_lo
	v_cmpx_gt_u32_e64 s3, v0
	s_cbranch_execz .LBB1205_152
; %bb.151:
	v_lshlrev_b32_e32 v1, 3, v0
	v_add_co_u32 v8, s25, s2, v0
	s_delay_alu instid0(VALU_DEP_1) | instskip(SKIP_2) | instid1(VALU_DEP_1)
	v_add_co_ci_u32_e64 v9, null, s7, 0, s25
	global_load_b64 v[6:7], v1, s[4:5]
	v_add_co_u32 v1, s25, s6, v0
	v_add_co_ci_u32_e64 v2, null, s8, 0, s25
	s_waitcnt vmcnt(0)
	v_cmp_ne_u64_e32 vcc_lo, v[6:7], v[8:9]
	v_cndmask_b32_e64 v7, 0, 1, vcc_lo
.LBB1205_152:
	s_or_b32 exec_lo, exec_lo, s9
	v_or_b32_e32 v6, 0x100, v0
	s_delay_alu instid0(VALU_DEP_1)
	v_cmp_gt_u32_e32 vcc_lo, s3, v6
	s_and_saveexec_b32 s9, vcc_lo
	s_cbranch_execz .LBB1205_154
; %bb.153:
	v_lshlrev_b32_e32 v3, 3, v0
	v_add_co_u32 v10, s2, s2, v6
	s_delay_alu instid0(VALU_DEP_1) | instskip(SKIP_2) | instid1(VALU_DEP_1)
	v_add_co_ci_u32_e64 v11, null, s7, 0, s2
	global_load_b64 v[8:9], v3, s[4:5] offset:2048
	v_add_co_u32 v3, s2, s6, v6
	v_add_co_ci_u32_e64 v4, null, s8, 0, s2
	s_waitcnt vmcnt(0)
	v_cmp_ne_u64_e64 s2, v[8:9], v[10:11]
	s_delay_alu instid0(VALU_DEP_1)
	v_cndmask_b32_e64 v5, 0, 1, s2
.LBB1205_154:
	s_or_b32 exec_lo, exec_lo, s9
	s_and_saveexec_b32 s4, vcc_lo
; %bb.155:
	s_delay_alu instid0(VALU_DEP_1) | instskip(SKIP_1) | instid1(VALU_DEP_2)
	v_and_b32_e32 v6, 1, v5
	v_cmp_lt_i64_e32 vcc_lo, v[3:4], v[1:2]
	v_cmp_eq_u32_e64 s2, 1, v6
	s_delay_alu instid0(VALU_DEP_1) | instskip(SKIP_4) | instid1(VALU_DEP_3)
	s_and_b32 vcc_lo, s2, vcc_lo
	v_cndmask_b32_e32 v1, v1, v3, vcc_lo
	v_and_b32_e32 v6, 1, v7
	v_cndmask_b32_e64 v7, v7, 1, s2
	v_cndmask_b32_e32 v2, v2, v4, vcc_lo
	v_cmp_eq_u32_e32 vcc_lo, 1, v6
	s_delay_alu instid0(VALU_DEP_2)
	v_dual_cndmask_b32 v7, v5, v7 :: v_dual_cndmask_b32 v2, v4, v2
	v_cndmask_b32_e32 v1, v3, v1, vcc_lo
; %bb.156:
	s_or_b32 exec_lo, exec_lo, s4
	v_mbcnt_lo_u32_b32 v5, -1, 0
	s_delay_alu instid0(VALU_DEP_3)
	v_and_b32_e32 v6, 0xffff, v7
	v_and_b32_e32 v8, 0xe0, v0
	s_min_u32 s3, s3, 0x100
	s_mov_b32 s4, exec_lo
	v_cmp_ne_u32_e32 vcc_lo, 31, v5
	v_add_nc_u32_e32 v10, 1, v5
	v_sub_nc_u32_e64 v8, s3, v8 clamp
	v_add_co_ci_u32_e32 v3, vcc_lo, 0, v5, vcc_lo
	s_delay_alu instid0(VALU_DEP_1)
	v_lshlrev_b32_e32 v4, 2, v3
	ds_bpermute_b32 v9, v4, v6
	ds_bpermute_b32 v3, v4, v1
	ds_bpermute_b32 v4, v4, v2
	v_cmpx_lt_u32_e64 v10, v8
	s_cbranch_execz .LBB1205_158
; %bb.157:
	s_waitcnt lgkmcnt(2)
	v_and_b32_e32 v6, 1, v9
	s_waitcnt lgkmcnt(0)
	v_cmp_lt_i64_e32 vcc_lo, v[3:4], v[1:2]
	s_delay_alu instid0(VALU_DEP_2) | instskip(SKIP_1) | instid1(VALU_DEP_2)
	v_cmp_eq_u32_e64 s2, 1, v6
	v_and_b32_e32 v6, 1, v7
	v_cndmask_b32_e64 v7, v7, 1, s2
	s_and_b32 vcc_lo, s2, vcc_lo
	s_delay_alu instid0(VALU_DEP_2) | instskip(SKIP_1) | instid1(VALU_DEP_2)
	v_cmp_eq_u32_e64 s2, 1, v6
	v_dual_cndmask_b32 v1, v1, v3 :: v_dual_cndmask_b32 v2, v2, v4
	v_cndmask_b32_e64 v7, v9, v7, s2
	s_delay_alu instid0(VALU_DEP_2) | instskip(NEXT) | instid1(VALU_DEP_3)
	v_cndmask_b32_e64 v1, v3, v1, s2
	v_cndmask_b32_e64 v2, v4, v2, s2
	s_delay_alu instid0(VALU_DEP_3)
	v_and_b32_e32 v6, 0xff, v7
.LBB1205_158:
	s_or_b32 exec_lo, exec_lo, s4
	v_cmp_gt_u32_e32 vcc_lo, 30, v5
	v_add_nc_u32_e32 v10, 2, v5
	s_mov_b32 s4, exec_lo
	s_waitcnt lgkmcnt(1)
	v_cndmask_b32_e64 v3, 0, 1, vcc_lo
	s_delay_alu instid0(VALU_DEP_1) | instskip(SKIP_1) | instid1(VALU_DEP_1)
	v_lshlrev_b32_e32 v3, 1, v3
	s_waitcnt lgkmcnt(0)
	v_add_lshl_u32 v4, v3, v5, 2
	ds_bpermute_b32 v9, v4, v6
	ds_bpermute_b32 v3, v4, v1
	ds_bpermute_b32 v4, v4, v2
	v_cmpx_lt_u32_e64 v10, v8
	s_cbranch_execz .LBB1205_160
; %bb.159:
	s_waitcnt lgkmcnt(2)
	v_and_b32_e32 v6, 1, v9
	s_waitcnt lgkmcnt(0)
	v_cmp_lt_i64_e32 vcc_lo, v[3:4], v[1:2]
	s_delay_alu instid0(VALU_DEP_2) | instskip(SKIP_1) | instid1(VALU_DEP_2)
	v_cmp_eq_u32_e64 s2, 1, v6
	v_and_b32_e32 v6, 1, v7
	v_cndmask_b32_e64 v7, v7, 1, s2
	s_and_b32 vcc_lo, s2, vcc_lo
	s_delay_alu instid0(VALU_DEP_2) | instskip(SKIP_1) | instid1(VALU_DEP_2)
	v_cmp_eq_u32_e64 s2, 1, v6
	v_dual_cndmask_b32 v1, v1, v3 :: v_dual_cndmask_b32 v2, v2, v4
	v_cndmask_b32_e64 v7, v9, v7, s2
	s_delay_alu instid0(VALU_DEP_2) | instskip(NEXT) | instid1(VALU_DEP_3)
	v_cndmask_b32_e64 v1, v3, v1, s2
	v_cndmask_b32_e64 v2, v4, v2, s2
	s_delay_alu instid0(VALU_DEP_3)
	v_and_b32_e32 v6, 0xff, v7
.LBB1205_160:
	s_or_b32 exec_lo, exec_lo, s4
	v_cmp_gt_u32_e32 vcc_lo, 28, v5
	v_add_nc_u32_e32 v10, 4, v5
	s_mov_b32 s4, exec_lo
	s_waitcnt lgkmcnt(1)
	v_cndmask_b32_e64 v3, 0, 1, vcc_lo
	s_delay_alu instid0(VALU_DEP_1) | instskip(SKIP_1) | instid1(VALU_DEP_1)
	v_lshlrev_b32_e32 v3, 2, v3
	s_waitcnt lgkmcnt(0)
	v_add_lshl_u32 v4, v3, v5, 2
	ds_bpermute_b32 v9, v4, v6
	ds_bpermute_b32 v3, v4, v1
	ds_bpermute_b32 v4, v4, v2
	v_cmpx_lt_u32_e64 v10, v8
	s_cbranch_execz .LBB1205_162
; %bb.161:
	s_waitcnt lgkmcnt(2)
	v_and_b32_e32 v6, 1, v9
	s_waitcnt lgkmcnt(0)
	v_cmp_lt_i64_e32 vcc_lo, v[3:4], v[1:2]
	s_delay_alu instid0(VALU_DEP_2) | instskip(SKIP_1) | instid1(VALU_DEP_2)
	v_cmp_eq_u32_e64 s2, 1, v6
	v_and_b32_e32 v6, 1, v7
	v_cndmask_b32_e64 v7, v7, 1, s2
	s_and_b32 vcc_lo, s2, vcc_lo
	s_delay_alu instid0(VALU_DEP_2) | instskip(SKIP_1) | instid1(VALU_DEP_2)
	v_cmp_eq_u32_e64 s2, 1, v6
	v_dual_cndmask_b32 v1, v1, v3 :: v_dual_cndmask_b32 v2, v2, v4
	v_cndmask_b32_e64 v7, v9, v7, s2
	s_delay_alu instid0(VALU_DEP_2) | instskip(NEXT) | instid1(VALU_DEP_3)
	v_cndmask_b32_e64 v1, v3, v1, s2
	v_cndmask_b32_e64 v2, v4, v2, s2
	s_delay_alu instid0(VALU_DEP_3)
	v_and_b32_e32 v6, 0xff, v7
.LBB1205_162:
	s_or_b32 exec_lo, exec_lo, s4
	v_cmp_gt_u32_e32 vcc_lo, 24, v5
	v_add_nc_u32_e32 v10, 8, v5
	s_mov_b32 s4, exec_lo
	s_waitcnt lgkmcnt(1)
	v_cndmask_b32_e64 v3, 0, 1, vcc_lo
	s_delay_alu instid0(VALU_DEP_1) | instskip(SKIP_1) | instid1(VALU_DEP_1)
	v_lshlrev_b32_e32 v3, 3, v3
	s_waitcnt lgkmcnt(0)
	v_add_lshl_u32 v4, v3, v5, 2
	ds_bpermute_b32 v9, v4, v6
	ds_bpermute_b32 v3, v4, v1
	ds_bpermute_b32 v4, v4, v2
	v_cmpx_lt_u32_e64 v10, v8
	s_cbranch_execz .LBB1205_164
; %bb.163:
	s_waitcnt lgkmcnt(2)
	v_and_b32_e32 v6, 1, v9
	s_waitcnt lgkmcnt(0)
	v_cmp_lt_i64_e32 vcc_lo, v[3:4], v[1:2]
	s_delay_alu instid0(VALU_DEP_2) | instskip(SKIP_1) | instid1(VALU_DEP_2)
	v_cmp_eq_u32_e64 s2, 1, v6
	v_and_b32_e32 v6, 1, v7
	v_cndmask_b32_e64 v7, v7, 1, s2
	s_and_b32 vcc_lo, s2, vcc_lo
	s_delay_alu instid0(VALU_DEP_2) | instskip(SKIP_1) | instid1(VALU_DEP_2)
	v_cmp_eq_u32_e64 s2, 1, v6
	v_dual_cndmask_b32 v1, v1, v3 :: v_dual_cndmask_b32 v2, v2, v4
	v_cndmask_b32_e64 v7, v9, v7, s2
	s_delay_alu instid0(VALU_DEP_2) | instskip(NEXT) | instid1(VALU_DEP_3)
	v_cndmask_b32_e64 v1, v3, v1, s2
	v_cndmask_b32_e64 v2, v4, v2, s2
	s_delay_alu instid0(VALU_DEP_3)
	v_and_b32_e32 v6, 0xff, v7
.LBB1205_164:
	s_or_b32 exec_lo, exec_lo, s4
	v_cmp_gt_u32_e32 vcc_lo, 16, v5
	v_add_nc_u32_e32 v10, 16, v5
	s_mov_b32 s4, exec_lo
	s_waitcnt lgkmcnt(1)
	v_cndmask_b32_e64 v3, 0, 1, vcc_lo
	s_delay_alu instid0(VALU_DEP_1) | instskip(SKIP_1) | instid1(VALU_DEP_1)
	v_lshlrev_b32_e32 v3, 4, v3
	s_waitcnt lgkmcnt(0)
	v_add_lshl_u32 v4, v3, v5, 2
	ds_bpermute_b32 v9, v4, v6
	ds_bpermute_b32 v3, v4, v1
	ds_bpermute_b32 v4, v4, v2
	v_cmpx_lt_u32_e64 v10, v8
	s_cbranch_execz .LBB1205_166
; %bb.165:
	s_waitcnt lgkmcnt(2)
	v_and_b32_e32 v6, 1, v9
	s_waitcnt lgkmcnt(0)
	v_cmp_lt_i64_e32 vcc_lo, v[3:4], v[1:2]
	s_delay_alu instid0(VALU_DEP_2) | instskip(SKIP_1) | instid1(VALU_DEP_2)
	v_cmp_eq_u32_e64 s2, 1, v6
	v_and_b32_e32 v6, 1, v7
	v_cndmask_b32_e64 v7, v7, 1, s2
	s_and_b32 vcc_lo, s2, vcc_lo
	s_delay_alu instid0(VALU_DEP_2) | instskip(SKIP_1) | instid1(VALU_DEP_2)
	v_cmp_eq_u32_e64 s2, 1, v6
	v_dual_cndmask_b32 v1, v1, v3 :: v_dual_cndmask_b32 v2, v2, v4
	v_cndmask_b32_e64 v7, v9, v7, s2
	s_delay_alu instid0(VALU_DEP_2) | instskip(NEXT) | instid1(VALU_DEP_3)
	v_cndmask_b32_e64 v1, v3, v1, s2
	v_cndmask_b32_e64 v2, v4, v2, s2
	s_delay_alu instid0(VALU_DEP_3)
	v_and_b32_e32 v6, 0xff, v7
.LBB1205_166:
	s_or_b32 exec_lo, exec_lo, s4
	s_delay_alu instid0(SALU_CYCLE_1)
	s_mov_b32 s2, exec_lo
	v_cmpx_eq_u32_e32 0, v5
	s_cbranch_execz .LBB1205_168
; %bb.167:
	s_waitcnt lgkmcnt(1)
	v_lshrrev_b32_e32 v3, 1, v0
	s_delay_alu instid0(VALU_DEP_1)
	v_and_b32_e32 v3, 0x70, v3
	ds_store_b8 v3, v7 offset:512
	ds_store_b64 v3, v[1:2] offset:520
.LBB1205_168:
	s_or_b32 exec_lo, exec_lo, s2
	s_delay_alu instid0(SALU_CYCLE_1)
	s_mov_b32 s4, exec_lo
	s_waitcnt lgkmcnt(0)
	s_barrier
	buffer_gl0_inv
	v_cmpx_gt_u32_e32 8, v0
	s_cbranch_execz .LBB1205_176
; %bb.169:
	v_lshlrev_b32_e32 v1, 4, v5
	v_and_b32_e32 v8, 7, v5
	s_add_i32 s3, s3, 31
	s_mov_b32 s5, exec_lo
	s_lshr_b32 s3, s3, 5
	ds_load_u8 v7, v1 offset:512
	ds_load_b64 v[1:2], v1 offset:520
	v_cmp_ne_u32_e32 vcc_lo, 7, v8
	v_add_nc_u32_e32 v10, 1, v8
	v_add_co_ci_u32_e32 v3, vcc_lo, 0, v5, vcc_lo
	s_delay_alu instid0(VALU_DEP_1)
	v_lshlrev_b32_e32 v4, 2, v3
	s_waitcnt lgkmcnt(1)
	v_and_b32_e32 v6, 0xff, v7
	s_waitcnt lgkmcnt(0)
	ds_bpermute_b32 v3, v4, v1
	ds_bpermute_b32 v9, v4, v6
	;; [unrolled: 1-line block ×3, first 2 shown]
	v_cmpx_gt_u32_e64 s3, v10
	s_cbranch_execz .LBB1205_171
; %bb.170:
	s_waitcnt lgkmcnt(1)
	v_and_b32_e32 v6, 1, v9
	s_waitcnt lgkmcnt(0)
	v_cmp_lt_i64_e32 vcc_lo, v[3:4], v[1:2]
	s_delay_alu instid0(VALU_DEP_2) | instskip(SKIP_1) | instid1(VALU_DEP_2)
	v_cmp_eq_u32_e64 s2, 1, v6
	v_and_b32_e32 v6, 1, v7
	v_cndmask_b32_e64 v7, v7, 1, s2
	s_and_b32 vcc_lo, s2, vcc_lo
	s_delay_alu instid0(VALU_DEP_2) | instskip(SKIP_1) | instid1(VALU_DEP_2)
	v_cmp_eq_u32_e64 s2, 1, v6
	v_dual_cndmask_b32 v1, v1, v3 :: v_dual_cndmask_b32 v2, v2, v4
	v_cndmask_b32_e64 v7, v9, v7, s2
	s_delay_alu instid0(VALU_DEP_2) | instskip(NEXT) | instid1(VALU_DEP_3)
	v_cndmask_b32_e64 v1, v3, v1, s2
	v_cndmask_b32_e64 v2, v4, v2, s2
	s_delay_alu instid0(VALU_DEP_3)
	v_and_b32_e32 v6, 0xff, v7
.LBB1205_171:
	s_or_b32 exec_lo, exec_lo, s5
	v_cmp_gt_u32_e32 vcc_lo, 6, v8
	v_add_nc_u32_e32 v10, 2, v8
	s_mov_b32 s5, exec_lo
	s_waitcnt lgkmcnt(2)
	v_cndmask_b32_e64 v3, 0, 1, vcc_lo
	s_delay_alu instid0(VALU_DEP_1) | instskip(SKIP_1) | instid1(VALU_DEP_1)
	v_lshlrev_b32_e32 v3, 1, v3
	s_waitcnt lgkmcnt(0)
	v_add_lshl_u32 v4, v3, v5, 2
	ds_bpermute_b32 v9, v4, v6
	ds_bpermute_b32 v3, v4, v1
	;; [unrolled: 1-line block ×3, first 2 shown]
	v_cmpx_gt_u32_e64 s3, v10
	s_cbranch_execz .LBB1205_173
; %bb.172:
	s_waitcnt lgkmcnt(2)
	v_and_b32_e32 v6, 1, v9
	s_waitcnt lgkmcnt(0)
	v_cmp_lt_i64_e32 vcc_lo, v[3:4], v[1:2]
	s_delay_alu instid0(VALU_DEP_2) | instskip(SKIP_1) | instid1(VALU_DEP_2)
	v_cmp_eq_u32_e64 s2, 1, v6
	v_and_b32_e32 v6, 1, v7
	v_cndmask_b32_e64 v7, v7, 1, s2
	s_and_b32 vcc_lo, s2, vcc_lo
	s_delay_alu instid0(VALU_DEP_2) | instskip(SKIP_1) | instid1(VALU_DEP_2)
	v_cmp_eq_u32_e64 s2, 1, v6
	v_dual_cndmask_b32 v1, v1, v3 :: v_dual_cndmask_b32 v2, v2, v4
	v_cndmask_b32_e64 v7, v9, v7, s2
	s_delay_alu instid0(VALU_DEP_2) | instskip(NEXT) | instid1(VALU_DEP_3)
	v_cndmask_b32_e64 v1, v3, v1, s2
	v_cndmask_b32_e64 v2, v4, v2, s2
	s_delay_alu instid0(VALU_DEP_3)
	v_and_b32_e32 v6, 0xff, v7
.LBB1205_173:
	s_or_b32 exec_lo, exec_lo, s5
	v_cmp_gt_u32_e32 vcc_lo, 4, v8
	v_add_nc_u32_e32 v8, 4, v8
	s_waitcnt lgkmcnt(1)
	v_cndmask_b32_e64 v3, 0, 1, vcc_lo
	s_delay_alu instid0(VALU_DEP_2) | instskip(NEXT) | instid1(VALU_DEP_2)
	v_cmp_gt_u32_e32 vcc_lo, s3, v8
	v_lshlrev_b32_e32 v3, 2, v3
	s_waitcnt lgkmcnt(0)
	s_delay_alu instid0(VALU_DEP_1)
	v_add_lshl_u32 v4, v3, v5, 2
	ds_bpermute_b32 v5, v4, v6
	ds_bpermute_b32 v3, v4, v1
	;; [unrolled: 1-line block ×3, first 2 shown]
	s_and_saveexec_b32 s3, vcc_lo
	s_cbranch_execz .LBB1205_175
; %bb.174:
	s_waitcnt lgkmcnt(2)
	v_and_b32_e32 v6, 1, v5
	s_waitcnt lgkmcnt(0)
	v_cmp_lt_i64_e32 vcc_lo, v[3:4], v[1:2]
	s_delay_alu instid0(VALU_DEP_2) | instskip(SKIP_1) | instid1(VALU_DEP_2)
	v_cmp_eq_u32_e64 s2, 1, v6
	v_and_b32_e32 v6, 1, v7
	v_cndmask_b32_e64 v7, v7, 1, s2
	s_and_b32 vcc_lo, s2, vcc_lo
	s_delay_alu instid0(VALU_DEP_2) | instskip(SKIP_1) | instid1(VALU_DEP_2)
	v_cmp_eq_u32_e64 s2, 1, v6
	v_dual_cndmask_b32 v1, v1, v3 :: v_dual_cndmask_b32 v2, v2, v4
	v_cndmask_b32_e64 v5, v5, v7, s2
	s_delay_alu instid0(VALU_DEP_2) | instskip(NEXT) | instid1(VALU_DEP_3)
	v_cndmask_b32_e64 v1, v3, v1, s2
	v_cndmask_b32_e64 v2, v4, v2, s2
	s_delay_alu instid0(VALU_DEP_3)
	v_and_b32_e32 v6, 0xff, v5
.LBB1205_175:
	s_or_b32 exec_lo, exec_lo, s3
.LBB1205_176:
	s_delay_alu instid0(SALU_CYCLE_1)
	s_or_b32 exec_lo, exec_lo, s4
.LBB1205_177:
                                        ; implicit-def: $vgpr3_vgpr4
                                        ; implicit-def: $vgpr5
	s_delay_alu instid0(SALU_CYCLE_1)
	s_mov_b32 s2, exec_lo
	v_cmpx_eq_u32_e32 0, v0
	s_xor_b32 s4, exec_lo, s2
	s_cbranch_execz .LBB1205_181
; %bb.178:
	s_waitcnt lgkmcnt(0)
	v_dual_mov_b32 v3, s20 :: v_dual_mov_b32 v4, s21
	v_mov_b32_e32 v5, s22
	s_cmp_eq_u64 s[14:15], 0
	s_cbranch_scc1 .LBB1205_180
; %bb.179:
	v_and_b32_e32 v3, 1, v6
	v_cmp_gt_i64_e32 vcc_lo, s[20:21], v[1:2]
	s_bitcmp1_b32 s22, 0
	s_cselect_b32 s3, -1, 0
	s_delay_alu instid0(VALU_DEP_2) | instskip(NEXT) | instid1(VALU_DEP_1)
	v_cmp_eq_u32_e64 s2, 1, v3
	s_and_b32 vcc_lo, s2, vcc_lo
	v_cndmask_b32_e64 v3, s22, 1, s2
	v_cndmask_b32_e32 v7, s20, v1, vcc_lo
	v_cndmask_b32_e32 v4, s21, v2, vcc_lo
	s_delay_alu instid0(VALU_DEP_3) | instskip(NEXT) | instid1(VALU_DEP_3)
	v_cndmask_b32_e64 v5, v6, v3, s3
	v_cndmask_b32_e64 v3, v1, v7, s3
	s_delay_alu instid0(VALU_DEP_3)
	v_cndmask_b32_e64 v4, v2, v4, s3
.LBB1205_180:
	s_or_b32 s24, s24, exec_lo
.LBB1205_181:
	s_or_b32 exec_lo, exec_lo, s4
	s_branch .LBB1205_200
.LBB1205_182:
	s_cmp_eq_u32 s23, 1
	s_cbranch_scc0 .LBB1205_199
; %bb.183:
	s_mov_b32 s5, 0
	s_lshr_b64 s[2:3], s[14:15], 8
	s_mov_b32 s11, s5
	s_lshl_b32 s4, s10, 8
	s_cmp_lg_u64 s[2:3], s[10:11]
	s_cbranch_scc0 .LBB1205_203
; %bb.184:
	s_lshl_b64 s[2:3], s[4:5], 3
	v_lshlrev_b32_e32 v1, 3, v0
	s_add_u32 s2, s16, s2
	s_addc_u32 s3, s17, s3
	global_load_b64 v[1:2], v1, s[2:3]
	v_add_co_u32 v7, s2, s4, v0
	s_delay_alu instid0(VALU_DEP_1) | instskip(SKIP_2) | instid1(VALU_DEP_2)
	v_add_co_ci_u32_e64 v8, null, 0, 0, s2
	s_mov_b32 s3, exec_lo
	s_waitcnt lgkmcnt(1)
	v_add_co_u32 v3, vcc_lo, s18, v7
	s_waitcnt lgkmcnt(0)
	v_add_co_ci_u32_e32 v4, vcc_lo, s19, v8, vcc_lo
	s_waitcnt vmcnt(0)
	s_delay_alu instid0(VALU_DEP_1) | instskip(SKIP_2) | instid1(VALU_DEP_2)
	v_cmp_ne_u64_e32 vcc_lo, v[1:2], v[3:4]
	v_cndmask_b32_e64 v1, 0, 1, vcc_lo
	v_cndmask_b32_e64 v6, 0, 1, vcc_lo
	v_mov_b32_dpp v5, v1 quad_perm:[1,0,3,2] row_mask:0xf bank_mask:0xf
	v_add_co_u32 v1, s2, s12, v7
	s_delay_alu instid0(VALU_DEP_1) | instskip(NEXT) | instid1(VALU_DEP_3)
	v_add_co_ci_u32_e64 v2, s2, s13, v8, s2
	v_and_b32_e32 v7, 1, v5
	s_delay_alu instid0(VALU_DEP_3) | instskip(NEXT) | instid1(VALU_DEP_3)
	v_mov_b32_dpp v3, v1 quad_perm:[1,0,3,2] row_mask:0xf bank_mask:0xf
	v_mov_b32_dpp v4, v2 quad_perm:[1,0,3,2] row_mask:0xf bank_mask:0xf
	s_delay_alu instid0(VALU_DEP_3)
	v_cmpx_eq_u32_e32 1, v7
; %bb.185:
	s_delay_alu instid0(VALU_DEP_2) | instskip(SKIP_1) | instid1(VALU_DEP_2)
	v_cmp_lt_i64_e64 s2, v[1:2], v[3:4]
	v_cndmask_b32_e64 v6, v5, 1, vcc_lo
	s_and_b32 vcc_lo, vcc_lo, s2
	v_dual_cndmask_b32 v2, v4, v2 :: v_dual_cndmask_b32 v1, v3, v1
; %bb.186:
	s_or_b32 exec_lo, exec_lo, s3
	s_delay_alu instid0(VALU_DEP_2) | instskip(SKIP_1) | instid1(VALU_DEP_3)
	v_and_b32_e32 v5, 0xff, v6
	v_and_b32_e32 v6, 1, v6
	v_mov_b32_dpp v3, v1 quad_perm:[2,3,0,1] row_mask:0xf bank_mask:0xf
	v_mov_b32_dpp v4, v2 quad_perm:[2,3,0,1] row_mask:0xf bank_mask:0xf
	s_mov_b32 s6, exec_lo
	v_mov_b32_dpp v7, v5 quad_perm:[2,3,0,1] row_mask:0xf bank_mask:0xf
	v_cmp_eq_u32_e64 s3, 1, v6
	s_delay_alu instid0(VALU_DEP_2) | instskip(NEXT) | instid1(VALU_DEP_1)
	v_and_b32_e32 v8, 1, v7
	v_cmpx_eq_u32_e32 1, v8
; %bb.187:
	s_delay_alu instid0(VALU_DEP_3) | instskip(SKIP_1) | instid1(VALU_DEP_2)
	v_cndmask_b32_e64 v5, v7, 1, s3
	v_cmp_lt_i64_e32 vcc_lo, v[1:2], v[3:4]
	v_and_b32_e32 v6, 1, v5
	v_and_b32_e32 v5, 0xff, v5
	s_and_b32 vcc_lo, s3, vcc_lo
	s_and_not1_b32 s3, s3, exec_lo
	v_dual_cndmask_b32 v2, v4, v2 :: v_dual_cndmask_b32 v1, v3, v1
	v_cmp_eq_u32_e64 s2, 1, v6
	s_delay_alu instid0(VALU_DEP_1) | instskip(NEXT) | instid1(SALU_CYCLE_1)
	s_and_b32 s2, s2, exec_lo
	s_or_b32 s3, s3, s2
; %bb.188:
	s_or_b32 exec_lo, exec_lo, s6
	v_mov_b32_dpp v6, v5 row_ror:4 row_mask:0xf bank_mask:0xf
	v_mov_b32_dpp v3, v1 row_ror:4 row_mask:0xf bank_mask:0xf
	v_mov_b32_dpp v4, v2 row_ror:4 row_mask:0xf bank_mask:0xf
	s_mov_b32 s6, exec_lo
	s_delay_alu instid0(VALU_DEP_3) | instskip(NEXT) | instid1(VALU_DEP_1)
	v_and_b32_e32 v7, 1, v6
	v_cmpx_eq_u32_e32 1, v7
; %bb.189:
	v_cndmask_b32_e64 v5, v6, 1, s3
	v_cmp_lt_i64_e32 vcc_lo, v[1:2], v[3:4]
	s_delay_alu instid0(VALU_DEP_2)
	v_and_b32_e32 v6, 1, v5
	v_and_b32_e32 v5, 0xff, v5
	s_and_b32 vcc_lo, s3, vcc_lo
	s_and_not1_b32 s3, s3, exec_lo
	v_dual_cndmask_b32 v2, v4, v2 :: v_dual_cndmask_b32 v1, v3, v1
	v_cmp_eq_u32_e64 s2, 1, v6
	s_delay_alu instid0(VALU_DEP_1) | instskip(NEXT) | instid1(SALU_CYCLE_1)
	s_and_b32 s2, s2, exec_lo
	s_or_b32 s3, s3, s2
; %bb.190:
	s_or_b32 exec_lo, exec_lo, s6
	v_mov_b32_dpp v6, v5 row_ror:8 row_mask:0xf bank_mask:0xf
	v_mov_b32_dpp v3, v1 row_ror:8 row_mask:0xf bank_mask:0xf
	;; [unrolled: 1-line block ×3, first 2 shown]
	s_mov_b32 s6, exec_lo
	s_delay_alu instid0(VALU_DEP_3) | instskip(NEXT) | instid1(VALU_DEP_1)
	v_and_b32_e32 v7, 1, v6
	v_cmpx_eq_u32_e32 1, v7
; %bb.191:
	v_cndmask_b32_e64 v5, v6, 1, s3
	v_cmp_lt_i64_e32 vcc_lo, v[1:2], v[3:4]
	s_delay_alu instid0(VALU_DEP_2)
	v_and_b32_e32 v6, 1, v5
	v_and_b32_e32 v5, 0xff, v5
	s_and_b32 vcc_lo, s3, vcc_lo
	s_and_not1_b32 s3, s3, exec_lo
	v_dual_cndmask_b32 v2, v4, v2 :: v_dual_cndmask_b32 v1, v3, v1
	v_cmp_eq_u32_e64 s2, 1, v6
	s_delay_alu instid0(VALU_DEP_1) | instskip(NEXT) | instid1(SALU_CYCLE_1)
	s_and_b32 s2, s2, exec_lo
	s_or_b32 s3, s3, s2
; %bb.192:
	s_or_b32 exec_lo, exec_lo, s6
	ds_swizzle_b32 v6, v5 offset:swizzle(BROADCAST,32,15)
	ds_swizzle_b32 v3, v1 offset:swizzle(BROADCAST,32,15)
	;; [unrolled: 1-line block ×3, first 2 shown]
	s_mov_b32 s2, exec_lo
	s_waitcnt lgkmcnt(2)
	v_and_b32_e32 v7, 1, v6
	s_delay_alu instid0(VALU_DEP_1)
	v_cmpx_eq_u32_e32 1, v7
	s_cbranch_execz .LBB1205_194
; %bb.193:
	s_waitcnt lgkmcnt(0)
	v_cmp_lt_i64_e32 vcc_lo, v[1:2], v[3:4]
	v_and_b32_e32 v5, 0xff, v6
	s_delay_alu instid0(VALU_DEP_1)
	v_cndmask_b32_e64 v5, v5, 1, s3
	s_and_b32 vcc_lo, s3, vcc_lo
	v_dual_cndmask_b32 v1, v3, v1 :: v_dual_cndmask_b32 v2, v4, v2
.LBB1205_194:
	s_or_b32 exec_lo, exec_lo, s2
	s_waitcnt lgkmcnt(1)
	v_mov_b32_e32 v3, 0
	s_mov_b32 s2, exec_lo
	ds_bpermute_b32 v6, v3, v5 offset:124
	ds_bpermute_b32 v1, v3, v1 offset:124
	;; [unrolled: 1-line block ×3, first 2 shown]
	v_mbcnt_lo_u32_b32 v3, -1, 0
	s_delay_alu instid0(VALU_DEP_1)
	v_cmpx_eq_u32_e32 0, v3
	s_cbranch_execz .LBB1205_196
; %bb.195:
	s_waitcnt lgkmcnt(3)
	v_lshrrev_b32_e32 v4, 1, v0
	s_delay_alu instid0(VALU_DEP_1)
	v_and_b32_e32 v4, 0x70, v4
	s_waitcnt lgkmcnt(2)
	ds_store_b8 v4, v6
	s_waitcnt lgkmcnt(1)
	ds_store_b64 v4, v[1:2] offset:8
.LBB1205_196:
	s_or_b32 exec_lo, exec_lo, s2
	s_delay_alu instid0(SALU_CYCLE_1)
	s_mov_b32 s6, exec_lo
	s_waitcnt lgkmcnt(0)
	s_barrier
	buffer_gl0_inv
	v_cmpx_gt_u32_e32 32, v0
	s_cbranch_execz .LBB1205_198
; %bb.197:
	v_and_b32_e32 v6, 7, v3
	s_delay_alu instid0(VALU_DEP_1)
	v_lshlrev_b32_e32 v1, 4, v6
	v_cmp_ne_u32_e32 vcc_lo, 7, v6
	ds_load_u8 v7, v1
	ds_load_b64 v[1:2], v1 offset:8
	v_add_co_ci_u32_e32 v4, vcc_lo, 0, v3, vcc_lo
	v_cmp_gt_u32_e32 vcc_lo, 6, v6
	s_delay_alu instid0(VALU_DEP_2)
	v_lshlrev_b32_e32 v5, 2, v4
	v_cndmask_b32_e64 v10, 0, 1, vcc_lo
	s_waitcnt lgkmcnt(1)
	v_and_b32_e32 v4, 0xff, v7
	v_and_b32_e32 v11, 1, v7
	ds_bpermute_b32 v8, v5, v4
	s_waitcnt lgkmcnt(1)
	ds_bpermute_b32 v4, v5, v1
	ds_bpermute_b32 v5, v5, v2
	v_cmp_eq_u32_e64 s3, 1, v11
	s_waitcnt lgkmcnt(2)
	v_and_b32_e32 v9, 1, v8
	s_waitcnt lgkmcnt(0)
	v_cmp_lt_i64_e64 s2, v[4:5], v[1:2]
	s_delay_alu instid0(VALU_DEP_2) | instskip(SKIP_2) | instid1(VALU_DEP_4)
	v_cmp_eq_u32_e32 vcc_lo, 1, v9
	v_lshlrev_b32_e32 v9, 1, v10
	v_cndmask_b32_e64 v7, v7, 1, vcc_lo
	s_and_b32 vcc_lo, vcc_lo, s2
	v_dual_cndmask_b32 v1, v1, v4 :: v_dual_cndmask_b32 v2, v2, v5
	s_delay_alu instid0(VALU_DEP_2) | instskip(SKIP_2) | instid1(VALU_DEP_4)
	v_cndmask_b32_e64 v7, v8, v7, s3
	v_add_lshl_u32 v8, v9, v3, 2
	v_cmp_gt_u32_e32 vcc_lo, 4, v6
	v_cndmask_b32_e64 v1, v4, v1, s3
	v_cndmask_b32_e64 v2, v5, v2, s3
	v_and_b32_e32 v9, 0xff, v7
	v_and_b32_e32 v10, 1, v7
	v_cndmask_b32_e64 v6, 0, 1, vcc_lo
	ds_bpermute_b32 v4, v8, v1
	ds_bpermute_b32 v5, v8, v2
	;; [unrolled: 1-line block ×3, first 2 shown]
	v_cmp_eq_u32_e64 s3, 1, v10
	s_waitcnt lgkmcnt(1)
	v_cmp_lt_i64_e64 s2, v[4:5], v[1:2]
	s_waitcnt lgkmcnt(0)
	v_and_b32_e32 v8, 1, v9
	s_delay_alu instid0(VALU_DEP_1) | instskip(SKIP_1) | instid1(VALU_DEP_4)
	v_cmp_eq_u32_e32 vcc_lo, 1, v8
	v_cndmask_b32_e64 v7, v7, 1, vcc_lo
	s_and_b32 vcc_lo, vcc_lo, s2
	v_dual_cndmask_b32 v1, v1, v4 :: v_dual_cndmask_b32 v2, v2, v5
	s_delay_alu instid0(VALU_DEP_2) | instskip(NEXT) | instid1(VALU_DEP_2)
	v_cndmask_b32_e64 v7, v9, v7, s3
	v_cndmask_b32_e64 v1, v4, v1, s3
	v_lshlrev_b32_e32 v6, 2, v6
	s_delay_alu instid0(VALU_DEP_4) | instskip(NEXT) | instid1(VALU_DEP_2)
	v_cndmask_b32_e64 v2, v5, v2, s3
	v_add_lshl_u32 v6, v6, v3, 2
	v_and_b32_e32 v3, 0xff, v7
	ds_bpermute_b32 v4, v6, v2
	ds_bpermute_b32 v5, v6, v3
	;; [unrolled: 1-line block ×3, first 2 shown]
	s_waitcnt lgkmcnt(1)
	v_and_b32_e32 v6, 1, v5
	s_waitcnt lgkmcnt(0)
	v_cmp_lt_i64_e32 vcc_lo, v[3:4], v[1:2]
	s_delay_alu instid0(VALU_DEP_2) | instskip(SKIP_1) | instid1(VALU_DEP_2)
	v_cmp_eq_u32_e64 s2, 1, v6
	v_and_b32_e32 v6, 1, v7
	v_cndmask_b32_e64 v7, v7, 1, s2
	s_and_b32 vcc_lo, s2, vcc_lo
	s_delay_alu instid0(VALU_DEP_2) | instskip(SKIP_1) | instid1(VALU_DEP_2)
	v_cmp_eq_u32_e64 s2, 1, v6
	v_dual_cndmask_b32 v1, v1, v3 :: v_dual_cndmask_b32 v2, v2, v4
	v_cndmask_b32_e64 v5, v5, v7, s2
	s_delay_alu instid0(VALU_DEP_2) | instskip(NEXT) | instid1(VALU_DEP_3)
	v_cndmask_b32_e64 v1, v3, v1, s2
	v_cndmask_b32_e64 v2, v4, v2, s2
	s_delay_alu instid0(VALU_DEP_3)
	v_and_b32_e32 v6, 0xff, v5
.LBB1205_198:
	s_or_b32 exec_lo, exec_lo, s6
	s_branch .LBB1205_227
.LBB1205_199:
                                        ; implicit-def: $vgpr3_vgpr4
                                        ; implicit-def: $vgpr5
                                        ; implicit-def: $sgpr10_sgpr11
.LBB1205_200:
	s_and_saveexec_b32 s2, s24
	s_cbranch_execz .LBB1205_202
.LBB1205_201:
	s_load_b64 s[0:1], s[0:1], 0x38
	s_lshl_b64 s[2:3], s[10:11], 4
	v_mov_b32_e32 v0, 0
	s_waitcnt lgkmcnt(0)
	s_add_u32 s0, s0, s2
	s_addc_u32 s1, s1, s3
	s_clause 0x1
	global_store_b8 v0, v5, s[0:1]
	global_store_b64 v0, v[3:4], s[0:1] offset:8
.LBB1205_202:
	s_nop 0
	s_sendmsg sendmsg(MSG_DEALLOC_VGPRS)
	s_endpgm
.LBB1205_203:
                                        ; implicit-def: $vgpr1_vgpr2
                                        ; implicit-def: $vgpr6
	s_cbranch_execz .LBB1205_227
; %bb.204:
	v_mov_b32_e32 v1, 0
	v_dual_mov_b32 v2, 0 :: v_dual_mov_b32 v7, 0
	s_sub_i32 s2, s14, s4
	s_mov_b32 s3, exec_lo
	v_cmpx_gt_u32_e64 s2, v0
	s_cbranch_execz .LBB1205_206
; %bb.205:
	s_lshl_b64 s[6:7], s[4:5], 3
	v_lshlrev_b32_e32 v1, 3, v0
	s_add_u32 s6, s16, s6
	s_addc_u32 s7, s17, s7
	s_waitcnt lgkmcnt(0)
	global_load_b64 v[3:4], v1, s[6:7]
	v_add_co_u32 v1, s4, s4, v0
	s_delay_alu instid0(VALU_DEP_1) | instskip(NEXT) | instid1(VALU_DEP_2)
	v_add_co_ci_u32_e64 v2, null, 0, 0, s4
	v_add_co_u32 v5, vcc_lo, s18, v1
	s_delay_alu instid0(VALU_DEP_2) | instskip(SKIP_3) | instid1(VALU_DEP_3)
	v_add_co_ci_u32_e32 v6, vcc_lo, s19, v2, vcc_lo
	v_add_co_u32 v1, vcc_lo, s12, v1
	v_add_co_ci_u32_e32 v2, vcc_lo, s13, v2, vcc_lo
	s_waitcnt vmcnt(0)
	v_cmp_ne_u64_e32 vcc_lo, v[3:4], v[5:6]
	v_cndmask_b32_e64 v7, 0, 1, vcc_lo
.LBB1205_206:
	s_or_b32 exec_lo, exec_lo, s3
	s_waitcnt lgkmcnt(2)
	v_mbcnt_lo_u32_b32 v5, -1, 0
	s_delay_alu instid0(VALU_DEP_2)
	v_and_b32_e32 v6, 0xffff, v7
	v_and_b32_e32 v8, 0xe0, v0
	s_min_u32 s3, s2, 0x100
	s_mov_b32 s4, exec_lo
	v_cmp_ne_u32_e32 vcc_lo, 31, v5
	v_add_nc_u32_e32 v10, 1, v5
	v_sub_nc_u32_e64 v8, s3, v8 clamp
	s_waitcnt lgkmcnt(1)
	v_add_co_ci_u32_e32 v3, vcc_lo, 0, v5, vcc_lo
	s_waitcnt lgkmcnt(0)
	s_delay_alu instid0(VALU_DEP_1)
	v_lshlrev_b32_e32 v4, 2, v3
	ds_bpermute_b32 v9, v4, v6
	ds_bpermute_b32 v3, v4, v1
	ds_bpermute_b32 v4, v4, v2
	v_cmpx_lt_u32_e64 v10, v8
	s_cbranch_execz .LBB1205_208
; %bb.207:
	s_waitcnt lgkmcnt(2)
	v_and_b32_e32 v6, 1, v9
	s_waitcnt lgkmcnt(0)
	v_cmp_lt_i64_e32 vcc_lo, v[3:4], v[1:2]
	s_delay_alu instid0(VALU_DEP_2) | instskip(SKIP_1) | instid1(VALU_DEP_2)
	v_cmp_eq_u32_e64 s2, 1, v6
	v_and_b32_e32 v6, 1, v7
	v_cndmask_b32_e64 v7, v7, 1, s2
	s_and_b32 vcc_lo, s2, vcc_lo
	s_delay_alu instid0(VALU_DEP_2) | instskip(SKIP_1) | instid1(VALU_DEP_2)
	v_cmp_eq_u32_e64 s2, 1, v6
	v_dual_cndmask_b32 v1, v1, v3 :: v_dual_cndmask_b32 v2, v2, v4
	v_cndmask_b32_e64 v7, v9, v7, s2
	s_delay_alu instid0(VALU_DEP_2) | instskip(NEXT) | instid1(VALU_DEP_3)
	v_cndmask_b32_e64 v1, v3, v1, s2
	v_cndmask_b32_e64 v2, v4, v2, s2
	s_delay_alu instid0(VALU_DEP_3)
	v_and_b32_e32 v6, 0xff, v7
.LBB1205_208:
	s_or_b32 exec_lo, exec_lo, s4
	v_cmp_gt_u32_e32 vcc_lo, 30, v5
	v_add_nc_u32_e32 v10, 2, v5
	s_mov_b32 s4, exec_lo
	s_waitcnt lgkmcnt(1)
	v_cndmask_b32_e64 v3, 0, 1, vcc_lo
	s_delay_alu instid0(VALU_DEP_1) | instskip(SKIP_1) | instid1(VALU_DEP_1)
	v_lshlrev_b32_e32 v3, 1, v3
	s_waitcnt lgkmcnt(0)
	v_add_lshl_u32 v4, v3, v5, 2
	ds_bpermute_b32 v9, v4, v6
	ds_bpermute_b32 v3, v4, v1
	ds_bpermute_b32 v4, v4, v2
	v_cmpx_lt_u32_e64 v10, v8
	s_cbranch_execz .LBB1205_210
; %bb.209:
	s_waitcnt lgkmcnt(2)
	v_and_b32_e32 v6, 1, v9
	s_waitcnt lgkmcnt(0)
	v_cmp_lt_i64_e32 vcc_lo, v[3:4], v[1:2]
	s_delay_alu instid0(VALU_DEP_2) | instskip(SKIP_1) | instid1(VALU_DEP_2)
	v_cmp_eq_u32_e64 s2, 1, v6
	v_and_b32_e32 v6, 1, v7
	v_cndmask_b32_e64 v7, v7, 1, s2
	s_and_b32 vcc_lo, s2, vcc_lo
	s_delay_alu instid0(VALU_DEP_2) | instskip(SKIP_1) | instid1(VALU_DEP_2)
	v_cmp_eq_u32_e64 s2, 1, v6
	v_dual_cndmask_b32 v1, v1, v3 :: v_dual_cndmask_b32 v2, v2, v4
	v_cndmask_b32_e64 v7, v9, v7, s2
	s_delay_alu instid0(VALU_DEP_2) | instskip(NEXT) | instid1(VALU_DEP_3)
	v_cndmask_b32_e64 v1, v3, v1, s2
	v_cndmask_b32_e64 v2, v4, v2, s2
	s_delay_alu instid0(VALU_DEP_3)
	v_and_b32_e32 v6, 0xff, v7
.LBB1205_210:
	s_or_b32 exec_lo, exec_lo, s4
	v_cmp_gt_u32_e32 vcc_lo, 28, v5
	v_add_nc_u32_e32 v10, 4, v5
	s_mov_b32 s4, exec_lo
	s_waitcnt lgkmcnt(1)
	v_cndmask_b32_e64 v3, 0, 1, vcc_lo
	s_delay_alu instid0(VALU_DEP_1) | instskip(SKIP_1) | instid1(VALU_DEP_1)
	v_lshlrev_b32_e32 v3, 2, v3
	s_waitcnt lgkmcnt(0)
	v_add_lshl_u32 v4, v3, v5, 2
	;; [unrolled: 35-line block ×4, first 2 shown]
	ds_bpermute_b32 v9, v4, v6
	ds_bpermute_b32 v3, v4, v1
	;; [unrolled: 1-line block ×3, first 2 shown]
	v_cmpx_lt_u32_e64 v10, v8
	s_cbranch_execz .LBB1205_216
; %bb.215:
	s_waitcnt lgkmcnt(2)
	v_and_b32_e32 v6, 1, v9
	s_waitcnt lgkmcnt(0)
	v_cmp_lt_i64_e32 vcc_lo, v[3:4], v[1:2]
	s_delay_alu instid0(VALU_DEP_2) | instskip(SKIP_1) | instid1(VALU_DEP_2)
	v_cmp_eq_u32_e64 s2, 1, v6
	v_and_b32_e32 v6, 1, v7
	v_cndmask_b32_e64 v7, v7, 1, s2
	s_and_b32 vcc_lo, s2, vcc_lo
	s_delay_alu instid0(VALU_DEP_2) | instskip(SKIP_1) | instid1(VALU_DEP_2)
	v_cmp_eq_u32_e64 s2, 1, v6
	v_dual_cndmask_b32 v1, v1, v3 :: v_dual_cndmask_b32 v2, v2, v4
	v_cndmask_b32_e64 v7, v9, v7, s2
	s_delay_alu instid0(VALU_DEP_2) | instskip(NEXT) | instid1(VALU_DEP_3)
	v_cndmask_b32_e64 v1, v3, v1, s2
	v_cndmask_b32_e64 v2, v4, v2, s2
	s_delay_alu instid0(VALU_DEP_3)
	v_and_b32_e32 v6, 0xff, v7
.LBB1205_216:
	s_or_b32 exec_lo, exec_lo, s4
	s_delay_alu instid0(SALU_CYCLE_1)
	s_mov_b32 s2, exec_lo
	v_cmpx_eq_u32_e32 0, v5
	s_cbranch_execz .LBB1205_218
; %bb.217:
	s_waitcnt lgkmcnt(1)
	v_lshrrev_b32_e32 v3, 1, v0
	s_delay_alu instid0(VALU_DEP_1)
	v_and_b32_e32 v3, 0x70, v3
	ds_store_b8 v3, v7 offset:512
	ds_store_b64 v3, v[1:2] offset:520
.LBB1205_218:
	s_or_b32 exec_lo, exec_lo, s2
	s_delay_alu instid0(SALU_CYCLE_1)
	s_mov_b32 s4, exec_lo
	s_waitcnt lgkmcnt(0)
	s_barrier
	buffer_gl0_inv
	v_cmpx_gt_u32_e32 8, v0
	s_cbranch_execz .LBB1205_226
; %bb.219:
	v_lshlrev_b32_e32 v1, 4, v5
	v_and_b32_e32 v8, 7, v5
	s_add_i32 s3, s3, 31
	s_mov_b32 s5, exec_lo
	s_lshr_b32 s3, s3, 5
	ds_load_u8 v7, v1 offset:512
	ds_load_b64 v[1:2], v1 offset:520
	v_cmp_ne_u32_e32 vcc_lo, 7, v8
	v_add_nc_u32_e32 v10, 1, v8
	v_add_co_ci_u32_e32 v3, vcc_lo, 0, v5, vcc_lo
	s_delay_alu instid0(VALU_DEP_1)
	v_lshlrev_b32_e32 v4, 2, v3
	s_waitcnt lgkmcnt(1)
	v_and_b32_e32 v6, 0xff, v7
	s_waitcnt lgkmcnt(0)
	ds_bpermute_b32 v3, v4, v1
	ds_bpermute_b32 v9, v4, v6
	;; [unrolled: 1-line block ×3, first 2 shown]
	v_cmpx_gt_u32_e64 s3, v10
	s_cbranch_execz .LBB1205_221
; %bb.220:
	s_waitcnt lgkmcnt(1)
	v_and_b32_e32 v6, 1, v9
	s_waitcnt lgkmcnt(0)
	v_cmp_lt_i64_e32 vcc_lo, v[3:4], v[1:2]
	s_delay_alu instid0(VALU_DEP_2) | instskip(SKIP_1) | instid1(VALU_DEP_2)
	v_cmp_eq_u32_e64 s2, 1, v6
	v_and_b32_e32 v6, 1, v7
	v_cndmask_b32_e64 v7, v7, 1, s2
	s_and_b32 vcc_lo, s2, vcc_lo
	s_delay_alu instid0(VALU_DEP_2) | instskip(SKIP_1) | instid1(VALU_DEP_2)
	v_cmp_eq_u32_e64 s2, 1, v6
	v_dual_cndmask_b32 v1, v1, v3 :: v_dual_cndmask_b32 v2, v2, v4
	v_cndmask_b32_e64 v7, v9, v7, s2
	s_delay_alu instid0(VALU_DEP_2) | instskip(NEXT) | instid1(VALU_DEP_3)
	v_cndmask_b32_e64 v1, v3, v1, s2
	v_cndmask_b32_e64 v2, v4, v2, s2
	s_delay_alu instid0(VALU_DEP_3)
	v_and_b32_e32 v6, 0xff, v7
.LBB1205_221:
	s_or_b32 exec_lo, exec_lo, s5
	v_cmp_gt_u32_e32 vcc_lo, 6, v8
	v_add_nc_u32_e32 v10, 2, v8
	s_mov_b32 s5, exec_lo
	s_waitcnt lgkmcnt(2)
	v_cndmask_b32_e64 v3, 0, 1, vcc_lo
	s_delay_alu instid0(VALU_DEP_1) | instskip(SKIP_1) | instid1(VALU_DEP_1)
	v_lshlrev_b32_e32 v3, 1, v3
	s_waitcnt lgkmcnt(0)
	v_add_lshl_u32 v4, v3, v5, 2
	ds_bpermute_b32 v9, v4, v6
	ds_bpermute_b32 v3, v4, v1
	;; [unrolled: 1-line block ×3, first 2 shown]
	v_cmpx_gt_u32_e64 s3, v10
	s_cbranch_execz .LBB1205_223
; %bb.222:
	s_waitcnt lgkmcnt(2)
	v_and_b32_e32 v6, 1, v9
	s_waitcnt lgkmcnt(0)
	v_cmp_lt_i64_e32 vcc_lo, v[3:4], v[1:2]
	s_delay_alu instid0(VALU_DEP_2) | instskip(SKIP_1) | instid1(VALU_DEP_2)
	v_cmp_eq_u32_e64 s2, 1, v6
	v_and_b32_e32 v6, 1, v7
	v_cndmask_b32_e64 v7, v7, 1, s2
	s_and_b32 vcc_lo, s2, vcc_lo
	s_delay_alu instid0(VALU_DEP_2) | instskip(SKIP_1) | instid1(VALU_DEP_2)
	v_cmp_eq_u32_e64 s2, 1, v6
	v_dual_cndmask_b32 v1, v1, v3 :: v_dual_cndmask_b32 v2, v2, v4
	v_cndmask_b32_e64 v7, v9, v7, s2
	s_delay_alu instid0(VALU_DEP_2) | instskip(NEXT) | instid1(VALU_DEP_3)
	v_cndmask_b32_e64 v1, v3, v1, s2
	v_cndmask_b32_e64 v2, v4, v2, s2
	s_delay_alu instid0(VALU_DEP_3)
	v_and_b32_e32 v6, 0xff, v7
.LBB1205_223:
	s_or_b32 exec_lo, exec_lo, s5
	v_cmp_gt_u32_e32 vcc_lo, 4, v8
	v_add_nc_u32_e32 v8, 4, v8
	s_waitcnt lgkmcnt(1)
	v_cndmask_b32_e64 v3, 0, 1, vcc_lo
	s_delay_alu instid0(VALU_DEP_2) | instskip(NEXT) | instid1(VALU_DEP_2)
	v_cmp_gt_u32_e32 vcc_lo, s3, v8
	v_lshlrev_b32_e32 v3, 2, v3
	s_waitcnt lgkmcnt(0)
	s_delay_alu instid0(VALU_DEP_1)
	v_add_lshl_u32 v4, v3, v5, 2
	ds_bpermute_b32 v5, v4, v6
	ds_bpermute_b32 v3, v4, v1
	;; [unrolled: 1-line block ×3, first 2 shown]
	s_and_saveexec_b32 s3, vcc_lo
	s_cbranch_execz .LBB1205_225
; %bb.224:
	s_waitcnt lgkmcnt(2)
	v_and_b32_e32 v6, 1, v5
	s_waitcnt lgkmcnt(0)
	v_cmp_lt_i64_e32 vcc_lo, v[3:4], v[1:2]
	s_delay_alu instid0(VALU_DEP_2) | instskip(SKIP_1) | instid1(VALU_DEP_2)
	v_cmp_eq_u32_e64 s2, 1, v6
	v_and_b32_e32 v6, 1, v7
	v_cndmask_b32_e64 v7, v7, 1, s2
	s_and_b32 vcc_lo, s2, vcc_lo
	s_delay_alu instid0(VALU_DEP_2) | instskip(SKIP_1) | instid1(VALU_DEP_2)
	v_cmp_eq_u32_e64 s2, 1, v6
	v_dual_cndmask_b32 v1, v1, v3 :: v_dual_cndmask_b32 v2, v2, v4
	v_cndmask_b32_e64 v5, v5, v7, s2
	s_delay_alu instid0(VALU_DEP_2) | instskip(NEXT) | instid1(VALU_DEP_3)
	v_cndmask_b32_e64 v1, v3, v1, s2
	v_cndmask_b32_e64 v2, v4, v2, s2
	s_delay_alu instid0(VALU_DEP_3)
	v_and_b32_e32 v6, 0xff, v5
.LBB1205_225:
	s_or_b32 exec_lo, exec_lo, s3
.LBB1205_226:
	s_delay_alu instid0(SALU_CYCLE_1)
	s_or_b32 exec_lo, exec_lo, s4
.LBB1205_227:
	s_delay_alu instid0(SALU_CYCLE_1)
	s_mov_b32 s4, exec_lo
                                        ; implicit-def: $vgpr3_vgpr4
                                        ; implicit-def: $vgpr5
	v_cmpx_eq_u32_e32 0, v0
	s_cbranch_execz .LBB1205_231
; %bb.228:
	s_waitcnt lgkmcnt(0)
	v_dual_mov_b32 v3, s20 :: v_dual_mov_b32 v4, s21
	v_mov_b32_e32 v5, s22
	s_cmp_eq_u64 s[14:15], 0
	s_cbranch_scc1 .LBB1205_230
; %bb.229:
	v_and_b32_e32 v0, 1, v6
	v_cmp_gt_i64_e32 vcc_lo, s[20:21], v[1:2]
	s_bitcmp1_b32 s22, 0
	s_cselect_b32 s3, -1, 0
	s_delay_alu instid0(VALU_DEP_2) | instskip(NEXT) | instid1(VALU_DEP_1)
	v_cmp_eq_u32_e64 s2, 1, v0
	s_and_b32 vcc_lo, s2, vcc_lo
	v_cndmask_b32_e64 v0, s22, 1, s2
	v_cndmask_b32_e32 v3, s20, v1, vcc_lo
	v_cndmask_b32_e32 v4, s21, v2, vcc_lo
	s_delay_alu instid0(VALU_DEP_3) | instskip(NEXT) | instid1(VALU_DEP_3)
	v_cndmask_b32_e64 v5, v6, v0, s3
	v_cndmask_b32_e64 v3, v1, v3, s3
	s_delay_alu instid0(VALU_DEP_3)
	v_cndmask_b32_e64 v4, v2, v4, s3
.LBB1205_230:
	s_or_b32 s24, s24, exec_lo
.LBB1205_231:
	s_or_b32 exec_lo, exec_lo, s4
	s_and_saveexec_b32 s2, s24
	s_cbranch_execnz .LBB1205_201
	s_branch .LBB1205_202
.LBB1205_232:
	v_lshlrev_b32_e32 v9, 3, v25
	global_load_b64 v[26:27], v9, s[8:9]
	v_add_co_u32 v28, s8, s26, v25
	s_delay_alu instid0(VALU_DEP_1) | instskip(SKIP_1) | instid1(VALU_DEP_1)
	v_add_co_ci_u32_e64 v29, null, s27, 0, s8
	v_add_co_u32 v9, s8, s28, v25
	v_add_co_ci_u32_e64 v10, null, s29, 0, s8
	s_waitcnt vmcnt(0)
	s_delay_alu instid0(VALU_DEP_3) | instskip(NEXT) | instid1(VALU_DEP_1)
	v_cmp_ne_u64_e64 s8, v[26:27], v[28:29]
	v_cndmask_b32_e64 v21, 0, 1, s8
	s_or_b32 exec_lo, exec_lo, s30
	s_and_saveexec_b32 s9, vcc_lo
	s_cbranch_execz .LBB1205_57
.LBB1205_233:
	v_and_b32_e32 v25, 1, v18
	v_cmp_lt_i64_e32 vcc_lo, v[3:4], v[1:2]
	s_delay_alu instid0(VALU_DEP_2) | instskip(NEXT) | instid1(VALU_DEP_1)
	v_cmp_eq_u32_e64 s8, 1, v25
	s_and_b32 vcc_lo, s8, vcc_lo
	v_dual_cndmask_b32 v2, v2, v4 :: v_dual_and_b32 v25, 1, v17
	v_cndmask_b32_e64 v17, v17, 1, s8
	v_cndmask_b32_e32 v1, v1, v3, vcc_lo
	s_delay_alu instid0(VALU_DEP_3) | instskip(NEXT) | instid1(VALU_DEP_3)
	v_cmp_eq_u32_e32 vcc_lo, 1, v25
	v_dual_cndmask_b32 v2, v4, v2 :: v_dual_cndmask_b32 v17, v18, v17
	s_delay_alu instid0(VALU_DEP_3)
	v_cndmask_b32_e32 v1, v3, v1, vcc_lo
	s_or_b32 exec_lo, exec_lo, s9
	s_and_saveexec_b32 s8, s2
	s_cbranch_execz .LBB1205_58
.LBB1205_234:
	v_and_b32_e32 v3, 1, v22
	v_cmp_lt_i64_e32 vcc_lo, v[11:12], v[1:2]
	s_delay_alu instid0(VALU_DEP_2) | instskip(NEXT) | instid1(VALU_DEP_1)
	v_cmp_eq_u32_e64 s2, 1, v3
	s_and_b32 vcc_lo, s2, vcc_lo
	v_cndmask_b32_e64 v4, v17, 1, s2
	v_dual_cndmask_b32 v2, v2, v12 :: v_dual_and_b32 v3, 1, v17
	v_cndmask_b32_e32 v1, v1, v11, vcc_lo
	s_delay_alu instid0(VALU_DEP_2) | instskip(NEXT) | instid1(VALU_DEP_3)
	v_cmp_eq_u32_e32 vcc_lo, 1, v3
	v_dual_cndmask_b32 v2, v12, v2 :: v_dual_cndmask_b32 v17, v22, v4
	s_delay_alu instid0(VALU_DEP_3)
	v_cndmask_b32_e32 v1, v11, v1, vcc_lo
	s_or_b32 exec_lo, exec_lo, s8
	s_and_saveexec_b32 s8, s3
	s_cbranch_execz .LBB1205_59
.LBB1205_235:
	v_and_b32_e32 v3, 1, v19
	v_cmp_lt_i64_e32 vcc_lo, v[5:6], v[1:2]
	s_delay_alu instid0(VALU_DEP_2) | instskip(NEXT) | instid1(VALU_DEP_1)
	v_cmp_eq_u32_e64 s2, 1, v3
	s_and_b32 vcc_lo, s2, vcc_lo
	v_cndmask_b32_e64 v4, v17, 1, s2
	v_dual_cndmask_b32 v2, v2, v6 :: v_dual_and_b32 v3, 1, v17
	v_cndmask_b32_e32 v1, v1, v5, vcc_lo
	s_delay_alu instid0(VALU_DEP_2) | instskip(NEXT) | instid1(VALU_DEP_3)
	v_cmp_eq_u32_e32 vcc_lo, 1, v3
	v_dual_cndmask_b32 v2, v6, v2 :: v_dual_cndmask_b32 v17, v19, v4
	s_delay_alu instid0(VALU_DEP_3)
	v_cndmask_b32_e32 v1, v5, v1, vcc_lo
	s_or_b32 exec_lo, exec_lo, s8
	s_and_saveexec_b32 s3, s4
	s_cbranch_execz .LBB1205_60
.LBB1205_236:
	v_and_b32_e32 v3, 1, v23
	v_cmp_lt_i64_e32 vcc_lo, v[13:14], v[1:2]
	s_delay_alu instid0(VALU_DEP_2) | instskip(NEXT) | instid1(VALU_DEP_1)
	v_cmp_eq_u32_e64 s2, 1, v3
	s_and_b32 vcc_lo, s2, vcc_lo
	v_cndmask_b32_e64 v4, v17, 1, s2
	v_dual_cndmask_b32 v2, v2, v14 :: v_dual_and_b32 v3, 1, v17
	v_cndmask_b32_e32 v1, v1, v13, vcc_lo
	s_delay_alu instid0(VALU_DEP_2) | instskip(NEXT) | instid1(VALU_DEP_3)
	v_cmp_eq_u32_e32 vcc_lo, 1, v3
	v_dual_cndmask_b32 v2, v14, v2 :: v_dual_cndmask_b32 v17, v23, v4
	s_delay_alu instid0(VALU_DEP_3)
	v_cndmask_b32_e32 v1, v13, v1, vcc_lo
	s_or_b32 exec_lo, exec_lo, s3
	s_and_saveexec_b32 s3, s5
	s_cbranch_execz .LBB1205_61
.LBB1205_237:
	v_and_b32_e32 v3, 1, v20
	v_cmp_lt_i64_e32 vcc_lo, v[7:8], v[1:2]
	s_delay_alu instid0(VALU_DEP_2) | instskip(NEXT) | instid1(VALU_DEP_1)
	v_cmp_eq_u32_e64 s2, 1, v3
	s_and_b32 vcc_lo, s2, vcc_lo
	v_dual_cndmask_b32 v2, v2, v8 :: v_dual_and_b32 v3, 1, v17
	v_cndmask_b32_e64 v4, v17, 1, s2
	v_cndmask_b32_e32 v1, v1, v7, vcc_lo
	s_delay_alu instid0(VALU_DEP_3) | instskip(NEXT) | instid1(VALU_DEP_3)
	v_cmp_eq_u32_e32 vcc_lo, 1, v3
	v_cndmask_b32_e32 v17, v20, v4, vcc_lo
	s_delay_alu instid0(VALU_DEP_3)
	v_dual_cndmask_b32 v2, v8, v2 :: v_dual_cndmask_b32 v1, v7, v1
	s_or_b32 exec_lo, exec_lo, s3
	s_and_saveexec_b32 s3, s6
	s_cbranch_execz .LBB1205_62
.LBB1205_238:
	v_and_b32_e32 v3, 1, v24
	v_cmp_lt_i64_e32 vcc_lo, v[15:16], v[1:2]
	s_delay_alu instid0(VALU_DEP_2) | instskip(NEXT) | instid1(VALU_DEP_1)
	v_cmp_eq_u32_e64 s2, 1, v3
	s_and_b32 vcc_lo, s2, vcc_lo
	v_dual_cndmask_b32 v2, v2, v16 :: v_dual_and_b32 v3, 1, v17
	v_cndmask_b32_e64 v4, v17, 1, s2
	v_cndmask_b32_e32 v1, v1, v15, vcc_lo
	s_delay_alu instid0(VALU_DEP_3) | instskip(NEXT) | instid1(VALU_DEP_3)
	v_cmp_eq_u32_e32 vcc_lo, 1, v3
	v_cndmask_b32_e32 v17, v24, v4, vcc_lo
	s_delay_alu instid0(VALU_DEP_3)
	v_dual_cndmask_b32 v2, v16, v2 :: v_dual_cndmask_b32 v1, v15, v1
	s_or_b32 exec_lo, exec_lo, s3
	s_and_saveexec_b32 s3, s7
	s_cbranch_execnz .LBB1205_63
	s_branch .LBB1205_64
.LBB1205_239:
	v_lshlrev_b32_e32 v5, 3, v13
	v_add_co_u32 v16, s4, s4, v13
	s_delay_alu instid0(VALU_DEP_1) | instskip(SKIP_2) | instid1(VALU_DEP_1)
	v_add_co_ci_u32_e64 v17, null, s9, 0, s4
	global_load_b64 v[14:15], v5, s[6:7]
	v_add_co_u32 v5, s4, s8, v13
	v_add_co_ci_u32_e64 v6, null, s25, 0, s4
	s_waitcnt vmcnt(0)
	v_cmp_ne_u64_e64 s4, v[14:15], v[16:17]
	s_delay_alu instid0(VALU_DEP_1)
	v_cndmask_b32_e64 v11, 0, 1, s4
	s_or_b32 exec_lo, exec_lo, s26
	s_and_saveexec_b32 s6, vcc_lo
	s_cbranch_execz .LBB1205_100
.LBB1205_240:
	v_and_b32_e32 v13, 1, v10
	v_cmp_lt_i64_e32 vcc_lo, v[3:4], v[1:2]
	s_delay_alu instid0(VALU_DEP_2) | instskip(NEXT) | instid1(VALU_DEP_1)
	v_cmp_eq_u32_e64 s4, 1, v13
	s_and_b32 vcc_lo, s4, vcc_lo
	v_dual_cndmask_b32 v2, v2, v4 :: v_dual_and_b32 v13, 1, v9
	v_cndmask_b32_e64 v9, v9, 1, s4
	v_cndmask_b32_e32 v1, v1, v3, vcc_lo
	s_delay_alu instid0(VALU_DEP_3) | instskip(NEXT) | instid1(VALU_DEP_3)
	v_cmp_eq_u32_e32 vcc_lo, 1, v13
	v_dual_cndmask_b32 v2, v4, v2 :: v_dual_cndmask_b32 v9, v10, v9
	s_delay_alu instid0(VALU_DEP_3)
	v_cndmask_b32_e32 v1, v3, v1, vcc_lo
	s_or_b32 exec_lo, exec_lo, s6
	s_and_saveexec_b32 s4, s2
	s_cbranch_execz .LBB1205_101
.LBB1205_241:
	v_and_b32_e32 v3, 1, v12
	v_cmp_lt_i64_e32 vcc_lo, v[7:8], v[1:2]
	s_delay_alu instid0(VALU_DEP_2) | instskip(NEXT) | instid1(VALU_DEP_1)
	v_cmp_eq_u32_e64 s2, 1, v3
	s_and_b32 vcc_lo, s2, vcc_lo
	v_dual_cndmask_b32 v2, v2, v8 :: v_dual_and_b32 v3, 1, v9
	v_cndmask_b32_e64 v4, v9, 1, s2
	v_cndmask_b32_e32 v1, v1, v7, vcc_lo
	s_delay_alu instid0(VALU_DEP_3) | instskip(NEXT) | instid1(VALU_DEP_3)
	v_cmp_eq_u32_e32 vcc_lo, 1, v3
	v_cndmask_b32_e32 v9, v12, v4, vcc_lo
	s_delay_alu instid0(VALU_DEP_3)
	v_dual_cndmask_b32 v2, v8, v2 :: v_dual_cndmask_b32 v1, v7, v1
	s_or_b32 exec_lo, exec_lo, s4
	s_and_saveexec_b32 s4, s3
	s_cbranch_execnz .LBB1205_102
	s_branch .LBB1205_103
	.section	.rodata,"a",@progbits
	.p2align	6, 0x0
	.amdhsa_kernel _ZN7rocprim17ROCPRIM_400000_NS6detail17trampoline_kernelINS0_14default_configENS1_22reduce_config_selectorIN6thrust23THRUST_200600_302600_NS5tupleIblNS6_9null_typeES8_S8_S8_S8_S8_S8_S8_EEEEZNS1_11reduce_implILb1ES3_NS6_12zip_iteratorINS7_INS6_11hip_rocprim26transform_input_iterator_tIbNSD_35transform_pair_of_input_iterators_tIbNS6_6detail15normal_iteratorINS6_10device_ptrIlEEEENS6_17counting_iteratorIlNS6_11use_defaultESM_SM_EENS6_8equal_toIlEEEENSG_9not_fun_tINSD_8identityEEEEENSD_19counting_iterator_tIlEES8_S8_S8_S8_S8_S8_S8_S8_EEEEPS9_S9_NSD_9__find_if7functorIS9_EEEE10hipError_tPvRmT1_T2_T3_mT4_P12ihipStream_tbEUlT_E1_NS1_11comp_targetILNS1_3genE9ELNS1_11target_archE1100ELNS1_3gpuE3ELNS1_3repE0EEENS1_30default_config_static_selectorELNS0_4arch9wavefront6targetE0EEEvS16_
		.amdhsa_group_segment_fixed_size 640
		.amdhsa_private_segment_fixed_size 0
		.amdhsa_kernarg_size 88
		.amdhsa_user_sgpr_count 15
		.amdhsa_user_sgpr_dispatch_ptr 0
		.amdhsa_user_sgpr_queue_ptr 0
		.amdhsa_user_sgpr_kernarg_segment_ptr 1
		.amdhsa_user_sgpr_dispatch_id 0
		.amdhsa_user_sgpr_private_segment_size 0
		.amdhsa_wavefront_size32 1
		.amdhsa_uses_dynamic_stack 0
		.amdhsa_enable_private_segment 0
		.amdhsa_system_sgpr_workgroup_id_x 1
		.amdhsa_system_sgpr_workgroup_id_y 0
		.amdhsa_system_sgpr_workgroup_id_z 0
		.amdhsa_system_sgpr_workgroup_info 0
		.amdhsa_system_vgpr_workitem_id 0
		.amdhsa_next_free_vgpr 35
		.amdhsa_next_free_sgpr 31
		.amdhsa_reserve_vcc 1
		.amdhsa_float_round_mode_32 0
		.amdhsa_float_round_mode_16_64 0
		.amdhsa_float_denorm_mode_32 3
		.amdhsa_float_denorm_mode_16_64 3
		.amdhsa_dx10_clamp 1
		.amdhsa_ieee_mode 1
		.amdhsa_fp16_overflow 0
		.amdhsa_workgroup_processor_mode 1
		.amdhsa_memory_ordered 1
		.amdhsa_forward_progress 0
		.amdhsa_shared_vgpr_count 0
		.amdhsa_exception_fp_ieee_invalid_op 0
		.amdhsa_exception_fp_denorm_src 0
		.amdhsa_exception_fp_ieee_div_zero 0
		.amdhsa_exception_fp_ieee_overflow 0
		.amdhsa_exception_fp_ieee_underflow 0
		.amdhsa_exception_fp_ieee_inexact 0
		.amdhsa_exception_int_div_zero 0
	.end_amdhsa_kernel
	.section	.text._ZN7rocprim17ROCPRIM_400000_NS6detail17trampoline_kernelINS0_14default_configENS1_22reduce_config_selectorIN6thrust23THRUST_200600_302600_NS5tupleIblNS6_9null_typeES8_S8_S8_S8_S8_S8_S8_EEEEZNS1_11reduce_implILb1ES3_NS6_12zip_iteratorINS7_INS6_11hip_rocprim26transform_input_iterator_tIbNSD_35transform_pair_of_input_iterators_tIbNS6_6detail15normal_iteratorINS6_10device_ptrIlEEEENS6_17counting_iteratorIlNS6_11use_defaultESM_SM_EENS6_8equal_toIlEEEENSG_9not_fun_tINSD_8identityEEEEENSD_19counting_iterator_tIlEES8_S8_S8_S8_S8_S8_S8_S8_EEEEPS9_S9_NSD_9__find_if7functorIS9_EEEE10hipError_tPvRmT1_T2_T3_mT4_P12ihipStream_tbEUlT_E1_NS1_11comp_targetILNS1_3genE9ELNS1_11target_archE1100ELNS1_3gpuE3ELNS1_3repE0EEENS1_30default_config_static_selectorELNS0_4arch9wavefront6targetE0EEEvS16_,"axG",@progbits,_ZN7rocprim17ROCPRIM_400000_NS6detail17trampoline_kernelINS0_14default_configENS1_22reduce_config_selectorIN6thrust23THRUST_200600_302600_NS5tupleIblNS6_9null_typeES8_S8_S8_S8_S8_S8_S8_EEEEZNS1_11reduce_implILb1ES3_NS6_12zip_iteratorINS7_INS6_11hip_rocprim26transform_input_iterator_tIbNSD_35transform_pair_of_input_iterators_tIbNS6_6detail15normal_iteratorINS6_10device_ptrIlEEEENS6_17counting_iteratorIlNS6_11use_defaultESM_SM_EENS6_8equal_toIlEEEENSG_9not_fun_tINSD_8identityEEEEENSD_19counting_iterator_tIlEES8_S8_S8_S8_S8_S8_S8_S8_EEEEPS9_S9_NSD_9__find_if7functorIS9_EEEE10hipError_tPvRmT1_T2_T3_mT4_P12ihipStream_tbEUlT_E1_NS1_11comp_targetILNS1_3genE9ELNS1_11target_archE1100ELNS1_3gpuE3ELNS1_3repE0EEENS1_30default_config_static_selectorELNS0_4arch9wavefront6targetE0EEEvS16_,comdat
.Lfunc_end1205:
	.size	_ZN7rocprim17ROCPRIM_400000_NS6detail17trampoline_kernelINS0_14default_configENS1_22reduce_config_selectorIN6thrust23THRUST_200600_302600_NS5tupleIblNS6_9null_typeES8_S8_S8_S8_S8_S8_S8_EEEEZNS1_11reduce_implILb1ES3_NS6_12zip_iteratorINS7_INS6_11hip_rocprim26transform_input_iterator_tIbNSD_35transform_pair_of_input_iterators_tIbNS6_6detail15normal_iteratorINS6_10device_ptrIlEEEENS6_17counting_iteratorIlNS6_11use_defaultESM_SM_EENS6_8equal_toIlEEEENSG_9not_fun_tINSD_8identityEEEEENSD_19counting_iterator_tIlEES8_S8_S8_S8_S8_S8_S8_S8_EEEEPS9_S9_NSD_9__find_if7functorIS9_EEEE10hipError_tPvRmT1_T2_T3_mT4_P12ihipStream_tbEUlT_E1_NS1_11comp_targetILNS1_3genE9ELNS1_11target_archE1100ELNS1_3gpuE3ELNS1_3repE0EEENS1_30default_config_static_selectorELNS0_4arch9wavefront6targetE0EEEvS16_, .Lfunc_end1205-_ZN7rocprim17ROCPRIM_400000_NS6detail17trampoline_kernelINS0_14default_configENS1_22reduce_config_selectorIN6thrust23THRUST_200600_302600_NS5tupleIblNS6_9null_typeES8_S8_S8_S8_S8_S8_S8_EEEEZNS1_11reduce_implILb1ES3_NS6_12zip_iteratorINS7_INS6_11hip_rocprim26transform_input_iterator_tIbNSD_35transform_pair_of_input_iterators_tIbNS6_6detail15normal_iteratorINS6_10device_ptrIlEEEENS6_17counting_iteratorIlNS6_11use_defaultESM_SM_EENS6_8equal_toIlEEEENSG_9not_fun_tINSD_8identityEEEEENSD_19counting_iterator_tIlEES8_S8_S8_S8_S8_S8_S8_S8_EEEEPS9_S9_NSD_9__find_if7functorIS9_EEEE10hipError_tPvRmT1_T2_T3_mT4_P12ihipStream_tbEUlT_E1_NS1_11comp_targetILNS1_3genE9ELNS1_11target_archE1100ELNS1_3gpuE3ELNS1_3repE0EEENS1_30default_config_static_selectorELNS0_4arch9wavefront6targetE0EEEvS16_
                                        ; -- End function
	.section	.AMDGPU.csdata,"",@progbits
; Kernel info:
; codeLenInByte = 16084
; NumSgprs: 33
; NumVgprs: 35
; ScratchSize: 0
; MemoryBound: 0
; FloatMode: 240
; IeeeMode: 1
; LDSByteSize: 640 bytes/workgroup (compile time only)
; SGPRBlocks: 4
; VGPRBlocks: 4
; NumSGPRsForWavesPerEU: 33
; NumVGPRsForWavesPerEU: 35
; Occupancy: 16
; WaveLimiterHint : 1
; COMPUTE_PGM_RSRC2:SCRATCH_EN: 0
; COMPUTE_PGM_RSRC2:USER_SGPR: 15
; COMPUTE_PGM_RSRC2:TRAP_HANDLER: 0
; COMPUTE_PGM_RSRC2:TGID_X_EN: 1
; COMPUTE_PGM_RSRC2:TGID_Y_EN: 0
; COMPUTE_PGM_RSRC2:TGID_Z_EN: 0
; COMPUTE_PGM_RSRC2:TIDIG_COMP_CNT: 0
	.section	.text._ZN7rocprim17ROCPRIM_400000_NS6detail17trampoline_kernelINS0_14default_configENS1_22reduce_config_selectorIN6thrust23THRUST_200600_302600_NS5tupleIblNS6_9null_typeES8_S8_S8_S8_S8_S8_S8_EEEEZNS1_11reduce_implILb1ES3_NS6_12zip_iteratorINS7_INS6_11hip_rocprim26transform_input_iterator_tIbNSD_35transform_pair_of_input_iterators_tIbNS6_6detail15normal_iteratorINS6_10device_ptrIlEEEENS6_17counting_iteratorIlNS6_11use_defaultESM_SM_EENS6_8equal_toIlEEEENSG_9not_fun_tINSD_8identityEEEEENSD_19counting_iterator_tIlEES8_S8_S8_S8_S8_S8_S8_S8_EEEEPS9_S9_NSD_9__find_if7functorIS9_EEEE10hipError_tPvRmT1_T2_T3_mT4_P12ihipStream_tbEUlT_E1_NS1_11comp_targetILNS1_3genE8ELNS1_11target_archE1030ELNS1_3gpuE2ELNS1_3repE0EEENS1_30default_config_static_selectorELNS0_4arch9wavefront6targetE0EEEvS16_,"axG",@progbits,_ZN7rocprim17ROCPRIM_400000_NS6detail17trampoline_kernelINS0_14default_configENS1_22reduce_config_selectorIN6thrust23THRUST_200600_302600_NS5tupleIblNS6_9null_typeES8_S8_S8_S8_S8_S8_S8_EEEEZNS1_11reduce_implILb1ES3_NS6_12zip_iteratorINS7_INS6_11hip_rocprim26transform_input_iterator_tIbNSD_35transform_pair_of_input_iterators_tIbNS6_6detail15normal_iteratorINS6_10device_ptrIlEEEENS6_17counting_iteratorIlNS6_11use_defaultESM_SM_EENS6_8equal_toIlEEEENSG_9not_fun_tINSD_8identityEEEEENSD_19counting_iterator_tIlEES8_S8_S8_S8_S8_S8_S8_S8_EEEEPS9_S9_NSD_9__find_if7functorIS9_EEEE10hipError_tPvRmT1_T2_T3_mT4_P12ihipStream_tbEUlT_E1_NS1_11comp_targetILNS1_3genE8ELNS1_11target_archE1030ELNS1_3gpuE2ELNS1_3repE0EEENS1_30default_config_static_selectorELNS0_4arch9wavefront6targetE0EEEvS16_,comdat
	.protected	_ZN7rocprim17ROCPRIM_400000_NS6detail17trampoline_kernelINS0_14default_configENS1_22reduce_config_selectorIN6thrust23THRUST_200600_302600_NS5tupleIblNS6_9null_typeES8_S8_S8_S8_S8_S8_S8_EEEEZNS1_11reduce_implILb1ES3_NS6_12zip_iteratorINS7_INS6_11hip_rocprim26transform_input_iterator_tIbNSD_35transform_pair_of_input_iterators_tIbNS6_6detail15normal_iteratorINS6_10device_ptrIlEEEENS6_17counting_iteratorIlNS6_11use_defaultESM_SM_EENS6_8equal_toIlEEEENSG_9not_fun_tINSD_8identityEEEEENSD_19counting_iterator_tIlEES8_S8_S8_S8_S8_S8_S8_S8_EEEEPS9_S9_NSD_9__find_if7functorIS9_EEEE10hipError_tPvRmT1_T2_T3_mT4_P12ihipStream_tbEUlT_E1_NS1_11comp_targetILNS1_3genE8ELNS1_11target_archE1030ELNS1_3gpuE2ELNS1_3repE0EEENS1_30default_config_static_selectorELNS0_4arch9wavefront6targetE0EEEvS16_ ; -- Begin function _ZN7rocprim17ROCPRIM_400000_NS6detail17trampoline_kernelINS0_14default_configENS1_22reduce_config_selectorIN6thrust23THRUST_200600_302600_NS5tupleIblNS6_9null_typeES8_S8_S8_S8_S8_S8_S8_EEEEZNS1_11reduce_implILb1ES3_NS6_12zip_iteratorINS7_INS6_11hip_rocprim26transform_input_iterator_tIbNSD_35transform_pair_of_input_iterators_tIbNS6_6detail15normal_iteratorINS6_10device_ptrIlEEEENS6_17counting_iteratorIlNS6_11use_defaultESM_SM_EENS6_8equal_toIlEEEENSG_9not_fun_tINSD_8identityEEEEENSD_19counting_iterator_tIlEES8_S8_S8_S8_S8_S8_S8_S8_EEEEPS9_S9_NSD_9__find_if7functorIS9_EEEE10hipError_tPvRmT1_T2_T3_mT4_P12ihipStream_tbEUlT_E1_NS1_11comp_targetILNS1_3genE8ELNS1_11target_archE1030ELNS1_3gpuE2ELNS1_3repE0EEENS1_30default_config_static_selectorELNS0_4arch9wavefront6targetE0EEEvS16_
	.globl	_ZN7rocprim17ROCPRIM_400000_NS6detail17trampoline_kernelINS0_14default_configENS1_22reduce_config_selectorIN6thrust23THRUST_200600_302600_NS5tupleIblNS6_9null_typeES8_S8_S8_S8_S8_S8_S8_EEEEZNS1_11reduce_implILb1ES3_NS6_12zip_iteratorINS7_INS6_11hip_rocprim26transform_input_iterator_tIbNSD_35transform_pair_of_input_iterators_tIbNS6_6detail15normal_iteratorINS6_10device_ptrIlEEEENS6_17counting_iteratorIlNS6_11use_defaultESM_SM_EENS6_8equal_toIlEEEENSG_9not_fun_tINSD_8identityEEEEENSD_19counting_iterator_tIlEES8_S8_S8_S8_S8_S8_S8_S8_EEEEPS9_S9_NSD_9__find_if7functorIS9_EEEE10hipError_tPvRmT1_T2_T3_mT4_P12ihipStream_tbEUlT_E1_NS1_11comp_targetILNS1_3genE8ELNS1_11target_archE1030ELNS1_3gpuE2ELNS1_3repE0EEENS1_30default_config_static_selectorELNS0_4arch9wavefront6targetE0EEEvS16_
	.p2align	8
	.type	_ZN7rocprim17ROCPRIM_400000_NS6detail17trampoline_kernelINS0_14default_configENS1_22reduce_config_selectorIN6thrust23THRUST_200600_302600_NS5tupleIblNS6_9null_typeES8_S8_S8_S8_S8_S8_S8_EEEEZNS1_11reduce_implILb1ES3_NS6_12zip_iteratorINS7_INS6_11hip_rocprim26transform_input_iterator_tIbNSD_35transform_pair_of_input_iterators_tIbNS6_6detail15normal_iteratorINS6_10device_ptrIlEEEENS6_17counting_iteratorIlNS6_11use_defaultESM_SM_EENS6_8equal_toIlEEEENSG_9not_fun_tINSD_8identityEEEEENSD_19counting_iterator_tIlEES8_S8_S8_S8_S8_S8_S8_S8_EEEEPS9_S9_NSD_9__find_if7functorIS9_EEEE10hipError_tPvRmT1_T2_T3_mT4_P12ihipStream_tbEUlT_E1_NS1_11comp_targetILNS1_3genE8ELNS1_11target_archE1030ELNS1_3gpuE2ELNS1_3repE0EEENS1_30default_config_static_selectorELNS0_4arch9wavefront6targetE0EEEvS16_,@function
_ZN7rocprim17ROCPRIM_400000_NS6detail17trampoline_kernelINS0_14default_configENS1_22reduce_config_selectorIN6thrust23THRUST_200600_302600_NS5tupleIblNS6_9null_typeES8_S8_S8_S8_S8_S8_S8_EEEEZNS1_11reduce_implILb1ES3_NS6_12zip_iteratorINS7_INS6_11hip_rocprim26transform_input_iterator_tIbNSD_35transform_pair_of_input_iterators_tIbNS6_6detail15normal_iteratorINS6_10device_ptrIlEEEENS6_17counting_iteratorIlNS6_11use_defaultESM_SM_EENS6_8equal_toIlEEEENSG_9not_fun_tINSD_8identityEEEEENSD_19counting_iterator_tIlEES8_S8_S8_S8_S8_S8_S8_S8_EEEEPS9_S9_NSD_9__find_if7functorIS9_EEEE10hipError_tPvRmT1_T2_T3_mT4_P12ihipStream_tbEUlT_E1_NS1_11comp_targetILNS1_3genE8ELNS1_11target_archE1030ELNS1_3gpuE2ELNS1_3repE0EEENS1_30default_config_static_selectorELNS0_4arch9wavefront6targetE0EEEvS16_: ; @_ZN7rocprim17ROCPRIM_400000_NS6detail17trampoline_kernelINS0_14default_configENS1_22reduce_config_selectorIN6thrust23THRUST_200600_302600_NS5tupleIblNS6_9null_typeES8_S8_S8_S8_S8_S8_S8_EEEEZNS1_11reduce_implILb1ES3_NS6_12zip_iteratorINS7_INS6_11hip_rocprim26transform_input_iterator_tIbNSD_35transform_pair_of_input_iterators_tIbNS6_6detail15normal_iteratorINS6_10device_ptrIlEEEENS6_17counting_iteratorIlNS6_11use_defaultESM_SM_EENS6_8equal_toIlEEEENSG_9not_fun_tINSD_8identityEEEEENSD_19counting_iterator_tIlEES8_S8_S8_S8_S8_S8_S8_S8_EEEEPS9_S9_NSD_9__find_if7functorIS9_EEEE10hipError_tPvRmT1_T2_T3_mT4_P12ihipStream_tbEUlT_E1_NS1_11comp_targetILNS1_3genE8ELNS1_11target_archE1030ELNS1_3gpuE2ELNS1_3repE0EEENS1_30default_config_static_selectorELNS0_4arch9wavefront6targetE0EEEvS16_
; %bb.0:
	.section	.rodata,"a",@progbits
	.p2align	6, 0x0
	.amdhsa_kernel _ZN7rocprim17ROCPRIM_400000_NS6detail17trampoline_kernelINS0_14default_configENS1_22reduce_config_selectorIN6thrust23THRUST_200600_302600_NS5tupleIblNS6_9null_typeES8_S8_S8_S8_S8_S8_S8_EEEEZNS1_11reduce_implILb1ES3_NS6_12zip_iteratorINS7_INS6_11hip_rocprim26transform_input_iterator_tIbNSD_35transform_pair_of_input_iterators_tIbNS6_6detail15normal_iteratorINS6_10device_ptrIlEEEENS6_17counting_iteratorIlNS6_11use_defaultESM_SM_EENS6_8equal_toIlEEEENSG_9not_fun_tINSD_8identityEEEEENSD_19counting_iterator_tIlEES8_S8_S8_S8_S8_S8_S8_S8_EEEEPS9_S9_NSD_9__find_if7functorIS9_EEEE10hipError_tPvRmT1_T2_T3_mT4_P12ihipStream_tbEUlT_E1_NS1_11comp_targetILNS1_3genE8ELNS1_11target_archE1030ELNS1_3gpuE2ELNS1_3repE0EEENS1_30default_config_static_selectorELNS0_4arch9wavefront6targetE0EEEvS16_
		.amdhsa_group_segment_fixed_size 0
		.amdhsa_private_segment_fixed_size 0
		.amdhsa_kernarg_size 88
		.amdhsa_user_sgpr_count 15
		.amdhsa_user_sgpr_dispatch_ptr 0
		.amdhsa_user_sgpr_queue_ptr 0
		.amdhsa_user_sgpr_kernarg_segment_ptr 1
		.amdhsa_user_sgpr_dispatch_id 0
		.amdhsa_user_sgpr_private_segment_size 0
		.amdhsa_wavefront_size32 1
		.amdhsa_uses_dynamic_stack 0
		.amdhsa_enable_private_segment 0
		.amdhsa_system_sgpr_workgroup_id_x 1
		.amdhsa_system_sgpr_workgroup_id_y 0
		.amdhsa_system_sgpr_workgroup_id_z 0
		.amdhsa_system_sgpr_workgroup_info 0
		.amdhsa_system_vgpr_workitem_id 0
		.amdhsa_next_free_vgpr 1
		.amdhsa_next_free_sgpr 1
		.amdhsa_reserve_vcc 0
		.amdhsa_float_round_mode_32 0
		.amdhsa_float_round_mode_16_64 0
		.amdhsa_float_denorm_mode_32 3
		.amdhsa_float_denorm_mode_16_64 3
		.amdhsa_dx10_clamp 1
		.amdhsa_ieee_mode 1
		.amdhsa_fp16_overflow 0
		.amdhsa_workgroup_processor_mode 1
		.amdhsa_memory_ordered 1
		.amdhsa_forward_progress 0
		.amdhsa_shared_vgpr_count 0
		.amdhsa_exception_fp_ieee_invalid_op 0
		.amdhsa_exception_fp_denorm_src 0
		.amdhsa_exception_fp_ieee_div_zero 0
		.amdhsa_exception_fp_ieee_overflow 0
		.amdhsa_exception_fp_ieee_underflow 0
		.amdhsa_exception_fp_ieee_inexact 0
		.amdhsa_exception_int_div_zero 0
	.end_amdhsa_kernel
	.section	.text._ZN7rocprim17ROCPRIM_400000_NS6detail17trampoline_kernelINS0_14default_configENS1_22reduce_config_selectorIN6thrust23THRUST_200600_302600_NS5tupleIblNS6_9null_typeES8_S8_S8_S8_S8_S8_S8_EEEEZNS1_11reduce_implILb1ES3_NS6_12zip_iteratorINS7_INS6_11hip_rocprim26transform_input_iterator_tIbNSD_35transform_pair_of_input_iterators_tIbNS6_6detail15normal_iteratorINS6_10device_ptrIlEEEENS6_17counting_iteratorIlNS6_11use_defaultESM_SM_EENS6_8equal_toIlEEEENSG_9not_fun_tINSD_8identityEEEEENSD_19counting_iterator_tIlEES8_S8_S8_S8_S8_S8_S8_S8_EEEEPS9_S9_NSD_9__find_if7functorIS9_EEEE10hipError_tPvRmT1_T2_T3_mT4_P12ihipStream_tbEUlT_E1_NS1_11comp_targetILNS1_3genE8ELNS1_11target_archE1030ELNS1_3gpuE2ELNS1_3repE0EEENS1_30default_config_static_selectorELNS0_4arch9wavefront6targetE0EEEvS16_,"axG",@progbits,_ZN7rocprim17ROCPRIM_400000_NS6detail17trampoline_kernelINS0_14default_configENS1_22reduce_config_selectorIN6thrust23THRUST_200600_302600_NS5tupleIblNS6_9null_typeES8_S8_S8_S8_S8_S8_S8_EEEEZNS1_11reduce_implILb1ES3_NS6_12zip_iteratorINS7_INS6_11hip_rocprim26transform_input_iterator_tIbNSD_35transform_pair_of_input_iterators_tIbNS6_6detail15normal_iteratorINS6_10device_ptrIlEEEENS6_17counting_iteratorIlNS6_11use_defaultESM_SM_EENS6_8equal_toIlEEEENSG_9not_fun_tINSD_8identityEEEEENSD_19counting_iterator_tIlEES8_S8_S8_S8_S8_S8_S8_S8_EEEEPS9_S9_NSD_9__find_if7functorIS9_EEEE10hipError_tPvRmT1_T2_T3_mT4_P12ihipStream_tbEUlT_E1_NS1_11comp_targetILNS1_3genE8ELNS1_11target_archE1030ELNS1_3gpuE2ELNS1_3repE0EEENS1_30default_config_static_selectorELNS0_4arch9wavefront6targetE0EEEvS16_,comdat
.Lfunc_end1206:
	.size	_ZN7rocprim17ROCPRIM_400000_NS6detail17trampoline_kernelINS0_14default_configENS1_22reduce_config_selectorIN6thrust23THRUST_200600_302600_NS5tupleIblNS6_9null_typeES8_S8_S8_S8_S8_S8_S8_EEEEZNS1_11reduce_implILb1ES3_NS6_12zip_iteratorINS7_INS6_11hip_rocprim26transform_input_iterator_tIbNSD_35transform_pair_of_input_iterators_tIbNS6_6detail15normal_iteratorINS6_10device_ptrIlEEEENS6_17counting_iteratorIlNS6_11use_defaultESM_SM_EENS6_8equal_toIlEEEENSG_9not_fun_tINSD_8identityEEEEENSD_19counting_iterator_tIlEES8_S8_S8_S8_S8_S8_S8_S8_EEEEPS9_S9_NSD_9__find_if7functorIS9_EEEE10hipError_tPvRmT1_T2_T3_mT4_P12ihipStream_tbEUlT_E1_NS1_11comp_targetILNS1_3genE8ELNS1_11target_archE1030ELNS1_3gpuE2ELNS1_3repE0EEENS1_30default_config_static_selectorELNS0_4arch9wavefront6targetE0EEEvS16_, .Lfunc_end1206-_ZN7rocprim17ROCPRIM_400000_NS6detail17trampoline_kernelINS0_14default_configENS1_22reduce_config_selectorIN6thrust23THRUST_200600_302600_NS5tupleIblNS6_9null_typeES8_S8_S8_S8_S8_S8_S8_EEEEZNS1_11reduce_implILb1ES3_NS6_12zip_iteratorINS7_INS6_11hip_rocprim26transform_input_iterator_tIbNSD_35transform_pair_of_input_iterators_tIbNS6_6detail15normal_iteratorINS6_10device_ptrIlEEEENS6_17counting_iteratorIlNS6_11use_defaultESM_SM_EENS6_8equal_toIlEEEENSG_9not_fun_tINSD_8identityEEEEENSD_19counting_iterator_tIlEES8_S8_S8_S8_S8_S8_S8_S8_EEEEPS9_S9_NSD_9__find_if7functorIS9_EEEE10hipError_tPvRmT1_T2_T3_mT4_P12ihipStream_tbEUlT_E1_NS1_11comp_targetILNS1_3genE8ELNS1_11target_archE1030ELNS1_3gpuE2ELNS1_3repE0EEENS1_30default_config_static_selectorELNS0_4arch9wavefront6targetE0EEEvS16_
                                        ; -- End function
	.section	.AMDGPU.csdata,"",@progbits
; Kernel info:
; codeLenInByte = 0
; NumSgprs: 0
; NumVgprs: 0
; ScratchSize: 0
; MemoryBound: 0
; FloatMode: 240
; IeeeMode: 1
; LDSByteSize: 0 bytes/workgroup (compile time only)
; SGPRBlocks: 0
; VGPRBlocks: 0
; NumSGPRsForWavesPerEU: 1
; NumVGPRsForWavesPerEU: 1
; Occupancy: 16
; WaveLimiterHint : 0
; COMPUTE_PGM_RSRC2:SCRATCH_EN: 0
; COMPUTE_PGM_RSRC2:USER_SGPR: 15
; COMPUTE_PGM_RSRC2:TRAP_HANDLER: 0
; COMPUTE_PGM_RSRC2:TGID_X_EN: 1
; COMPUTE_PGM_RSRC2:TGID_Y_EN: 0
; COMPUTE_PGM_RSRC2:TGID_Z_EN: 0
; COMPUTE_PGM_RSRC2:TIDIG_COMP_CNT: 0
	.section	.text._ZN6thrust23THRUST_200600_302600_NS11hip_rocprim14__parallel_for6kernelILj256ENS1_10for_each_fINS0_7pointerINS0_5tupleIblNS0_9null_typeES7_S7_S7_S7_S7_S7_S7_EENS1_3tagENS0_11use_defaultESA_EENS0_6detail16wrapped_functionINSC_23allocator_traits_detail24construct1_via_allocatorINSC_18no_throw_allocatorINSC_19temporary_allocatorIS8_S9_EEEEEEvEEEEmLj1EEEvT0_T1_SO_,"axG",@progbits,_ZN6thrust23THRUST_200600_302600_NS11hip_rocprim14__parallel_for6kernelILj256ENS1_10for_each_fINS0_7pointerINS0_5tupleIblNS0_9null_typeES7_S7_S7_S7_S7_S7_S7_EENS1_3tagENS0_11use_defaultESA_EENS0_6detail16wrapped_functionINSC_23allocator_traits_detail24construct1_via_allocatorINSC_18no_throw_allocatorINSC_19temporary_allocatorIS8_S9_EEEEEEvEEEEmLj1EEEvT0_T1_SO_,comdat
	.protected	_ZN6thrust23THRUST_200600_302600_NS11hip_rocprim14__parallel_for6kernelILj256ENS1_10for_each_fINS0_7pointerINS0_5tupleIblNS0_9null_typeES7_S7_S7_S7_S7_S7_S7_EENS1_3tagENS0_11use_defaultESA_EENS0_6detail16wrapped_functionINSC_23allocator_traits_detail24construct1_via_allocatorINSC_18no_throw_allocatorINSC_19temporary_allocatorIS8_S9_EEEEEEvEEEEmLj1EEEvT0_T1_SO_ ; -- Begin function _ZN6thrust23THRUST_200600_302600_NS11hip_rocprim14__parallel_for6kernelILj256ENS1_10for_each_fINS0_7pointerINS0_5tupleIblNS0_9null_typeES7_S7_S7_S7_S7_S7_S7_EENS1_3tagENS0_11use_defaultESA_EENS0_6detail16wrapped_functionINSC_23allocator_traits_detail24construct1_via_allocatorINSC_18no_throw_allocatorINSC_19temporary_allocatorIS8_S9_EEEEEEvEEEEmLj1EEEvT0_T1_SO_
	.globl	_ZN6thrust23THRUST_200600_302600_NS11hip_rocprim14__parallel_for6kernelILj256ENS1_10for_each_fINS0_7pointerINS0_5tupleIblNS0_9null_typeES7_S7_S7_S7_S7_S7_S7_EENS1_3tagENS0_11use_defaultESA_EENS0_6detail16wrapped_functionINSC_23allocator_traits_detail24construct1_via_allocatorINSC_18no_throw_allocatorINSC_19temporary_allocatorIS8_S9_EEEEEEvEEEEmLj1EEEvT0_T1_SO_
	.p2align	8
	.type	_ZN6thrust23THRUST_200600_302600_NS11hip_rocprim14__parallel_for6kernelILj256ENS1_10for_each_fINS0_7pointerINS0_5tupleIblNS0_9null_typeES7_S7_S7_S7_S7_S7_S7_EENS1_3tagENS0_11use_defaultESA_EENS0_6detail16wrapped_functionINSC_23allocator_traits_detail24construct1_via_allocatorINSC_18no_throw_allocatorINSC_19temporary_allocatorIS8_S9_EEEEEEvEEEEmLj1EEEvT0_T1_SO_,@function
_ZN6thrust23THRUST_200600_302600_NS11hip_rocprim14__parallel_for6kernelILj256ENS1_10for_each_fINS0_7pointerINS0_5tupleIblNS0_9null_typeES7_S7_S7_S7_S7_S7_S7_EENS1_3tagENS0_11use_defaultESA_EENS0_6detail16wrapped_functionINSC_23allocator_traits_detail24construct1_via_allocatorINSC_18no_throw_allocatorINSC_19temporary_allocatorIS8_S9_EEEEEEvEEEEmLj1EEEvT0_T1_SO_: ; @_ZN6thrust23THRUST_200600_302600_NS11hip_rocprim14__parallel_for6kernelILj256ENS1_10for_each_fINS0_7pointerINS0_5tupleIblNS0_9null_typeES7_S7_S7_S7_S7_S7_S7_EENS1_3tagENS0_11use_defaultESA_EENS0_6detail16wrapped_functionINSC_23allocator_traits_detail24construct1_via_allocatorINSC_18no_throw_allocatorINSC_19temporary_allocatorIS8_S9_EEEEEEvEEEEmLj1EEEvT0_T1_SO_
; %bb.0:
	s_clause 0x1
	s_load_b128 s[4:7], s[0:1], 0x10
	s_load_b64 s[0:1], s[0:1], 0x0
	s_lshl_b32 s2, s15, 8
	s_waitcnt lgkmcnt(0)
	s_add_u32 s2, s2, s6
	s_addc_u32 s3, 0, s7
	s_sub_u32 s4, s4, s2
	s_subb_u32 s5, s5, s3
	s_delay_alu instid0(SALU_CYCLE_1) | instskip(NEXT) | instid1(VALU_DEP_1)
	v_cmp_gt_u64_e64 s5, 0x100, s[4:5]
	s_and_b32 vcc_lo, exec_lo, s5
	s_mov_b32 s5, 0
	s_cbranch_vccz .LBB1207_4
; %bb.1:
	v_cmp_gt_u32_e32 vcc_lo, s4, v0
	s_mov_b32 s4, 0
                                        ; implicit-def: $vgpr1_vgpr2
	s_and_saveexec_b32 s6, vcc_lo
	s_delay_alu instid0(SALU_CYCLE_1)
	s_xor_b32 s6, exec_lo, s6
; %bb.2:
	v_lshlrev_b32_e32 v1, 4, v0
	s_lshl_b64 s[8:9], s[2:3], 4
	s_mov_b32 s5, exec_lo
	s_add_u32 s7, s0, s8
	s_addc_u32 s8, s1, s9
	v_add_co_u32 v1, s7, s7, v1
	s_delay_alu instid0(VALU_DEP_1)
	v_add_co_ci_u32_e64 v2, null, s8, 0, s7
; %bb.3:
	s_or_b32 exec_lo, exec_lo, s6
	s_delay_alu instid0(SALU_CYCLE_1)
	s_and_b32 vcc_lo, exec_lo, s4
	s_cbranch_vccnz .LBB1207_5
	s_branch .LBB1207_6
.LBB1207_4:
                                        ; implicit-def: $vgpr1_vgpr2
	s_cbranch_execz .LBB1207_6
.LBB1207_5:
	v_lshlrev_b32_e32 v0, 4, v0
	s_lshl_b64 s[2:3], s[2:3], 4
	s_delay_alu instid0(SALU_CYCLE_1) | instskip(SKIP_1) | instid1(VALU_DEP_1)
	s_add_u32 s0, s0, s2
	s_addc_u32 s1, s1, s3
	v_add_co_u32 v1, s0, s0, v0
	s_delay_alu instid0(VALU_DEP_1)
	v_add_co_ci_u32_e64 v2, null, s1, 0, s0
	s_or_b32 s5, s5, exec_lo
.LBB1207_6:
	s_delay_alu instid0(SALU_CYCLE_1)
	s_and_saveexec_b32 s0, s5
	s_cbranch_execnz .LBB1207_8
; %bb.7:
	s_endpgm
.LBB1207_8:
	v_mov_b32_e32 v3, 0
	s_delay_alu instid0(VALU_DEP_1)
	v_mov_b32_e32 v4, v3
	s_clause 0x1
	flat_store_b8 v[1:2], v3
	flat_store_b64 v[1:2], v[3:4] offset:8
	s_endpgm
	.section	.rodata,"a",@progbits
	.p2align	6, 0x0
	.amdhsa_kernel _ZN6thrust23THRUST_200600_302600_NS11hip_rocprim14__parallel_for6kernelILj256ENS1_10for_each_fINS0_7pointerINS0_5tupleIblNS0_9null_typeES7_S7_S7_S7_S7_S7_S7_EENS1_3tagENS0_11use_defaultESA_EENS0_6detail16wrapped_functionINSC_23allocator_traits_detail24construct1_via_allocatorINSC_18no_throw_allocatorINSC_19temporary_allocatorIS8_S9_EEEEEEvEEEEmLj1EEEvT0_T1_SO_
		.amdhsa_group_segment_fixed_size 0
		.amdhsa_private_segment_fixed_size 0
		.amdhsa_kernarg_size 32
		.amdhsa_user_sgpr_count 15
		.amdhsa_user_sgpr_dispatch_ptr 0
		.amdhsa_user_sgpr_queue_ptr 0
		.amdhsa_user_sgpr_kernarg_segment_ptr 1
		.amdhsa_user_sgpr_dispatch_id 0
		.amdhsa_user_sgpr_private_segment_size 0
		.amdhsa_wavefront_size32 1
		.amdhsa_uses_dynamic_stack 0
		.amdhsa_enable_private_segment 0
		.amdhsa_system_sgpr_workgroup_id_x 1
		.amdhsa_system_sgpr_workgroup_id_y 0
		.amdhsa_system_sgpr_workgroup_id_z 0
		.amdhsa_system_sgpr_workgroup_info 0
		.amdhsa_system_vgpr_workitem_id 0
		.amdhsa_next_free_vgpr 5
		.amdhsa_next_free_sgpr 16
		.amdhsa_reserve_vcc 1
		.amdhsa_float_round_mode_32 0
		.amdhsa_float_round_mode_16_64 0
		.amdhsa_float_denorm_mode_32 3
		.amdhsa_float_denorm_mode_16_64 3
		.amdhsa_dx10_clamp 1
		.amdhsa_ieee_mode 1
		.amdhsa_fp16_overflow 0
		.amdhsa_workgroup_processor_mode 1
		.amdhsa_memory_ordered 1
		.amdhsa_forward_progress 0
		.amdhsa_shared_vgpr_count 0
		.amdhsa_exception_fp_ieee_invalid_op 0
		.amdhsa_exception_fp_denorm_src 0
		.amdhsa_exception_fp_ieee_div_zero 0
		.amdhsa_exception_fp_ieee_overflow 0
		.amdhsa_exception_fp_ieee_underflow 0
		.amdhsa_exception_fp_ieee_inexact 0
		.amdhsa_exception_int_div_zero 0
	.end_amdhsa_kernel
	.section	.text._ZN6thrust23THRUST_200600_302600_NS11hip_rocprim14__parallel_for6kernelILj256ENS1_10for_each_fINS0_7pointerINS0_5tupleIblNS0_9null_typeES7_S7_S7_S7_S7_S7_S7_EENS1_3tagENS0_11use_defaultESA_EENS0_6detail16wrapped_functionINSC_23allocator_traits_detail24construct1_via_allocatorINSC_18no_throw_allocatorINSC_19temporary_allocatorIS8_S9_EEEEEEvEEEEmLj1EEEvT0_T1_SO_,"axG",@progbits,_ZN6thrust23THRUST_200600_302600_NS11hip_rocprim14__parallel_for6kernelILj256ENS1_10for_each_fINS0_7pointerINS0_5tupleIblNS0_9null_typeES7_S7_S7_S7_S7_S7_S7_EENS1_3tagENS0_11use_defaultESA_EENS0_6detail16wrapped_functionINSC_23allocator_traits_detail24construct1_via_allocatorINSC_18no_throw_allocatorINSC_19temporary_allocatorIS8_S9_EEEEEEvEEEEmLj1EEEvT0_T1_SO_,comdat
.Lfunc_end1207:
	.size	_ZN6thrust23THRUST_200600_302600_NS11hip_rocprim14__parallel_for6kernelILj256ENS1_10for_each_fINS0_7pointerINS0_5tupleIblNS0_9null_typeES7_S7_S7_S7_S7_S7_S7_EENS1_3tagENS0_11use_defaultESA_EENS0_6detail16wrapped_functionINSC_23allocator_traits_detail24construct1_via_allocatorINSC_18no_throw_allocatorINSC_19temporary_allocatorIS8_S9_EEEEEEvEEEEmLj1EEEvT0_T1_SO_, .Lfunc_end1207-_ZN6thrust23THRUST_200600_302600_NS11hip_rocprim14__parallel_for6kernelILj256ENS1_10for_each_fINS0_7pointerINS0_5tupleIblNS0_9null_typeES7_S7_S7_S7_S7_S7_S7_EENS1_3tagENS0_11use_defaultESA_EENS0_6detail16wrapped_functionINSC_23allocator_traits_detail24construct1_via_allocatorINSC_18no_throw_allocatorINSC_19temporary_allocatorIS8_S9_EEEEEEvEEEEmLj1EEEvT0_T1_SO_
                                        ; -- End function
	.section	.AMDGPU.csdata,"",@progbits
; Kernel info:
; codeLenInByte = 252
; NumSgprs: 18
; NumVgprs: 5
; ScratchSize: 0
; MemoryBound: 0
; FloatMode: 240
; IeeeMode: 1
; LDSByteSize: 0 bytes/workgroup (compile time only)
; SGPRBlocks: 2
; VGPRBlocks: 0
; NumSGPRsForWavesPerEU: 18
; NumVGPRsForWavesPerEU: 5
; Occupancy: 16
; WaveLimiterHint : 0
; COMPUTE_PGM_RSRC2:SCRATCH_EN: 0
; COMPUTE_PGM_RSRC2:USER_SGPR: 15
; COMPUTE_PGM_RSRC2:TRAP_HANDLER: 0
; COMPUTE_PGM_RSRC2:TGID_X_EN: 1
; COMPUTE_PGM_RSRC2:TGID_Y_EN: 0
; COMPUTE_PGM_RSRC2:TGID_Z_EN: 0
; COMPUTE_PGM_RSRC2:TIDIG_COMP_CNT: 0
	.section	.text._ZN6thrust23THRUST_200600_302600_NS11hip_rocprim14__parallel_for6kernelILj256ENS1_10for_each_fINS0_7pointerINS0_5tupleIblNS0_9null_typeES7_S7_S7_S7_S7_S7_S7_EENS1_3tagENS0_11use_defaultESA_EENS0_6detail16wrapped_functionINSC_23allocator_traits_detail5gozerEvEEEElLj1EEEvT0_T1_SJ_,"axG",@progbits,_ZN6thrust23THRUST_200600_302600_NS11hip_rocprim14__parallel_for6kernelILj256ENS1_10for_each_fINS0_7pointerINS0_5tupleIblNS0_9null_typeES7_S7_S7_S7_S7_S7_S7_EENS1_3tagENS0_11use_defaultESA_EENS0_6detail16wrapped_functionINSC_23allocator_traits_detail5gozerEvEEEElLj1EEEvT0_T1_SJ_,comdat
	.protected	_ZN6thrust23THRUST_200600_302600_NS11hip_rocprim14__parallel_for6kernelILj256ENS1_10for_each_fINS0_7pointerINS0_5tupleIblNS0_9null_typeES7_S7_S7_S7_S7_S7_S7_EENS1_3tagENS0_11use_defaultESA_EENS0_6detail16wrapped_functionINSC_23allocator_traits_detail5gozerEvEEEElLj1EEEvT0_T1_SJ_ ; -- Begin function _ZN6thrust23THRUST_200600_302600_NS11hip_rocprim14__parallel_for6kernelILj256ENS1_10for_each_fINS0_7pointerINS0_5tupleIblNS0_9null_typeES7_S7_S7_S7_S7_S7_S7_EENS1_3tagENS0_11use_defaultESA_EENS0_6detail16wrapped_functionINSC_23allocator_traits_detail5gozerEvEEEElLj1EEEvT0_T1_SJ_
	.globl	_ZN6thrust23THRUST_200600_302600_NS11hip_rocprim14__parallel_for6kernelILj256ENS1_10for_each_fINS0_7pointerINS0_5tupleIblNS0_9null_typeES7_S7_S7_S7_S7_S7_S7_EENS1_3tagENS0_11use_defaultESA_EENS0_6detail16wrapped_functionINSC_23allocator_traits_detail5gozerEvEEEElLj1EEEvT0_T1_SJ_
	.p2align	8
	.type	_ZN6thrust23THRUST_200600_302600_NS11hip_rocprim14__parallel_for6kernelILj256ENS1_10for_each_fINS0_7pointerINS0_5tupleIblNS0_9null_typeES7_S7_S7_S7_S7_S7_S7_EENS1_3tagENS0_11use_defaultESA_EENS0_6detail16wrapped_functionINSC_23allocator_traits_detail5gozerEvEEEElLj1EEEvT0_T1_SJ_,@function
_ZN6thrust23THRUST_200600_302600_NS11hip_rocprim14__parallel_for6kernelILj256ENS1_10for_each_fINS0_7pointerINS0_5tupleIblNS0_9null_typeES7_S7_S7_S7_S7_S7_S7_EENS1_3tagENS0_11use_defaultESA_EENS0_6detail16wrapped_functionINSC_23allocator_traits_detail5gozerEvEEEElLj1EEEvT0_T1_SJ_: ; @_ZN6thrust23THRUST_200600_302600_NS11hip_rocprim14__parallel_for6kernelILj256ENS1_10for_each_fINS0_7pointerINS0_5tupleIblNS0_9null_typeES7_S7_S7_S7_S7_S7_S7_EENS1_3tagENS0_11use_defaultESA_EENS0_6detail16wrapped_functionINSC_23allocator_traits_detail5gozerEvEEEElLj1EEEvT0_T1_SJ_
; %bb.0:
	s_endpgm
	.section	.rodata,"a",@progbits
	.p2align	6, 0x0
	.amdhsa_kernel _ZN6thrust23THRUST_200600_302600_NS11hip_rocprim14__parallel_for6kernelILj256ENS1_10for_each_fINS0_7pointerINS0_5tupleIblNS0_9null_typeES7_S7_S7_S7_S7_S7_S7_EENS1_3tagENS0_11use_defaultESA_EENS0_6detail16wrapped_functionINSC_23allocator_traits_detail5gozerEvEEEElLj1EEEvT0_T1_SJ_
		.amdhsa_group_segment_fixed_size 0
		.amdhsa_private_segment_fixed_size 0
		.amdhsa_kernarg_size 32
		.amdhsa_user_sgpr_count 15
		.amdhsa_user_sgpr_dispatch_ptr 0
		.amdhsa_user_sgpr_queue_ptr 0
		.amdhsa_user_sgpr_kernarg_segment_ptr 1
		.amdhsa_user_sgpr_dispatch_id 0
		.amdhsa_user_sgpr_private_segment_size 0
		.amdhsa_wavefront_size32 1
		.amdhsa_uses_dynamic_stack 0
		.amdhsa_enable_private_segment 0
		.amdhsa_system_sgpr_workgroup_id_x 1
		.amdhsa_system_sgpr_workgroup_id_y 0
		.amdhsa_system_sgpr_workgroup_id_z 0
		.amdhsa_system_sgpr_workgroup_info 0
		.amdhsa_system_vgpr_workitem_id 0
		.amdhsa_next_free_vgpr 1
		.amdhsa_next_free_sgpr 1
		.amdhsa_reserve_vcc 0
		.amdhsa_float_round_mode_32 0
		.amdhsa_float_round_mode_16_64 0
		.amdhsa_float_denorm_mode_32 3
		.amdhsa_float_denorm_mode_16_64 3
		.amdhsa_dx10_clamp 1
		.amdhsa_ieee_mode 1
		.amdhsa_fp16_overflow 0
		.amdhsa_workgroup_processor_mode 1
		.amdhsa_memory_ordered 1
		.amdhsa_forward_progress 0
		.amdhsa_shared_vgpr_count 0
		.amdhsa_exception_fp_ieee_invalid_op 0
		.amdhsa_exception_fp_denorm_src 0
		.amdhsa_exception_fp_ieee_div_zero 0
		.amdhsa_exception_fp_ieee_overflow 0
		.amdhsa_exception_fp_ieee_underflow 0
		.amdhsa_exception_fp_ieee_inexact 0
		.amdhsa_exception_int_div_zero 0
	.end_amdhsa_kernel
	.section	.text._ZN6thrust23THRUST_200600_302600_NS11hip_rocprim14__parallel_for6kernelILj256ENS1_10for_each_fINS0_7pointerINS0_5tupleIblNS0_9null_typeES7_S7_S7_S7_S7_S7_S7_EENS1_3tagENS0_11use_defaultESA_EENS0_6detail16wrapped_functionINSC_23allocator_traits_detail5gozerEvEEEElLj1EEEvT0_T1_SJ_,"axG",@progbits,_ZN6thrust23THRUST_200600_302600_NS11hip_rocprim14__parallel_for6kernelILj256ENS1_10for_each_fINS0_7pointerINS0_5tupleIblNS0_9null_typeES7_S7_S7_S7_S7_S7_S7_EENS1_3tagENS0_11use_defaultESA_EENS0_6detail16wrapped_functionINSC_23allocator_traits_detail5gozerEvEEEElLj1EEEvT0_T1_SJ_,comdat
.Lfunc_end1208:
	.size	_ZN6thrust23THRUST_200600_302600_NS11hip_rocprim14__parallel_for6kernelILj256ENS1_10for_each_fINS0_7pointerINS0_5tupleIblNS0_9null_typeES7_S7_S7_S7_S7_S7_S7_EENS1_3tagENS0_11use_defaultESA_EENS0_6detail16wrapped_functionINSC_23allocator_traits_detail5gozerEvEEEElLj1EEEvT0_T1_SJ_, .Lfunc_end1208-_ZN6thrust23THRUST_200600_302600_NS11hip_rocprim14__parallel_for6kernelILj256ENS1_10for_each_fINS0_7pointerINS0_5tupleIblNS0_9null_typeES7_S7_S7_S7_S7_S7_S7_EENS1_3tagENS0_11use_defaultESA_EENS0_6detail16wrapped_functionINSC_23allocator_traits_detail5gozerEvEEEElLj1EEEvT0_T1_SJ_
                                        ; -- End function
	.section	.AMDGPU.csdata,"",@progbits
; Kernel info:
; codeLenInByte = 4
; NumSgprs: 0
; NumVgprs: 0
; ScratchSize: 0
; MemoryBound: 0
; FloatMode: 240
; IeeeMode: 1
; LDSByteSize: 0 bytes/workgroup (compile time only)
; SGPRBlocks: 0
; VGPRBlocks: 0
; NumSGPRsForWavesPerEU: 1
; NumVGPRsForWavesPerEU: 1
; Occupancy: 16
; WaveLimiterHint : 0
; COMPUTE_PGM_RSRC2:SCRATCH_EN: 0
; COMPUTE_PGM_RSRC2:USER_SGPR: 15
; COMPUTE_PGM_RSRC2:TRAP_HANDLER: 0
; COMPUTE_PGM_RSRC2:TGID_X_EN: 1
; COMPUTE_PGM_RSRC2:TGID_Y_EN: 0
; COMPUTE_PGM_RSRC2:TGID_Z_EN: 0
; COMPUTE_PGM_RSRC2:TIDIG_COMP_CNT: 0
	.section	.text._ZN6thrust23THRUST_200600_302600_NS11hip_rocprim14__parallel_for6kernelILj256ENS1_20__uninitialized_copy7functorIPNS0_5tupleIblNS0_9null_typeES7_S7_S7_S7_S7_S7_S7_EENS0_7pointerIS8_NS1_3tagENS0_11use_defaultESC_EEEEmLj1EEEvT0_T1_SG_,"axG",@progbits,_ZN6thrust23THRUST_200600_302600_NS11hip_rocprim14__parallel_for6kernelILj256ENS1_20__uninitialized_copy7functorIPNS0_5tupleIblNS0_9null_typeES7_S7_S7_S7_S7_S7_S7_EENS0_7pointerIS8_NS1_3tagENS0_11use_defaultESC_EEEEmLj1EEEvT0_T1_SG_,comdat
	.protected	_ZN6thrust23THRUST_200600_302600_NS11hip_rocprim14__parallel_for6kernelILj256ENS1_20__uninitialized_copy7functorIPNS0_5tupleIblNS0_9null_typeES7_S7_S7_S7_S7_S7_S7_EENS0_7pointerIS8_NS1_3tagENS0_11use_defaultESC_EEEEmLj1EEEvT0_T1_SG_ ; -- Begin function _ZN6thrust23THRUST_200600_302600_NS11hip_rocprim14__parallel_for6kernelILj256ENS1_20__uninitialized_copy7functorIPNS0_5tupleIblNS0_9null_typeES7_S7_S7_S7_S7_S7_S7_EENS0_7pointerIS8_NS1_3tagENS0_11use_defaultESC_EEEEmLj1EEEvT0_T1_SG_
	.globl	_ZN6thrust23THRUST_200600_302600_NS11hip_rocprim14__parallel_for6kernelILj256ENS1_20__uninitialized_copy7functorIPNS0_5tupleIblNS0_9null_typeES7_S7_S7_S7_S7_S7_S7_EENS0_7pointerIS8_NS1_3tagENS0_11use_defaultESC_EEEEmLj1EEEvT0_T1_SG_
	.p2align	8
	.type	_ZN6thrust23THRUST_200600_302600_NS11hip_rocprim14__parallel_for6kernelILj256ENS1_20__uninitialized_copy7functorIPNS0_5tupleIblNS0_9null_typeES7_S7_S7_S7_S7_S7_S7_EENS0_7pointerIS8_NS1_3tagENS0_11use_defaultESC_EEEEmLj1EEEvT0_T1_SG_,@function
_ZN6thrust23THRUST_200600_302600_NS11hip_rocprim14__parallel_for6kernelILj256ENS1_20__uninitialized_copy7functorIPNS0_5tupleIblNS0_9null_typeES7_S7_S7_S7_S7_S7_S7_EENS0_7pointerIS8_NS1_3tagENS0_11use_defaultESC_EEEEmLj1EEEvT0_T1_SG_: ; @_ZN6thrust23THRUST_200600_302600_NS11hip_rocprim14__parallel_for6kernelILj256ENS1_20__uninitialized_copy7functorIPNS0_5tupleIblNS0_9null_typeES7_S7_S7_S7_S7_S7_S7_EENS0_7pointerIS8_NS1_3tagENS0_11use_defaultESC_EEEEmLj1EEEvT0_T1_SG_
; %bb.0:
	s_load_b256 s[0:7], s[0:1], 0x0
	s_lshl_b32 s8, s15, 8
	s_waitcnt lgkmcnt(0)
	s_add_u32 s6, s8, s6
	s_addc_u32 s7, 0, s7
	s_sub_u32 s4, s4, s6
	s_subb_u32 s5, s5, s7
	s_delay_alu instid0(SALU_CYCLE_1) | instskip(NEXT) | instid1(VALU_DEP_1)
	v_cmp_gt_u64_e64 s5, 0x100, s[4:5]
	s_and_b32 vcc_lo, exec_lo, s5
	s_mov_b32 s5, -1
	s_cbranch_vccnz .LBB1209_3
; %bb.1:
	s_and_not1_b32 vcc_lo, exec_lo, s5
	s_cbranch_vccz .LBB1209_6
.LBB1209_2:
	s_endpgm
.LBB1209_3:
	v_cmp_gt_u32_e32 vcc_lo, s4, v0
	s_and_saveexec_b32 s4, vcc_lo
	s_cbranch_execz .LBB1209_5
; %bb.4:
	v_add_co_u32 v1, s5, s6, v0
	s_delay_alu instid0(VALU_DEP_1) | instskip(NEXT) | instid1(VALU_DEP_1)
	v_add_co_ci_u32_e64 v2, null, s7, 0, s5
	v_lshlrev_b64 v[5:6], 4, v[1:2]
	s_delay_alu instid0(VALU_DEP_1) | instskip(NEXT) | instid1(VALU_DEP_2)
	v_add_co_u32 v1, vcc_lo, s0, v5
	v_add_co_ci_u32_e32 v2, vcc_lo, s1, v6, vcc_lo
	v_add_co_u32 v5, vcc_lo, s2, v5
	v_add_co_ci_u32_e32 v6, vcc_lo, s3, v6, vcc_lo
	global_load_b128 v[1:4], v[1:2], off
	s_waitcnt vmcnt(0)
	flat_store_b128 v[5:6], v[1:4]
.LBB1209_5:
	s_or_b32 exec_lo, exec_lo, s4
	s_cbranch_execnz .LBB1209_2
.LBB1209_6:
	v_add_co_u32 v0, s4, s6, v0
	s_delay_alu instid0(VALU_DEP_1) | instskip(NEXT) | instid1(VALU_DEP_1)
	v_add_co_ci_u32_e64 v1, null, s7, 0, s4
	v_lshlrev_b64 v[4:5], 4, v[0:1]
	s_delay_alu instid0(VALU_DEP_1) | instskip(NEXT) | instid1(VALU_DEP_2)
	v_add_co_u32 v0, vcc_lo, s0, v4
	v_add_co_ci_u32_e32 v1, vcc_lo, s1, v5, vcc_lo
	v_add_co_u32 v4, vcc_lo, s2, v4
	v_add_co_ci_u32_e32 v5, vcc_lo, s3, v5, vcc_lo
	global_load_b128 v[0:3], v[0:1], off
	s_waitcnt vmcnt(0)
	flat_store_b128 v[4:5], v[0:3]
	s_endpgm
	.section	.rodata,"a",@progbits
	.p2align	6, 0x0
	.amdhsa_kernel _ZN6thrust23THRUST_200600_302600_NS11hip_rocprim14__parallel_for6kernelILj256ENS1_20__uninitialized_copy7functorIPNS0_5tupleIblNS0_9null_typeES7_S7_S7_S7_S7_S7_S7_EENS0_7pointerIS8_NS1_3tagENS0_11use_defaultESC_EEEEmLj1EEEvT0_T1_SG_
		.amdhsa_group_segment_fixed_size 0
		.amdhsa_private_segment_fixed_size 0
		.amdhsa_kernarg_size 32
		.amdhsa_user_sgpr_count 15
		.amdhsa_user_sgpr_dispatch_ptr 0
		.amdhsa_user_sgpr_queue_ptr 0
		.amdhsa_user_sgpr_kernarg_segment_ptr 1
		.amdhsa_user_sgpr_dispatch_id 0
		.amdhsa_user_sgpr_private_segment_size 0
		.amdhsa_wavefront_size32 1
		.amdhsa_uses_dynamic_stack 0
		.amdhsa_enable_private_segment 0
		.amdhsa_system_sgpr_workgroup_id_x 1
		.amdhsa_system_sgpr_workgroup_id_y 0
		.amdhsa_system_sgpr_workgroup_id_z 0
		.amdhsa_system_sgpr_workgroup_info 0
		.amdhsa_system_vgpr_workitem_id 0
		.amdhsa_next_free_vgpr 7
		.amdhsa_next_free_sgpr 16
		.amdhsa_reserve_vcc 1
		.amdhsa_float_round_mode_32 0
		.amdhsa_float_round_mode_16_64 0
		.amdhsa_float_denorm_mode_32 3
		.amdhsa_float_denorm_mode_16_64 3
		.amdhsa_dx10_clamp 1
		.amdhsa_ieee_mode 1
		.amdhsa_fp16_overflow 0
		.amdhsa_workgroup_processor_mode 1
		.amdhsa_memory_ordered 1
		.amdhsa_forward_progress 0
		.amdhsa_shared_vgpr_count 0
		.amdhsa_exception_fp_ieee_invalid_op 0
		.amdhsa_exception_fp_denorm_src 0
		.amdhsa_exception_fp_ieee_div_zero 0
		.amdhsa_exception_fp_ieee_overflow 0
		.amdhsa_exception_fp_ieee_underflow 0
		.amdhsa_exception_fp_ieee_inexact 0
		.amdhsa_exception_int_div_zero 0
	.end_amdhsa_kernel
	.section	.text._ZN6thrust23THRUST_200600_302600_NS11hip_rocprim14__parallel_for6kernelILj256ENS1_20__uninitialized_copy7functorIPNS0_5tupleIblNS0_9null_typeES7_S7_S7_S7_S7_S7_S7_EENS0_7pointerIS8_NS1_3tagENS0_11use_defaultESC_EEEEmLj1EEEvT0_T1_SG_,"axG",@progbits,_ZN6thrust23THRUST_200600_302600_NS11hip_rocprim14__parallel_for6kernelILj256ENS1_20__uninitialized_copy7functorIPNS0_5tupleIblNS0_9null_typeES7_S7_S7_S7_S7_S7_S7_EENS0_7pointerIS8_NS1_3tagENS0_11use_defaultESC_EEEEmLj1EEEvT0_T1_SG_,comdat
.Lfunc_end1209:
	.size	_ZN6thrust23THRUST_200600_302600_NS11hip_rocprim14__parallel_for6kernelILj256ENS1_20__uninitialized_copy7functorIPNS0_5tupleIblNS0_9null_typeES7_S7_S7_S7_S7_S7_S7_EENS0_7pointerIS8_NS1_3tagENS0_11use_defaultESC_EEEEmLj1EEEvT0_T1_SG_, .Lfunc_end1209-_ZN6thrust23THRUST_200600_302600_NS11hip_rocprim14__parallel_for6kernelILj256ENS1_20__uninitialized_copy7functorIPNS0_5tupleIblNS0_9null_typeES7_S7_S7_S7_S7_S7_S7_EENS0_7pointerIS8_NS1_3tagENS0_11use_defaultESC_EEEEmLj1EEEvT0_T1_SG_
                                        ; -- End function
	.section	.AMDGPU.csdata,"",@progbits
; Kernel info:
; codeLenInByte = 248
; NumSgprs: 18
; NumVgprs: 7
; ScratchSize: 0
; MemoryBound: 0
; FloatMode: 240
; IeeeMode: 1
; LDSByteSize: 0 bytes/workgroup (compile time only)
; SGPRBlocks: 2
; VGPRBlocks: 0
; NumSGPRsForWavesPerEU: 18
; NumVGPRsForWavesPerEU: 7
; Occupancy: 16
; WaveLimiterHint : 0
; COMPUTE_PGM_RSRC2:SCRATCH_EN: 0
; COMPUTE_PGM_RSRC2:USER_SGPR: 15
; COMPUTE_PGM_RSRC2:TRAP_HANDLER: 0
; COMPUTE_PGM_RSRC2:TGID_X_EN: 1
; COMPUTE_PGM_RSRC2:TGID_Y_EN: 0
; COMPUTE_PGM_RSRC2:TGID_Z_EN: 0
; COMPUTE_PGM_RSRC2:TIDIG_COMP_CNT: 0
	.text
	.p2alignl 7, 3214868480
	.fill 96, 4, 3214868480
	.type	__hip_cuid_f1deb51387cb3142,@object ; @__hip_cuid_f1deb51387cb3142
	.section	.bss,"aw",@nobits
	.globl	__hip_cuid_f1deb51387cb3142
__hip_cuid_f1deb51387cb3142:
	.byte	0                               ; 0x0
	.size	__hip_cuid_f1deb51387cb3142, 1

	.ident	"AMD clang version 19.0.0git (https://github.com/RadeonOpenCompute/llvm-project roc-6.4.0 25133 c7fe45cf4b819c5991fe208aaa96edf142730f1d)"
	.section	".note.GNU-stack","",@progbits
	.addrsig
	.addrsig_sym __hip_cuid_f1deb51387cb3142
	.amdgpu_metadata
---
amdhsa.kernels:
  - .args:
      - .offset:         0
        .size:           4
        .value_kind:     by_value
      - .address_space:  global
        .offset:         8
        .size:           8
        .value_kind:     global_buffer
      - .address_space:  global
        .offset:         16
        .size:           8
        .value_kind:     global_buffer
      - .address_space:  global
        .offset:         24
        .size:           8
        .value_kind:     global_buffer
      - .address_space:  global
        .offset:         32
        .size:           8
        .value_kind:     global_buffer
      - .address_space:  global
        .offset:         40
        .size:           8
        .value_kind:     global_buffer
    .group_segment_fixed_size: 0
    .kernarg_segment_align: 8
    .kernarg_segment_size: 48
    .language:       OpenCL C
    .language_version:
      - 2
      - 0
    .max_flat_workgroup_size: 256
    .name:           _Z17ReduceByKeyKerneliPiS_S_S_S_
    .private_segment_fixed_size: 0
    .sgpr_count:     22
    .sgpr_spill_count: 0
    .symbol:         _Z17ReduceByKeyKerneliPiS_S_S_S_.kd
    .uniform_work_group_size: 1
    .uses_dynamic_stack: false
    .vgpr_count:     5
    .vgpr_spill_count: 0
    .wavefront_size: 32
    .workgroup_processor_mode: 1
  - .args:
      - .offset:         0
        .size:           16
        .value_kind:     by_value
      - .offset:         16
        .size:           8
        .value_kind:     by_value
      - .offset:         24
        .size:           8
        .value_kind:     by_value
    .group_segment_fixed_size: 0
    .kernarg_segment_align: 8
    .kernarg_segment_size: 32
    .language:       OpenCL C
    .language_version:
      - 2
      - 0
    .max_flat_workgroup_size: 256
    .name:           _ZN6thrust23THRUST_200600_302600_NS11hip_rocprim14__parallel_for6kernelILj256ENS1_20__uninitialized_fill7functorINS0_10device_ptrIdEEdEEmLj1EEEvT0_T1_SA_
    .private_segment_fixed_size: 0
    .sgpr_count:     18
    .sgpr_spill_count: 0
    .symbol:         _ZN6thrust23THRUST_200600_302600_NS11hip_rocprim14__parallel_for6kernelILj256ENS1_20__uninitialized_fill7functorINS0_10device_ptrIdEEdEEmLj1EEEvT0_T1_SA_.kd
    .uniform_work_group_size: 1
    .uses_dynamic_stack: false
    .vgpr_count:     4
    .vgpr_spill_count: 0
    .wavefront_size: 32
    .workgroup_processor_mode: 1
  - .args:
      - .offset:         0
        .size:           48
        .value_kind:     by_value
    .group_segment_fixed_size: 0
    .kernarg_segment_align: 8
    .kernarg_segment_size: 48
    .language:       OpenCL C
    .language_version:
      - 2
      - 0
    .max_flat_workgroup_size: 128
    .name:           _ZN7rocprim17ROCPRIM_400000_NS6detail17trampoline_kernelINS0_14default_configENS1_25transform_config_selectorImLb0EEEZNS1_14transform_implILb0ES3_S5_NS0_17constant_iteratorImlEEPmNS0_8identityImEEEE10hipError_tT2_T3_mT4_P12ihipStream_tbEUlT_E_NS1_11comp_targetILNS1_3genE0ELNS1_11target_archE4294967295ELNS1_3gpuE0ELNS1_3repE0EEENS1_30default_config_static_selectorELNS0_4arch9wavefront6targetE0EEEvT1_
    .private_segment_fixed_size: 0
    .sgpr_count:     0
    .sgpr_spill_count: 0
    .symbol:         _ZN7rocprim17ROCPRIM_400000_NS6detail17trampoline_kernelINS0_14default_configENS1_25transform_config_selectorImLb0EEEZNS1_14transform_implILb0ES3_S5_NS0_17constant_iteratorImlEEPmNS0_8identityImEEEE10hipError_tT2_T3_mT4_P12ihipStream_tbEUlT_E_NS1_11comp_targetILNS1_3genE0ELNS1_11target_archE4294967295ELNS1_3gpuE0ELNS1_3repE0EEENS1_30default_config_static_selectorELNS0_4arch9wavefront6targetE0EEEvT1_.kd
    .uniform_work_group_size: 1
    .uses_dynamic_stack: false
    .vgpr_count:     0
    .vgpr_spill_count: 0
    .wavefront_size: 32
    .workgroup_processor_mode: 1
  - .args:
      - .offset:         0
        .size:           48
        .value_kind:     by_value
    .group_segment_fixed_size: 0
    .kernarg_segment_align: 8
    .kernarg_segment_size: 48
    .language:       OpenCL C
    .language_version:
      - 2
      - 0
    .max_flat_workgroup_size: 512
    .name:           _ZN7rocprim17ROCPRIM_400000_NS6detail17trampoline_kernelINS0_14default_configENS1_25transform_config_selectorImLb0EEEZNS1_14transform_implILb0ES3_S5_NS0_17constant_iteratorImlEEPmNS0_8identityImEEEE10hipError_tT2_T3_mT4_P12ihipStream_tbEUlT_E_NS1_11comp_targetILNS1_3genE5ELNS1_11target_archE942ELNS1_3gpuE9ELNS1_3repE0EEENS1_30default_config_static_selectorELNS0_4arch9wavefront6targetE0EEEvT1_
    .private_segment_fixed_size: 0
    .sgpr_count:     0
    .sgpr_spill_count: 0
    .symbol:         _ZN7rocprim17ROCPRIM_400000_NS6detail17trampoline_kernelINS0_14default_configENS1_25transform_config_selectorImLb0EEEZNS1_14transform_implILb0ES3_S5_NS0_17constant_iteratorImlEEPmNS0_8identityImEEEE10hipError_tT2_T3_mT4_P12ihipStream_tbEUlT_E_NS1_11comp_targetILNS1_3genE5ELNS1_11target_archE942ELNS1_3gpuE9ELNS1_3repE0EEENS1_30default_config_static_selectorELNS0_4arch9wavefront6targetE0EEEvT1_.kd
    .uniform_work_group_size: 1
    .uses_dynamic_stack: false
    .vgpr_count:     0
    .vgpr_spill_count: 0
    .wavefront_size: 32
    .workgroup_processor_mode: 1
  - .args:
      - .offset:         0
        .size:           48
        .value_kind:     by_value
    .group_segment_fixed_size: 0
    .kernarg_segment_align: 8
    .kernarg_segment_size: 48
    .language:       OpenCL C
    .language_version:
      - 2
      - 0
    .max_flat_workgroup_size: 256
    .name:           _ZN7rocprim17ROCPRIM_400000_NS6detail17trampoline_kernelINS0_14default_configENS1_25transform_config_selectorImLb0EEEZNS1_14transform_implILb0ES3_S5_NS0_17constant_iteratorImlEEPmNS0_8identityImEEEE10hipError_tT2_T3_mT4_P12ihipStream_tbEUlT_E_NS1_11comp_targetILNS1_3genE4ELNS1_11target_archE910ELNS1_3gpuE8ELNS1_3repE0EEENS1_30default_config_static_selectorELNS0_4arch9wavefront6targetE0EEEvT1_
    .private_segment_fixed_size: 0
    .sgpr_count:     0
    .sgpr_spill_count: 0
    .symbol:         _ZN7rocprim17ROCPRIM_400000_NS6detail17trampoline_kernelINS0_14default_configENS1_25transform_config_selectorImLb0EEEZNS1_14transform_implILb0ES3_S5_NS0_17constant_iteratorImlEEPmNS0_8identityImEEEE10hipError_tT2_T3_mT4_P12ihipStream_tbEUlT_E_NS1_11comp_targetILNS1_3genE4ELNS1_11target_archE910ELNS1_3gpuE8ELNS1_3repE0EEENS1_30default_config_static_selectorELNS0_4arch9wavefront6targetE0EEEvT1_.kd
    .uniform_work_group_size: 1
    .uses_dynamic_stack: false
    .vgpr_count:     0
    .vgpr_spill_count: 0
    .wavefront_size: 32
    .workgroup_processor_mode: 1
  - .args:
      - .offset:         0
        .size:           48
        .value_kind:     by_value
    .group_segment_fixed_size: 0
    .kernarg_segment_align: 8
    .kernarg_segment_size: 48
    .language:       OpenCL C
    .language_version:
      - 2
      - 0
    .max_flat_workgroup_size: 128
    .name:           _ZN7rocprim17ROCPRIM_400000_NS6detail17trampoline_kernelINS0_14default_configENS1_25transform_config_selectorImLb0EEEZNS1_14transform_implILb0ES3_S5_NS0_17constant_iteratorImlEEPmNS0_8identityImEEEE10hipError_tT2_T3_mT4_P12ihipStream_tbEUlT_E_NS1_11comp_targetILNS1_3genE3ELNS1_11target_archE908ELNS1_3gpuE7ELNS1_3repE0EEENS1_30default_config_static_selectorELNS0_4arch9wavefront6targetE0EEEvT1_
    .private_segment_fixed_size: 0
    .sgpr_count:     0
    .sgpr_spill_count: 0
    .symbol:         _ZN7rocprim17ROCPRIM_400000_NS6detail17trampoline_kernelINS0_14default_configENS1_25transform_config_selectorImLb0EEEZNS1_14transform_implILb0ES3_S5_NS0_17constant_iteratorImlEEPmNS0_8identityImEEEE10hipError_tT2_T3_mT4_P12ihipStream_tbEUlT_E_NS1_11comp_targetILNS1_3genE3ELNS1_11target_archE908ELNS1_3gpuE7ELNS1_3repE0EEENS1_30default_config_static_selectorELNS0_4arch9wavefront6targetE0EEEvT1_.kd
    .uniform_work_group_size: 1
    .uses_dynamic_stack: false
    .vgpr_count:     0
    .vgpr_spill_count: 0
    .wavefront_size: 32
    .workgroup_processor_mode: 1
  - .args:
      - .offset:         0
        .size:           48
        .value_kind:     by_value
    .group_segment_fixed_size: 0
    .kernarg_segment_align: 8
    .kernarg_segment_size: 48
    .language:       OpenCL C
    .language_version:
      - 2
      - 0
    .max_flat_workgroup_size: 512
    .name:           _ZN7rocprim17ROCPRIM_400000_NS6detail17trampoline_kernelINS0_14default_configENS1_25transform_config_selectorImLb0EEEZNS1_14transform_implILb0ES3_S5_NS0_17constant_iteratorImlEEPmNS0_8identityImEEEE10hipError_tT2_T3_mT4_P12ihipStream_tbEUlT_E_NS1_11comp_targetILNS1_3genE2ELNS1_11target_archE906ELNS1_3gpuE6ELNS1_3repE0EEENS1_30default_config_static_selectorELNS0_4arch9wavefront6targetE0EEEvT1_
    .private_segment_fixed_size: 0
    .sgpr_count:     0
    .sgpr_spill_count: 0
    .symbol:         _ZN7rocprim17ROCPRIM_400000_NS6detail17trampoline_kernelINS0_14default_configENS1_25transform_config_selectorImLb0EEEZNS1_14transform_implILb0ES3_S5_NS0_17constant_iteratorImlEEPmNS0_8identityImEEEE10hipError_tT2_T3_mT4_P12ihipStream_tbEUlT_E_NS1_11comp_targetILNS1_3genE2ELNS1_11target_archE906ELNS1_3gpuE6ELNS1_3repE0EEENS1_30default_config_static_selectorELNS0_4arch9wavefront6targetE0EEEvT1_.kd
    .uniform_work_group_size: 1
    .uses_dynamic_stack: false
    .vgpr_count:     0
    .vgpr_spill_count: 0
    .wavefront_size: 32
    .workgroup_processor_mode: 1
  - .args:
      - .offset:         0
        .size:           48
        .value_kind:     by_value
    .group_segment_fixed_size: 0
    .kernarg_segment_align: 8
    .kernarg_segment_size: 48
    .language:       OpenCL C
    .language_version:
      - 2
      - 0
    .max_flat_workgroup_size: 1024
    .name:           _ZN7rocprim17ROCPRIM_400000_NS6detail17trampoline_kernelINS0_14default_configENS1_25transform_config_selectorImLb0EEEZNS1_14transform_implILb0ES3_S5_NS0_17constant_iteratorImlEEPmNS0_8identityImEEEE10hipError_tT2_T3_mT4_P12ihipStream_tbEUlT_E_NS1_11comp_targetILNS1_3genE10ELNS1_11target_archE1201ELNS1_3gpuE5ELNS1_3repE0EEENS1_30default_config_static_selectorELNS0_4arch9wavefront6targetE0EEEvT1_
    .private_segment_fixed_size: 0
    .sgpr_count:     0
    .sgpr_spill_count: 0
    .symbol:         _ZN7rocprim17ROCPRIM_400000_NS6detail17trampoline_kernelINS0_14default_configENS1_25transform_config_selectorImLb0EEEZNS1_14transform_implILb0ES3_S5_NS0_17constant_iteratorImlEEPmNS0_8identityImEEEE10hipError_tT2_T3_mT4_P12ihipStream_tbEUlT_E_NS1_11comp_targetILNS1_3genE10ELNS1_11target_archE1201ELNS1_3gpuE5ELNS1_3repE0EEENS1_30default_config_static_selectorELNS0_4arch9wavefront6targetE0EEEvT1_.kd
    .uniform_work_group_size: 1
    .uses_dynamic_stack: false
    .vgpr_count:     0
    .vgpr_spill_count: 0
    .wavefront_size: 32
    .workgroup_processor_mode: 1
  - .args:
      - .offset:         0
        .size:           48
        .value_kind:     by_value
    .group_segment_fixed_size: 0
    .kernarg_segment_align: 8
    .kernarg_segment_size: 48
    .language:       OpenCL C
    .language_version:
      - 2
      - 0
    .max_flat_workgroup_size: 512
    .name:           _ZN7rocprim17ROCPRIM_400000_NS6detail17trampoline_kernelINS0_14default_configENS1_25transform_config_selectorImLb0EEEZNS1_14transform_implILb0ES3_S5_NS0_17constant_iteratorImlEEPmNS0_8identityImEEEE10hipError_tT2_T3_mT4_P12ihipStream_tbEUlT_E_NS1_11comp_targetILNS1_3genE10ELNS1_11target_archE1200ELNS1_3gpuE4ELNS1_3repE0EEENS1_30default_config_static_selectorELNS0_4arch9wavefront6targetE0EEEvT1_
    .private_segment_fixed_size: 0
    .sgpr_count:     0
    .sgpr_spill_count: 0
    .symbol:         _ZN7rocprim17ROCPRIM_400000_NS6detail17trampoline_kernelINS0_14default_configENS1_25transform_config_selectorImLb0EEEZNS1_14transform_implILb0ES3_S5_NS0_17constant_iteratorImlEEPmNS0_8identityImEEEE10hipError_tT2_T3_mT4_P12ihipStream_tbEUlT_E_NS1_11comp_targetILNS1_3genE10ELNS1_11target_archE1200ELNS1_3gpuE4ELNS1_3repE0EEENS1_30default_config_static_selectorELNS0_4arch9wavefront6targetE0EEEvT1_.kd
    .uniform_work_group_size: 1
    .uses_dynamic_stack: false
    .vgpr_count:     0
    .vgpr_spill_count: 0
    .wavefront_size: 32
    .workgroup_processor_mode: 1
  - .args:
      - .offset:         0
        .size:           48
        .value_kind:     by_value
      - .offset:         48
        .size:           4
        .value_kind:     hidden_block_count_x
      - .offset:         52
        .size:           4
        .value_kind:     hidden_block_count_y
      - .offset:         56
        .size:           4
        .value_kind:     hidden_block_count_z
      - .offset:         60
        .size:           2
        .value_kind:     hidden_group_size_x
      - .offset:         62
        .size:           2
        .value_kind:     hidden_group_size_y
      - .offset:         64
        .size:           2
        .value_kind:     hidden_group_size_z
      - .offset:         66
        .size:           2
        .value_kind:     hidden_remainder_x
      - .offset:         68
        .size:           2
        .value_kind:     hidden_remainder_y
      - .offset:         70
        .size:           2
        .value_kind:     hidden_remainder_z
      - .offset:         88
        .size:           8
        .value_kind:     hidden_global_offset_x
      - .offset:         96
        .size:           8
        .value_kind:     hidden_global_offset_y
      - .offset:         104
        .size:           8
        .value_kind:     hidden_global_offset_z
      - .offset:         112
        .size:           2
        .value_kind:     hidden_grid_dims
    .group_segment_fixed_size: 0
    .kernarg_segment_align: 8
    .kernarg_segment_size: 304
    .language:       OpenCL C
    .language_version:
      - 2
      - 0
    .max_flat_workgroup_size: 512
    .name:           _ZN7rocprim17ROCPRIM_400000_NS6detail17trampoline_kernelINS0_14default_configENS1_25transform_config_selectorImLb0EEEZNS1_14transform_implILb0ES3_S5_NS0_17constant_iteratorImlEEPmNS0_8identityImEEEE10hipError_tT2_T3_mT4_P12ihipStream_tbEUlT_E_NS1_11comp_targetILNS1_3genE9ELNS1_11target_archE1100ELNS1_3gpuE3ELNS1_3repE0EEENS1_30default_config_static_selectorELNS0_4arch9wavefront6targetE0EEEvT1_
    .private_segment_fixed_size: 0
    .sgpr_count:     18
    .sgpr_spill_count: 0
    .symbol:         _ZN7rocprim17ROCPRIM_400000_NS6detail17trampoline_kernelINS0_14default_configENS1_25transform_config_selectorImLb0EEEZNS1_14transform_implILb0ES3_S5_NS0_17constant_iteratorImlEEPmNS0_8identityImEEEE10hipError_tT2_T3_mT4_P12ihipStream_tbEUlT_E_NS1_11comp_targetILNS1_3genE9ELNS1_11target_archE1100ELNS1_3gpuE3ELNS1_3repE0EEENS1_30default_config_static_selectorELNS0_4arch9wavefront6targetE0EEEvT1_.kd
    .uniform_work_group_size: 1
    .uses_dynamic_stack: false
    .vgpr_count:     3
    .vgpr_spill_count: 0
    .wavefront_size: 32
    .workgroup_processor_mode: 1
  - .args:
      - .offset:         0
        .size:           48
        .value_kind:     by_value
    .group_segment_fixed_size: 0
    .kernarg_segment_align: 8
    .kernarg_segment_size: 48
    .language:       OpenCL C
    .language_version:
      - 2
      - 0
    .max_flat_workgroup_size: 512
    .name:           _ZN7rocprim17ROCPRIM_400000_NS6detail17trampoline_kernelINS0_14default_configENS1_25transform_config_selectorImLb0EEEZNS1_14transform_implILb0ES3_S5_NS0_17constant_iteratorImlEEPmNS0_8identityImEEEE10hipError_tT2_T3_mT4_P12ihipStream_tbEUlT_E_NS1_11comp_targetILNS1_3genE8ELNS1_11target_archE1030ELNS1_3gpuE2ELNS1_3repE0EEENS1_30default_config_static_selectorELNS0_4arch9wavefront6targetE0EEEvT1_
    .private_segment_fixed_size: 0
    .sgpr_count:     0
    .sgpr_spill_count: 0
    .symbol:         _ZN7rocprim17ROCPRIM_400000_NS6detail17trampoline_kernelINS0_14default_configENS1_25transform_config_selectorImLb0EEEZNS1_14transform_implILb0ES3_S5_NS0_17constant_iteratorImlEEPmNS0_8identityImEEEE10hipError_tT2_T3_mT4_P12ihipStream_tbEUlT_E_NS1_11comp_targetILNS1_3genE8ELNS1_11target_archE1030ELNS1_3gpuE2ELNS1_3repE0EEENS1_30default_config_static_selectorELNS0_4arch9wavefront6targetE0EEEvT1_.kd
    .uniform_work_group_size: 1
    .uses_dynamic_stack: false
    .vgpr_count:     0
    .vgpr_spill_count: 0
    .wavefront_size: 32
    .workgroup_processor_mode: 1
  - .args:
      - .offset:         0
        .size:           24
        .value_kind:     by_value
      - .offset:         24
        .size:           4
        .value_kind:     by_value
      - .offset:         28
        .size:           1
        .value_kind:     by_value
      - .offset:         32
        .size:           4
        .value_kind:     by_value
      - .address_space:  global
        .offset:         40
        .size:           8
        .value_kind:     global_buffer
      - .address_space:  global
        .offset:         48
        .size:           8
        .value_kind:     global_buffer
      - .offset:         56
        .size:           1
        .value_kind:     by_value
      - .offset:         64
        .size:           4
        .value_kind:     hidden_block_count_x
      - .offset:         68
        .size:           4
        .value_kind:     hidden_block_count_y
      - .offset:         72
        .size:           4
        .value_kind:     hidden_block_count_z
      - .offset:         76
        .size:           2
        .value_kind:     hidden_group_size_x
      - .offset:         78
        .size:           2
        .value_kind:     hidden_group_size_y
      - .offset:         80
        .size:           2
        .value_kind:     hidden_group_size_z
      - .offset:         82
        .size:           2
        .value_kind:     hidden_remainder_x
      - .offset:         84
        .size:           2
        .value_kind:     hidden_remainder_y
      - .offset:         86
        .size:           2
        .value_kind:     hidden_remainder_z
      - .offset:         104
        .size:           8
        .value_kind:     hidden_global_offset_x
      - .offset:         112
        .size:           8
        .value_kind:     hidden_global_offset_y
      - .offset:         120
        .size:           8
        .value_kind:     hidden_global_offset_z
      - .offset:         128
        .size:           2
        .value_kind:     hidden_grid_dims
    .group_segment_fixed_size: 0
    .kernarg_segment_align: 8
    .kernarg_segment_size: 320
    .language:       OpenCL C
    .language_version:
      - 2
      - 0
    .max_flat_workgroup_size: 256
    .name:           _ZN7rocprim17ROCPRIM_400000_NS6detail25reduce_by_key_init_kernelINS1_19lookback_scan_stateINS0_5tupleIJjdEEELb0ELb0EEEdNS1_16block_id_wrapperIjLb0EEEEEvT_jbjPmPT0_T1_
    .private_segment_fixed_size: 0
    .sgpr_count:     19
    .sgpr_spill_count: 0
    .symbol:         _ZN7rocprim17ROCPRIM_400000_NS6detail25reduce_by_key_init_kernelINS1_19lookback_scan_stateINS0_5tupleIJjdEEELb0ELb0EEEdNS1_16block_id_wrapperIjLb0EEEEEvT_jbjPmPT0_T1_.kd
    .uniform_work_group_size: 1
    .uses_dynamic_stack: false
    .vgpr_count:     7
    .vgpr_spill_count: 0
    .wavefront_size: 32
    .workgroup_processor_mode: 1
  - .args:
      - .offset:         0
        .size:           136
        .value_kind:     by_value
    .group_segment_fixed_size: 0
    .kernarg_segment_align: 8
    .kernarg_segment_size: 136
    .language:       OpenCL C
    .language_version:
      - 2
      - 0
    .max_flat_workgroup_size: 256
    .name:           _ZN7rocprim17ROCPRIM_400000_NS6detail17trampoline_kernelINS0_14default_configENS1_29reduce_by_key_config_selectorIddN6thrust23THRUST_200600_302600_NS4plusIdEEEEZZNS1_33reduce_by_key_impl_wrapped_configILNS1_25lookback_scan_determinismE0ES3_S9_NS6_6detail15normal_iteratorINS6_10device_ptrIdEEEESG_SG_SG_PmS8_NS6_8equal_toIdEEEE10hipError_tPvRmT2_T3_mT4_T5_T6_T7_T8_P12ihipStream_tbENKUlT_T0_E_clISt17integral_constantIbLb0EES11_EEDaSW_SX_EUlSW_E_NS1_11comp_targetILNS1_3genE0ELNS1_11target_archE4294967295ELNS1_3gpuE0ELNS1_3repE0EEENS1_30default_config_static_selectorELNS0_4arch9wavefront6targetE0EEEvT1_
    .private_segment_fixed_size: 0
    .sgpr_count:     0
    .sgpr_spill_count: 0
    .symbol:         _ZN7rocprim17ROCPRIM_400000_NS6detail17trampoline_kernelINS0_14default_configENS1_29reduce_by_key_config_selectorIddN6thrust23THRUST_200600_302600_NS4plusIdEEEEZZNS1_33reduce_by_key_impl_wrapped_configILNS1_25lookback_scan_determinismE0ES3_S9_NS6_6detail15normal_iteratorINS6_10device_ptrIdEEEESG_SG_SG_PmS8_NS6_8equal_toIdEEEE10hipError_tPvRmT2_T3_mT4_T5_T6_T7_T8_P12ihipStream_tbENKUlT_T0_E_clISt17integral_constantIbLb0EES11_EEDaSW_SX_EUlSW_E_NS1_11comp_targetILNS1_3genE0ELNS1_11target_archE4294967295ELNS1_3gpuE0ELNS1_3repE0EEENS1_30default_config_static_selectorELNS0_4arch9wavefront6targetE0EEEvT1_.kd
    .uniform_work_group_size: 1
    .uses_dynamic_stack: false
    .vgpr_count:     0
    .vgpr_spill_count: 0
    .wavefront_size: 32
    .workgroup_processor_mode: 1
  - .args:
      - .offset:         0
        .size:           136
        .value_kind:     by_value
    .group_segment_fixed_size: 0
    .kernarg_segment_align: 8
    .kernarg_segment_size: 136
    .language:       OpenCL C
    .language_version:
      - 2
      - 0
    .max_flat_workgroup_size: 256
    .name:           _ZN7rocprim17ROCPRIM_400000_NS6detail17trampoline_kernelINS0_14default_configENS1_29reduce_by_key_config_selectorIddN6thrust23THRUST_200600_302600_NS4plusIdEEEEZZNS1_33reduce_by_key_impl_wrapped_configILNS1_25lookback_scan_determinismE0ES3_S9_NS6_6detail15normal_iteratorINS6_10device_ptrIdEEEESG_SG_SG_PmS8_NS6_8equal_toIdEEEE10hipError_tPvRmT2_T3_mT4_T5_T6_T7_T8_P12ihipStream_tbENKUlT_T0_E_clISt17integral_constantIbLb0EES11_EEDaSW_SX_EUlSW_E_NS1_11comp_targetILNS1_3genE5ELNS1_11target_archE942ELNS1_3gpuE9ELNS1_3repE0EEENS1_30default_config_static_selectorELNS0_4arch9wavefront6targetE0EEEvT1_
    .private_segment_fixed_size: 0
    .sgpr_count:     0
    .sgpr_spill_count: 0
    .symbol:         _ZN7rocprim17ROCPRIM_400000_NS6detail17trampoline_kernelINS0_14default_configENS1_29reduce_by_key_config_selectorIddN6thrust23THRUST_200600_302600_NS4plusIdEEEEZZNS1_33reduce_by_key_impl_wrapped_configILNS1_25lookback_scan_determinismE0ES3_S9_NS6_6detail15normal_iteratorINS6_10device_ptrIdEEEESG_SG_SG_PmS8_NS6_8equal_toIdEEEE10hipError_tPvRmT2_T3_mT4_T5_T6_T7_T8_P12ihipStream_tbENKUlT_T0_E_clISt17integral_constantIbLb0EES11_EEDaSW_SX_EUlSW_E_NS1_11comp_targetILNS1_3genE5ELNS1_11target_archE942ELNS1_3gpuE9ELNS1_3repE0EEENS1_30default_config_static_selectorELNS0_4arch9wavefront6targetE0EEEvT1_.kd
    .uniform_work_group_size: 1
    .uses_dynamic_stack: false
    .vgpr_count:     0
    .vgpr_spill_count: 0
    .wavefront_size: 32
    .workgroup_processor_mode: 1
  - .args:
      - .offset:         0
        .size:           136
        .value_kind:     by_value
    .group_segment_fixed_size: 0
    .kernarg_segment_align: 8
    .kernarg_segment_size: 136
    .language:       OpenCL C
    .language_version:
      - 2
      - 0
    .max_flat_workgroup_size: 256
    .name:           _ZN7rocprim17ROCPRIM_400000_NS6detail17trampoline_kernelINS0_14default_configENS1_29reduce_by_key_config_selectorIddN6thrust23THRUST_200600_302600_NS4plusIdEEEEZZNS1_33reduce_by_key_impl_wrapped_configILNS1_25lookback_scan_determinismE0ES3_S9_NS6_6detail15normal_iteratorINS6_10device_ptrIdEEEESG_SG_SG_PmS8_NS6_8equal_toIdEEEE10hipError_tPvRmT2_T3_mT4_T5_T6_T7_T8_P12ihipStream_tbENKUlT_T0_E_clISt17integral_constantIbLb0EES11_EEDaSW_SX_EUlSW_E_NS1_11comp_targetILNS1_3genE4ELNS1_11target_archE910ELNS1_3gpuE8ELNS1_3repE0EEENS1_30default_config_static_selectorELNS0_4arch9wavefront6targetE0EEEvT1_
    .private_segment_fixed_size: 0
    .sgpr_count:     0
    .sgpr_spill_count: 0
    .symbol:         _ZN7rocprim17ROCPRIM_400000_NS6detail17trampoline_kernelINS0_14default_configENS1_29reduce_by_key_config_selectorIddN6thrust23THRUST_200600_302600_NS4plusIdEEEEZZNS1_33reduce_by_key_impl_wrapped_configILNS1_25lookback_scan_determinismE0ES3_S9_NS6_6detail15normal_iteratorINS6_10device_ptrIdEEEESG_SG_SG_PmS8_NS6_8equal_toIdEEEE10hipError_tPvRmT2_T3_mT4_T5_T6_T7_T8_P12ihipStream_tbENKUlT_T0_E_clISt17integral_constantIbLb0EES11_EEDaSW_SX_EUlSW_E_NS1_11comp_targetILNS1_3genE4ELNS1_11target_archE910ELNS1_3gpuE8ELNS1_3repE0EEENS1_30default_config_static_selectorELNS0_4arch9wavefront6targetE0EEEvT1_.kd
    .uniform_work_group_size: 1
    .uses_dynamic_stack: false
    .vgpr_count:     0
    .vgpr_spill_count: 0
    .wavefront_size: 32
    .workgroup_processor_mode: 1
  - .args:
      - .offset:         0
        .size:           136
        .value_kind:     by_value
    .group_segment_fixed_size: 0
    .kernarg_segment_align: 8
    .kernarg_segment_size: 136
    .language:       OpenCL C
    .language_version:
      - 2
      - 0
    .max_flat_workgroup_size: 256
    .name:           _ZN7rocprim17ROCPRIM_400000_NS6detail17trampoline_kernelINS0_14default_configENS1_29reduce_by_key_config_selectorIddN6thrust23THRUST_200600_302600_NS4plusIdEEEEZZNS1_33reduce_by_key_impl_wrapped_configILNS1_25lookback_scan_determinismE0ES3_S9_NS6_6detail15normal_iteratorINS6_10device_ptrIdEEEESG_SG_SG_PmS8_NS6_8equal_toIdEEEE10hipError_tPvRmT2_T3_mT4_T5_T6_T7_T8_P12ihipStream_tbENKUlT_T0_E_clISt17integral_constantIbLb0EES11_EEDaSW_SX_EUlSW_E_NS1_11comp_targetILNS1_3genE3ELNS1_11target_archE908ELNS1_3gpuE7ELNS1_3repE0EEENS1_30default_config_static_selectorELNS0_4arch9wavefront6targetE0EEEvT1_
    .private_segment_fixed_size: 0
    .sgpr_count:     0
    .sgpr_spill_count: 0
    .symbol:         _ZN7rocprim17ROCPRIM_400000_NS6detail17trampoline_kernelINS0_14default_configENS1_29reduce_by_key_config_selectorIddN6thrust23THRUST_200600_302600_NS4plusIdEEEEZZNS1_33reduce_by_key_impl_wrapped_configILNS1_25lookback_scan_determinismE0ES3_S9_NS6_6detail15normal_iteratorINS6_10device_ptrIdEEEESG_SG_SG_PmS8_NS6_8equal_toIdEEEE10hipError_tPvRmT2_T3_mT4_T5_T6_T7_T8_P12ihipStream_tbENKUlT_T0_E_clISt17integral_constantIbLb0EES11_EEDaSW_SX_EUlSW_E_NS1_11comp_targetILNS1_3genE3ELNS1_11target_archE908ELNS1_3gpuE7ELNS1_3repE0EEENS1_30default_config_static_selectorELNS0_4arch9wavefront6targetE0EEEvT1_.kd
    .uniform_work_group_size: 1
    .uses_dynamic_stack: false
    .vgpr_count:     0
    .vgpr_spill_count: 0
    .wavefront_size: 32
    .workgroup_processor_mode: 1
  - .args:
      - .offset:         0
        .size:           136
        .value_kind:     by_value
    .group_segment_fixed_size: 0
    .kernarg_segment_align: 8
    .kernarg_segment_size: 136
    .language:       OpenCL C
    .language_version:
      - 2
      - 0
    .max_flat_workgroup_size: 256
    .name:           _ZN7rocprim17ROCPRIM_400000_NS6detail17trampoline_kernelINS0_14default_configENS1_29reduce_by_key_config_selectorIddN6thrust23THRUST_200600_302600_NS4plusIdEEEEZZNS1_33reduce_by_key_impl_wrapped_configILNS1_25lookback_scan_determinismE0ES3_S9_NS6_6detail15normal_iteratorINS6_10device_ptrIdEEEESG_SG_SG_PmS8_NS6_8equal_toIdEEEE10hipError_tPvRmT2_T3_mT4_T5_T6_T7_T8_P12ihipStream_tbENKUlT_T0_E_clISt17integral_constantIbLb0EES11_EEDaSW_SX_EUlSW_E_NS1_11comp_targetILNS1_3genE2ELNS1_11target_archE906ELNS1_3gpuE6ELNS1_3repE0EEENS1_30default_config_static_selectorELNS0_4arch9wavefront6targetE0EEEvT1_
    .private_segment_fixed_size: 0
    .sgpr_count:     0
    .sgpr_spill_count: 0
    .symbol:         _ZN7rocprim17ROCPRIM_400000_NS6detail17trampoline_kernelINS0_14default_configENS1_29reduce_by_key_config_selectorIddN6thrust23THRUST_200600_302600_NS4plusIdEEEEZZNS1_33reduce_by_key_impl_wrapped_configILNS1_25lookback_scan_determinismE0ES3_S9_NS6_6detail15normal_iteratorINS6_10device_ptrIdEEEESG_SG_SG_PmS8_NS6_8equal_toIdEEEE10hipError_tPvRmT2_T3_mT4_T5_T6_T7_T8_P12ihipStream_tbENKUlT_T0_E_clISt17integral_constantIbLb0EES11_EEDaSW_SX_EUlSW_E_NS1_11comp_targetILNS1_3genE2ELNS1_11target_archE906ELNS1_3gpuE6ELNS1_3repE0EEENS1_30default_config_static_selectorELNS0_4arch9wavefront6targetE0EEEvT1_.kd
    .uniform_work_group_size: 1
    .uses_dynamic_stack: false
    .vgpr_count:     0
    .vgpr_spill_count: 0
    .wavefront_size: 32
    .workgroup_processor_mode: 1
  - .args:
      - .offset:         0
        .size:           136
        .value_kind:     by_value
    .group_segment_fixed_size: 0
    .kernarg_segment_align: 8
    .kernarg_segment_size: 136
    .language:       OpenCL C
    .language_version:
      - 2
      - 0
    .max_flat_workgroup_size: 256
    .name:           _ZN7rocprim17ROCPRIM_400000_NS6detail17trampoline_kernelINS0_14default_configENS1_29reduce_by_key_config_selectorIddN6thrust23THRUST_200600_302600_NS4plusIdEEEEZZNS1_33reduce_by_key_impl_wrapped_configILNS1_25lookback_scan_determinismE0ES3_S9_NS6_6detail15normal_iteratorINS6_10device_ptrIdEEEESG_SG_SG_PmS8_NS6_8equal_toIdEEEE10hipError_tPvRmT2_T3_mT4_T5_T6_T7_T8_P12ihipStream_tbENKUlT_T0_E_clISt17integral_constantIbLb0EES11_EEDaSW_SX_EUlSW_E_NS1_11comp_targetILNS1_3genE10ELNS1_11target_archE1201ELNS1_3gpuE5ELNS1_3repE0EEENS1_30default_config_static_selectorELNS0_4arch9wavefront6targetE0EEEvT1_
    .private_segment_fixed_size: 0
    .sgpr_count:     0
    .sgpr_spill_count: 0
    .symbol:         _ZN7rocprim17ROCPRIM_400000_NS6detail17trampoline_kernelINS0_14default_configENS1_29reduce_by_key_config_selectorIddN6thrust23THRUST_200600_302600_NS4plusIdEEEEZZNS1_33reduce_by_key_impl_wrapped_configILNS1_25lookback_scan_determinismE0ES3_S9_NS6_6detail15normal_iteratorINS6_10device_ptrIdEEEESG_SG_SG_PmS8_NS6_8equal_toIdEEEE10hipError_tPvRmT2_T3_mT4_T5_T6_T7_T8_P12ihipStream_tbENKUlT_T0_E_clISt17integral_constantIbLb0EES11_EEDaSW_SX_EUlSW_E_NS1_11comp_targetILNS1_3genE10ELNS1_11target_archE1201ELNS1_3gpuE5ELNS1_3repE0EEENS1_30default_config_static_selectorELNS0_4arch9wavefront6targetE0EEEvT1_.kd
    .uniform_work_group_size: 1
    .uses_dynamic_stack: false
    .vgpr_count:     0
    .vgpr_spill_count: 0
    .wavefront_size: 32
    .workgroup_processor_mode: 1
  - .args:
      - .offset:         0
        .size:           136
        .value_kind:     by_value
    .group_segment_fixed_size: 0
    .kernarg_segment_align: 8
    .kernarg_segment_size: 136
    .language:       OpenCL C
    .language_version:
      - 2
      - 0
    .max_flat_workgroup_size: 256
    .name:           _ZN7rocprim17ROCPRIM_400000_NS6detail17trampoline_kernelINS0_14default_configENS1_29reduce_by_key_config_selectorIddN6thrust23THRUST_200600_302600_NS4plusIdEEEEZZNS1_33reduce_by_key_impl_wrapped_configILNS1_25lookback_scan_determinismE0ES3_S9_NS6_6detail15normal_iteratorINS6_10device_ptrIdEEEESG_SG_SG_PmS8_NS6_8equal_toIdEEEE10hipError_tPvRmT2_T3_mT4_T5_T6_T7_T8_P12ihipStream_tbENKUlT_T0_E_clISt17integral_constantIbLb0EES11_EEDaSW_SX_EUlSW_E_NS1_11comp_targetILNS1_3genE10ELNS1_11target_archE1200ELNS1_3gpuE4ELNS1_3repE0EEENS1_30default_config_static_selectorELNS0_4arch9wavefront6targetE0EEEvT1_
    .private_segment_fixed_size: 0
    .sgpr_count:     0
    .sgpr_spill_count: 0
    .symbol:         _ZN7rocprim17ROCPRIM_400000_NS6detail17trampoline_kernelINS0_14default_configENS1_29reduce_by_key_config_selectorIddN6thrust23THRUST_200600_302600_NS4plusIdEEEEZZNS1_33reduce_by_key_impl_wrapped_configILNS1_25lookback_scan_determinismE0ES3_S9_NS6_6detail15normal_iteratorINS6_10device_ptrIdEEEESG_SG_SG_PmS8_NS6_8equal_toIdEEEE10hipError_tPvRmT2_T3_mT4_T5_T6_T7_T8_P12ihipStream_tbENKUlT_T0_E_clISt17integral_constantIbLb0EES11_EEDaSW_SX_EUlSW_E_NS1_11comp_targetILNS1_3genE10ELNS1_11target_archE1200ELNS1_3gpuE4ELNS1_3repE0EEENS1_30default_config_static_selectorELNS0_4arch9wavefront6targetE0EEEvT1_.kd
    .uniform_work_group_size: 1
    .uses_dynamic_stack: false
    .vgpr_count:     0
    .vgpr_spill_count: 0
    .wavefront_size: 32
    .workgroup_processor_mode: 1
  - .args:
      - .offset:         0
        .size:           136
        .value_kind:     by_value
    .group_segment_fixed_size: 30720
    .kernarg_segment_align: 8
    .kernarg_segment_size: 136
    .language:       OpenCL C
    .language_version:
      - 2
      - 0
    .max_flat_workgroup_size: 256
    .name:           _ZN7rocprim17ROCPRIM_400000_NS6detail17trampoline_kernelINS0_14default_configENS1_29reduce_by_key_config_selectorIddN6thrust23THRUST_200600_302600_NS4plusIdEEEEZZNS1_33reduce_by_key_impl_wrapped_configILNS1_25lookback_scan_determinismE0ES3_S9_NS6_6detail15normal_iteratorINS6_10device_ptrIdEEEESG_SG_SG_PmS8_NS6_8equal_toIdEEEE10hipError_tPvRmT2_T3_mT4_T5_T6_T7_T8_P12ihipStream_tbENKUlT_T0_E_clISt17integral_constantIbLb0EES11_EEDaSW_SX_EUlSW_E_NS1_11comp_targetILNS1_3genE9ELNS1_11target_archE1100ELNS1_3gpuE3ELNS1_3repE0EEENS1_30default_config_static_selectorELNS0_4arch9wavefront6targetE0EEEvT1_
    .private_segment_fixed_size: 0
    .sgpr_count:     54
    .sgpr_spill_count: 0
    .symbol:         _ZN7rocprim17ROCPRIM_400000_NS6detail17trampoline_kernelINS0_14default_configENS1_29reduce_by_key_config_selectorIddN6thrust23THRUST_200600_302600_NS4plusIdEEEEZZNS1_33reduce_by_key_impl_wrapped_configILNS1_25lookback_scan_determinismE0ES3_S9_NS6_6detail15normal_iteratorINS6_10device_ptrIdEEEESG_SG_SG_PmS8_NS6_8equal_toIdEEEE10hipError_tPvRmT2_T3_mT4_T5_T6_T7_T8_P12ihipStream_tbENKUlT_T0_E_clISt17integral_constantIbLb0EES11_EEDaSW_SX_EUlSW_E_NS1_11comp_targetILNS1_3genE9ELNS1_11target_archE1100ELNS1_3gpuE3ELNS1_3repE0EEENS1_30default_config_static_selectorELNS0_4arch9wavefront6targetE0EEEvT1_.kd
    .uniform_work_group_size: 1
    .uses_dynamic_stack: false
    .vgpr_count:     120
    .vgpr_spill_count: 0
    .wavefront_size: 32
    .workgroup_processor_mode: 1
  - .args:
      - .offset:         0
        .size:           136
        .value_kind:     by_value
    .group_segment_fixed_size: 0
    .kernarg_segment_align: 8
    .kernarg_segment_size: 136
    .language:       OpenCL C
    .language_version:
      - 2
      - 0
    .max_flat_workgroup_size: 256
    .name:           _ZN7rocprim17ROCPRIM_400000_NS6detail17trampoline_kernelINS0_14default_configENS1_29reduce_by_key_config_selectorIddN6thrust23THRUST_200600_302600_NS4plusIdEEEEZZNS1_33reduce_by_key_impl_wrapped_configILNS1_25lookback_scan_determinismE0ES3_S9_NS6_6detail15normal_iteratorINS6_10device_ptrIdEEEESG_SG_SG_PmS8_NS6_8equal_toIdEEEE10hipError_tPvRmT2_T3_mT4_T5_T6_T7_T8_P12ihipStream_tbENKUlT_T0_E_clISt17integral_constantIbLb0EES11_EEDaSW_SX_EUlSW_E_NS1_11comp_targetILNS1_3genE8ELNS1_11target_archE1030ELNS1_3gpuE2ELNS1_3repE0EEENS1_30default_config_static_selectorELNS0_4arch9wavefront6targetE0EEEvT1_
    .private_segment_fixed_size: 0
    .sgpr_count:     0
    .sgpr_spill_count: 0
    .symbol:         _ZN7rocprim17ROCPRIM_400000_NS6detail17trampoline_kernelINS0_14default_configENS1_29reduce_by_key_config_selectorIddN6thrust23THRUST_200600_302600_NS4plusIdEEEEZZNS1_33reduce_by_key_impl_wrapped_configILNS1_25lookback_scan_determinismE0ES3_S9_NS6_6detail15normal_iteratorINS6_10device_ptrIdEEEESG_SG_SG_PmS8_NS6_8equal_toIdEEEE10hipError_tPvRmT2_T3_mT4_T5_T6_T7_T8_P12ihipStream_tbENKUlT_T0_E_clISt17integral_constantIbLb0EES11_EEDaSW_SX_EUlSW_E_NS1_11comp_targetILNS1_3genE8ELNS1_11target_archE1030ELNS1_3gpuE2ELNS1_3repE0EEENS1_30default_config_static_selectorELNS0_4arch9wavefront6targetE0EEEvT1_.kd
    .uniform_work_group_size: 1
    .uses_dynamic_stack: false
    .vgpr_count:     0
    .vgpr_spill_count: 0
    .wavefront_size: 32
    .workgroup_processor_mode: 1
  - .args:
      - .offset:         0
        .size:           24
        .value_kind:     by_value
      - .offset:         24
        .size:           4
        .value_kind:     by_value
      - .offset:         28
        .size:           1
        .value_kind:     by_value
      - .offset:         32
        .size:           4
        .value_kind:     by_value
      - .address_space:  global
        .offset:         40
        .size:           8
        .value_kind:     global_buffer
      - .address_space:  global
        .offset:         48
        .size:           8
        .value_kind:     global_buffer
      - .address_space:  global
        .offset:         56
        .size:           8
        .value_kind:     global_buffer
      - .offset:         64
        .size:           4
        .value_kind:     hidden_block_count_x
      - .offset:         68
        .size:           4
        .value_kind:     hidden_block_count_y
      - .offset:         72
        .size:           4
        .value_kind:     hidden_block_count_z
      - .offset:         76
        .size:           2
        .value_kind:     hidden_group_size_x
      - .offset:         78
        .size:           2
        .value_kind:     hidden_group_size_y
      - .offset:         80
        .size:           2
        .value_kind:     hidden_group_size_z
      - .offset:         82
        .size:           2
        .value_kind:     hidden_remainder_x
      - .offset:         84
        .size:           2
        .value_kind:     hidden_remainder_y
      - .offset:         86
        .size:           2
        .value_kind:     hidden_remainder_z
      - .offset:         104
        .size:           8
        .value_kind:     hidden_global_offset_x
      - .offset:         112
        .size:           8
        .value_kind:     hidden_global_offset_y
      - .offset:         120
        .size:           8
        .value_kind:     hidden_global_offset_z
      - .offset:         128
        .size:           2
        .value_kind:     hidden_grid_dims
    .group_segment_fixed_size: 0
    .kernarg_segment_align: 8
    .kernarg_segment_size: 320
    .language:       OpenCL C
    .language_version:
      - 2
      - 0
    .max_flat_workgroup_size: 256
    .name:           _ZN7rocprim17ROCPRIM_400000_NS6detail25reduce_by_key_init_kernelINS1_19lookback_scan_stateINS0_5tupleIJjdEEELb1ELb0EEEdNS1_16block_id_wrapperIjLb1EEEEEvT_jbjPmPT0_T1_
    .private_segment_fixed_size: 0
    .sgpr_count:     22
    .sgpr_spill_count: 0
    .symbol:         _ZN7rocprim17ROCPRIM_400000_NS6detail25reduce_by_key_init_kernelINS1_19lookback_scan_stateINS0_5tupleIJjdEEELb1ELb0EEEdNS1_16block_id_wrapperIjLb1EEEEEvT_jbjPmPT0_T1_.kd
    .uniform_work_group_size: 1
    .uses_dynamic_stack: false
    .vgpr_count:     7
    .vgpr_spill_count: 0
    .wavefront_size: 32
    .workgroup_processor_mode: 1
  - .args:
      - .offset:         0
        .size:           136
        .value_kind:     by_value
    .group_segment_fixed_size: 0
    .kernarg_segment_align: 8
    .kernarg_segment_size: 136
    .language:       OpenCL C
    .language_version:
      - 2
      - 0
    .max_flat_workgroup_size: 256
    .name:           _ZN7rocprim17ROCPRIM_400000_NS6detail17trampoline_kernelINS0_14default_configENS1_29reduce_by_key_config_selectorIddN6thrust23THRUST_200600_302600_NS4plusIdEEEEZZNS1_33reduce_by_key_impl_wrapped_configILNS1_25lookback_scan_determinismE0ES3_S9_NS6_6detail15normal_iteratorINS6_10device_ptrIdEEEESG_SG_SG_PmS8_NS6_8equal_toIdEEEE10hipError_tPvRmT2_T3_mT4_T5_T6_T7_T8_P12ihipStream_tbENKUlT_T0_E_clISt17integral_constantIbLb1EES11_EEDaSW_SX_EUlSW_E_NS1_11comp_targetILNS1_3genE0ELNS1_11target_archE4294967295ELNS1_3gpuE0ELNS1_3repE0EEENS1_30default_config_static_selectorELNS0_4arch9wavefront6targetE0EEEvT1_
    .private_segment_fixed_size: 0
    .sgpr_count:     0
    .sgpr_spill_count: 0
    .symbol:         _ZN7rocprim17ROCPRIM_400000_NS6detail17trampoline_kernelINS0_14default_configENS1_29reduce_by_key_config_selectorIddN6thrust23THRUST_200600_302600_NS4plusIdEEEEZZNS1_33reduce_by_key_impl_wrapped_configILNS1_25lookback_scan_determinismE0ES3_S9_NS6_6detail15normal_iteratorINS6_10device_ptrIdEEEESG_SG_SG_PmS8_NS6_8equal_toIdEEEE10hipError_tPvRmT2_T3_mT4_T5_T6_T7_T8_P12ihipStream_tbENKUlT_T0_E_clISt17integral_constantIbLb1EES11_EEDaSW_SX_EUlSW_E_NS1_11comp_targetILNS1_3genE0ELNS1_11target_archE4294967295ELNS1_3gpuE0ELNS1_3repE0EEENS1_30default_config_static_selectorELNS0_4arch9wavefront6targetE0EEEvT1_.kd
    .uniform_work_group_size: 1
    .uses_dynamic_stack: false
    .vgpr_count:     0
    .vgpr_spill_count: 0
    .wavefront_size: 32
    .workgroup_processor_mode: 1
  - .args:
      - .offset:         0
        .size:           136
        .value_kind:     by_value
    .group_segment_fixed_size: 0
    .kernarg_segment_align: 8
    .kernarg_segment_size: 136
    .language:       OpenCL C
    .language_version:
      - 2
      - 0
    .max_flat_workgroup_size: 256
    .name:           _ZN7rocprim17ROCPRIM_400000_NS6detail17trampoline_kernelINS0_14default_configENS1_29reduce_by_key_config_selectorIddN6thrust23THRUST_200600_302600_NS4plusIdEEEEZZNS1_33reduce_by_key_impl_wrapped_configILNS1_25lookback_scan_determinismE0ES3_S9_NS6_6detail15normal_iteratorINS6_10device_ptrIdEEEESG_SG_SG_PmS8_NS6_8equal_toIdEEEE10hipError_tPvRmT2_T3_mT4_T5_T6_T7_T8_P12ihipStream_tbENKUlT_T0_E_clISt17integral_constantIbLb1EES11_EEDaSW_SX_EUlSW_E_NS1_11comp_targetILNS1_3genE5ELNS1_11target_archE942ELNS1_3gpuE9ELNS1_3repE0EEENS1_30default_config_static_selectorELNS0_4arch9wavefront6targetE0EEEvT1_
    .private_segment_fixed_size: 0
    .sgpr_count:     0
    .sgpr_spill_count: 0
    .symbol:         _ZN7rocprim17ROCPRIM_400000_NS6detail17trampoline_kernelINS0_14default_configENS1_29reduce_by_key_config_selectorIddN6thrust23THRUST_200600_302600_NS4plusIdEEEEZZNS1_33reduce_by_key_impl_wrapped_configILNS1_25lookback_scan_determinismE0ES3_S9_NS6_6detail15normal_iteratorINS6_10device_ptrIdEEEESG_SG_SG_PmS8_NS6_8equal_toIdEEEE10hipError_tPvRmT2_T3_mT4_T5_T6_T7_T8_P12ihipStream_tbENKUlT_T0_E_clISt17integral_constantIbLb1EES11_EEDaSW_SX_EUlSW_E_NS1_11comp_targetILNS1_3genE5ELNS1_11target_archE942ELNS1_3gpuE9ELNS1_3repE0EEENS1_30default_config_static_selectorELNS0_4arch9wavefront6targetE0EEEvT1_.kd
    .uniform_work_group_size: 1
    .uses_dynamic_stack: false
    .vgpr_count:     0
    .vgpr_spill_count: 0
    .wavefront_size: 32
    .workgroup_processor_mode: 1
  - .args:
      - .offset:         0
        .size:           136
        .value_kind:     by_value
    .group_segment_fixed_size: 0
    .kernarg_segment_align: 8
    .kernarg_segment_size: 136
    .language:       OpenCL C
    .language_version:
      - 2
      - 0
    .max_flat_workgroup_size: 256
    .name:           _ZN7rocprim17ROCPRIM_400000_NS6detail17trampoline_kernelINS0_14default_configENS1_29reduce_by_key_config_selectorIddN6thrust23THRUST_200600_302600_NS4plusIdEEEEZZNS1_33reduce_by_key_impl_wrapped_configILNS1_25lookback_scan_determinismE0ES3_S9_NS6_6detail15normal_iteratorINS6_10device_ptrIdEEEESG_SG_SG_PmS8_NS6_8equal_toIdEEEE10hipError_tPvRmT2_T3_mT4_T5_T6_T7_T8_P12ihipStream_tbENKUlT_T0_E_clISt17integral_constantIbLb1EES11_EEDaSW_SX_EUlSW_E_NS1_11comp_targetILNS1_3genE4ELNS1_11target_archE910ELNS1_3gpuE8ELNS1_3repE0EEENS1_30default_config_static_selectorELNS0_4arch9wavefront6targetE0EEEvT1_
    .private_segment_fixed_size: 0
    .sgpr_count:     0
    .sgpr_spill_count: 0
    .symbol:         _ZN7rocprim17ROCPRIM_400000_NS6detail17trampoline_kernelINS0_14default_configENS1_29reduce_by_key_config_selectorIddN6thrust23THRUST_200600_302600_NS4plusIdEEEEZZNS1_33reduce_by_key_impl_wrapped_configILNS1_25lookback_scan_determinismE0ES3_S9_NS6_6detail15normal_iteratorINS6_10device_ptrIdEEEESG_SG_SG_PmS8_NS6_8equal_toIdEEEE10hipError_tPvRmT2_T3_mT4_T5_T6_T7_T8_P12ihipStream_tbENKUlT_T0_E_clISt17integral_constantIbLb1EES11_EEDaSW_SX_EUlSW_E_NS1_11comp_targetILNS1_3genE4ELNS1_11target_archE910ELNS1_3gpuE8ELNS1_3repE0EEENS1_30default_config_static_selectorELNS0_4arch9wavefront6targetE0EEEvT1_.kd
    .uniform_work_group_size: 1
    .uses_dynamic_stack: false
    .vgpr_count:     0
    .vgpr_spill_count: 0
    .wavefront_size: 32
    .workgroup_processor_mode: 1
  - .args:
      - .offset:         0
        .size:           136
        .value_kind:     by_value
    .group_segment_fixed_size: 0
    .kernarg_segment_align: 8
    .kernarg_segment_size: 136
    .language:       OpenCL C
    .language_version:
      - 2
      - 0
    .max_flat_workgroup_size: 256
    .name:           _ZN7rocprim17ROCPRIM_400000_NS6detail17trampoline_kernelINS0_14default_configENS1_29reduce_by_key_config_selectorIddN6thrust23THRUST_200600_302600_NS4plusIdEEEEZZNS1_33reduce_by_key_impl_wrapped_configILNS1_25lookback_scan_determinismE0ES3_S9_NS6_6detail15normal_iteratorINS6_10device_ptrIdEEEESG_SG_SG_PmS8_NS6_8equal_toIdEEEE10hipError_tPvRmT2_T3_mT4_T5_T6_T7_T8_P12ihipStream_tbENKUlT_T0_E_clISt17integral_constantIbLb1EES11_EEDaSW_SX_EUlSW_E_NS1_11comp_targetILNS1_3genE3ELNS1_11target_archE908ELNS1_3gpuE7ELNS1_3repE0EEENS1_30default_config_static_selectorELNS0_4arch9wavefront6targetE0EEEvT1_
    .private_segment_fixed_size: 0
    .sgpr_count:     0
    .sgpr_spill_count: 0
    .symbol:         _ZN7rocprim17ROCPRIM_400000_NS6detail17trampoline_kernelINS0_14default_configENS1_29reduce_by_key_config_selectorIddN6thrust23THRUST_200600_302600_NS4plusIdEEEEZZNS1_33reduce_by_key_impl_wrapped_configILNS1_25lookback_scan_determinismE0ES3_S9_NS6_6detail15normal_iteratorINS6_10device_ptrIdEEEESG_SG_SG_PmS8_NS6_8equal_toIdEEEE10hipError_tPvRmT2_T3_mT4_T5_T6_T7_T8_P12ihipStream_tbENKUlT_T0_E_clISt17integral_constantIbLb1EES11_EEDaSW_SX_EUlSW_E_NS1_11comp_targetILNS1_3genE3ELNS1_11target_archE908ELNS1_3gpuE7ELNS1_3repE0EEENS1_30default_config_static_selectorELNS0_4arch9wavefront6targetE0EEEvT1_.kd
    .uniform_work_group_size: 1
    .uses_dynamic_stack: false
    .vgpr_count:     0
    .vgpr_spill_count: 0
    .wavefront_size: 32
    .workgroup_processor_mode: 1
  - .args:
      - .offset:         0
        .size:           136
        .value_kind:     by_value
    .group_segment_fixed_size: 0
    .kernarg_segment_align: 8
    .kernarg_segment_size: 136
    .language:       OpenCL C
    .language_version:
      - 2
      - 0
    .max_flat_workgroup_size: 256
    .name:           _ZN7rocprim17ROCPRIM_400000_NS6detail17trampoline_kernelINS0_14default_configENS1_29reduce_by_key_config_selectorIddN6thrust23THRUST_200600_302600_NS4plusIdEEEEZZNS1_33reduce_by_key_impl_wrapped_configILNS1_25lookback_scan_determinismE0ES3_S9_NS6_6detail15normal_iteratorINS6_10device_ptrIdEEEESG_SG_SG_PmS8_NS6_8equal_toIdEEEE10hipError_tPvRmT2_T3_mT4_T5_T6_T7_T8_P12ihipStream_tbENKUlT_T0_E_clISt17integral_constantIbLb1EES11_EEDaSW_SX_EUlSW_E_NS1_11comp_targetILNS1_3genE2ELNS1_11target_archE906ELNS1_3gpuE6ELNS1_3repE0EEENS1_30default_config_static_selectorELNS0_4arch9wavefront6targetE0EEEvT1_
    .private_segment_fixed_size: 0
    .sgpr_count:     0
    .sgpr_spill_count: 0
    .symbol:         _ZN7rocprim17ROCPRIM_400000_NS6detail17trampoline_kernelINS0_14default_configENS1_29reduce_by_key_config_selectorIddN6thrust23THRUST_200600_302600_NS4plusIdEEEEZZNS1_33reduce_by_key_impl_wrapped_configILNS1_25lookback_scan_determinismE0ES3_S9_NS6_6detail15normal_iteratorINS6_10device_ptrIdEEEESG_SG_SG_PmS8_NS6_8equal_toIdEEEE10hipError_tPvRmT2_T3_mT4_T5_T6_T7_T8_P12ihipStream_tbENKUlT_T0_E_clISt17integral_constantIbLb1EES11_EEDaSW_SX_EUlSW_E_NS1_11comp_targetILNS1_3genE2ELNS1_11target_archE906ELNS1_3gpuE6ELNS1_3repE0EEENS1_30default_config_static_selectorELNS0_4arch9wavefront6targetE0EEEvT1_.kd
    .uniform_work_group_size: 1
    .uses_dynamic_stack: false
    .vgpr_count:     0
    .vgpr_spill_count: 0
    .wavefront_size: 32
    .workgroup_processor_mode: 1
  - .args:
      - .offset:         0
        .size:           136
        .value_kind:     by_value
    .group_segment_fixed_size: 0
    .kernarg_segment_align: 8
    .kernarg_segment_size: 136
    .language:       OpenCL C
    .language_version:
      - 2
      - 0
    .max_flat_workgroup_size: 256
    .name:           _ZN7rocprim17ROCPRIM_400000_NS6detail17trampoline_kernelINS0_14default_configENS1_29reduce_by_key_config_selectorIddN6thrust23THRUST_200600_302600_NS4plusIdEEEEZZNS1_33reduce_by_key_impl_wrapped_configILNS1_25lookback_scan_determinismE0ES3_S9_NS6_6detail15normal_iteratorINS6_10device_ptrIdEEEESG_SG_SG_PmS8_NS6_8equal_toIdEEEE10hipError_tPvRmT2_T3_mT4_T5_T6_T7_T8_P12ihipStream_tbENKUlT_T0_E_clISt17integral_constantIbLb1EES11_EEDaSW_SX_EUlSW_E_NS1_11comp_targetILNS1_3genE10ELNS1_11target_archE1201ELNS1_3gpuE5ELNS1_3repE0EEENS1_30default_config_static_selectorELNS0_4arch9wavefront6targetE0EEEvT1_
    .private_segment_fixed_size: 0
    .sgpr_count:     0
    .sgpr_spill_count: 0
    .symbol:         _ZN7rocprim17ROCPRIM_400000_NS6detail17trampoline_kernelINS0_14default_configENS1_29reduce_by_key_config_selectorIddN6thrust23THRUST_200600_302600_NS4plusIdEEEEZZNS1_33reduce_by_key_impl_wrapped_configILNS1_25lookback_scan_determinismE0ES3_S9_NS6_6detail15normal_iteratorINS6_10device_ptrIdEEEESG_SG_SG_PmS8_NS6_8equal_toIdEEEE10hipError_tPvRmT2_T3_mT4_T5_T6_T7_T8_P12ihipStream_tbENKUlT_T0_E_clISt17integral_constantIbLb1EES11_EEDaSW_SX_EUlSW_E_NS1_11comp_targetILNS1_3genE10ELNS1_11target_archE1201ELNS1_3gpuE5ELNS1_3repE0EEENS1_30default_config_static_selectorELNS0_4arch9wavefront6targetE0EEEvT1_.kd
    .uniform_work_group_size: 1
    .uses_dynamic_stack: false
    .vgpr_count:     0
    .vgpr_spill_count: 0
    .wavefront_size: 32
    .workgroup_processor_mode: 1
  - .args:
      - .offset:         0
        .size:           136
        .value_kind:     by_value
    .group_segment_fixed_size: 0
    .kernarg_segment_align: 8
    .kernarg_segment_size: 136
    .language:       OpenCL C
    .language_version:
      - 2
      - 0
    .max_flat_workgroup_size: 256
    .name:           _ZN7rocprim17ROCPRIM_400000_NS6detail17trampoline_kernelINS0_14default_configENS1_29reduce_by_key_config_selectorIddN6thrust23THRUST_200600_302600_NS4plusIdEEEEZZNS1_33reduce_by_key_impl_wrapped_configILNS1_25lookback_scan_determinismE0ES3_S9_NS6_6detail15normal_iteratorINS6_10device_ptrIdEEEESG_SG_SG_PmS8_NS6_8equal_toIdEEEE10hipError_tPvRmT2_T3_mT4_T5_T6_T7_T8_P12ihipStream_tbENKUlT_T0_E_clISt17integral_constantIbLb1EES11_EEDaSW_SX_EUlSW_E_NS1_11comp_targetILNS1_3genE10ELNS1_11target_archE1200ELNS1_3gpuE4ELNS1_3repE0EEENS1_30default_config_static_selectorELNS0_4arch9wavefront6targetE0EEEvT1_
    .private_segment_fixed_size: 0
    .sgpr_count:     0
    .sgpr_spill_count: 0
    .symbol:         _ZN7rocprim17ROCPRIM_400000_NS6detail17trampoline_kernelINS0_14default_configENS1_29reduce_by_key_config_selectorIddN6thrust23THRUST_200600_302600_NS4plusIdEEEEZZNS1_33reduce_by_key_impl_wrapped_configILNS1_25lookback_scan_determinismE0ES3_S9_NS6_6detail15normal_iteratorINS6_10device_ptrIdEEEESG_SG_SG_PmS8_NS6_8equal_toIdEEEE10hipError_tPvRmT2_T3_mT4_T5_T6_T7_T8_P12ihipStream_tbENKUlT_T0_E_clISt17integral_constantIbLb1EES11_EEDaSW_SX_EUlSW_E_NS1_11comp_targetILNS1_3genE10ELNS1_11target_archE1200ELNS1_3gpuE4ELNS1_3repE0EEENS1_30default_config_static_selectorELNS0_4arch9wavefront6targetE0EEEvT1_.kd
    .uniform_work_group_size: 1
    .uses_dynamic_stack: false
    .vgpr_count:     0
    .vgpr_spill_count: 0
    .wavefront_size: 32
    .workgroup_processor_mode: 1
  - .args:
      - .offset:         0
        .size:           136
        .value_kind:     by_value
    .group_segment_fixed_size: 30720
    .kernarg_segment_align: 8
    .kernarg_segment_size: 136
    .language:       OpenCL C
    .language_version:
      - 2
      - 0
    .max_flat_workgroup_size: 256
    .name:           _ZN7rocprim17ROCPRIM_400000_NS6detail17trampoline_kernelINS0_14default_configENS1_29reduce_by_key_config_selectorIddN6thrust23THRUST_200600_302600_NS4plusIdEEEEZZNS1_33reduce_by_key_impl_wrapped_configILNS1_25lookback_scan_determinismE0ES3_S9_NS6_6detail15normal_iteratorINS6_10device_ptrIdEEEESG_SG_SG_PmS8_NS6_8equal_toIdEEEE10hipError_tPvRmT2_T3_mT4_T5_T6_T7_T8_P12ihipStream_tbENKUlT_T0_E_clISt17integral_constantIbLb1EES11_EEDaSW_SX_EUlSW_E_NS1_11comp_targetILNS1_3genE9ELNS1_11target_archE1100ELNS1_3gpuE3ELNS1_3repE0EEENS1_30default_config_static_selectorELNS0_4arch9wavefront6targetE0EEEvT1_
    .private_segment_fixed_size: 0
    .sgpr_count:     58
    .sgpr_spill_count: 0
    .symbol:         _ZN7rocprim17ROCPRIM_400000_NS6detail17trampoline_kernelINS0_14default_configENS1_29reduce_by_key_config_selectorIddN6thrust23THRUST_200600_302600_NS4plusIdEEEEZZNS1_33reduce_by_key_impl_wrapped_configILNS1_25lookback_scan_determinismE0ES3_S9_NS6_6detail15normal_iteratorINS6_10device_ptrIdEEEESG_SG_SG_PmS8_NS6_8equal_toIdEEEE10hipError_tPvRmT2_T3_mT4_T5_T6_T7_T8_P12ihipStream_tbENKUlT_T0_E_clISt17integral_constantIbLb1EES11_EEDaSW_SX_EUlSW_E_NS1_11comp_targetILNS1_3genE9ELNS1_11target_archE1100ELNS1_3gpuE3ELNS1_3repE0EEENS1_30default_config_static_selectorELNS0_4arch9wavefront6targetE0EEEvT1_.kd
    .uniform_work_group_size: 1
    .uses_dynamic_stack: false
    .vgpr_count:     120
    .vgpr_spill_count: 0
    .wavefront_size: 32
    .workgroup_processor_mode: 1
  - .args:
      - .offset:         0
        .size:           136
        .value_kind:     by_value
    .group_segment_fixed_size: 0
    .kernarg_segment_align: 8
    .kernarg_segment_size: 136
    .language:       OpenCL C
    .language_version:
      - 2
      - 0
    .max_flat_workgroup_size: 256
    .name:           _ZN7rocprim17ROCPRIM_400000_NS6detail17trampoline_kernelINS0_14default_configENS1_29reduce_by_key_config_selectorIddN6thrust23THRUST_200600_302600_NS4plusIdEEEEZZNS1_33reduce_by_key_impl_wrapped_configILNS1_25lookback_scan_determinismE0ES3_S9_NS6_6detail15normal_iteratorINS6_10device_ptrIdEEEESG_SG_SG_PmS8_NS6_8equal_toIdEEEE10hipError_tPvRmT2_T3_mT4_T5_T6_T7_T8_P12ihipStream_tbENKUlT_T0_E_clISt17integral_constantIbLb1EES11_EEDaSW_SX_EUlSW_E_NS1_11comp_targetILNS1_3genE8ELNS1_11target_archE1030ELNS1_3gpuE2ELNS1_3repE0EEENS1_30default_config_static_selectorELNS0_4arch9wavefront6targetE0EEEvT1_
    .private_segment_fixed_size: 0
    .sgpr_count:     0
    .sgpr_spill_count: 0
    .symbol:         _ZN7rocprim17ROCPRIM_400000_NS6detail17trampoline_kernelINS0_14default_configENS1_29reduce_by_key_config_selectorIddN6thrust23THRUST_200600_302600_NS4plusIdEEEEZZNS1_33reduce_by_key_impl_wrapped_configILNS1_25lookback_scan_determinismE0ES3_S9_NS6_6detail15normal_iteratorINS6_10device_ptrIdEEEESG_SG_SG_PmS8_NS6_8equal_toIdEEEE10hipError_tPvRmT2_T3_mT4_T5_T6_T7_T8_P12ihipStream_tbENKUlT_T0_E_clISt17integral_constantIbLb1EES11_EEDaSW_SX_EUlSW_E_NS1_11comp_targetILNS1_3genE8ELNS1_11target_archE1030ELNS1_3gpuE2ELNS1_3repE0EEENS1_30default_config_static_selectorELNS0_4arch9wavefront6targetE0EEEvT1_.kd
    .uniform_work_group_size: 1
    .uses_dynamic_stack: false
    .vgpr_count:     0
    .vgpr_spill_count: 0
    .wavefront_size: 32
    .workgroup_processor_mode: 1
  - .args:
      - .offset:         0
        .size:           24
        .value_kind:     by_value
      - .offset:         24
        .size:           4
        .value_kind:     by_value
      - .offset:         28
        .size:           1
        .value_kind:     by_value
      - .offset:         32
        .size:           4
        .value_kind:     by_value
      - .address_space:  global
        .offset:         40
        .size:           8
        .value_kind:     global_buffer
      - .address_space:  global
        .offset:         48
        .size:           8
        .value_kind:     global_buffer
      - .offset:         56
        .size:           1
        .value_kind:     by_value
      - .offset:         64
        .size:           4
        .value_kind:     hidden_block_count_x
      - .offset:         68
        .size:           4
        .value_kind:     hidden_block_count_y
      - .offset:         72
        .size:           4
        .value_kind:     hidden_block_count_z
      - .offset:         76
        .size:           2
        .value_kind:     hidden_group_size_x
      - .offset:         78
        .size:           2
        .value_kind:     hidden_group_size_y
      - .offset:         80
        .size:           2
        .value_kind:     hidden_group_size_z
      - .offset:         82
        .size:           2
        .value_kind:     hidden_remainder_x
      - .offset:         84
        .size:           2
        .value_kind:     hidden_remainder_y
      - .offset:         86
        .size:           2
        .value_kind:     hidden_remainder_z
      - .offset:         104
        .size:           8
        .value_kind:     hidden_global_offset_x
      - .offset:         112
        .size:           8
        .value_kind:     hidden_global_offset_y
      - .offset:         120
        .size:           8
        .value_kind:     hidden_global_offset_z
      - .offset:         128
        .size:           2
        .value_kind:     hidden_grid_dims
    .group_segment_fixed_size: 0
    .kernarg_segment_align: 8
    .kernarg_segment_size: 320
    .language:       OpenCL C
    .language_version:
      - 2
      - 0
    .max_flat_workgroup_size: 256
    .name:           _ZN7rocprim17ROCPRIM_400000_NS6detail25reduce_by_key_init_kernelINS1_19lookback_scan_stateINS0_5tupleIJjdEEELb1ELb0EEEdNS1_16block_id_wrapperIjLb0EEEEEvT_jbjPmPT0_T1_
    .private_segment_fixed_size: 0
    .sgpr_count:     20
    .sgpr_spill_count: 0
    .symbol:         _ZN7rocprim17ROCPRIM_400000_NS6detail25reduce_by_key_init_kernelINS1_19lookback_scan_stateINS0_5tupleIJjdEEELb1ELb0EEEdNS1_16block_id_wrapperIjLb0EEEEEvT_jbjPmPT0_T1_.kd
    .uniform_work_group_size: 1
    .uses_dynamic_stack: false
    .vgpr_count:     7
    .vgpr_spill_count: 0
    .wavefront_size: 32
    .workgroup_processor_mode: 1
  - .args:
      - .offset:         0
        .size:           136
        .value_kind:     by_value
    .group_segment_fixed_size: 0
    .kernarg_segment_align: 8
    .kernarg_segment_size: 136
    .language:       OpenCL C
    .language_version:
      - 2
      - 0
    .max_flat_workgroup_size: 256
    .name:           _ZN7rocprim17ROCPRIM_400000_NS6detail17trampoline_kernelINS0_14default_configENS1_29reduce_by_key_config_selectorIddN6thrust23THRUST_200600_302600_NS4plusIdEEEEZZNS1_33reduce_by_key_impl_wrapped_configILNS1_25lookback_scan_determinismE0ES3_S9_NS6_6detail15normal_iteratorINS6_10device_ptrIdEEEESG_SG_SG_PmS8_NS6_8equal_toIdEEEE10hipError_tPvRmT2_T3_mT4_T5_T6_T7_T8_P12ihipStream_tbENKUlT_T0_E_clISt17integral_constantIbLb1EES10_IbLb0EEEEDaSW_SX_EUlSW_E_NS1_11comp_targetILNS1_3genE0ELNS1_11target_archE4294967295ELNS1_3gpuE0ELNS1_3repE0EEENS1_30default_config_static_selectorELNS0_4arch9wavefront6targetE0EEEvT1_
    .private_segment_fixed_size: 0
    .sgpr_count:     0
    .sgpr_spill_count: 0
    .symbol:         _ZN7rocprim17ROCPRIM_400000_NS6detail17trampoline_kernelINS0_14default_configENS1_29reduce_by_key_config_selectorIddN6thrust23THRUST_200600_302600_NS4plusIdEEEEZZNS1_33reduce_by_key_impl_wrapped_configILNS1_25lookback_scan_determinismE0ES3_S9_NS6_6detail15normal_iteratorINS6_10device_ptrIdEEEESG_SG_SG_PmS8_NS6_8equal_toIdEEEE10hipError_tPvRmT2_T3_mT4_T5_T6_T7_T8_P12ihipStream_tbENKUlT_T0_E_clISt17integral_constantIbLb1EES10_IbLb0EEEEDaSW_SX_EUlSW_E_NS1_11comp_targetILNS1_3genE0ELNS1_11target_archE4294967295ELNS1_3gpuE0ELNS1_3repE0EEENS1_30default_config_static_selectorELNS0_4arch9wavefront6targetE0EEEvT1_.kd
    .uniform_work_group_size: 1
    .uses_dynamic_stack: false
    .vgpr_count:     0
    .vgpr_spill_count: 0
    .wavefront_size: 32
    .workgroup_processor_mode: 1
  - .args:
      - .offset:         0
        .size:           136
        .value_kind:     by_value
    .group_segment_fixed_size: 0
    .kernarg_segment_align: 8
    .kernarg_segment_size: 136
    .language:       OpenCL C
    .language_version:
      - 2
      - 0
    .max_flat_workgroup_size: 256
    .name:           _ZN7rocprim17ROCPRIM_400000_NS6detail17trampoline_kernelINS0_14default_configENS1_29reduce_by_key_config_selectorIddN6thrust23THRUST_200600_302600_NS4plusIdEEEEZZNS1_33reduce_by_key_impl_wrapped_configILNS1_25lookback_scan_determinismE0ES3_S9_NS6_6detail15normal_iteratorINS6_10device_ptrIdEEEESG_SG_SG_PmS8_NS6_8equal_toIdEEEE10hipError_tPvRmT2_T3_mT4_T5_T6_T7_T8_P12ihipStream_tbENKUlT_T0_E_clISt17integral_constantIbLb1EES10_IbLb0EEEEDaSW_SX_EUlSW_E_NS1_11comp_targetILNS1_3genE5ELNS1_11target_archE942ELNS1_3gpuE9ELNS1_3repE0EEENS1_30default_config_static_selectorELNS0_4arch9wavefront6targetE0EEEvT1_
    .private_segment_fixed_size: 0
    .sgpr_count:     0
    .sgpr_spill_count: 0
    .symbol:         _ZN7rocprim17ROCPRIM_400000_NS6detail17trampoline_kernelINS0_14default_configENS1_29reduce_by_key_config_selectorIddN6thrust23THRUST_200600_302600_NS4plusIdEEEEZZNS1_33reduce_by_key_impl_wrapped_configILNS1_25lookback_scan_determinismE0ES3_S9_NS6_6detail15normal_iteratorINS6_10device_ptrIdEEEESG_SG_SG_PmS8_NS6_8equal_toIdEEEE10hipError_tPvRmT2_T3_mT4_T5_T6_T7_T8_P12ihipStream_tbENKUlT_T0_E_clISt17integral_constantIbLb1EES10_IbLb0EEEEDaSW_SX_EUlSW_E_NS1_11comp_targetILNS1_3genE5ELNS1_11target_archE942ELNS1_3gpuE9ELNS1_3repE0EEENS1_30default_config_static_selectorELNS0_4arch9wavefront6targetE0EEEvT1_.kd
    .uniform_work_group_size: 1
    .uses_dynamic_stack: false
    .vgpr_count:     0
    .vgpr_spill_count: 0
    .wavefront_size: 32
    .workgroup_processor_mode: 1
  - .args:
      - .offset:         0
        .size:           136
        .value_kind:     by_value
    .group_segment_fixed_size: 0
    .kernarg_segment_align: 8
    .kernarg_segment_size: 136
    .language:       OpenCL C
    .language_version:
      - 2
      - 0
    .max_flat_workgroup_size: 256
    .name:           _ZN7rocprim17ROCPRIM_400000_NS6detail17trampoline_kernelINS0_14default_configENS1_29reduce_by_key_config_selectorIddN6thrust23THRUST_200600_302600_NS4plusIdEEEEZZNS1_33reduce_by_key_impl_wrapped_configILNS1_25lookback_scan_determinismE0ES3_S9_NS6_6detail15normal_iteratorINS6_10device_ptrIdEEEESG_SG_SG_PmS8_NS6_8equal_toIdEEEE10hipError_tPvRmT2_T3_mT4_T5_T6_T7_T8_P12ihipStream_tbENKUlT_T0_E_clISt17integral_constantIbLb1EES10_IbLb0EEEEDaSW_SX_EUlSW_E_NS1_11comp_targetILNS1_3genE4ELNS1_11target_archE910ELNS1_3gpuE8ELNS1_3repE0EEENS1_30default_config_static_selectorELNS0_4arch9wavefront6targetE0EEEvT1_
    .private_segment_fixed_size: 0
    .sgpr_count:     0
    .sgpr_spill_count: 0
    .symbol:         _ZN7rocprim17ROCPRIM_400000_NS6detail17trampoline_kernelINS0_14default_configENS1_29reduce_by_key_config_selectorIddN6thrust23THRUST_200600_302600_NS4plusIdEEEEZZNS1_33reduce_by_key_impl_wrapped_configILNS1_25lookback_scan_determinismE0ES3_S9_NS6_6detail15normal_iteratorINS6_10device_ptrIdEEEESG_SG_SG_PmS8_NS6_8equal_toIdEEEE10hipError_tPvRmT2_T3_mT4_T5_T6_T7_T8_P12ihipStream_tbENKUlT_T0_E_clISt17integral_constantIbLb1EES10_IbLb0EEEEDaSW_SX_EUlSW_E_NS1_11comp_targetILNS1_3genE4ELNS1_11target_archE910ELNS1_3gpuE8ELNS1_3repE0EEENS1_30default_config_static_selectorELNS0_4arch9wavefront6targetE0EEEvT1_.kd
    .uniform_work_group_size: 1
    .uses_dynamic_stack: false
    .vgpr_count:     0
    .vgpr_spill_count: 0
    .wavefront_size: 32
    .workgroup_processor_mode: 1
  - .args:
      - .offset:         0
        .size:           136
        .value_kind:     by_value
    .group_segment_fixed_size: 0
    .kernarg_segment_align: 8
    .kernarg_segment_size: 136
    .language:       OpenCL C
    .language_version:
      - 2
      - 0
    .max_flat_workgroup_size: 256
    .name:           _ZN7rocprim17ROCPRIM_400000_NS6detail17trampoline_kernelINS0_14default_configENS1_29reduce_by_key_config_selectorIddN6thrust23THRUST_200600_302600_NS4plusIdEEEEZZNS1_33reduce_by_key_impl_wrapped_configILNS1_25lookback_scan_determinismE0ES3_S9_NS6_6detail15normal_iteratorINS6_10device_ptrIdEEEESG_SG_SG_PmS8_NS6_8equal_toIdEEEE10hipError_tPvRmT2_T3_mT4_T5_T6_T7_T8_P12ihipStream_tbENKUlT_T0_E_clISt17integral_constantIbLb1EES10_IbLb0EEEEDaSW_SX_EUlSW_E_NS1_11comp_targetILNS1_3genE3ELNS1_11target_archE908ELNS1_3gpuE7ELNS1_3repE0EEENS1_30default_config_static_selectorELNS0_4arch9wavefront6targetE0EEEvT1_
    .private_segment_fixed_size: 0
    .sgpr_count:     0
    .sgpr_spill_count: 0
    .symbol:         _ZN7rocprim17ROCPRIM_400000_NS6detail17trampoline_kernelINS0_14default_configENS1_29reduce_by_key_config_selectorIddN6thrust23THRUST_200600_302600_NS4plusIdEEEEZZNS1_33reduce_by_key_impl_wrapped_configILNS1_25lookback_scan_determinismE0ES3_S9_NS6_6detail15normal_iteratorINS6_10device_ptrIdEEEESG_SG_SG_PmS8_NS6_8equal_toIdEEEE10hipError_tPvRmT2_T3_mT4_T5_T6_T7_T8_P12ihipStream_tbENKUlT_T0_E_clISt17integral_constantIbLb1EES10_IbLb0EEEEDaSW_SX_EUlSW_E_NS1_11comp_targetILNS1_3genE3ELNS1_11target_archE908ELNS1_3gpuE7ELNS1_3repE0EEENS1_30default_config_static_selectorELNS0_4arch9wavefront6targetE0EEEvT1_.kd
    .uniform_work_group_size: 1
    .uses_dynamic_stack: false
    .vgpr_count:     0
    .vgpr_spill_count: 0
    .wavefront_size: 32
    .workgroup_processor_mode: 1
  - .args:
      - .offset:         0
        .size:           136
        .value_kind:     by_value
    .group_segment_fixed_size: 0
    .kernarg_segment_align: 8
    .kernarg_segment_size: 136
    .language:       OpenCL C
    .language_version:
      - 2
      - 0
    .max_flat_workgroup_size: 256
    .name:           _ZN7rocprim17ROCPRIM_400000_NS6detail17trampoline_kernelINS0_14default_configENS1_29reduce_by_key_config_selectorIddN6thrust23THRUST_200600_302600_NS4plusIdEEEEZZNS1_33reduce_by_key_impl_wrapped_configILNS1_25lookback_scan_determinismE0ES3_S9_NS6_6detail15normal_iteratorINS6_10device_ptrIdEEEESG_SG_SG_PmS8_NS6_8equal_toIdEEEE10hipError_tPvRmT2_T3_mT4_T5_T6_T7_T8_P12ihipStream_tbENKUlT_T0_E_clISt17integral_constantIbLb1EES10_IbLb0EEEEDaSW_SX_EUlSW_E_NS1_11comp_targetILNS1_3genE2ELNS1_11target_archE906ELNS1_3gpuE6ELNS1_3repE0EEENS1_30default_config_static_selectorELNS0_4arch9wavefront6targetE0EEEvT1_
    .private_segment_fixed_size: 0
    .sgpr_count:     0
    .sgpr_spill_count: 0
    .symbol:         _ZN7rocprim17ROCPRIM_400000_NS6detail17trampoline_kernelINS0_14default_configENS1_29reduce_by_key_config_selectorIddN6thrust23THRUST_200600_302600_NS4plusIdEEEEZZNS1_33reduce_by_key_impl_wrapped_configILNS1_25lookback_scan_determinismE0ES3_S9_NS6_6detail15normal_iteratorINS6_10device_ptrIdEEEESG_SG_SG_PmS8_NS6_8equal_toIdEEEE10hipError_tPvRmT2_T3_mT4_T5_T6_T7_T8_P12ihipStream_tbENKUlT_T0_E_clISt17integral_constantIbLb1EES10_IbLb0EEEEDaSW_SX_EUlSW_E_NS1_11comp_targetILNS1_3genE2ELNS1_11target_archE906ELNS1_3gpuE6ELNS1_3repE0EEENS1_30default_config_static_selectorELNS0_4arch9wavefront6targetE0EEEvT1_.kd
    .uniform_work_group_size: 1
    .uses_dynamic_stack: false
    .vgpr_count:     0
    .vgpr_spill_count: 0
    .wavefront_size: 32
    .workgroup_processor_mode: 1
  - .args:
      - .offset:         0
        .size:           136
        .value_kind:     by_value
    .group_segment_fixed_size: 0
    .kernarg_segment_align: 8
    .kernarg_segment_size: 136
    .language:       OpenCL C
    .language_version:
      - 2
      - 0
    .max_flat_workgroup_size: 256
    .name:           _ZN7rocprim17ROCPRIM_400000_NS6detail17trampoline_kernelINS0_14default_configENS1_29reduce_by_key_config_selectorIddN6thrust23THRUST_200600_302600_NS4plusIdEEEEZZNS1_33reduce_by_key_impl_wrapped_configILNS1_25lookback_scan_determinismE0ES3_S9_NS6_6detail15normal_iteratorINS6_10device_ptrIdEEEESG_SG_SG_PmS8_NS6_8equal_toIdEEEE10hipError_tPvRmT2_T3_mT4_T5_T6_T7_T8_P12ihipStream_tbENKUlT_T0_E_clISt17integral_constantIbLb1EES10_IbLb0EEEEDaSW_SX_EUlSW_E_NS1_11comp_targetILNS1_3genE10ELNS1_11target_archE1201ELNS1_3gpuE5ELNS1_3repE0EEENS1_30default_config_static_selectorELNS0_4arch9wavefront6targetE0EEEvT1_
    .private_segment_fixed_size: 0
    .sgpr_count:     0
    .sgpr_spill_count: 0
    .symbol:         _ZN7rocprim17ROCPRIM_400000_NS6detail17trampoline_kernelINS0_14default_configENS1_29reduce_by_key_config_selectorIddN6thrust23THRUST_200600_302600_NS4plusIdEEEEZZNS1_33reduce_by_key_impl_wrapped_configILNS1_25lookback_scan_determinismE0ES3_S9_NS6_6detail15normal_iteratorINS6_10device_ptrIdEEEESG_SG_SG_PmS8_NS6_8equal_toIdEEEE10hipError_tPvRmT2_T3_mT4_T5_T6_T7_T8_P12ihipStream_tbENKUlT_T0_E_clISt17integral_constantIbLb1EES10_IbLb0EEEEDaSW_SX_EUlSW_E_NS1_11comp_targetILNS1_3genE10ELNS1_11target_archE1201ELNS1_3gpuE5ELNS1_3repE0EEENS1_30default_config_static_selectorELNS0_4arch9wavefront6targetE0EEEvT1_.kd
    .uniform_work_group_size: 1
    .uses_dynamic_stack: false
    .vgpr_count:     0
    .vgpr_spill_count: 0
    .wavefront_size: 32
    .workgroup_processor_mode: 1
  - .args:
      - .offset:         0
        .size:           136
        .value_kind:     by_value
    .group_segment_fixed_size: 0
    .kernarg_segment_align: 8
    .kernarg_segment_size: 136
    .language:       OpenCL C
    .language_version:
      - 2
      - 0
    .max_flat_workgroup_size: 256
    .name:           _ZN7rocprim17ROCPRIM_400000_NS6detail17trampoline_kernelINS0_14default_configENS1_29reduce_by_key_config_selectorIddN6thrust23THRUST_200600_302600_NS4plusIdEEEEZZNS1_33reduce_by_key_impl_wrapped_configILNS1_25lookback_scan_determinismE0ES3_S9_NS6_6detail15normal_iteratorINS6_10device_ptrIdEEEESG_SG_SG_PmS8_NS6_8equal_toIdEEEE10hipError_tPvRmT2_T3_mT4_T5_T6_T7_T8_P12ihipStream_tbENKUlT_T0_E_clISt17integral_constantIbLb1EES10_IbLb0EEEEDaSW_SX_EUlSW_E_NS1_11comp_targetILNS1_3genE10ELNS1_11target_archE1200ELNS1_3gpuE4ELNS1_3repE0EEENS1_30default_config_static_selectorELNS0_4arch9wavefront6targetE0EEEvT1_
    .private_segment_fixed_size: 0
    .sgpr_count:     0
    .sgpr_spill_count: 0
    .symbol:         _ZN7rocprim17ROCPRIM_400000_NS6detail17trampoline_kernelINS0_14default_configENS1_29reduce_by_key_config_selectorIddN6thrust23THRUST_200600_302600_NS4plusIdEEEEZZNS1_33reduce_by_key_impl_wrapped_configILNS1_25lookback_scan_determinismE0ES3_S9_NS6_6detail15normal_iteratorINS6_10device_ptrIdEEEESG_SG_SG_PmS8_NS6_8equal_toIdEEEE10hipError_tPvRmT2_T3_mT4_T5_T6_T7_T8_P12ihipStream_tbENKUlT_T0_E_clISt17integral_constantIbLb1EES10_IbLb0EEEEDaSW_SX_EUlSW_E_NS1_11comp_targetILNS1_3genE10ELNS1_11target_archE1200ELNS1_3gpuE4ELNS1_3repE0EEENS1_30default_config_static_selectorELNS0_4arch9wavefront6targetE0EEEvT1_.kd
    .uniform_work_group_size: 1
    .uses_dynamic_stack: false
    .vgpr_count:     0
    .vgpr_spill_count: 0
    .wavefront_size: 32
    .workgroup_processor_mode: 1
  - .args:
      - .offset:         0
        .size:           136
        .value_kind:     by_value
    .group_segment_fixed_size: 30720
    .kernarg_segment_align: 8
    .kernarg_segment_size: 136
    .language:       OpenCL C
    .language_version:
      - 2
      - 0
    .max_flat_workgroup_size: 256
    .name:           _ZN7rocprim17ROCPRIM_400000_NS6detail17trampoline_kernelINS0_14default_configENS1_29reduce_by_key_config_selectorIddN6thrust23THRUST_200600_302600_NS4plusIdEEEEZZNS1_33reduce_by_key_impl_wrapped_configILNS1_25lookback_scan_determinismE0ES3_S9_NS6_6detail15normal_iteratorINS6_10device_ptrIdEEEESG_SG_SG_PmS8_NS6_8equal_toIdEEEE10hipError_tPvRmT2_T3_mT4_T5_T6_T7_T8_P12ihipStream_tbENKUlT_T0_E_clISt17integral_constantIbLb1EES10_IbLb0EEEEDaSW_SX_EUlSW_E_NS1_11comp_targetILNS1_3genE9ELNS1_11target_archE1100ELNS1_3gpuE3ELNS1_3repE0EEENS1_30default_config_static_selectorELNS0_4arch9wavefront6targetE0EEEvT1_
    .private_segment_fixed_size: 0
    .sgpr_count:     54
    .sgpr_spill_count: 0
    .symbol:         _ZN7rocprim17ROCPRIM_400000_NS6detail17trampoline_kernelINS0_14default_configENS1_29reduce_by_key_config_selectorIddN6thrust23THRUST_200600_302600_NS4plusIdEEEEZZNS1_33reduce_by_key_impl_wrapped_configILNS1_25lookback_scan_determinismE0ES3_S9_NS6_6detail15normal_iteratorINS6_10device_ptrIdEEEESG_SG_SG_PmS8_NS6_8equal_toIdEEEE10hipError_tPvRmT2_T3_mT4_T5_T6_T7_T8_P12ihipStream_tbENKUlT_T0_E_clISt17integral_constantIbLb1EES10_IbLb0EEEEDaSW_SX_EUlSW_E_NS1_11comp_targetILNS1_3genE9ELNS1_11target_archE1100ELNS1_3gpuE3ELNS1_3repE0EEENS1_30default_config_static_selectorELNS0_4arch9wavefront6targetE0EEEvT1_.kd
    .uniform_work_group_size: 1
    .uses_dynamic_stack: false
    .vgpr_count:     120
    .vgpr_spill_count: 0
    .wavefront_size: 32
    .workgroup_processor_mode: 1
  - .args:
      - .offset:         0
        .size:           136
        .value_kind:     by_value
    .group_segment_fixed_size: 0
    .kernarg_segment_align: 8
    .kernarg_segment_size: 136
    .language:       OpenCL C
    .language_version:
      - 2
      - 0
    .max_flat_workgroup_size: 256
    .name:           _ZN7rocprim17ROCPRIM_400000_NS6detail17trampoline_kernelINS0_14default_configENS1_29reduce_by_key_config_selectorIddN6thrust23THRUST_200600_302600_NS4plusIdEEEEZZNS1_33reduce_by_key_impl_wrapped_configILNS1_25lookback_scan_determinismE0ES3_S9_NS6_6detail15normal_iteratorINS6_10device_ptrIdEEEESG_SG_SG_PmS8_NS6_8equal_toIdEEEE10hipError_tPvRmT2_T3_mT4_T5_T6_T7_T8_P12ihipStream_tbENKUlT_T0_E_clISt17integral_constantIbLb1EES10_IbLb0EEEEDaSW_SX_EUlSW_E_NS1_11comp_targetILNS1_3genE8ELNS1_11target_archE1030ELNS1_3gpuE2ELNS1_3repE0EEENS1_30default_config_static_selectorELNS0_4arch9wavefront6targetE0EEEvT1_
    .private_segment_fixed_size: 0
    .sgpr_count:     0
    .sgpr_spill_count: 0
    .symbol:         _ZN7rocprim17ROCPRIM_400000_NS6detail17trampoline_kernelINS0_14default_configENS1_29reduce_by_key_config_selectorIddN6thrust23THRUST_200600_302600_NS4plusIdEEEEZZNS1_33reduce_by_key_impl_wrapped_configILNS1_25lookback_scan_determinismE0ES3_S9_NS6_6detail15normal_iteratorINS6_10device_ptrIdEEEESG_SG_SG_PmS8_NS6_8equal_toIdEEEE10hipError_tPvRmT2_T3_mT4_T5_T6_T7_T8_P12ihipStream_tbENKUlT_T0_E_clISt17integral_constantIbLb1EES10_IbLb0EEEEDaSW_SX_EUlSW_E_NS1_11comp_targetILNS1_3genE8ELNS1_11target_archE1030ELNS1_3gpuE2ELNS1_3repE0EEENS1_30default_config_static_selectorELNS0_4arch9wavefront6targetE0EEEvT1_.kd
    .uniform_work_group_size: 1
    .uses_dynamic_stack: false
    .vgpr_count:     0
    .vgpr_spill_count: 0
    .wavefront_size: 32
    .workgroup_processor_mode: 1
  - .args:
      - .offset:         0
        .size:           24
        .value_kind:     by_value
      - .offset:         24
        .size:           4
        .value_kind:     by_value
      - .offset:         28
        .size:           1
        .value_kind:     by_value
      - .offset:         32
        .size:           4
        .value_kind:     by_value
      - .address_space:  global
        .offset:         40
        .size:           8
        .value_kind:     global_buffer
      - .address_space:  global
        .offset:         48
        .size:           8
        .value_kind:     global_buffer
      - .address_space:  global
        .offset:         56
        .size:           8
        .value_kind:     global_buffer
      - .offset:         64
        .size:           4
        .value_kind:     hidden_block_count_x
      - .offset:         68
        .size:           4
        .value_kind:     hidden_block_count_y
      - .offset:         72
        .size:           4
        .value_kind:     hidden_block_count_z
      - .offset:         76
        .size:           2
        .value_kind:     hidden_group_size_x
      - .offset:         78
        .size:           2
        .value_kind:     hidden_group_size_y
      - .offset:         80
        .size:           2
        .value_kind:     hidden_group_size_z
      - .offset:         82
        .size:           2
        .value_kind:     hidden_remainder_x
      - .offset:         84
        .size:           2
        .value_kind:     hidden_remainder_y
      - .offset:         86
        .size:           2
        .value_kind:     hidden_remainder_z
      - .offset:         104
        .size:           8
        .value_kind:     hidden_global_offset_x
      - .offset:         112
        .size:           8
        .value_kind:     hidden_global_offset_y
      - .offset:         120
        .size:           8
        .value_kind:     hidden_global_offset_z
      - .offset:         128
        .size:           2
        .value_kind:     hidden_grid_dims
    .group_segment_fixed_size: 0
    .kernarg_segment_align: 8
    .kernarg_segment_size: 320
    .language:       OpenCL C
    .language_version:
      - 2
      - 0
    .max_flat_workgroup_size: 256
    .name:           _ZN7rocprim17ROCPRIM_400000_NS6detail25reduce_by_key_init_kernelINS1_19lookback_scan_stateINS0_5tupleIJjdEEELb0ELb0EEEdNS1_16block_id_wrapperIjLb1EEEEEvT_jbjPmPT0_T1_
    .private_segment_fixed_size: 0
    .sgpr_count:     21
    .sgpr_spill_count: 0
    .symbol:         _ZN7rocprim17ROCPRIM_400000_NS6detail25reduce_by_key_init_kernelINS1_19lookback_scan_stateINS0_5tupleIJjdEEELb0ELb0EEEdNS1_16block_id_wrapperIjLb1EEEEEvT_jbjPmPT0_T1_.kd
    .uniform_work_group_size: 1
    .uses_dynamic_stack: false
    .vgpr_count:     7
    .vgpr_spill_count: 0
    .wavefront_size: 32
    .workgroup_processor_mode: 1
  - .args:
      - .offset:         0
        .size:           136
        .value_kind:     by_value
    .group_segment_fixed_size: 0
    .kernarg_segment_align: 8
    .kernarg_segment_size: 136
    .language:       OpenCL C
    .language_version:
      - 2
      - 0
    .max_flat_workgroup_size: 256
    .name:           _ZN7rocprim17ROCPRIM_400000_NS6detail17trampoline_kernelINS0_14default_configENS1_29reduce_by_key_config_selectorIddN6thrust23THRUST_200600_302600_NS4plusIdEEEEZZNS1_33reduce_by_key_impl_wrapped_configILNS1_25lookback_scan_determinismE0ES3_S9_NS6_6detail15normal_iteratorINS6_10device_ptrIdEEEESG_SG_SG_PmS8_NS6_8equal_toIdEEEE10hipError_tPvRmT2_T3_mT4_T5_T6_T7_T8_P12ihipStream_tbENKUlT_T0_E_clISt17integral_constantIbLb0EES10_IbLb1EEEEDaSW_SX_EUlSW_E_NS1_11comp_targetILNS1_3genE0ELNS1_11target_archE4294967295ELNS1_3gpuE0ELNS1_3repE0EEENS1_30default_config_static_selectorELNS0_4arch9wavefront6targetE0EEEvT1_
    .private_segment_fixed_size: 0
    .sgpr_count:     0
    .sgpr_spill_count: 0
    .symbol:         _ZN7rocprim17ROCPRIM_400000_NS6detail17trampoline_kernelINS0_14default_configENS1_29reduce_by_key_config_selectorIddN6thrust23THRUST_200600_302600_NS4plusIdEEEEZZNS1_33reduce_by_key_impl_wrapped_configILNS1_25lookback_scan_determinismE0ES3_S9_NS6_6detail15normal_iteratorINS6_10device_ptrIdEEEESG_SG_SG_PmS8_NS6_8equal_toIdEEEE10hipError_tPvRmT2_T3_mT4_T5_T6_T7_T8_P12ihipStream_tbENKUlT_T0_E_clISt17integral_constantIbLb0EES10_IbLb1EEEEDaSW_SX_EUlSW_E_NS1_11comp_targetILNS1_3genE0ELNS1_11target_archE4294967295ELNS1_3gpuE0ELNS1_3repE0EEENS1_30default_config_static_selectorELNS0_4arch9wavefront6targetE0EEEvT1_.kd
    .uniform_work_group_size: 1
    .uses_dynamic_stack: false
    .vgpr_count:     0
    .vgpr_spill_count: 0
    .wavefront_size: 32
    .workgroup_processor_mode: 1
  - .args:
      - .offset:         0
        .size:           136
        .value_kind:     by_value
    .group_segment_fixed_size: 0
    .kernarg_segment_align: 8
    .kernarg_segment_size: 136
    .language:       OpenCL C
    .language_version:
      - 2
      - 0
    .max_flat_workgroup_size: 256
    .name:           _ZN7rocprim17ROCPRIM_400000_NS6detail17trampoline_kernelINS0_14default_configENS1_29reduce_by_key_config_selectorIddN6thrust23THRUST_200600_302600_NS4plusIdEEEEZZNS1_33reduce_by_key_impl_wrapped_configILNS1_25lookback_scan_determinismE0ES3_S9_NS6_6detail15normal_iteratorINS6_10device_ptrIdEEEESG_SG_SG_PmS8_NS6_8equal_toIdEEEE10hipError_tPvRmT2_T3_mT4_T5_T6_T7_T8_P12ihipStream_tbENKUlT_T0_E_clISt17integral_constantIbLb0EES10_IbLb1EEEEDaSW_SX_EUlSW_E_NS1_11comp_targetILNS1_3genE5ELNS1_11target_archE942ELNS1_3gpuE9ELNS1_3repE0EEENS1_30default_config_static_selectorELNS0_4arch9wavefront6targetE0EEEvT1_
    .private_segment_fixed_size: 0
    .sgpr_count:     0
    .sgpr_spill_count: 0
    .symbol:         _ZN7rocprim17ROCPRIM_400000_NS6detail17trampoline_kernelINS0_14default_configENS1_29reduce_by_key_config_selectorIddN6thrust23THRUST_200600_302600_NS4plusIdEEEEZZNS1_33reduce_by_key_impl_wrapped_configILNS1_25lookback_scan_determinismE0ES3_S9_NS6_6detail15normal_iteratorINS6_10device_ptrIdEEEESG_SG_SG_PmS8_NS6_8equal_toIdEEEE10hipError_tPvRmT2_T3_mT4_T5_T6_T7_T8_P12ihipStream_tbENKUlT_T0_E_clISt17integral_constantIbLb0EES10_IbLb1EEEEDaSW_SX_EUlSW_E_NS1_11comp_targetILNS1_3genE5ELNS1_11target_archE942ELNS1_3gpuE9ELNS1_3repE0EEENS1_30default_config_static_selectorELNS0_4arch9wavefront6targetE0EEEvT1_.kd
    .uniform_work_group_size: 1
    .uses_dynamic_stack: false
    .vgpr_count:     0
    .vgpr_spill_count: 0
    .wavefront_size: 32
    .workgroup_processor_mode: 1
  - .args:
      - .offset:         0
        .size:           136
        .value_kind:     by_value
    .group_segment_fixed_size: 0
    .kernarg_segment_align: 8
    .kernarg_segment_size: 136
    .language:       OpenCL C
    .language_version:
      - 2
      - 0
    .max_flat_workgroup_size: 256
    .name:           _ZN7rocprim17ROCPRIM_400000_NS6detail17trampoline_kernelINS0_14default_configENS1_29reduce_by_key_config_selectorIddN6thrust23THRUST_200600_302600_NS4plusIdEEEEZZNS1_33reduce_by_key_impl_wrapped_configILNS1_25lookback_scan_determinismE0ES3_S9_NS6_6detail15normal_iteratorINS6_10device_ptrIdEEEESG_SG_SG_PmS8_NS6_8equal_toIdEEEE10hipError_tPvRmT2_T3_mT4_T5_T6_T7_T8_P12ihipStream_tbENKUlT_T0_E_clISt17integral_constantIbLb0EES10_IbLb1EEEEDaSW_SX_EUlSW_E_NS1_11comp_targetILNS1_3genE4ELNS1_11target_archE910ELNS1_3gpuE8ELNS1_3repE0EEENS1_30default_config_static_selectorELNS0_4arch9wavefront6targetE0EEEvT1_
    .private_segment_fixed_size: 0
    .sgpr_count:     0
    .sgpr_spill_count: 0
    .symbol:         _ZN7rocprim17ROCPRIM_400000_NS6detail17trampoline_kernelINS0_14default_configENS1_29reduce_by_key_config_selectorIddN6thrust23THRUST_200600_302600_NS4plusIdEEEEZZNS1_33reduce_by_key_impl_wrapped_configILNS1_25lookback_scan_determinismE0ES3_S9_NS6_6detail15normal_iteratorINS6_10device_ptrIdEEEESG_SG_SG_PmS8_NS6_8equal_toIdEEEE10hipError_tPvRmT2_T3_mT4_T5_T6_T7_T8_P12ihipStream_tbENKUlT_T0_E_clISt17integral_constantIbLb0EES10_IbLb1EEEEDaSW_SX_EUlSW_E_NS1_11comp_targetILNS1_3genE4ELNS1_11target_archE910ELNS1_3gpuE8ELNS1_3repE0EEENS1_30default_config_static_selectorELNS0_4arch9wavefront6targetE0EEEvT1_.kd
    .uniform_work_group_size: 1
    .uses_dynamic_stack: false
    .vgpr_count:     0
    .vgpr_spill_count: 0
    .wavefront_size: 32
    .workgroup_processor_mode: 1
  - .args:
      - .offset:         0
        .size:           136
        .value_kind:     by_value
    .group_segment_fixed_size: 0
    .kernarg_segment_align: 8
    .kernarg_segment_size: 136
    .language:       OpenCL C
    .language_version:
      - 2
      - 0
    .max_flat_workgroup_size: 256
    .name:           _ZN7rocprim17ROCPRIM_400000_NS6detail17trampoline_kernelINS0_14default_configENS1_29reduce_by_key_config_selectorIddN6thrust23THRUST_200600_302600_NS4plusIdEEEEZZNS1_33reduce_by_key_impl_wrapped_configILNS1_25lookback_scan_determinismE0ES3_S9_NS6_6detail15normal_iteratorINS6_10device_ptrIdEEEESG_SG_SG_PmS8_NS6_8equal_toIdEEEE10hipError_tPvRmT2_T3_mT4_T5_T6_T7_T8_P12ihipStream_tbENKUlT_T0_E_clISt17integral_constantIbLb0EES10_IbLb1EEEEDaSW_SX_EUlSW_E_NS1_11comp_targetILNS1_3genE3ELNS1_11target_archE908ELNS1_3gpuE7ELNS1_3repE0EEENS1_30default_config_static_selectorELNS0_4arch9wavefront6targetE0EEEvT1_
    .private_segment_fixed_size: 0
    .sgpr_count:     0
    .sgpr_spill_count: 0
    .symbol:         _ZN7rocprim17ROCPRIM_400000_NS6detail17trampoline_kernelINS0_14default_configENS1_29reduce_by_key_config_selectorIddN6thrust23THRUST_200600_302600_NS4plusIdEEEEZZNS1_33reduce_by_key_impl_wrapped_configILNS1_25lookback_scan_determinismE0ES3_S9_NS6_6detail15normal_iteratorINS6_10device_ptrIdEEEESG_SG_SG_PmS8_NS6_8equal_toIdEEEE10hipError_tPvRmT2_T3_mT4_T5_T6_T7_T8_P12ihipStream_tbENKUlT_T0_E_clISt17integral_constantIbLb0EES10_IbLb1EEEEDaSW_SX_EUlSW_E_NS1_11comp_targetILNS1_3genE3ELNS1_11target_archE908ELNS1_3gpuE7ELNS1_3repE0EEENS1_30default_config_static_selectorELNS0_4arch9wavefront6targetE0EEEvT1_.kd
    .uniform_work_group_size: 1
    .uses_dynamic_stack: false
    .vgpr_count:     0
    .vgpr_spill_count: 0
    .wavefront_size: 32
    .workgroup_processor_mode: 1
  - .args:
      - .offset:         0
        .size:           136
        .value_kind:     by_value
    .group_segment_fixed_size: 0
    .kernarg_segment_align: 8
    .kernarg_segment_size: 136
    .language:       OpenCL C
    .language_version:
      - 2
      - 0
    .max_flat_workgroup_size: 256
    .name:           _ZN7rocprim17ROCPRIM_400000_NS6detail17trampoline_kernelINS0_14default_configENS1_29reduce_by_key_config_selectorIddN6thrust23THRUST_200600_302600_NS4plusIdEEEEZZNS1_33reduce_by_key_impl_wrapped_configILNS1_25lookback_scan_determinismE0ES3_S9_NS6_6detail15normal_iteratorINS6_10device_ptrIdEEEESG_SG_SG_PmS8_NS6_8equal_toIdEEEE10hipError_tPvRmT2_T3_mT4_T5_T6_T7_T8_P12ihipStream_tbENKUlT_T0_E_clISt17integral_constantIbLb0EES10_IbLb1EEEEDaSW_SX_EUlSW_E_NS1_11comp_targetILNS1_3genE2ELNS1_11target_archE906ELNS1_3gpuE6ELNS1_3repE0EEENS1_30default_config_static_selectorELNS0_4arch9wavefront6targetE0EEEvT1_
    .private_segment_fixed_size: 0
    .sgpr_count:     0
    .sgpr_spill_count: 0
    .symbol:         _ZN7rocprim17ROCPRIM_400000_NS6detail17trampoline_kernelINS0_14default_configENS1_29reduce_by_key_config_selectorIddN6thrust23THRUST_200600_302600_NS4plusIdEEEEZZNS1_33reduce_by_key_impl_wrapped_configILNS1_25lookback_scan_determinismE0ES3_S9_NS6_6detail15normal_iteratorINS6_10device_ptrIdEEEESG_SG_SG_PmS8_NS6_8equal_toIdEEEE10hipError_tPvRmT2_T3_mT4_T5_T6_T7_T8_P12ihipStream_tbENKUlT_T0_E_clISt17integral_constantIbLb0EES10_IbLb1EEEEDaSW_SX_EUlSW_E_NS1_11comp_targetILNS1_3genE2ELNS1_11target_archE906ELNS1_3gpuE6ELNS1_3repE0EEENS1_30default_config_static_selectorELNS0_4arch9wavefront6targetE0EEEvT1_.kd
    .uniform_work_group_size: 1
    .uses_dynamic_stack: false
    .vgpr_count:     0
    .vgpr_spill_count: 0
    .wavefront_size: 32
    .workgroup_processor_mode: 1
  - .args:
      - .offset:         0
        .size:           136
        .value_kind:     by_value
    .group_segment_fixed_size: 0
    .kernarg_segment_align: 8
    .kernarg_segment_size: 136
    .language:       OpenCL C
    .language_version:
      - 2
      - 0
    .max_flat_workgroup_size: 256
    .name:           _ZN7rocprim17ROCPRIM_400000_NS6detail17trampoline_kernelINS0_14default_configENS1_29reduce_by_key_config_selectorIddN6thrust23THRUST_200600_302600_NS4plusIdEEEEZZNS1_33reduce_by_key_impl_wrapped_configILNS1_25lookback_scan_determinismE0ES3_S9_NS6_6detail15normal_iteratorINS6_10device_ptrIdEEEESG_SG_SG_PmS8_NS6_8equal_toIdEEEE10hipError_tPvRmT2_T3_mT4_T5_T6_T7_T8_P12ihipStream_tbENKUlT_T0_E_clISt17integral_constantIbLb0EES10_IbLb1EEEEDaSW_SX_EUlSW_E_NS1_11comp_targetILNS1_3genE10ELNS1_11target_archE1201ELNS1_3gpuE5ELNS1_3repE0EEENS1_30default_config_static_selectorELNS0_4arch9wavefront6targetE0EEEvT1_
    .private_segment_fixed_size: 0
    .sgpr_count:     0
    .sgpr_spill_count: 0
    .symbol:         _ZN7rocprim17ROCPRIM_400000_NS6detail17trampoline_kernelINS0_14default_configENS1_29reduce_by_key_config_selectorIddN6thrust23THRUST_200600_302600_NS4plusIdEEEEZZNS1_33reduce_by_key_impl_wrapped_configILNS1_25lookback_scan_determinismE0ES3_S9_NS6_6detail15normal_iteratorINS6_10device_ptrIdEEEESG_SG_SG_PmS8_NS6_8equal_toIdEEEE10hipError_tPvRmT2_T3_mT4_T5_T6_T7_T8_P12ihipStream_tbENKUlT_T0_E_clISt17integral_constantIbLb0EES10_IbLb1EEEEDaSW_SX_EUlSW_E_NS1_11comp_targetILNS1_3genE10ELNS1_11target_archE1201ELNS1_3gpuE5ELNS1_3repE0EEENS1_30default_config_static_selectorELNS0_4arch9wavefront6targetE0EEEvT1_.kd
    .uniform_work_group_size: 1
    .uses_dynamic_stack: false
    .vgpr_count:     0
    .vgpr_spill_count: 0
    .wavefront_size: 32
    .workgroup_processor_mode: 1
  - .args:
      - .offset:         0
        .size:           136
        .value_kind:     by_value
    .group_segment_fixed_size: 0
    .kernarg_segment_align: 8
    .kernarg_segment_size: 136
    .language:       OpenCL C
    .language_version:
      - 2
      - 0
    .max_flat_workgroup_size: 256
    .name:           _ZN7rocprim17ROCPRIM_400000_NS6detail17trampoline_kernelINS0_14default_configENS1_29reduce_by_key_config_selectorIddN6thrust23THRUST_200600_302600_NS4plusIdEEEEZZNS1_33reduce_by_key_impl_wrapped_configILNS1_25lookback_scan_determinismE0ES3_S9_NS6_6detail15normal_iteratorINS6_10device_ptrIdEEEESG_SG_SG_PmS8_NS6_8equal_toIdEEEE10hipError_tPvRmT2_T3_mT4_T5_T6_T7_T8_P12ihipStream_tbENKUlT_T0_E_clISt17integral_constantIbLb0EES10_IbLb1EEEEDaSW_SX_EUlSW_E_NS1_11comp_targetILNS1_3genE10ELNS1_11target_archE1200ELNS1_3gpuE4ELNS1_3repE0EEENS1_30default_config_static_selectorELNS0_4arch9wavefront6targetE0EEEvT1_
    .private_segment_fixed_size: 0
    .sgpr_count:     0
    .sgpr_spill_count: 0
    .symbol:         _ZN7rocprim17ROCPRIM_400000_NS6detail17trampoline_kernelINS0_14default_configENS1_29reduce_by_key_config_selectorIddN6thrust23THRUST_200600_302600_NS4plusIdEEEEZZNS1_33reduce_by_key_impl_wrapped_configILNS1_25lookback_scan_determinismE0ES3_S9_NS6_6detail15normal_iteratorINS6_10device_ptrIdEEEESG_SG_SG_PmS8_NS6_8equal_toIdEEEE10hipError_tPvRmT2_T3_mT4_T5_T6_T7_T8_P12ihipStream_tbENKUlT_T0_E_clISt17integral_constantIbLb0EES10_IbLb1EEEEDaSW_SX_EUlSW_E_NS1_11comp_targetILNS1_3genE10ELNS1_11target_archE1200ELNS1_3gpuE4ELNS1_3repE0EEENS1_30default_config_static_selectorELNS0_4arch9wavefront6targetE0EEEvT1_.kd
    .uniform_work_group_size: 1
    .uses_dynamic_stack: false
    .vgpr_count:     0
    .vgpr_spill_count: 0
    .wavefront_size: 32
    .workgroup_processor_mode: 1
  - .args:
      - .offset:         0
        .size:           136
        .value_kind:     by_value
    .group_segment_fixed_size: 30720
    .kernarg_segment_align: 8
    .kernarg_segment_size: 136
    .language:       OpenCL C
    .language_version:
      - 2
      - 0
    .max_flat_workgroup_size: 256
    .name:           _ZN7rocprim17ROCPRIM_400000_NS6detail17trampoline_kernelINS0_14default_configENS1_29reduce_by_key_config_selectorIddN6thrust23THRUST_200600_302600_NS4plusIdEEEEZZNS1_33reduce_by_key_impl_wrapped_configILNS1_25lookback_scan_determinismE0ES3_S9_NS6_6detail15normal_iteratorINS6_10device_ptrIdEEEESG_SG_SG_PmS8_NS6_8equal_toIdEEEE10hipError_tPvRmT2_T3_mT4_T5_T6_T7_T8_P12ihipStream_tbENKUlT_T0_E_clISt17integral_constantIbLb0EES10_IbLb1EEEEDaSW_SX_EUlSW_E_NS1_11comp_targetILNS1_3genE9ELNS1_11target_archE1100ELNS1_3gpuE3ELNS1_3repE0EEENS1_30default_config_static_selectorELNS0_4arch9wavefront6targetE0EEEvT1_
    .private_segment_fixed_size: 0
    .sgpr_count:     54
    .sgpr_spill_count: 0
    .symbol:         _ZN7rocprim17ROCPRIM_400000_NS6detail17trampoline_kernelINS0_14default_configENS1_29reduce_by_key_config_selectorIddN6thrust23THRUST_200600_302600_NS4plusIdEEEEZZNS1_33reduce_by_key_impl_wrapped_configILNS1_25lookback_scan_determinismE0ES3_S9_NS6_6detail15normal_iteratorINS6_10device_ptrIdEEEESG_SG_SG_PmS8_NS6_8equal_toIdEEEE10hipError_tPvRmT2_T3_mT4_T5_T6_T7_T8_P12ihipStream_tbENKUlT_T0_E_clISt17integral_constantIbLb0EES10_IbLb1EEEEDaSW_SX_EUlSW_E_NS1_11comp_targetILNS1_3genE9ELNS1_11target_archE1100ELNS1_3gpuE3ELNS1_3repE0EEENS1_30default_config_static_selectorELNS0_4arch9wavefront6targetE0EEEvT1_.kd
    .uniform_work_group_size: 1
    .uses_dynamic_stack: false
    .vgpr_count:     120
    .vgpr_spill_count: 0
    .wavefront_size: 32
    .workgroup_processor_mode: 1
  - .args:
      - .offset:         0
        .size:           136
        .value_kind:     by_value
    .group_segment_fixed_size: 0
    .kernarg_segment_align: 8
    .kernarg_segment_size: 136
    .language:       OpenCL C
    .language_version:
      - 2
      - 0
    .max_flat_workgroup_size: 256
    .name:           _ZN7rocprim17ROCPRIM_400000_NS6detail17trampoline_kernelINS0_14default_configENS1_29reduce_by_key_config_selectorIddN6thrust23THRUST_200600_302600_NS4plusIdEEEEZZNS1_33reduce_by_key_impl_wrapped_configILNS1_25lookback_scan_determinismE0ES3_S9_NS6_6detail15normal_iteratorINS6_10device_ptrIdEEEESG_SG_SG_PmS8_NS6_8equal_toIdEEEE10hipError_tPvRmT2_T3_mT4_T5_T6_T7_T8_P12ihipStream_tbENKUlT_T0_E_clISt17integral_constantIbLb0EES10_IbLb1EEEEDaSW_SX_EUlSW_E_NS1_11comp_targetILNS1_3genE8ELNS1_11target_archE1030ELNS1_3gpuE2ELNS1_3repE0EEENS1_30default_config_static_selectorELNS0_4arch9wavefront6targetE0EEEvT1_
    .private_segment_fixed_size: 0
    .sgpr_count:     0
    .sgpr_spill_count: 0
    .symbol:         _ZN7rocprim17ROCPRIM_400000_NS6detail17trampoline_kernelINS0_14default_configENS1_29reduce_by_key_config_selectorIddN6thrust23THRUST_200600_302600_NS4plusIdEEEEZZNS1_33reduce_by_key_impl_wrapped_configILNS1_25lookback_scan_determinismE0ES3_S9_NS6_6detail15normal_iteratorINS6_10device_ptrIdEEEESG_SG_SG_PmS8_NS6_8equal_toIdEEEE10hipError_tPvRmT2_T3_mT4_T5_T6_T7_T8_P12ihipStream_tbENKUlT_T0_E_clISt17integral_constantIbLb0EES10_IbLb1EEEEDaSW_SX_EUlSW_E_NS1_11comp_targetILNS1_3genE8ELNS1_11target_archE1030ELNS1_3gpuE2ELNS1_3repE0EEENS1_30default_config_static_selectorELNS0_4arch9wavefront6targetE0EEEvT1_.kd
    .uniform_work_group_size: 1
    .uses_dynamic_stack: false
    .vgpr_count:     0
    .vgpr_spill_count: 0
    .wavefront_size: 32
    .workgroup_processor_mode: 1
  - .args:
      - .offset:         0
        .size:           136
        .value_kind:     by_value
    .group_segment_fixed_size: 0
    .kernarg_segment_align: 8
    .kernarg_segment_size: 136
    .language:       OpenCL C
    .language_version:
      - 2
      - 0
    .max_flat_workgroup_size: 256
    .name:           _ZN7rocprim17ROCPRIM_400000_NS6detail17trampoline_kernelINS0_14default_configENS1_29reduce_by_key_config_selectorIddN6thrust23THRUST_200600_302600_NS4plusIdEEEEZZNS1_33reduce_by_key_impl_wrapped_configILNS1_25lookback_scan_determinismE0ES3_S9_NS6_6detail15normal_iteratorINS6_10device_ptrIdEEEESG_SG_SG_PmS8_22is_equal_div_10_reduceIdEEE10hipError_tPvRmT2_T3_mT4_T5_T6_T7_T8_P12ihipStream_tbENKUlT_T0_E_clISt17integral_constantIbLb0EES11_EEDaSW_SX_EUlSW_E_NS1_11comp_targetILNS1_3genE0ELNS1_11target_archE4294967295ELNS1_3gpuE0ELNS1_3repE0EEENS1_30default_config_static_selectorELNS0_4arch9wavefront6targetE0EEEvT1_
    .private_segment_fixed_size: 0
    .sgpr_count:     0
    .sgpr_spill_count: 0
    .symbol:         _ZN7rocprim17ROCPRIM_400000_NS6detail17trampoline_kernelINS0_14default_configENS1_29reduce_by_key_config_selectorIddN6thrust23THRUST_200600_302600_NS4plusIdEEEEZZNS1_33reduce_by_key_impl_wrapped_configILNS1_25lookback_scan_determinismE0ES3_S9_NS6_6detail15normal_iteratorINS6_10device_ptrIdEEEESG_SG_SG_PmS8_22is_equal_div_10_reduceIdEEE10hipError_tPvRmT2_T3_mT4_T5_T6_T7_T8_P12ihipStream_tbENKUlT_T0_E_clISt17integral_constantIbLb0EES11_EEDaSW_SX_EUlSW_E_NS1_11comp_targetILNS1_3genE0ELNS1_11target_archE4294967295ELNS1_3gpuE0ELNS1_3repE0EEENS1_30default_config_static_selectorELNS0_4arch9wavefront6targetE0EEEvT1_.kd
    .uniform_work_group_size: 1
    .uses_dynamic_stack: false
    .vgpr_count:     0
    .vgpr_spill_count: 0
    .wavefront_size: 32
    .workgroup_processor_mode: 1
  - .args:
      - .offset:         0
        .size:           136
        .value_kind:     by_value
    .group_segment_fixed_size: 0
    .kernarg_segment_align: 8
    .kernarg_segment_size: 136
    .language:       OpenCL C
    .language_version:
      - 2
      - 0
    .max_flat_workgroup_size: 256
    .name:           _ZN7rocprim17ROCPRIM_400000_NS6detail17trampoline_kernelINS0_14default_configENS1_29reduce_by_key_config_selectorIddN6thrust23THRUST_200600_302600_NS4plusIdEEEEZZNS1_33reduce_by_key_impl_wrapped_configILNS1_25lookback_scan_determinismE0ES3_S9_NS6_6detail15normal_iteratorINS6_10device_ptrIdEEEESG_SG_SG_PmS8_22is_equal_div_10_reduceIdEEE10hipError_tPvRmT2_T3_mT4_T5_T6_T7_T8_P12ihipStream_tbENKUlT_T0_E_clISt17integral_constantIbLb0EES11_EEDaSW_SX_EUlSW_E_NS1_11comp_targetILNS1_3genE5ELNS1_11target_archE942ELNS1_3gpuE9ELNS1_3repE0EEENS1_30default_config_static_selectorELNS0_4arch9wavefront6targetE0EEEvT1_
    .private_segment_fixed_size: 0
    .sgpr_count:     0
    .sgpr_spill_count: 0
    .symbol:         _ZN7rocprim17ROCPRIM_400000_NS6detail17trampoline_kernelINS0_14default_configENS1_29reduce_by_key_config_selectorIddN6thrust23THRUST_200600_302600_NS4plusIdEEEEZZNS1_33reduce_by_key_impl_wrapped_configILNS1_25lookback_scan_determinismE0ES3_S9_NS6_6detail15normal_iteratorINS6_10device_ptrIdEEEESG_SG_SG_PmS8_22is_equal_div_10_reduceIdEEE10hipError_tPvRmT2_T3_mT4_T5_T6_T7_T8_P12ihipStream_tbENKUlT_T0_E_clISt17integral_constantIbLb0EES11_EEDaSW_SX_EUlSW_E_NS1_11comp_targetILNS1_3genE5ELNS1_11target_archE942ELNS1_3gpuE9ELNS1_3repE0EEENS1_30default_config_static_selectorELNS0_4arch9wavefront6targetE0EEEvT1_.kd
    .uniform_work_group_size: 1
    .uses_dynamic_stack: false
    .vgpr_count:     0
    .vgpr_spill_count: 0
    .wavefront_size: 32
    .workgroup_processor_mode: 1
  - .args:
      - .offset:         0
        .size:           136
        .value_kind:     by_value
    .group_segment_fixed_size: 0
    .kernarg_segment_align: 8
    .kernarg_segment_size: 136
    .language:       OpenCL C
    .language_version:
      - 2
      - 0
    .max_flat_workgroup_size: 256
    .name:           _ZN7rocprim17ROCPRIM_400000_NS6detail17trampoline_kernelINS0_14default_configENS1_29reduce_by_key_config_selectorIddN6thrust23THRUST_200600_302600_NS4plusIdEEEEZZNS1_33reduce_by_key_impl_wrapped_configILNS1_25lookback_scan_determinismE0ES3_S9_NS6_6detail15normal_iteratorINS6_10device_ptrIdEEEESG_SG_SG_PmS8_22is_equal_div_10_reduceIdEEE10hipError_tPvRmT2_T3_mT4_T5_T6_T7_T8_P12ihipStream_tbENKUlT_T0_E_clISt17integral_constantIbLb0EES11_EEDaSW_SX_EUlSW_E_NS1_11comp_targetILNS1_3genE4ELNS1_11target_archE910ELNS1_3gpuE8ELNS1_3repE0EEENS1_30default_config_static_selectorELNS0_4arch9wavefront6targetE0EEEvT1_
    .private_segment_fixed_size: 0
    .sgpr_count:     0
    .sgpr_spill_count: 0
    .symbol:         _ZN7rocprim17ROCPRIM_400000_NS6detail17trampoline_kernelINS0_14default_configENS1_29reduce_by_key_config_selectorIddN6thrust23THRUST_200600_302600_NS4plusIdEEEEZZNS1_33reduce_by_key_impl_wrapped_configILNS1_25lookback_scan_determinismE0ES3_S9_NS6_6detail15normal_iteratorINS6_10device_ptrIdEEEESG_SG_SG_PmS8_22is_equal_div_10_reduceIdEEE10hipError_tPvRmT2_T3_mT4_T5_T6_T7_T8_P12ihipStream_tbENKUlT_T0_E_clISt17integral_constantIbLb0EES11_EEDaSW_SX_EUlSW_E_NS1_11comp_targetILNS1_3genE4ELNS1_11target_archE910ELNS1_3gpuE8ELNS1_3repE0EEENS1_30default_config_static_selectorELNS0_4arch9wavefront6targetE0EEEvT1_.kd
    .uniform_work_group_size: 1
    .uses_dynamic_stack: false
    .vgpr_count:     0
    .vgpr_spill_count: 0
    .wavefront_size: 32
    .workgroup_processor_mode: 1
  - .args:
      - .offset:         0
        .size:           136
        .value_kind:     by_value
    .group_segment_fixed_size: 0
    .kernarg_segment_align: 8
    .kernarg_segment_size: 136
    .language:       OpenCL C
    .language_version:
      - 2
      - 0
    .max_flat_workgroup_size: 256
    .name:           _ZN7rocprim17ROCPRIM_400000_NS6detail17trampoline_kernelINS0_14default_configENS1_29reduce_by_key_config_selectorIddN6thrust23THRUST_200600_302600_NS4plusIdEEEEZZNS1_33reduce_by_key_impl_wrapped_configILNS1_25lookback_scan_determinismE0ES3_S9_NS6_6detail15normal_iteratorINS6_10device_ptrIdEEEESG_SG_SG_PmS8_22is_equal_div_10_reduceIdEEE10hipError_tPvRmT2_T3_mT4_T5_T6_T7_T8_P12ihipStream_tbENKUlT_T0_E_clISt17integral_constantIbLb0EES11_EEDaSW_SX_EUlSW_E_NS1_11comp_targetILNS1_3genE3ELNS1_11target_archE908ELNS1_3gpuE7ELNS1_3repE0EEENS1_30default_config_static_selectorELNS0_4arch9wavefront6targetE0EEEvT1_
    .private_segment_fixed_size: 0
    .sgpr_count:     0
    .sgpr_spill_count: 0
    .symbol:         _ZN7rocprim17ROCPRIM_400000_NS6detail17trampoline_kernelINS0_14default_configENS1_29reduce_by_key_config_selectorIddN6thrust23THRUST_200600_302600_NS4plusIdEEEEZZNS1_33reduce_by_key_impl_wrapped_configILNS1_25lookback_scan_determinismE0ES3_S9_NS6_6detail15normal_iteratorINS6_10device_ptrIdEEEESG_SG_SG_PmS8_22is_equal_div_10_reduceIdEEE10hipError_tPvRmT2_T3_mT4_T5_T6_T7_T8_P12ihipStream_tbENKUlT_T0_E_clISt17integral_constantIbLb0EES11_EEDaSW_SX_EUlSW_E_NS1_11comp_targetILNS1_3genE3ELNS1_11target_archE908ELNS1_3gpuE7ELNS1_3repE0EEENS1_30default_config_static_selectorELNS0_4arch9wavefront6targetE0EEEvT1_.kd
    .uniform_work_group_size: 1
    .uses_dynamic_stack: false
    .vgpr_count:     0
    .vgpr_spill_count: 0
    .wavefront_size: 32
    .workgroup_processor_mode: 1
  - .args:
      - .offset:         0
        .size:           136
        .value_kind:     by_value
    .group_segment_fixed_size: 0
    .kernarg_segment_align: 8
    .kernarg_segment_size: 136
    .language:       OpenCL C
    .language_version:
      - 2
      - 0
    .max_flat_workgroup_size: 256
    .name:           _ZN7rocprim17ROCPRIM_400000_NS6detail17trampoline_kernelINS0_14default_configENS1_29reduce_by_key_config_selectorIddN6thrust23THRUST_200600_302600_NS4plusIdEEEEZZNS1_33reduce_by_key_impl_wrapped_configILNS1_25lookback_scan_determinismE0ES3_S9_NS6_6detail15normal_iteratorINS6_10device_ptrIdEEEESG_SG_SG_PmS8_22is_equal_div_10_reduceIdEEE10hipError_tPvRmT2_T3_mT4_T5_T6_T7_T8_P12ihipStream_tbENKUlT_T0_E_clISt17integral_constantIbLb0EES11_EEDaSW_SX_EUlSW_E_NS1_11comp_targetILNS1_3genE2ELNS1_11target_archE906ELNS1_3gpuE6ELNS1_3repE0EEENS1_30default_config_static_selectorELNS0_4arch9wavefront6targetE0EEEvT1_
    .private_segment_fixed_size: 0
    .sgpr_count:     0
    .sgpr_spill_count: 0
    .symbol:         _ZN7rocprim17ROCPRIM_400000_NS6detail17trampoline_kernelINS0_14default_configENS1_29reduce_by_key_config_selectorIddN6thrust23THRUST_200600_302600_NS4plusIdEEEEZZNS1_33reduce_by_key_impl_wrapped_configILNS1_25lookback_scan_determinismE0ES3_S9_NS6_6detail15normal_iteratorINS6_10device_ptrIdEEEESG_SG_SG_PmS8_22is_equal_div_10_reduceIdEEE10hipError_tPvRmT2_T3_mT4_T5_T6_T7_T8_P12ihipStream_tbENKUlT_T0_E_clISt17integral_constantIbLb0EES11_EEDaSW_SX_EUlSW_E_NS1_11comp_targetILNS1_3genE2ELNS1_11target_archE906ELNS1_3gpuE6ELNS1_3repE0EEENS1_30default_config_static_selectorELNS0_4arch9wavefront6targetE0EEEvT1_.kd
    .uniform_work_group_size: 1
    .uses_dynamic_stack: false
    .vgpr_count:     0
    .vgpr_spill_count: 0
    .wavefront_size: 32
    .workgroup_processor_mode: 1
  - .args:
      - .offset:         0
        .size:           136
        .value_kind:     by_value
    .group_segment_fixed_size: 0
    .kernarg_segment_align: 8
    .kernarg_segment_size: 136
    .language:       OpenCL C
    .language_version:
      - 2
      - 0
    .max_flat_workgroup_size: 256
    .name:           _ZN7rocprim17ROCPRIM_400000_NS6detail17trampoline_kernelINS0_14default_configENS1_29reduce_by_key_config_selectorIddN6thrust23THRUST_200600_302600_NS4plusIdEEEEZZNS1_33reduce_by_key_impl_wrapped_configILNS1_25lookback_scan_determinismE0ES3_S9_NS6_6detail15normal_iteratorINS6_10device_ptrIdEEEESG_SG_SG_PmS8_22is_equal_div_10_reduceIdEEE10hipError_tPvRmT2_T3_mT4_T5_T6_T7_T8_P12ihipStream_tbENKUlT_T0_E_clISt17integral_constantIbLb0EES11_EEDaSW_SX_EUlSW_E_NS1_11comp_targetILNS1_3genE10ELNS1_11target_archE1201ELNS1_3gpuE5ELNS1_3repE0EEENS1_30default_config_static_selectorELNS0_4arch9wavefront6targetE0EEEvT1_
    .private_segment_fixed_size: 0
    .sgpr_count:     0
    .sgpr_spill_count: 0
    .symbol:         _ZN7rocprim17ROCPRIM_400000_NS6detail17trampoline_kernelINS0_14default_configENS1_29reduce_by_key_config_selectorIddN6thrust23THRUST_200600_302600_NS4plusIdEEEEZZNS1_33reduce_by_key_impl_wrapped_configILNS1_25lookback_scan_determinismE0ES3_S9_NS6_6detail15normal_iteratorINS6_10device_ptrIdEEEESG_SG_SG_PmS8_22is_equal_div_10_reduceIdEEE10hipError_tPvRmT2_T3_mT4_T5_T6_T7_T8_P12ihipStream_tbENKUlT_T0_E_clISt17integral_constantIbLb0EES11_EEDaSW_SX_EUlSW_E_NS1_11comp_targetILNS1_3genE10ELNS1_11target_archE1201ELNS1_3gpuE5ELNS1_3repE0EEENS1_30default_config_static_selectorELNS0_4arch9wavefront6targetE0EEEvT1_.kd
    .uniform_work_group_size: 1
    .uses_dynamic_stack: false
    .vgpr_count:     0
    .vgpr_spill_count: 0
    .wavefront_size: 32
    .workgroup_processor_mode: 1
  - .args:
      - .offset:         0
        .size:           136
        .value_kind:     by_value
    .group_segment_fixed_size: 0
    .kernarg_segment_align: 8
    .kernarg_segment_size: 136
    .language:       OpenCL C
    .language_version:
      - 2
      - 0
    .max_flat_workgroup_size: 256
    .name:           _ZN7rocprim17ROCPRIM_400000_NS6detail17trampoline_kernelINS0_14default_configENS1_29reduce_by_key_config_selectorIddN6thrust23THRUST_200600_302600_NS4plusIdEEEEZZNS1_33reduce_by_key_impl_wrapped_configILNS1_25lookback_scan_determinismE0ES3_S9_NS6_6detail15normal_iteratorINS6_10device_ptrIdEEEESG_SG_SG_PmS8_22is_equal_div_10_reduceIdEEE10hipError_tPvRmT2_T3_mT4_T5_T6_T7_T8_P12ihipStream_tbENKUlT_T0_E_clISt17integral_constantIbLb0EES11_EEDaSW_SX_EUlSW_E_NS1_11comp_targetILNS1_3genE10ELNS1_11target_archE1200ELNS1_3gpuE4ELNS1_3repE0EEENS1_30default_config_static_selectorELNS0_4arch9wavefront6targetE0EEEvT1_
    .private_segment_fixed_size: 0
    .sgpr_count:     0
    .sgpr_spill_count: 0
    .symbol:         _ZN7rocprim17ROCPRIM_400000_NS6detail17trampoline_kernelINS0_14default_configENS1_29reduce_by_key_config_selectorIddN6thrust23THRUST_200600_302600_NS4plusIdEEEEZZNS1_33reduce_by_key_impl_wrapped_configILNS1_25lookback_scan_determinismE0ES3_S9_NS6_6detail15normal_iteratorINS6_10device_ptrIdEEEESG_SG_SG_PmS8_22is_equal_div_10_reduceIdEEE10hipError_tPvRmT2_T3_mT4_T5_T6_T7_T8_P12ihipStream_tbENKUlT_T0_E_clISt17integral_constantIbLb0EES11_EEDaSW_SX_EUlSW_E_NS1_11comp_targetILNS1_3genE10ELNS1_11target_archE1200ELNS1_3gpuE4ELNS1_3repE0EEENS1_30default_config_static_selectorELNS0_4arch9wavefront6targetE0EEEvT1_.kd
    .uniform_work_group_size: 1
    .uses_dynamic_stack: false
    .vgpr_count:     0
    .vgpr_spill_count: 0
    .wavefront_size: 32
    .workgroup_processor_mode: 1
  - .args:
      - .offset:         0
        .size:           136
        .value_kind:     by_value
    .group_segment_fixed_size: 30720
    .kernarg_segment_align: 8
    .kernarg_segment_size: 136
    .language:       OpenCL C
    .language_version:
      - 2
      - 0
    .max_flat_workgroup_size: 256
    .name:           _ZN7rocprim17ROCPRIM_400000_NS6detail17trampoline_kernelINS0_14default_configENS1_29reduce_by_key_config_selectorIddN6thrust23THRUST_200600_302600_NS4plusIdEEEEZZNS1_33reduce_by_key_impl_wrapped_configILNS1_25lookback_scan_determinismE0ES3_S9_NS6_6detail15normal_iteratorINS6_10device_ptrIdEEEESG_SG_SG_PmS8_22is_equal_div_10_reduceIdEEE10hipError_tPvRmT2_T3_mT4_T5_T6_T7_T8_P12ihipStream_tbENKUlT_T0_E_clISt17integral_constantIbLb0EES11_EEDaSW_SX_EUlSW_E_NS1_11comp_targetILNS1_3genE9ELNS1_11target_archE1100ELNS1_3gpuE3ELNS1_3repE0EEENS1_30default_config_static_selectorELNS0_4arch9wavefront6targetE0EEEvT1_
    .private_segment_fixed_size: 0
    .sgpr_count:     50
    .sgpr_spill_count: 0
    .symbol:         _ZN7rocprim17ROCPRIM_400000_NS6detail17trampoline_kernelINS0_14default_configENS1_29reduce_by_key_config_selectorIddN6thrust23THRUST_200600_302600_NS4plusIdEEEEZZNS1_33reduce_by_key_impl_wrapped_configILNS1_25lookback_scan_determinismE0ES3_S9_NS6_6detail15normal_iteratorINS6_10device_ptrIdEEEESG_SG_SG_PmS8_22is_equal_div_10_reduceIdEEE10hipError_tPvRmT2_T3_mT4_T5_T6_T7_T8_P12ihipStream_tbENKUlT_T0_E_clISt17integral_constantIbLb0EES11_EEDaSW_SX_EUlSW_E_NS1_11comp_targetILNS1_3genE9ELNS1_11target_archE1100ELNS1_3gpuE3ELNS1_3repE0EEENS1_30default_config_static_selectorELNS0_4arch9wavefront6targetE0EEEvT1_.kd
    .uniform_work_group_size: 1
    .uses_dynamic_stack: false
    .vgpr_count:     120
    .vgpr_spill_count: 0
    .wavefront_size: 32
    .workgroup_processor_mode: 1
  - .args:
      - .offset:         0
        .size:           136
        .value_kind:     by_value
    .group_segment_fixed_size: 0
    .kernarg_segment_align: 8
    .kernarg_segment_size: 136
    .language:       OpenCL C
    .language_version:
      - 2
      - 0
    .max_flat_workgroup_size: 256
    .name:           _ZN7rocprim17ROCPRIM_400000_NS6detail17trampoline_kernelINS0_14default_configENS1_29reduce_by_key_config_selectorIddN6thrust23THRUST_200600_302600_NS4plusIdEEEEZZNS1_33reduce_by_key_impl_wrapped_configILNS1_25lookback_scan_determinismE0ES3_S9_NS6_6detail15normal_iteratorINS6_10device_ptrIdEEEESG_SG_SG_PmS8_22is_equal_div_10_reduceIdEEE10hipError_tPvRmT2_T3_mT4_T5_T6_T7_T8_P12ihipStream_tbENKUlT_T0_E_clISt17integral_constantIbLb0EES11_EEDaSW_SX_EUlSW_E_NS1_11comp_targetILNS1_3genE8ELNS1_11target_archE1030ELNS1_3gpuE2ELNS1_3repE0EEENS1_30default_config_static_selectorELNS0_4arch9wavefront6targetE0EEEvT1_
    .private_segment_fixed_size: 0
    .sgpr_count:     0
    .sgpr_spill_count: 0
    .symbol:         _ZN7rocprim17ROCPRIM_400000_NS6detail17trampoline_kernelINS0_14default_configENS1_29reduce_by_key_config_selectorIddN6thrust23THRUST_200600_302600_NS4plusIdEEEEZZNS1_33reduce_by_key_impl_wrapped_configILNS1_25lookback_scan_determinismE0ES3_S9_NS6_6detail15normal_iteratorINS6_10device_ptrIdEEEESG_SG_SG_PmS8_22is_equal_div_10_reduceIdEEE10hipError_tPvRmT2_T3_mT4_T5_T6_T7_T8_P12ihipStream_tbENKUlT_T0_E_clISt17integral_constantIbLb0EES11_EEDaSW_SX_EUlSW_E_NS1_11comp_targetILNS1_3genE8ELNS1_11target_archE1030ELNS1_3gpuE2ELNS1_3repE0EEENS1_30default_config_static_selectorELNS0_4arch9wavefront6targetE0EEEvT1_.kd
    .uniform_work_group_size: 1
    .uses_dynamic_stack: false
    .vgpr_count:     0
    .vgpr_spill_count: 0
    .wavefront_size: 32
    .workgroup_processor_mode: 1
  - .args:
      - .offset:         0
        .size:           136
        .value_kind:     by_value
    .group_segment_fixed_size: 0
    .kernarg_segment_align: 8
    .kernarg_segment_size: 136
    .language:       OpenCL C
    .language_version:
      - 2
      - 0
    .max_flat_workgroup_size: 256
    .name:           _ZN7rocprim17ROCPRIM_400000_NS6detail17trampoline_kernelINS0_14default_configENS1_29reduce_by_key_config_selectorIddN6thrust23THRUST_200600_302600_NS4plusIdEEEEZZNS1_33reduce_by_key_impl_wrapped_configILNS1_25lookback_scan_determinismE0ES3_S9_NS6_6detail15normal_iteratorINS6_10device_ptrIdEEEESG_SG_SG_PmS8_22is_equal_div_10_reduceIdEEE10hipError_tPvRmT2_T3_mT4_T5_T6_T7_T8_P12ihipStream_tbENKUlT_T0_E_clISt17integral_constantIbLb1EES11_EEDaSW_SX_EUlSW_E_NS1_11comp_targetILNS1_3genE0ELNS1_11target_archE4294967295ELNS1_3gpuE0ELNS1_3repE0EEENS1_30default_config_static_selectorELNS0_4arch9wavefront6targetE0EEEvT1_
    .private_segment_fixed_size: 0
    .sgpr_count:     0
    .sgpr_spill_count: 0
    .symbol:         _ZN7rocprim17ROCPRIM_400000_NS6detail17trampoline_kernelINS0_14default_configENS1_29reduce_by_key_config_selectorIddN6thrust23THRUST_200600_302600_NS4plusIdEEEEZZNS1_33reduce_by_key_impl_wrapped_configILNS1_25lookback_scan_determinismE0ES3_S9_NS6_6detail15normal_iteratorINS6_10device_ptrIdEEEESG_SG_SG_PmS8_22is_equal_div_10_reduceIdEEE10hipError_tPvRmT2_T3_mT4_T5_T6_T7_T8_P12ihipStream_tbENKUlT_T0_E_clISt17integral_constantIbLb1EES11_EEDaSW_SX_EUlSW_E_NS1_11comp_targetILNS1_3genE0ELNS1_11target_archE4294967295ELNS1_3gpuE0ELNS1_3repE0EEENS1_30default_config_static_selectorELNS0_4arch9wavefront6targetE0EEEvT1_.kd
    .uniform_work_group_size: 1
    .uses_dynamic_stack: false
    .vgpr_count:     0
    .vgpr_spill_count: 0
    .wavefront_size: 32
    .workgroup_processor_mode: 1
  - .args:
      - .offset:         0
        .size:           136
        .value_kind:     by_value
    .group_segment_fixed_size: 0
    .kernarg_segment_align: 8
    .kernarg_segment_size: 136
    .language:       OpenCL C
    .language_version:
      - 2
      - 0
    .max_flat_workgroup_size: 256
    .name:           _ZN7rocprim17ROCPRIM_400000_NS6detail17trampoline_kernelINS0_14default_configENS1_29reduce_by_key_config_selectorIddN6thrust23THRUST_200600_302600_NS4plusIdEEEEZZNS1_33reduce_by_key_impl_wrapped_configILNS1_25lookback_scan_determinismE0ES3_S9_NS6_6detail15normal_iteratorINS6_10device_ptrIdEEEESG_SG_SG_PmS8_22is_equal_div_10_reduceIdEEE10hipError_tPvRmT2_T3_mT4_T5_T6_T7_T8_P12ihipStream_tbENKUlT_T0_E_clISt17integral_constantIbLb1EES11_EEDaSW_SX_EUlSW_E_NS1_11comp_targetILNS1_3genE5ELNS1_11target_archE942ELNS1_3gpuE9ELNS1_3repE0EEENS1_30default_config_static_selectorELNS0_4arch9wavefront6targetE0EEEvT1_
    .private_segment_fixed_size: 0
    .sgpr_count:     0
    .sgpr_spill_count: 0
    .symbol:         _ZN7rocprim17ROCPRIM_400000_NS6detail17trampoline_kernelINS0_14default_configENS1_29reduce_by_key_config_selectorIddN6thrust23THRUST_200600_302600_NS4plusIdEEEEZZNS1_33reduce_by_key_impl_wrapped_configILNS1_25lookback_scan_determinismE0ES3_S9_NS6_6detail15normal_iteratorINS6_10device_ptrIdEEEESG_SG_SG_PmS8_22is_equal_div_10_reduceIdEEE10hipError_tPvRmT2_T3_mT4_T5_T6_T7_T8_P12ihipStream_tbENKUlT_T0_E_clISt17integral_constantIbLb1EES11_EEDaSW_SX_EUlSW_E_NS1_11comp_targetILNS1_3genE5ELNS1_11target_archE942ELNS1_3gpuE9ELNS1_3repE0EEENS1_30default_config_static_selectorELNS0_4arch9wavefront6targetE0EEEvT1_.kd
    .uniform_work_group_size: 1
    .uses_dynamic_stack: false
    .vgpr_count:     0
    .vgpr_spill_count: 0
    .wavefront_size: 32
    .workgroup_processor_mode: 1
  - .args:
      - .offset:         0
        .size:           136
        .value_kind:     by_value
    .group_segment_fixed_size: 0
    .kernarg_segment_align: 8
    .kernarg_segment_size: 136
    .language:       OpenCL C
    .language_version:
      - 2
      - 0
    .max_flat_workgroup_size: 256
    .name:           _ZN7rocprim17ROCPRIM_400000_NS6detail17trampoline_kernelINS0_14default_configENS1_29reduce_by_key_config_selectorIddN6thrust23THRUST_200600_302600_NS4plusIdEEEEZZNS1_33reduce_by_key_impl_wrapped_configILNS1_25lookback_scan_determinismE0ES3_S9_NS6_6detail15normal_iteratorINS6_10device_ptrIdEEEESG_SG_SG_PmS8_22is_equal_div_10_reduceIdEEE10hipError_tPvRmT2_T3_mT4_T5_T6_T7_T8_P12ihipStream_tbENKUlT_T0_E_clISt17integral_constantIbLb1EES11_EEDaSW_SX_EUlSW_E_NS1_11comp_targetILNS1_3genE4ELNS1_11target_archE910ELNS1_3gpuE8ELNS1_3repE0EEENS1_30default_config_static_selectorELNS0_4arch9wavefront6targetE0EEEvT1_
    .private_segment_fixed_size: 0
    .sgpr_count:     0
    .sgpr_spill_count: 0
    .symbol:         _ZN7rocprim17ROCPRIM_400000_NS6detail17trampoline_kernelINS0_14default_configENS1_29reduce_by_key_config_selectorIddN6thrust23THRUST_200600_302600_NS4plusIdEEEEZZNS1_33reduce_by_key_impl_wrapped_configILNS1_25lookback_scan_determinismE0ES3_S9_NS6_6detail15normal_iteratorINS6_10device_ptrIdEEEESG_SG_SG_PmS8_22is_equal_div_10_reduceIdEEE10hipError_tPvRmT2_T3_mT4_T5_T6_T7_T8_P12ihipStream_tbENKUlT_T0_E_clISt17integral_constantIbLb1EES11_EEDaSW_SX_EUlSW_E_NS1_11comp_targetILNS1_3genE4ELNS1_11target_archE910ELNS1_3gpuE8ELNS1_3repE0EEENS1_30default_config_static_selectorELNS0_4arch9wavefront6targetE0EEEvT1_.kd
    .uniform_work_group_size: 1
    .uses_dynamic_stack: false
    .vgpr_count:     0
    .vgpr_spill_count: 0
    .wavefront_size: 32
    .workgroup_processor_mode: 1
  - .args:
      - .offset:         0
        .size:           136
        .value_kind:     by_value
    .group_segment_fixed_size: 0
    .kernarg_segment_align: 8
    .kernarg_segment_size: 136
    .language:       OpenCL C
    .language_version:
      - 2
      - 0
    .max_flat_workgroup_size: 256
    .name:           _ZN7rocprim17ROCPRIM_400000_NS6detail17trampoline_kernelINS0_14default_configENS1_29reduce_by_key_config_selectorIddN6thrust23THRUST_200600_302600_NS4plusIdEEEEZZNS1_33reduce_by_key_impl_wrapped_configILNS1_25lookback_scan_determinismE0ES3_S9_NS6_6detail15normal_iteratorINS6_10device_ptrIdEEEESG_SG_SG_PmS8_22is_equal_div_10_reduceIdEEE10hipError_tPvRmT2_T3_mT4_T5_T6_T7_T8_P12ihipStream_tbENKUlT_T0_E_clISt17integral_constantIbLb1EES11_EEDaSW_SX_EUlSW_E_NS1_11comp_targetILNS1_3genE3ELNS1_11target_archE908ELNS1_3gpuE7ELNS1_3repE0EEENS1_30default_config_static_selectorELNS0_4arch9wavefront6targetE0EEEvT1_
    .private_segment_fixed_size: 0
    .sgpr_count:     0
    .sgpr_spill_count: 0
    .symbol:         _ZN7rocprim17ROCPRIM_400000_NS6detail17trampoline_kernelINS0_14default_configENS1_29reduce_by_key_config_selectorIddN6thrust23THRUST_200600_302600_NS4plusIdEEEEZZNS1_33reduce_by_key_impl_wrapped_configILNS1_25lookback_scan_determinismE0ES3_S9_NS6_6detail15normal_iteratorINS6_10device_ptrIdEEEESG_SG_SG_PmS8_22is_equal_div_10_reduceIdEEE10hipError_tPvRmT2_T3_mT4_T5_T6_T7_T8_P12ihipStream_tbENKUlT_T0_E_clISt17integral_constantIbLb1EES11_EEDaSW_SX_EUlSW_E_NS1_11comp_targetILNS1_3genE3ELNS1_11target_archE908ELNS1_3gpuE7ELNS1_3repE0EEENS1_30default_config_static_selectorELNS0_4arch9wavefront6targetE0EEEvT1_.kd
    .uniform_work_group_size: 1
    .uses_dynamic_stack: false
    .vgpr_count:     0
    .vgpr_spill_count: 0
    .wavefront_size: 32
    .workgroup_processor_mode: 1
  - .args:
      - .offset:         0
        .size:           136
        .value_kind:     by_value
    .group_segment_fixed_size: 0
    .kernarg_segment_align: 8
    .kernarg_segment_size: 136
    .language:       OpenCL C
    .language_version:
      - 2
      - 0
    .max_flat_workgroup_size: 256
    .name:           _ZN7rocprim17ROCPRIM_400000_NS6detail17trampoline_kernelINS0_14default_configENS1_29reduce_by_key_config_selectorIddN6thrust23THRUST_200600_302600_NS4plusIdEEEEZZNS1_33reduce_by_key_impl_wrapped_configILNS1_25lookback_scan_determinismE0ES3_S9_NS6_6detail15normal_iteratorINS6_10device_ptrIdEEEESG_SG_SG_PmS8_22is_equal_div_10_reduceIdEEE10hipError_tPvRmT2_T3_mT4_T5_T6_T7_T8_P12ihipStream_tbENKUlT_T0_E_clISt17integral_constantIbLb1EES11_EEDaSW_SX_EUlSW_E_NS1_11comp_targetILNS1_3genE2ELNS1_11target_archE906ELNS1_3gpuE6ELNS1_3repE0EEENS1_30default_config_static_selectorELNS0_4arch9wavefront6targetE0EEEvT1_
    .private_segment_fixed_size: 0
    .sgpr_count:     0
    .sgpr_spill_count: 0
    .symbol:         _ZN7rocprim17ROCPRIM_400000_NS6detail17trampoline_kernelINS0_14default_configENS1_29reduce_by_key_config_selectorIddN6thrust23THRUST_200600_302600_NS4plusIdEEEEZZNS1_33reduce_by_key_impl_wrapped_configILNS1_25lookback_scan_determinismE0ES3_S9_NS6_6detail15normal_iteratorINS6_10device_ptrIdEEEESG_SG_SG_PmS8_22is_equal_div_10_reduceIdEEE10hipError_tPvRmT2_T3_mT4_T5_T6_T7_T8_P12ihipStream_tbENKUlT_T0_E_clISt17integral_constantIbLb1EES11_EEDaSW_SX_EUlSW_E_NS1_11comp_targetILNS1_3genE2ELNS1_11target_archE906ELNS1_3gpuE6ELNS1_3repE0EEENS1_30default_config_static_selectorELNS0_4arch9wavefront6targetE0EEEvT1_.kd
    .uniform_work_group_size: 1
    .uses_dynamic_stack: false
    .vgpr_count:     0
    .vgpr_spill_count: 0
    .wavefront_size: 32
    .workgroup_processor_mode: 1
  - .args:
      - .offset:         0
        .size:           136
        .value_kind:     by_value
    .group_segment_fixed_size: 0
    .kernarg_segment_align: 8
    .kernarg_segment_size: 136
    .language:       OpenCL C
    .language_version:
      - 2
      - 0
    .max_flat_workgroup_size: 256
    .name:           _ZN7rocprim17ROCPRIM_400000_NS6detail17trampoline_kernelINS0_14default_configENS1_29reduce_by_key_config_selectorIddN6thrust23THRUST_200600_302600_NS4plusIdEEEEZZNS1_33reduce_by_key_impl_wrapped_configILNS1_25lookback_scan_determinismE0ES3_S9_NS6_6detail15normal_iteratorINS6_10device_ptrIdEEEESG_SG_SG_PmS8_22is_equal_div_10_reduceIdEEE10hipError_tPvRmT2_T3_mT4_T5_T6_T7_T8_P12ihipStream_tbENKUlT_T0_E_clISt17integral_constantIbLb1EES11_EEDaSW_SX_EUlSW_E_NS1_11comp_targetILNS1_3genE10ELNS1_11target_archE1201ELNS1_3gpuE5ELNS1_3repE0EEENS1_30default_config_static_selectorELNS0_4arch9wavefront6targetE0EEEvT1_
    .private_segment_fixed_size: 0
    .sgpr_count:     0
    .sgpr_spill_count: 0
    .symbol:         _ZN7rocprim17ROCPRIM_400000_NS6detail17trampoline_kernelINS0_14default_configENS1_29reduce_by_key_config_selectorIddN6thrust23THRUST_200600_302600_NS4plusIdEEEEZZNS1_33reduce_by_key_impl_wrapped_configILNS1_25lookback_scan_determinismE0ES3_S9_NS6_6detail15normal_iteratorINS6_10device_ptrIdEEEESG_SG_SG_PmS8_22is_equal_div_10_reduceIdEEE10hipError_tPvRmT2_T3_mT4_T5_T6_T7_T8_P12ihipStream_tbENKUlT_T0_E_clISt17integral_constantIbLb1EES11_EEDaSW_SX_EUlSW_E_NS1_11comp_targetILNS1_3genE10ELNS1_11target_archE1201ELNS1_3gpuE5ELNS1_3repE0EEENS1_30default_config_static_selectorELNS0_4arch9wavefront6targetE0EEEvT1_.kd
    .uniform_work_group_size: 1
    .uses_dynamic_stack: false
    .vgpr_count:     0
    .vgpr_spill_count: 0
    .wavefront_size: 32
    .workgroup_processor_mode: 1
  - .args:
      - .offset:         0
        .size:           136
        .value_kind:     by_value
    .group_segment_fixed_size: 0
    .kernarg_segment_align: 8
    .kernarg_segment_size: 136
    .language:       OpenCL C
    .language_version:
      - 2
      - 0
    .max_flat_workgroup_size: 256
    .name:           _ZN7rocprim17ROCPRIM_400000_NS6detail17trampoline_kernelINS0_14default_configENS1_29reduce_by_key_config_selectorIddN6thrust23THRUST_200600_302600_NS4plusIdEEEEZZNS1_33reduce_by_key_impl_wrapped_configILNS1_25lookback_scan_determinismE0ES3_S9_NS6_6detail15normal_iteratorINS6_10device_ptrIdEEEESG_SG_SG_PmS8_22is_equal_div_10_reduceIdEEE10hipError_tPvRmT2_T3_mT4_T5_T6_T7_T8_P12ihipStream_tbENKUlT_T0_E_clISt17integral_constantIbLb1EES11_EEDaSW_SX_EUlSW_E_NS1_11comp_targetILNS1_3genE10ELNS1_11target_archE1200ELNS1_3gpuE4ELNS1_3repE0EEENS1_30default_config_static_selectorELNS0_4arch9wavefront6targetE0EEEvT1_
    .private_segment_fixed_size: 0
    .sgpr_count:     0
    .sgpr_spill_count: 0
    .symbol:         _ZN7rocprim17ROCPRIM_400000_NS6detail17trampoline_kernelINS0_14default_configENS1_29reduce_by_key_config_selectorIddN6thrust23THRUST_200600_302600_NS4plusIdEEEEZZNS1_33reduce_by_key_impl_wrapped_configILNS1_25lookback_scan_determinismE0ES3_S9_NS6_6detail15normal_iteratorINS6_10device_ptrIdEEEESG_SG_SG_PmS8_22is_equal_div_10_reduceIdEEE10hipError_tPvRmT2_T3_mT4_T5_T6_T7_T8_P12ihipStream_tbENKUlT_T0_E_clISt17integral_constantIbLb1EES11_EEDaSW_SX_EUlSW_E_NS1_11comp_targetILNS1_3genE10ELNS1_11target_archE1200ELNS1_3gpuE4ELNS1_3repE0EEENS1_30default_config_static_selectorELNS0_4arch9wavefront6targetE0EEEvT1_.kd
    .uniform_work_group_size: 1
    .uses_dynamic_stack: false
    .vgpr_count:     0
    .vgpr_spill_count: 0
    .wavefront_size: 32
    .workgroup_processor_mode: 1
  - .args:
      - .offset:         0
        .size:           136
        .value_kind:     by_value
    .group_segment_fixed_size: 30720
    .kernarg_segment_align: 8
    .kernarg_segment_size: 136
    .language:       OpenCL C
    .language_version:
      - 2
      - 0
    .max_flat_workgroup_size: 256
    .name:           _ZN7rocprim17ROCPRIM_400000_NS6detail17trampoline_kernelINS0_14default_configENS1_29reduce_by_key_config_selectorIddN6thrust23THRUST_200600_302600_NS4plusIdEEEEZZNS1_33reduce_by_key_impl_wrapped_configILNS1_25lookback_scan_determinismE0ES3_S9_NS6_6detail15normal_iteratorINS6_10device_ptrIdEEEESG_SG_SG_PmS8_22is_equal_div_10_reduceIdEEE10hipError_tPvRmT2_T3_mT4_T5_T6_T7_T8_P12ihipStream_tbENKUlT_T0_E_clISt17integral_constantIbLb1EES11_EEDaSW_SX_EUlSW_E_NS1_11comp_targetILNS1_3genE9ELNS1_11target_archE1100ELNS1_3gpuE3ELNS1_3repE0EEENS1_30default_config_static_selectorELNS0_4arch9wavefront6targetE0EEEvT1_
    .private_segment_fixed_size: 0
    .sgpr_count:     54
    .sgpr_spill_count: 0
    .symbol:         _ZN7rocprim17ROCPRIM_400000_NS6detail17trampoline_kernelINS0_14default_configENS1_29reduce_by_key_config_selectorIddN6thrust23THRUST_200600_302600_NS4plusIdEEEEZZNS1_33reduce_by_key_impl_wrapped_configILNS1_25lookback_scan_determinismE0ES3_S9_NS6_6detail15normal_iteratorINS6_10device_ptrIdEEEESG_SG_SG_PmS8_22is_equal_div_10_reduceIdEEE10hipError_tPvRmT2_T3_mT4_T5_T6_T7_T8_P12ihipStream_tbENKUlT_T0_E_clISt17integral_constantIbLb1EES11_EEDaSW_SX_EUlSW_E_NS1_11comp_targetILNS1_3genE9ELNS1_11target_archE1100ELNS1_3gpuE3ELNS1_3repE0EEENS1_30default_config_static_selectorELNS0_4arch9wavefront6targetE0EEEvT1_.kd
    .uniform_work_group_size: 1
    .uses_dynamic_stack: false
    .vgpr_count:     119
    .vgpr_spill_count: 0
    .wavefront_size: 32
    .workgroup_processor_mode: 1
  - .args:
      - .offset:         0
        .size:           136
        .value_kind:     by_value
    .group_segment_fixed_size: 0
    .kernarg_segment_align: 8
    .kernarg_segment_size: 136
    .language:       OpenCL C
    .language_version:
      - 2
      - 0
    .max_flat_workgroup_size: 256
    .name:           _ZN7rocprim17ROCPRIM_400000_NS6detail17trampoline_kernelINS0_14default_configENS1_29reduce_by_key_config_selectorIddN6thrust23THRUST_200600_302600_NS4plusIdEEEEZZNS1_33reduce_by_key_impl_wrapped_configILNS1_25lookback_scan_determinismE0ES3_S9_NS6_6detail15normal_iteratorINS6_10device_ptrIdEEEESG_SG_SG_PmS8_22is_equal_div_10_reduceIdEEE10hipError_tPvRmT2_T3_mT4_T5_T6_T7_T8_P12ihipStream_tbENKUlT_T0_E_clISt17integral_constantIbLb1EES11_EEDaSW_SX_EUlSW_E_NS1_11comp_targetILNS1_3genE8ELNS1_11target_archE1030ELNS1_3gpuE2ELNS1_3repE0EEENS1_30default_config_static_selectorELNS0_4arch9wavefront6targetE0EEEvT1_
    .private_segment_fixed_size: 0
    .sgpr_count:     0
    .sgpr_spill_count: 0
    .symbol:         _ZN7rocprim17ROCPRIM_400000_NS6detail17trampoline_kernelINS0_14default_configENS1_29reduce_by_key_config_selectorIddN6thrust23THRUST_200600_302600_NS4plusIdEEEEZZNS1_33reduce_by_key_impl_wrapped_configILNS1_25lookback_scan_determinismE0ES3_S9_NS6_6detail15normal_iteratorINS6_10device_ptrIdEEEESG_SG_SG_PmS8_22is_equal_div_10_reduceIdEEE10hipError_tPvRmT2_T3_mT4_T5_T6_T7_T8_P12ihipStream_tbENKUlT_T0_E_clISt17integral_constantIbLb1EES11_EEDaSW_SX_EUlSW_E_NS1_11comp_targetILNS1_3genE8ELNS1_11target_archE1030ELNS1_3gpuE2ELNS1_3repE0EEENS1_30default_config_static_selectorELNS0_4arch9wavefront6targetE0EEEvT1_.kd
    .uniform_work_group_size: 1
    .uses_dynamic_stack: false
    .vgpr_count:     0
    .vgpr_spill_count: 0
    .wavefront_size: 32
    .workgroup_processor_mode: 1
  - .args:
      - .offset:         0
        .size:           136
        .value_kind:     by_value
    .group_segment_fixed_size: 0
    .kernarg_segment_align: 8
    .kernarg_segment_size: 136
    .language:       OpenCL C
    .language_version:
      - 2
      - 0
    .max_flat_workgroup_size: 256
    .name:           _ZN7rocprim17ROCPRIM_400000_NS6detail17trampoline_kernelINS0_14default_configENS1_29reduce_by_key_config_selectorIddN6thrust23THRUST_200600_302600_NS4plusIdEEEEZZNS1_33reduce_by_key_impl_wrapped_configILNS1_25lookback_scan_determinismE0ES3_S9_NS6_6detail15normal_iteratorINS6_10device_ptrIdEEEESG_SG_SG_PmS8_22is_equal_div_10_reduceIdEEE10hipError_tPvRmT2_T3_mT4_T5_T6_T7_T8_P12ihipStream_tbENKUlT_T0_E_clISt17integral_constantIbLb1EES10_IbLb0EEEEDaSW_SX_EUlSW_E_NS1_11comp_targetILNS1_3genE0ELNS1_11target_archE4294967295ELNS1_3gpuE0ELNS1_3repE0EEENS1_30default_config_static_selectorELNS0_4arch9wavefront6targetE0EEEvT1_
    .private_segment_fixed_size: 0
    .sgpr_count:     0
    .sgpr_spill_count: 0
    .symbol:         _ZN7rocprim17ROCPRIM_400000_NS6detail17trampoline_kernelINS0_14default_configENS1_29reduce_by_key_config_selectorIddN6thrust23THRUST_200600_302600_NS4plusIdEEEEZZNS1_33reduce_by_key_impl_wrapped_configILNS1_25lookback_scan_determinismE0ES3_S9_NS6_6detail15normal_iteratorINS6_10device_ptrIdEEEESG_SG_SG_PmS8_22is_equal_div_10_reduceIdEEE10hipError_tPvRmT2_T3_mT4_T5_T6_T7_T8_P12ihipStream_tbENKUlT_T0_E_clISt17integral_constantIbLb1EES10_IbLb0EEEEDaSW_SX_EUlSW_E_NS1_11comp_targetILNS1_3genE0ELNS1_11target_archE4294967295ELNS1_3gpuE0ELNS1_3repE0EEENS1_30default_config_static_selectorELNS0_4arch9wavefront6targetE0EEEvT1_.kd
    .uniform_work_group_size: 1
    .uses_dynamic_stack: false
    .vgpr_count:     0
    .vgpr_spill_count: 0
    .wavefront_size: 32
    .workgroup_processor_mode: 1
  - .args:
      - .offset:         0
        .size:           136
        .value_kind:     by_value
    .group_segment_fixed_size: 0
    .kernarg_segment_align: 8
    .kernarg_segment_size: 136
    .language:       OpenCL C
    .language_version:
      - 2
      - 0
    .max_flat_workgroup_size: 256
    .name:           _ZN7rocprim17ROCPRIM_400000_NS6detail17trampoline_kernelINS0_14default_configENS1_29reduce_by_key_config_selectorIddN6thrust23THRUST_200600_302600_NS4plusIdEEEEZZNS1_33reduce_by_key_impl_wrapped_configILNS1_25lookback_scan_determinismE0ES3_S9_NS6_6detail15normal_iteratorINS6_10device_ptrIdEEEESG_SG_SG_PmS8_22is_equal_div_10_reduceIdEEE10hipError_tPvRmT2_T3_mT4_T5_T6_T7_T8_P12ihipStream_tbENKUlT_T0_E_clISt17integral_constantIbLb1EES10_IbLb0EEEEDaSW_SX_EUlSW_E_NS1_11comp_targetILNS1_3genE5ELNS1_11target_archE942ELNS1_3gpuE9ELNS1_3repE0EEENS1_30default_config_static_selectorELNS0_4arch9wavefront6targetE0EEEvT1_
    .private_segment_fixed_size: 0
    .sgpr_count:     0
    .sgpr_spill_count: 0
    .symbol:         _ZN7rocprim17ROCPRIM_400000_NS6detail17trampoline_kernelINS0_14default_configENS1_29reduce_by_key_config_selectorIddN6thrust23THRUST_200600_302600_NS4plusIdEEEEZZNS1_33reduce_by_key_impl_wrapped_configILNS1_25lookback_scan_determinismE0ES3_S9_NS6_6detail15normal_iteratorINS6_10device_ptrIdEEEESG_SG_SG_PmS8_22is_equal_div_10_reduceIdEEE10hipError_tPvRmT2_T3_mT4_T5_T6_T7_T8_P12ihipStream_tbENKUlT_T0_E_clISt17integral_constantIbLb1EES10_IbLb0EEEEDaSW_SX_EUlSW_E_NS1_11comp_targetILNS1_3genE5ELNS1_11target_archE942ELNS1_3gpuE9ELNS1_3repE0EEENS1_30default_config_static_selectorELNS0_4arch9wavefront6targetE0EEEvT1_.kd
    .uniform_work_group_size: 1
    .uses_dynamic_stack: false
    .vgpr_count:     0
    .vgpr_spill_count: 0
    .wavefront_size: 32
    .workgroup_processor_mode: 1
  - .args:
      - .offset:         0
        .size:           136
        .value_kind:     by_value
    .group_segment_fixed_size: 0
    .kernarg_segment_align: 8
    .kernarg_segment_size: 136
    .language:       OpenCL C
    .language_version:
      - 2
      - 0
    .max_flat_workgroup_size: 256
    .name:           _ZN7rocprim17ROCPRIM_400000_NS6detail17trampoline_kernelINS0_14default_configENS1_29reduce_by_key_config_selectorIddN6thrust23THRUST_200600_302600_NS4plusIdEEEEZZNS1_33reduce_by_key_impl_wrapped_configILNS1_25lookback_scan_determinismE0ES3_S9_NS6_6detail15normal_iteratorINS6_10device_ptrIdEEEESG_SG_SG_PmS8_22is_equal_div_10_reduceIdEEE10hipError_tPvRmT2_T3_mT4_T5_T6_T7_T8_P12ihipStream_tbENKUlT_T0_E_clISt17integral_constantIbLb1EES10_IbLb0EEEEDaSW_SX_EUlSW_E_NS1_11comp_targetILNS1_3genE4ELNS1_11target_archE910ELNS1_3gpuE8ELNS1_3repE0EEENS1_30default_config_static_selectorELNS0_4arch9wavefront6targetE0EEEvT1_
    .private_segment_fixed_size: 0
    .sgpr_count:     0
    .sgpr_spill_count: 0
    .symbol:         _ZN7rocprim17ROCPRIM_400000_NS6detail17trampoline_kernelINS0_14default_configENS1_29reduce_by_key_config_selectorIddN6thrust23THRUST_200600_302600_NS4plusIdEEEEZZNS1_33reduce_by_key_impl_wrapped_configILNS1_25lookback_scan_determinismE0ES3_S9_NS6_6detail15normal_iteratorINS6_10device_ptrIdEEEESG_SG_SG_PmS8_22is_equal_div_10_reduceIdEEE10hipError_tPvRmT2_T3_mT4_T5_T6_T7_T8_P12ihipStream_tbENKUlT_T0_E_clISt17integral_constantIbLb1EES10_IbLb0EEEEDaSW_SX_EUlSW_E_NS1_11comp_targetILNS1_3genE4ELNS1_11target_archE910ELNS1_3gpuE8ELNS1_3repE0EEENS1_30default_config_static_selectorELNS0_4arch9wavefront6targetE0EEEvT1_.kd
    .uniform_work_group_size: 1
    .uses_dynamic_stack: false
    .vgpr_count:     0
    .vgpr_spill_count: 0
    .wavefront_size: 32
    .workgroup_processor_mode: 1
  - .args:
      - .offset:         0
        .size:           136
        .value_kind:     by_value
    .group_segment_fixed_size: 0
    .kernarg_segment_align: 8
    .kernarg_segment_size: 136
    .language:       OpenCL C
    .language_version:
      - 2
      - 0
    .max_flat_workgroup_size: 256
    .name:           _ZN7rocprim17ROCPRIM_400000_NS6detail17trampoline_kernelINS0_14default_configENS1_29reduce_by_key_config_selectorIddN6thrust23THRUST_200600_302600_NS4plusIdEEEEZZNS1_33reduce_by_key_impl_wrapped_configILNS1_25lookback_scan_determinismE0ES3_S9_NS6_6detail15normal_iteratorINS6_10device_ptrIdEEEESG_SG_SG_PmS8_22is_equal_div_10_reduceIdEEE10hipError_tPvRmT2_T3_mT4_T5_T6_T7_T8_P12ihipStream_tbENKUlT_T0_E_clISt17integral_constantIbLb1EES10_IbLb0EEEEDaSW_SX_EUlSW_E_NS1_11comp_targetILNS1_3genE3ELNS1_11target_archE908ELNS1_3gpuE7ELNS1_3repE0EEENS1_30default_config_static_selectorELNS0_4arch9wavefront6targetE0EEEvT1_
    .private_segment_fixed_size: 0
    .sgpr_count:     0
    .sgpr_spill_count: 0
    .symbol:         _ZN7rocprim17ROCPRIM_400000_NS6detail17trampoline_kernelINS0_14default_configENS1_29reduce_by_key_config_selectorIddN6thrust23THRUST_200600_302600_NS4plusIdEEEEZZNS1_33reduce_by_key_impl_wrapped_configILNS1_25lookback_scan_determinismE0ES3_S9_NS6_6detail15normal_iteratorINS6_10device_ptrIdEEEESG_SG_SG_PmS8_22is_equal_div_10_reduceIdEEE10hipError_tPvRmT2_T3_mT4_T5_T6_T7_T8_P12ihipStream_tbENKUlT_T0_E_clISt17integral_constantIbLb1EES10_IbLb0EEEEDaSW_SX_EUlSW_E_NS1_11comp_targetILNS1_3genE3ELNS1_11target_archE908ELNS1_3gpuE7ELNS1_3repE0EEENS1_30default_config_static_selectorELNS0_4arch9wavefront6targetE0EEEvT1_.kd
    .uniform_work_group_size: 1
    .uses_dynamic_stack: false
    .vgpr_count:     0
    .vgpr_spill_count: 0
    .wavefront_size: 32
    .workgroup_processor_mode: 1
  - .args:
      - .offset:         0
        .size:           136
        .value_kind:     by_value
    .group_segment_fixed_size: 0
    .kernarg_segment_align: 8
    .kernarg_segment_size: 136
    .language:       OpenCL C
    .language_version:
      - 2
      - 0
    .max_flat_workgroup_size: 256
    .name:           _ZN7rocprim17ROCPRIM_400000_NS6detail17trampoline_kernelINS0_14default_configENS1_29reduce_by_key_config_selectorIddN6thrust23THRUST_200600_302600_NS4plusIdEEEEZZNS1_33reduce_by_key_impl_wrapped_configILNS1_25lookback_scan_determinismE0ES3_S9_NS6_6detail15normal_iteratorINS6_10device_ptrIdEEEESG_SG_SG_PmS8_22is_equal_div_10_reduceIdEEE10hipError_tPvRmT2_T3_mT4_T5_T6_T7_T8_P12ihipStream_tbENKUlT_T0_E_clISt17integral_constantIbLb1EES10_IbLb0EEEEDaSW_SX_EUlSW_E_NS1_11comp_targetILNS1_3genE2ELNS1_11target_archE906ELNS1_3gpuE6ELNS1_3repE0EEENS1_30default_config_static_selectorELNS0_4arch9wavefront6targetE0EEEvT1_
    .private_segment_fixed_size: 0
    .sgpr_count:     0
    .sgpr_spill_count: 0
    .symbol:         _ZN7rocprim17ROCPRIM_400000_NS6detail17trampoline_kernelINS0_14default_configENS1_29reduce_by_key_config_selectorIddN6thrust23THRUST_200600_302600_NS4plusIdEEEEZZNS1_33reduce_by_key_impl_wrapped_configILNS1_25lookback_scan_determinismE0ES3_S9_NS6_6detail15normal_iteratorINS6_10device_ptrIdEEEESG_SG_SG_PmS8_22is_equal_div_10_reduceIdEEE10hipError_tPvRmT2_T3_mT4_T5_T6_T7_T8_P12ihipStream_tbENKUlT_T0_E_clISt17integral_constantIbLb1EES10_IbLb0EEEEDaSW_SX_EUlSW_E_NS1_11comp_targetILNS1_3genE2ELNS1_11target_archE906ELNS1_3gpuE6ELNS1_3repE0EEENS1_30default_config_static_selectorELNS0_4arch9wavefront6targetE0EEEvT1_.kd
    .uniform_work_group_size: 1
    .uses_dynamic_stack: false
    .vgpr_count:     0
    .vgpr_spill_count: 0
    .wavefront_size: 32
    .workgroup_processor_mode: 1
  - .args:
      - .offset:         0
        .size:           136
        .value_kind:     by_value
    .group_segment_fixed_size: 0
    .kernarg_segment_align: 8
    .kernarg_segment_size: 136
    .language:       OpenCL C
    .language_version:
      - 2
      - 0
    .max_flat_workgroup_size: 256
    .name:           _ZN7rocprim17ROCPRIM_400000_NS6detail17trampoline_kernelINS0_14default_configENS1_29reduce_by_key_config_selectorIddN6thrust23THRUST_200600_302600_NS4plusIdEEEEZZNS1_33reduce_by_key_impl_wrapped_configILNS1_25lookback_scan_determinismE0ES3_S9_NS6_6detail15normal_iteratorINS6_10device_ptrIdEEEESG_SG_SG_PmS8_22is_equal_div_10_reduceIdEEE10hipError_tPvRmT2_T3_mT4_T5_T6_T7_T8_P12ihipStream_tbENKUlT_T0_E_clISt17integral_constantIbLb1EES10_IbLb0EEEEDaSW_SX_EUlSW_E_NS1_11comp_targetILNS1_3genE10ELNS1_11target_archE1201ELNS1_3gpuE5ELNS1_3repE0EEENS1_30default_config_static_selectorELNS0_4arch9wavefront6targetE0EEEvT1_
    .private_segment_fixed_size: 0
    .sgpr_count:     0
    .sgpr_spill_count: 0
    .symbol:         _ZN7rocprim17ROCPRIM_400000_NS6detail17trampoline_kernelINS0_14default_configENS1_29reduce_by_key_config_selectorIddN6thrust23THRUST_200600_302600_NS4plusIdEEEEZZNS1_33reduce_by_key_impl_wrapped_configILNS1_25lookback_scan_determinismE0ES3_S9_NS6_6detail15normal_iteratorINS6_10device_ptrIdEEEESG_SG_SG_PmS8_22is_equal_div_10_reduceIdEEE10hipError_tPvRmT2_T3_mT4_T5_T6_T7_T8_P12ihipStream_tbENKUlT_T0_E_clISt17integral_constantIbLb1EES10_IbLb0EEEEDaSW_SX_EUlSW_E_NS1_11comp_targetILNS1_3genE10ELNS1_11target_archE1201ELNS1_3gpuE5ELNS1_3repE0EEENS1_30default_config_static_selectorELNS0_4arch9wavefront6targetE0EEEvT1_.kd
    .uniform_work_group_size: 1
    .uses_dynamic_stack: false
    .vgpr_count:     0
    .vgpr_spill_count: 0
    .wavefront_size: 32
    .workgroup_processor_mode: 1
  - .args:
      - .offset:         0
        .size:           136
        .value_kind:     by_value
    .group_segment_fixed_size: 0
    .kernarg_segment_align: 8
    .kernarg_segment_size: 136
    .language:       OpenCL C
    .language_version:
      - 2
      - 0
    .max_flat_workgroup_size: 256
    .name:           _ZN7rocprim17ROCPRIM_400000_NS6detail17trampoline_kernelINS0_14default_configENS1_29reduce_by_key_config_selectorIddN6thrust23THRUST_200600_302600_NS4plusIdEEEEZZNS1_33reduce_by_key_impl_wrapped_configILNS1_25lookback_scan_determinismE0ES3_S9_NS6_6detail15normal_iteratorINS6_10device_ptrIdEEEESG_SG_SG_PmS8_22is_equal_div_10_reduceIdEEE10hipError_tPvRmT2_T3_mT4_T5_T6_T7_T8_P12ihipStream_tbENKUlT_T0_E_clISt17integral_constantIbLb1EES10_IbLb0EEEEDaSW_SX_EUlSW_E_NS1_11comp_targetILNS1_3genE10ELNS1_11target_archE1200ELNS1_3gpuE4ELNS1_3repE0EEENS1_30default_config_static_selectorELNS0_4arch9wavefront6targetE0EEEvT1_
    .private_segment_fixed_size: 0
    .sgpr_count:     0
    .sgpr_spill_count: 0
    .symbol:         _ZN7rocprim17ROCPRIM_400000_NS6detail17trampoline_kernelINS0_14default_configENS1_29reduce_by_key_config_selectorIddN6thrust23THRUST_200600_302600_NS4plusIdEEEEZZNS1_33reduce_by_key_impl_wrapped_configILNS1_25lookback_scan_determinismE0ES3_S9_NS6_6detail15normal_iteratorINS6_10device_ptrIdEEEESG_SG_SG_PmS8_22is_equal_div_10_reduceIdEEE10hipError_tPvRmT2_T3_mT4_T5_T6_T7_T8_P12ihipStream_tbENKUlT_T0_E_clISt17integral_constantIbLb1EES10_IbLb0EEEEDaSW_SX_EUlSW_E_NS1_11comp_targetILNS1_3genE10ELNS1_11target_archE1200ELNS1_3gpuE4ELNS1_3repE0EEENS1_30default_config_static_selectorELNS0_4arch9wavefront6targetE0EEEvT1_.kd
    .uniform_work_group_size: 1
    .uses_dynamic_stack: false
    .vgpr_count:     0
    .vgpr_spill_count: 0
    .wavefront_size: 32
    .workgroup_processor_mode: 1
  - .args:
      - .offset:         0
        .size:           136
        .value_kind:     by_value
    .group_segment_fixed_size: 30720
    .kernarg_segment_align: 8
    .kernarg_segment_size: 136
    .language:       OpenCL C
    .language_version:
      - 2
      - 0
    .max_flat_workgroup_size: 256
    .name:           _ZN7rocprim17ROCPRIM_400000_NS6detail17trampoline_kernelINS0_14default_configENS1_29reduce_by_key_config_selectorIddN6thrust23THRUST_200600_302600_NS4plusIdEEEEZZNS1_33reduce_by_key_impl_wrapped_configILNS1_25lookback_scan_determinismE0ES3_S9_NS6_6detail15normal_iteratorINS6_10device_ptrIdEEEESG_SG_SG_PmS8_22is_equal_div_10_reduceIdEEE10hipError_tPvRmT2_T3_mT4_T5_T6_T7_T8_P12ihipStream_tbENKUlT_T0_E_clISt17integral_constantIbLb1EES10_IbLb0EEEEDaSW_SX_EUlSW_E_NS1_11comp_targetILNS1_3genE9ELNS1_11target_archE1100ELNS1_3gpuE3ELNS1_3repE0EEENS1_30default_config_static_selectorELNS0_4arch9wavefront6targetE0EEEvT1_
    .private_segment_fixed_size: 0
    .sgpr_count:     50
    .sgpr_spill_count: 0
    .symbol:         _ZN7rocprim17ROCPRIM_400000_NS6detail17trampoline_kernelINS0_14default_configENS1_29reduce_by_key_config_selectorIddN6thrust23THRUST_200600_302600_NS4plusIdEEEEZZNS1_33reduce_by_key_impl_wrapped_configILNS1_25lookback_scan_determinismE0ES3_S9_NS6_6detail15normal_iteratorINS6_10device_ptrIdEEEESG_SG_SG_PmS8_22is_equal_div_10_reduceIdEEE10hipError_tPvRmT2_T3_mT4_T5_T6_T7_T8_P12ihipStream_tbENKUlT_T0_E_clISt17integral_constantIbLb1EES10_IbLb0EEEEDaSW_SX_EUlSW_E_NS1_11comp_targetILNS1_3genE9ELNS1_11target_archE1100ELNS1_3gpuE3ELNS1_3repE0EEENS1_30default_config_static_selectorELNS0_4arch9wavefront6targetE0EEEvT1_.kd
    .uniform_work_group_size: 1
    .uses_dynamic_stack: false
    .vgpr_count:     119
    .vgpr_spill_count: 0
    .wavefront_size: 32
    .workgroup_processor_mode: 1
  - .args:
      - .offset:         0
        .size:           136
        .value_kind:     by_value
    .group_segment_fixed_size: 0
    .kernarg_segment_align: 8
    .kernarg_segment_size: 136
    .language:       OpenCL C
    .language_version:
      - 2
      - 0
    .max_flat_workgroup_size: 256
    .name:           _ZN7rocprim17ROCPRIM_400000_NS6detail17trampoline_kernelINS0_14default_configENS1_29reduce_by_key_config_selectorIddN6thrust23THRUST_200600_302600_NS4plusIdEEEEZZNS1_33reduce_by_key_impl_wrapped_configILNS1_25lookback_scan_determinismE0ES3_S9_NS6_6detail15normal_iteratorINS6_10device_ptrIdEEEESG_SG_SG_PmS8_22is_equal_div_10_reduceIdEEE10hipError_tPvRmT2_T3_mT4_T5_T6_T7_T8_P12ihipStream_tbENKUlT_T0_E_clISt17integral_constantIbLb1EES10_IbLb0EEEEDaSW_SX_EUlSW_E_NS1_11comp_targetILNS1_3genE8ELNS1_11target_archE1030ELNS1_3gpuE2ELNS1_3repE0EEENS1_30default_config_static_selectorELNS0_4arch9wavefront6targetE0EEEvT1_
    .private_segment_fixed_size: 0
    .sgpr_count:     0
    .sgpr_spill_count: 0
    .symbol:         _ZN7rocprim17ROCPRIM_400000_NS6detail17trampoline_kernelINS0_14default_configENS1_29reduce_by_key_config_selectorIddN6thrust23THRUST_200600_302600_NS4plusIdEEEEZZNS1_33reduce_by_key_impl_wrapped_configILNS1_25lookback_scan_determinismE0ES3_S9_NS6_6detail15normal_iteratorINS6_10device_ptrIdEEEESG_SG_SG_PmS8_22is_equal_div_10_reduceIdEEE10hipError_tPvRmT2_T3_mT4_T5_T6_T7_T8_P12ihipStream_tbENKUlT_T0_E_clISt17integral_constantIbLb1EES10_IbLb0EEEEDaSW_SX_EUlSW_E_NS1_11comp_targetILNS1_3genE8ELNS1_11target_archE1030ELNS1_3gpuE2ELNS1_3repE0EEENS1_30default_config_static_selectorELNS0_4arch9wavefront6targetE0EEEvT1_.kd
    .uniform_work_group_size: 1
    .uses_dynamic_stack: false
    .vgpr_count:     0
    .vgpr_spill_count: 0
    .wavefront_size: 32
    .workgroup_processor_mode: 1
  - .args:
      - .offset:         0
        .size:           136
        .value_kind:     by_value
    .group_segment_fixed_size: 0
    .kernarg_segment_align: 8
    .kernarg_segment_size: 136
    .language:       OpenCL C
    .language_version:
      - 2
      - 0
    .max_flat_workgroup_size: 256
    .name:           _ZN7rocprim17ROCPRIM_400000_NS6detail17trampoline_kernelINS0_14default_configENS1_29reduce_by_key_config_selectorIddN6thrust23THRUST_200600_302600_NS4plusIdEEEEZZNS1_33reduce_by_key_impl_wrapped_configILNS1_25lookback_scan_determinismE0ES3_S9_NS6_6detail15normal_iteratorINS6_10device_ptrIdEEEESG_SG_SG_PmS8_22is_equal_div_10_reduceIdEEE10hipError_tPvRmT2_T3_mT4_T5_T6_T7_T8_P12ihipStream_tbENKUlT_T0_E_clISt17integral_constantIbLb0EES10_IbLb1EEEEDaSW_SX_EUlSW_E_NS1_11comp_targetILNS1_3genE0ELNS1_11target_archE4294967295ELNS1_3gpuE0ELNS1_3repE0EEENS1_30default_config_static_selectorELNS0_4arch9wavefront6targetE0EEEvT1_
    .private_segment_fixed_size: 0
    .sgpr_count:     0
    .sgpr_spill_count: 0
    .symbol:         _ZN7rocprim17ROCPRIM_400000_NS6detail17trampoline_kernelINS0_14default_configENS1_29reduce_by_key_config_selectorIddN6thrust23THRUST_200600_302600_NS4plusIdEEEEZZNS1_33reduce_by_key_impl_wrapped_configILNS1_25lookback_scan_determinismE0ES3_S9_NS6_6detail15normal_iteratorINS6_10device_ptrIdEEEESG_SG_SG_PmS8_22is_equal_div_10_reduceIdEEE10hipError_tPvRmT2_T3_mT4_T5_T6_T7_T8_P12ihipStream_tbENKUlT_T0_E_clISt17integral_constantIbLb0EES10_IbLb1EEEEDaSW_SX_EUlSW_E_NS1_11comp_targetILNS1_3genE0ELNS1_11target_archE4294967295ELNS1_3gpuE0ELNS1_3repE0EEENS1_30default_config_static_selectorELNS0_4arch9wavefront6targetE0EEEvT1_.kd
    .uniform_work_group_size: 1
    .uses_dynamic_stack: false
    .vgpr_count:     0
    .vgpr_spill_count: 0
    .wavefront_size: 32
    .workgroup_processor_mode: 1
  - .args:
      - .offset:         0
        .size:           136
        .value_kind:     by_value
    .group_segment_fixed_size: 0
    .kernarg_segment_align: 8
    .kernarg_segment_size: 136
    .language:       OpenCL C
    .language_version:
      - 2
      - 0
    .max_flat_workgroup_size: 256
    .name:           _ZN7rocprim17ROCPRIM_400000_NS6detail17trampoline_kernelINS0_14default_configENS1_29reduce_by_key_config_selectorIddN6thrust23THRUST_200600_302600_NS4plusIdEEEEZZNS1_33reduce_by_key_impl_wrapped_configILNS1_25lookback_scan_determinismE0ES3_S9_NS6_6detail15normal_iteratorINS6_10device_ptrIdEEEESG_SG_SG_PmS8_22is_equal_div_10_reduceIdEEE10hipError_tPvRmT2_T3_mT4_T5_T6_T7_T8_P12ihipStream_tbENKUlT_T0_E_clISt17integral_constantIbLb0EES10_IbLb1EEEEDaSW_SX_EUlSW_E_NS1_11comp_targetILNS1_3genE5ELNS1_11target_archE942ELNS1_3gpuE9ELNS1_3repE0EEENS1_30default_config_static_selectorELNS0_4arch9wavefront6targetE0EEEvT1_
    .private_segment_fixed_size: 0
    .sgpr_count:     0
    .sgpr_spill_count: 0
    .symbol:         _ZN7rocprim17ROCPRIM_400000_NS6detail17trampoline_kernelINS0_14default_configENS1_29reduce_by_key_config_selectorIddN6thrust23THRUST_200600_302600_NS4plusIdEEEEZZNS1_33reduce_by_key_impl_wrapped_configILNS1_25lookback_scan_determinismE0ES3_S9_NS6_6detail15normal_iteratorINS6_10device_ptrIdEEEESG_SG_SG_PmS8_22is_equal_div_10_reduceIdEEE10hipError_tPvRmT2_T3_mT4_T5_T6_T7_T8_P12ihipStream_tbENKUlT_T0_E_clISt17integral_constantIbLb0EES10_IbLb1EEEEDaSW_SX_EUlSW_E_NS1_11comp_targetILNS1_3genE5ELNS1_11target_archE942ELNS1_3gpuE9ELNS1_3repE0EEENS1_30default_config_static_selectorELNS0_4arch9wavefront6targetE0EEEvT1_.kd
    .uniform_work_group_size: 1
    .uses_dynamic_stack: false
    .vgpr_count:     0
    .vgpr_spill_count: 0
    .wavefront_size: 32
    .workgroup_processor_mode: 1
  - .args:
      - .offset:         0
        .size:           136
        .value_kind:     by_value
    .group_segment_fixed_size: 0
    .kernarg_segment_align: 8
    .kernarg_segment_size: 136
    .language:       OpenCL C
    .language_version:
      - 2
      - 0
    .max_flat_workgroup_size: 256
    .name:           _ZN7rocprim17ROCPRIM_400000_NS6detail17trampoline_kernelINS0_14default_configENS1_29reduce_by_key_config_selectorIddN6thrust23THRUST_200600_302600_NS4plusIdEEEEZZNS1_33reduce_by_key_impl_wrapped_configILNS1_25lookback_scan_determinismE0ES3_S9_NS6_6detail15normal_iteratorINS6_10device_ptrIdEEEESG_SG_SG_PmS8_22is_equal_div_10_reduceIdEEE10hipError_tPvRmT2_T3_mT4_T5_T6_T7_T8_P12ihipStream_tbENKUlT_T0_E_clISt17integral_constantIbLb0EES10_IbLb1EEEEDaSW_SX_EUlSW_E_NS1_11comp_targetILNS1_3genE4ELNS1_11target_archE910ELNS1_3gpuE8ELNS1_3repE0EEENS1_30default_config_static_selectorELNS0_4arch9wavefront6targetE0EEEvT1_
    .private_segment_fixed_size: 0
    .sgpr_count:     0
    .sgpr_spill_count: 0
    .symbol:         _ZN7rocprim17ROCPRIM_400000_NS6detail17trampoline_kernelINS0_14default_configENS1_29reduce_by_key_config_selectorIddN6thrust23THRUST_200600_302600_NS4plusIdEEEEZZNS1_33reduce_by_key_impl_wrapped_configILNS1_25lookback_scan_determinismE0ES3_S9_NS6_6detail15normal_iteratorINS6_10device_ptrIdEEEESG_SG_SG_PmS8_22is_equal_div_10_reduceIdEEE10hipError_tPvRmT2_T3_mT4_T5_T6_T7_T8_P12ihipStream_tbENKUlT_T0_E_clISt17integral_constantIbLb0EES10_IbLb1EEEEDaSW_SX_EUlSW_E_NS1_11comp_targetILNS1_3genE4ELNS1_11target_archE910ELNS1_3gpuE8ELNS1_3repE0EEENS1_30default_config_static_selectorELNS0_4arch9wavefront6targetE0EEEvT1_.kd
    .uniform_work_group_size: 1
    .uses_dynamic_stack: false
    .vgpr_count:     0
    .vgpr_spill_count: 0
    .wavefront_size: 32
    .workgroup_processor_mode: 1
  - .args:
      - .offset:         0
        .size:           136
        .value_kind:     by_value
    .group_segment_fixed_size: 0
    .kernarg_segment_align: 8
    .kernarg_segment_size: 136
    .language:       OpenCL C
    .language_version:
      - 2
      - 0
    .max_flat_workgroup_size: 256
    .name:           _ZN7rocprim17ROCPRIM_400000_NS6detail17trampoline_kernelINS0_14default_configENS1_29reduce_by_key_config_selectorIddN6thrust23THRUST_200600_302600_NS4plusIdEEEEZZNS1_33reduce_by_key_impl_wrapped_configILNS1_25lookback_scan_determinismE0ES3_S9_NS6_6detail15normal_iteratorINS6_10device_ptrIdEEEESG_SG_SG_PmS8_22is_equal_div_10_reduceIdEEE10hipError_tPvRmT2_T3_mT4_T5_T6_T7_T8_P12ihipStream_tbENKUlT_T0_E_clISt17integral_constantIbLb0EES10_IbLb1EEEEDaSW_SX_EUlSW_E_NS1_11comp_targetILNS1_3genE3ELNS1_11target_archE908ELNS1_3gpuE7ELNS1_3repE0EEENS1_30default_config_static_selectorELNS0_4arch9wavefront6targetE0EEEvT1_
    .private_segment_fixed_size: 0
    .sgpr_count:     0
    .sgpr_spill_count: 0
    .symbol:         _ZN7rocprim17ROCPRIM_400000_NS6detail17trampoline_kernelINS0_14default_configENS1_29reduce_by_key_config_selectorIddN6thrust23THRUST_200600_302600_NS4plusIdEEEEZZNS1_33reduce_by_key_impl_wrapped_configILNS1_25lookback_scan_determinismE0ES3_S9_NS6_6detail15normal_iteratorINS6_10device_ptrIdEEEESG_SG_SG_PmS8_22is_equal_div_10_reduceIdEEE10hipError_tPvRmT2_T3_mT4_T5_T6_T7_T8_P12ihipStream_tbENKUlT_T0_E_clISt17integral_constantIbLb0EES10_IbLb1EEEEDaSW_SX_EUlSW_E_NS1_11comp_targetILNS1_3genE3ELNS1_11target_archE908ELNS1_3gpuE7ELNS1_3repE0EEENS1_30default_config_static_selectorELNS0_4arch9wavefront6targetE0EEEvT1_.kd
    .uniform_work_group_size: 1
    .uses_dynamic_stack: false
    .vgpr_count:     0
    .vgpr_spill_count: 0
    .wavefront_size: 32
    .workgroup_processor_mode: 1
  - .args:
      - .offset:         0
        .size:           136
        .value_kind:     by_value
    .group_segment_fixed_size: 0
    .kernarg_segment_align: 8
    .kernarg_segment_size: 136
    .language:       OpenCL C
    .language_version:
      - 2
      - 0
    .max_flat_workgroup_size: 256
    .name:           _ZN7rocprim17ROCPRIM_400000_NS6detail17trampoline_kernelINS0_14default_configENS1_29reduce_by_key_config_selectorIddN6thrust23THRUST_200600_302600_NS4plusIdEEEEZZNS1_33reduce_by_key_impl_wrapped_configILNS1_25lookback_scan_determinismE0ES3_S9_NS6_6detail15normal_iteratorINS6_10device_ptrIdEEEESG_SG_SG_PmS8_22is_equal_div_10_reduceIdEEE10hipError_tPvRmT2_T3_mT4_T5_T6_T7_T8_P12ihipStream_tbENKUlT_T0_E_clISt17integral_constantIbLb0EES10_IbLb1EEEEDaSW_SX_EUlSW_E_NS1_11comp_targetILNS1_3genE2ELNS1_11target_archE906ELNS1_3gpuE6ELNS1_3repE0EEENS1_30default_config_static_selectorELNS0_4arch9wavefront6targetE0EEEvT1_
    .private_segment_fixed_size: 0
    .sgpr_count:     0
    .sgpr_spill_count: 0
    .symbol:         _ZN7rocprim17ROCPRIM_400000_NS6detail17trampoline_kernelINS0_14default_configENS1_29reduce_by_key_config_selectorIddN6thrust23THRUST_200600_302600_NS4plusIdEEEEZZNS1_33reduce_by_key_impl_wrapped_configILNS1_25lookback_scan_determinismE0ES3_S9_NS6_6detail15normal_iteratorINS6_10device_ptrIdEEEESG_SG_SG_PmS8_22is_equal_div_10_reduceIdEEE10hipError_tPvRmT2_T3_mT4_T5_T6_T7_T8_P12ihipStream_tbENKUlT_T0_E_clISt17integral_constantIbLb0EES10_IbLb1EEEEDaSW_SX_EUlSW_E_NS1_11comp_targetILNS1_3genE2ELNS1_11target_archE906ELNS1_3gpuE6ELNS1_3repE0EEENS1_30default_config_static_selectorELNS0_4arch9wavefront6targetE0EEEvT1_.kd
    .uniform_work_group_size: 1
    .uses_dynamic_stack: false
    .vgpr_count:     0
    .vgpr_spill_count: 0
    .wavefront_size: 32
    .workgroup_processor_mode: 1
  - .args:
      - .offset:         0
        .size:           136
        .value_kind:     by_value
    .group_segment_fixed_size: 0
    .kernarg_segment_align: 8
    .kernarg_segment_size: 136
    .language:       OpenCL C
    .language_version:
      - 2
      - 0
    .max_flat_workgroup_size: 256
    .name:           _ZN7rocprim17ROCPRIM_400000_NS6detail17trampoline_kernelINS0_14default_configENS1_29reduce_by_key_config_selectorIddN6thrust23THRUST_200600_302600_NS4plusIdEEEEZZNS1_33reduce_by_key_impl_wrapped_configILNS1_25lookback_scan_determinismE0ES3_S9_NS6_6detail15normal_iteratorINS6_10device_ptrIdEEEESG_SG_SG_PmS8_22is_equal_div_10_reduceIdEEE10hipError_tPvRmT2_T3_mT4_T5_T6_T7_T8_P12ihipStream_tbENKUlT_T0_E_clISt17integral_constantIbLb0EES10_IbLb1EEEEDaSW_SX_EUlSW_E_NS1_11comp_targetILNS1_3genE10ELNS1_11target_archE1201ELNS1_3gpuE5ELNS1_3repE0EEENS1_30default_config_static_selectorELNS0_4arch9wavefront6targetE0EEEvT1_
    .private_segment_fixed_size: 0
    .sgpr_count:     0
    .sgpr_spill_count: 0
    .symbol:         _ZN7rocprim17ROCPRIM_400000_NS6detail17trampoline_kernelINS0_14default_configENS1_29reduce_by_key_config_selectorIddN6thrust23THRUST_200600_302600_NS4plusIdEEEEZZNS1_33reduce_by_key_impl_wrapped_configILNS1_25lookback_scan_determinismE0ES3_S9_NS6_6detail15normal_iteratorINS6_10device_ptrIdEEEESG_SG_SG_PmS8_22is_equal_div_10_reduceIdEEE10hipError_tPvRmT2_T3_mT4_T5_T6_T7_T8_P12ihipStream_tbENKUlT_T0_E_clISt17integral_constantIbLb0EES10_IbLb1EEEEDaSW_SX_EUlSW_E_NS1_11comp_targetILNS1_3genE10ELNS1_11target_archE1201ELNS1_3gpuE5ELNS1_3repE0EEENS1_30default_config_static_selectorELNS0_4arch9wavefront6targetE0EEEvT1_.kd
    .uniform_work_group_size: 1
    .uses_dynamic_stack: false
    .vgpr_count:     0
    .vgpr_spill_count: 0
    .wavefront_size: 32
    .workgroup_processor_mode: 1
  - .args:
      - .offset:         0
        .size:           136
        .value_kind:     by_value
    .group_segment_fixed_size: 0
    .kernarg_segment_align: 8
    .kernarg_segment_size: 136
    .language:       OpenCL C
    .language_version:
      - 2
      - 0
    .max_flat_workgroup_size: 256
    .name:           _ZN7rocprim17ROCPRIM_400000_NS6detail17trampoline_kernelINS0_14default_configENS1_29reduce_by_key_config_selectorIddN6thrust23THRUST_200600_302600_NS4plusIdEEEEZZNS1_33reduce_by_key_impl_wrapped_configILNS1_25lookback_scan_determinismE0ES3_S9_NS6_6detail15normal_iteratorINS6_10device_ptrIdEEEESG_SG_SG_PmS8_22is_equal_div_10_reduceIdEEE10hipError_tPvRmT2_T3_mT4_T5_T6_T7_T8_P12ihipStream_tbENKUlT_T0_E_clISt17integral_constantIbLb0EES10_IbLb1EEEEDaSW_SX_EUlSW_E_NS1_11comp_targetILNS1_3genE10ELNS1_11target_archE1200ELNS1_3gpuE4ELNS1_3repE0EEENS1_30default_config_static_selectorELNS0_4arch9wavefront6targetE0EEEvT1_
    .private_segment_fixed_size: 0
    .sgpr_count:     0
    .sgpr_spill_count: 0
    .symbol:         _ZN7rocprim17ROCPRIM_400000_NS6detail17trampoline_kernelINS0_14default_configENS1_29reduce_by_key_config_selectorIddN6thrust23THRUST_200600_302600_NS4plusIdEEEEZZNS1_33reduce_by_key_impl_wrapped_configILNS1_25lookback_scan_determinismE0ES3_S9_NS6_6detail15normal_iteratorINS6_10device_ptrIdEEEESG_SG_SG_PmS8_22is_equal_div_10_reduceIdEEE10hipError_tPvRmT2_T3_mT4_T5_T6_T7_T8_P12ihipStream_tbENKUlT_T0_E_clISt17integral_constantIbLb0EES10_IbLb1EEEEDaSW_SX_EUlSW_E_NS1_11comp_targetILNS1_3genE10ELNS1_11target_archE1200ELNS1_3gpuE4ELNS1_3repE0EEENS1_30default_config_static_selectorELNS0_4arch9wavefront6targetE0EEEvT1_.kd
    .uniform_work_group_size: 1
    .uses_dynamic_stack: false
    .vgpr_count:     0
    .vgpr_spill_count: 0
    .wavefront_size: 32
    .workgroup_processor_mode: 1
  - .args:
      - .offset:         0
        .size:           136
        .value_kind:     by_value
    .group_segment_fixed_size: 30720
    .kernarg_segment_align: 8
    .kernarg_segment_size: 136
    .language:       OpenCL C
    .language_version:
      - 2
      - 0
    .max_flat_workgroup_size: 256
    .name:           _ZN7rocprim17ROCPRIM_400000_NS6detail17trampoline_kernelINS0_14default_configENS1_29reduce_by_key_config_selectorIddN6thrust23THRUST_200600_302600_NS4plusIdEEEEZZNS1_33reduce_by_key_impl_wrapped_configILNS1_25lookback_scan_determinismE0ES3_S9_NS6_6detail15normal_iteratorINS6_10device_ptrIdEEEESG_SG_SG_PmS8_22is_equal_div_10_reduceIdEEE10hipError_tPvRmT2_T3_mT4_T5_T6_T7_T8_P12ihipStream_tbENKUlT_T0_E_clISt17integral_constantIbLb0EES10_IbLb1EEEEDaSW_SX_EUlSW_E_NS1_11comp_targetILNS1_3genE9ELNS1_11target_archE1100ELNS1_3gpuE3ELNS1_3repE0EEENS1_30default_config_static_selectorELNS0_4arch9wavefront6targetE0EEEvT1_
    .private_segment_fixed_size: 0
    .sgpr_count:     54
    .sgpr_spill_count: 0
    .symbol:         _ZN7rocprim17ROCPRIM_400000_NS6detail17trampoline_kernelINS0_14default_configENS1_29reduce_by_key_config_selectorIddN6thrust23THRUST_200600_302600_NS4plusIdEEEEZZNS1_33reduce_by_key_impl_wrapped_configILNS1_25lookback_scan_determinismE0ES3_S9_NS6_6detail15normal_iteratorINS6_10device_ptrIdEEEESG_SG_SG_PmS8_22is_equal_div_10_reduceIdEEE10hipError_tPvRmT2_T3_mT4_T5_T6_T7_T8_P12ihipStream_tbENKUlT_T0_E_clISt17integral_constantIbLb0EES10_IbLb1EEEEDaSW_SX_EUlSW_E_NS1_11comp_targetILNS1_3genE9ELNS1_11target_archE1100ELNS1_3gpuE3ELNS1_3repE0EEENS1_30default_config_static_selectorELNS0_4arch9wavefront6targetE0EEEvT1_.kd
    .uniform_work_group_size: 1
    .uses_dynamic_stack: false
    .vgpr_count:     119
    .vgpr_spill_count: 0
    .wavefront_size: 32
    .workgroup_processor_mode: 1
  - .args:
      - .offset:         0
        .size:           136
        .value_kind:     by_value
    .group_segment_fixed_size: 0
    .kernarg_segment_align: 8
    .kernarg_segment_size: 136
    .language:       OpenCL C
    .language_version:
      - 2
      - 0
    .max_flat_workgroup_size: 256
    .name:           _ZN7rocprim17ROCPRIM_400000_NS6detail17trampoline_kernelINS0_14default_configENS1_29reduce_by_key_config_selectorIddN6thrust23THRUST_200600_302600_NS4plusIdEEEEZZNS1_33reduce_by_key_impl_wrapped_configILNS1_25lookback_scan_determinismE0ES3_S9_NS6_6detail15normal_iteratorINS6_10device_ptrIdEEEESG_SG_SG_PmS8_22is_equal_div_10_reduceIdEEE10hipError_tPvRmT2_T3_mT4_T5_T6_T7_T8_P12ihipStream_tbENKUlT_T0_E_clISt17integral_constantIbLb0EES10_IbLb1EEEEDaSW_SX_EUlSW_E_NS1_11comp_targetILNS1_3genE8ELNS1_11target_archE1030ELNS1_3gpuE2ELNS1_3repE0EEENS1_30default_config_static_selectorELNS0_4arch9wavefront6targetE0EEEvT1_
    .private_segment_fixed_size: 0
    .sgpr_count:     0
    .sgpr_spill_count: 0
    .symbol:         _ZN7rocprim17ROCPRIM_400000_NS6detail17trampoline_kernelINS0_14default_configENS1_29reduce_by_key_config_selectorIddN6thrust23THRUST_200600_302600_NS4plusIdEEEEZZNS1_33reduce_by_key_impl_wrapped_configILNS1_25lookback_scan_determinismE0ES3_S9_NS6_6detail15normal_iteratorINS6_10device_ptrIdEEEESG_SG_SG_PmS8_22is_equal_div_10_reduceIdEEE10hipError_tPvRmT2_T3_mT4_T5_T6_T7_T8_P12ihipStream_tbENKUlT_T0_E_clISt17integral_constantIbLb0EES10_IbLb1EEEEDaSW_SX_EUlSW_E_NS1_11comp_targetILNS1_3genE8ELNS1_11target_archE1030ELNS1_3gpuE2ELNS1_3repE0EEENS1_30default_config_static_selectorELNS0_4arch9wavefront6targetE0EEEvT1_.kd
    .uniform_work_group_size: 1
    .uses_dynamic_stack: false
    .vgpr_count:     0
    .vgpr_spill_count: 0
    .wavefront_size: 32
    .workgroup_processor_mode: 1
  - .args:
      - .offset:         0
        .size:           16
        .value_kind:     by_value
      - .offset:         16
        .size:           8
        .value_kind:     by_value
      - .offset:         24
        .size:           8
        .value_kind:     by_value
    .group_segment_fixed_size: 0
    .kernarg_segment_align: 8
    .kernarg_segment_size: 32
    .language:       OpenCL C
    .language_version:
      - 2
      - 0
    .max_flat_workgroup_size: 256
    .name:           _ZN6thrust23THRUST_200600_302600_NS11hip_rocprim14__parallel_for6kernelILj256ENS1_20__uninitialized_fill7functorINS0_10device_ptrIfEEfEEmLj1EEEvT0_T1_SA_
    .private_segment_fixed_size: 0
    .sgpr_count:     18
    .sgpr_spill_count: 0
    .symbol:         _ZN6thrust23THRUST_200600_302600_NS11hip_rocprim14__parallel_for6kernelILj256ENS1_20__uninitialized_fill7functorINS0_10device_ptrIfEEfEEmLj1EEEvT0_T1_SA_.kd
    .uniform_work_group_size: 1
    .uses_dynamic_stack: false
    .vgpr_count:     3
    .vgpr_spill_count: 0
    .wavefront_size: 32
    .workgroup_processor_mode: 1
  - .args:
      - .address_space:  global
        .offset:         0
        .size:           8
        .value_kind:     global_buffer
      - .offset:         8
        .size:           4
        .value_kind:     by_value
      - .offset:         12
        .size:           1
        .value_kind:     by_value
      - .offset:         16
        .size:           4
        .value_kind:     by_value
      - .address_space:  global
        .offset:         24
        .size:           8
        .value_kind:     global_buffer
      - .address_space:  global
        .offset:         32
        .size:           8
        .value_kind:     global_buffer
      - .offset:         40
        .size:           1
        .value_kind:     by_value
      - .offset:         48
        .size:           4
        .value_kind:     hidden_block_count_x
      - .offset:         52
        .size:           4
        .value_kind:     hidden_block_count_y
      - .offset:         56
        .size:           4
        .value_kind:     hidden_block_count_z
      - .offset:         60
        .size:           2
        .value_kind:     hidden_group_size_x
      - .offset:         62
        .size:           2
        .value_kind:     hidden_group_size_y
      - .offset:         64
        .size:           2
        .value_kind:     hidden_group_size_z
      - .offset:         66
        .size:           2
        .value_kind:     hidden_remainder_x
      - .offset:         68
        .size:           2
        .value_kind:     hidden_remainder_y
      - .offset:         70
        .size:           2
        .value_kind:     hidden_remainder_z
      - .offset:         88
        .size:           8
        .value_kind:     hidden_global_offset_x
      - .offset:         96
        .size:           8
        .value_kind:     hidden_global_offset_y
      - .offset:         104
        .size:           8
        .value_kind:     hidden_global_offset_z
      - .offset:         112
        .size:           2
        .value_kind:     hidden_grid_dims
    .group_segment_fixed_size: 0
    .kernarg_segment_align: 8
    .kernarg_segment_size: 304
    .language:       OpenCL C
    .language_version:
      - 2
      - 0
    .max_flat_workgroup_size: 256
    .name:           _ZN7rocprim17ROCPRIM_400000_NS6detail25reduce_by_key_init_kernelINS1_19lookback_scan_stateINS0_5tupleIJjfEEELb0ELb1EEEfNS1_16block_id_wrapperIjLb0EEEEEvT_jbjPmPT0_T1_
    .private_segment_fixed_size: 0
    .sgpr_count:     18
    .sgpr_spill_count: 0
    .symbol:         _ZN7rocprim17ROCPRIM_400000_NS6detail25reduce_by_key_init_kernelINS1_19lookback_scan_stateINS0_5tupleIJjfEEELb0ELb1EEEfNS1_16block_id_wrapperIjLb0EEEEEvT_jbjPmPT0_T1_.kd
    .uniform_work_group_size: 1
    .uses_dynamic_stack: false
    .vgpr_count:     12
    .vgpr_spill_count: 0
    .wavefront_size: 32
    .workgroup_processor_mode: 1
  - .args:
      - .offset:         0
        .size:           120
        .value_kind:     by_value
    .group_segment_fixed_size: 0
    .kernarg_segment_align: 8
    .kernarg_segment_size: 120
    .language:       OpenCL C
    .language_version:
      - 2
      - 0
    .max_flat_workgroup_size: 256
    .name:           _ZN7rocprim17ROCPRIM_400000_NS6detail17trampoline_kernelINS0_14default_configENS1_29reduce_by_key_config_selectorIffN6thrust23THRUST_200600_302600_NS4plusIfEEEEZZNS1_33reduce_by_key_impl_wrapped_configILNS1_25lookback_scan_determinismE1ES3_S9_NS6_6detail15normal_iteratorINS6_10device_ptrIfEEEESG_SG_SG_PmS8_NS6_8equal_toIfEEEE10hipError_tPvRmT2_T3_mT4_T5_T6_T7_T8_P12ihipStream_tbENKUlT_T0_E_clISt17integral_constantIbLb0EES11_EEDaSW_SX_EUlSW_E_NS1_11comp_targetILNS1_3genE0ELNS1_11target_archE4294967295ELNS1_3gpuE0ELNS1_3repE0EEENS1_30default_config_static_selectorELNS0_4arch9wavefront6targetE0EEEvT1_
    .private_segment_fixed_size: 0
    .sgpr_count:     0
    .sgpr_spill_count: 0
    .symbol:         _ZN7rocprim17ROCPRIM_400000_NS6detail17trampoline_kernelINS0_14default_configENS1_29reduce_by_key_config_selectorIffN6thrust23THRUST_200600_302600_NS4plusIfEEEEZZNS1_33reduce_by_key_impl_wrapped_configILNS1_25lookback_scan_determinismE1ES3_S9_NS6_6detail15normal_iteratorINS6_10device_ptrIfEEEESG_SG_SG_PmS8_NS6_8equal_toIfEEEE10hipError_tPvRmT2_T3_mT4_T5_T6_T7_T8_P12ihipStream_tbENKUlT_T0_E_clISt17integral_constantIbLb0EES11_EEDaSW_SX_EUlSW_E_NS1_11comp_targetILNS1_3genE0ELNS1_11target_archE4294967295ELNS1_3gpuE0ELNS1_3repE0EEENS1_30default_config_static_selectorELNS0_4arch9wavefront6targetE0EEEvT1_.kd
    .uniform_work_group_size: 1
    .uses_dynamic_stack: false
    .vgpr_count:     0
    .vgpr_spill_count: 0
    .wavefront_size: 32
    .workgroup_processor_mode: 1
  - .args:
      - .offset:         0
        .size:           120
        .value_kind:     by_value
    .group_segment_fixed_size: 0
    .kernarg_segment_align: 8
    .kernarg_segment_size: 120
    .language:       OpenCL C
    .language_version:
      - 2
      - 0
    .max_flat_workgroup_size: 256
    .name:           _ZN7rocprim17ROCPRIM_400000_NS6detail17trampoline_kernelINS0_14default_configENS1_29reduce_by_key_config_selectorIffN6thrust23THRUST_200600_302600_NS4plusIfEEEEZZNS1_33reduce_by_key_impl_wrapped_configILNS1_25lookback_scan_determinismE1ES3_S9_NS6_6detail15normal_iteratorINS6_10device_ptrIfEEEESG_SG_SG_PmS8_NS6_8equal_toIfEEEE10hipError_tPvRmT2_T3_mT4_T5_T6_T7_T8_P12ihipStream_tbENKUlT_T0_E_clISt17integral_constantIbLb0EES11_EEDaSW_SX_EUlSW_E_NS1_11comp_targetILNS1_3genE5ELNS1_11target_archE942ELNS1_3gpuE9ELNS1_3repE0EEENS1_30default_config_static_selectorELNS0_4arch9wavefront6targetE0EEEvT1_
    .private_segment_fixed_size: 0
    .sgpr_count:     0
    .sgpr_spill_count: 0
    .symbol:         _ZN7rocprim17ROCPRIM_400000_NS6detail17trampoline_kernelINS0_14default_configENS1_29reduce_by_key_config_selectorIffN6thrust23THRUST_200600_302600_NS4plusIfEEEEZZNS1_33reduce_by_key_impl_wrapped_configILNS1_25lookback_scan_determinismE1ES3_S9_NS6_6detail15normal_iteratorINS6_10device_ptrIfEEEESG_SG_SG_PmS8_NS6_8equal_toIfEEEE10hipError_tPvRmT2_T3_mT4_T5_T6_T7_T8_P12ihipStream_tbENKUlT_T0_E_clISt17integral_constantIbLb0EES11_EEDaSW_SX_EUlSW_E_NS1_11comp_targetILNS1_3genE5ELNS1_11target_archE942ELNS1_3gpuE9ELNS1_3repE0EEENS1_30default_config_static_selectorELNS0_4arch9wavefront6targetE0EEEvT1_.kd
    .uniform_work_group_size: 1
    .uses_dynamic_stack: false
    .vgpr_count:     0
    .vgpr_spill_count: 0
    .wavefront_size: 32
    .workgroup_processor_mode: 1
  - .args:
      - .offset:         0
        .size:           120
        .value_kind:     by_value
    .group_segment_fixed_size: 0
    .kernarg_segment_align: 8
    .kernarg_segment_size: 120
    .language:       OpenCL C
    .language_version:
      - 2
      - 0
    .max_flat_workgroup_size: 256
    .name:           _ZN7rocprim17ROCPRIM_400000_NS6detail17trampoline_kernelINS0_14default_configENS1_29reduce_by_key_config_selectorIffN6thrust23THRUST_200600_302600_NS4plusIfEEEEZZNS1_33reduce_by_key_impl_wrapped_configILNS1_25lookback_scan_determinismE1ES3_S9_NS6_6detail15normal_iteratorINS6_10device_ptrIfEEEESG_SG_SG_PmS8_NS6_8equal_toIfEEEE10hipError_tPvRmT2_T3_mT4_T5_T6_T7_T8_P12ihipStream_tbENKUlT_T0_E_clISt17integral_constantIbLb0EES11_EEDaSW_SX_EUlSW_E_NS1_11comp_targetILNS1_3genE4ELNS1_11target_archE910ELNS1_3gpuE8ELNS1_3repE0EEENS1_30default_config_static_selectorELNS0_4arch9wavefront6targetE0EEEvT1_
    .private_segment_fixed_size: 0
    .sgpr_count:     0
    .sgpr_spill_count: 0
    .symbol:         _ZN7rocprim17ROCPRIM_400000_NS6detail17trampoline_kernelINS0_14default_configENS1_29reduce_by_key_config_selectorIffN6thrust23THRUST_200600_302600_NS4plusIfEEEEZZNS1_33reduce_by_key_impl_wrapped_configILNS1_25lookback_scan_determinismE1ES3_S9_NS6_6detail15normal_iteratorINS6_10device_ptrIfEEEESG_SG_SG_PmS8_NS6_8equal_toIfEEEE10hipError_tPvRmT2_T3_mT4_T5_T6_T7_T8_P12ihipStream_tbENKUlT_T0_E_clISt17integral_constantIbLb0EES11_EEDaSW_SX_EUlSW_E_NS1_11comp_targetILNS1_3genE4ELNS1_11target_archE910ELNS1_3gpuE8ELNS1_3repE0EEENS1_30default_config_static_selectorELNS0_4arch9wavefront6targetE0EEEvT1_.kd
    .uniform_work_group_size: 1
    .uses_dynamic_stack: false
    .vgpr_count:     0
    .vgpr_spill_count: 0
    .wavefront_size: 32
    .workgroup_processor_mode: 1
  - .args:
      - .offset:         0
        .size:           120
        .value_kind:     by_value
    .group_segment_fixed_size: 0
    .kernarg_segment_align: 8
    .kernarg_segment_size: 120
    .language:       OpenCL C
    .language_version:
      - 2
      - 0
    .max_flat_workgroup_size: 256
    .name:           _ZN7rocprim17ROCPRIM_400000_NS6detail17trampoline_kernelINS0_14default_configENS1_29reduce_by_key_config_selectorIffN6thrust23THRUST_200600_302600_NS4plusIfEEEEZZNS1_33reduce_by_key_impl_wrapped_configILNS1_25lookback_scan_determinismE1ES3_S9_NS6_6detail15normal_iteratorINS6_10device_ptrIfEEEESG_SG_SG_PmS8_NS6_8equal_toIfEEEE10hipError_tPvRmT2_T3_mT4_T5_T6_T7_T8_P12ihipStream_tbENKUlT_T0_E_clISt17integral_constantIbLb0EES11_EEDaSW_SX_EUlSW_E_NS1_11comp_targetILNS1_3genE3ELNS1_11target_archE908ELNS1_3gpuE7ELNS1_3repE0EEENS1_30default_config_static_selectorELNS0_4arch9wavefront6targetE0EEEvT1_
    .private_segment_fixed_size: 0
    .sgpr_count:     0
    .sgpr_spill_count: 0
    .symbol:         _ZN7rocprim17ROCPRIM_400000_NS6detail17trampoline_kernelINS0_14default_configENS1_29reduce_by_key_config_selectorIffN6thrust23THRUST_200600_302600_NS4plusIfEEEEZZNS1_33reduce_by_key_impl_wrapped_configILNS1_25lookback_scan_determinismE1ES3_S9_NS6_6detail15normal_iteratorINS6_10device_ptrIfEEEESG_SG_SG_PmS8_NS6_8equal_toIfEEEE10hipError_tPvRmT2_T3_mT4_T5_T6_T7_T8_P12ihipStream_tbENKUlT_T0_E_clISt17integral_constantIbLb0EES11_EEDaSW_SX_EUlSW_E_NS1_11comp_targetILNS1_3genE3ELNS1_11target_archE908ELNS1_3gpuE7ELNS1_3repE0EEENS1_30default_config_static_selectorELNS0_4arch9wavefront6targetE0EEEvT1_.kd
    .uniform_work_group_size: 1
    .uses_dynamic_stack: false
    .vgpr_count:     0
    .vgpr_spill_count: 0
    .wavefront_size: 32
    .workgroup_processor_mode: 1
  - .args:
      - .offset:         0
        .size:           120
        .value_kind:     by_value
    .group_segment_fixed_size: 0
    .kernarg_segment_align: 8
    .kernarg_segment_size: 120
    .language:       OpenCL C
    .language_version:
      - 2
      - 0
    .max_flat_workgroup_size: 256
    .name:           _ZN7rocprim17ROCPRIM_400000_NS6detail17trampoline_kernelINS0_14default_configENS1_29reduce_by_key_config_selectorIffN6thrust23THRUST_200600_302600_NS4plusIfEEEEZZNS1_33reduce_by_key_impl_wrapped_configILNS1_25lookback_scan_determinismE1ES3_S9_NS6_6detail15normal_iteratorINS6_10device_ptrIfEEEESG_SG_SG_PmS8_NS6_8equal_toIfEEEE10hipError_tPvRmT2_T3_mT4_T5_T6_T7_T8_P12ihipStream_tbENKUlT_T0_E_clISt17integral_constantIbLb0EES11_EEDaSW_SX_EUlSW_E_NS1_11comp_targetILNS1_3genE2ELNS1_11target_archE906ELNS1_3gpuE6ELNS1_3repE0EEENS1_30default_config_static_selectorELNS0_4arch9wavefront6targetE0EEEvT1_
    .private_segment_fixed_size: 0
    .sgpr_count:     0
    .sgpr_spill_count: 0
    .symbol:         _ZN7rocprim17ROCPRIM_400000_NS6detail17trampoline_kernelINS0_14default_configENS1_29reduce_by_key_config_selectorIffN6thrust23THRUST_200600_302600_NS4plusIfEEEEZZNS1_33reduce_by_key_impl_wrapped_configILNS1_25lookback_scan_determinismE1ES3_S9_NS6_6detail15normal_iteratorINS6_10device_ptrIfEEEESG_SG_SG_PmS8_NS6_8equal_toIfEEEE10hipError_tPvRmT2_T3_mT4_T5_T6_T7_T8_P12ihipStream_tbENKUlT_T0_E_clISt17integral_constantIbLb0EES11_EEDaSW_SX_EUlSW_E_NS1_11comp_targetILNS1_3genE2ELNS1_11target_archE906ELNS1_3gpuE6ELNS1_3repE0EEENS1_30default_config_static_selectorELNS0_4arch9wavefront6targetE0EEEvT1_.kd
    .uniform_work_group_size: 1
    .uses_dynamic_stack: false
    .vgpr_count:     0
    .vgpr_spill_count: 0
    .wavefront_size: 32
    .workgroup_processor_mode: 1
  - .args:
      - .offset:         0
        .size:           120
        .value_kind:     by_value
    .group_segment_fixed_size: 0
    .kernarg_segment_align: 8
    .kernarg_segment_size: 120
    .language:       OpenCL C
    .language_version:
      - 2
      - 0
    .max_flat_workgroup_size: 256
    .name:           _ZN7rocprim17ROCPRIM_400000_NS6detail17trampoline_kernelINS0_14default_configENS1_29reduce_by_key_config_selectorIffN6thrust23THRUST_200600_302600_NS4plusIfEEEEZZNS1_33reduce_by_key_impl_wrapped_configILNS1_25lookback_scan_determinismE1ES3_S9_NS6_6detail15normal_iteratorINS6_10device_ptrIfEEEESG_SG_SG_PmS8_NS6_8equal_toIfEEEE10hipError_tPvRmT2_T3_mT4_T5_T6_T7_T8_P12ihipStream_tbENKUlT_T0_E_clISt17integral_constantIbLb0EES11_EEDaSW_SX_EUlSW_E_NS1_11comp_targetILNS1_3genE10ELNS1_11target_archE1201ELNS1_3gpuE5ELNS1_3repE0EEENS1_30default_config_static_selectorELNS0_4arch9wavefront6targetE0EEEvT1_
    .private_segment_fixed_size: 0
    .sgpr_count:     0
    .sgpr_spill_count: 0
    .symbol:         _ZN7rocprim17ROCPRIM_400000_NS6detail17trampoline_kernelINS0_14default_configENS1_29reduce_by_key_config_selectorIffN6thrust23THRUST_200600_302600_NS4plusIfEEEEZZNS1_33reduce_by_key_impl_wrapped_configILNS1_25lookback_scan_determinismE1ES3_S9_NS6_6detail15normal_iteratorINS6_10device_ptrIfEEEESG_SG_SG_PmS8_NS6_8equal_toIfEEEE10hipError_tPvRmT2_T3_mT4_T5_T6_T7_T8_P12ihipStream_tbENKUlT_T0_E_clISt17integral_constantIbLb0EES11_EEDaSW_SX_EUlSW_E_NS1_11comp_targetILNS1_3genE10ELNS1_11target_archE1201ELNS1_3gpuE5ELNS1_3repE0EEENS1_30default_config_static_selectorELNS0_4arch9wavefront6targetE0EEEvT1_.kd
    .uniform_work_group_size: 1
    .uses_dynamic_stack: false
    .vgpr_count:     0
    .vgpr_spill_count: 0
    .wavefront_size: 32
    .workgroup_processor_mode: 1
  - .args:
      - .offset:         0
        .size:           120
        .value_kind:     by_value
    .group_segment_fixed_size: 0
    .kernarg_segment_align: 8
    .kernarg_segment_size: 120
    .language:       OpenCL C
    .language_version:
      - 2
      - 0
    .max_flat_workgroup_size: 256
    .name:           _ZN7rocprim17ROCPRIM_400000_NS6detail17trampoline_kernelINS0_14default_configENS1_29reduce_by_key_config_selectorIffN6thrust23THRUST_200600_302600_NS4plusIfEEEEZZNS1_33reduce_by_key_impl_wrapped_configILNS1_25lookback_scan_determinismE1ES3_S9_NS6_6detail15normal_iteratorINS6_10device_ptrIfEEEESG_SG_SG_PmS8_NS6_8equal_toIfEEEE10hipError_tPvRmT2_T3_mT4_T5_T6_T7_T8_P12ihipStream_tbENKUlT_T0_E_clISt17integral_constantIbLb0EES11_EEDaSW_SX_EUlSW_E_NS1_11comp_targetILNS1_3genE10ELNS1_11target_archE1200ELNS1_3gpuE4ELNS1_3repE0EEENS1_30default_config_static_selectorELNS0_4arch9wavefront6targetE0EEEvT1_
    .private_segment_fixed_size: 0
    .sgpr_count:     0
    .sgpr_spill_count: 0
    .symbol:         _ZN7rocprim17ROCPRIM_400000_NS6detail17trampoline_kernelINS0_14default_configENS1_29reduce_by_key_config_selectorIffN6thrust23THRUST_200600_302600_NS4plusIfEEEEZZNS1_33reduce_by_key_impl_wrapped_configILNS1_25lookback_scan_determinismE1ES3_S9_NS6_6detail15normal_iteratorINS6_10device_ptrIfEEEESG_SG_SG_PmS8_NS6_8equal_toIfEEEE10hipError_tPvRmT2_T3_mT4_T5_T6_T7_T8_P12ihipStream_tbENKUlT_T0_E_clISt17integral_constantIbLb0EES11_EEDaSW_SX_EUlSW_E_NS1_11comp_targetILNS1_3genE10ELNS1_11target_archE1200ELNS1_3gpuE4ELNS1_3repE0EEENS1_30default_config_static_selectorELNS0_4arch9wavefront6targetE0EEEvT1_.kd
    .uniform_work_group_size: 1
    .uses_dynamic_stack: false
    .vgpr_count:     0
    .vgpr_spill_count: 0
    .wavefront_size: 32
    .workgroup_processor_mode: 1
  - .args:
      - .offset:         0
        .size:           120
        .value_kind:     by_value
    .group_segment_fixed_size: 15360
    .kernarg_segment_align: 8
    .kernarg_segment_size: 120
    .language:       OpenCL C
    .language_version:
      - 2
      - 0
    .max_flat_workgroup_size: 256
    .name:           _ZN7rocprim17ROCPRIM_400000_NS6detail17trampoline_kernelINS0_14default_configENS1_29reduce_by_key_config_selectorIffN6thrust23THRUST_200600_302600_NS4plusIfEEEEZZNS1_33reduce_by_key_impl_wrapped_configILNS1_25lookback_scan_determinismE1ES3_S9_NS6_6detail15normal_iteratorINS6_10device_ptrIfEEEESG_SG_SG_PmS8_NS6_8equal_toIfEEEE10hipError_tPvRmT2_T3_mT4_T5_T6_T7_T8_P12ihipStream_tbENKUlT_T0_E_clISt17integral_constantIbLb0EES11_EEDaSW_SX_EUlSW_E_NS1_11comp_targetILNS1_3genE9ELNS1_11target_archE1100ELNS1_3gpuE3ELNS1_3repE0EEENS1_30default_config_static_selectorELNS0_4arch9wavefront6targetE0EEEvT1_
    .private_segment_fixed_size: 48
    .sgpr_count:     48
    .sgpr_spill_count: 0
    .symbol:         _ZN7rocprim17ROCPRIM_400000_NS6detail17trampoline_kernelINS0_14default_configENS1_29reduce_by_key_config_selectorIffN6thrust23THRUST_200600_302600_NS4plusIfEEEEZZNS1_33reduce_by_key_impl_wrapped_configILNS1_25lookback_scan_determinismE1ES3_S9_NS6_6detail15normal_iteratorINS6_10device_ptrIfEEEESG_SG_SG_PmS8_NS6_8equal_toIfEEEE10hipError_tPvRmT2_T3_mT4_T5_T6_T7_T8_P12ihipStream_tbENKUlT_T0_E_clISt17integral_constantIbLb0EES11_EEDaSW_SX_EUlSW_E_NS1_11comp_targetILNS1_3genE9ELNS1_11target_archE1100ELNS1_3gpuE3ELNS1_3repE0EEENS1_30default_config_static_selectorELNS0_4arch9wavefront6targetE0EEEvT1_.kd
    .uniform_work_group_size: 1
    .uses_dynamic_stack: false
    .vgpr_count:     85
    .vgpr_spill_count: 0
    .wavefront_size: 32
    .workgroup_processor_mode: 1
  - .args:
      - .offset:         0
        .size:           120
        .value_kind:     by_value
    .group_segment_fixed_size: 0
    .kernarg_segment_align: 8
    .kernarg_segment_size: 120
    .language:       OpenCL C
    .language_version:
      - 2
      - 0
    .max_flat_workgroup_size: 256
    .name:           _ZN7rocprim17ROCPRIM_400000_NS6detail17trampoline_kernelINS0_14default_configENS1_29reduce_by_key_config_selectorIffN6thrust23THRUST_200600_302600_NS4plusIfEEEEZZNS1_33reduce_by_key_impl_wrapped_configILNS1_25lookback_scan_determinismE1ES3_S9_NS6_6detail15normal_iteratorINS6_10device_ptrIfEEEESG_SG_SG_PmS8_NS6_8equal_toIfEEEE10hipError_tPvRmT2_T3_mT4_T5_T6_T7_T8_P12ihipStream_tbENKUlT_T0_E_clISt17integral_constantIbLb0EES11_EEDaSW_SX_EUlSW_E_NS1_11comp_targetILNS1_3genE8ELNS1_11target_archE1030ELNS1_3gpuE2ELNS1_3repE0EEENS1_30default_config_static_selectorELNS0_4arch9wavefront6targetE0EEEvT1_
    .private_segment_fixed_size: 0
    .sgpr_count:     0
    .sgpr_spill_count: 0
    .symbol:         _ZN7rocprim17ROCPRIM_400000_NS6detail17trampoline_kernelINS0_14default_configENS1_29reduce_by_key_config_selectorIffN6thrust23THRUST_200600_302600_NS4plusIfEEEEZZNS1_33reduce_by_key_impl_wrapped_configILNS1_25lookback_scan_determinismE1ES3_S9_NS6_6detail15normal_iteratorINS6_10device_ptrIfEEEESG_SG_SG_PmS8_NS6_8equal_toIfEEEE10hipError_tPvRmT2_T3_mT4_T5_T6_T7_T8_P12ihipStream_tbENKUlT_T0_E_clISt17integral_constantIbLb0EES11_EEDaSW_SX_EUlSW_E_NS1_11comp_targetILNS1_3genE8ELNS1_11target_archE1030ELNS1_3gpuE2ELNS1_3repE0EEENS1_30default_config_static_selectorELNS0_4arch9wavefront6targetE0EEEvT1_.kd
    .uniform_work_group_size: 1
    .uses_dynamic_stack: false
    .vgpr_count:     0
    .vgpr_spill_count: 0
    .wavefront_size: 32
    .workgroup_processor_mode: 1
  - .args:
      - .address_space:  global
        .offset:         0
        .size:           8
        .value_kind:     global_buffer
      - .offset:         8
        .size:           4
        .value_kind:     by_value
      - .offset:         12
        .size:           1
        .value_kind:     by_value
      - .offset:         16
        .size:           4
        .value_kind:     by_value
      - .address_space:  global
        .offset:         24
        .size:           8
        .value_kind:     global_buffer
      - .address_space:  global
        .offset:         32
        .size:           8
        .value_kind:     global_buffer
      - .address_space:  global
        .offset:         40
        .size:           8
        .value_kind:     global_buffer
      - .offset:         48
        .size:           4
        .value_kind:     hidden_block_count_x
      - .offset:         52
        .size:           4
        .value_kind:     hidden_block_count_y
      - .offset:         56
        .size:           4
        .value_kind:     hidden_block_count_z
      - .offset:         60
        .size:           2
        .value_kind:     hidden_group_size_x
      - .offset:         62
        .size:           2
        .value_kind:     hidden_group_size_y
      - .offset:         64
        .size:           2
        .value_kind:     hidden_group_size_z
      - .offset:         66
        .size:           2
        .value_kind:     hidden_remainder_x
      - .offset:         68
        .size:           2
        .value_kind:     hidden_remainder_y
      - .offset:         70
        .size:           2
        .value_kind:     hidden_remainder_z
      - .offset:         88
        .size:           8
        .value_kind:     hidden_global_offset_x
      - .offset:         96
        .size:           8
        .value_kind:     hidden_global_offset_y
      - .offset:         104
        .size:           8
        .value_kind:     hidden_global_offset_z
      - .offset:         112
        .size:           2
        .value_kind:     hidden_grid_dims
    .group_segment_fixed_size: 0
    .kernarg_segment_align: 8
    .kernarg_segment_size: 304
    .language:       OpenCL C
    .language_version:
      - 2
      - 0
    .max_flat_workgroup_size: 256
    .name:           _ZN7rocprim17ROCPRIM_400000_NS6detail25reduce_by_key_init_kernelINS1_19lookback_scan_stateINS0_5tupleIJjfEEELb1ELb1EEEfNS1_16block_id_wrapperIjLb1EEEEEvT_jbjPmPT0_T1_
    .private_segment_fixed_size: 0
    .sgpr_count:     18
    .sgpr_spill_count: 0
    .symbol:         _ZN7rocprim17ROCPRIM_400000_NS6detail25reduce_by_key_init_kernelINS1_19lookback_scan_stateINS0_5tupleIJjfEEELb1ELb1EEEfNS1_16block_id_wrapperIjLb1EEEEEvT_jbjPmPT0_T1_.kd
    .uniform_work_group_size: 1
    .uses_dynamic_stack: false
    .vgpr_count:     13
    .vgpr_spill_count: 0
    .wavefront_size: 32
    .workgroup_processor_mode: 1
  - .args:
      - .offset:         0
        .size:           120
        .value_kind:     by_value
    .group_segment_fixed_size: 0
    .kernarg_segment_align: 8
    .kernarg_segment_size: 120
    .language:       OpenCL C
    .language_version:
      - 2
      - 0
    .max_flat_workgroup_size: 256
    .name:           _ZN7rocprim17ROCPRIM_400000_NS6detail17trampoline_kernelINS0_14default_configENS1_29reduce_by_key_config_selectorIffN6thrust23THRUST_200600_302600_NS4plusIfEEEEZZNS1_33reduce_by_key_impl_wrapped_configILNS1_25lookback_scan_determinismE1ES3_S9_NS6_6detail15normal_iteratorINS6_10device_ptrIfEEEESG_SG_SG_PmS8_NS6_8equal_toIfEEEE10hipError_tPvRmT2_T3_mT4_T5_T6_T7_T8_P12ihipStream_tbENKUlT_T0_E_clISt17integral_constantIbLb1EES11_EEDaSW_SX_EUlSW_E_NS1_11comp_targetILNS1_3genE0ELNS1_11target_archE4294967295ELNS1_3gpuE0ELNS1_3repE0EEENS1_30default_config_static_selectorELNS0_4arch9wavefront6targetE0EEEvT1_
    .private_segment_fixed_size: 0
    .sgpr_count:     0
    .sgpr_spill_count: 0
    .symbol:         _ZN7rocprim17ROCPRIM_400000_NS6detail17trampoline_kernelINS0_14default_configENS1_29reduce_by_key_config_selectorIffN6thrust23THRUST_200600_302600_NS4plusIfEEEEZZNS1_33reduce_by_key_impl_wrapped_configILNS1_25lookback_scan_determinismE1ES3_S9_NS6_6detail15normal_iteratorINS6_10device_ptrIfEEEESG_SG_SG_PmS8_NS6_8equal_toIfEEEE10hipError_tPvRmT2_T3_mT4_T5_T6_T7_T8_P12ihipStream_tbENKUlT_T0_E_clISt17integral_constantIbLb1EES11_EEDaSW_SX_EUlSW_E_NS1_11comp_targetILNS1_3genE0ELNS1_11target_archE4294967295ELNS1_3gpuE0ELNS1_3repE0EEENS1_30default_config_static_selectorELNS0_4arch9wavefront6targetE0EEEvT1_.kd
    .uniform_work_group_size: 1
    .uses_dynamic_stack: false
    .vgpr_count:     0
    .vgpr_spill_count: 0
    .wavefront_size: 32
    .workgroup_processor_mode: 1
  - .args:
      - .offset:         0
        .size:           120
        .value_kind:     by_value
    .group_segment_fixed_size: 0
    .kernarg_segment_align: 8
    .kernarg_segment_size: 120
    .language:       OpenCL C
    .language_version:
      - 2
      - 0
    .max_flat_workgroup_size: 256
    .name:           _ZN7rocprim17ROCPRIM_400000_NS6detail17trampoline_kernelINS0_14default_configENS1_29reduce_by_key_config_selectorIffN6thrust23THRUST_200600_302600_NS4plusIfEEEEZZNS1_33reduce_by_key_impl_wrapped_configILNS1_25lookback_scan_determinismE1ES3_S9_NS6_6detail15normal_iteratorINS6_10device_ptrIfEEEESG_SG_SG_PmS8_NS6_8equal_toIfEEEE10hipError_tPvRmT2_T3_mT4_T5_T6_T7_T8_P12ihipStream_tbENKUlT_T0_E_clISt17integral_constantIbLb1EES11_EEDaSW_SX_EUlSW_E_NS1_11comp_targetILNS1_3genE5ELNS1_11target_archE942ELNS1_3gpuE9ELNS1_3repE0EEENS1_30default_config_static_selectorELNS0_4arch9wavefront6targetE0EEEvT1_
    .private_segment_fixed_size: 0
    .sgpr_count:     0
    .sgpr_spill_count: 0
    .symbol:         _ZN7rocprim17ROCPRIM_400000_NS6detail17trampoline_kernelINS0_14default_configENS1_29reduce_by_key_config_selectorIffN6thrust23THRUST_200600_302600_NS4plusIfEEEEZZNS1_33reduce_by_key_impl_wrapped_configILNS1_25lookback_scan_determinismE1ES3_S9_NS6_6detail15normal_iteratorINS6_10device_ptrIfEEEESG_SG_SG_PmS8_NS6_8equal_toIfEEEE10hipError_tPvRmT2_T3_mT4_T5_T6_T7_T8_P12ihipStream_tbENKUlT_T0_E_clISt17integral_constantIbLb1EES11_EEDaSW_SX_EUlSW_E_NS1_11comp_targetILNS1_3genE5ELNS1_11target_archE942ELNS1_3gpuE9ELNS1_3repE0EEENS1_30default_config_static_selectorELNS0_4arch9wavefront6targetE0EEEvT1_.kd
    .uniform_work_group_size: 1
    .uses_dynamic_stack: false
    .vgpr_count:     0
    .vgpr_spill_count: 0
    .wavefront_size: 32
    .workgroup_processor_mode: 1
  - .args:
      - .offset:         0
        .size:           120
        .value_kind:     by_value
    .group_segment_fixed_size: 0
    .kernarg_segment_align: 8
    .kernarg_segment_size: 120
    .language:       OpenCL C
    .language_version:
      - 2
      - 0
    .max_flat_workgroup_size: 256
    .name:           _ZN7rocprim17ROCPRIM_400000_NS6detail17trampoline_kernelINS0_14default_configENS1_29reduce_by_key_config_selectorIffN6thrust23THRUST_200600_302600_NS4plusIfEEEEZZNS1_33reduce_by_key_impl_wrapped_configILNS1_25lookback_scan_determinismE1ES3_S9_NS6_6detail15normal_iteratorINS6_10device_ptrIfEEEESG_SG_SG_PmS8_NS6_8equal_toIfEEEE10hipError_tPvRmT2_T3_mT4_T5_T6_T7_T8_P12ihipStream_tbENKUlT_T0_E_clISt17integral_constantIbLb1EES11_EEDaSW_SX_EUlSW_E_NS1_11comp_targetILNS1_3genE4ELNS1_11target_archE910ELNS1_3gpuE8ELNS1_3repE0EEENS1_30default_config_static_selectorELNS0_4arch9wavefront6targetE0EEEvT1_
    .private_segment_fixed_size: 0
    .sgpr_count:     0
    .sgpr_spill_count: 0
    .symbol:         _ZN7rocprim17ROCPRIM_400000_NS6detail17trampoline_kernelINS0_14default_configENS1_29reduce_by_key_config_selectorIffN6thrust23THRUST_200600_302600_NS4plusIfEEEEZZNS1_33reduce_by_key_impl_wrapped_configILNS1_25lookback_scan_determinismE1ES3_S9_NS6_6detail15normal_iteratorINS6_10device_ptrIfEEEESG_SG_SG_PmS8_NS6_8equal_toIfEEEE10hipError_tPvRmT2_T3_mT4_T5_T6_T7_T8_P12ihipStream_tbENKUlT_T0_E_clISt17integral_constantIbLb1EES11_EEDaSW_SX_EUlSW_E_NS1_11comp_targetILNS1_3genE4ELNS1_11target_archE910ELNS1_3gpuE8ELNS1_3repE0EEENS1_30default_config_static_selectorELNS0_4arch9wavefront6targetE0EEEvT1_.kd
    .uniform_work_group_size: 1
    .uses_dynamic_stack: false
    .vgpr_count:     0
    .vgpr_spill_count: 0
    .wavefront_size: 32
    .workgroup_processor_mode: 1
  - .args:
      - .offset:         0
        .size:           120
        .value_kind:     by_value
    .group_segment_fixed_size: 0
    .kernarg_segment_align: 8
    .kernarg_segment_size: 120
    .language:       OpenCL C
    .language_version:
      - 2
      - 0
    .max_flat_workgroup_size: 256
    .name:           _ZN7rocprim17ROCPRIM_400000_NS6detail17trampoline_kernelINS0_14default_configENS1_29reduce_by_key_config_selectorIffN6thrust23THRUST_200600_302600_NS4plusIfEEEEZZNS1_33reduce_by_key_impl_wrapped_configILNS1_25lookback_scan_determinismE1ES3_S9_NS6_6detail15normal_iteratorINS6_10device_ptrIfEEEESG_SG_SG_PmS8_NS6_8equal_toIfEEEE10hipError_tPvRmT2_T3_mT4_T5_T6_T7_T8_P12ihipStream_tbENKUlT_T0_E_clISt17integral_constantIbLb1EES11_EEDaSW_SX_EUlSW_E_NS1_11comp_targetILNS1_3genE3ELNS1_11target_archE908ELNS1_3gpuE7ELNS1_3repE0EEENS1_30default_config_static_selectorELNS0_4arch9wavefront6targetE0EEEvT1_
    .private_segment_fixed_size: 0
    .sgpr_count:     0
    .sgpr_spill_count: 0
    .symbol:         _ZN7rocprim17ROCPRIM_400000_NS6detail17trampoline_kernelINS0_14default_configENS1_29reduce_by_key_config_selectorIffN6thrust23THRUST_200600_302600_NS4plusIfEEEEZZNS1_33reduce_by_key_impl_wrapped_configILNS1_25lookback_scan_determinismE1ES3_S9_NS6_6detail15normal_iteratorINS6_10device_ptrIfEEEESG_SG_SG_PmS8_NS6_8equal_toIfEEEE10hipError_tPvRmT2_T3_mT4_T5_T6_T7_T8_P12ihipStream_tbENKUlT_T0_E_clISt17integral_constantIbLb1EES11_EEDaSW_SX_EUlSW_E_NS1_11comp_targetILNS1_3genE3ELNS1_11target_archE908ELNS1_3gpuE7ELNS1_3repE0EEENS1_30default_config_static_selectorELNS0_4arch9wavefront6targetE0EEEvT1_.kd
    .uniform_work_group_size: 1
    .uses_dynamic_stack: false
    .vgpr_count:     0
    .vgpr_spill_count: 0
    .wavefront_size: 32
    .workgroup_processor_mode: 1
  - .args:
      - .offset:         0
        .size:           120
        .value_kind:     by_value
    .group_segment_fixed_size: 0
    .kernarg_segment_align: 8
    .kernarg_segment_size: 120
    .language:       OpenCL C
    .language_version:
      - 2
      - 0
    .max_flat_workgroup_size: 256
    .name:           _ZN7rocprim17ROCPRIM_400000_NS6detail17trampoline_kernelINS0_14default_configENS1_29reduce_by_key_config_selectorIffN6thrust23THRUST_200600_302600_NS4plusIfEEEEZZNS1_33reduce_by_key_impl_wrapped_configILNS1_25lookback_scan_determinismE1ES3_S9_NS6_6detail15normal_iteratorINS6_10device_ptrIfEEEESG_SG_SG_PmS8_NS6_8equal_toIfEEEE10hipError_tPvRmT2_T3_mT4_T5_T6_T7_T8_P12ihipStream_tbENKUlT_T0_E_clISt17integral_constantIbLb1EES11_EEDaSW_SX_EUlSW_E_NS1_11comp_targetILNS1_3genE2ELNS1_11target_archE906ELNS1_3gpuE6ELNS1_3repE0EEENS1_30default_config_static_selectorELNS0_4arch9wavefront6targetE0EEEvT1_
    .private_segment_fixed_size: 0
    .sgpr_count:     0
    .sgpr_spill_count: 0
    .symbol:         _ZN7rocprim17ROCPRIM_400000_NS6detail17trampoline_kernelINS0_14default_configENS1_29reduce_by_key_config_selectorIffN6thrust23THRUST_200600_302600_NS4plusIfEEEEZZNS1_33reduce_by_key_impl_wrapped_configILNS1_25lookback_scan_determinismE1ES3_S9_NS6_6detail15normal_iteratorINS6_10device_ptrIfEEEESG_SG_SG_PmS8_NS6_8equal_toIfEEEE10hipError_tPvRmT2_T3_mT4_T5_T6_T7_T8_P12ihipStream_tbENKUlT_T0_E_clISt17integral_constantIbLb1EES11_EEDaSW_SX_EUlSW_E_NS1_11comp_targetILNS1_3genE2ELNS1_11target_archE906ELNS1_3gpuE6ELNS1_3repE0EEENS1_30default_config_static_selectorELNS0_4arch9wavefront6targetE0EEEvT1_.kd
    .uniform_work_group_size: 1
    .uses_dynamic_stack: false
    .vgpr_count:     0
    .vgpr_spill_count: 0
    .wavefront_size: 32
    .workgroup_processor_mode: 1
  - .args:
      - .offset:         0
        .size:           120
        .value_kind:     by_value
    .group_segment_fixed_size: 0
    .kernarg_segment_align: 8
    .kernarg_segment_size: 120
    .language:       OpenCL C
    .language_version:
      - 2
      - 0
    .max_flat_workgroup_size: 256
    .name:           _ZN7rocprim17ROCPRIM_400000_NS6detail17trampoline_kernelINS0_14default_configENS1_29reduce_by_key_config_selectorIffN6thrust23THRUST_200600_302600_NS4plusIfEEEEZZNS1_33reduce_by_key_impl_wrapped_configILNS1_25lookback_scan_determinismE1ES3_S9_NS6_6detail15normal_iteratorINS6_10device_ptrIfEEEESG_SG_SG_PmS8_NS6_8equal_toIfEEEE10hipError_tPvRmT2_T3_mT4_T5_T6_T7_T8_P12ihipStream_tbENKUlT_T0_E_clISt17integral_constantIbLb1EES11_EEDaSW_SX_EUlSW_E_NS1_11comp_targetILNS1_3genE10ELNS1_11target_archE1201ELNS1_3gpuE5ELNS1_3repE0EEENS1_30default_config_static_selectorELNS0_4arch9wavefront6targetE0EEEvT1_
    .private_segment_fixed_size: 0
    .sgpr_count:     0
    .sgpr_spill_count: 0
    .symbol:         _ZN7rocprim17ROCPRIM_400000_NS6detail17trampoline_kernelINS0_14default_configENS1_29reduce_by_key_config_selectorIffN6thrust23THRUST_200600_302600_NS4plusIfEEEEZZNS1_33reduce_by_key_impl_wrapped_configILNS1_25lookback_scan_determinismE1ES3_S9_NS6_6detail15normal_iteratorINS6_10device_ptrIfEEEESG_SG_SG_PmS8_NS6_8equal_toIfEEEE10hipError_tPvRmT2_T3_mT4_T5_T6_T7_T8_P12ihipStream_tbENKUlT_T0_E_clISt17integral_constantIbLb1EES11_EEDaSW_SX_EUlSW_E_NS1_11comp_targetILNS1_3genE10ELNS1_11target_archE1201ELNS1_3gpuE5ELNS1_3repE0EEENS1_30default_config_static_selectorELNS0_4arch9wavefront6targetE0EEEvT1_.kd
    .uniform_work_group_size: 1
    .uses_dynamic_stack: false
    .vgpr_count:     0
    .vgpr_spill_count: 0
    .wavefront_size: 32
    .workgroup_processor_mode: 1
  - .args:
      - .offset:         0
        .size:           120
        .value_kind:     by_value
    .group_segment_fixed_size: 0
    .kernarg_segment_align: 8
    .kernarg_segment_size: 120
    .language:       OpenCL C
    .language_version:
      - 2
      - 0
    .max_flat_workgroup_size: 256
    .name:           _ZN7rocprim17ROCPRIM_400000_NS6detail17trampoline_kernelINS0_14default_configENS1_29reduce_by_key_config_selectorIffN6thrust23THRUST_200600_302600_NS4plusIfEEEEZZNS1_33reduce_by_key_impl_wrapped_configILNS1_25lookback_scan_determinismE1ES3_S9_NS6_6detail15normal_iteratorINS6_10device_ptrIfEEEESG_SG_SG_PmS8_NS6_8equal_toIfEEEE10hipError_tPvRmT2_T3_mT4_T5_T6_T7_T8_P12ihipStream_tbENKUlT_T0_E_clISt17integral_constantIbLb1EES11_EEDaSW_SX_EUlSW_E_NS1_11comp_targetILNS1_3genE10ELNS1_11target_archE1200ELNS1_3gpuE4ELNS1_3repE0EEENS1_30default_config_static_selectorELNS0_4arch9wavefront6targetE0EEEvT1_
    .private_segment_fixed_size: 0
    .sgpr_count:     0
    .sgpr_spill_count: 0
    .symbol:         _ZN7rocprim17ROCPRIM_400000_NS6detail17trampoline_kernelINS0_14default_configENS1_29reduce_by_key_config_selectorIffN6thrust23THRUST_200600_302600_NS4plusIfEEEEZZNS1_33reduce_by_key_impl_wrapped_configILNS1_25lookback_scan_determinismE1ES3_S9_NS6_6detail15normal_iteratorINS6_10device_ptrIfEEEESG_SG_SG_PmS8_NS6_8equal_toIfEEEE10hipError_tPvRmT2_T3_mT4_T5_T6_T7_T8_P12ihipStream_tbENKUlT_T0_E_clISt17integral_constantIbLb1EES11_EEDaSW_SX_EUlSW_E_NS1_11comp_targetILNS1_3genE10ELNS1_11target_archE1200ELNS1_3gpuE4ELNS1_3repE0EEENS1_30default_config_static_selectorELNS0_4arch9wavefront6targetE0EEEvT1_.kd
    .uniform_work_group_size: 1
    .uses_dynamic_stack: false
    .vgpr_count:     0
    .vgpr_spill_count: 0
    .wavefront_size: 32
    .workgroup_processor_mode: 1
  - .args:
      - .offset:         0
        .size:           120
        .value_kind:     by_value
    .group_segment_fixed_size: 15360
    .kernarg_segment_align: 8
    .kernarg_segment_size: 120
    .language:       OpenCL C
    .language_version:
      - 2
      - 0
    .max_flat_workgroup_size: 256
    .name:           _ZN7rocprim17ROCPRIM_400000_NS6detail17trampoline_kernelINS0_14default_configENS1_29reduce_by_key_config_selectorIffN6thrust23THRUST_200600_302600_NS4plusIfEEEEZZNS1_33reduce_by_key_impl_wrapped_configILNS1_25lookback_scan_determinismE1ES3_S9_NS6_6detail15normal_iteratorINS6_10device_ptrIfEEEESG_SG_SG_PmS8_NS6_8equal_toIfEEEE10hipError_tPvRmT2_T3_mT4_T5_T6_T7_T8_P12ihipStream_tbENKUlT_T0_E_clISt17integral_constantIbLb1EES11_EEDaSW_SX_EUlSW_E_NS1_11comp_targetILNS1_3genE9ELNS1_11target_archE1100ELNS1_3gpuE3ELNS1_3repE0EEENS1_30default_config_static_selectorELNS0_4arch9wavefront6targetE0EEEvT1_
    .private_segment_fixed_size: 48
    .sgpr_count:     51
    .sgpr_spill_count: 0
    .symbol:         _ZN7rocprim17ROCPRIM_400000_NS6detail17trampoline_kernelINS0_14default_configENS1_29reduce_by_key_config_selectorIffN6thrust23THRUST_200600_302600_NS4plusIfEEEEZZNS1_33reduce_by_key_impl_wrapped_configILNS1_25lookback_scan_determinismE1ES3_S9_NS6_6detail15normal_iteratorINS6_10device_ptrIfEEEESG_SG_SG_PmS8_NS6_8equal_toIfEEEE10hipError_tPvRmT2_T3_mT4_T5_T6_T7_T8_P12ihipStream_tbENKUlT_T0_E_clISt17integral_constantIbLb1EES11_EEDaSW_SX_EUlSW_E_NS1_11comp_targetILNS1_3genE9ELNS1_11target_archE1100ELNS1_3gpuE3ELNS1_3repE0EEENS1_30default_config_static_selectorELNS0_4arch9wavefront6targetE0EEEvT1_.kd
    .uniform_work_group_size: 1
    .uses_dynamic_stack: false
    .vgpr_count:     85
    .vgpr_spill_count: 0
    .wavefront_size: 32
    .workgroup_processor_mode: 1
  - .args:
      - .offset:         0
        .size:           120
        .value_kind:     by_value
    .group_segment_fixed_size: 0
    .kernarg_segment_align: 8
    .kernarg_segment_size: 120
    .language:       OpenCL C
    .language_version:
      - 2
      - 0
    .max_flat_workgroup_size: 256
    .name:           _ZN7rocprim17ROCPRIM_400000_NS6detail17trampoline_kernelINS0_14default_configENS1_29reduce_by_key_config_selectorIffN6thrust23THRUST_200600_302600_NS4plusIfEEEEZZNS1_33reduce_by_key_impl_wrapped_configILNS1_25lookback_scan_determinismE1ES3_S9_NS6_6detail15normal_iteratorINS6_10device_ptrIfEEEESG_SG_SG_PmS8_NS6_8equal_toIfEEEE10hipError_tPvRmT2_T3_mT4_T5_T6_T7_T8_P12ihipStream_tbENKUlT_T0_E_clISt17integral_constantIbLb1EES11_EEDaSW_SX_EUlSW_E_NS1_11comp_targetILNS1_3genE8ELNS1_11target_archE1030ELNS1_3gpuE2ELNS1_3repE0EEENS1_30default_config_static_selectorELNS0_4arch9wavefront6targetE0EEEvT1_
    .private_segment_fixed_size: 0
    .sgpr_count:     0
    .sgpr_spill_count: 0
    .symbol:         _ZN7rocprim17ROCPRIM_400000_NS6detail17trampoline_kernelINS0_14default_configENS1_29reduce_by_key_config_selectorIffN6thrust23THRUST_200600_302600_NS4plusIfEEEEZZNS1_33reduce_by_key_impl_wrapped_configILNS1_25lookback_scan_determinismE1ES3_S9_NS6_6detail15normal_iteratorINS6_10device_ptrIfEEEESG_SG_SG_PmS8_NS6_8equal_toIfEEEE10hipError_tPvRmT2_T3_mT4_T5_T6_T7_T8_P12ihipStream_tbENKUlT_T0_E_clISt17integral_constantIbLb1EES11_EEDaSW_SX_EUlSW_E_NS1_11comp_targetILNS1_3genE8ELNS1_11target_archE1030ELNS1_3gpuE2ELNS1_3repE0EEENS1_30default_config_static_selectorELNS0_4arch9wavefront6targetE0EEEvT1_.kd
    .uniform_work_group_size: 1
    .uses_dynamic_stack: false
    .vgpr_count:     0
    .vgpr_spill_count: 0
    .wavefront_size: 32
    .workgroup_processor_mode: 1
  - .args:
      - .address_space:  global
        .offset:         0
        .size:           8
        .value_kind:     global_buffer
      - .offset:         8
        .size:           4
        .value_kind:     by_value
      - .offset:         12
        .size:           1
        .value_kind:     by_value
      - .offset:         16
        .size:           4
        .value_kind:     by_value
      - .address_space:  global
        .offset:         24
        .size:           8
        .value_kind:     global_buffer
      - .address_space:  global
        .offset:         32
        .size:           8
        .value_kind:     global_buffer
      - .offset:         40
        .size:           1
        .value_kind:     by_value
      - .offset:         48
        .size:           4
        .value_kind:     hidden_block_count_x
      - .offset:         52
        .size:           4
        .value_kind:     hidden_block_count_y
      - .offset:         56
        .size:           4
        .value_kind:     hidden_block_count_z
      - .offset:         60
        .size:           2
        .value_kind:     hidden_group_size_x
      - .offset:         62
        .size:           2
        .value_kind:     hidden_group_size_y
      - .offset:         64
        .size:           2
        .value_kind:     hidden_group_size_z
      - .offset:         66
        .size:           2
        .value_kind:     hidden_remainder_x
      - .offset:         68
        .size:           2
        .value_kind:     hidden_remainder_y
      - .offset:         70
        .size:           2
        .value_kind:     hidden_remainder_z
      - .offset:         88
        .size:           8
        .value_kind:     hidden_global_offset_x
      - .offset:         96
        .size:           8
        .value_kind:     hidden_global_offset_y
      - .offset:         104
        .size:           8
        .value_kind:     hidden_global_offset_z
      - .offset:         112
        .size:           2
        .value_kind:     hidden_grid_dims
    .group_segment_fixed_size: 0
    .kernarg_segment_align: 8
    .kernarg_segment_size: 304
    .language:       OpenCL C
    .language_version:
      - 2
      - 0
    .max_flat_workgroup_size: 256
    .name:           _ZN7rocprim17ROCPRIM_400000_NS6detail25reduce_by_key_init_kernelINS1_19lookback_scan_stateINS0_5tupleIJjfEEELb1ELb1EEEfNS1_16block_id_wrapperIjLb0EEEEEvT_jbjPmPT0_T1_
    .private_segment_fixed_size: 0
    .sgpr_count:     18
    .sgpr_spill_count: 0
    .symbol:         _ZN7rocprim17ROCPRIM_400000_NS6detail25reduce_by_key_init_kernelINS1_19lookback_scan_stateINS0_5tupleIJjfEEELb1ELb1EEEfNS1_16block_id_wrapperIjLb0EEEEEvT_jbjPmPT0_T1_.kd
    .uniform_work_group_size: 1
    .uses_dynamic_stack: false
    .vgpr_count:     13
    .vgpr_spill_count: 0
    .wavefront_size: 32
    .workgroup_processor_mode: 1
  - .args:
      - .offset:         0
        .size:           120
        .value_kind:     by_value
    .group_segment_fixed_size: 0
    .kernarg_segment_align: 8
    .kernarg_segment_size: 120
    .language:       OpenCL C
    .language_version:
      - 2
      - 0
    .max_flat_workgroup_size: 256
    .name:           _ZN7rocprim17ROCPRIM_400000_NS6detail17trampoline_kernelINS0_14default_configENS1_29reduce_by_key_config_selectorIffN6thrust23THRUST_200600_302600_NS4plusIfEEEEZZNS1_33reduce_by_key_impl_wrapped_configILNS1_25lookback_scan_determinismE1ES3_S9_NS6_6detail15normal_iteratorINS6_10device_ptrIfEEEESG_SG_SG_PmS8_NS6_8equal_toIfEEEE10hipError_tPvRmT2_T3_mT4_T5_T6_T7_T8_P12ihipStream_tbENKUlT_T0_E_clISt17integral_constantIbLb1EES10_IbLb0EEEEDaSW_SX_EUlSW_E_NS1_11comp_targetILNS1_3genE0ELNS1_11target_archE4294967295ELNS1_3gpuE0ELNS1_3repE0EEENS1_30default_config_static_selectorELNS0_4arch9wavefront6targetE0EEEvT1_
    .private_segment_fixed_size: 0
    .sgpr_count:     0
    .sgpr_spill_count: 0
    .symbol:         _ZN7rocprim17ROCPRIM_400000_NS6detail17trampoline_kernelINS0_14default_configENS1_29reduce_by_key_config_selectorIffN6thrust23THRUST_200600_302600_NS4plusIfEEEEZZNS1_33reduce_by_key_impl_wrapped_configILNS1_25lookback_scan_determinismE1ES3_S9_NS6_6detail15normal_iteratorINS6_10device_ptrIfEEEESG_SG_SG_PmS8_NS6_8equal_toIfEEEE10hipError_tPvRmT2_T3_mT4_T5_T6_T7_T8_P12ihipStream_tbENKUlT_T0_E_clISt17integral_constantIbLb1EES10_IbLb0EEEEDaSW_SX_EUlSW_E_NS1_11comp_targetILNS1_3genE0ELNS1_11target_archE4294967295ELNS1_3gpuE0ELNS1_3repE0EEENS1_30default_config_static_selectorELNS0_4arch9wavefront6targetE0EEEvT1_.kd
    .uniform_work_group_size: 1
    .uses_dynamic_stack: false
    .vgpr_count:     0
    .vgpr_spill_count: 0
    .wavefront_size: 32
    .workgroup_processor_mode: 1
  - .args:
      - .offset:         0
        .size:           120
        .value_kind:     by_value
    .group_segment_fixed_size: 0
    .kernarg_segment_align: 8
    .kernarg_segment_size: 120
    .language:       OpenCL C
    .language_version:
      - 2
      - 0
    .max_flat_workgroup_size: 256
    .name:           _ZN7rocprim17ROCPRIM_400000_NS6detail17trampoline_kernelINS0_14default_configENS1_29reduce_by_key_config_selectorIffN6thrust23THRUST_200600_302600_NS4plusIfEEEEZZNS1_33reduce_by_key_impl_wrapped_configILNS1_25lookback_scan_determinismE1ES3_S9_NS6_6detail15normal_iteratorINS6_10device_ptrIfEEEESG_SG_SG_PmS8_NS6_8equal_toIfEEEE10hipError_tPvRmT2_T3_mT4_T5_T6_T7_T8_P12ihipStream_tbENKUlT_T0_E_clISt17integral_constantIbLb1EES10_IbLb0EEEEDaSW_SX_EUlSW_E_NS1_11comp_targetILNS1_3genE5ELNS1_11target_archE942ELNS1_3gpuE9ELNS1_3repE0EEENS1_30default_config_static_selectorELNS0_4arch9wavefront6targetE0EEEvT1_
    .private_segment_fixed_size: 0
    .sgpr_count:     0
    .sgpr_spill_count: 0
    .symbol:         _ZN7rocprim17ROCPRIM_400000_NS6detail17trampoline_kernelINS0_14default_configENS1_29reduce_by_key_config_selectorIffN6thrust23THRUST_200600_302600_NS4plusIfEEEEZZNS1_33reduce_by_key_impl_wrapped_configILNS1_25lookback_scan_determinismE1ES3_S9_NS6_6detail15normal_iteratorINS6_10device_ptrIfEEEESG_SG_SG_PmS8_NS6_8equal_toIfEEEE10hipError_tPvRmT2_T3_mT4_T5_T6_T7_T8_P12ihipStream_tbENKUlT_T0_E_clISt17integral_constantIbLb1EES10_IbLb0EEEEDaSW_SX_EUlSW_E_NS1_11comp_targetILNS1_3genE5ELNS1_11target_archE942ELNS1_3gpuE9ELNS1_3repE0EEENS1_30default_config_static_selectorELNS0_4arch9wavefront6targetE0EEEvT1_.kd
    .uniform_work_group_size: 1
    .uses_dynamic_stack: false
    .vgpr_count:     0
    .vgpr_spill_count: 0
    .wavefront_size: 32
    .workgroup_processor_mode: 1
  - .args:
      - .offset:         0
        .size:           120
        .value_kind:     by_value
    .group_segment_fixed_size: 0
    .kernarg_segment_align: 8
    .kernarg_segment_size: 120
    .language:       OpenCL C
    .language_version:
      - 2
      - 0
    .max_flat_workgroup_size: 256
    .name:           _ZN7rocprim17ROCPRIM_400000_NS6detail17trampoline_kernelINS0_14default_configENS1_29reduce_by_key_config_selectorIffN6thrust23THRUST_200600_302600_NS4plusIfEEEEZZNS1_33reduce_by_key_impl_wrapped_configILNS1_25lookback_scan_determinismE1ES3_S9_NS6_6detail15normal_iteratorINS6_10device_ptrIfEEEESG_SG_SG_PmS8_NS6_8equal_toIfEEEE10hipError_tPvRmT2_T3_mT4_T5_T6_T7_T8_P12ihipStream_tbENKUlT_T0_E_clISt17integral_constantIbLb1EES10_IbLb0EEEEDaSW_SX_EUlSW_E_NS1_11comp_targetILNS1_3genE4ELNS1_11target_archE910ELNS1_3gpuE8ELNS1_3repE0EEENS1_30default_config_static_selectorELNS0_4arch9wavefront6targetE0EEEvT1_
    .private_segment_fixed_size: 0
    .sgpr_count:     0
    .sgpr_spill_count: 0
    .symbol:         _ZN7rocprim17ROCPRIM_400000_NS6detail17trampoline_kernelINS0_14default_configENS1_29reduce_by_key_config_selectorIffN6thrust23THRUST_200600_302600_NS4plusIfEEEEZZNS1_33reduce_by_key_impl_wrapped_configILNS1_25lookback_scan_determinismE1ES3_S9_NS6_6detail15normal_iteratorINS6_10device_ptrIfEEEESG_SG_SG_PmS8_NS6_8equal_toIfEEEE10hipError_tPvRmT2_T3_mT4_T5_T6_T7_T8_P12ihipStream_tbENKUlT_T0_E_clISt17integral_constantIbLb1EES10_IbLb0EEEEDaSW_SX_EUlSW_E_NS1_11comp_targetILNS1_3genE4ELNS1_11target_archE910ELNS1_3gpuE8ELNS1_3repE0EEENS1_30default_config_static_selectorELNS0_4arch9wavefront6targetE0EEEvT1_.kd
    .uniform_work_group_size: 1
    .uses_dynamic_stack: false
    .vgpr_count:     0
    .vgpr_spill_count: 0
    .wavefront_size: 32
    .workgroup_processor_mode: 1
  - .args:
      - .offset:         0
        .size:           120
        .value_kind:     by_value
    .group_segment_fixed_size: 0
    .kernarg_segment_align: 8
    .kernarg_segment_size: 120
    .language:       OpenCL C
    .language_version:
      - 2
      - 0
    .max_flat_workgroup_size: 256
    .name:           _ZN7rocprim17ROCPRIM_400000_NS6detail17trampoline_kernelINS0_14default_configENS1_29reduce_by_key_config_selectorIffN6thrust23THRUST_200600_302600_NS4plusIfEEEEZZNS1_33reduce_by_key_impl_wrapped_configILNS1_25lookback_scan_determinismE1ES3_S9_NS6_6detail15normal_iteratorINS6_10device_ptrIfEEEESG_SG_SG_PmS8_NS6_8equal_toIfEEEE10hipError_tPvRmT2_T3_mT4_T5_T6_T7_T8_P12ihipStream_tbENKUlT_T0_E_clISt17integral_constantIbLb1EES10_IbLb0EEEEDaSW_SX_EUlSW_E_NS1_11comp_targetILNS1_3genE3ELNS1_11target_archE908ELNS1_3gpuE7ELNS1_3repE0EEENS1_30default_config_static_selectorELNS0_4arch9wavefront6targetE0EEEvT1_
    .private_segment_fixed_size: 0
    .sgpr_count:     0
    .sgpr_spill_count: 0
    .symbol:         _ZN7rocprim17ROCPRIM_400000_NS6detail17trampoline_kernelINS0_14default_configENS1_29reduce_by_key_config_selectorIffN6thrust23THRUST_200600_302600_NS4plusIfEEEEZZNS1_33reduce_by_key_impl_wrapped_configILNS1_25lookback_scan_determinismE1ES3_S9_NS6_6detail15normal_iteratorINS6_10device_ptrIfEEEESG_SG_SG_PmS8_NS6_8equal_toIfEEEE10hipError_tPvRmT2_T3_mT4_T5_T6_T7_T8_P12ihipStream_tbENKUlT_T0_E_clISt17integral_constantIbLb1EES10_IbLb0EEEEDaSW_SX_EUlSW_E_NS1_11comp_targetILNS1_3genE3ELNS1_11target_archE908ELNS1_3gpuE7ELNS1_3repE0EEENS1_30default_config_static_selectorELNS0_4arch9wavefront6targetE0EEEvT1_.kd
    .uniform_work_group_size: 1
    .uses_dynamic_stack: false
    .vgpr_count:     0
    .vgpr_spill_count: 0
    .wavefront_size: 32
    .workgroup_processor_mode: 1
  - .args:
      - .offset:         0
        .size:           120
        .value_kind:     by_value
    .group_segment_fixed_size: 0
    .kernarg_segment_align: 8
    .kernarg_segment_size: 120
    .language:       OpenCL C
    .language_version:
      - 2
      - 0
    .max_flat_workgroup_size: 256
    .name:           _ZN7rocprim17ROCPRIM_400000_NS6detail17trampoline_kernelINS0_14default_configENS1_29reduce_by_key_config_selectorIffN6thrust23THRUST_200600_302600_NS4plusIfEEEEZZNS1_33reduce_by_key_impl_wrapped_configILNS1_25lookback_scan_determinismE1ES3_S9_NS6_6detail15normal_iteratorINS6_10device_ptrIfEEEESG_SG_SG_PmS8_NS6_8equal_toIfEEEE10hipError_tPvRmT2_T3_mT4_T5_T6_T7_T8_P12ihipStream_tbENKUlT_T0_E_clISt17integral_constantIbLb1EES10_IbLb0EEEEDaSW_SX_EUlSW_E_NS1_11comp_targetILNS1_3genE2ELNS1_11target_archE906ELNS1_3gpuE6ELNS1_3repE0EEENS1_30default_config_static_selectorELNS0_4arch9wavefront6targetE0EEEvT1_
    .private_segment_fixed_size: 0
    .sgpr_count:     0
    .sgpr_spill_count: 0
    .symbol:         _ZN7rocprim17ROCPRIM_400000_NS6detail17trampoline_kernelINS0_14default_configENS1_29reduce_by_key_config_selectorIffN6thrust23THRUST_200600_302600_NS4plusIfEEEEZZNS1_33reduce_by_key_impl_wrapped_configILNS1_25lookback_scan_determinismE1ES3_S9_NS6_6detail15normal_iteratorINS6_10device_ptrIfEEEESG_SG_SG_PmS8_NS6_8equal_toIfEEEE10hipError_tPvRmT2_T3_mT4_T5_T6_T7_T8_P12ihipStream_tbENKUlT_T0_E_clISt17integral_constantIbLb1EES10_IbLb0EEEEDaSW_SX_EUlSW_E_NS1_11comp_targetILNS1_3genE2ELNS1_11target_archE906ELNS1_3gpuE6ELNS1_3repE0EEENS1_30default_config_static_selectorELNS0_4arch9wavefront6targetE0EEEvT1_.kd
    .uniform_work_group_size: 1
    .uses_dynamic_stack: false
    .vgpr_count:     0
    .vgpr_spill_count: 0
    .wavefront_size: 32
    .workgroup_processor_mode: 1
  - .args:
      - .offset:         0
        .size:           120
        .value_kind:     by_value
    .group_segment_fixed_size: 0
    .kernarg_segment_align: 8
    .kernarg_segment_size: 120
    .language:       OpenCL C
    .language_version:
      - 2
      - 0
    .max_flat_workgroup_size: 256
    .name:           _ZN7rocprim17ROCPRIM_400000_NS6detail17trampoline_kernelINS0_14default_configENS1_29reduce_by_key_config_selectorIffN6thrust23THRUST_200600_302600_NS4plusIfEEEEZZNS1_33reduce_by_key_impl_wrapped_configILNS1_25lookback_scan_determinismE1ES3_S9_NS6_6detail15normal_iteratorINS6_10device_ptrIfEEEESG_SG_SG_PmS8_NS6_8equal_toIfEEEE10hipError_tPvRmT2_T3_mT4_T5_T6_T7_T8_P12ihipStream_tbENKUlT_T0_E_clISt17integral_constantIbLb1EES10_IbLb0EEEEDaSW_SX_EUlSW_E_NS1_11comp_targetILNS1_3genE10ELNS1_11target_archE1201ELNS1_3gpuE5ELNS1_3repE0EEENS1_30default_config_static_selectorELNS0_4arch9wavefront6targetE0EEEvT1_
    .private_segment_fixed_size: 0
    .sgpr_count:     0
    .sgpr_spill_count: 0
    .symbol:         _ZN7rocprim17ROCPRIM_400000_NS6detail17trampoline_kernelINS0_14default_configENS1_29reduce_by_key_config_selectorIffN6thrust23THRUST_200600_302600_NS4plusIfEEEEZZNS1_33reduce_by_key_impl_wrapped_configILNS1_25lookback_scan_determinismE1ES3_S9_NS6_6detail15normal_iteratorINS6_10device_ptrIfEEEESG_SG_SG_PmS8_NS6_8equal_toIfEEEE10hipError_tPvRmT2_T3_mT4_T5_T6_T7_T8_P12ihipStream_tbENKUlT_T0_E_clISt17integral_constantIbLb1EES10_IbLb0EEEEDaSW_SX_EUlSW_E_NS1_11comp_targetILNS1_3genE10ELNS1_11target_archE1201ELNS1_3gpuE5ELNS1_3repE0EEENS1_30default_config_static_selectorELNS0_4arch9wavefront6targetE0EEEvT1_.kd
    .uniform_work_group_size: 1
    .uses_dynamic_stack: false
    .vgpr_count:     0
    .vgpr_spill_count: 0
    .wavefront_size: 32
    .workgroup_processor_mode: 1
  - .args:
      - .offset:         0
        .size:           120
        .value_kind:     by_value
    .group_segment_fixed_size: 0
    .kernarg_segment_align: 8
    .kernarg_segment_size: 120
    .language:       OpenCL C
    .language_version:
      - 2
      - 0
    .max_flat_workgroup_size: 256
    .name:           _ZN7rocprim17ROCPRIM_400000_NS6detail17trampoline_kernelINS0_14default_configENS1_29reduce_by_key_config_selectorIffN6thrust23THRUST_200600_302600_NS4plusIfEEEEZZNS1_33reduce_by_key_impl_wrapped_configILNS1_25lookback_scan_determinismE1ES3_S9_NS6_6detail15normal_iteratorINS6_10device_ptrIfEEEESG_SG_SG_PmS8_NS6_8equal_toIfEEEE10hipError_tPvRmT2_T3_mT4_T5_T6_T7_T8_P12ihipStream_tbENKUlT_T0_E_clISt17integral_constantIbLb1EES10_IbLb0EEEEDaSW_SX_EUlSW_E_NS1_11comp_targetILNS1_3genE10ELNS1_11target_archE1200ELNS1_3gpuE4ELNS1_3repE0EEENS1_30default_config_static_selectorELNS0_4arch9wavefront6targetE0EEEvT1_
    .private_segment_fixed_size: 0
    .sgpr_count:     0
    .sgpr_spill_count: 0
    .symbol:         _ZN7rocprim17ROCPRIM_400000_NS6detail17trampoline_kernelINS0_14default_configENS1_29reduce_by_key_config_selectorIffN6thrust23THRUST_200600_302600_NS4plusIfEEEEZZNS1_33reduce_by_key_impl_wrapped_configILNS1_25lookback_scan_determinismE1ES3_S9_NS6_6detail15normal_iteratorINS6_10device_ptrIfEEEESG_SG_SG_PmS8_NS6_8equal_toIfEEEE10hipError_tPvRmT2_T3_mT4_T5_T6_T7_T8_P12ihipStream_tbENKUlT_T0_E_clISt17integral_constantIbLb1EES10_IbLb0EEEEDaSW_SX_EUlSW_E_NS1_11comp_targetILNS1_3genE10ELNS1_11target_archE1200ELNS1_3gpuE4ELNS1_3repE0EEENS1_30default_config_static_selectorELNS0_4arch9wavefront6targetE0EEEvT1_.kd
    .uniform_work_group_size: 1
    .uses_dynamic_stack: false
    .vgpr_count:     0
    .vgpr_spill_count: 0
    .wavefront_size: 32
    .workgroup_processor_mode: 1
  - .args:
      - .offset:         0
        .size:           120
        .value_kind:     by_value
    .group_segment_fixed_size: 15360
    .kernarg_segment_align: 8
    .kernarg_segment_size: 120
    .language:       OpenCL C
    .language_version:
      - 2
      - 0
    .max_flat_workgroup_size: 256
    .name:           _ZN7rocprim17ROCPRIM_400000_NS6detail17trampoline_kernelINS0_14default_configENS1_29reduce_by_key_config_selectorIffN6thrust23THRUST_200600_302600_NS4plusIfEEEEZZNS1_33reduce_by_key_impl_wrapped_configILNS1_25lookback_scan_determinismE1ES3_S9_NS6_6detail15normal_iteratorINS6_10device_ptrIfEEEESG_SG_SG_PmS8_NS6_8equal_toIfEEEE10hipError_tPvRmT2_T3_mT4_T5_T6_T7_T8_P12ihipStream_tbENKUlT_T0_E_clISt17integral_constantIbLb1EES10_IbLb0EEEEDaSW_SX_EUlSW_E_NS1_11comp_targetILNS1_3genE9ELNS1_11target_archE1100ELNS1_3gpuE3ELNS1_3repE0EEENS1_30default_config_static_selectorELNS0_4arch9wavefront6targetE0EEEvT1_
    .private_segment_fixed_size: 48
    .sgpr_count:     50
    .sgpr_spill_count: 0
    .symbol:         _ZN7rocprim17ROCPRIM_400000_NS6detail17trampoline_kernelINS0_14default_configENS1_29reduce_by_key_config_selectorIffN6thrust23THRUST_200600_302600_NS4plusIfEEEEZZNS1_33reduce_by_key_impl_wrapped_configILNS1_25lookback_scan_determinismE1ES3_S9_NS6_6detail15normal_iteratorINS6_10device_ptrIfEEEESG_SG_SG_PmS8_NS6_8equal_toIfEEEE10hipError_tPvRmT2_T3_mT4_T5_T6_T7_T8_P12ihipStream_tbENKUlT_T0_E_clISt17integral_constantIbLb1EES10_IbLb0EEEEDaSW_SX_EUlSW_E_NS1_11comp_targetILNS1_3genE9ELNS1_11target_archE1100ELNS1_3gpuE3ELNS1_3repE0EEENS1_30default_config_static_selectorELNS0_4arch9wavefront6targetE0EEEvT1_.kd
    .uniform_work_group_size: 1
    .uses_dynamic_stack: false
    .vgpr_count:     85
    .vgpr_spill_count: 0
    .wavefront_size: 32
    .workgroup_processor_mode: 1
  - .args:
      - .offset:         0
        .size:           120
        .value_kind:     by_value
    .group_segment_fixed_size: 0
    .kernarg_segment_align: 8
    .kernarg_segment_size: 120
    .language:       OpenCL C
    .language_version:
      - 2
      - 0
    .max_flat_workgroup_size: 256
    .name:           _ZN7rocprim17ROCPRIM_400000_NS6detail17trampoline_kernelINS0_14default_configENS1_29reduce_by_key_config_selectorIffN6thrust23THRUST_200600_302600_NS4plusIfEEEEZZNS1_33reduce_by_key_impl_wrapped_configILNS1_25lookback_scan_determinismE1ES3_S9_NS6_6detail15normal_iteratorINS6_10device_ptrIfEEEESG_SG_SG_PmS8_NS6_8equal_toIfEEEE10hipError_tPvRmT2_T3_mT4_T5_T6_T7_T8_P12ihipStream_tbENKUlT_T0_E_clISt17integral_constantIbLb1EES10_IbLb0EEEEDaSW_SX_EUlSW_E_NS1_11comp_targetILNS1_3genE8ELNS1_11target_archE1030ELNS1_3gpuE2ELNS1_3repE0EEENS1_30default_config_static_selectorELNS0_4arch9wavefront6targetE0EEEvT1_
    .private_segment_fixed_size: 0
    .sgpr_count:     0
    .sgpr_spill_count: 0
    .symbol:         _ZN7rocprim17ROCPRIM_400000_NS6detail17trampoline_kernelINS0_14default_configENS1_29reduce_by_key_config_selectorIffN6thrust23THRUST_200600_302600_NS4plusIfEEEEZZNS1_33reduce_by_key_impl_wrapped_configILNS1_25lookback_scan_determinismE1ES3_S9_NS6_6detail15normal_iteratorINS6_10device_ptrIfEEEESG_SG_SG_PmS8_NS6_8equal_toIfEEEE10hipError_tPvRmT2_T3_mT4_T5_T6_T7_T8_P12ihipStream_tbENKUlT_T0_E_clISt17integral_constantIbLb1EES10_IbLb0EEEEDaSW_SX_EUlSW_E_NS1_11comp_targetILNS1_3genE8ELNS1_11target_archE1030ELNS1_3gpuE2ELNS1_3repE0EEENS1_30default_config_static_selectorELNS0_4arch9wavefront6targetE0EEEvT1_.kd
    .uniform_work_group_size: 1
    .uses_dynamic_stack: false
    .vgpr_count:     0
    .vgpr_spill_count: 0
    .wavefront_size: 32
    .workgroup_processor_mode: 1
  - .args:
      - .address_space:  global
        .offset:         0
        .size:           8
        .value_kind:     global_buffer
      - .offset:         8
        .size:           4
        .value_kind:     by_value
      - .offset:         12
        .size:           1
        .value_kind:     by_value
      - .offset:         16
        .size:           4
        .value_kind:     by_value
      - .address_space:  global
        .offset:         24
        .size:           8
        .value_kind:     global_buffer
      - .address_space:  global
        .offset:         32
        .size:           8
        .value_kind:     global_buffer
      - .address_space:  global
        .offset:         40
        .size:           8
        .value_kind:     global_buffer
      - .offset:         48
        .size:           4
        .value_kind:     hidden_block_count_x
      - .offset:         52
        .size:           4
        .value_kind:     hidden_block_count_y
      - .offset:         56
        .size:           4
        .value_kind:     hidden_block_count_z
      - .offset:         60
        .size:           2
        .value_kind:     hidden_group_size_x
      - .offset:         62
        .size:           2
        .value_kind:     hidden_group_size_y
      - .offset:         64
        .size:           2
        .value_kind:     hidden_group_size_z
      - .offset:         66
        .size:           2
        .value_kind:     hidden_remainder_x
      - .offset:         68
        .size:           2
        .value_kind:     hidden_remainder_y
      - .offset:         70
        .size:           2
        .value_kind:     hidden_remainder_z
      - .offset:         88
        .size:           8
        .value_kind:     hidden_global_offset_x
      - .offset:         96
        .size:           8
        .value_kind:     hidden_global_offset_y
      - .offset:         104
        .size:           8
        .value_kind:     hidden_global_offset_z
      - .offset:         112
        .size:           2
        .value_kind:     hidden_grid_dims
    .group_segment_fixed_size: 0
    .kernarg_segment_align: 8
    .kernarg_segment_size: 304
    .language:       OpenCL C
    .language_version:
      - 2
      - 0
    .max_flat_workgroup_size: 256
    .name:           _ZN7rocprim17ROCPRIM_400000_NS6detail25reduce_by_key_init_kernelINS1_19lookback_scan_stateINS0_5tupleIJjfEEELb0ELb1EEEfNS1_16block_id_wrapperIjLb1EEEEEvT_jbjPmPT0_T1_
    .private_segment_fixed_size: 0
    .sgpr_count:     18
    .sgpr_spill_count: 0
    .symbol:         _ZN7rocprim17ROCPRIM_400000_NS6detail25reduce_by_key_init_kernelINS1_19lookback_scan_stateINS0_5tupleIJjfEEELb0ELb1EEEfNS1_16block_id_wrapperIjLb1EEEEEvT_jbjPmPT0_T1_.kd
    .uniform_work_group_size: 1
    .uses_dynamic_stack: false
    .vgpr_count:     12
    .vgpr_spill_count: 0
    .wavefront_size: 32
    .workgroup_processor_mode: 1
  - .args:
      - .offset:         0
        .size:           120
        .value_kind:     by_value
    .group_segment_fixed_size: 0
    .kernarg_segment_align: 8
    .kernarg_segment_size: 120
    .language:       OpenCL C
    .language_version:
      - 2
      - 0
    .max_flat_workgroup_size: 256
    .name:           _ZN7rocprim17ROCPRIM_400000_NS6detail17trampoline_kernelINS0_14default_configENS1_29reduce_by_key_config_selectorIffN6thrust23THRUST_200600_302600_NS4plusIfEEEEZZNS1_33reduce_by_key_impl_wrapped_configILNS1_25lookback_scan_determinismE1ES3_S9_NS6_6detail15normal_iteratorINS6_10device_ptrIfEEEESG_SG_SG_PmS8_NS6_8equal_toIfEEEE10hipError_tPvRmT2_T3_mT4_T5_T6_T7_T8_P12ihipStream_tbENKUlT_T0_E_clISt17integral_constantIbLb0EES10_IbLb1EEEEDaSW_SX_EUlSW_E_NS1_11comp_targetILNS1_3genE0ELNS1_11target_archE4294967295ELNS1_3gpuE0ELNS1_3repE0EEENS1_30default_config_static_selectorELNS0_4arch9wavefront6targetE0EEEvT1_
    .private_segment_fixed_size: 0
    .sgpr_count:     0
    .sgpr_spill_count: 0
    .symbol:         _ZN7rocprim17ROCPRIM_400000_NS6detail17trampoline_kernelINS0_14default_configENS1_29reduce_by_key_config_selectorIffN6thrust23THRUST_200600_302600_NS4plusIfEEEEZZNS1_33reduce_by_key_impl_wrapped_configILNS1_25lookback_scan_determinismE1ES3_S9_NS6_6detail15normal_iteratorINS6_10device_ptrIfEEEESG_SG_SG_PmS8_NS6_8equal_toIfEEEE10hipError_tPvRmT2_T3_mT4_T5_T6_T7_T8_P12ihipStream_tbENKUlT_T0_E_clISt17integral_constantIbLb0EES10_IbLb1EEEEDaSW_SX_EUlSW_E_NS1_11comp_targetILNS1_3genE0ELNS1_11target_archE4294967295ELNS1_3gpuE0ELNS1_3repE0EEENS1_30default_config_static_selectorELNS0_4arch9wavefront6targetE0EEEvT1_.kd
    .uniform_work_group_size: 1
    .uses_dynamic_stack: false
    .vgpr_count:     0
    .vgpr_spill_count: 0
    .wavefront_size: 32
    .workgroup_processor_mode: 1
  - .args:
      - .offset:         0
        .size:           120
        .value_kind:     by_value
    .group_segment_fixed_size: 0
    .kernarg_segment_align: 8
    .kernarg_segment_size: 120
    .language:       OpenCL C
    .language_version:
      - 2
      - 0
    .max_flat_workgroup_size: 256
    .name:           _ZN7rocprim17ROCPRIM_400000_NS6detail17trampoline_kernelINS0_14default_configENS1_29reduce_by_key_config_selectorIffN6thrust23THRUST_200600_302600_NS4plusIfEEEEZZNS1_33reduce_by_key_impl_wrapped_configILNS1_25lookback_scan_determinismE1ES3_S9_NS6_6detail15normal_iteratorINS6_10device_ptrIfEEEESG_SG_SG_PmS8_NS6_8equal_toIfEEEE10hipError_tPvRmT2_T3_mT4_T5_T6_T7_T8_P12ihipStream_tbENKUlT_T0_E_clISt17integral_constantIbLb0EES10_IbLb1EEEEDaSW_SX_EUlSW_E_NS1_11comp_targetILNS1_3genE5ELNS1_11target_archE942ELNS1_3gpuE9ELNS1_3repE0EEENS1_30default_config_static_selectorELNS0_4arch9wavefront6targetE0EEEvT1_
    .private_segment_fixed_size: 0
    .sgpr_count:     0
    .sgpr_spill_count: 0
    .symbol:         _ZN7rocprim17ROCPRIM_400000_NS6detail17trampoline_kernelINS0_14default_configENS1_29reduce_by_key_config_selectorIffN6thrust23THRUST_200600_302600_NS4plusIfEEEEZZNS1_33reduce_by_key_impl_wrapped_configILNS1_25lookback_scan_determinismE1ES3_S9_NS6_6detail15normal_iteratorINS6_10device_ptrIfEEEESG_SG_SG_PmS8_NS6_8equal_toIfEEEE10hipError_tPvRmT2_T3_mT4_T5_T6_T7_T8_P12ihipStream_tbENKUlT_T0_E_clISt17integral_constantIbLb0EES10_IbLb1EEEEDaSW_SX_EUlSW_E_NS1_11comp_targetILNS1_3genE5ELNS1_11target_archE942ELNS1_3gpuE9ELNS1_3repE0EEENS1_30default_config_static_selectorELNS0_4arch9wavefront6targetE0EEEvT1_.kd
    .uniform_work_group_size: 1
    .uses_dynamic_stack: false
    .vgpr_count:     0
    .vgpr_spill_count: 0
    .wavefront_size: 32
    .workgroup_processor_mode: 1
  - .args:
      - .offset:         0
        .size:           120
        .value_kind:     by_value
    .group_segment_fixed_size: 0
    .kernarg_segment_align: 8
    .kernarg_segment_size: 120
    .language:       OpenCL C
    .language_version:
      - 2
      - 0
    .max_flat_workgroup_size: 256
    .name:           _ZN7rocprim17ROCPRIM_400000_NS6detail17trampoline_kernelINS0_14default_configENS1_29reduce_by_key_config_selectorIffN6thrust23THRUST_200600_302600_NS4plusIfEEEEZZNS1_33reduce_by_key_impl_wrapped_configILNS1_25lookback_scan_determinismE1ES3_S9_NS6_6detail15normal_iteratorINS6_10device_ptrIfEEEESG_SG_SG_PmS8_NS6_8equal_toIfEEEE10hipError_tPvRmT2_T3_mT4_T5_T6_T7_T8_P12ihipStream_tbENKUlT_T0_E_clISt17integral_constantIbLb0EES10_IbLb1EEEEDaSW_SX_EUlSW_E_NS1_11comp_targetILNS1_3genE4ELNS1_11target_archE910ELNS1_3gpuE8ELNS1_3repE0EEENS1_30default_config_static_selectorELNS0_4arch9wavefront6targetE0EEEvT1_
    .private_segment_fixed_size: 0
    .sgpr_count:     0
    .sgpr_spill_count: 0
    .symbol:         _ZN7rocprim17ROCPRIM_400000_NS6detail17trampoline_kernelINS0_14default_configENS1_29reduce_by_key_config_selectorIffN6thrust23THRUST_200600_302600_NS4plusIfEEEEZZNS1_33reduce_by_key_impl_wrapped_configILNS1_25lookback_scan_determinismE1ES3_S9_NS6_6detail15normal_iteratorINS6_10device_ptrIfEEEESG_SG_SG_PmS8_NS6_8equal_toIfEEEE10hipError_tPvRmT2_T3_mT4_T5_T6_T7_T8_P12ihipStream_tbENKUlT_T0_E_clISt17integral_constantIbLb0EES10_IbLb1EEEEDaSW_SX_EUlSW_E_NS1_11comp_targetILNS1_3genE4ELNS1_11target_archE910ELNS1_3gpuE8ELNS1_3repE0EEENS1_30default_config_static_selectorELNS0_4arch9wavefront6targetE0EEEvT1_.kd
    .uniform_work_group_size: 1
    .uses_dynamic_stack: false
    .vgpr_count:     0
    .vgpr_spill_count: 0
    .wavefront_size: 32
    .workgroup_processor_mode: 1
  - .args:
      - .offset:         0
        .size:           120
        .value_kind:     by_value
    .group_segment_fixed_size: 0
    .kernarg_segment_align: 8
    .kernarg_segment_size: 120
    .language:       OpenCL C
    .language_version:
      - 2
      - 0
    .max_flat_workgroup_size: 256
    .name:           _ZN7rocprim17ROCPRIM_400000_NS6detail17trampoline_kernelINS0_14default_configENS1_29reduce_by_key_config_selectorIffN6thrust23THRUST_200600_302600_NS4plusIfEEEEZZNS1_33reduce_by_key_impl_wrapped_configILNS1_25lookback_scan_determinismE1ES3_S9_NS6_6detail15normal_iteratorINS6_10device_ptrIfEEEESG_SG_SG_PmS8_NS6_8equal_toIfEEEE10hipError_tPvRmT2_T3_mT4_T5_T6_T7_T8_P12ihipStream_tbENKUlT_T0_E_clISt17integral_constantIbLb0EES10_IbLb1EEEEDaSW_SX_EUlSW_E_NS1_11comp_targetILNS1_3genE3ELNS1_11target_archE908ELNS1_3gpuE7ELNS1_3repE0EEENS1_30default_config_static_selectorELNS0_4arch9wavefront6targetE0EEEvT1_
    .private_segment_fixed_size: 0
    .sgpr_count:     0
    .sgpr_spill_count: 0
    .symbol:         _ZN7rocprim17ROCPRIM_400000_NS6detail17trampoline_kernelINS0_14default_configENS1_29reduce_by_key_config_selectorIffN6thrust23THRUST_200600_302600_NS4plusIfEEEEZZNS1_33reduce_by_key_impl_wrapped_configILNS1_25lookback_scan_determinismE1ES3_S9_NS6_6detail15normal_iteratorINS6_10device_ptrIfEEEESG_SG_SG_PmS8_NS6_8equal_toIfEEEE10hipError_tPvRmT2_T3_mT4_T5_T6_T7_T8_P12ihipStream_tbENKUlT_T0_E_clISt17integral_constantIbLb0EES10_IbLb1EEEEDaSW_SX_EUlSW_E_NS1_11comp_targetILNS1_3genE3ELNS1_11target_archE908ELNS1_3gpuE7ELNS1_3repE0EEENS1_30default_config_static_selectorELNS0_4arch9wavefront6targetE0EEEvT1_.kd
    .uniform_work_group_size: 1
    .uses_dynamic_stack: false
    .vgpr_count:     0
    .vgpr_spill_count: 0
    .wavefront_size: 32
    .workgroup_processor_mode: 1
  - .args:
      - .offset:         0
        .size:           120
        .value_kind:     by_value
    .group_segment_fixed_size: 0
    .kernarg_segment_align: 8
    .kernarg_segment_size: 120
    .language:       OpenCL C
    .language_version:
      - 2
      - 0
    .max_flat_workgroup_size: 256
    .name:           _ZN7rocprim17ROCPRIM_400000_NS6detail17trampoline_kernelINS0_14default_configENS1_29reduce_by_key_config_selectorIffN6thrust23THRUST_200600_302600_NS4plusIfEEEEZZNS1_33reduce_by_key_impl_wrapped_configILNS1_25lookback_scan_determinismE1ES3_S9_NS6_6detail15normal_iteratorINS6_10device_ptrIfEEEESG_SG_SG_PmS8_NS6_8equal_toIfEEEE10hipError_tPvRmT2_T3_mT4_T5_T6_T7_T8_P12ihipStream_tbENKUlT_T0_E_clISt17integral_constantIbLb0EES10_IbLb1EEEEDaSW_SX_EUlSW_E_NS1_11comp_targetILNS1_3genE2ELNS1_11target_archE906ELNS1_3gpuE6ELNS1_3repE0EEENS1_30default_config_static_selectorELNS0_4arch9wavefront6targetE0EEEvT1_
    .private_segment_fixed_size: 0
    .sgpr_count:     0
    .sgpr_spill_count: 0
    .symbol:         _ZN7rocprim17ROCPRIM_400000_NS6detail17trampoline_kernelINS0_14default_configENS1_29reduce_by_key_config_selectorIffN6thrust23THRUST_200600_302600_NS4plusIfEEEEZZNS1_33reduce_by_key_impl_wrapped_configILNS1_25lookback_scan_determinismE1ES3_S9_NS6_6detail15normal_iteratorINS6_10device_ptrIfEEEESG_SG_SG_PmS8_NS6_8equal_toIfEEEE10hipError_tPvRmT2_T3_mT4_T5_T6_T7_T8_P12ihipStream_tbENKUlT_T0_E_clISt17integral_constantIbLb0EES10_IbLb1EEEEDaSW_SX_EUlSW_E_NS1_11comp_targetILNS1_3genE2ELNS1_11target_archE906ELNS1_3gpuE6ELNS1_3repE0EEENS1_30default_config_static_selectorELNS0_4arch9wavefront6targetE0EEEvT1_.kd
    .uniform_work_group_size: 1
    .uses_dynamic_stack: false
    .vgpr_count:     0
    .vgpr_spill_count: 0
    .wavefront_size: 32
    .workgroup_processor_mode: 1
  - .args:
      - .offset:         0
        .size:           120
        .value_kind:     by_value
    .group_segment_fixed_size: 0
    .kernarg_segment_align: 8
    .kernarg_segment_size: 120
    .language:       OpenCL C
    .language_version:
      - 2
      - 0
    .max_flat_workgroup_size: 256
    .name:           _ZN7rocprim17ROCPRIM_400000_NS6detail17trampoline_kernelINS0_14default_configENS1_29reduce_by_key_config_selectorIffN6thrust23THRUST_200600_302600_NS4plusIfEEEEZZNS1_33reduce_by_key_impl_wrapped_configILNS1_25lookback_scan_determinismE1ES3_S9_NS6_6detail15normal_iteratorINS6_10device_ptrIfEEEESG_SG_SG_PmS8_NS6_8equal_toIfEEEE10hipError_tPvRmT2_T3_mT4_T5_T6_T7_T8_P12ihipStream_tbENKUlT_T0_E_clISt17integral_constantIbLb0EES10_IbLb1EEEEDaSW_SX_EUlSW_E_NS1_11comp_targetILNS1_3genE10ELNS1_11target_archE1201ELNS1_3gpuE5ELNS1_3repE0EEENS1_30default_config_static_selectorELNS0_4arch9wavefront6targetE0EEEvT1_
    .private_segment_fixed_size: 0
    .sgpr_count:     0
    .sgpr_spill_count: 0
    .symbol:         _ZN7rocprim17ROCPRIM_400000_NS6detail17trampoline_kernelINS0_14default_configENS1_29reduce_by_key_config_selectorIffN6thrust23THRUST_200600_302600_NS4plusIfEEEEZZNS1_33reduce_by_key_impl_wrapped_configILNS1_25lookback_scan_determinismE1ES3_S9_NS6_6detail15normal_iteratorINS6_10device_ptrIfEEEESG_SG_SG_PmS8_NS6_8equal_toIfEEEE10hipError_tPvRmT2_T3_mT4_T5_T6_T7_T8_P12ihipStream_tbENKUlT_T0_E_clISt17integral_constantIbLb0EES10_IbLb1EEEEDaSW_SX_EUlSW_E_NS1_11comp_targetILNS1_3genE10ELNS1_11target_archE1201ELNS1_3gpuE5ELNS1_3repE0EEENS1_30default_config_static_selectorELNS0_4arch9wavefront6targetE0EEEvT1_.kd
    .uniform_work_group_size: 1
    .uses_dynamic_stack: false
    .vgpr_count:     0
    .vgpr_spill_count: 0
    .wavefront_size: 32
    .workgroup_processor_mode: 1
  - .args:
      - .offset:         0
        .size:           120
        .value_kind:     by_value
    .group_segment_fixed_size: 0
    .kernarg_segment_align: 8
    .kernarg_segment_size: 120
    .language:       OpenCL C
    .language_version:
      - 2
      - 0
    .max_flat_workgroup_size: 256
    .name:           _ZN7rocprim17ROCPRIM_400000_NS6detail17trampoline_kernelINS0_14default_configENS1_29reduce_by_key_config_selectorIffN6thrust23THRUST_200600_302600_NS4plusIfEEEEZZNS1_33reduce_by_key_impl_wrapped_configILNS1_25lookback_scan_determinismE1ES3_S9_NS6_6detail15normal_iteratorINS6_10device_ptrIfEEEESG_SG_SG_PmS8_NS6_8equal_toIfEEEE10hipError_tPvRmT2_T3_mT4_T5_T6_T7_T8_P12ihipStream_tbENKUlT_T0_E_clISt17integral_constantIbLb0EES10_IbLb1EEEEDaSW_SX_EUlSW_E_NS1_11comp_targetILNS1_3genE10ELNS1_11target_archE1200ELNS1_3gpuE4ELNS1_3repE0EEENS1_30default_config_static_selectorELNS0_4arch9wavefront6targetE0EEEvT1_
    .private_segment_fixed_size: 0
    .sgpr_count:     0
    .sgpr_spill_count: 0
    .symbol:         _ZN7rocprim17ROCPRIM_400000_NS6detail17trampoline_kernelINS0_14default_configENS1_29reduce_by_key_config_selectorIffN6thrust23THRUST_200600_302600_NS4plusIfEEEEZZNS1_33reduce_by_key_impl_wrapped_configILNS1_25lookback_scan_determinismE1ES3_S9_NS6_6detail15normal_iteratorINS6_10device_ptrIfEEEESG_SG_SG_PmS8_NS6_8equal_toIfEEEE10hipError_tPvRmT2_T3_mT4_T5_T6_T7_T8_P12ihipStream_tbENKUlT_T0_E_clISt17integral_constantIbLb0EES10_IbLb1EEEEDaSW_SX_EUlSW_E_NS1_11comp_targetILNS1_3genE10ELNS1_11target_archE1200ELNS1_3gpuE4ELNS1_3repE0EEENS1_30default_config_static_selectorELNS0_4arch9wavefront6targetE0EEEvT1_.kd
    .uniform_work_group_size: 1
    .uses_dynamic_stack: false
    .vgpr_count:     0
    .vgpr_spill_count: 0
    .wavefront_size: 32
    .workgroup_processor_mode: 1
  - .args:
      - .offset:         0
        .size:           120
        .value_kind:     by_value
    .group_segment_fixed_size: 15360
    .kernarg_segment_align: 8
    .kernarg_segment_size: 120
    .language:       OpenCL C
    .language_version:
      - 2
      - 0
    .max_flat_workgroup_size: 256
    .name:           _ZN7rocprim17ROCPRIM_400000_NS6detail17trampoline_kernelINS0_14default_configENS1_29reduce_by_key_config_selectorIffN6thrust23THRUST_200600_302600_NS4plusIfEEEEZZNS1_33reduce_by_key_impl_wrapped_configILNS1_25lookback_scan_determinismE1ES3_S9_NS6_6detail15normal_iteratorINS6_10device_ptrIfEEEESG_SG_SG_PmS8_NS6_8equal_toIfEEEE10hipError_tPvRmT2_T3_mT4_T5_T6_T7_T8_P12ihipStream_tbENKUlT_T0_E_clISt17integral_constantIbLb0EES10_IbLb1EEEEDaSW_SX_EUlSW_E_NS1_11comp_targetILNS1_3genE9ELNS1_11target_archE1100ELNS1_3gpuE3ELNS1_3repE0EEENS1_30default_config_static_selectorELNS0_4arch9wavefront6targetE0EEEvT1_
    .private_segment_fixed_size: 48
    .sgpr_count:     48
    .sgpr_spill_count: 0
    .symbol:         _ZN7rocprim17ROCPRIM_400000_NS6detail17trampoline_kernelINS0_14default_configENS1_29reduce_by_key_config_selectorIffN6thrust23THRUST_200600_302600_NS4plusIfEEEEZZNS1_33reduce_by_key_impl_wrapped_configILNS1_25lookback_scan_determinismE1ES3_S9_NS6_6detail15normal_iteratorINS6_10device_ptrIfEEEESG_SG_SG_PmS8_NS6_8equal_toIfEEEE10hipError_tPvRmT2_T3_mT4_T5_T6_T7_T8_P12ihipStream_tbENKUlT_T0_E_clISt17integral_constantIbLb0EES10_IbLb1EEEEDaSW_SX_EUlSW_E_NS1_11comp_targetILNS1_3genE9ELNS1_11target_archE1100ELNS1_3gpuE3ELNS1_3repE0EEENS1_30default_config_static_selectorELNS0_4arch9wavefront6targetE0EEEvT1_.kd
    .uniform_work_group_size: 1
    .uses_dynamic_stack: false
    .vgpr_count:     85
    .vgpr_spill_count: 0
    .wavefront_size: 32
    .workgroup_processor_mode: 1
  - .args:
      - .offset:         0
        .size:           120
        .value_kind:     by_value
    .group_segment_fixed_size: 0
    .kernarg_segment_align: 8
    .kernarg_segment_size: 120
    .language:       OpenCL C
    .language_version:
      - 2
      - 0
    .max_flat_workgroup_size: 256
    .name:           _ZN7rocprim17ROCPRIM_400000_NS6detail17trampoline_kernelINS0_14default_configENS1_29reduce_by_key_config_selectorIffN6thrust23THRUST_200600_302600_NS4plusIfEEEEZZNS1_33reduce_by_key_impl_wrapped_configILNS1_25lookback_scan_determinismE1ES3_S9_NS6_6detail15normal_iteratorINS6_10device_ptrIfEEEESG_SG_SG_PmS8_NS6_8equal_toIfEEEE10hipError_tPvRmT2_T3_mT4_T5_T6_T7_T8_P12ihipStream_tbENKUlT_T0_E_clISt17integral_constantIbLb0EES10_IbLb1EEEEDaSW_SX_EUlSW_E_NS1_11comp_targetILNS1_3genE8ELNS1_11target_archE1030ELNS1_3gpuE2ELNS1_3repE0EEENS1_30default_config_static_selectorELNS0_4arch9wavefront6targetE0EEEvT1_
    .private_segment_fixed_size: 0
    .sgpr_count:     0
    .sgpr_spill_count: 0
    .symbol:         _ZN7rocprim17ROCPRIM_400000_NS6detail17trampoline_kernelINS0_14default_configENS1_29reduce_by_key_config_selectorIffN6thrust23THRUST_200600_302600_NS4plusIfEEEEZZNS1_33reduce_by_key_impl_wrapped_configILNS1_25lookback_scan_determinismE1ES3_S9_NS6_6detail15normal_iteratorINS6_10device_ptrIfEEEESG_SG_SG_PmS8_NS6_8equal_toIfEEEE10hipError_tPvRmT2_T3_mT4_T5_T6_T7_T8_P12ihipStream_tbENKUlT_T0_E_clISt17integral_constantIbLb0EES10_IbLb1EEEEDaSW_SX_EUlSW_E_NS1_11comp_targetILNS1_3genE8ELNS1_11target_archE1030ELNS1_3gpuE2ELNS1_3repE0EEENS1_30default_config_static_selectorELNS0_4arch9wavefront6targetE0EEEvT1_.kd
    .uniform_work_group_size: 1
    .uses_dynamic_stack: false
    .vgpr_count:     0
    .vgpr_spill_count: 0
    .wavefront_size: 32
    .workgroup_processor_mode: 1
  - .args:
      - .offset:         0
        .size:           120
        .value_kind:     by_value
    .group_segment_fixed_size: 0
    .kernarg_segment_align: 8
    .kernarg_segment_size: 120
    .language:       OpenCL C
    .language_version:
      - 2
      - 0
    .max_flat_workgroup_size: 256
    .name:           _ZN7rocprim17ROCPRIM_400000_NS6detail17trampoline_kernelINS0_14default_configENS1_29reduce_by_key_config_selectorIffN6thrust23THRUST_200600_302600_NS4plusIfEEEEZZNS1_33reduce_by_key_impl_wrapped_configILNS1_25lookback_scan_determinismE1ES3_S9_NS6_6detail15normal_iteratorINS6_10device_ptrIfEEEESG_SG_SG_PmS8_22is_equal_div_10_reduceIfEEE10hipError_tPvRmT2_T3_mT4_T5_T6_T7_T8_P12ihipStream_tbENKUlT_T0_E_clISt17integral_constantIbLb0EES11_EEDaSW_SX_EUlSW_E_NS1_11comp_targetILNS1_3genE0ELNS1_11target_archE4294967295ELNS1_3gpuE0ELNS1_3repE0EEENS1_30default_config_static_selectorELNS0_4arch9wavefront6targetE0EEEvT1_
    .private_segment_fixed_size: 0
    .sgpr_count:     0
    .sgpr_spill_count: 0
    .symbol:         _ZN7rocprim17ROCPRIM_400000_NS6detail17trampoline_kernelINS0_14default_configENS1_29reduce_by_key_config_selectorIffN6thrust23THRUST_200600_302600_NS4plusIfEEEEZZNS1_33reduce_by_key_impl_wrapped_configILNS1_25lookback_scan_determinismE1ES3_S9_NS6_6detail15normal_iteratorINS6_10device_ptrIfEEEESG_SG_SG_PmS8_22is_equal_div_10_reduceIfEEE10hipError_tPvRmT2_T3_mT4_T5_T6_T7_T8_P12ihipStream_tbENKUlT_T0_E_clISt17integral_constantIbLb0EES11_EEDaSW_SX_EUlSW_E_NS1_11comp_targetILNS1_3genE0ELNS1_11target_archE4294967295ELNS1_3gpuE0ELNS1_3repE0EEENS1_30default_config_static_selectorELNS0_4arch9wavefront6targetE0EEEvT1_.kd
    .uniform_work_group_size: 1
    .uses_dynamic_stack: false
    .vgpr_count:     0
    .vgpr_spill_count: 0
    .wavefront_size: 32
    .workgroup_processor_mode: 1
  - .args:
      - .offset:         0
        .size:           120
        .value_kind:     by_value
    .group_segment_fixed_size: 0
    .kernarg_segment_align: 8
    .kernarg_segment_size: 120
    .language:       OpenCL C
    .language_version:
      - 2
      - 0
    .max_flat_workgroup_size: 256
    .name:           _ZN7rocprim17ROCPRIM_400000_NS6detail17trampoline_kernelINS0_14default_configENS1_29reduce_by_key_config_selectorIffN6thrust23THRUST_200600_302600_NS4plusIfEEEEZZNS1_33reduce_by_key_impl_wrapped_configILNS1_25lookback_scan_determinismE1ES3_S9_NS6_6detail15normal_iteratorINS6_10device_ptrIfEEEESG_SG_SG_PmS8_22is_equal_div_10_reduceIfEEE10hipError_tPvRmT2_T3_mT4_T5_T6_T7_T8_P12ihipStream_tbENKUlT_T0_E_clISt17integral_constantIbLb0EES11_EEDaSW_SX_EUlSW_E_NS1_11comp_targetILNS1_3genE5ELNS1_11target_archE942ELNS1_3gpuE9ELNS1_3repE0EEENS1_30default_config_static_selectorELNS0_4arch9wavefront6targetE0EEEvT1_
    .private_segment_fixed_size: 0
    .sgpr_count:     0
    .sgpr_spill_count: 0
    .symbol:         _ZN7rocprim17ROCPRIM_400000_NS6detail17trampoline_kernelINS0_14default_configENS1_29reduce_by_key_config_selectorIffN6thrust23THRUST_200600_302600_NS4plusIfEEEEZZNS1_33reduce_by_key_impl_wrapped_configILNS1_25lookback_scan_determinismE1ES3_S9_NS6_6detail15normal_iteratorINS6_10device_ptrIfEEEESG_SG_SG_PmS8_22is_equal_div_10_reduceIfEEE10hipError_tPvRmT2_T3_mT4_T5_T6_T7_T8_P12ihipStream_tbENKUlT_T0_E_clISt17integral_constantIbLb0EES11_EEDaSW_SX_EUlSW_E_NS1_11comp_targetILNS1_3genE5ELNS1_11target_archE942ELNS1_3gpuE9ELNS1_3repE0EEENS1_30default_config_static_selectorELNS0_4arch9wavefront6targetE0EEEvT1_.kd
    .uniform_work_group_size: 1
    .uses_dynamic_stack: false
    .vgpr_count:     0
    .vgpr_spill_count: 0
    .wavefront_size: 32
    .workgroup_processor_mode: 1
  - .args:
      - .offset:         0
        .size:           120
        .value_kind:     by_value
    .group_segment_fixed_size: 0
    .kernarg_segment_align: 8
    .kernarg_segment_size: 120
    .language:       OpenCL C
    .language_version:
      - 2
      - 0
    .max_flat_workgroup_size: 256
    .name:           _ZN7rocprim17ROCPRIM_400000_NS6detail17trampoline_kernelINS0_14default_configENS1_29reduce_by_key_config_selectorIffN6thrust23THRUST_200600_302600_NS4plusIfEEEEZZNS1_33reduce_by_key_impl_wrapped_configILNS1_25lookback_scan_determinismE1ES3_S9_NS6_6detail15normal_iteratorINS6_10device_ptrIfEEEESG_SG_SG_PmS8_22is_equal_div_10_reduceIfEEE10hipError_tPvRmT2_T3_mT4_T5_T6_T7_T8_P12ihipStream_tbENKUlT_T0_E_clISt17integral_constantIbLb0EES11_EEDaSW_SX_EUlSW_E_NS1_11comp_targetILNS1_3genE4ELNS1_11target_archE910ELNS1_3gpuE8ELNS1_3repE0EEENS1_30default_config_static_selectorELNS0_4arch9wavefront6targetE0EEEvT1_
    .private_segment_fixed_size: 0
    .sgpr_count:     0
    .sgpr_spill_count: 0
    .symbol:         _ZN7rocprim17ROCPRIM_400000_NS6detail17trampoline_kernelINS0_14default_configENS1_29reduce_by_key_config_selectorIffN6thrust23THRUST_200600_302600_NS4plusIfEEEEZZNS1_33reduce_by_key_impl_wrapped_configILNS1_25lookback_scan_determinismE1ES3_S9_NS6_6detail15normal_iteratorINS6_10device_ptrIfEEEESG_SG_SG_PmS8_22is_equal_div_10_reduceIfEEE10hipError_tPvRmT2_T3_mT4_T5_T6_T7_T8_P12ihipStream_tbENKUlT_T0_E_clISt17integral_constantIbLb0EES11_EEDaSW_SX_EUlSW_E_NS1_11comp_targetILNS1_3genE4ELNS1_11target_archE910ELNS1_3gpuE8ELNS1_3repE0EEENS1_30default_config_static_selectorELNS0_4arch9wavefront6targetE0EEEvT1_.kd
    .uniform_work_group_size: 1
    .uses_dynamic_stack: false
    .vgpr_count:     0
    .vgpr_spill_count: 0
    .wavefront_size: 32
    .workgroup_processor_mode: 1
  - .args:
      - .offset:         0
        .size:           120
        .value_kind:     by_value
    .group_segment_fixed_size: 0
    .kernarg_segment_align: 8
    .kernarg_segment_size: 120
    .language:       OpenCL C
    .language_version:
      - 2
      - 0
    .max_flat_workgroup_size: 256
    .name:           _ZN7rocprim17ROCPRIM_400000_NS6detail17trampoline_kernelINS0_14default_configENS1_29reduce_by_key_config_selectorIffN6thrust23THRUST_200600_302600_NS4plusIfEEEEZZNS1_33reduce_by_key_impl_wrapped_configILNS1_25lookback_scan_determinismE1ES3_S9_NS6_6detail15normal_iteratorINS6_10device_ptrIfEEEESG_SG_SG_PmS8_22is_equal_div_10_reduceIfEEE10hipError_tPvRmT2_T3_mT4_T5_T6_T7_T8_P12ihipStream_tbENKUlT_T0_E_clISt17integral_constantIbLb0EES11_EEDaSW_SX_EUlSW_E_NS1_11comp_targetILNS1_3genE3ELNS1_11target_archE908ELNS1_3gpuE7ELNS1_3repE0EEENS1_30default_config_static_selectorELNS0_4arch9wavefront6targetE0EEEvT1_
    .private_segment_fixed_size: 0
    .sgpr_count:     0
    .sgpr_spill_count: 0
    .symbol:         _ZN7rocprim17ROCPRIM_400000_NS6detail17trampoline_kernelINS0_14default_configENS1_29reduce_by_key_config_selectorIffN6thrust23THRUST_200600_302600_NS4plusIfEEEEZZNS1_33reduce_by_key_impl_wrapped_configILNS1_25lookback_scan_determinismE1ES3_S9_NS6_6detail15normal_iteratorINS6_10device_ptrIfEEEESG_SG_SG_PmS8_22is_equal_div_10_reduceIfEEE10hipError_tPvRmT2_T3_mT4_T5_T6_T7_T8_P12ihipStream_tbENKUlT_T0_E_clISt17integral_constantIbLb0EES11_EEDaSW_SX_EUlSW_E_NS1_11comp_targetILNS1_3genE3ELNS1_11target_archE908ELNS1_3gpuE7ELNS1_3repE0EEENS1_30default_config_static_selectorELNS0_4arch9wavefront6targetE0EEEvT1_.kd
    .uniform_work_group_size: 1
    .uses_dynamic_stack: false
    .vgpr_count:     0
    .vgpr_spill_count: 0
    .wavefront_size: 32
    .workgroup_processor_mode: 1
  - .args:
      - .offset:         0
        .size:           120
        .value_kind:     by_value
    .group_segment_fixed_size: 0
    .kernarg_segment_align: 8
    .kernarg_segment_size: 120
    .language:       OpenCL C
    .language_version:
      - 2
      - 0
    .max_flat_workgroup_size: 256
    .name:           _ZN7rocprim17ROCPRIM_400000_NS6detail17trampoline_kernelINS0_14default_configENS1_29reduce_by_key_config_selectorIffN6thrust23THRUST_200600_302600_NS4plusIfEEEEZZNS1_33reduce_by_key_impl_wrapped_configILNS1_25lookback_scan_determinismE1ES3_S9_NS6_6detail15normal_iteratorINS6_10device_ptrIfEEEESG_SG_SG_PmS8_22is_equal_div_10_reduceIfEEE10hipError_tPvRmT2_T3_mT4_T5_T6_T7_T8_P12ihipStream_tbENKUlT_T0_E_clISt17integral_constantIbLb0EES11_EEDaSW_SX_EUlSW_E_NS1_11comp_targetILNS1_3genE2ELNS1_11target_archE906ELNS1_3gpuE6ELNS1_3repE0EEENS1_30default_config_static_selectorELNS0_4arch9wavefront6targetE0EEEvT1_
    .private_segment_fixed_size: 0
    .sgpr_count:     0
    .sgpr_spill_count: 0
    .symbol:         _ZN7rocprim17ROCPRIM_400000_NS6detail17trampoline_kernelINS0_14default_configENS1_29reduce_by_key_config_selectorIffN6thrust23THRUST_200600_302600_NS4plusIfEEEEZZNS1_33reduce_by_key_impl_wrapped_configILNS1_25lookback_scan_determinismE1ES3_S9_NS6_6detail15normal_iteratorINS6_10device_ptrIfEEEESG_SG_SG_PmS8_22is_equal_div_10_reduceIfEEE10hipError_tPvRmT2_T3_mT4_T5_T6_T7_T8_P12ihipStream_tbENKUlT_T0_E_clISt17integral_constantIbLb0EES11_EEDaSW_SX_EUlSW_E_NS1_11comp_targetILNS1_3genE2ELNS1_11target_archE906ELNS1_3gpuE6ELNS1_3repE0EEENS1_30default_config_static_selectorELNS0_4arch9wavefront6targetE0EEEvT1_.kd
    .uniform_work_group_size: 1
    .uses_dynamic_stack: false
    .vgpr_count:     0
    .vgpr_spill_count: 0
    .wavefront_size: 32
    .workgroup_processor_mode: 1
  - .args:
      - .offset:         0
        .size:           120
        .value_kind:     by_value
    .group_segment_fixed_size: 0
    .kernarg_segment_align: 8
    .kernarg_segment_size: 120
    .language:       OpenCL C
    .language_version:
      - 2
      - 0
    .max_flat_workgroup_size: 256
    .name:           _ZN7rocprim17ROCPRIM_400000_NS6detail17trampoline_kernelINS0_14default_configENS1_29reduce_by_key_config_selectorIffN6thrust23THRUST_200600_302600_NS4plusIfEEEEZZNS1_33reduce_by_key_impl_wrapped_configILNS1_25lookback_scan_determinismE1ES3_S9_NS6_6detail15normal_iteratorINS6_10device_ptrIfEEEESG_SG_SG_PmS8_22is_equal_div_10_reduceIfEEE10hipError_tPvRmT2_T3_mT4_T5_T6_T7_T8_P12ihipStream_tbENKUlT_T0_E_clISt17integral_constantIbLb0EES11_EEDaSW_SX_EUlSW_E_NS1_11comp_targetILNS1_3genE10ELNS1_11target_archE1201ELNS1_3gpuE5ELNS1_3repE0EEENS1_30default_config_static_selectorELNS0_4arch9wavefront6targetE0EEEvT1_
    .private_segment_fixed_size: 0
    .sgpr_count:     0
    .sgpr_spill_count: 0
    .symbol:         _ZN7rocprim17ROCPRIM_400000_NS6detail17trampoline_kernelINS0_14default_configENS1_29reduce_by_key_config_selectorIffN6thrust23THRUST_200600_302600_NS4plusIfEEEEZZNS1_33reduce_by_key_impl_wrapped_configILNS1_25lookback_scan_determinismE1ES3_S9_NS6_6detail15normal_iteratorINS6_10device_ptrIfEEEESG_SG_SG_PmS8_22is_equal_div_10_reduceIfEEE10hipError_tPvRmT2_T3_mT4_T5_T6_T7_T8_P12ihipStream_tbENKUlT_T0_E_clISt17integral_constantIbLb0EES11_EEDaSW_SX_EUlSW_E_NS1_11comp_targetILNS1_3genE10ELNS1_11target_archE1201ELNS1_3gpuE5ELNS1_3repE0EEENS1_30default_config_static_selectorELNS0_4arch9wavefront6targetE0EEEvT1_.kd
    .uniform_work_group_size: 1
    .uses_dynamic_stack: false
    .vgpr_count:     0
    .vgpr_spill_count: 0
    .wavefront_size: 32
    .workgroup_processor_mode: 1
  - .args:
      - .offset:         0
        .size:           120
        .value_kind:     by_value
    .group_segment_fixed_size: 0
    .kernarg_segment_align: 8
    .kernarg_segment_size: 120
    .language:       OpenCL C
    .language_version:
      - 2
      - 0
    .max_flat_workgroup_size: 256
    .name:           _ZN7rocprim17ROCPRIM_400000_NS6detail17trampoline_kernelINS0_14default_configENS1_29reduce_by_key_config_selectorIffN6thrust23THRUST_200600_302600_NS4plusIfEEEEZZNS1_33reduce_by_key_impl_wrapped_configILNS1_25lookback_scan_determinismE1ES3_S9_NS6_6detail15normal_iteratorINS6_10device_ptrIfEEEESG_SG_SG_PmS8_22is_equal_div_10_reduceIfEEE10hipError_tPvRmT2_T3_mT4_T5_T6_T7_T8_P12ihipStream_tbENKUlT_T0_E_clISt17integral_constantIbLb0EES11_EEDaSW_SX_EUlSW_E_NS1_11comp_targetILNS1_3genE10ELNS1_11target_archE1200ELNS1_3gpuE4ELNS1_3repE0EEENS1_30default_config_static_selectorELNS0_4arch9wavefront6targetE0EEEvT1_
    .private_segment_fixed_size: 0
    .sgpr_count:     0
    .sgpr_spill_count: 0
    .symbol:         _ZN7rocprim17ROCPRIM_400000_NS6detail17trampoline_kernelINS0_14default_configENS1_29reduce_by_key_config_selectorIffN6thrust23THRUST_200600_302600_NS4plusIfEEEEZZNS1_33reduce_by_key_impl_wrapped_configILNS1_25lookback_scan_determinismE1ES3_S9_NS6_6detail15normal_iteratorINS6_10device_ptrIfEEEESG_SG_SG_PmS8_22is_equal_div_10_reduceIfEEE10hipError_tPvRmT2_T3_mT4_T5_T6_T7_T8_P12ihipStream_tbENKUlT_T0_E_clISt17integral_constantIbLb0EES11_EEDaSW_SX_EUlSW_E_NS1_11comp_targetILNS1_3genE10ELNS1_11target_archE1200ELNS1_3gpuE4ELNS1_3repE0EEENS1_30default_config_static_selectorELNS0_4arch9wavefront6targetE0EEEvT1_.kd
    .uniform_work_group_size: 1
    .uses_dynamic_stack: false
    .vgpr_count:     0
    .vgpr_spill_count: 0
    .wavefront_size: 32
    .workgroup_processor_mode: 1
  - .args:
      - .offset:         0
        .size:           120
        .value_kind:     by_value
    .group_segment_fixed_size: 15360
    .kernarg_segment_align: 8
    .kernarg_segment_size: 120
    .language:       OpenCL C
    .language_version:
      - 2
      - 0
    .max_flat_workgroup_size: 256
    .name:           _ZN7rocprim17ROCPRIM_400000_NS6detail17trampoline_kernelINS0_14default_configENS1_29reduce_by_key_config_selectorIffN6thrust23THRUST_200600_302600_NS4plusIfEEEEZZNS1_33reduce_by_key_impl_wrapped_configILNS1_25lookback_scan_determinismE1ES3_S9_NS6_6detail15normal_iteratorINS6_10device_ptrIfEEEESG_SG_SG_PmS8_22is_equal_div_10_reduceIfEEE10hipError_tPvRmT2_T3_mT4_T5_T6_T7_T8_P12ihipStream_tbENKUlT_T0_E_clISt17integral_constantIbLb0EES11_EEDaSW_SX_EUlSW_E_NS1_11comp_targetILNS1_3genE9ELNS1_11target_archE1100ELNS1_3gpuE3ELNS1_3repE0EEENS1_30default_config_static_selectorELNS0_4arch9wavefront6targetE0EEEvT1_
    .private_segment_fixed_size: 48
    .sgpr_count:     48
    .sgpr_spill_count: 0
    .symbol:         _ZN7rocprim17ROCPRIM_400000_NS6detail17trampoline_kernelINS0_14default_configENS1_29reduce_by_key_config_selectorIffN6thrust23THRUST_200600_302600_NS4plusIfEEEEZZNS1_33reduce_by_key_impl_wrapped_configILNS1_25lookback_scan_determinismE1ES3_S9_NS6_6detail15normal_iteratorINS6_10device_ptrIfEEEESG_SG_SG_PmS8_22is_equal_div_10_reduceIfEEE10hipError_tPvRmT2_T3_mT4_T5_T6_T7_T8_P12ihipStream_tbENKUlT_T0_E_clISt17integral_constantIbLb0EES11_EEDaSW_SX_EUlSW_E_NS1_11comp_targetILNS1_3genE9ELNS1_11target_archE1100ELNS1_3gpuE3ELNS1_3repE0EEENS1_30default_config_static_selectorELNS0_4arch9wavefront6targetE0EEEvT1_.kd
    .uniform_work_group_size: 1
    .uses_dynamic_stack: false
    .vgpr_count:     85
    .vgpr_spill_count: 0
    .wavefront_size: 32
    .workgroup_processor_mode: 1
  - .args:
      - .offset:         0
        .size:           120
        .value_kind:     by_value
    .group_segment_fixed_size: 0
    .kernarg_segment_align: 8
    .kernarg_segment_size: 120
    .language:       OpenCL C
    .language_version:
      - 2
      - 0
    .max_flat_workgroup_size: 256
    .name:           _ZN7rocprim17ROCPRIM_400000_NS6detail17trampoline_kernelINS0_14default_configENS1_29reduce_by_key_config_selectorIffN6thrust23THRUST_200600_302600_NS4plusIfEEEEZZNS1_33reduce_by_key_impl_wrapped_configILNS1_25lookback_scan_determinismE1ES3_S9_NS6_6detail15normal_iteratorINS6_10device_ptrIfEEEESG_SG_SG_PmS8_22is_equal_div_10_reduceIfEEE10hipError_tPvRmT2_T3_mT4_T5_T6_T7_T8_P12ihipStream_tbENKUlT_T0_E_clISt17integral_constantIbLb0EES11_EEDaSW_SX_EUlSW_E_NS1_11comp_targetILNS1_3genE8ELNS1_11target_archE1030ELNS1_3gpuE2ELNS1_3repE0EEENS1_30default_config_static_selectorELNS0_4arch9wavefront6targetE0EEEvT1_
    .private_segment_fixed_size: 0
    .sgpr_count:     0
    .sgpr_spill_count: 0
    .symbol:         _ZN7rocprim17ROCPRIM_400000_NS6detail17trampoline_kernelINS0_14default_configENS1_29reduce_by_key_config_selectorIffN6thrust23THRUST_200600_302600_NS4plusIfEEEEZZNS1_33reduce_by_key_impl_wrapped_configILNS1_25lookback_scan_determinismE1ES3_S9_NS6_6detail15normal_iteratorINS6_10device_ptrIfEEEESG_SG_SG_PmS8_22is_equal_div_10_reduceIfEEE10hipError_tPvRmT2_T3_mT4_T5_T6_T7_T8_P12ihipStream_tbENKUlT_T0_E_clISt17integral_constantIbLb0EES11_EEDaSW_SX_EUlSW_E_NS1_11comp_targetILNS1_3genE8ELNS1_11target_archE1030ELNS1_3gpuE2ELNS1_3repE0EEENS1_30default_config_static_selectorELNS0_4arch9wavefront6targetE0EEEvT1_.kd
    .uniform_work_group_size: 1
    .uses_dynamic_stack: false
    .vgpr_count:     0
    .vgpr_spill_count: 0
    .wavefront_size: 32
    .workgroup_processor_mode: 1
  - .args:
      - .offset:         0
        .size:           120
        .value_kind:     by_value
    .group_segment_fixed_size: 0
    .kernarg_segment_align: 8
    .kernarg_segment_size: 120
    .language:       OpenCL C
    .language_version:
      - 2
      - 0
    .max_flat_workgroup_size: 256
    .name:           _ZN7rocprim17ROCPRIM_400000_NS6detail17trampoline_kernelINS0_14default_configENS1_29reduce_by_key_config_selectorIffN6thrust23THRUST_200600_302600_NS4plusIfEEEEZZNS1_33reduce_by_key_impl_wrapped_configILNS1_25lookback_scan_determinismE1ES3_S9_NS6_6detail15normal_iteratorINS6_10device_ptrIfEEEESG_SG_SG_PmS8_22is_equal_div_10_reduceIfEEE10hipError_tPvRmT2_T3_mT4_T5_T6_T7_T8_P12ihipStream_tbENKUlT_T0_E_clISt17integral_constantIbLb1EES11_EEDaSW_SX_EUlSW_E_NS1_11comp_targetILNS1_3genE0ELNS1_11target_archE4294967295ELNS1_3gpuE0ELNS1_3repE0EEENS1_30default_config_static_selectorELNS0_4arch9wavefront6targetE0EEEvT1_
    .private_segment_fixed_size: 0
    .sgpr_count:     0
    .sgpr_spill_count: 0
    .symbol:         _ZN7rocprim17ROCPRIM_400000_NS6detail17trampoline_kernelINS0_14default_configENS1_29reduce_by_key_config_selectorIffN6thrust23THRUST_200600_302600_NS4plusIfEEEEZZNS1_33reduce_by_key_impl_wrapped_configILNS1_25lookback_scan_determinismE1ES3_S9_NS6_6detail15normal_iteratorINS6_10device_ptrIfEEEESG_SG_SG_PmS8_22is_equal_div_10_reduceIfEEE10hipError_tPvRmT2_T3_mT4_T5_T6_T7_T8_P12ihipStream_tbENKUlT_T0_E_clISt17integral_constantIbLb1EES11_EEDaSW_SX_EUlSW_E_NS1_11comp_targetILNS1_3genE0ELNS1_11target_archE4294967295ELNS1_3gpuE0ELNS1_3repE0EEENS1_30default_config_static_selectorELNS0_4arch9wavefront6targetE0EEEvT1_.kd
    .uniform_work_group_size: 1
    .uses_dynamic_stack: false
    .vgpr_count:     0
    .vgpr_spill_count: 0
    .wavefront_size: 32
    .workgroup_processor_mode: 1
  - .args:
      - .offset:         0
        .size:           120
        .value_kind:     by_value
    .group_segment_fixed_size: 0
    .kernarg_segment_align: 8
    .kernarg_segment_size: 120
    .language:       OpenCL C
    .language_version:
      - 2
      - 0
    .max_flat_workgroup_size: 256
    .name:           _ZN7rocprim17ROCPRIM_400000_NS6detail17trampoline_kernelINS0_14default_configENS1_29reduce_by_key_config_selectorIffN6thrust23THRUST_200600_302600_NS4plusIfEEEEZZNS1_33reduce_by_key_impl_wrapped_configILNS1_25lookback_scan_determinismE1ES3_S9_NS6_6detail15normal_iteratorINS6_10device_ptrIfEEEESG_SG_SG_PmS8_22is_equal_div_10_reduceIfEEE10hipError_tPvRmT2_T3_mT4_T5_T6_T7_T8_P12ihipStream_tbENKUlT_T0_E_clISt17integral_constantIbLb1EES11_EEDaSW_SX_EUlSW_E_NS1_11comp_targetILNS1_3genE5ELNS1_11target_archE942ELNS1_3gpuE9ELNS1_3repE0EEENS1_30default_config_static_selectorELNS0_4arch9wavefront6targetE0EEEvT1_
    .private_segment_fixed_size: 0
    .sgpr_count:     0
    .sgpr_spill_count: 0
    .symbol:         _ZN7rocprim17ROCPRIM_400000_NS6detail17trampoline_kernelINS0_14default_configENS1_29reduce_by_key_config_selectorIffN6thrust23THRUST_200600_302600_NS4plusIfEEEEZZNS1_33reduce_by_key_impl_wrapped_configILNS1_25lookback_scan_determinismE1ES3_S9_NS6_6detail15normal_iteratorINS6_10device_ptrIfEEEESG_SG_SG_PmS8_22is_equal_div_10_reduceIfEEE10hipError_tPvRmT2_T3_mT4_T5_T6_T7_T8_P12ihipStream_tbENKUlT_T0_E_clISt17integral_constantIbLb1EES11_EEDaSW_SX_EUlSW_E_NS1_11comp_targetILNS1_3genE5ELNS1_11target_archE942ELNS1_3gpuE9ELNS1_3repE0EEENS1_30default_config_static_selectorELNS0_4arch9wavefront6targetE0EEEvT1_.kd
    .uniform_work_group_size: 1
    .uses_dynamic_stack: false
    .vgpr_count:     0
    .vgpr_spill_count: 0
    .wavefront_size: 32
    .workgroup_processor_mode: 1
  - .args:
      - .offset:         0
        .size:           120
        .value_kind:     by_value
    .group_segment_fixed_size: 0
    .kernarg_segment_align: 8
    .kernarg_segment_size: 120
    .language:       OpenCL C
    .language_version:
      - 2
      - 0
    .max_flat_workgroup_size: 256
    .name:           _ZN7rocprim17ROCPRIM_400000_NS6detail17trampoline_kernelINS0_14default_configENS1_29reduce_by_key_config_selectorIffN6thrust23THRUST_200600_302600_NS4plusIfEEEEZZNS1_33reduce_by_key_impl_wrapped_configILNS1_25lookback_scan_determinismE1ES3_S9_NS6_6detail15normal_iteratorINS6_10device_ptrIfEEEESG_SG_SG_PmS8_22is_equal_div_10_reduceIfEEE10hipError_tPvRmT2_T3_mT4_T5_T6_T7_T8_P12ihipStream_tbENKUlT_T0_E_clISt17integral_constantIbLb1EES11_EEDaSW_SX_EUlSW_E_NS1_11comp_targetILNS1_3genE4ELNS1_11target_archE910ELNS1_3gpuE8ELNS1_3repE0EEENS1_30default_config_static_selectorELNS0_4arch9wavefront6targetE0EEEvT1_
    .private_segment_fixed_size: 0
    .sgpr_count:     0
    .sgpr_spill_count: 0
    .symbol:         _ZN7rocprim17ROCPRIM_400000_NS6detail17trampoline_kernelINS0_14default_configENS1_29reduce_by_key_config_selectorIffN6thrust23THRUST_200600_302600_NS4plusIfEEEEZZNS1_33reduce_by_key_impl_wrapped_configILNS1_25lookback_scan_determinismE1ES3_S9_NS6_6detail15normal_iteratorINS6_10device_ptrIfEEEESG_SG_SG_PmS8_22is_equal_div_10_reduceIfEEE10hipError_tPvRmT2_T3_mT4_T5_T6_T7_T8_P12ihipStream_tbENKUlT_T0_E_clISt17integral_constantIbLb1EES11_EEDaSW_SX_EUlSW_E_NS1_11comp_targetILNS1_3genE4ELNS1_11target_archE910ELNS1_3gpuE8ELNS1_3repE0EEENS1_30default_config_static_selectorELNS0_4arch9wavefront6targetE0EEEvT1_.kd
    .uniform_work_group_size: 1
    .uses_dynamic_stack: false
    .vgpr_count:     0
    .vgpr_spill_count: 0
    .wavefront_size: 32
    .workgroup_processor_mode: 1
  - .args:
      - .offset:         0
        .size:           120
        .value_kind:     by_value
    .group_segment_fixed_size: 0
    .kernarg_segment_align: 8
    .kernarg_segment_size: 120
    .language:       OpenCL C
    .language_version:
      - 2
      - 0
    .max_flat_workgroup_size: 256
    .name:           _ZN7rocprim17ROCPRIM_400000_NS6detail17trampoline_kernelINS0_14default_configENS1_29reduce_by_key_config_selectorIffN6thrust23THRUST_200600_302600_NS4plusIfEEEEZZNS1_33reduce_by_key_impl_wrapped_configILNS1_25lookback_scan_determinismE1ES3_S9_NS6_6detail15normal_iteratorINS6_10device_ptrIfEEEESG_SG_SG_PmS8_22is_equal_div_10_reduceIfEEE10hipError_tPvRmT2_T3_mT4_T5_T6_T7_T8_P12ihipStream_tbENKUlT_T0_E_clISt17integral_constantIbLb1EES11_EEDaSW_SX_EUlSW_E_NS1_11comp_targetILNS1_3genE3ELNS1_11target_archE908ELNS1_3gpuE7ELNS1_3repE0EEENS1_30default_config_static_selectorELNS0_4arch9wavefront6targetE0EEEvT1_
    .private_segment_fixed_size: 0
    .sgpr_count:     0
    .sgpr_spill_count: 0
    .symbol:         _ZN7rocprim17ROCPRIM_400000_NS6detail17trampoline_kernelINS0_14default_configENS1_29reduce_by_key_config_selectorIffN6thrust23THRUST_200600_302600_NS4plusIfEEEEZZNS1_33reduce_by_key_impl_wrapped_configILNS1_25lookback_scan_determinismE1ES3_S9_NS6_6detail15normal_iteratorINS6_10device_ptrIfEEEESG_SG_SG_PmS8_22is_equal_div_10_reduceIfEEE10hipError_tPvRmT2_T3_mT4_T5_T6_T7_T8_P12ihipStream_tbENKUlT_T0_E_clISt17integral_constantIbLb1EES11_EEDaSW_SX_EUlSW_E_NS1_11comp_targetILNS1_3genE3ELNS1_11target_archE908ELNS1_3gpuE7ELNS1_3repE0EEENS1_30default_config_static_selectorELNS0_4arch9wavefront6targetE0EEEvT1_.kd
    .uniform_work_group_size: 1
    .uses_dynamic_stack: false
    .vgpr_count:     0
    .vgpr_spill_count: 0
    .wavefront_size: 32
    .workgroup_processor_mode: 1
  - .args:
      - .offset:         0
        .size:           120
        .value_kind:     by_value
    .group_segment_fixed_size: 0
    .kernarg_segment_align: 8
    .kernarg_segment_size: 120
    .language:       OpenCL C
    .language_version:
      - 2
      - 0
    .max_flat_workgroup_size: 256
    .name:           _ZN7rocprim17ROCPRIM_400000_NS6detail17trampoline_kernelINS0_14default_configENS1_29reduce_by_key_config_selectorIffN6thrust23THRUST_200600_302600_NS4plusIfEEEEZZNS1_33reduce_by_key_impl_wrapped_configILNS1_25lookback_scan_determinismE1ES3_S9_NS6_6detail15normal_iteratorINS6_10device_ptrIfEEEESG_SG_SG_PmS8_22is_equal_div_10_reduceIfEEE10hipError_tPvRmT2_T3_mT4_T5_T6_T7_T8_P12ihipStream_tbENKUlT_T0_E_clISt17integral_constantIbLb1EES11_EEDaSW_SX_EUlSW_E_NS1_11comp_targetILNS1_3genE2ELNS1_11target_archE906ELNS1_3gpuE6ELNS1_3repE0EEENS1_30default_config_static_selectorELNS0_4arch9wavefront6targetE0EEEvT1_
    .private_segment_fixed_size: 0
    .sgpr_count:     0
    .sgpr_spill_count: 0
    .symbol:         _ZN7rocprim17ROCPRIM_400000_NS6detail17trampoline_kernelINS0_14default_configENS1_29reduce_by_key_config_selectorIffN6thrust23THRUST_200600_302600_NS4plusIfEEEEZZNS1_33reduce_by_key_impl_wrapped_configILNS1_25lookback_scan_determinismE1ES3_S9_NS6_6detail15normal_iteratorINS6_10device_ptrIfEEEESG_SG_SG_PmS8_22is_equal_div_10_reduceIfEEE10hipError_tPvRmT2_T3_mT4_T5_T6_T7_T8_P12ihipStream_tbENKUlT_T0_E_clISt17integral_constantIbLb1EES11_EEDaSW_SX_EUlSW_E_NS1_11comp_targetILNS1_3genE2ELNS1_11target_archE906ELNS1_3gpuE6ELNS1_3repE0EEENS1_30default_config_static_selectorELNS0_4arch9wavefront6targetE0EEEvT1_.kd
    .uniform_work_group_size: 1
    .uses_dynamic_stack: false
    .vgpr_count:     0
    .vgpr_spill_count: 0
    .wavefront_size: 32
    .workgroup_processor_mode: 1
  - .args:
      - .offset:         0
        .size:           120
        .value_kind:     by_value
    .group_segment_fixed_size: 0
    .kernarg_segment_align: 8
    .kernarg_segment_size: 120
    .language:       OpenCL C
    .language_version:
      - 2
      - 0
    .max_flat_workgroup_size: 256
    .name:           _ZN7rocprim17ROCPRIM_400000_NS6detail17trampoline_kernelINS0_14default_configENS1_29reduce_by_key_config_selectorIffN6thrust23THRUST_200600_302600_NS4plusIfEEEEZZNS1_33reduce_by_key_impl_wrapped_configILNS1_25lookback_scan_determinismE1ES3_S9_NS6_6detail15normal_iteratorINS6_10device_ptrIfEEEESG_SG_SG_PmS8_22is_equal_div_10_reduceIfEEE10hipError_tPvRmT2_T3_mT4_T5_T6_T7_T8_P12ihipStream_tbENKUlT_T0_E_clISt17integral_constantIbLb1EES11_EEDaSW_SX_EUlSW_E_NS1_11comp_targetILNS1_3genE10ELNS1_11target_archE1201ELNS1_3gpuE5ELNS1_3repE0EEENS1_30default_config_static_selectorELNS0_4arch9wavefront6targetE0EEEvT1_
    .private_segment_fixed_size: 0
    .sgpr_count:     0
    .sgpr_spill_count: 0
    .symbol:         _ZN7rocprim17ROCPRIM_400000_NS6detail17trampoline_kernelINS0_14default_configENS1_29reduce_by_key_config_selectorIffN6thrust23THRUST_200600_302600_NS4plusIfEEEEZZNS1_33reduce_by_key_impl_wrapped_configILNS1_25lookback_scan_determinismE1ES3_S9_NS6_6detail15normal_iteratorINS6_10device_ptrIfEEEESG_SG_SG_PmS8_22is_equal_div_10_reduceIfEEE10hipError_tPvRmT2_T3_mT4_T5_T6_T7_T8_P12ihipStream_tbENKUlT_T0_E_clISt17integral_constantIbLb1EES11_EEDaSW_SX_EUlSW_E_NS1_11comp_targetILNS1_3genE10ELNS1_11target_archE1201ELNS1_3gpuE5ELNS1_3repE0EEENS1_30default_config_static_selectorELNS0_4arch9wavefront6targetE0EEEvT1_.kd
    .uniform_work_group_size: 1
    .uses_dynamic_stack: false
    .vgpr_count:     0
    .vgpr_spill_count: 0
    .wavefront_size: 32
    .workgroup_processor_mode: 1
  - .args:
      - .offset:         0
        .size:           120
        .value_kind:     by_value
    .group_segment_fixed_size: 0
    .kernarg_segment_align: 8
    .kernarg_segment_size: 120
    .language:       OpenCL C
    .language_version:
      - 2
      - 0
    .max_flat_workgroup_size: 256
    .name:           _ZN7rocprim17ROCPRIM_400000_NS6detail17trampoline_kernelINS0_14default_configENS1_29reduce_by_key_config_selectorIffN6thrust23THRUST_200600_302600_NS4plusIfEEEEZZNS1_33reduce_by_key_impl_wrapped_configILNS1_25lookback_scan_determinismE1ES3_S9_NS6_6detail15normal_iteratorINS6_10device_ptrIfEEEESG_SG_SG_PmS8_22is_equal_div_10_reduceIfEEE10hipError_tPvRmT2_T3_mT4_T5_T6_T7_T8_P12ihipStream_tbENKUlT_T0_E_clISt17integral_constantIbLb1EES11_EEDaSW_SX_EUlSW_E_NS1_11comp_targetILNS1_3genE10ELNS1_11target_archE1200ELNS1_3gpuE4ELNS1_3repE0EEENS1_30default_config_static_selectorELNS0_4arch9wavefront6targetE0EEEvT1_
    .private_segment_fixed_size: 0
    .sgpr_count:     0
    .sgpr_spill_count: 0
    .symbol:         _ZN7rocprim17ROCPRIM_400000_NS6detail17trampoline_kernelINS0_14default_configENS1_29reduce_by_key_config_selectorIffN6thrust23THRUST_200600_302600_NS4plusIfEEEEZZNS1_33reduce_by_key_impl_wrapped_configILNS1_25lookback_scan_determinismE1ES3_S9_NS6_6detail15normal_iteratorINS6_10device_ptrIfEEEESG_SG_SG_PmS8_22is_equal_div_10_reduceIfEEE10hipError_tPvRmT2_T3_mT4_T5_T6_T7_T8_P12ihipStream_tbENKUlT_T0_E_clISt17integral_constantIbLb1EES11_EEDaSW_SX_EUlSW_E_NS1_11comp_targetILNS1_3genE10ELNS1_11target_archE1200ELNS1_3gpuE4ELNS1_3repE0EEENS1_30default_config_static_selectorELNS0_4arch9wavefront6targetE0EEEvT1_.kd
    .uniform_work_group_size: 1
    .uses_dynamic_stack: false
    .vgpr_count:     0
    .vgpr_spill_count: 0
    .wavefront_size: 32
    .workgroup_processor_mode: 1
  - .args:
      - .offset:         0
        .size:           120
        .value_kind:     by_value
    .group_segment_fixed_size: 15360
    .kernarg_segment_align: 8
    .kernarg_segment_size: 120
    .language:       OpenCL C
    .language_version:
      - 2
      - 0
    .max_flat_workgroup_size: 256
    .name:           _ZN7rocprim17ROCPRIM_400000_NS6detail17trampoline_kernelINS0_14default_configENS1_29reduce_by_key_config_selectorIffN6thrust23THRUST_200600_302600_NS4plusIfEEEEZZNS1_33reduce_by_key_impl_wrapped_configILNS1_25lookback_scan_determinismE1ES3_S9_NS6_6detail15normal_iteratorINS6_10device_ptrIfEEEESG_SG_SG_PmS8_22is_equal_div_10_reduceIfEEE10hipError_tPvRmT2_T3_mT4_T5_T6_T7_T8_P12ihipStream_tbENKUlT_T0_E_clISt17integral_constantIbLb1EES11_EEDaSW_SX_EUlSW_E_NS1_11comp_targetILNS1_3genE9ELNS1_11target_archE1100ELNS1_3gpuE3ELNS1_3repE0EEENS1_30default_config_static_selectorELNS0_4arch9wavefront6targetE0EEEvT1_
    .private_segment_fixed_size: 48
    .sgpr_count:     48
    .sgpr_spill_count: 0
    .symbol:         _ZN7rocprim17ROCPRIM_400000_NS6detail17trampoline_kernelINS0_14default_configENS1_29reduce_by_key_config_selectorIffN6thrust23THRUST_200600_302600_NS4plusIfEEEEZZNS1_33reduce_by_key_impl_wrapped_configILNS1_25lookback_scan_determinismE1ES3_S9_NS6_6detail15normal_iteratorINS6_10device_ptrIfEEEESG_SG_SG_PmS8_22is_equal_div_10_reduceIfEEE10hipError_tPvRmT2_T3_mT4_T5_T6_T7_T8_P12ihipStream_tbENKUlT_T0_E_clISt17integral_constantIbLb1EES11_EEDaSW_SX_EUlSW_E_NS1_11comp_targetILNS1_3genE9ELNS1_11target_archE1100ELNS1_3gpuE3ELNS1_3repE0EEENS1_30default_config_static_selectorELNS0_4arch9wavefront6targetE0EEEvT1_.kd
    .uniform_work_group_size: 1
    .uses_dynamic_stack: false
    .vgpr_count:     85
    .vgpr_spill_count: 0
    .wavefront_size: 32
    .workgroup_processor_mode: 1
  - .args:
      - .offset:         0
        .size:           120
        .value_kind:     by_value
    .group_segment_fixed_size: 0
    .kernarg_segment_align: 8
    .kernarg_segment_size: 120
    .language:       OpenCL C
    .language_version:
      - 2
      - 0
    .max_flat_workgroup_size: 256
    .name:           _ZN7rocprim17ROCPRIM_400000_NS6detail17trampoline_kernelINS0_14default_configENS1_29reduce_by_key_config_selectorIffN6thrust23THRUST_200600_302600_NS4plusIfEEEEZZNS1_33reduce_by_key_impl_wrapped_configILNS1_25lookback_scan_determinismE1ES3_S9_NS6_6detail15normal_iteratorINS6_10device_ptrIfEEEESG_SG_SG_PmS8_22is_equal_div_10_reduceIfEEE10hipError_tPvRmT2_T3_mT4_T5_T6_T7_T8_P12ihipStream_tbENKUlT_T0_E_clISt17integral_constantIbLb1EES11_EEDaSW_SX_EUlSW_E_NS1_11comp_targetILNS1_3genE8ELNS1_11target_archE1030ELNS1_3gpuE2ELNS1_3repE0EEENS1_30default_config_static_selectorELNS0_4arch9wavefront6targetE0EEEvT1_
    .private_segment_fixed_size: 0
    .sgpr_count:     0
    .sgpr_spill_count: 0
    .symbol:         _ZN7rocprim17ROCPRIM_400000_NS6detail17trampoline_kernelINS0_14default_configENS1_29reduce_by_key_config_selectorIffN6thrust23THRUST_200600_302600_NS4plusIfEEEEZZNS1_33reduce_by_key_impl_wrapped_configILNS1_25lookback_scan_determinismE1ES3_S9_NS6_6detail15normal_iteratorINS6_10device_ptrIfEEEESG_SG_SG_PmS8_22is_equal_div_10_reduceIfEEE10hipError_tPvRmT2_T3_mT4_T5_T6_T7_T8_P12ihipStream_tbENKUlT_T0_E_clISt17integral_constantIbLb1EES11_EEDaSW_SX_EUlSW_E_NS1_11comp_targetILNS1_3genE8ELNS1_11target_archE1030ELNS1_3gpuE2ELNS1_3repE0EEENS1_30default_config_static_selectorELNS0_4arch9wavefront6targetE0EEEvT1_.kd
    .uniform_work_group_size: 1
    .uses_dynamic_stack: false
    .vgpr_count:     0
    .vgpr_spill_count: 0
    .wavefront_size: 32
    .workgroup_processor_mode: 1
  - .args:
      - .offset:         0
        .size:           120
        .value_kind:     by_value
    .group_segment_fixed_size: 0
    .kernarg_segment_align: 8
    .kernarg_segment_size: 120
    .language:       OpenCL C
    .language_version:
      - 2
      - 0
    .max_flat_workgroup_size: 256
    .name:           _ZN7rocprim17ROCPRIM_400000_NS6detail17trampoline_kernelINS0_14default_configENS1_29reduce_by_key_config_selectorIffN6thrust23THRUST_200600_302600_NS4plusIfEEEEZZNS1_33reduce_by_key_impl_wrapped_configILNS1_25lookback_scan_determinismE1ES3_S9_NS6_6detail15normal_iteratorINS6_10device_ptrIfEEEESG_SG_SG_PmS8_22is_equal_div_10_reduceIfEEE10hipError_tPvRmT2_T3_mT4_T5_T6_T7_T8_P12ihipStream_tbENKUlT_T0_E_clISt17integral_constantIbLb1EES10_IbLb0EEEEDaSW_SX_EUlSW_E_NS1_11comp_targetILNS1_3genE0ELNS1_11target_archE4294967295ELNS1_3gpuE0ELNS1_3repE0EEENS1_30default_config_static_selectorELNS0_4arch9wavefront6targetE0EEEvT1_
    .private_segment_fixed_size: 0
    .sgpr_count:     0
    .sgpr_spill_count: 0
    .symbol:         _ZN7rocprim17ROCPRIM_400000_NS6detail17trampoline_kernelINS0_14default_configENS1_29reduce_by_key_config_selectorIffN6thrust23THRUST_200600_302600_NS4plusIfEEEEZZNS1_33reduce_by_key_impl_wrapped_configILNS1_25lookback_scan_determinismE1ES3_S9_NS6_6detail15normal_iteratorINS6_10device_ptrIfEEEESG_SG_SG_PmS8_22is_equal_div_10_reduceIfEEE10hipError_tPvRmT2_T3_mT4_T5_T6_T7_T8_P12ihipStream_tbENKUlT_T0_E_clISt17integral_constantIbLb1EES10_IbLb0EEEEDaSW_SX_EUlSW_E_NS1_11comp_targetILNS1_3genE0ELNS1_11target_archE4294967295ELNS1_3gpuE0ELNS1_3repE0EEENS1_30default_config_static_selectorELNS0_4arch9wavefront6targetE0EEEvT1_.kd
    .uniform_work_group_size: 1
    .uses_dynamic_stack: false
    .vgpr_count:     0
    .vgpr_spill_count: 0
    .wavefront_size: 32
    .workgroup_processor_mode: 1
  - .args:
      - .offset:         0
        .size:           120
        .value_kind:     by_value
    .group_segment_fixed_size: 0
    .kernarg_segment_align: 8
    .kernarg_segment_size: 120
    .language:       OpenCL C
    .language_version:
      - 2
      - 0
    .max_flat_workgroup_size: 256
    .name:           _ZN7rocprim17ROCPRIM_400000_NS6detail17trampoline_kernelINS0_14default_configENS1_29reduce_by_key_config_selectorIffN6thrust23THRUST_200600_302600_NS4plusIfEEEEZZNS1_33reduce_by_key_impl_wrapped_configILNS1_25lookback_scan_determinismE1ES3_S9_NS6_6detail15normal_iteratorINS6_10device_ptrIfEEEESG_SG_SG_PmS8_22is_equal_div_10_reduceIfEEE10hipError_tPvRmT2_T3_mT4_T5_T6_T7_T8_P12ihipStream_tbENKUlT_T0_E_clISt17integral_constantIbLb1EES10_IbLb0EEEEDaSW_SX_EUlSW_E_NS1_11comp_targetILNS1_3genE5ELNS1_11target_archE942ELNS1_3gpuE9ELNS1_3repE0EEENS1_30default_config_static_selectorELNS0_4arch9wavefront6targetE0EEEvT1_
    .private_segment_fixed_size: 0
    .sgpr_count:     0
    .sgpr_spill_count: 0
    .symbol:         _ZN7rocprim17ROCPRIM_400000_NS6detail17trampoline_kernelINS0_14default_configENS1_29reduce_by_key_config_selectorIffN6thrust23THRUST_200600_302600_NS4plusIfEEEEZZNS1_33reduce_by_key_impl_wrapped_configILNS1_25lookback_scan_determinismE1ES3_S9_NS6_6detail15normal_iteratorINS6_10device_ptrIfEEEESG_SG_SG_PmS8_22is_equal_div_10_reduceIfEEE10hipError_tPvRmT2_T3_mT4_T5_T6_T7_T8_P12ihipStream_tbENKUlT_T0_E_clISt17integral_constantIbLb1EES10_IbLb0EEEEDaSW_SX_EUlSW_E_NS1_11comp_targetILNS1_3genE5ELNS1_11target_archE942ELNS1_3gpuE9ELNS1_3repE0EEENS1_30default_config_static_selectorELNS0_4arch9wavefront6targetE0EEEvT1_.kd
    .uniform_work_group_size: 1
    .uses_dynamic_stack: false
    .vgpr_count:     0
    .vgpr_spill_count: 0
    .wavefront_size: 32
    .workgroup_processor_mode: 1
  - .args:
      - .offset:         0
        .size:           120
        .value_kind:     by_value
    .group_segment_fixed_size: 0
    .kernarg_segment_align: 8
    .kernarg_segment_size: 120
    .language:       OpenCL C
    .language_version:
      - 2
      - 0
    .max_flat_workgroup_size: 256
    .name:           _ZN7rocprim17ROCPRIM_400000_NS6detail17trampoline_kernelINS0_14default_configENS1_29reduce_by_key_config_selectorIffN6thrust23THRUST_200600_302600_NS4plusIfEEEEZZNS1_33reduce_by_key_impl_wrapped_configILNS1_25lookback_scan_determinismE1ES3_S9_NS6_6detail15normal_iteratorINS6_10device_ptrIfEEEESG_SG_SG_PmS8_22is_equal_div_10_reduceIfEEE10hipError_tPvRmT2_T3_mT4_T5_T6_T7_T8_P12ihipStream_tbENKUlT_T0_E_clISt17integral_constantIbLb1EES10_IbLb0EEEEDaSW_SX_EUlSW_E_NS1_11comp_targetILNS1_3genE4ELNS1_11target_archE910ELNS1_3gpuE8ELNS1_3repE0EEENS1_30default_config_static_selectorELNS0_4arch9wavefront6targetE0EEEvT1_
    .private_segment_fixed_size: 0
    .sgpr_count:     0
    .sgpr_spill_count: 0
    .symbol:         _ZN7rocprim17ROCPRIM_400000_NS6detail17trampoline_kernelINS0_14default_configENS1_29reduce_by_key_config_selectorIffN6thrust23THRUST_200600_302600_NS4plusIfEEEEZZNS1_33reduce_by_key_impl_wrapped_configILNS1_25lookback_scan_determinismE1ES3_S9_NS6_6detail15normal_iteratorINS6_10device_ptrIfEEEESG_SG_SG_PmS8_22is_equal_div_10_reduceIfEEE10hipError_tPvRmT2_T3_mT4_T5_T6_T7_T8_P12ihipStream_tbENKUlT_T0_E_clISt17integral_constantIbLb1EES10_IbLb0EEEEDaSW_SX_EUlSW_E_NS1_11comp_targetILNS1_3genE4ELNS1_11target_archE910ELNS1_3gpuE8ELNS1_3repE0EEENS1_30default_config_static_selectorELNS0_4arch9wavefront6targetE0EEEvT1_.kd
    .uniform_work_group_size: 1
    .uses_dynamic_stack: false
    .vgpr_count:     0
    .vgpr_spill_count: 0
    .wavefront_size: 32
    .workgroup_processor_mode: 1
  - .args:
      - .offset:         0
        .size:           120
        .value_kind:     by_value
    .group_segment_fixed_size: 0
    .kernarg_segment_align: 8
    .kernarg_segment_size: 120
    .language:       OpenCL C
    .language_version:
      - 2
      - 0
    .max_flat_workgroup_size: 256
    .name:           _ZN7rocprim17ROCPRIM_400000_NS6detail17trampoline_kernelINS0_14default_configENS1_29reduce_by_key_config_selectorIffN6thrust23THRUST_200600_302600_NS4plusIfEEEEZZNS1_33reduce_by_key_impl_wrapped_configILNS1_25lookback_scan_determinismE1ES3_S9_NS6_6detail15normal_iteratorINS6_10device_ptrIfEEEESG_SG_SG_PmS8_22is_equal_div_10_reduceIfEEE10hipError_tPvRmT2_T3_mT4_T5_T6_T7_T8_P12ihipStream_tbENKUlT_T0_E_clISt17integral_constantIbLb1EES10_IbLb0EEEEDaSW_SX_EUlSW_E_NS1_11comp_targetILNS1_3genE3ELNS1_11target_archE908ELNS1_3gpuE7ELNS1_3repE0EEENS1_30default_config_static_selectorELNS0_4arch9wavefront6targetE0EEEvT1_
    .private_segment_fixed_size: 0
    .sgpr_count:     0
    .sgpr_spill_count: 0
    .symbol:         _ZN7rocprim17ROCPRIM_400000_NS6detail17trampoline_kernelINS0_14default_configENS1_29reduce_by_key_config_selectorIffN6thrust23THRUST_200600_302600_NS4plusIfEEEEZZNS1_33reduce_by_key_impl_wrapped_configILNS1_25lookback_scan_determinismE1ES3_S9_NS6_6detail15normal_iteratorINS6_10device_ptrIfEEEESG_SG_SG_PmS8_22is_equal_div_10_reduceIfEEE10hipError_tPvRmT2_T3_mT4_T5_T6_T7_T8_P12ihipStream_tbENKUlT_T0_E_clISt17integral_constantIbLb1EES10_IbLb0EEEEDaSW_SX_EUlSW_E_NS1_11comp_targetILNS1_3genE3ELNS1_11target_archE908ELNS1_3gpuE7ELNS1_3repE0EEENS1_30default_config_static_selectorELNS0_4arch9wavefront6targetE0EEEvT1_.kd
    .uniform_work_group_size: 1
    .uses_dynamic_stack: false
    .vgpr_count:     0
    .vgpr_spill_count: 0
    .wavefront_size: 32
    .workgroup_processor_mode: 1
  - .args:
      - .offset:         0
        .size:           120
        .value_kind:     by_value
    .group_segment_fixed_size: 0
    .kernarg_segment_align: 8
    .kernarg_segment_size: 120
    .language:       OpenCL C
    .language_version:
      - 2
      - 0
    .max_flat_workgroup_size: 256
    .name:           _ZN7rocprim17ROCPRIM_400000_NS6detail17trampoline_kernelINS0_14default_configENS1_29reduce_by_key_config_selectorIffN6thrust23THRUST_200600_302600_NS4plusIfEEEEZZNS1_33reduce_by_key_impl_wrapped_configILNS1_25lookback_scan_determinismE1ES3_S9_NS6_6detail15normal_iteratorINS6_10device_ptrIfEEEESG_SG_SG_PmS8_22is_equal_div_10_reduceIfEEE10hipError_tPvRmT2_T3_mT4_T5_T6_T7_T8_P12ihipStream_tbENKUlT_T0_E_clISt17integral_constantIbLb1EES10_IbLb0EEEEDaSW_SX_EUlSW_E_NS1_11comp_targetILNS1_3genE2ELNS1_11target_archE906ELNS1_3gpuE6ELNS1_3repE0EEENS1_30default_config_static_selectorELNS0_4arch9wavefront6targetE0EEEvT1_
    .private_segment_fixed_size: 0
    .sgpr_count:     0
    .sgpr_spill_count: 0
    .symbol:         _ZN7rocprim17ROCPRIM_400000_NS6detail17trampoline_kernelINS0_14default_configENS1_29reduce_by_key_config_selectorIffN6thrust23THRUST_200600_302600_NS4plusIfEEEEZZNS1_33reduce_by_key_impl_wrapped_configILNS1_25lookback_scan_determinismE1ES3_S9_NS6_6detail15normal_iteratorINS6_10device_ptrIfEEEESG_SG_SG_PmS8_22is_equal_div_10_reduceIfEEE10hipError_tPvRmT2_T3_mT4_T5_T6_T7_T8_P12ihipStream_tbENKUlT_T0_E_clISt17integral_constantIbLb1EES10_IbLb0EEEEDaSW_SX_EUlSW_E_NS1_11comp_targetILNS1_3genE2ELNS1_11target_archE906ELNS1_3gpuE6ELNS1_3repE0EEENS1_30default_config_static_selectorELNS0_4arch9wavefront6targetE0EEEvT1_.kd
    .uniform_work_group_size: 1
    .uses_dynamic_stack: false
    .vgpr_count:     0
    .vgpr_spill_count: 0
    .wavefront_size: 32
    .workgroup_processor_mode: 1
  - .args:
      - .offset:         0
        .size:           120
        .value_kind:     by_value
    .group_segment_fixed_size: 0
    .kernarg_segment_align: 8
    .kernarg_segment_size: 120
    .language:       OpenCL C
    .language_version:
      - 2
      - 0
    .max_flat_workgroup_size: 256
    .name:           _ZN7rocprim17ROCPRIM_400000_NS6detail17trampoline_kernelINS0_14default_configENS1_29reduce_by_key_config_selectorIffN6thrust23THRUST_200600_302600_NS4plusIfEEEEZZNS1_33reduce_by_key_impl_wrapped_configILNS1_25lookback_scan_determinismE1ES3_S9_NS6_6detail15normal_iteratorINS6_10device_ptrIfEEEESG_SG_SG_PmS8_22is_equal_div_10_reduceIfEEE10hipError_tPvRmT2_T3_mT4_T5_T6_T7_T8_P12ihipStream_tbENKUlT_T0_E_clISt17integral_constantIbLb1EES10_IbLb0EEEEDaSW_SX_EUlSW_E_NS1_11comp_targetILNS1_3genE10ELNS1_11target_archE1201ELNS1_3gpuE5ELNS1_3repE0EEENS1_30default_config_static_selectorELNS0_4arch9wavefront6targetE0EEEvT1_
    .private_segment_fixed_size: 0
    .sgpr_count:     0
    .sgpr_spill_count: 0
    .symbol:         _ZN7rocprim17ROCPRIM_400000_NS6detail17trampoline_kernelINS0_14default_configENS1_29reduce_by_key_config_selectorIffN6thrust23THRUST_200600_302600_NS4plusIfEEEEZZNS1_33reduce_by_key_impl_wrapped_configILNS1_25lookback_scan_determinismE1ES3_S9_NS6_6detail15normal_iteratorINS6_10device_ptrIfEEEESG_SG_SG_PmS8_22is_equal_div_10_reduceIfEEE10hipError_tPvRmT2_T3_mT4_T5_T6_T7_T8_P12ihipStream_tbENKUlT_T0_E_clISt17integral_constantIbLb1EES10_IbLb0EEEEDaSW_SX_EUlSW_E_NS1_11comp_targetILNS1_3genE10ELNS1_11target_archE1201ELNS1_3gpuE5ELNS1_3repE0EEENS1_30default_config_static_selectorELNS0_4arch9wavefront6targetE0EEEvT1_.kd
    .uniform_work_group_size: 1
    .uses_dynamic_stack: false
    .vgpr_count:     0
    .vgpr_spill_count: 0
    .wavefront_size: 32
    .workgroup_processor_mode: 1
  - .args:
      - .offset:         0
        .size:           120
        .value_kind:     by_value
    .group_segment_fixed_size: 0
    .kernarg_segment_align: 8
    .kernarg_segment_size: 120
    .language:       OpenCL C
    .language_version:
      - 2
      - 0
    .max_flat_workgroup_size: 256
    .name:           _ZN7rocprim17ROCPRIM_400000_NS6detail17trampoline_kernelINS0_14default_configENS1_29reduce_by_key_config_selectorIffN6thrust23THRUST_200600_302600_NS4plusIfEEEEZZNS1_33reduce_by_key_impl_wrapped_configILNS1_25lookback_scan_determinismE1ES3_S9_NS6_6detail15normal_iteratorINS6_10device_ptrIfEEEESG_SG_SG_PmS8_22is_equal_div_10_reduceIfEEE10hipError_tPvRmT2_T3_mT4_T5_T6_T7_T8_P12ihipStream_tbENKUlT_T0_E_clISt17integral_constantIbLb1EES10_IbLb0EEEEDaSW_SX_EUlSW_E_NS1_11comp_targetILNS1_3genE10ELNS1_11target_archE1200ELNS1_3gpuE4ELNS1_3repE0EEENS1_30default_config_static_selectorELNS0_4arch9wavefront6targetE0EEEvT1_
    .private_segment_fixed_size: 0
    .sgpr_count:     0
    .sgpr_spill_count: 0
    .symbol:         _ZN7rocprim17ROCPRIM_400000_NS6detail17trampoline_kernelINS0_14default_configENS1_29reduce_by_key_config_selectorIffN6thrust23THRUST_200600_302600_NS4plusIfEEEEZZNS1_33reduce_by_key_impl_wrapped_configILNS1_25lookback_scan_determinismE1ES3_S9_NS6_6detail15normal_iteratorINS6_10device_ptrIfEEEESG_SG_SG_PmS8_22is_equal_div_10_reduceIfEEE10hipError_tPvRmT2_T3_mT4_T5_T6_T7_T8_P12ihipStream_tbENKUlT_T0_E_clISt17integral_constantIbLb1EES10_IbLb0EEEEDaSW_SX_EUlSW_E_NS1_11comp_targetILNS1_3genE10ELNS1_11target_archE1200ELNS1_3gpuE4ELNS1_3repE0EEENS1_30default_config_static_selectorELNS0_4arch9wavefront6targetE0EEEvT1_.kd
    .uniform_work_group_size: 1
    .uses_dynamic_stack: false
    .vgpr_count:     0
    .vgpr_spill_count: 0
    .wavefront_size: 32
    .workgroup_processor_mode: 1
  - .args:
      - .offset:         0
        .size:           120
        .value_kind:     by_value
    .group_segment_fixed_size: 15360
    .kernarg_segment_align: 8
    .kernarg_segment_size: 120
    .language:       OpenCL C
    .language_version:
      - 2
      - 0
    .max_flat_workgroup_size: 256
    .name:           _ZN7rocprim17ROCPRIM_400000_NS6detail17trampoline_kernelINS0_14default_configENS1_29reduce_by_key_config_selectorIffN6thrust23THRUST_200600_302600_NS4plusIfEEEEZZNS1_33reduce_by_key_impl_wrapped_configILNS1_25lookback_scan_determinismE1ES3_S9_NS6_6detail15normal_iteratorINS6_10device_ptrIfEEEESG_SG_SG_PmS8_22is_equal_div_10_reduceIfEEE10hipError_tPvRmT2_T3_mT4_T5_T6_T7_T8_P12ihipStream_tbENKUlT_T0_E_clISt17integral_constantIbLb1EES10_IbLb0EEEEDaSW_SX_EUlSW_E_NS1_11comp_targetILNS1_3genE9ELNS1_11target_archE1100ELNS1_3gpuE3ELNS1_3repE0EEENS1_30default_config_static_selectorELNS0_4arch9wavefront6targetE0EEEvT1_
    .private_segment_fixed_size: 48
    .sgpr_count:     48
    .sgpr_spill_count: 0
    .symbol:         _ZN7rocprim17ROCPRIM_400000_NS6detail17trampoline_kernelINS0_14default_configENS1_29reduce_by_key_config_selectorIffN6thrust23THRUST_200600_302600_NS4plusIfEEEEZZNS1_33reduce_by_key_impl_wrapped_configILNS1_25lookback_scan_determinismE1ES3_S9_NS6_6detail15normal_iteratorINS6_10device_ptrIfEEEESG_SG_SG_PmS8_22is_equal_div_10_reduceIfEEE10hipError_tPvRmT2_T3_mT4_T5_T6_T7_T8_P12ihipStream_tbENKUlT_T0_E_clISt17integral_constantIbLb1EES10_IbLb0EEEEDaSW_SX_EUlSW_E_NS1_11comp_targetILNS1_3genE9ELNS1_11target_archE1100ELNS1_3gpuE3ELNS1_3repE0EEENS1_30default_config_static_selectorELNS0_4arch9wavefront6targetE0EEEvT1_.kd
    .uniform_work_group_size: 1
    .uses_dynamic_stack: false
    .vgpr_count:     85
    .vgpr_spill_count: 0
    .wavefront_size: 32
    .workgroup_processor_mode: 1
  - .args:
      - .offset:         0
        .size:           120
        .value_kind:     by_value
    .group_segment_fixed_size: 0
    .kernarg_segment_align: 8
    .kernarg_segment_size: 120
    .language:       OpenCL C
    .language_version:
      - 2
      - 0
    .max_flat_workgroup_size: 256
    .name:           _ZN7rocprim17ROCPRIM_400000_NS6detail17trampoline_kernelINS0_14default_configENS1_29reduce_by_key_config_selectorIffN6thrust23THRUST_200600_302600_NS4plusIfEEEEZZNS1_33reduce_by_key_impl_wrapped_configILNS1_25lookback_scan_determinismE1ES3_S9_NS6_6detail15normal_iteratorINS6_10device_ptrIfEEEESG_SG_SG_PmS8_22is_equal_div_10_reduceIfEEE10hipError_tPvRmT2_T3_mT4_T5_T6_T7_T8_P12ihipStream_tbENKUlT_T0_E_clISt17integral_constantIbLb1EES10_IbLb0EEEEDaSW_SX_EUlSW_E_NS1_11comp_targetILNS1_3genE8ELNS1_11target_archE1030ELNS1_3gpuE2ELNS1_3repE0EEENS1_30default_config_static_selectorELNS0_4arch9wavefront6targetE0EEEvT1_
    .private_segment_fixed_size: 0
    .sgpr_count:     0
    .sgpr_spill_count: 0
    .symbol:         _ZN7rocprim17ROCPRIM_400000_NS6detail17trampoline_kernelINS0_14default_configENS1_29reduce_by_key_config_selectorIffN6thrust23THRUST_200600_302600_NS4plusIfEEEEZZNS1_33reduce_by_key_impl_wrapped_configILNS1_25lookback_scan_determinismE1ES3_S9_NS6_6detail15normal_iteratorINS6_10device_ptrIfEEEESG_SG_SG_PmS8_22is_equal_div_10_reduceIfEEE10hipError_tPvRmT2_T3_mT4_T5_T6_T7_T8_P12ihipStream_tbENKUlT_T0_E_clISt17integral_constantIbLb1EES10_IbLb0EEEEDaSW_SX_EUlSW_E_NS1_11comp_targetILNS1_3genE8ELNS1_11target_archE1030ELNS1_3gpuE2ELNS1_3repE0EEENS1_30default_config_static_selectorELNS0_4arch9wavefront6targetE0EEEvT1_.kd
    .uniform_work_group_size: 1
    .uses_dynamic_stack: false
    .vgpr_count:     0
    .vgpr_spill_count: 0
    .wavefront_size: 32
    .workgroup_processor_mode: 1
  - .args:
      - .offset:         0
        .size:           120
        .value_kind:     by_value
    .group_segment_fixed_size: 0
    .kernarg_segment_align: 8
    .kernarg_segment_size: 120
    .language:       OpenCL C
    .language_version:
      - 2
      - 0
    .max_flat_workgroup_size: 256
    .name:           _ZN7rocprim17ROCPRIM_400000_NS6detail17trampoline_kernelINS0_14default_configENS1_29reduce_by_key_config_selectorIffN6thrust23THRUST_200600_302600_NS4plusIfEEEEZZNS1_33reduce_by_key_impl_wrapped_configILNS1_25lookback_scan_determinismE1ES3_S9_NS6_6detail15normal_iteratorINS6_10device_ptrIfEEEESG_SG_SG_PmS8_22is_equal_div_10_reduceIfEEE10hipError_tPvRmT2_T3_mT4_T5_T6_T7_T8_P12ihipStream_tbENKUlT_T0_E_clISt17integral_constantIbLb0EES10_IbLb1EEEEDaSW_SX_EUlSW_E_NS1_11comp_targetILNS1_3genE0ELNS1_11target_archE4294967295ELNS1_3gpuE0ELNS1_3repE0EEENS1_30default_config_static_selectorELNS0_4arch9wavefront6targetE0EEEvT1_
    .private_segment_fixed_size: 0
    .sgpr_count:     0
    .sgpr_spill_count: 0
    .symbol:         _ZN7rocprim17ROCPRIM_400000_NS6detail17trampoline_kernelINS0_14default_configENS1_29reduce_by_key_config_selectorIffN6thrust23THRUST_200600_302600_NS4plusIfEEEEZZNS1_33reduce_by_key_impl_wrapped_configILNS1_25lookback_scan_determinismE1ES3_S9_NS6_6detail15normal_iteratorINS6_10device_ptrIfEEEESG_SG_SG_PmS8_22is_equal_div_10_reduceIfEEE10hipError_tPvRmT2_T3_mT4_T5_T6_T7_T8_P12ihipStream_tbENKUlT_T0_E_clISt17integral_constantIbLb0EES10_IbLb1EEEEDaSW_SX_EUlSW_E_NS1_11comp_targetILNS1_3genE0ELNS1_11target_archE4294967295ELNS1_3gpuE0ELNS1_3repE0EEENS1_30default_config_static_selectorELNS0_4arch9wavefront6targetE0EEEvT1_.kd
    .uniform_work_group_size: 1
    .uses_dynamic_stack: false
    .vgpr_count:     0
    .vgpr_spill_count: 0
    .wavefront_size: 32
    .workgroup_processor_mode: 1
  - .args:
      - .offset:         0
        .size:           120
        .value_kind:     by_value
    .group_segment_fixed_size: 0
    .kernarg_segment_align: 8
    .kernarg_segment_size: 120
    .language:       OpenCL C
    .language_version:
      - 2
      - 0
    .max_flat_workgroup_size: 256
    .name:           _ZN7rocprim17ROCPRIM_400000_NS6detail17trampoline_kernelINS0_14default_configENS1_29reduce_by_key_config_selectorIffN6thrust23THRUST_200600_302600_NS4plusIfEEEEZZNS1_33reduce_by_key_impl_wrapped_configILNS1_25lookback_scan_determinismE1ES3_S9_NS6_6detail15normal_iteratorINS6_10device_ptrIfEEEESG_SG_SG_PmS8_22is_equal_div_10_reduceIfEEE10hipError_tPvRmT2_T3_mT4_T5_T6_T7_T8_P12ihipStream_tbENKUlT_T0_E_clISt17integral_constantIbLb0EES10_IbLb1EEEEDaSW_SX_EUlSW_E_NS1_11comp_targetILNS1_3genE5ELNS1_11target_archE942ELNS1_3gpuE9ELNS1_3repE0EEENS1_30default_config_static_selectorELNS0_4arch9wavefront6targetE0EEEvT1_
    .private_segment_fixed_size: 0
    .sgpr_count:     0
    .sgpr_spill_count: 0
    .symbol:         _ZN7rocprim17ROCPRIM_400000_NS6detail17trampoline_kernelINS0_14default_configENS1_29reduce_by_key_config_selectorIffN6thrust23THRUST_200600_302600_NS4plusIfEEEEZZNS1_33reduce_by_key_impl_wrapped_configILNS1_25lookback_scan_determinismE1ES3_S9_NS6_6detail15normal_iteratorINS6_10device_ptrIfEEEESG_SG_SG_PmS8_22is_equal_div_10_reduceIfEEE10hipError_tPvRmT2_T3_mT4_T5_T6_T7_T8_P12ihipStream_tbENKUlT_T0_E_clISt17integral_constantIbLb0EES10_IbLb1EEEEDaSW_SX_EUlSW_E_NS1_11comp_targetILNS1_3genE5ELNS1_11target_archE942ELNS1_3gpuE9ELNS1_3repE0EEENS1_30default_config_static_selectorELNS0_4arch9wavefront6targetE0EEEvT1_.kd
    .uniform_work_group_size: 1
    .uses_dynamic_stack: false
    .vgpr_count:     0
    .vgpr_spill_count: 0
    .wavefront_size: 32
    .workgroup_processor_mode: 1
  - .args:
      - .offset:         0
        .size:           120
        .value_kind:     by_value
    .group_segment_fixed_size: 0
    .kernarg_segment_align: 8
    .kernarg_segment_size: 120
    .language:       OpenCL C
    .language_version:
      - 2
      - 0
    .max_flat_workgroup_size: 256
    .name:           _ZN7rocprim17ROCPRIM_400000_NS6detail17trampoline_kernelINS0_14default_configENS1_29reduce_by_key_config_selectorIffN6thrust23THRUST_200600_302600_NS4plusIfEEEEZZNS1_33reduce_by_key_impl_wrapped_configILNS1_25lookback_scan_determinismE1ES3_S9_NS6_6detail15normal_iteratorINS6_10device_ptrIfEEEESG_SG_SG_PmS8_22is_equal_div_10_reduceIfEEE10hipError_tPvRmT2_T3_mT4_T5_T6_T7_T8_P12ihipStream_tbENKUlT_T0_E_clISt17integral_constantIbLb0EES10_IbLb1EEEEDaSW_SX_EUlSW_E_NS1_11comp_targetILNS1_3genE4ELNS1_11target_archE910ELNS1_3gpuE8ELNS1_3repE0EEENS1_30default_config_static_selectorELNS0_4arch9wavefront6targetE0EEEvT1_
    .private_segment_fixed_size: 0
    .sgpr_count:     0
    .sgpr_spill_count: 0
    .symbol:         _ZN7rocprim17ROCPRIM_400000_NS6detail17trampoline_kernelINS0_14default_configENS1_29reduce_by_key_config_selectorIffN6thrust23THRUST_200600_302600_NS4plusIfEEEEZZNS1_33reduce_by_key_impl_wrapped_configILNS1_25lookback_scan_determinismE1ES3_S9_NS6_6detail15normal_iteratorINS6_10device_ptrIfEEEESG_SG_SG_PmS8_22is_equal_div_10_reduceIfEEE10hipError_tPvRmT2_T3_mT4_T5_T6_T7_T8_P12ihipStream_tbENKUlT_T0_E_clISt17integral_constantIbLb0EES10_IbLb1EEEEDaSW_SX_EUlSW_E_NS1_11comp_targetILNS1_3genE4ELNS1_11target_archE910ELNS1_3gpuE8ELNS1_3repE0EEENS1_30default_config_static_selectorELNS0_4arch9wavefront6targetE0EEEvT1_.kd
    .uniform_work_group_size: 1
    .uses_dynamic_stack: false
    .vgpr_count:     0
    .vgpr_spill_count: 0
    .wavefront_size: 32
    .workgroup_processor_mode: 1
  - .args:
      - .offset:         0
        .size:           120
        .value_kind:     by_value
    .group_segment_fixed_size: 0
    .kernarg_segment_align: 8
    .kernarg_segment_size: 120
    .language:       OpenCL C
    .language_version:
      - 2
      - 0
    .max_flat_workgroup_size: 256
    .name:           _ZN7rocprim17ROCPRIM_400000_NS6detail17trampoline_kernelINS0_14default_configENS1_29reduce_by_key_config_selectorIffN6thrust23THRUST_200600_302600_NS4plusIfEEEEZZNS1_33reduce_by_key_impl_wrapped_configILNS1_25lookback_scan_determinismE1ES3_S9_NS6_6detail15normal_iteratorINS6_10device_ptrIfEEEESG_SG_SG_PmS8_22is_equal_div_10_reduceIfEEE10hipError_tPvRmT2_T3_mT4_T5_T6_T7_T8_P12ihipStream_tbENKUlT_T0_E_clISt17integral_constantIbLb0EES10_IbLb1EEEEDaSW_SX_EUlSW_E_NS1_11comp_targetILNS1_3genE3ELNS1_11target_archE908ELNS1_3gpuE7ELNS1_3repE0EEENS1_30default_config_static_selectorELNS0_4arch9wavefront6targetE0EEEvT1_
    .private_segment_fixed_size: 0
    .sgpr_count:     0
    .sgpr_spill_count: 0
    .symbol:         _ZN7rocprim17ROCPRIM_400000_NS6detail17trampoline_kernelINS0_14default_configENS1_29reduce_by_key_config_selectorIffN6thrust23THRUST_200600_302600_NS4plusIfEEEEZZNS1_33reduce_by_key_impl_wrapped_configILNS1_25lookback_scan_determinismE1ES3_S9_NS6_6detail15normal_iteratorINS6_10device_ptrIfEEEESG_SG_SG_PmS8_22is_equal_div_10_reduceIfEEE10hipError_tPvRmT2_T3_mT4_T5_T6_T7_T8_P12ihipStream_tbENKUlT_T0_E_clISt17integral_constantIbLb0EES10_IbLb1EEEEDaSW_SX_EUlSW_E_NS1_11comp_targetILNS1_3genE3ELNS1_11target_archE908ELNS1_3gpuE7ELNS1_3repE0EEENS1_30default_config_static_selectorELNS0_4arch9wavefront6targetE0EEEvT1_.kd
    .uniform_work_group_size: 1
    .uses_dynamic_stack: false
    .vgpr_count:     0
    .vgpr_spill_count: 0
    .wavefront_size: 32
    .workgroup_processor_mode: 1
  - .args:
      - .offset:         0
        .size:           120
        .value_kind:     by_value
    .group_segment_fixed_size: 0
    .kernarg_segment_align: 8
    .kernarg_segment_size: 120
    .language:       OpenCL C
    .language_version:
      - 2
      - 0
    .max_flat_workgroup_size: 256
    .name:           _ZN7rocprim17ROCPRIM_400000_NS6detail17trampoline_kernelINS0_14default_configENS1_29reduce_by_key_config_selectorIffN6thrust23THRUST_200600_302600_NS4plusIfEEEEZZNS1_33reduce_by_key_impl_wrapped_configILNS1_25lookback_scan_determinismE1ES3_S9_NS6_6detail15normal_iteratorINS6_10device_ptrIfEEEESG_SG_SG_PmS8_22is_equal_div_10_reduceIfEEE10hipError_tPvRmT2_T3_mT4_T5_T6_T7_T8_P12ihipStream_tbENKUlT_T0_E_clISt17integral_constantIbLb0EES10_IbLb1EEEEDaSW_SX_EUlSW_E_NS1_11comp_targetILNS1_3genE2ELNS1_11target_archE906ELNS1_3gpuE6ELNS1_3repE0EEENS1_30default_config_static_selectorELNS0_4arch9wavefront6targetE0EEEvT1_
    .private_segment_fixed_size: 0
    .sgpr_count:     0
    .sgpr_spill_count: 0
    .symbol:         _ZN7rocprim17ROCPRIM_400000_NS6detail17trampoline_kernelINS0_14default_configENS1_29reduce_by_key_config_selectorIffN6thrust23THRUST_200600_302600_NS4plusIfEEEEZZNS1_33reduce_by_key_impl_wrapped_configILNS1_25lookback_scan_determinismE1ES3_S9_NS6_6detail15normal_iteratorINS6_10device_ptrIfEEEESG_SG_SG_PmS8_22is_equal_div_10_reduceIfEEE10hipError_tPvRmT2_T3_mT4_T5_T6_T7_T8_P12ihipStream_tbENKUlT_T0_E_clISt17integral_constantIbLb0EES10_IbLb1EEEEDaSW_SX_EUlSW_E_NS1_11comp_targetILNS1_3genE2ELNS1_11target_archE906ELNS1_3gpuE6ELNS1_3repE0EEENS1_30default_config_static_selectorELNS0_4arch9wavefront6targetE0EEEvT1_.kd
    .uniform_work_group_size: 1
    .uses_dynamic_stack: false
    .vgpr_count:     0
    .vgpr_spill_count: 0
    .wavefront_size: 32
    .workgroup_processor_mode: 1
  - .args:
      - .offset:         0
        .size:           120
        .value_kind:     by_value
    .group_segment_fixed_size: 0
    .kernarg_segment_align: 8
    .kernarg_segment_size: 120
    .language:       OpenCL C
    .language_version:
      - 2
      - 0
    .max_flat_workgroup_size: 256
    .name:           _ZN7rocprim17ROCPRIM_400000_NS6detail17trampoline_kernelINS0_14default_configENS1_29reduce_by_key_config_selectorIffN6thrust23THRUST_200600_302600_NS4plusIfEEEEZZNS1_33reduce_by_key_impl_wrapped_configILNS1_25lookback_scan_determinismE1ES3_S9_NS6_6detail15normal_iteratorINS6_10device_ptrIfEEEESG_SG_SG_PmS8_22is_equal_div_10_reduceIfEEE10hipError_tPvRmT2_T3_mT4_T5_T6_T7_T8_P12ihipStream_tbENKUlT_T0_E_clISt17integral_constantIbLb0EES10_IbLb1EEEEDaSW_SX_EUlSW_E_NS1_11comp_targetILNS1_3genE10ELNS1_11target_archE1201ELNS1_3gpuE5ELNS1_3repE0EEENS1_30default_config_static_selectorELNS0_4arch9wavefront6targetE0EEEvT1_
    .private_segment_fixed_size: 0
    .sgpr_count:     0
    .sgpr_spill_count: 0
    .symbol:         _ZN7rocprim17ROCPRIM_400000_NS6detail17trampoline_kernelINS0_14default_configENS1_29reduce_by_key_config_selectorIffN6thrust23THRUST_200600_302600_NS4plusIfEEEEZZNS1_33reduce_by_key_impl_wrapped_configILNS1_25lookback_scan_determinismE1ES3_S9_NS6_6detail15normal_iteratorINS6_10device_ptrIfEEEESG_SG_SG_PmS8_22is_equal_div_10_reduceIfEEE10hipError_tPvRmT2_T3_mT4_T5_T6_T7_T8_P12ihipStream_tbENKUlT_T0_E_clISt17integral_constantIbLb0EES10_IbLb1EEEEDaSW_SX_EUlSW_E_NS1_11comp_targetILNS1_3genE10ELNS1_11target_archE1201ELNS1_3gpuE5ELNS1_3repE0EEENS1_30default_config_static_selectorELNS0_4arch9wavefront6targetE0EEEvT1_.kd
    .uniform_work_group_size: 1
    .uses_dynamic_stack: false
    .vgpr_count:     0
    .vgpr_spill_count: 0
    .wavefront_size: 32
    .workgroup_processor_mode: 1
  - .args:
      - .offset:         0
        .size:           120
        .value_kind:     by_value
    .group_segment_fixed_size: 0
    .kernarg_segment_align: 8
    .kernarg_segment_size: 120
    .language:       OpenCL C
    .language_version:
      - 2
      - 0
    .max_flat_workgroup_size: 256
    .name:           _ZN7rocprim17ROCPRIM_400000_NS6detail17trampoline_kernelINS0_14default_configENS1_29reduce_by_key_config_selectorIffN6thrust23THRUST_200600_302600_NS4plusIfEEEEZZNS1_33reduce_by_key_impl_wrapped_configILNS1_25lookback_scan_determinismE1ES3_S9_NS6_6detail15normal_iteratorINS6_10device_ptrIfEEEESG_SG_SG_PmS8_22is_equal_div_10_reduceIfEEE10hipError_tPvRmT2_T3_mT4_T5_T6_T7_T8_P12ihipStream_tbENKUlT_T0_E_clISt17integral_constantIbLb0EES10_IbLb1EEEEDaSW_SX_EUlSW_E_NS1_11comp_targetILNS1_3genE10ELNS1_11target_archE1200ELNS1_3gpuE4ELNS1_3repE0EEENS1_30default_config_static_selectorELNS0_4arch9wavefront6targetE0EEEvT1_
    .private_segment_fixed_size: 0
    .sgpr_count:     0
    .sgpr_spill_count: 0
    .symbol:         _ZN7rocprim17ROCPRIM_400000_NS6detail17trampoline_kernelINS0_14default_configENS1_29reduce_by_key_config_selectorIffN6thrust23THRUST_200600_302600_NS4plusIfEEEEZZNS1_33reduce_by_key_impl_wrapped_configILNS1_25lookback_scan_determinismE1ES3_S9_NS6_6detail15normal_iteratorINS6_10device_ptrIfEEEESG_SG_SG_PmS8_22is_equal_div_10_reduceIfEEE10hipError_tPvRmT2_T3_mT4_T5_T6_T7_T8_P12ihipStream_tbENKUlT_T0_E_clISt17integral_constantIbLb0EES10_IbLb1EEEEDaSW_SX_EUlSW_E_NS1_11comp_targetILNS1_3genE10ELNS1_11target_archE1200ELNS1_3gpuE4ELNS1_3repE0EEENS1_30default_config_static_selectorELNS0_4arch9wavefront6targetE0EEEvT1_.kd
    .uniform_work_group_size: 1
    .uses_dynamic_stack: false
    .vgpr_count:     0
    .vgpr_spill_count: 0
    .wavefront_size: 32
    .workgroup_processor_mode: 1
  - .args:
      - .offset:         0
        .size:           120
        .value_kind:     by_value
    .group_segment_fixed_size: 15360
    .kernarg_segment_align: 8
    .kernarg_segment_size: 120
    .language:       OpenCL C
    .language_version:
      - 2
      - 0
    .max_flat_workgroup_size: 256
    .name:           _ZN7rocprim17ROCPRIM_400000_NS6detail17trampoline_kernelINS0_14default_configENS1_29reduce_by_key_config_selectorIffN6thrust23THRUST_200600_302600_NS4plusIfEEEEZZNS1_33reduce_by_key_impl_wrapped_configILNS1_25lookback_scan_determinismE1ES3_S9_NS6_6detail15normal_iteratorINS6_10device_ptrIfEEEESG_SG_SG_PmS8_22is_equal_div_10_reduceIfEEE10hipError_tPvRmT2_T3_mT4_T5_T6_T7_T8_P12ihipStream_tbENKUlT_T0_E_clISt17integral_constantIbLb0EES10_IbLb1EEEEDaSW_SX_EUlSW_E_NS1_11comp_targetILNS1_3genE9ELNS1_11target_archE1100ELNS1_3gpuE3ELNS1_3repE0EEENS1_30default_config_static_selectorELNS0_4arch9wavefront6targetE0EEEvT1_
    .private_segment_fixed_size: 48
    .sgpr_count:     48
    .sgpr_spill_count: 0
    .symbol:         _ZN7rocprim17ROCPRIM_400000_NS6detail17trampoline_kernelINS0_14default_configENS1_29reduce_by_key_config_selectorIffN6thrust23THRUST_200600_302600_NS4plusIfEEEEZZNS1_33reduce_by_key_impl_wrapped_configILNS1_25lookback_scan_determinismE1ES3_S9_NS6_6detail15normal_iteratorINS6_10device_ptrIfEEEESG_SG_SG_PmS8_22is_equal_div_10_reduceIfEEE10hipError_tPvRmT2_T3_mT4_T5_T6_T7_T8_P12ihipStream_tbENKUlT_T0_E_clISt17integral_constantIbLb0EES10_IbLb1EEEEDaSW_SX_EUlSW_E_NS1_11comp_targetILNS1_3genE9ELNS1_11target_archE1100ELNS1_3gpuE3ELNS1_3repE0EEENS1_30default_config_static_selectorELNS0_4arch9wavefront6targetE0EEEvT1_.kd
    .uniform_work_group_size: 1
    .uses_dynamic_stack: false
    .vgpr_count:     85
    .vgpr_spill_count: 0
    .wavefront_size: 32
    .workgroup_processor_mode: 1
  - .args:
      - .offset:         0
        .size:           120
        .value_kind:     by_value
    .group_segment_fixed_size: 0
    .kernarg_segment_align: 8
    .kernarg_segment_size: 120
    .language:       OpenCL C
    .language_version:
      - 2
      - 0
    .max_flat_workgroup_size: 256
    .name:           _ZN7rocprim17ROCPRIM_400000_NS6detail17trampoline_kernelINS0_14default_configENS1_29reduce_by_key_config_selectorIffN6thrust23THRUST_200600_302600_NS4plusIfEEEEZZNS1_33reduce_by_key_impl_wrapped_configILNS1_25lookback_scan_determinismE1ES3_S9_NS6_6detail15normal_iteratorINS6_10device_ptrIfEEEESG_SG_SG_PmS8_22is_equal_div_10_reduceIfEEE10hipError_tPvRmT2_T3_mT4_T5_T6_T7_T8_P12ihipStream_tbENKUlT_T0_E_clISt17integral_constantIbLb0EES10_IbLb1EEEEDaSW_SX_EUlSW_E_NS1_11comp_targetILNS1_3genE8ELNS1_11target_archE1030ELNS1_3gpuE2ELNS1_3repE0EEENS1_30default_config_static_selectorELNS0_4arch9wavefront6targetE0EEEvT1_
    .private_segment_fixed_size: 0
    .sgpr_count:     0
    .sgpr_spill_count: 0
    .symbol:         _ZN7rocprim17ROCPRIM_400000_NS6detail17trampoline_kernelINS0_14default_configENS1_29reduce_by_key_config_selectorIffN6thrust23THRUST_200600_302600_NS4plusIfEEEEZZNS1_33reduce_by_key_impl_wrapped_configILNS1_25lookback_scan_determinismE1ES3_S9_NS6_6detail15normal_iteratorINS6_10device_ptrIfEEEESG_SG_SG_PmS8_22is_equal_div_10_reduceIfEEE10hipError_tPvRmT2_T3_mT4_T5_T6_T7_T8_P12ihipStream_tbENKUlT_T0_E_clISt17integral_constantIbLb0EES10_IbLb1EEEEDaSW_SX_EUlSW_E_NS1_11comp_targetILNS1_3genE8ELNS1_11target_archE1030ELNS1_3gpuE2ELNS1_3repE0EEENS1_30default_config_static_selectorELNS0_4arch9wavefront6targetE0EEEvT1_.kd
    .uniform_work_group_size: 1
    .uses_dynamic_stack: false
    .vgpr_count:     0
    .vgpr_spill_count: 0
    .wavefront_size: 32
    .workgroup_processor_mode: 1
  - .args:
      - .offset:         0
        .size:           120
        .value_kind:     by_value
    .group_segment_fixed_size: 0
    .kernarg_segment_align: 8
    .kernarg_segment_size: 120
    .language:       OpenCL C
    .language_version:
      - 2
      - 0
    .max_flat_workgroup_size: 256
    .name:           _ZN7rocprim17ROCPRIM_400000_NS6detail17trampoline_kernelINS0_14default_configENS1_29reduce_by_key_config_selectorIffN6thrust23THRUST_200600_302600_NS4plusIfEEEEZZNS1_33reduce_by_key_impl_wrapped_configILNS1_25lookback_scan_determinismE0ES3_S9_NS6_6detail15normal_iteratorINS6_10device_ptrIfEEEESG_SG_SG_PmS8_NS6_8equal_toIfEEEE10hipError_tPvRmT2_T3_mT4_T5_T6_T7_T8_P12ihipStream_tbENKUlT_T0_E_clISt17integral_constantIbLb0EES11_EEDaSW_SX_EUlSW_E_NS1_11comp_targetILNS1_3genE0ELNS1_11target_archE4294967295ELNS1_3gpuE0ELNS1_3repE0EEENS1_30default_config_static_selectorELNS0_4arch9wavefront6targetE0EEEvT1_
    .private_segment_fixed_size: 0
    .sgpr_count:     0
    .sgpr_spill_count: 0
    .symbol:         _ZN7rocprim17ROCPRIM_400000_NS6detail17trampoline_kernelINS0_14default_configENS1_29reduce_by_key_config_selectorIffN6thrust23THRUST_200600_302600_NS4plusIfEEEEZZNS1_33reduce_by_key_impl_wrapped_configILNS1_25lookback_scan_determinismE0ES3_S9_NS6_6detail15normal_iteratorINS6_10device_ptrIfEEEESG_SG_SG_PmS8_NS6_8equal_toIfEEEE10hipError_tPvRmT2_T3_mT4_T5_T6_T7_T8_P12ihipStream_tbENKUlT_T0_E_clISt17integral_constantIbLb0EES11_EEDaSW_SX_EUlSW_E_NS1_11comp_targetILNS1_3genE0ELNS1_11target_archE4294967295ELNS1_3gpuE0ELNS1_3repE0EEENS1_30default_config_static_selectorELNS0_4arch9wavefront6targetE0EEEvT1_.kd
    .uniform_work_group_size: 1
    .uses_dynamic_stack: false
    .vgpr_count:     0
    .vgpr_spill_count: 0
    .wavefront_size: 32
    .workgroup_processor_mode: 1
  - .args:
      - .offset:         0
        .size:           120
        .value_kind:     by_value
    .group_segment_fixed_size: 0
    .kernarg_segment_align: 8
    .kernarg_segment_size: 120
    .language:       OpenCL C
    .language_version:
      - 2
      - 0
    .max_flat_workgroup_size: 256
    .name:           _ZN7rocprim17ROCPRIM_400000_NS6detail17trampoline_kernelINS0_14default_configENS1_29reduce_by_key_config_selectorIffN6thrust23THRUST_200600_302600_NS4plusIfEEEEZZNS1_33reduce_by_key_impl_wrapped_configILNS1_25lookback_scan_determinismE0ES3_S9_NS6_6detail15normal_iteratorINS6_10device_ptrIfEEEESG_SG_SG_PmS8_NS6_8equal_toIfEEEE10hipError_tPvRmT2_T3_mT4_T5_T6_T7_T8_P12ihipStream_tbENKUlT_T0_E_clISt17integral_constantIbLb0EES11_EEDaSW_SX_EUlSW_E_NS1_11comp_targetILNS1_3genE5ELNS1_11target_archE942ELNS1_3gpuE9ELNS1_3repE0EEENS1_30default_config_static_selectorELNS0_4arch9wavefront6targetE0EEEvT1_
    .private_segment_fixed_size: 0
    .sgpr_count:     0
    .sgpr_spill_count: 0
    .symbol:         _ZN7rocprim17ROCPRIM_400000_NS6detail17trampoline_kernelINS0_14default_configENS1_29reduce_by_key_config_selectorIffN6thrust23THRUST_200600_302600_NS4plusIfEEEEZZNS1_33reduce_by_key_impl_wrapped_configILNS1_25lookback_scan_determinismE0ES3_S9_NS6_6detail15normal_iteratorINS6_10device_ptrIfEEEESG_SG_SG_PmS8_NS6_8equal_toIfEEEE10hipError_tPvRmT2_T3_mT4_T5_T6_T7_T8_P12ihipStream_tbENKUlT_T0_E_clISt17integral_constantIbLb0EES11_EEDaSW_SX_EUlSW_E_NS1_11comp_targetILNS1_3genE5ELNS1_11target_archE942ELNS1_3gpuE9ELNS1_3repE0EEENS1_30default_config_static_selectorELNS0_4arch9wavefront6targetE0EEEvT1_.kd
    .uniform_work_group_size: 1
    .uses_dynamic_stack: false
    .vgpr_count:     0
    .vgpr_spill_count: 0
    .wavefront_size: 32
    .workgroup_processor_mode: 1
  - .args:
      - .offset:         0
        .size:           120
        .value_kind:     by_value
    .group_segment_fixed_size: 0
    .kernarg_segment_align: 8
    .kernarg_segment_size: 120
    .language:       OpenCL C
    .language_version:
      - 2
      - 0
    .max_flat_workgroup_size: 256
    .name:           _ZN7rocprim17ROCPRIM_400000_NS6detail17trampoline_kernelINS0_14default_configENS1_29reduce_by_key_config_selectorIffN6thrust23THRUST_200600_302600_NS4plusIfEEEEZZNS1_33reduce_by_key_impl_wrapped_configILNS1_25lookback_scan_determinismE0ES3_S9_NS6_6detail15normal_iteratorINS6_10device_ptrIfEEEESG_SG_SG_PmS8_NS6_8equal_toIfEEEE10hipError_tPvRmT2_T3_mT4_T5_T6_T7_T8_P12ihipStream_tbENKUlT_T0_E_clISt17integral_constantIbLb0EES11_EEDaSW_SX_EUlSW_E_NS1_11comp_targetILNS1_3genE4ELNS1_11target_archE910ELNS1_3gpuE8ELNS1_3repE0EEENS1_30default_config_static_selectorELNS0_4arch9wavefront6targetE0EEEvT1_
    .private_segment_fixed_size: 0
    .sgpr_count:     0
    .sgpr_spill_count: 0
    .symbol:         _ZN7rocprim17ROCPRIM_400000_NS6detail17trampoline_kernelINS0_14default_configENS1_29reduce_by_key_config_selectorIffN6thrust23THRUST_200600_302600_NS4plusIfEEEEZZNS1_33reduce_by_key_impl_wrapped_configILNS1_25lookback_scan_determinismE0ES3_S9_NS6_6detail15normal_iteratorINS6_10device_ptrIfEEEESG_SG_SG_PmS8_NS6_8equal_toIfEEEE10hipError_tPvRmT2_T3_mT4_T5_T6_T7_T8_P12ihipStream_tbENKUlT_T0_E_clISt17integral_constantIbLb0EES11_EEDaSW_SX_EUlSW_E_NS1_11comp_targetILNS1_3genE4ELNS1_11target_archE910ELNS1_3gpuE8ELNS1_3repE0EEENS1_30default_config_static_selectorELNS0_4arch9wavefront6targetE0EEEvT1_.kd
    .uniform_work_group_size: 1
    .uses_dynamic_stack: false
    .vgpr_count:     0
    .vgpr_spill_count: 0
    .wavefront_size: 32
    .workgroup_processor_mode: 1
  - .args:
      - .offset:         0
        .size:           120
        .value_kind:     by_value
    .group_segment_fixed_size: 0
    .kernarg_segment_align: 8
    .kernarg_segment_size: 120
    .language:       OpenCL C
    .language_version:
      - 2
      - 0
    .max_flat_workgroup_size: 256
    .name:           _ZN7rocprim17ROCPRIM_400000_NS6detail17trampoline_kernelINS0_14default_configENS1_29reduce_by_key_config_selectorIffN6thrust23THRUST_200600_302600_NS4plusIfEEEEZZNS1_33reduce_by_key_impl_wrapped_configILNS1_25lookback_scan_determinismE0ES3_S9_NS6_6detail15normal_iteratorINS6_10device_ptrIfEEEESG_SG_SG_PmS8_NS6_8equal_toIfEEEE10hipError_tPvRmT2_T3_mT4_T5_T6_T7_T8_P12ihipStream_tbENKUlT_T0_E_clISt17integral_constantIbLb0EES11_EEDaSW_SX_EUlSW_E_NS1_11comp_targetILNS1_3genE3ELNS1_11target_archE908ELNS1_3gpuE7ELNS1_3repE0EEENS1_30default_config_static_selectorELNS0_4arch9wavefront6targetE0EEEvT1_
    .private_segment_fixed_size: 0
    .sgpr_count:     0
    .sgpr_spill_count: 0
    .symbol:         _ZN7rocprim17ROCPRIM_400000_NS6detail17trampoline_kernelINS0_14default_configENS1_29reduce_by_key_config_selectorIffN6thrust23THRUST_200600_302600_NS4plusIfEEEEZZNS1_33reduce_by_key_impl_wrapped_configILNS1_25lookback_scan_determinismE0ES3_S9_NS6_6detail15normal_iteratorINS6_10device_ptrIfEEEESG_SG_SG_PmS8_NS6_8equal_toIfEEEE10hipError_tPvRmT2_T3_mT4_T5_T6_T7_T8_P12ihipStream_tbENKUlT_T0_E_clISt17integral_constantIbLb0EES11_EEDaSW_SX_EUlSW_E_NS1_11comp_targetILNS1_3genE3ELNS1_11target_archE908ELNS1_3gpuE7ELNS1_3repE0EEENS1_30default_config_static_selectorELNS0_4arch9wavefront6targetE0EEEvT1_.kd
    .uniform_work_group_size: 1
    .uses_dynamic_stack: false
    .vgpr_count:     0
    .vgpr_spill_count: 0
    .wavefront_size: 32
    .workgroup_processor_mode: 1
  - .args:
      - .offset:         0
        .size:           120
        .value_kind:     by_value
    .group_segment_fixed_size: 0
    .kernarg_segment_align: 8
    .kernarg_segment_size: 120
    .language:       OpenCL C
    .language_version:
      - 2
      - 0
    .max_flat_workgroup_size: 256
    .name:           _ZN7rocprim17ROCPRIM_400000_NS6detail17trampoline_kernelINS0_14default_configENS1_29reduce_by_key_config_selectorIffN6thrust23THRUST_200600_302600_NS4plusIfEEEEZZNS1_33reduce_by_key_impl_wrapped_configILNS1_25lookback_scan_determinismE0ES3_S9_NS6_6detail15normal_iteratorINS6_10device_ptrIfEEEESG_SG_SG_PmS8_NS6_8equal_toIfEEEE10hipError_tPvRmT2_T3_mT4_T5_T6_T7_T8_P12ihipStream_tbENKUlT_T0_E_clISt17integral_constantIbLb0EES11_EEDaSW_SX_EUlSW_E_NS1_11comp_targetILNS1_3genE2ELNS1_11target_archE906ELNS1_3gpuE6ELNS1_3repE0EEENS1_30default_config_static_selectorELNS0_4arch9wavefront6targetE0EEEvT1_
    .private_segment_fixed_size: 0
    .sgpr_count:     0
    .sgpr_spill_count: 0
    .symbol:         _ZN7rocprim17ROCPRIM_400000_NS6detail17trampoline_kernelINS0_14default_configENS1_29reduce_by_key_config_selectorIffN6thrust23THRUST_200600_302600_NS4plusIfEEEEZZNS1_33reduce_by_key_impl_wrapped_configILNS1_25lookback_scan_determinismE0ES3_S9_NS6_6detail15normal_iteratorINS6_10device_ptrIfEEEESG_SG_SG_PmS8_NS6_8equal_toIfEEEE10hipError_tPvRmT2_T3_mT4_T5_T6_T7_T8_P12ihipStream_tbENKUlT_T0_E_clISt17integral_constantIbLb0EES11_EEDaSW_SX_EUlSW_E_NS1_11comp_targetILNS1_3genE2ELNS1_11target_archE906ELNS1_3gpuE6ELNS1_3repE0EEENS1_30default_config_static_selectorELNS0_4arch9wavefront6targetE0EEEvT1_.kd
    .uniform_work_group_size: 1
    .uses_dynamic_stack: false
    .vgpr_count:     0
    .vgpr_spill_count: 0
    .wavefront_size: 32
    .workgroup_processor_mode: 1
  - .args:
      - .offset:         0
        .size:           120
        .value_kind:     by_value
    .group_segment_fixed_size: 0
    .kernarg_segment_align: 8
    .kernarg_segment_size: 120
    .language:       OpenCL C
    .language_version:
      - 2
      - 0
    .max_flat_workgroup_size: 256
    .name:           _ZN7rocprim17ROCPRIM_400000_NS6detail17trampoline_kernelINS0_14default_configENS1_29reduce_by_key_config_selectorIffN6thrust23THRUST_200600_302600_NS4plusIfEEEEZZNS1_33reduce_by_key_impl_wrapped_configILNS1_25lookback_scan_determinismE0ES3_S9_NS6_6detail15normal_iteratorINS6_10device_ptrIfEEEESG_SG_SG_PmS8_NS6_8equal_toIfEEEE10hipError_tPvRmT2_T3_mT4_T5_T6_T7_T8_P12ihipStream_tbENKUlT_T0_E_clISt17integral_constantIbLb0EES11_EEDaSW_SX_EUlSW_E_NS1_11comp_targetILNS1_3genE10ELNS1_11target_archE1201ELNS1_3gpuE5ELNS1_3repE0EEENS1_30default_config_static_selectorELNS0_4arch9wavefront6targetE0EEEvT1_
    .private_segment_fixed_size: 0
    .sgpr_count:     0
    .sgpr_spill_count: 0
    .symbol:         _ZN7rocprim17ROCPRIM_400000_NS6detail17trampoline_kernelINS0_14default_configENS1_29reduce_by_key_config_selectorIffN6thrust23THRUST_200600_302600_NS4plusIfEEEEZZNS1_33reduce_by_key_impl_wrapped_configILNS1_25lookback_scan_determinismE0ES3_S9_NS6_6detail15normal_iteratorINS6_10device_ptrIfEEEESG_SG_SG_PmS8_NS6_8equal_toIfEEEE10hipError_tPvRmT2_T3_mT4_T5_T6_T7_T8_P12ihipStream_tbENKUlT_T0_E_clISt17integral_constantIbLb0EES11_EEDaSW_SX_EUlSW_E_NS1_11comp_targetILNS1_3genE10ELNS1_11target_archE1201ELNS1_3gpuE5ELNS1_3repE0EEENS1_30default_config_static_selectorELNS0_4arch9wavefront6targetE0EEEvT1_.kd
    .uniform_work_group_size: 1
    .uses_dynamic_stack: false
    .vgpr_count:     0
    .vgpr_spill_count: 0
    .wavefront_size: 32
    .workgroup_processor_mode: 1
  - .args:
      - .offset:         0
        .size:           120
        .value_kind:     by_value
    .group_segment_fixed_size: 0
    .kernarg_segment_align: 8
    .kernarg_segment_size: 120
    .language:       OpenCL C
    .language_version:
      - 2
      - 0
    .max_flat_workgroup_size: 256
    .name:           _ZN7rocprim17ROCPRIM_400000_NS6detail17trampoline_kernelINS0_14default_configENS1_29reduce_by_key_config_selectorIffN6thrust23THRUST_200600_302600_NS4plusIfEEEEZZNS1_33reduce_by_key_impl_wrapped_configILNS1_25lookback_scan_determinismE0ES3_S9_NS6_6detail15normal_iteratorINS6_10device_ptrIfEEEESG_SG_SG_PmS8_NS6_8equal_toIfEEEE10hipError_tPvRmT2_T3_mT4_T5_T6_T7_T8_P12ihipStream_tbENKUlT_T0_E_clISt17integral_constantIbLb0EES11_EEDaSW_SX_EUlSW_E_NS1_11comp_targetILNS1_3genE10ELNS1_11target_archE1200ELNS1_3gpuE4ELNS1_3repE0EEENS1_30default_config_static_selectorELNS0_4arch9wavefront6targetE0EEEvT1_
    .private_segment_fixed_size: 0
    .sgpr_count:     0
    .sgpr_spill_count: 0
    .symbol:         _ZN7rocprim17ROCPRIM_400000_NS6detail17trampoline_kernelINS0_14default_configENS1_29reduce_by_key_config_selectorIffN6thrust23THRUST_200600_302600_NS4plusIfEEEEZZNS1_33reduce_by_key_impl_wrapped_configILNS1_25lookback_scan_determinismE0ES3_S9_NS6_6detail15normal_iteratorINS6_10device_ptrIfEEEESG_SG_SG_PmS8_NS6_8equal_toIfEEEE10hipError_tPvRmT2_T3_mT4_T5_T6_T7_T8_P12ihipStream_tbENKUlT_T0_E_clISt17integral_constantIbLb0EES11_EEDaSW_SX_EUlSW_E_NS1_11comp_targetILNS1_3genE10ELNS1_11target_archE1200ELNS1_3gpuE4ELNS1_3repE0EEENS1_30default_config_static_selectorELNS0_4arch9wavefront6targetE0EEEvT1_.kd
    .uniform_work_group_size: 1
    .uses_dynamic_stack: false
    .vgpr_count:     0
    .vgpr_spill_count: 0
    .wavefront_size: 32
    .workgroup_processor_mode: 1
  - .args:
      - .offset:         0
        .size:           120
        .value_kind:     by_value
    .group_segment_fixed_size: 15360
    .kernarg_segment_align: 8
    .kernarg_segment_size: 120
    .language:       OpenCL C
    .language_version:
      - 2
      - 0
    .max_flat_workgroup_size: 256
    .name:           _ZN7rocprim17ROCPRIM_400000_NS6detail17trampoline_kernelINS0_14default_configENS1_29reduce_by_key_config_selectorIffN6thrust23THRUST_200600_302600_NS4plusIfEEEEZZNS1_33reduce_by_key_impl_wrapped_configILNS1_25lookback_scan_determinismE0ES3_S9_NS6_6detail15normal_iteratorINS6_10device_ptrIfEEEESG_SG_SG_PmS8_NS6_8equal_toIfEEEE10hipError_tPvRmT2_T3_mT4_T5_T6_T7_T8_P12ihipStream_tbENKUlT_T0_E_clISt17integral_constantIbLb0EES11_EEDaSW_SX_EUlSW_E_NS1_11comp_targetILNS1_3genE9ELNS1_11target_archE1100ELNS1_3gpuE3ELNS1_3repE0EEENS1_30default_config_static_selectorELNS0_4arch9wavefront6targetE0EEEvT1_
    .private_segment_fixed_size: 0
    .sgpr_count:     48
    .sgpr_spill_count: 0
    .symbol:         _ZN7rocprim17ROCPRIM_400000_NS6detail17trampoline_kernelINS0_14default_configENS1_29reduce_by_key_config_selectorIffN6thrust23THRUST_200600_302600_NS4plusIfEEEEZZNS1_33reduce_by_key_impl_wrapped_configILNS1_25lookback_scan_determinismE0ES3_S9_NS6_6detail15normal_iteratorINS6_10device_ptrIfEEEESG_SG_SG_PmS8_NS6_8equal_toIfEEEE10hipError_tPvRmT2_T3_mT4_T5_T6_T7_T8_P12ihipStream_tbENKUlT_T0_E_clISt17integral_constantIbLb0EES11_EEDaSW_SX_EUlSW_E_NS1_11comp_targetILNS1_3genE9ELNS1_11target_archE1100ELNS1_3gpuE3ELNS1_3repE0EEENS1_30default_config_static_selectorELNS0_4arch9wavefront6targetE0EEEvT1_.kd
    .uniform_work_group_size: 1
    .uses_dynamic_stack: false
    .vgpr_count:     85
    .vgpr_spill_count: 0
    .wavefront_size: 32
    .workgroup_processor_mode: 1
  - .args:
      - .offset:         0
        .size:           120
        .value_kind:     by_value
    .group_segment_fixed_size: 0
    .kernarg_segment_align: 8
    .kernarg_segment_size: 120
    .language:       OpenCL C
    .language_version:
      - 2
      - 0
    .max_flat_workgroup_size: 256
    .name:           _ZN7rocprim17ROCPRIM_400000_NS6detail17trampoline_kernelINS0_14default_configENS1_29reduce_by_key_config_selectorIffN6thrust23THRUST_200600_302600_NS4plusIfEEEEZZNS1_33reduce_by_key_impl_wrapped_configILNS1_25lookback_scan_determinismE0ES3_S9_NS6_6detail15normal_iteratorINS6_10device_ptrIfEEEESG_SG_SG_PmS8_NS6_8equal_toIfEEEE10hipError_tPvRmT2_T3_mT4_T5_T6_T7_T8_P12ihipStream_tbENKUlT_T0_E_clISt17integral_constantIbLb0EES11_EEDaSW_SX_EUlSW_E_NS1_11comp_targetILNS1_3genE8ELNS1_11target_archE1030ELNS1_3gpuE2ELNS1_3repE0EEENS1_30default_config_static_selectorELNS0_4arch9wavefront6targetE0EEEvT1_
    .private_segment_fixed_size: 0
    .sgpr_count:     0
    .sgpr_spill_count: 0
    .symbol:         _ZN7rocprim17ROCPRIM_400000_NS6detail17trampoline_kernelINS0_14default_configENS1_29reduce_by_key_config_selectorIffN6thrust23THRUST_200600_302600_NS4plusIfEEEEZZNS1_33reduce_by_key_impl_wrapped_configILNS1_25lookback_scan_determinismE0ES3_S9_NS6_6detail15normal_iteratorINS6_10device_ptrIfEEEESG_SG_SG_PmS8_NS6_8equal_toIfEEEE10hipError_tPvRmT2_T3_mT4_T5_T6_T7_T8_P12ihipStream_tbENKUlT_T0_E_clISt17integral_constantIbLb0EES11_EEDaSW_SX_EUlSW_E_NS1_11comp_targetILNS1_3genE8ELNS1_11target_archE1030ELNS1_3gpuE2ELNS1_3repE0EEENS1_30default_config_static_selectorELNS0_4arch9wavefront6targetE0EEEvT1_.kd
    .uniform_work_group_size: 1
    .uses_dynamic_stack: false
    .vgpr_count:     0
    .vgpr_spill_count: 0
    .wavefront_size: 32
    .workgroup_processor_mode: 1
  - .args:
      - .offset:         0
        .size:           120
        .value_kind:     by_value
    .group_segment_fixed_size: 0
    .kernarg_segment_align: 8
    .kernarg_segment_size: 120
    .language:       OpenCL C
    .language_version:
      - 2
      - 0
    .max_flat_workgroup_size: 256
    .name:           _ZN7rocprim17ROCPRIM_400000_NS6detail17trampoline_kernelINS0_14default_configENS1_29reduce_by_key_config_selectorIffN6thrust23THRUST_200600_302600_NS4plusIfEEEEZZNS1_33reduce_by_key_impl_wrapped_configILNS1_25lookback_scan_determinismE0ES3_S9_NS6_6detail15normal_iteratorINS6_10device_ptrIfEEEESG_SG_SG_PmS8_NS6_8equal_toIfEEEE10hipError_tPvRmT2_T3_mT4_T5_T6_T7_T8_P12ihipStream_tbENKUlT_T0_E_clISt17integral_constantIbLb1EES11_EEDaSW_SX_EUlSW_E_NS1_11comp_targetILNS1_3genE0ELNS1_11target_archE4294967295ELNS1_3gpuE0ELNS1_3repE0EEENS1_30default_config_static_selectorELNS0_4arch9wavefront6targetE0EEEvT1_
    .private_segment_fixed_size: 0
    .sgpr_count:     0
    .sgpr_spill_count: 0
    .symbol:         _ZN7rocprim17ROCPRIM_400000_NS6detail17trampoline_kernelINS0_14default_configENS1_29reduce_by_key_config_selectorIffN6thrust23THRUST_200600_302600_NS4plusIfEEEEZZNS1_33reduce_by_key_impl_wrapped_configILNS1_25lookback_scan_determinismE0ES3_S9_NS6_6detail15normal_iteratorINS6_10device_ptrIfEEEESG_SG_SG_PmS8_NS6_8equal_toIfEEEE10hipError_tPvRmT2_T3_mT4_T5_T6_T7_T8_P12ihipStream_tbENKUlT_T0_E_clISt17integral_constantIbLb1EES11_EEDaSW_SX_EUlSW_E_NS1_11comp_targetILNS1_3genE0ELNS1_11target_archE4294967295ELNS1_3gpuE0ELNS1_3repE0EEENS1_30default_config_static_selectorELNS0_4arch9wavefront6targetE0EEEvT1_.kd
    .uniform_work_group_size: 1
    .uses_dynamic_stack: false
    .vgpr_count:     0
    .vgpr_spill_count: 0
    .wavefront_size: 32
    .workgroup_processor_mode: 1
  - .args:
      - .offset:         0
        .size:           120
        .value_kind:     by_value
    .group_segment_fixed_size: 0
    .kernarg_segment_align: 8
    .kernarg_segment_size: 120
    .language:       OpenCL C
    .language_version:
      - 2
      - 0
    .max_flat_workgroup_size: 256
    .name:           _ZN7rocprim17ROCPRIM_400000_NS6detail17trampoline_kernelINS0_14default_configENS1_29reduce_by_key_config_selectorIffN6thrust23THRUST_200600_302600_NS4plusIfEEEEZZNS1_33reduce_by_key_impl_wrapped_configILNS1_25lookback_scan_determinismE0ES3_S9_NS6_6detail15normal_iteratorINS6_10device_ptrIfEEEESG_SG_SG_PmS8_NS6_8equal_toIfEEEE10hipError_tPvRmT2_T3_mT4_T5_T6_T7_T8_P12ihipStream_tbENKUlT_T0_E_clISt17integral_constantIbLb1EES11_EEDaSW_SX_EUlSW_E_NS1_11comp_targetILNS1_3genE5ELNS1_11target_archE942ELNS1_3gpuE9ELNS1_3repE0EEENS1_30default_config_static_selectorELNS0_4arch9wavefront6targetE0EEEvT1_
    .private_segment_fixed_size: 0
    .sgpr_count:     0
    .sgpr_spill_count: 0
    .symbol:         _ZN7rocprim17ROCPRIM_400000_NS6detail17trampoline_kernelINS0_14default_configENS1_29reduce_by_key_config_selectorIffN6thrust23THRUST_200600_302600_NS4plusIfEEEEZZNS1_33reduce_by_key_impl_wrapped_configILNS1_25lookback_scan_determinismE0ES3_S9_NS6_6detail15normal_iteratorINS6_10device_ptrIfEEEESG_SG_SG_PmS8_NS6_8equal_toIfEEEE10hipError_tPvRmT2_T3_mT4_T5_T6_T7_T8_P12ihipStream_tbENKUlT_T0_E_clISt17integral_constantIbLb1EES11_EEDaSW_SX_EUlSW_E_NS1_11comp_targetILNS1_3genE5ELNS1_11target_archE942ELNS1_3gpuE9ELNS1_3repE0EEENS1_30default_config_static_selectorELNS0_4arch9wavefront6targetE0EEEvT1_.kd
    .uniform_work_group_size: 1
    .uses_dynamic_stack: false
    .vgpr_count:     0
    .vgpr_spill_count: 0
    .wavefront_size: 32
    .workgroup_processor_mode: 1
  - .args:
      - .offset:         0
        .size:           120
        .value_kind:     by_value
    .group_segment_fixed_size: 0
    .kernarg_segment_align: 8
    .kernarg_segment_size: 120
    .language:       OpenCL C
    .language_version:
      - 2
      - 0
    .max_flat_workgroup_size: 256
    .name:           _ZN7rocprim17ROCPRIM_400000_NS6detail17trampoline_kernelINS0_14default_configENS1_29reduce_by_key_config_selectorIffN6thrust23THRUST_200600_302600_NS4plusIfEEEEZZNS1_33reduce_by_key_impl_wrapped_configILNS1_25lookback_scan_determinismE0ES3_S9_NS6_6detail15normal_iteratorINS6_10device_ptrIfEEEESG_SG_SG_PmS8_NS6_8equal_toIfEEEE10hipError_tPvRmT2_T3_mT4_T5_T6_T7_T8_P12ihipStream_tbENKUlT_T0_E_clISt17integral_constantIbLb1EES11_EEDaSW_SX_EUlSW_E_NS1_11comp_targetILNS1_3genE4ELNS1_11target_archE910ELNS1_3gpuE8ELNS1_3repE0EEENS1_30default_config_static_selectorELNS0_4arch9wavefront6targetE0EEEvT1_
    .private_segment_fixed_size: 0
    .sgpr_count:     0
    .sgpr_spill_count: 0
    .symbol:         _ZN7rocprim17ROCPRIM_400000_NS6detail17trampoline_kernelINS0_14default_configENS1_29reduce_by_key_config_selectorIffN6thrust23THRUST_200600_302600_NS4plusIfEEEEZZNS1_33reduce_by_key_impl_wrapped_configILNS1_25lookback_scan_determinismE0ES3_S9_NS6_6detail15normal_iteratorINS6_10device_ptrIfEEEESG_SG_SG_PmS8_NS6_8equal_toIfEEEE10hipError_tPvRmT2_T3_mT4_T5_T6_T7_T8_P12ihipStream_tbENKUlT_T0_E_clISt17integral_constantIbLb1EES11_EEDaSW_SX_EUlSW_E_NS1_11comp_targetILNS1_3genE4ELNS1_11target_archE910ELNS1_3gpuE8ELNS1_3repE0EEENS1_30default_config_static_selectorELNS0_4arch9wavefront6targetE0EEEvT1_.kd
    .uniform_work_group_size: 1
    .uses_dynamic_stack: false
    .vgpr_count:     0
    .vgpr_spill_count: 0
    .wavefront_size: 32
    .workgroup_processor_mode: 1
  - .args:
      - .offset:         0
        .size:           120
        .value_kind:     by_value
    .group_segment_fixed_size: 0
    .kernarg_segment_align: 8
    .kernarg_segment_size: 120
    .language:       OpenCL C
    .language_version:
      - 2
      - 0
    .max_flat_workgroup_size: 256
    .name:           _ZN7rocprim17ROCPRIM_400000_NS6detail17trampoline_kernelINS0_14default_configENS1_29reduce_by_key_config_selectorIffN6thrust23THRUST_200600_302600_NS4plusIfEEEEZZNS1_33reduce_by_key_impl_wrapped_configILNS1_25lookback_scan_determinismE0ES3_S9_NS6_6detail15normal_iteratorINS6_10device_ptrIfEEEESG_SG_SG_PmS8_NS6_8equal_toIfEEEE10hipError_tPvRmT2_T3_mT4_T5_T6_T7_T8_P12ihipStream_tbENKUlT_T0_E_clISt17integral_constantIbLb1EES11_EEDaSW_SX_EUlSW_E_NS1_11comp_targetILNS1_3genE3ELNS1_11target_archE908ELNS1_3gpuE7ELNS1_3repE0EEENS1_30default_config_static_selectorELNS0_4arch9wavefront6targetE0EEEvT1_
    .private_segment_fixed_size: 0
    .sgpr_count:     0
    .sgpr_spill_count: 0
    .symbol:         _ZN7rocprim17ROCPRIM_400000_NS6detail17trampoline_kernelINS0_14default_configENS1_29reduce_by_key_config_selectorIffN6thrust23THRUST_200600_302600_NS4plusIfEEEEZZNS1_33reduce_by_key_impl_wrapped_configILNS1_25lookback_scan_determinismE0ES3_S9_NS6_6detail15normal_iteratorINS6_10device_ptrIfEEEESG_SG_SG_PmS8_NS6_8equal_toIfEEEE10hipError_tPvRmT2_T3_mT4_T5_T6_T7_T8_P12ihipStream_tbENKUlT_T0_E_clISt17integral_constantIbLb1EES11_EEDaSW_SX_EUlSW_E_NS1_11comp_targetILNS1_3genE3ELNS1_11target_archE908ELNS1_3gpuE7ELNS1_3repE0EEENS1_30default_config_static_selectorELNS0_4arch9wavefront6targetE0EEEvT1_.kd
    .uniform_work_group_size: 1
    .uses_dynamic_stack: false
    .vgpr_count:     0
    .vgpr_spill_count: 0
    .wavefront_size: 32
    .workgroup_processor_mode: 1
  - .args:
      - .offset:         0
        .size:           120
        .value_kind:     by_value
    .group_segment_fixed_size: 0
    .kernarg_segment_align: 8
    .kernarg_segment_size: 120
    .language:       OpenCL C
    .language_version:
      - 2
      - 0
    .max_flat_workgroup_size: 256
    .name:           _ZN7rocprim17ROCPRIM_400000_NS6detail17trampoline_kernelINS0_14default_configENS1_29reduce_by_key_config_selectorIffN6thrust23THRUST_200600_302600_NS4plusIfEEEEZZNS1_33reduce_by_key_impl_wrapped_configILNS1_25lookback_scan_determinismE0ES3_S9_NS6_6detail15normal_iteratorINS6_10device_ptrIfEEEESG_SG_SG_PmS8_NS6_8equal_toIfEEEE10hipError_tPvRmT2_T3_mT4_T5_T6_T7_T8_P12ihipStream_tbENKUlT_T0_E_clISt17integral_constantIbLb1EES11_EEDaSW_SX_EUlSW_E_NS1_11comp_targetILNS1_3genE2ELNS1_11target_archE906ELNS1_3gpuE6ELNS1_3repE0EEENS1_30default_config_static_selectorELNS0_4arch9wavefront6targetE0EEEvT1_
    .private_segment_fixed_size: 0
    .sgpr_count:     0
    .sgpr_spill_count: 0
    .symbol:         _ZN7rocprim17ROCPRIM_400000_NS6detail17trampoline_kernelINS0_14default_configENS1_29reduce_by_key_config_selectorIffN6thrust23THRUST_200600_302600_NS4plusIfEEEEZZNS1_33reduce_by_key_impl_wrapped_configILNS1_25lookback_scan_determinismE0ES3_S9_NS6_6detail15normal_iteratorINS6_10device_ptrIfEEEESG_SG_SG_PmS8_NS6_8equal_toIfEEEE10hipError_tPvRmT2_T3_mT4_T5_T6_T7_T8_P12ihipStream_tbENKUlT_T0_E_clISt17integral_constantIbLb1EES11_EEDaSW_SX_EUlSW_E_NS1_11comp_targetILNS1_3genE2ELNS1_11target_archE906ELNS1_3gpuE6ELNS1_3repE0EEENS1_30default_config_static_selectorELNS0_4arch9wavefront6targetE0EEEvT1_.kd
    .uniform_work_group_size: 1
    .uses_dynamic_stack: false
    .vgpr_count:     0
    .vgpr_spill_count: 0
    .wavefront_size: 32
    .workgroup_processor_mode: 1
  - .args:
      - .offset:         0
        .size:           120
        .value_kind:     by_value
    .group_segment_fixed_size: 0
    .kernarg_segment_align: 8
    .kernarg_segment_size: 120
    .language:       OpenCL C
    .language_version:
      - 2
      - 0
    .max_flat_workgroup_size: 256
    .name:           _ZN7rocprim17ROCPRIM_400000_NS6detail17trampoline_kernelINS0_14default_configENS1_29reduce_by_key_config_selectorIffN6thrust23THRUST_200600_302600_NS4plusIfEEEEZZNS1_33reduce_by_key_impl_wrapped_configILNS1_25lookback_scan_determinismE0ES3_S9_NS6_6detail15normal_iteratorINS6_10device_ptrIfEEEESG_SG_SG_PmS8_NS6_8equal_toIfEEEE10hipError_tPvRmT2_T3_mT4_T5_T6_T7_T8_P12ihipStream_tbENKUlT_T0_E_clISt17integral_constantIbLb1EES11_EEDaSW_SX_EUlSW_E_NS1_11comp_targetILNS1_3genE10ELNS1_11target_archE1201ELNS1_3gpuE5ELNS1_3repE0EEENS1_30default_config_static_selectorELNS0_4arch9wavefront6targetE0EEEvT1_
    .private_segment_fixed_size: 0
    .sgpr_count:     0
    .sgpr_spill_count: 0
    .symbol:         _ZN7rocprim17ROCPRIM_400000_NS6detail17trampoline_kernelINS0_14default_configENS1_29reduce_by_key_config_selectorIffN6thrust23THRUST_200600_302600_NS4plusIfEEEEZZNS1_33reduce_by_key_impl_wrapped_configILNS1_25lookback_scan_determinismE0ES3_S9_NS6_6detail15normal_iteratorINS6_10device_ptrIfEEEESG_SG_SG_PmS8_NS6_8equal_toIfEEEE10hipError_tPvRmT2_T3_mT4_T5_T6_T7_T8_P12ihipStream_tbENKUlT_T0_E_clISt17integral_constantIbLb1EES11_EEDaSW_SX_EUlSW_E_NS1_11comp_targetILNS1_3genE10ELNS1_11target_archE1201ELNS1_3gpuE5ELNS1_3repE0EEENS1_30default_config_static_selectorELNS0_4arch9wavefront6targetE0EEEvT1_.kd
    .uniform_work_group_size: 1
    .uses_dynamic_stack: false
    .vgpr_count:     0
    .vgpr_spill_count: 0
    .wavefront_size: 32
    .workgroup_processor_mode: 1
  - .args:
      - .offset:         0
        .size:           120
        .value_kind:     by_value
    .group_segment_fixed_size: 0
    .kernarg_segment_align: 8
    .kernarg_segment_size: 120
    .language:       OpenCL C
    .language_version:
      - 2
      - 0
    .max_flat_workgroup_size: 256
    .name:           _ZN7rocprim17ROCPRIM_400000_NS6detail17trampoline_kernelINS0_14default_configENS1_29reduce_by_key_config_selectorIffN6thrust23THRUST_200600_302600_NS4plusIfEEEEZZNS1_33reduce_by_key_impl_wrapped_configILNS1_25lookback_scan_determinismE0ES3_S9_NS6_6detail15normal_iteratorINS6_10device_ptrIfEEEESG_SG_SG_PmS8_NS6_8equal_toIfEEEE10hipError_tPvRmT2_T3_mT4_T5_T6_T7_T8_P12ihipStream_tbENKUlT_T0_E_clISt17integral_constantIbLb1EES11_EEDaSW_SX_EUlSW_E_NS1_11comp_targetILNS1_3genE10ELNS1_11target_archE1200ELNS1_3gpuE4ELNS1_3repE0EEENS1_30default_config_static_selectorELNS0_4arch9wavefront6targetE0EEEvT1_
    .private_segment_fixed_size: 0
    .sgpr_count:     0
    .sgpr_spill_count: 0
    .symbol:         _ZN7rocprim17ROCPRIM_400000_NS6detail17trampoline_kernelINS0_14default_configENS1_29reduce_by_key_config_selectorIffN6thrust23THRUST_200600_302600_NS4plusIfEEEEZZNS1_33reduce_by_key_impl_wrapped_configILNS1_25lookback_scan_determinismE0ES3_S9_NS6_6detail15normal_iteratorINS6_10device_ptrIfEEEESG_SG_SG_PmS8_NS6_8equal_toIfEEEE10hipError_tPvRmT2_T3_mT4_T5_T6_T7_T8_P12ihipStream_tbENKUlT_T0_E_clISt17integral_constantIbLb1EES11_EEDaSW_SX_EUlSW_E_NS1_11comp_targetILNS1_3genE10ELNS1_11target_archE1200ELNS1_3gpuE4ELNS1_3repE0EEENS1_30default_config_static_selectorELNS0_4arch9wavefront6targetE0EEEvT1_.kd
    .uniform_work_group_size: 1
    .uses_dynamic_stack: false
    .vgpr_count:     0
    .vgpr_spill_count: 0
    .wavefront_size: 32
    .workgroup_processor_mode: 1
  - .args:
      - .offset:         0
        .size:           120
        .value_kind:     by_value
    .group_segment_fixed_size: 15360
    .kernarg_segment_align: 8
    .kernarg_segment_size: 120
    .language:       OpenCL C
    .language_version:
      - 2
      - 0
    .max_flat_workgroup_size: 256
    .name:           _ZN7rocprim17ROCPRIM_400000_NS6detail17trampoline_kernelINS0_14default_configENS1_29reduce_by_key_config_selectorIffN6thrust23THRUST_200600_302600_NS4plusIfEEEEZZNS1_33reduce_by_key_impl_wrapped_configILNS1_25lookback_scan_determinismE0ES3_S9_NS6_6detail15normal_iteratorINS6_10device_ptrIfEEEESG_SG_SG_PmS8_NS6_8equal_toIfEEEE10hipError_tPvRmT2_T3_mT4_T5_T6_T7_T8_P12ihipStream_tbENKUlT_T0_E_clISt17integral_constantIbLb1EES11_EEDaSW_SX_EUlSW_E_NS1_11comp_targetILNS1_3genE9ELNS1_11target_archE1100ELNS1_3gpuE3ELNS1_3repE0EEENS1_30default_config_static_selectorELNS0_4arch9wavefront6targetE0EEEvT1_
    .private_segment_fixed_size: 0
    .sgpr_count:     51
    .sgpr_spill_count: 0
    .symbol:         _ZN7rocprim17ROCPRIM_400000_NS6detail17trampoline_kernelINS0_14default_configENS1_29reduce_by_key_config_selectorIffN6thrust23THRUST_200600_302600_NS4plusIfEEEEZZNS1_33reduce_by_key_impl_wrapped_configILNS1_25lookback_scan_determinismE0ES3_S9_NS6_6detail15normal_iteratorINS6_10device_ptrIfEEEESG_SG_SG_PmS8_NS6_8equal_toIfEEEE10hipError_tPvRmT2_T3_mT4_T5_T6_T7_T8_P12ihipStream_tbENKUlT_T0_E_clISt17integral_constantIbLb1EES11_EEDaSW_SX_EUlSW_E_NS1_11comp_targetILNS1_3genE9ELNS1_11target_archE1100ELNS1_3gpuE3ELNS1_3repE0EEENS1_30default_config_static_selectorELNS0_4arch9wavefront6targetE0EEEvT1_.kd
    .uniform_work_group_size: 1
    .uses_dynamic_stack: false
    .vgpr_count:     85
    .vgpr_spill_count: 0
    .wavefront_size: 32
    .workgroup_processor_mode: 1
  - .args:
      - .offset:         0
        .size:           120
        .value_kind:     by_value
    .group_segment_fixed_size: 0
    .kernarg_segment_align: 8
    .kernarg_segment_size: 120
    .language:       OpenCL C
    .language_version:
      - 2
      - 0
    .max_flat_workgroup_size: 256
    .name:           _ZN7rocprim17ROCPRIM_400000_NS6detail17trampoline_kernelINS0_14default_configENS1_29reduce_by_key_config_selectorIffN6thrust23THRUST_200600_302600_NS4plusIfEEEEZZNS1_33reduce_by_key_impl_wrapped_configILNS1_25lookback_scan_determinismE0ES3_S9_NS6_6detail15normal_iteratorINS6_10device_ptrIfEEEESG_SG_SG_PmS8_NS6_8equal_toIfEEEE10hipError_tPvRmT2_T3_mT4_T5_T6_T7_T8_P12ihipStream_tbENKUlT_T0_E_clISt17integral_constantIbLb1EES11_EEDaSW_SX_EUlSW_E_NS1_11comp_targetILNS1_3genE8ELNS1_11target_archE1030ELNS1_3gpuE2ELNS1_3repE0EEENS1_30default_config_static_selectorELNS0_4arch9wavefront6targetE0EEEvT1_
    .private_segment_fixed_size: 0
    .sgpr_count:     0
    .sgpr_spill_count: 0
    .symbol:         _ZN7rocprim17ROCPRIM_400000_NS6detail17trampoline_kernelINS0_14default_configENS1_29reduce_by_key_config_selectorIffN6thrust23THRUST_200600_302600_NS4plusIfEEEEZZNS1_33reduce_by_key_impl_wrapped_configILNS1_25lookback_scan_determinismE0ES3_S9_NS6_6detail15normal_iteratorINS6_10device_ptrIfEEEESG_SG_SG_PmS8_NS6_8equal_toIfEEEE10hipError_tPvRmT2_T3_mT4_T5_T6_T7_T8_P12ihipStream_tbENKUlT_T0_E_clISt17integral_constantIbLb1EES11_EEDaSW_SX_EUlSW_E_NS1_11comp_targetILNS1_3genE8ELNS1_11target_archE1030ELNS1_3gpuE2ELNS1_3repE0EEENS1_30default_config_static_selectorELNS0_4arch9wavefront6targetE0EEEvT1_.kd
    .uniform_work_group_size: 1
    .uses_dynamic_stack: false
    .vgpr_count:     0
    .vgpr_spill_count: 0
    .wavefront_size: 32
    .workgroup_processor_mode: 1
  - .args:
      - .offset:         0
        .size:           120
        .value_kind:     by_value
    .group_segment_fixed_size: 0
    .kernarg_segment_align: 8
    .kernarg_segment_size: 120
    .language:       OpenCL C
    .language_version:
      - 2
      - 0
    .max_flat_workgroup_size: 256
    .name:           _ZN7rocprim17ROCPRIM_400000_NS6detail17trampoline_kernelINS0_14default_configENS1_29reduce_by_key_config_selectorIffN6thrust23THRUST_200600_302600_NS4plusIfEEEEZZNS1_33reduce_by_key_impl_wrapped_configILNS1_25lookback_scan_determinismE0ES3_S9_NS6_6detail15normal_iteratorINS6_10device_ptrIfEEEESG_SG_SG_PmS8_NS6_8equal_toIfEEEE10hipError_tPvRmT2_T3_mT4_T5_T6_T7_T8_P12ihipStream_tbENKUlT_T0_E_clISt17integral_constantIbLb1EES10_IbLb0EEEEDaSW_SX_EUlSW_E_NS1_11comp_targetILNS1_3genE0ELNS1_11target_archE4294967295ELNS1_3gpuE0ELNS1_3repE0EEENS1_30default_config_static_selectorELNS0_4arch9wavefront6targetE0EEEvT1_
    .private_segment_fixed_size: 0
    .sgpr_count:     0
    .sgpr_spill_count: 0
    .symbol:         _ZN7rocprim17ROCPRIM_400000_NS6detail17trampoline_kernelINS0_14default_configENS1_29reduce_by_key_config_selectorIffN6thrust23THRUST_200600_302600_NS4plusIfEEEEZZNS1_33reduce_by_key_impl_wrapped_configILNS1_25lookback_scan_determinismE0ES3_S9_NS6_6detail15normal_iteratorINS6_10device_ptrIfEEEESG_SG_SG_PmS8_NS6_8equal_toIfEEEE10hipError_tPvRmT2_T3_mT4_T5_T6_T7_T8_P12ihipStream_tbENKUlT_T0_E_clISt17integral_constantIbLb1EES10_IbLb0EEEEDaSW_SX_EUlSW_E_NS1_11comp_targetILNS1_3genE0ELNS1_11target_archE4294967295ELNS1_3gpuE0ELNS1_3repE0EEENS1_30default_config_static_selectorELNS0_4arch9wavefront6targetE0EEEvT1_.kd
    .uniform_work_group_size: 1
    .uses_dynamic_stack: false
    .vgpr_count:     0
    .vgpr_spill_count: 0
    .wavefront_size: 32
    .workgroup_processor_mode: 1
  - .args:
      - .offset:         0
        .size:           120
        .value_kind:     by_value
    .group_segment_fixed_size: 0
    .kernarg_segment_align: 8
    .kernarg_segment_size: 120
    .language:       OpenCL C
    .language_version:
      - 2
      - 0
    .max_flat_workgroup_size: 256
    .name:           _ZN7rocprim17ROCPRIM_400000_NS6detail17trampoline_kernelINS0_14default_configENS1_29reduce_by_key_config_selectorIffN6thrust23THRUST_200600_302600_NS4plusIfEEEEZZNS1_33reduce_by_key_impl_wrapped_configILNS1_25lookback_scan_determinismE0ES3_S9_NS6_6detail15normal_iteratorINS6_10device_ptrIfEEEESG_SG_SG_PmS8_NS6_8equal_toIfEEEE10hipError_tPvRmT2_T3_mT4_T5_T6_T7_T8_P12ihipStream_tbENKUlT_T0_E_clISt17integral_constantIbLb1EES10_IbLb0EEEEDaSW_SX_EUlSW_E_NS1_11comp_targetILNS1_3genE5ELNS1_11target_archE942ELNS1_3gpuE9ELNS1_3repE0EEENS1_30default_config_static_selectorELNS0_4arch9wavefront6targetE0EEEvT1_
    .private_segment_fixed_size: 0
    .sgpr_count:     0
    .sgpr_spill_count: 0
    .symbol:         _ZN7rocprim17ROCPRIM_400000_NS6detail17trampoline_kernelINS0_14default_configENS1_29reduce_by_key_config_selectorIffN6thrust23THRUST_200600_302600_NS4plusIfEEEEZZNS1_33reduce_by_key_impl_wrapped_configILNS1_25lookback_scan_determinismE0ES3_S9_NS6_6detail15normal_iteratorINS6_10device_ptrIfEEEESG_SG_SG_PmS8_NS6_8equal_toIfEEEE10hipError_tPvRmT2_T3_mT4_T5_T6_T7_T8_P12ihipStream_tbENKUlT_T0_E_clISt17integral_constantIbLb1EES10_IbLb0EEEEDaSW_SX_EUlSW_E_NS1_11comp_targetILNS1_3genE5ELNS1_11target_archE942ELNS1_3gpuE9ELNS1_3repE0EEENS1_30default_config_static_selectorELNS0_4arch9wavefront6targetE0EEEvT1_.kd
    .uniform_work_group_size: 1
    .uses_dynamic_stack: false
    .vgpr_count:     0
    .vgpr_spill_count: 0
    .wavefront_size: 32
    .workgroup_processor_mode: 1
  - .args:
      - .offset:         0
        .size:           120
        .value_kind:     by_value
    .group_segment_fixed_size: 0
    .kernarg_segment_align: 8
    .kernarg_segment_size: 120
    .language:       OpenCL C
    .language_version:
      - 2
      - 0
    .max_flat_workgroup_size: 256
    .name:           _ZN7rocprim17ROCPRIM_400000_NS6detail17trampoline_kernelINS0_14default_configENS1_29reduce_by_key_config_selectorIffN6thrust23THRUST_200600_302600_NS4plusIfEEEEZZNS1_33reduce_by_key_impl_wrapped_configILNS1_25lookback_scan_determinismE0ES3_S9_NS6_6detail15normal_iteratorINS6_10device_ptrIfEEEESG_SG_SG_PmS8_NS6_8equal_toIfEEEE10hipError_tPvRmT2_T3_mT4_T5_T6_T7_T8_P12ihipStream_tbENKUlT_T0_E_clISt17integral_constantIbLb1EES10_IbLb0EEEEDaSW_SX_EUlSW_E_NS1_11comp_targetILNS1_3genE4ELNS1_11target_archE910ELNS1_3gpuE8ELNS1_3repE0EEENS1_30default_config_static_selectorELNS0_4arch9wavefront6targetE0EEEvT1_
    .private_segment_fixed_size: 0
    .sgpr_count:     0
    .sgpr_spill_count: 0
    .symbol:         _ZN7rocprim17ROCPRIM_400000_NS6detail17trampoline_kernelINS0_14default_configENS1_29reduce_by_key_config_selectorIffN6thrust23THRUST_200600_302600_NS4plusIfEEEEZZNS1_33reduce_by_key_impl_wrapped_configILNS1_25lookback_scan_determinismE0ES3_S9_NS6_6detail15normal_iteratorINS6_10device_ptrIfEEEESG_SG_SG_PmS8_NS6_8equal_toIfEEEE10hipError_tPvRmT2_T3_mT4_T5_T6_T7_T8_P12ihipStream_tbENKUlT_T0_E_clISt17integral_constantIbLb1EES10_IbLb0EEEEDaSW_SX_EUlSW_E_NS1_11comp_targetILNS1_3genE4ELNS1_11target_archE910ELNS1_3gpuE8ELNS1_3repE0EEENS1_30default_config_static_selectorELNS0_4arch9wavefront6targetE0EEEvT1_.kd
    .uniform_work_group_size: 1
    .uses_dynamic_stack: false
    .vgpr_count:     0
    .vgpr_spill_count: 0
    .wavefront_size: 32
    .workgroup_processor_mode: 1
  - .args:
      - .offset:         0
        .size:           120
        .value_kind:     by_value
    .group_segment_fixed_size: 0
    .kernarg_segment_align: 8
    .kernarg_segment_size: 120
    .language:       OpenCL C
    .language_version:
      - 2
      - 0
    .max_flat_workgroup_size: 256
    .name:           _ZN7rocprim17ROCPRIM_400000_NS6detail17trampoline_kernelINS0_14default_configENS1_29reduce_by_key_config_selectorIffN6thrust23THRUST_200600_302600_NS4plusIfEEEEZZNS1_33reduce_by_key_impl_wrapped_configILNS1_25lookback_scan_determinismE0ES3_S9_NS6_6detail15normal_iteratorINS6_10device_ptrIfEEEESG_SG_SG_PmS8_NS6_8equal_toIfEEEE10hipError_tPvRmT2_T3_mT4_T5_T6_T7_T8_P12ihipStream_tbENKUlT_T0_E_clISt17integral_constantIbLb1EES10_IbLb0EEEEDaSW_SX_EUlSW_E_NS1_11comp_targetILNS1_3genE3ELNS1_11target_archE908ELNS1_3gpuE7ELNS1_3repE0EEENS1_30default_config_static_selectorELNS0_4arch9wavefront6targetE0EEEvT1_
    .private_segment_fixed_size: 0
    .sgpr_count:     0
    .sgpr_spill_count: 0
    .symbol:         _ZN7rocprim17ROCPRIM_400000_NS6detail17trampoline_kernelINS0_14default_configENS1_29reduce_by_key_config_selectorIffN6thrust23THRUST_200600_302600_NS4plusIfEEEEZZNS1_33reduce_by_key_impl_wrapped_configILNS1_25lookback_scan_determinismE0ES3_S9_NS6_6detail15normal_iteratorINS6_10device_ptrIfEEEESG_SG_SG_PmS8_NS6_8equal_toIfEEEE10hipError_tPvRmT2_T3_mT4_T5_T6_T7_T8_P12ihipStream_tbENKUlT_T0_E_clISt17integral_constantIbLb1EES10_IbLb0EEEEDaSW_SX_EUlSW_E_NS1_11comp_targetILNS1_3genE3ELNS1_11target_archE908ELNS1_3gpuE7ELNS1_3repE0EEENS1_30default_config_static_selectorELNS0_4arch9wavefront6targetE0EEEvT1_.kd
    .uniform_work_group_size: 1
    .uses_dynamic_stack: false
    .vgpr_count:     0
    .vgpr_spill_count: 0
    .wavefront_size: 32
    .workgroup_processor_mode: 1
  - .args:
      - .offset:         0
        .size:           120
        .value_kind:     by_value
    .group_segment_fixed_size: 0
    .kernarg_segment_align: 8
    .kernarg_segment_size: 120
    .language:       OpenCL C
    .language_version:
      - 2
      - 0
    .max_flat_workgroup_size: 256
    .name:           _ZN7rocprim17ROCPRIM_400000_NS6detail17trampoline_kernelINS0_14default_configENS1_29reduce_by_key_config_selectorIffN6thrust23THRUST_200600_302600_NS4plusIfEEEEZZNS1_33reduce_by_key_impl_wrapped_configILNS1_25lookback_scan_determinismE0ES3_S9_NS6_6detail15normal_iteratorINS6_10device_ptrIfEEEESG_SG_SG_PmS8_NS6_8equal_toIfEEEE10hipError_tPvRmT2_T3_mT4_T5_T6_T7_T8_P12ihipStream_tbENKUlT_T0_E_clISt17integral_constantIbLb1EES10_IbLb0EEEEDaSW_SX_EUlSW_E_NS1_11comp_targetILNS1_3genE2ELNS1_11target_archE906ELNS1_3gpuE6ELNS1_3repE0EEENS1_30default_config_static_selectorELNS0_4arch9wavefront6targetE0EEEvT1_
    .private_segment_fixed_size: 0
    .sgpr_count:     0
    .sgpr_spill_count: 0
    .symbol:         _ZN7rocprim17ROCPRIM_400000_NS6detail17trampoline_kernelINS0_14default_configENS1_29reduce_by_key_config_selectorIffN6thrust23THRUST_200600_302600_NS4plusIfEEEEZZNS1_33reduce_by_key_impl_wrapped_configILNS1_25lookback_scan_determinismE0ES3_S9_NS6_6detail15normal_iteratorINS6_10device_ptrIfEEEESG_SG_SG_PmS8_NS6_8equal_toIfEEEE10hipError_tPvRmT2_T3_mT4_T5_T6_T7_T8_P12ihipStream_tbENKUlT_T0_E_clISt17integral_constantIbLb1EES10_IbLb0EEEEDaSW_SX_EUlSW_E_NS1_11comp_targetILNS1_3genE2ELNS1_11target_archE906ELNS1_3gpuE6ELNS1_3repE0EEENS1_30default_config_static_selectorELNS0_4arch9wavefront6targetE0EEEvT1_.kd
    .uniform_work_group_size: 1
    .uses_dynamic_stack: false
    .vgpr_count:     0
    .vgpr_spill_count: 0
    .wavefront_size: 32
    .workgroup_processor_mode: 1
  - .args:
      - .offset:         0
        .size:           120
        .value_kind:     by_value
    .group_segment_fixed_size: 0
    .kernarg_segment_align: 8
    .kernarg_segment_size: 120
    .language:       OpenCL C
    .language_version:
      - 2
      - 0
    .max_flat_workgroup_size: 256
    .name:           _ZN7rocprim17ROCPRIM_400000_NS6detail17trampoline_kernelINS0_14default_configENS1_29reduce_by_key_config_selectorIffN6thrust23THRUST_200600_302600_NS4plusIfEEEEZZNS1_33reduce_by_key_impl_wrapped_configILNS1_25lookback_scan_determinismE0ES3_S9_NS6_6detail15normal_iteratorINS6_10device_ptrIfEEEESG_SG_SG_PmS8_NS6_8equal_toIfEEEE10hipError_tPvRmT2_T3_mT4_T5_T6_T7_T8_P12ihipStream_tbENKUlT_T0_E_clISt17integral_constantIbLb1EES10_IbLb0EEEEDaSW_SX_EUlSW_E_NS1_11comp_targetILNS1_3genE10ELNS1_11target_archE1201ELNS1_3gpuE5ELNS1_3repE0EEENS1_30default_config_static_selectorELNS0_4arch9wavefront6targetE0EEEvT1_
    .private_segment_fixed_size: 0
    .sgpr_count:     0
    .sgpr_spill_count: 0
    .symbol:         _ZN7rocprim17ROCPRIM_400000_NS6detail17trampoline_kernelINS0_14default_configENS1_29reduce_by_key_config_selectorIffN6thrust23THRUST_200600_302600_NS4plusIfEEEEZZNS1_33reduce_by_key_impl_wrapped_configILNS1_25lookback_scan_determinismE0ES3_S9_NS6_6detail15normal_iteratorINS6_10device_ptrIfEEEESG_SG_SG_PmS8_NS6_8equal_toIfEEEE10hipError_tPvRmT2_T3_mT4_T5_T6_T7_T8_P12ihipStream_tbENKUlT_T0_E_clISt17integral_constantIbLb1EES10_IbLb0EEEEDaSW_SX_EUlSW_E_NS1_11comp_targetILNS1_3genE10ELNS1_11target_archE1201ELNS1_3gpuE5ELNS1_3repE0EEENS1_30default_config_static_selectorELNS0_4arch9wavefront6targetE0EEEvT1_.kd
    .uniform_work_group_size: 1
    .uses_dynamic_stack: false
    .vgpr_count:     0
    .vgpr_spill_count: 0
    .wavefront_size: 32
    .workgroup_processor_mode: 1
  - .args:
      - .offset:         0
        .size:           120
        .value_kind:     by_value
    .group_segment_fixed_size: 0
    .kernarg_segment_align: 8
    .kernarg_segment_size: 120
    .language:       OpenCL C
    .language_version:
      - 2
      - 0
    .max_flat_workgroup_size: 256
    .name:           _ZN7rocprim17ROCPRIM_400000_NS6detail17trampoline_kernelINS0_14default_configENS1_29reduce_by_key_config_selectorIffN6thrust23THRUST_200600_302600_NS4plusIfEEEEZZNS1_33reduce_by_key_impl_wrapped_configILNS1_25lookback_scan_determinismE0ES3_S9_NS6_6detail15normal_iteratorINS6_10device_ptrIfEEEESG_SG_SG_PmS8_NS6_8equal_toIfEEEE10hipError_tPvRmT2_T3_mT4_T5_T6_T7_T8_P12ihipStream_tbENKUlT_T0_E_clISt17integral_constantIbLb1EES10_IbLb0EEEEDaSW_SX_EUlSW_E_NS1_11comp_targetILNS1_3genE10ELNS1_11target_archE1200ELNS1_3gpuE4ELNS1_3repE0EEENS1_30default_config_static_selectorELNS0_4arch9wavefront6targetE0EEEvT1_
    .private_segment_fixed_size: 0
    .sgpr_count:     0
    .sgpr_spill_count: 0
    .symbol:         _ZN7rocprim17ROCPRIM_400000_NS6detail17trampoline_kernelINS0_14default_configENS1_29reduce_by_key_config_selectorIffN6thrust23THRUST_200600_302600_NS4plusIfEEEEZZNS1_33reduce_by_key_impl_wrapped_configILNS1_25lookback_scan_determinismE0ES3_S9_NS6_6detail15normal_iteratorINS6_10device_ptrIfEEEESG_SG_SG_PmS8_NS6_8equal_toIfEEEE10hipError_tPvRmT2_T3_mT4_T5_T6_T7_T8_P12ihipStream_tbENKUlT_T0_E_clISt17integral_constantIbLb1EES10_IbLb0EEEEDaSW_SX_EUlSW_E_NS1_11comp_targetILNS1_3genE10ELNS1_11target_archE1200ELNS1_3gpuE4ELNS1_3repE0EEENS1_30default_config_static_selectorELNS0_4arch9wavefront6targetE0EEEvT1_.kd
    .uniform_work_group_size: 1
    .uses_dynamic_stack: false
    .vgpr_count:     0
    .vgpr_spill_count: 0
    .wavefront_size: 32
    .workgroup_processor_mode: 1
  - .args:
      - .offset:         0
        .size:           120
        .value_kind:     by_value
    .group_segment_fixed_size: 15360
    .kernarg_segment_align: 8
    .kernarg_segment_size: 120
    .language:       OpenCL C
    .language_version:
      - 2
      - 0
    .max_flat_workgroup_size: 256
    .name:           _ZN7rocprim17ROCPRIM_400000_NS6detail17trampoline_kernelINS0_14default_configENS1_29reduce_by_key_config_selectorIffN6thrust23THRUST_200600_302600_NS4plusIfEEEEZZNS1_33reduce_by_key_impl_wrapped_configILNS1_25lookback_scan_determinismE0ES3_S9_NS6_6detail15normal_iteratorINS6_10device_ptrIfEEEESG_SG_SG_PmS8_NS6_8equal_toIfEEEE10hipError_tPvRmT2_T3_mT4_T5_T6_T7_T8_P12ihipStream_tbENKUlT_T0_E_clISt17integral_constantIbLb1EES10_IbLb0EEEEDaSW_SX_EUlSW_E_NS1_11comp_targetILNS1_3genE9ELNS1_11target_archE1100ELNS1_3gpuE3ELNS1_3repE0EEENS1_30default_config_static_selectorELNS0_4arch9wavefront6targetE0EEEvT1_
    .private_segment_fixed_size: 0
    .sgpr_count:     50
    .sgpr_spill_count: 0
    .symbol:         _ZN7rocprim17ROCPRIM_400000_NS6detail17trampoline_kernelINS0_14default_configENS1_29reduce_by_key_config_selectorIffN6thrust23THRUST_200600_302600_NS4plusIfEEEEZZNS1_33reduce_by_key_impl_wrapped_configILNS1_25lookback_scan_determinismE0ES3_S9_NS6_6detail15normal_iteratorINS6_10device_ptrIfEEEESG_SG_SG_PmS8_NS6_8equal_toIfEEEE10hipError_tPvRmT2_T3_mT4_T5_T6_T7_T8_P12ihipStream_tbENKUlT_T0_E_clISt17integral_constantIbLb1EES10_IbLb0EEEEDaSW_SX_EUlSW_E_NS1_11comp_targetILNS1_3genE9ELNS1_11target_archE1100ELNS1_3gpuE3ELNS1_3repE0EEENS1_30default_config_static_selectorELNS0_4arch9wavefront6targetE0EEEvT1_.kd
    .uniform_work_group_size: 1
    .uses_dynamic_stack: false
    .vgpr_count:     85
    .vgpr_spill_count: 0
    .wavefront_size: 32
    .workgroup_processor_mode: 1
  - .args:
      - .offset:         0
        .size:           120
        .value_kind:     by_value
    .group_segment_fixed_size: 0
    .kernarg_segment_align: 8
    .kernarg_segment_size: 120
    .language:       OpenCL C
    .language_version:
      - 2
      - 0
    .max_flat_workgroup_size: 256
    .name:           _ZN7rocprim17ROCPRIM_400000_NS6detail17trampoline_kernelINS0_14default_configENS1_29reduce_by_key_config_selectorIffN6thrust23THRUST_200600_302600_NS4plusIfEEEEZZNS1_33reduce_by_key_impl_wrapped_configILNS1_25lookback_scan_determinismE0ES3_S9_NS6_6detail15normal_iteratorINS6_10device_ptrIfEEEESG_SG_SG_PmS8_NS6_8equal_toIfEEEE10hipError_tPvRmT2_T3_mT4_T5_T6_T7_T8_P12ihipStream_tbENKUlT_T0_E_clISt17integral_constantIbLb1EES10_IbLb0EEEEDaSW_SX_EUlSW_E_NS1_11comp_targetILNS1_3genE8ELNS1_11target_archE1030ELNS1_3gpuE2ELNS1_3repE0EEENS1_30default_config_static_selectorELNS0_4arch9wavefront6targetE0EEEvT1_
    .private_segment_fixed_size: 0
    .sgpr_count:     0
    .sgpr_spill_count: 0
    .symbol:         _ZN7rocprim17ROCPRIM_400000_NS6detail17trampoline_kernelINS0_14default_configENS1_29reduce_by_key_config_selectorIffN6thrust23THRUST_200600_302600_NS4plusIfEEEEZZNS1_33reduce_by_key_impl_wrapped_configILNS1_25lookback_scan_determinismE0ES3_S9_NS6_6detail15normal_iteratorINS6_10device_ptrIfEEEESG_SG_SG_PmS8_NS6_8equal_toIfEEEE10hipError_tPvRmT2_T3_mT4_T5_T6_T7_T8_P12ihipStream_tbENKUlT_T0_E_clISt17integral_constantIbLb1EES10_IbLb0EEEEDaSW_SX_EUlSW_E_NS1_11comp_targetILNS1_3genE8ELNS1_11target_archE1030ELNS1_3gpuE2ELNS1_3repE0EEENS1_30default_config_static_selectorELNS0_4arch9wavefront6targetE0EEEvT1_.kd
    .uniform_work_group_size: 1
    .uses_dynamic_stack: false
    .vgpr_count:     0
    .vgpr_spill_count: 0
    .wavefront_size: 32
    .workgroup_processor_mode: 1
  - .args:
      - .offset:         0
        .size:           120
        .value_kind:     by_value
    .group_segment_fixed_size: 0
    .kernarg_segment_align: 8
    .kernarg_segment_size: 120
    .language:       OpenCL C
    .language_version:
      - 2
      - 0
    .max_flat_workgroup_size: 256
    .name:           _ZN7rocprim17ROCPRIM_400000_NS6detail17trampoline_kernelINS0_14default_configENS1_29reduce_by_key_config_selectorIffN6thrust23THRUST_200600_302600_NS4plusIfEEEEZZNS1_33reduce_by_key_impl_wrapped_configILNS1_25lookback_scan_determinismE0ES3_S9_NS6_6detail15normal_iteratorINS6_10device_ptrIfEEEESG_SG_SG_PmS8_NS6_8equal_toIfEEEE10hipError_tPvRmT2_T3_mT4_T5_T6_T7_T8_P12ihipStream_tbENKUlT_T0_E_clISt17integral_constantIbLb0EES10_IbLb1EEEEDaSW_SX_EUlSW_E_NS1_11comp_targetILNS1_3genE0ELNS1_11target_archE4294967295ELNS1_3gpuE0ELNS1_3repE0EEENS1_30default_config_static_selectorELNS0_4arch9wavefront6targetE0EEEvT1_
    .private_segment_fixed_size: 0
    .sgpr_count:     0
    .sgpr_spill_count: 0
    .symbol:         _ZN7rocprim17ROCPRIM_400000_NS6detail17trampoline_kernelINS0_14default_configENS1_29reduce_by_key_config_selectorIffN6thrust23THRUST_200600_302600_NS4plusIfEEEEZZNS1_33reduce_by_key_impl_wrapped_configILNS1_25lookback_scan_determinismE0ES3_S9_NS6_6detail15normal_iteratorINS6_10device_ptrIfEEEESG_SG_SG_PmS8_NS6_8equal_toIfEEEE10hipError_tPvRmT2_T3_mT4_T5_T6_T7_T8_P12ihipStream_tbENKUlT_T0_E_clISt17integral_constantIbLb0EES10_IbLb1EEEEDaSW_SX_EUlSW_E_NS1_11comp_targetILNS1_3genE0ELNS1_11target_archE4294967295ELNS1_3gpuE0ELNS1_3repE0EEENS1_30default_config_static_selectorELNS0_4arch9wavefront6targetE0EEEvT1_.kd
    .uniform_work_group_size: 1
    .uses_dynamic_stack: false
    .vgpr_count:     0
    .vgpr_spill_count: 0
    .wavefront_size: 32
    .workgroup_processor_mode: 1
  - .args:
      - .offset:         0
        .size:           120
        .value_kind:     by_value
    .group_segment_fixed_size: 0
    .kernarg_segment_align: 8
    .kernarg_segment_size: 120
    .language:       OpenCL C
    .language_version:
      - 2
      - 0
    .max_flat_workgroup_size: 256
    .name:           _ZN7rocprim17ROCPRIM_400000_NS6detail17trampoline_kernelINS0_14default_configENS1_29reduce_by_key_config_selectorIffN6thrust23THRUST_200600_302600_NS4plusIfEEEEZZNS1_33reduce_by_key_impl_wrapped_configILNS1_25lookback_scan_determinismE0ES3_S9_NS6_6detail15normal_iteratorINS6_10device_ptrIfEEEESG_SG_SG_PmS8_NS6_8equal_toIfEEEE10hipError_tPvRmT2_T3_mT4_T5_T6_T7_T8_P12ihipStream_tbENKUlT_T0_E_clISt17integral_constantIbLb0EES10_IbLb1EEEEDaSW_SX_EUlSW_E_NS1_11comp_targetILNS1_3genE5ELNS1_11target_archE942ELNS1_3gpuE9ELNS1_3repE0EEENS1_30default_config_static_selectorELNS0_4arch9wavefront6targetE0EEEvT1_
    .private_segment_fixed_size: 0
    .sgpr_count:     0
    .sgpr_spill_count: 0
    .symbol:         _ZN7rocprim17ROCPRIM_400000_NS6detail17trampoline_kernelINS0_14default_configENS1_29reduce_by_key_config_selectorIffN6thrust23THRUST_200600_302600_NS4plusIfEEEEZZNS1_33reduce_by_key_impl_wrapped_configILNS1_25lookback_scan_determinismE0ES3_S9_NS6_6detail15normal_iteratorINS6_10device_ptrIfEEEESG_SG_SG_PmS8_NS6_8equal_toIfEEEE10hipError_tPvRmT2_T3_mT4_T5_T6_T7_T8_P12ihipStream_tbENKUlT_T0_E_clISt17integral_constantIbLb0EES10_IbLb1EEEEDaSW_SX_EUlSW_E_NS1_11comp_targetILNS1_3genE5ELNS1_11target_archE942ELNS1_3gpuE9ELNS1_3repE0EEENS1_30default_config_static_selectorELNS0_4arch9wavefront6targetE0EEEvT1_.kd
    .uniform_work_group_size: 1
    .uses_dynamic_stack: false
    .vgpr_count:     0
    .vgpr_spill_count: 0
    .wavefront_size: 32
    .workgroup_processor_mode: 1
  - .args:
      - .offset:         0
        .size:           120
        .value_kind:     by_value
    .group_segment_fixed_size: 0
    .kernarg_segment_align: 8
    .kernarg_segment_size: 120
    .language:       OpenCL C
    .language_version:
      - 2
      - 0
    .max_flat_workgroup_size: 256
    .name:           _ZN7rocprim17ROCPRIM_400000_NS6detail17trampoline_kernelINS0_14default_configENS1_29reduce_by_key_config_selectorIffN6thrust23THRUST_200600_302600_NS4plusIfEEEEZZNS1_33reduce_by_key_impl_wrapped_configILNS1_25lookback_scan_determinismE0ES3_S9_NS6_6detail15normal_iteratorINS6_10device_ptrIfEEEESG_SG_SG_PmS8_NS6_8equal_toIfEEEE10hipError_tPvRmT2_T3_mT4_T5_T6_T7_T8_P12ihipStream_tbENKUlT_T0_E_clISt17integral_constantIbLb0EES10_IbLb1EEEEDaSW_SX_EUlSW_E_NS1_11comp_targetILNS1_3genE4ELNS1_11target_archE910ELNS1_3gpuE8ELNS1_3repE0EEENS1_30default_config_static_selectorELNS0_4arch9wavefront6targetE0EEEvT1_
    .private_segment_fixed_size: 0
    .sgpr_count:     0
    .sgpr_spill_count: 0
    .symbol:         _ZN7rocprim17ROCPRIM_400000_NS6detail17trampoline_kernelINS0_14default_configENS1_29reduce_by_key_config_selectorIffN6thrust23THRUST_200600_302600_NS4plusIfEEEEZZNS1_33reduce_by_key_impl_wrapped_configILNS1_25lookback_scan_determinismE0ES3_S9_NS6_6detail15normal_iteratorINS6_10device_ptrIfEEEESG_SG_SG_PmS8_NS6_8equal_toIfEEEE10hipError_tPvRmT2_T3_mT4_T5_T6_T7_T8_P12ihipStream_tbENKUlT_T0_E_clISt17integral_constantIbLb0EES10_IbLb1EEEEDaSW_SX_EUlSW_E_NS1_11comp_targetILNS1_3genE4ELNS1_11target_archE910ELNS1_3gpuE8ELNS1_3repE0EEENS1_30default_config_static_selectorELNS0_4arch9wavefront6targetE0EEEvT1_.kd
    .uniform_work_group_size: 1
    .uses_dynamic_stack: false
    .vgpr_count:     0
    .vgpr_spill_count: 0
    .wavefront_size: 32
    .workgroup_processor_mode: 1
  - .args:
      - .offset:         0
        .size:           120
        .value_kind:     by_value
    .group_segment_fixed_size: 0
    .kernarg_segment_align: 8
    .kernarg_segment_size: 120
    .language:       OpenCL C
    .language_version:
      - 2
      - 0
    .max_flat_workgroup_size: 256
    .name:           _ZN7rocprim17ROCPRIM_400000_NS6detail17trampoline_kernelINS0_14default_configENS1_29reduce_by_key_config_selectorIffN6thrust23THRUST_200600_302600_NS4plusIfEEEEZZNS1_33reduce_by_key_impl_wrapped_configILNS1_25lookback_scan_determinismE0ES3_S9_NS6_6detail15normal_iteratorINS6_10device_ptrIfEEEESG_SG_SG_PmS8_NS6_8equal_toIfEEEE10hipError_tPvRmT2_T3_mT4_T5_T6_T7_T8_P12ihipStream_tbENKUlT_T0_E_clISt17integral_constantIbLb0EES10_IbLb1EEEEDaSW_SX_EUlSW_E_NS1_11comp_targetILNS1_3genE3ELNS1_11target_archE908ELNS1_3gpuE7ELNS1_3repE0EEENS1_30default_config_static_selectorELNS0_4arch9wavefront6targetE0EEEvT1_
    .private_segment_fixed_size: 0
    .sgpr_count:     0
    .sgpr_spill_count: 0
    .symbol:         _ZN7rocprim17ROCPRIM_400000_NS6detail17trampoline_kernelINS0_14default_configENS1_29reduce_by_key_config_selectorIffN6thrust23THRUST_200600_302600_NS4plusIfEEEEZZNS1_33reduce_by_key_impl_wrapped_configILNS1_25lookback_scan_determinismE0ES3_S9_NS6_6detail15normal_iteratorINS6_10device_ptrIfEEEESG_SG_SG_PmS8_NS6_8equal_toIfEEEE10hipError_tPvRmT2_T3_mT4_T5_T6_T7_T8_P12ihipStream_tbENKUlT_T0_E_clISt17integral_constantIbLb0EES10_IbLb1EEEEDaSW_SX_EUlSW_E_NS1_11comp_targetILNS1_3genE3ELNS1_11target_archE908ELNS1_3gpuE7ELNS1_3repE0EEENS1_30default_config_static_selectorELNS0_4arch9wavefront6targetE0EEEvT1_.kd
    .uniform_work_group_size: 1
    .uses_dynamic_stack: false
    .vgpr_count:     0
    .vgpr_spill_count: 0
    .wavefront_size: 32
    .workgroup_processor_mode: 1
  - .args:
      - .offset:         0
        .size:           120
        .value_kind:     by_value
    .group_segment_fixed_size: 0
    .kernarg_segment_align: 8
    .kernarg_segment_size: 120
    .language:       OpenCL C
    .language_version:
      - 2
      - 0
    .max_flat_workgroup_size: 256
    .name:           _ZN7rocprim17ROCPRIM_400000_NS6detail17trampoline_kernelINS0_14default_configENS1_29reduce_by_key_config_selectorIffN6thrust23THRUST_200600_302600_NS4plusIfEEEEZZNS1_33reduce_by_key_impl_wrapped_configILNS1_25lookback_scan_determinismE0ES3_S9_NS6_6detail15normal_iteratorINS6_10device_ptrIfEEEESG_SG_SG_PmS8_NS6_8equal_toIfEEEE10hipError_tPvRmT2_T3_mT4_T5_T6_T7_T8_P12ihipStream_tbENKUlT_T0_E_clISt17integral_constantIbLb0EES10_IbLb1EEEEDaSW_SX_EUlSW_E_NS1_11comp_targetILNS1_3genE2ELNS1_11target_archE906ELNS1_3gpuE6ELNS1_3repE0EEENS1_30default_config_static_selectorELNS0_4arch9wavefront6targetE0EEEvT1_
    .private_segment_fixed_size: 0
    .sgpr_count:     0
    .sgpr_spill_count: 0
    .symbol:         _ZN7rocprim17ROCPRIM_400000_NS6detail17trampoline_kernelINS0_14default_configENS1_29reduce_by_key_config_selectorIffN6thrust23THRUST_200600_302600_NS4plusIfEEEEZZNS1_33reduce_by_key_impl_wrapped_configILNS1_25lookback_scan_determinismE0ES3_S9_NS6_6detail15normal_iteratorINS6_10device_ptrIfEEEESG_SG_SG_PmS8_NS6_8equal_toIfEEEE10hipError_tPvRmT2_T3_mT4_T5_T6_T7_T8_P12ihipStream_tbENKUlT_T0_E_clISt17integral_constantIbLb0EES10_IbLb1EEEEDaSW_SX_EUlSW_E_NS1_11comp_targetILNS1_3genE2ELNS1_11target_archE906ELNS1_3gpuE6ELNS1_3repE0EEENS1_30default_config_static_selectorELNS0_4arch9wavefront6targetE0EEEvT1_.kd
    .uniform_work_group_size: 1
    .uses_dynamic_stack: false
    .vgpr_count:     0
    .vgpr_spill_count: 0
    .wavefront_size: 32
    .workgroup_processor_mode: 1
  - .args:
      - .offset:         0
        .size:           120
        .value_kind:     by_value
    .group_segment_fixed_size: 0
    .kernarg_segment_align: 8
    .kernarg_segment_size: 120
    .language:       OpenCL C
    .language_version:
      - 2
      - 0
    .max_flat_workgroup_size: 256
    .name:           _ZN7rocprim17ROCPRIM_400000_NS6detail17trampoline_kernelINS0_14default_configENS1_29reduce_by_key_config_selectorIffN6thrust23THRUST_200600_302600_NS4plusIfEEEEZZNS1_33reduce_by_key_impl_wrapped_configILNS1_25lookback_scan_determinismE0ES3_S9_NS6_6detail15normal_iteratorINS6_10device_ptrIfEEEESG_SG_SG_PmS8_NS6_8equal_toIfEEEE10hipError_tPvRmT2_T3_mT4_T5_T6_T7_T8_P12ihipStream_tbENKUlT_T0_E_clISt17integral_constantIbLb0EES10_IbLb1EEEEDaSW_SX_EUlSW_E_NS1_11comp_targetILNS1_3genE10ELNS1_11target_archE1201ELNS1_3gpuE5ELNS1_3repE0EEENS1_30default_config_static_selectorELNS0_4arch9wavefront6targetE0EEEvT1_
    .private_segment_fixed_size: 0
    .sgpr_count:     0
    .sgpr_spill_count: 0
    .symbol:         _ZN7rocprim17ROCPRIM_400000_NS6detail17trampoline_kernelINS0_14default_configENS1_29reduce_by_key_config_selectorIffN6thrust23THRUST_200600_302600_NS4plusIfEEEEZZNS1_33reduce_by_key_impl_wrapped_configILNS1_25lookback_scan_determinismE0ES3_S9_NS6_6detail15normal_iteratorINS6_10device_ptrIfEEEESG_SG_SG_PmS8_NS6_8equal_toIfEEEE10hipError_tPvRmT2_T3_mT4_T5_T6_T7_T8_P12ihipStream_tbENKUlT_T0_E_clISt17integral_constantIbLb0EES10_IbLb1EEEEDaSW_SX_EUlSW_E_NS1_11comp_targetILNS1_3genE10ELNS1_11target_archE1201ELNS1_3gpuE5ELNS1_3repE0EEENS1_30default_config_static_selectorELNS0_4arch9wavefront6targetE0EEEvT1_.kd
    .uniform_work_group_size: 1
    .uses_dynamic_stack: false
    .vgpr_count:     0
    .vgpr_spill_count: 0
    .wavefront_size: 32
    .workgroup_processor_mode: 1
  - .args:
      - .offset:         0
        .size:           120
        .value_kind:     by_value
    .group_segment_fixed_size: 0
    .kernarg_segment_align: 8
    .kernarg_segment_size: 120
    .language:       OpenCL C
    .language_version:
      - 2
      - 0
    .max_flat_workgroup_size: 256
    .name:           _ZN7rocprim17ROCPRIM_400000_NS6detail17trampoline_kernelINS0_14default_configENS1_29reduce_by_key_config_selectorIffN6thrust23THRUST_200600_302600_NS4plusIfEEEEZZNS1_33reduce_by_key_impl_wrapped_configILNS1_25lookback_scan_determinismE0ES3_S9_NS6_6detail15normal_iteratorINS6_10device_ptrIfEEEESG_SG_SG_PmS8_NS6_8equal_toIfEEEE10hipError_tPvRmT2_T3_mT4_T5_T6_T7_T8_P12ihipStream_tbENKUlT_T0_E_clISt17integral_constantIbLb0EES10_IbLb1EEEEDaSW_SX_EUlSW_E_NS1_11comp_targetILNS1_3genE10ELNS1_11target_archE1200ELNS1_3gpuE4ELNS1_3repE0EEENS1_30default_config_static_selectorELNS0_4arch9wavefront6targetE0EEEvT1_
    .private_segment_fixed_size: 0
    .sgpr_count:     0
    .sgpr_spill_count: 0
    .symbol:         _ZN7rocprim17ROCPRIM_400000_NS6detail17trampoline_kernelINS0_14default_configENS1_29reduce_by_key_config_selectorIffN6thrust23THRUST_200600_302600_NS4plusIfEEEEZZNS1_33reduce_by_key_impl_wrapped_configILNS1_25lookback_scan_determinismE0ES3_S9_NS6_6detail15normal_iteratorINS6_10device_ptrIfEEEESG_SG_SG_PmS8_NS6_8equal_toIfEEEE10hipError_tPvRmT2_T3_mT4_T5_T6_T7_T8_P12ihipStream_tbENKUlT_T0_E_clISt17integral_constantIbLb0EES10_IbLb1EEEEDaSW_SX_EUlSW_E_NS1_11comp_targetILNS1_3genE10ELNS1_11target_archE1200ELNS1_3gpuE4ELNS1_3repE0EEENS1_30default_config_static_selectorELNS0_4arch9wavefront6targetE0EEEvT1_.kd
    .uniform_work_group_size: 1
    .uses_dynamic_stack: false
    .vgpr_count:     0
    .vgpr_spill_count: 0
    .wavefront_size: 32
    .workgroup_processor_mode: 1
  - .args:
      - .offset:         0
        .size:           120
        .value_kind:     by_value
    .group_segment_fixed_size: 15360
    .kernarg_segment_align: 8
    .kernarg_segment_size: 120
    .language:       OpenCL C
    .language_version:
      - 2
      - 0
    .max_flat_workgroup_size: 256
    .name:           _ZN7rocprim17ROCPRIM_400000_NS6detail17trampoline_kernelINS0_14default_configENS1_29reduce_by_key_config_selectorIffN6thrust23THRUST_200600_302600_NS4plusIfEEEEZZNS1_33reduce_by_key_impl_wrapped_configILNS1_25lookback_scan_determinismE0ES3_S9_NS6_6detail15normal_iteratorINS6_10device_ptrIfEEEESG_SG_SG_PmS8_NS6_8equal_toIfEEEE10hipError_tPvRmT2_T3_mT4_T5_T6_T7_T8_P12ihipStream_tbENKUlT_T0_E_clISt17integral_constantIbLb0EES10_IbLb1EEEEDaSW_SX_EUlSW_E_NS1_11comp_targetILNS1_3genE9ELNS1_11target_archE1100ELNS1_3gpuE3ELNS1_3repE0EEENS1_30default_config_static_selectorELNS0_4arch9wavefront6targetE0EEEvT1_
    .private_segment_fixed_size: 0
    .sgpr_count:     46
    .sgpr_spill_count: 0
    .symbol:         _ZN7rocprim17ROCPRIM_400000_NS6detail17trampoline_kernelINS0_14default_configENS1_29reduce_by_key_config_selectorIffN6thrust23THRUST_200600_302600_NS4plusIfEEEEZZNS1_33reduce_by_key_impl_wrapped_configILNS1_25lookback_scan_determinismE0ES3_S9_NS6_6detail15normal_iteratorINS6_10device_ptrIfEEEESG_SG_SG_PmS8_NS6_8equal_toIfEEEE10hipError_tPvRmT2_T3_mT4_T5_T6_T7_T8_P12ihipStream_tbENKUlT_T0_E_clISt17integral_constantIbLb0EES10_IbLb1EEEEDaSW_SX_EUlSW_E_NS1_11comp_targetILNS1_3genE9ELNS1_11target_archE1100ELNS1_3gpuE3ELNS1_3repE0EEENS1_30default_config_static_selectorELNS0_4arch9wavefront6targetE0EEEvT1_.kd
    .uniform_work_group_size: 1
    .uses_dynamic_stack: false
    .vgpr_count:     85
    .vgpr_spill_count: 0
    .wavefront_size: 32
    .workgroup_processor_mode: 1
  - .args:
      - .offset:         0
        .size:           120
        .value_kind:     by_value
    .group_segment_fixed_size: 0
    .kernarg_segment_align: 8
    .kernarg_segment_size: 120
    .language:       OpenCL C
    .language_version:
      - 2
      - 0
    .max_flat_workgroup_size: 256
    .name:           _ZN7rocprim17ROCPRIM_400000_NS6detail17trampoline_kernelINS0_14default_configENS1_29reduce_by_key_config_selectorIffN6thrust23THRUST_200600_302600_NS4plusIfEEEEZZNS1_33reduce_by_key_impl_wrapped_configILNS1_25lookback_scan_determinismE0ES3_S9_NS6_6detail15normal_iteratorINS6_10device_ptrIfEEEESG_SG_SG_PmS8_NS6_8equal_toIfEEEE10hipError_tPvRmT2_T3_mT4_T5_T6_T7_T8_P12ihipStream_tbENKUlT_T0_E_clISt17integral_constantIbLb0EES10_IbLb1EEEEDaSW_SX_EUlSW_E_NS1_11comp_targetILNS1_3genE8ELNS1_11target_archE1030ELNS1_3gpuE2ELNS1_3repE0EEENS1_30default_config_static_selectorELNS0_4arch9wavefront6targetE0EEEvT1_
    .private_segment_fixed_size: 0
    .sgpr_count:     0
    .sgpr_spill_count: 0
    .symbol:         _ZN7rocprim17ROCPRIM_400000_NS6detail17trampoline_kernelINS0_14default_configENS1_29reduce_by_key_config_selectorIffN6thrust23THRUST_200600_302600_NS4plusIfEEEEZZNS1_33reduce_by_key_impl_wrapped_configILNS1_25lookback_scan_determinismE0ES3_S9_NS6_6detail15normal_iteratorINS6_10device_ptrIfEEEESG_SG_SG_PmS8_NS6_8equal_toIfEEEE10hipError_tPvRmT2_T3_mT4_T5_T6_T7_T8_P12ihipStream_tbENKUlT_T0_E_clISt17integral_constantIbLb0EES10_IbLb1EEEEDaSW_SX_EUlSW_E_NS1_11comp_targetILNS1_3genE8ELNS1_11target_archE1030ELNS1_3gpuE2ELNS1_3repE0EEENS1_30default_config_static_selectorELNS0_4arch9wavefront6targetE0EEEvT1_.kd
    .uniform_work_group_size: 1
    .uses_dynamic_stack: false
    .vgpr_count:     0
    .vgpr_spill_count: 0
    .wavefront_size: 32
    .workgroup_processor_mode: 1
  - .args:
      - .offset:         0
        .size:           120
        .value_kind:     by_value
    .group_segment_fixed_size: 0
    .kernarg_segment_align: 8
    .kernarg_segment_size: 120
    .language:       OpenCL C
    .language_version:
      - 2
      - 0
    .max_flat_workgroup_size: 256
    .name:           _ZN7rocprim17ROCPRIM_400000_NS6detail17trampoline_kernelINS0_14default_configENS1_29reduce_by_key_config_selectorIffN6thrust23THRUST_200600_302600_NS4plusIfEEEEZZNS1_33reduce_by_key_impl_wrapped_configILNS1_25lookback_scan_determinismE0ES3_S9_NS6_6detail15normal_iteratorINS6_10device_ptrIfEEEESG_SG_SG_PmS8_22is_equal_div_10_reduceIfEEE10hipError_tPvRmT2_T3_mT4_T5_T6_T7_T8_P12ihipStream_tbENKUlT_T0_E_clISt17integral_constantIbLb0EES11_EEDaSW_SX_EUlSW_E_NS1_11comp_targetILNS1_3genE0ELNS1_11target_archE4294967295ELNS1_3gpuE0ELNS1_3repE0EEENS1_30default_config_static_selectorELNS0_4arch9wavefront6targetE0EEEvT1_
    .private_segment_fixed_size: 0
    .sgpr_count:     0
    .sgpr_spill_count: 0
    .symbol:         _ZN7rocprim17ROCPRIM_400000_NS6detail17trampoline_kernelINS0_14default_configENS1_29reduce_by_key_config_selectorIffN6thrust23THRUST_200600_302600_NS4plusIfEEEEZZNS1_33reduce_by_key_impl_wrapped_configILNS1_25lookback_scan_determinismE0ES3_S9_NS6_6detail15normal_iteratorINS6_10device_ptrIfEEEESG_SG_SG_PmS8_22is_equal_div_10_reduceIfEEE10hipError_tPvRmT2_T3_mT4_T5_T6_T7_T8_P12ihipStream_tbENKUlT_T0_E_clISt17integral_constantIbLb0EES11_EEDaSW_SX_EUlSW_E_NS1_11comp_targetILNS1_3genE0ELNS1_11target_archE4294967295ELNS1_3gpuE0ELNS1_3repE0EEENS1_30default_config_static_selectorELNS0_4arch9wavefront6targetE0EEEvT1_.kd
    .uniform_work_group_size: 1
    .uses_dynamic_stack: false
    .vgpr_count:     0
    .vgpr_spill_count: 0
    .wavefront_size: 32
    .workgroup_processor_mode: 1
  - .args:
      - .offset:         0
        .size:           120
        .value_kind:     by_value
    .group_segment_fixed_size: 0
    .kernarg_segment_align: 8
    .kernarg_segment_size: 120
    .language:       OpenCL C
    .language_version:
      - 2
      - 0
    .max_flat_workgroup_size: 256
    .name:           _ZN7rocprim17ROCPRIM_400000_NS6detail17trampoline_kernelINS0_14default_configENS1_29reduce_by_key_config_selectorIffN6thrust23THRUST_200600_302600_NS4plusIfEEEEZZNS1_33reduce_by_key_impl_wrapped_configILNS1_25lookback_scan_determinismE0ES3_S9_NS6_6detail15normal_iteratorINS6_10device_ptrIfEEEESG_SG_SG_PmS8_22is_equal_div_10_reduceIfEEE10hipError_tPvRmT2_T3_mT4_T5_T6_T7_T8_P12ihipStream_tbENKUlT_T0_E_clISt17integral_constantIbLb0EES11_EEDaSW_SX_EUlSW_E_NS1_11comp_targetILNS1_3genE5ELNS1_11target_archE942ELNS1_3gpuE9ELNS1_3repE0EEENS1_30default_config_static_selectorELNS0_4arch9wavefront6targetE0EEEvT1_
    .private_segment_fixed_size: 0
    .sgpr_count:     0
    .sgpr_spill_count: 0
    .symbol:         _ZN7rocprim17ROCPRIM_400000_NS6detail17trampoline_kernelINS0_14default_configENS1_29reduce_by_key_config_selectorIffN6thrust23THRUST_200600_302600_NS4plusIfEEEEZZNS1_33reduce_by_key_impl_wrapped_configILNS1_25lookback_scan_determinismE0ES3_S9_NS6_6detail15normal_iteratorINS6_10device_ptrIfEEEESG_SG_SG_PmS8_22is_equal_div_10_reduceIfEEE10hipError_tPvRmT2_T3_mT4_T5_T6_T7_T8_P12ihipStream_tbENKUlT_T0_E_clISt17integral_constantIbLb0EES11_EEDaSW_SX_EUlSW_E_NS1_11comp_targetILNS1_3genE5ELNS1_11target_archE942ELNS1_3gpuE9ELNS1_3repE0EEENS1_30default_config_static_selectorELNS0_4arch9wavefront6targetE0EEEvT1_.kd
    .uniform_work_group_size: 1
    .uses_dynamic_stack: false
    .vgpr_count:     0
    .vgpr_spill_count: 0
    .wavefront_size: 32
    .workgroup_processor_mode: 1
  - .args:
      - .offset:         0
        .size:           120
        .value_kind:     by_value
    .group_segment_fixed_size: 0
    .kernarg_segment_align: 8
    .kernarg_segment_size: 120
    .language:       OpenCL C
    .language_version:
      - 2
      - 0
    .max_flat_workgroup_size: 256
    .name:           _ZN7rocprim17ROCPRIM_400000_NS6detail17trampoline_kernelINS0_14default_configENS1_29reduce_by_key_config_selectorIffN6thrust23THRUST_200600_302600_NS4plusIfEEEEZZNS1_33reduce_by_key_impl_wrapped_configILNS1_25lookback_scan_determinismE0ES3_S9_NS6_6detail15normal_iteratorINS6_10device_ptrIfEEEESG_SG_SG_PmS8_22is_equal_div_10_reduceIfEEE10hipError_tPvRmT2_T3_mT4_T5_T6_T7_T8_P12ihipStream_tbENKUlT_T0_E_clISt17integral_constantIbLb0EES11_EEDaSW_SX_EUlSW_E_NS1_11comp_targetILNS1_3genE4ELNS1_11target_archE910ELNS1_3gpuE8ELNS1_3repE0EEENS1_30default_config_static_selectorELNS0_4arch9wavefront6targetE0EEEvT1_
    .private_segment_fixed_size: 0
    .sgpr_count:     0
    .sgpr_spill_count: 0
    .symbol:         _ZN7rocprim17ROCPRIM_400000_NS6detail17trampoline_kernelINS0_14default_configENS1_29reduce_by_key_config_selectorIffN6thrust23THRUST_200600_302600_NS4plusIfEEEEZZNS1_33reduce_by_key_impl_wrapped_configILNS1_25lookback_scan_determinismE0ES3_S9_NS6_6detail15normal_iteratorINS6_10device_ptrIfEEEESG_SG_SG_PmS8_22is_equal_div_10_reduceIfEEE10hipError_tPvRmT2_T3_mT4_T5_T6_T7_T8_P12ihipStream_tbENKUlT_T0_E_clISt17integral_constantIbLb0EES11_EEDaSW_SX_EUlSW_E_NS1_11comp_targetILNS1_3genE4ELNS1_11target_archE910ELNS1_3gpuE8ELNS1_3repE0EEENS1_30default_config_static_selectorELNS0_4arch9wavefront6targetE0EEEvT1_.kd
    .uniform_work_group_size: 1
    .uses_dynamic_stack: false
    .vgpr_count:     0
    .vgpr_spill_count: 0
    .wavefront_size: 32
    .workgroup_processor_mode: 1
  - .args:
      - .offset:         0
        .size:           120
        .value_kind:     by_value
    .group_segment_fixed_size: 0
    .kernarg_segment_align: 8
    .kernarg_segment_size: 120
    .language:       OpenCL C
    .language_version:
      - 2
      - 0
    .max_flat_workgroup_size: 256
    .name:           _ZN7rocprim17ROCPRIM_400000_NS6detail17trampoline_kernelINS0_14default_configENS1_29reduce_by_key_config_selectorIffN6thrust23THRUST_200600_302600_NS4plusIfEEEEZZNS1_33reduce_by_key_impl_wrapped_configILNS1_25lookback_scan_determinismE0ES3_S9_NS6_6detail15normal_iteratorINS6_10device_ptrIfEEEESG_SG_SG_PmS8_22is_equal_div_10_reduceIfEEE10hipError_tPvRmT2_T3_mT4_T5_T6_T7_T8_P12ihipStream_tbENKUlT_T0_E_clISt17integral_constantIbLb0EES11_EEDaSW_SX_EUlSW_E_NS1_11comp_targetILNS1_3genE3ELNS1_11target_archE908ELNS1_3gpuE7ELNS1_3repE0EEENS1_30default_config_static_selectorELNS0_4arch9wavefront6targetE0EEEvT1_
    .private_segment_fixed_size: 0
    .sgpr_count:     0
    .sgpr_spill_count: 0
    .symbol:         _ZN7rocprim17ROCPRIM_400000_NS6detail17trampoline_kernelINS0_14default_configENS1_29reduce_by_key_config_selectorIffN6thrust23THRUST_200600_302600_NS4plusIfEEEEZZNS1_33reduce_by_key_impl_wrapped_configILNS1_25lookback_scan_determinismE0ES3_S9_NS6_6detail15normal_iteratorINS6_10device_ptrIfEEEESG_SG_SG_PmS8_22is_equal_div_10_reduceIfEEE10hipError_tPvRmT2_T3_mT4_T5_T6_T7_T8_P12ihipStream_tbENKUlT_T0_E_clISt17integral_constantIbLb0EES11_EEDaSW_SX_EUlSW_E_NS1_11comp_targetILNS1_3genE3ELNS1_11target_archE908ELNS1_3gpuE7ELNS1_3repE0EEENS1_30default_config_static_selectorELNS0_4arch9wavefront6targetE0EEEvT1_.kd
    .uniform_work_group_size: 1
    .uses_dynamic_stack: false
    .vgpr_count:     0
    .vgpr_spill_count: 0
    .wavefront_size: 32
    .workgroup_processor_mode: 1
  - .args:
      - .offset:         0
        .size:           120
        .value_kind:     by_value
    .group_segment_fixed_size: 0
    .kernarg_segment_align: 8
    .kernarg_segment_size: 120
    .language:       OpenCL C
    .language_version:
      - 2
      - 0
    .max_flat_workgroup_size: 256
    .name:           _ZN7rocprim17ROCPRIM_400000_NS6detail17trampoline_kernelINS0_14default_configENS1_29reduce_by_key_config_selectorIffN6thrust23THRUST_200600_302600_NS4plusIfEEEEZZNS1_33reduce_by_key_impl_wrapped_configILNS1_25lookback_scan_determinismE0ES3_S9_NS6_6detail15normal_iteratorINS6_10device_ptrIfEEEESG_SG_SG_PmS8_22is_equal_div_10_reduceIfEEE10hipError_tPvRmT2_T3_mT4_T5_T6_T7_T8_P12ihipStream_tbENKUlT_T0_E_clISt17integral_constantIbLb0EES11_EEDaSW_SX_EUlSW_E_NS1_11comp_targetILNS1_3genE2ELNS1_11target_archE906ELNS1_3gpuE6ELNS1_3repE0EEENS1_30default_config_static_selectorELNS0_4arch9wavefront6targetE0EEEvT1_
    .private_segment_fixed_size: 0
    .sgpr_count:     0
    .sgpr_spill_count: 0
    .symbol:         _ZN7rocprim17ROCPRIM_400000_NS6detail17trampoline_kernelINS0_14default_configENS1_29reduce_by_key_config_selectorIffN6thrust23THRUST_200600_302600_NS4plusIfEEEEZZNS1_33reduce_by_key_impl_wrapped_configILNS1_25lookback_scan_determinismE0ES3_S9_NS6_6detail15normal_iteratorINS6_10device_ptrIfEEEESG_SG_SG_PmS8_22is_equal_div_10_reduceIfEEE10hipError_tPvRmT2_T3_mT4_T5_T6_T7_T8_P12ihipStream_tbENKUlT_T0_E_clISt17integral_constantIbLb0EES11_EEDaSW_SX_EUlSW_E_NS1_11comp_targetILNS1_3genE2ELNS1_11target_archE906ELNS1_3gpuE6ELNS1_3repE0EEENS1_30default_config_static_selectorELNS0_4arch9wavefront6targetE0EEEvT1_.kd
    .uniform_work_group_size: 1
    .uses_dynamic_stack: false
    .vgpr_count:     0
    .vgpr_spill_count: 0
    .wavefront_size: 32
    .workgroup_processor_mode: 1
  - .args:
      - .offset:         0
        .size:           120
        .value_kind:     by_value
    .group_segment_fixed_size: 0
    .kernarg_segment_align: 8
    .kernarg_segment_size: 120
    .language:       OpenCL C
    .language_version:
      - 2
      - 0
    .max_flat_workgroup_size: 256
    .name:           _ZN7rocprim17ROCPRIM_400000_NS6detail17trampoline_kernelINS0_14default_configENS1_29reduce_by_key_config_selectorIffN6thrust23THRUST_200600_302600_NS4plusIfEEEEZZNS1_33reduce_by_key_impl_wrapped_configILNS1_25lookback_scan_determinismE0ES3_S9_NS6_6detail15normal_iteratorINS6_10device_ptrIfEEEESG_SG_SG_PmS8_22is_equal_div_10_reduceIfEEE10hipError_tPvRmT2_T3_mT4_T5_T6_T7_T8_P12ihipStream_tbENKUlT_T0_E_clISt17integral_constantIbLb0EES11_EEDaSW_SX_EUlSW_E_NS1_11comp_targetILNS1_3genE10ELNS1_11target_archE1201ELNS1_3gpuE5ELNS1_3repE0EEENS1_30default_config_static_selectorELNS0_4arch9wavefront6targetE0EEEvT1_
    .private_segment_fixed_size: 0
    .sgpr_count:     0
    .sgpr_spill_count: 0
    .symbol:         _ZN7rocprim17ROCPRIM_400000_NS6detail17trampoline_kernelINS0_14default_configENS1_29reduce_by_key_config_selectorIffN6thrust23THRUST_200600_302600_NS4plusIfEEEEZZNS1_33reduce_by_key_impl_wrapped_configILNS1_25lookback_scan_determinismE0ES3_S9_NS6_6detail15normal_iteratorINS6_10device_ptrIfEEEESG_SG_SG_PmS8_22is_equal_div_10_reduceIfEEE10hipError_tPvRmT2_T3_mT4_T5_T6_T7_T8_P12ihipStream_tbENKUlT_T0_E_clISt17integral_constantIbLb0EES11_EEDaSW_SX_EUlSW_E_NS1_11comp_targetILNS1_3genE10ELNS1_11target_archE1201ELNS1_3gpuE5ELNS1_3repE0EEENS1_30default_config_static_selectorELNS0_4arch9wavefront6targetE0EEEvT1_.kd
    .uniform_work_group_size: 1
    .uses_dynamic_stack: false
    .vgpr_count:     0
    .vgpr_spill_count: 0
    .wavefront_size: 32
    .workgroup_processor_mode: 1
  - .args:
      - .offset:         0
        .size:           120
        .value_kind:     by_value
    .group_segment_fixed_size: 0
    .kernarg_segment_align: 8
    .kernarg_segment_size: 120
    .language:       OpenCL C
    .language_version:
      - 2
      - 0
    .max_flat_workgroup_size: 256
    .name:           _ZN7rocprim17ROCPRIM_400000_NS6detail17trampoline_kernelINS0_14default_configENS1_29reduce_by_key_config_selectorIffN6thrust23THRUST_200600_302600_NS4plusIfEEEEZZNS1_33reduce_by_key_impl_wrapped_configILNS1_25lookback_scan_determinismE0ES3_S9_NS6_6detail15normal_iteratorINS6_10device_ptrIfEEEESG_SG_SG_PmS8_22is_equal_div_10_reduceIfEEE10hipError_tPvRmT2_T3_mT4_T5_T6_T7_T8_P12ihipStream_tbENKUlT_T0_E_clISt17integral_constantIbLb0EES11_EEDaSW_SX_EUlSW_E_NS1_11comp_targetILNS1_3genE10ELNS1_11target_archE1200ELNS1_3gpuE4ELNS1_3repE0EEENS1_30default_config_static_selectorELNS0_4arch9wavefront6targetE0EEEvT1_
    .private_segment_fixed_size: 0
    .sgpr_count:     0
    .sgpr_spill_count: 0
    .symbol:         _ZN7rocprim17ROCPRIM_400000_NS6detail17trampoline_kernelINS0_14default_configENS1_29reduce_by_key_config_selectorIffN6thrust23THRUST_200600_302600_NS4plusIfEEEEZZNS1_33reduce_by_key_impl_wrapped_configILNS1_25lookback_scan_determinismE0ES3_S9_NS6_6detail15normal_iteratorINS6_10device_ptrIfEEEESG_SG_SG_PmS8_22is_equal_div_10_reduceIfEEE10hipError_tPvRmT2_T3_mT4_T5_T6_T7_T8_P12ihipStream_tbENKUlT_T0_E_clISt17integral_constantIbLb0EES11_EEDaSW_SX_EUlSW_E_NS1_11comp_targetILNS1_3genE10ELNS1_11target_archE1200ELNS1_3gpuE4ELNS1_3repE0EEENS1_30default_config_static_selectorELNS0_4arch9wavefront6targetE0EEEvT1_.kd
    .uniform_work_group_size: 1
    .uses_dynamic_stack: false
    .vgpr_count:     0
    .vgpr_spill_count: 0
    .wavefront_size: 32
    .workgroup_processor_mode: 1
  - .args:
      - .offset:         0
        .size:           120
        .value_kind:     by_value
    .group_segment_fixed_size: 15360
    .kernarg_segment_align: 8
    .kernarg_segment_size: 120
    .language:       OpenCL C
    .language_version:
      - 2
      - 0
    .max_flat_workgroup_size: 256
    .name:           _ZN7rocprim17ROCPRIM_400000_NS6detail17trampoline_kernelINS0_14default_configENS1_29reduce_by_key_config_selectorIffN6thrust23THRUST_200600_302600_NS4plusIfEEEEZZNS1_33reduce_by_key_impl_wrapped_configILNS1_25lookback_scan_determinismE0ES3_S9_NS6_6detail15normal_iteratorINS6_10device_ptrIfEEEESG_SG_SG_PmS8_22is_equal_div_10_reduceIfEEE10hipError_tPvRmT2_T3_mT4_T5_T6_T7_T8_P12ihipStream_tbENKUlT_T0_E_clISt17integral_constantIbLb0EES11_EEDaSW_SX_EUlSW_E_NS1_11comp_targetILNS1_3genE9ELNS1_11target_archE1100ELNS1_3gpuE3ELNS1_3repE0EEENS1_30default_config_static_selectorELNS0_4arch9wavefront6targetE0EEEvT1_
    .private_segment_fixed_size: 0
    .sgpr_count:     46
    .sgpr_spill_count: 0
    .symbol:         _ZN7rocprim17ROCPRIM_400000_NS6detail17trampoline_kernelINS0_14default_configENS1_29reduce_by_key_config_selectorIffN6thrust23THRUST_200600_302600_NS4plusIfEEEEZZNS1_33reduce_by_key_impl_wrapped_configILNS1_25lookback_scan_determinismE0ES3_S9_NS6_6detail15normal_iteratorINS6_10device_ptrIfEEEESG_SG_SG_PmS8_22is_equal_div_10_reduceIfEEE10hipError_tPvRmT2_T3_mT4_T5_T6_T7_T8_P12ihipStream_tbENKUlT_T0_E_clISt17integral_constantIbLb0EES11_EEDaSW_SX_EUlSW_E_NS1_11comp_targetILNS1_3genE9ELNS1_11target_archE1100ELNS1_3gpuE3ELNS1_3repE0EEENS1_30default_config_static_selectorELNS0_4arch9wavefront6targetE0EEEvT1_.kd
    .uniform_work_group_size: 1
    .uses_dynamic_stack: false
    .vgpr_count:     85
    .vgpr_spill_count: 0
    .wavefront_size: 32
    .workgroup_processor_mode: 1
  - .args:
      - .offset:         0
        .size:           120
        .value_kind:     by_value
    .group_segment_fixed_size: 0
    .kernarg_segment_align: 8
    .kernarg_segment_size: 120
    .language:       OpenCL C
    .language_version:
      - 2
      - 0
    .max_flat_workgroup_size: 256
    .name:           _ZN7rocprim17ROCPRIM_400000_NS6detail17trampoline_kernelINS0_14default_configENS1_29reduce_by_key_config_selectorIffN6thrust23THRUST_200600_302600_NS4plusIfEEEEZZNS1_33reduce_by_key_impl_wrapped_configILNS1_25lookback_scan_determinismE0ES3_S9_NS6_6detail15normal_iteratorINS6_10device_ptrIfEEEESG_SG_SG_PmS8_22is_equal_div_10_reduceIfEEE10hipError_tPvRmT2_T3_mT4_T5_T6_T7_T8_P12ihipStream_tbENKUlT_T0_E_clISt17integral_constantIbLb0EES11_EEDaSW_SX_EUlSW_E_NS1_11comp_targetILNS1_3genE8ELNS1_11target_archE1030ELNS1_3gpuE2ELNS1_3repE0EEENS1_30default_config_static_selectorELNS0_4arch9wavefront6targetE0EEEvT1_
    .private_segment_fixed_size: 0
    .sgpr_count:     0
    .sgpr_spill_count: 0
    .symbol:         _ZN7rocprim17ROCPRIM_400000_NS6detail17trampoline_kernelINS0_14default_configENS1_29reduce_by_key_config_selectorIffN6thrust23THRUST_200600_302600_NS4plusIfEEEEZZNS1_33reduce_by_key_impl_wrapped_configILNS1_25lookback_scan_determinismE0ES3_S9_NS6_6detail15normal_iteratorINS6_10device_ptrIfEEEESG_SG_SG_PmS8_22is_equal_div_10_reduceIfEEE10hipError_tPvRmT2_T3_mT4_T5_T6_T7_T8_P12ihipStream_tbENKUlT_T0_E_clISt17integral_constantIbLb0EES11_EEDaSW_SX_EUlSW_E_NS1_11comp_targetILNS1_3genE8ELNS1_11target_archE1030ELNS1_3gpuE2ELNS1_3repE0EEENS1_30default_config_static_selectorELNS0_4arch9wavefront6targetE0EEEvT1_.kd
    .uniform_work_group_size: 1
    .uses_dynamic_stack: false
    .vgpr_count:     0
    .vgpr_spill_count: 0
    .wavefront_size: 32
    .workgroup_processor_mode: 1
  - .args:
      - .offset:         0
        .size:           120
        .value_kind:     by_value
    .group_segment_fixed_size: 0
    .kernarg_segment_align: 8
    .kernarg_segment_size: 120
    .language:       OpenCL C
    .language_version:
      - 2
      - 0
    .max_flat_workgroup_size: 256
    .name:           _ZN7rocprim17ROCPRIM_400000_NS6detail17trampoline_kernelINS0_14default_configENS1_29reduce_by_key_config_selectorIffN6thrust23THRUST_200600_302600_NS4plusIfEEEEZZNS1_33reduce_by_key_impl_wrapped_configILNS1_25lookback_scan_determinismE0ES3_S9_NS6_6detail15normal_iteratorINS6_10device_ptrIfEEEESG_SG_SG_PmS8_22is_equal_div_10_reduceIfEEE10hipError_tPvRmT2_T3_mT4_T5_T6_T7_T8_P12ihipStream_tbENKUlT_T0_E_clISt17integral_constantIbLb1EES11_EEDaSW_SX_EUlSW_E_NS1_11comp_targetILNS1_3genE0ELNS1_11target_archE4294967295ELNS1_3gpuE0ELNS1_3repE0EEENS1_30default_config_static_selectorELNS0_4arch9wavefront6targetE0EEEvT1_
    .private_segment_fixed_size: 0
    .sgpr_count:     0
    .sgpr_spill_count: 0
    .symbol:         _ZN7rocprim17ROCPRIM_400000_NS6detail17trampoline_kernelINS0_14default_configENS1_29reduce_by_key_config_selectorIffN6thrust23THRUST_200600_302600_NS4plusIfEEEEZZNS1_33reduce_by_key_impl_wrapped_configILNS1_25lookback_scan_determinismE0ES3_S9_NS6_6detail15normal_iteratorINS6_10device_ptrIfEEEESG_SG_SG_PmS8_22is_equal_div_10_reduceIfEEE10hipError_tPvRmT2_T3_mT4_T5_T6_T7_T8_P12ihipStream_tbENKUlT_T0_E_clISt17integral_constantIbLb1EES11_EEDaSW_SX_EUlSW_E_NS1_11comp_targetILNS1_3genE0ELNS1_11target_archE4294967295ELNS1_3gpuE0ELNS1_3repE0EEENS1_30default_config_static_selectorELNS0_4arch9wavefront6targetE0EEEvT1_.kd
    .uniform_work_group_size: 1
    .uses_dynamic_stack: false
    .vgpr_count:     0
    .vgpr_spill_count: 0
    .wavefront_size: 32
    .workgroup_processor_mode: 1
  - .args:
      - .offset:         0
        .size:           120
        .value_kind:     by_value
    .group_segment_fixed_size: 0
    .kernarg_segment_align: 8
    .kernarg_segment_size: 120
    .language:       OpenCL C
    .language_version:
      - 2
      - 0
    .max_flat_workgroup_size: 256
    .name:           _ZN7rocprim17ROCPRIM_400000_NS6detail17trampoline_kernelINS0_14default_configENS1_29reduce_by_key_config_selectorIffN6thrust23THRUST_200600_302600_NS4plusIfEEEEZZNS1_33reduce_by_key_impl_wrapped_configILNS1_25lookback_scan_determinismE0ES3_S9_NS6_6detail15normal_iteratorINS6_10device_ptrIfEEEESG_SG_SG_PmS8_22is_equal_div_10_reduceIfEEE10hipError_tPvRmT2_T3_mT4_T5_T6_T7_T8_P12ihipStream_tbENKUlT_T0_E_clISt17integral_constantIbLb1EES11_EEDaSW_SX_EUlSW_E_NS1_11comp_targetILNS1_3genE5ELNS1_11target_archE942ELNS1_3gpuE9ELNS1_3repE0EEENS1_30default_config_static_selectorELNS0_4arch9wavefront6targetE0EEEvT1_
    .private_segment_fixed_size: 0
    .sgpr_count:     0
    .sgpr_spill_count: 0
    .symbol:         _ZN7rocprim17ROCPRIM_400000_NS6detail17trampoline_kernelINS0_14default_configENS1_29reduce_by_key_config_selectorIffN6thrust23THRUST_200600_302600_NS4plusIfEEEEZZNS1_33reduce_by_key_impl_wrapped_configILNS1_25lookback_scan_determinismE0ES3_S9_NS6_6detail15normal_iteratorINS6_10device_ptrIfEEEESG_SG_SG_PmS8_22is_equal_div_10_reduceIfEEE10hipError_tPvRmT2_T3_mT4_T5_T6_T7_T8_P12ihipStream_tbENKUlT_T0_E_clISt17integral_constantIbLb1EES11_EEDaSW_SX_EUlSW_E_NS1_11comp_targetILNS1_3genE5ELNS1_11target_archE942ELNS1_3gpuE9ELNS1_3repE0EEENS1_30default_config_static_selectorELNS0_4arch9wavefront6targetE0EEEvT1_.kd
    .uniform_work_group_size: 1
    .uses_dynamic_stack: false
    .vgpr_count:     0
    .vgpr_spill_count: 0
    .wavefront_size: 32
    .workgroup_processor_mode: 1
  - .args:
      - .offset:         0
        .size:           120
        .value_kind:     by_value
    .group_segment_fixed_size: 0
    .kernarg_segment_align: 8
    .kernarg_segment_size: 120
    .language:       OpenCL C
    .language_version:
      - 2
      - 0
    .max_flat_workgroup_size: 256
    .name:           _ZN7rocprim17ROCPRIM_400000_NS6detail17trampoline_kernelINS0_14default_configENS1_29reduce_by_key_config_selectorIffN6thrust23THRUST_200600_302600_NS4plusIfEEEEZZNS1_33reduce_by_key_impl_wrapped_configILNS1_25lookback_scan_determinismE0ES3_S9_NS6_6detail15normal_iteratorINS6_10device_ptrIfEEEESG_SG_SG_PmS8_22is_equal_div_10_reduceIfEEE10hipError_tPvRmT2_T3_mT4_T5_T6_T7_T8_P12ihipStream_tbENKUlT_T0_E_clISt17integral_constantIbLb1EES11_EEDaSW_SX_EUlSW_E_NS1_11comp_targetILNS1_3genE4ELNS1_11target_archE910ELNS1_3gpuE8ELNS1_3repE0EEENS1_30default_config_static_selectorELNS0_4arch9wavefront6targetE0EEEvT1_
    .private_segment_fixed_size: 0
    .sgpr_count:     0
    .sgpr_spill_count: 0
    .symbol:         _ZN7rocprim17ROCPRIM_400000_NS6detail17trampoline_kernelINS0_14default_configENS1_29reduce_by_key_config_selectorIffN6thrust23THRUST_200600_302600_NS4plusIfEEEEZZNS1_33reduce_by_key_impl_wrapped_configILNS1_25lookback_scan_determinismE0ES3_S9_NS6_6detail15normal_iteratorINS6_10device_ptrIfEEEESG_SG_SG_PmS8_22is_equal_div_10_reduceIfEEE10hipError_tPvRmT2_T3_mT4_T5_T6_T7_T8_P12ihipStream_tbENKUlT_T0_E_clISt17integral_constantIbLb1EES11_EEDaSW_SX_EUlSW_E_NS1_11comp_targetILNS1_3genE4ELNS1_11target_archE910ELNS1_3gpuE8ELNS1_3repE0EEENS1_30default_config_static_selectorELNS0_4arch9wavefront6targetE0EEEvT1_.kd
    .uniform_work_group_size: 1
    .uses_dynamic_stack: false
    .vgpr_count:     0
    .vgpr_spill_count: 0
    .wavefront_size: 32
    .workgroup_processor_mode: 1
  - .args:
      - .offset:         0
        .size:           120
        .value_kind:     by_value
    .group_segment_fixed_size: 0
    .kernarg_segment_align: 8
    .kernarg_segment_size: 120
    .language:       OpenCL C
    .language_version:
      - 2
      - 0
    .max_flat_workgroup_size: 256
    .name:           _ZN7rocprim17ROCPRIM_400000_NS6detail17trampoline_kernelINS0_14default_configENS1_29reduce_by_key_config_selectorIffN6thrust23THRUST_200600_302600_NS4plusIfEEEEZZNS1_33reduce_by_key_impl_wrapped_configILNS1_25lookback_scan_determinismE0ES3_S9_NS6_6detail15normal_iteratorINS6_10device_ptrIfEEEESG_SG_SG_PmS8_22is_equal_div_10_reduceIfEEE10hipError_tPvRmT2_T3_mT4_T5_T6_T7_T8_P12ihipStream_tbENKUlT_T0_E_clISt17integral_constantIbLb1EES11_EEDaSW_SX_EUlSW_E_NS1_11comp_targetILNS1_3genE3ELNS1_11target_archE908ELNS1_3gpuE7ELNS1_3repE0EEENS1_30default_config_static_selectorELNS0_4arch9wavefront6targetE0EEEvT1_
    .private_segment_fixed_size: 0
    .sgpr_count:     0
    .sgpr_spill_count: 0
    .symbol:         _ZN7rocprim17ROCPRIM_400000_NS6detail17trampoline_kernelINS0_14default_configENS1_29reduce_by_key_config_selectorIffN6thrust23THRUST_200600_302600_NS4plusIfEEEEZZNS1_33reduce_by_key_impl_wrapped_configILNS1_25lookback_scan_determinismE0ES3_S9_NS6_6detail15normal_iteratorINS6_10device_ptrIfEEEESG_SG_SG_PmS8_22is_equal_div_10_reduceIfEEE10hipError_tPvRmT2_T3_mT4_T5_T6_T7_T8_P12ihipStream_tbENKUlT_T0_E_clISt17integral_constantIbLb1EES11_EEDaSW_SX_EUlSW_E_NS1_11comp_targetILNS1_3genE3ELNS1_11target_archE908ELNS1_3gpuE7ELNS1_3repE0EEENS1_30default_config_static_selectorELNS0_4arch9wavefront6targetE0EEEvT1_.kd
    .uniform_work_group_size: 1
    .uses_dynamic_stack: false
    .vgpr_count:     0
    .vgpr_spill_count: 0
    .wavefront_size: 32
    .workgroup_processor_mode: 1
  - .args:
      - .offset:         0
        .size:           120
        .value_kind:     by_value
    .group_segment_fixed_size: 0
    .kernarg_segment_align: 8
    .kernarg_segment_size: 120
    .language:       OpenCL C
    .language_version:
      - 2
      - 0
    .max_flat_workgroup_size: 256
    .name:           _ZN7rocprim17ROCPRIM_400000_NS6detail17trampoline_kernelINS0_14default_configENS1_29reduce_by_key_config_selectorIffN6thrust23THRUST_200600_302600_NS4plusIfEEEEZZNS1_33reduce_by_key_impl_wrapped_configILNS1_25lookback_scan_determinismE0ES3_S9_NS6_6detail15normal_iteratorINS6_10device_ptrIfEEEESG_SG_SG_PmS8_22is_equal_div_10_reduceIfEEE10hipError_tPvRmT2_T3_mT4_T5_T6_T7_T8_P12ihipStream_tbENKUlT_T0_E_clISt17integral_constantIbLb1EES11_EEDaSW_SX_EUlSW_E_NS1_11comp_targetILNS1_3genE2ELNS1_11target_archE906ELNS1_3gpuE6ELNS1_3repE0EEENS1_30default_config_static_selectorELNS0_4arch9wavefront6targetE0EEEvT1_
    .private_segment_fixed_size: 0
    .sgpr_count:     0
    .sgpr_spill_count: 0
    .symbol:         _ZN7rocprim17ROCPRIM_400000_NS6detail17trampoline_kernelINS0_14default_configENS1_29reduce_by_key_config_selectorIffN6thrust23THRUST_200600_302600_NS4plusIfEEEEZZNS1_33reduce_by_key_impl_wrapped_configILNS1_25lookback_scan_determinismE0ES3_S9_NS6_6detail15normal_iteratorINS6_10device_ptrIfEEEESG_SG_SG_PmS8_22is_equal_div_10_reduceIfEEE10hipError_tPvRmT2_T3_mT4_T5_T6_T7_T8_P12ihipStream_tbENKUlT_T0_E_clISt17integral_constantIbLb1EES11_EEDaSW_SX_EUlSW_E_NS1_11comp_targetILNS1_3genE2ELNS1_11target_archE906ELNS1_3gpuE6ELNS1_3repE0EEENS1_30default_config_static_selectorELNS0_4arch9wavefront6targetE0EEEvT1_.kd
    .uniform_work_group_size: 1
    .uses_dynamic_stack: false
    .vgpr_count:     0
    .vgpr_spill_count: 0
    .wavefront_size: 32
    .workgroup_processor_mode: 1
  - .args:
      - .offset:         0
        .size:           120
        .value_kind:     by_value
    .group_segment_fixed_size: 0
    .kernarg_segment_align: 8
    .kernarg_segment_size: 120
    .language:       OpenCL C
    .language_version:
      - 2
      - 0
    .max_flat_workgroup_size: 256
    .name:           _ZN7rocprim17ROCPRIM_400000_NS6detail17trampoline_kernelINS0_14default_configENS1_29reduce_by_key_config_selectorIffN6thrust23THRUST_200600_302600_NS4plusIfEEEEZZNS1_33reduce_by_key_impl_wrapped_configILNS1_25lookback_scan_determinismE0ES3_S9_NS6_6detail15normal_iteratorINS6_10device_ptrIfEEEESG_SG_SG_PmS8_22is_equal_div_10_reduceIfEEE10hipError_tPvRmT2_T3_mT4_T5_T6_T7_T8_P12ihipStream_tbENKUlT_T0_E_clISt17integral_constantIbLb1EES11_EEDaSW_SX_EUlSW_E_NS1_11comp_targetILNS1_3genE10ELNS1_11target_archE1201ELNS1_3gpuE5ELNS1_3repE0EEENS1_30default_config_static_selectorELNS0_4arch9wavefront6targetE0EEEvT1_
    .private_segment_fixed_size: 0
    .sgpr_count:     0
    .sgpr_spill_count: 0
    .symbol:         _ZN7rocprim17ROCPRIM_400000_NS6detail17trampoline_kernelINS0_14default_configENS1_29reduce_by_key_config_selectorIffN6thrust23THRUST_200600_302600_NS4plusIfEEEEZZNS1_33reduce_by_key_impl_wrapped_configILNS1_25lookback_scan_determinismE0ES3_S9_NS6_6detail15normal_iteratorINS6_10device_ptrIfEEEESG_SG_SG_PmS8_22is_equal_div_10_reduceIfEEE10hipError_tPvRmT2_T3_mT4_T5_T6_T7_T8_P12ihipStream_tbENKUlT_T0_E_clISt17integral_constantIbLb1EES11_EEDaSW_SX_EUlSW_E_NS1_11comp_targetILNS1_3genE10ELNS1_11target_archE1201ELNS1_3gpuE5ELNS1_3repE0EEENS1_30default_config_static_selectorELNS0_4arch9wavefront6targetE0EEEvT1_.kd
    .uniform_work_group_size: 1
    .uses_dynamic_stack: false
    .vgpr_count:     0
    .vgpr_spill_count: 0
    .wavefront_size: 32
    .workgroup_processor_mode: 1
  - .args:
      - .offset:         0
        .size:           120
        .value_kind:     by_value
    .group_segment_fixed_size: 0
    .kernarg_segment_align: 8
    .kernarg_segment_size: 120
    .language:       OpenCL C
    .language_version:
      - 2
      - 0
    .max_flat_workgroup_size: 256
    .name:           _ZN7rocprim17ROCPRIM_400000_NS6detail17trampoline_kernelINS0_14default_configENS1_29reduce_by_key_config_selectorIffN6thrust23THRUST_200600_302600_NS4plusIfEEEEZZNS1_33reduce_by_key_impl_wrapped_configILNS1_25lookback_scan_determinismE0ES3_S9_NS6_6detail15normal_iteratorINS6_10device_ptrIfEEEESG_SG_SG_PmS8_22is_equal_div_10_reduceIfEEE10hipError_tPvRmT2_T3_mT4_T5_T6_T7_T8_P12ihipStream_tbENKUlT_T0_E_clISt17integral_constantIbLb1EES11_EEDaSW_SX_EUlSW_E_NS1_11comp_targetILNS1_3genE10ELNS1_11target_archE1200ELNS1_3gpuE4ELNS1_3repE0EEENS1_30default_config_static_selectorELNS0_4arch9wavefront6targetE0EEEvT1_
    .private_segment_fixed_size: 0
    .sgpr_count:     0
    .sgpr_spill_count: 0
    .symbol:         _ZN7rocprim17ROCPRIM_400000_NS6detail17trampoline_kernelINS0_14default_configENS1_29reduce_by_key_config_selectorIffN6thrust23THRUST_200600_302600_NS4plusIfEEEEZZNS1_33reduce_by_key_impl_wrapped_configILNS1_25lookback_scan_determinismE0ES3_S9_NS6_6detail15normal_iteratorINS6_10device_ptrIfEEEESG_SG_SG_PmS8_22is_equal_div_10_reduceIfEEE10hipError_tPvRmT2_T3_mT4_T5_T6_T7_T8_P12ihipStream_tbENKUlT_T0_E_clISt17integral_constantIbLb1EES11_EEDaSW_SX_EUlSW_E_NS1_11comp_targetILNS1_3genE10ELNS1_11target_archE1200ELNS1_3gpuE4ELNS1_3repE0EEENS1_30default_config_static_selectorELNS0_4arch9wavefront6targetE0EEEvT1_.kd
    .uniform_work_group_size: 1
    .uses_dynamic_stack: false
    .vgpr_count:     0
    .vgpr_spill_count: 0
    .wavefront_size: 32
    .workgroup_processor_mode: 1
  - .args:
      - .offset:         0
        .size:           120
        .value_kind:     by_value
    .group_segment_fixed_size: 15360
    .kernarg_segment_align: 8
    .kernarg_segment_size: 120
    .language:       OpenCL C
    .language_version:
      - 2
      - 0
    .max_flat_workgroup_size: 256
    .name:           _ZN7rocprim17ROCPRIM_400000_NS6detail17trampoline_kernelINS0_14default_configENS1_29reduce_by_key_config_selectorIffN6thrust23THRUST_200600_302600_NS4plusIfEEEEZZNS1_33reduce_by_key_impl_wrapped_configILNS1_25lookback_scan_determinismE0ES3_S9_NS6_6detail15normal_iteratorINS6_10device_ptrIfEEEESG_SG_SG_PmS8_22is_equal_div_10_reduceIfEEE10hipError_tPvRmT2_T3_mT4_T5_T6_T7_T8_P12ihipStream_tbENKUlT_T0_E_clISt17integral_constantIbLb1EES11_EEDaSW_SX_EUlSW_E_NS1_11comp_targetILNS1_3genE9ELNS1_11target_archE1100ELNS1_3gpuE3ELNS1_3repE0EEENS1_30default_config_static_selectorELNS0_4arch9wavefront6targetE0EEEvT1_
    .private_segment_fixed_size: 0
    .sgpr_count:     46
    .sgpr_spill_count: 0
    .symbol:         _ZN7rocprim17ROCPRIM_400000_NS6detail17trampoline_kernelINS0_14default_configENS1_29reduce_by_key_config_selectorIffN6thrust23THRUST_200600_302600_NS4plusIfEEEEZZNS1_33reduce_by_key_impl_wrapped_configILNS1_25lookback_scan_determinismE0ES3_S9_NS6_6detail15normal_iteratorINS6_10device_ptrIfEEEESG_SG_SG_PmS8_22is_equal_div_10_reduceIfEEE10hipError_tPvRmT2_T3_mT4_T5_T6_T7_T8_P12ihipStream_tbENKUlT_T0_E_clISt17integral_constantIbLb1EES11_EEDaSW_SX_EUlSW_E_NS1_11comp_targetILNS1_3genE9ELNS1_11target_archE1100ELNS1_3gpuE3ELNS1_3repE0EEENS1_30default_config_static_selectorELNS0_4arch9wavefront6targetE0EEEvT1_.kd
    .uniform_work_group_size: 1
    .uses_dynamic_stack: false
    .vgpr_count:     85
    .vgpr_spill_count: 0
    .wavefront_size: 32
    .workgroup_processor_mode: 1
  - .args:
      - .offset:         0
        .size:           120
        .value_kind:     by_value
    .group_segment_fixed_size: 0
    .kernarg_segment_align: 8
    .kernarg_segment_size: 120
    .language:       OpenCL C
    .language_version:
      - 2
      - 0
    .max_flat_workgroup_size: 256
    .name:           _ZN7rocprim17ROCPRIM_400000_NS6detail17trampoline_kernelINS0_14default_configENS1_29reduce_by_key_config_selectorIffN6thrust23THRUST_200600_302600_NS4plusIfEEEEZZNS1_33reduce_by_key_impl_wrapped_configILNS1_25lookback_scan_determinismE0ES3_S9_NS6_6detail15normal_iteratorINS6_10device_ptrIfEEEESG_SG_SG_PmS8_22is_equal_div_10_reduceIfEEE10hipError_tPvRmT2_T3_mT4_T5_T6_T7_T8_P12ihipStream_tbENKUlT_T0_E_clISt17integral_constantIbLb1EES11_EEDaSW_SX_EUlSW_E_NS1_11comp_targetILNS1_3genE8ELNS1_11target_archE1030ELNS1_3gpuE2ELNS1_3repE0EEENS1_30default_config_static_selectorELNS0_4arch9wavefront6targetE0EEEvT1_
    .private_segment_fixed_size: 0
    .sgpr_count:     0
    .sgpr_spill_count: 0
    .symbol:         _ZN7rocprim17ROCPRIM_400000_NS6detail17trampoline_kernelINS0_14default_configENS1_29reduce_by_key_config_selectorIffN6thrust23THRUST_200600_302600_NS4plusIfEEEEZZNS1_33reduce_by_key_impl_wrapped_configILNS1_25lookback_scan_determinismE0ES3_S9_NS6_6detail15normal_iteratorINS6_10device_ptrIfEEEESG_SG_SG_PmS8_22is_equal_div_10_reduceIfEEE10hipError_tPvRmT2_T3_mT4_T5_T6_T7_T8_P12ihipStream_tbENKUlT_T0_E_clISt17integral_constantIbLb1EES11_EEDaSW_SX_EUlSW_E_NS1_11comp_targetILNS1_3genE8ELNS1_11target_archE1030ELNS1_3gpuE2ELNS1_3repE0EEENS1_30default_config_static_selectorELNS0_4arch9wavefront6targetE0EEEvT1_.kd
    .uniform_work_group_size: 1
    .uses_dynamic_stack: false
    .vgpr_count:     0
    .vgpr_spill_count: 0
    .wavefront_size: 32
    .workgroup_processor_mode: 1
  - .args:
      - .offset:         0
        .size:           120
        .value_kind:     by_value
    .group_segment_fixed_size: 0
    .kernarg_segment_align: 8
    .kernarg_segment_size: 120
    .language:       OpenCL C
    .language_version:
      - 2
      - 0
    .max_flat_workgroup_size: 256
    .name:           _ZN7rocprim17ROCPRIM_400000_NS6detail17trampoline_kernelINS0_14default_configENS1_29reduce_by_key_config_selectorIffN6thrust23THRUST_200600_302600_NS4plusIfEEEEZZNS1_33reduce_by_key_impl_wrapped_configILNS1_25lookback_scan_determinismE0ES3_S9_NS6_6detail15normal_iteratorINS6_10device_ptrIfEEEESG_SG_SG_PmS8_22is_equal_div_10_reduceIfEEE10hipError_tPvRmT2_T3_mT4_T5_T6_T7_T8_P12ihipStream_tbENKUlT_T0_E_clISt17integral_constantIbLb1EES10_IbLb0EEEEDaSW_SX_EUlSW_E_NS1_11comp_targetILNS1_3genE0ELNS1_11target_archE4294967295ELNS1_3gpuE0ELNS1_3repE0EEENS1_30default_config_static_selectorELNS0_4arch9wavefront6targetE0EEEvT1_
    .private_segment_fixed_size: 0
    .sgpr_count:     0
    .sgpr_spill_count: 0
    .symbol:         _ZN7rocprim17ROCPRIM_400000_NS6detail17trampoline_kernelINS0_14default_configENS1_29reduce_by_key_config_selectorIffN6thrust23THRUST_200600_302600_NS4plusIfEEEEZZNS1_33reduce_by_key_impl_wrapped_configILNS1_25lookback_scan_determinismE0ES3_S9_NS6_6detail15normal_iteratorINS6_10device_ptrIfEEEESG_SG_SG_PmS8_22is_equal_div_10_reduceIfEEE10hipError_tPvRmT2_T3_mT4_T5_T6_T7_T8_P12ihipStream_tbENKUlT_T0_E_clISt17integral_constantIbLb1EES10_IbLb0EEEEDaSW_SX_EUlSW_E_NS1_11comp_targetILNS1_3genE0ELNS1_11target_archE4294967295ELNS1_3gpuE0ELNS1_3repE0EEENS1_30default_config_static_selectorELNS0_4arch9wavefront6targetE0EEEvT1_.kd
    .uniform_work_group_size: 1
    .uses_dynamic_stack: false
    .vgpr_count:     0
    .vgpr_spill_count: 0
    .wavefront_size: 32
    .workgroup_processor_mode: 1
  - .args:
      - .offset:         0
        .size:           120
        .value_kind:     by_value
    .group_segment_fixed_size: 0
    .kernarg_segment_align: 8
    .kernarg_segment_size: 120
    .language:       OpenCL C
    .language_version:
      - 2
      - 0
    .max_flat_workgroup_size: 256
    .name:           _ZN7rocprim17ROCPRIM_400000_NS6detail17trampoline_kernelINS0_14default_configENS1_29reduce_by_key_config_selectorIffN6thrust23THRUST_200600_302600_NS4plusIfEEEEZZNS1_33reduce_by_key_impl_wrapped_configILNS1_25lookback_scan_determinismE0ES3_S9_NS6_6detail15normal_iteratorINS6_10device_ptrIfEEEESG_SG_SG_PmS8_22is_equal_div_10_reduceIfEEE10hipError_tPvRmT2_T3_mT4_T5_T6_T7_T8_P12ihipStream_tbENKUlT_T0_E_clISt17integral_constantIbLb1EES10_IbLb0EEEEDaSW_SX_EUlSW_E_NS1_11comp_targetILNS1_3genE5ELNS1_11target_archE942ELNS1_3gpuE9ELNS1_3repE0EEENS1_30default_config_static_selectorELNS0_4arch9wavefront6targetE0EEEvT1_
    .private_segment_fixed_size: 0
    .sgpr_count:     0
    .sgpr_spill_count: 0
    .symbol:         _ZN7rocprim17ROCPRIM_400000_NS6detail17trampoline_kernelINS0_14default_configENS1_29reduce_by_key_config_selectorIffN6thrust23THRUST_200600_302600_NS4plusIfEEEEZZNS1_33reduce_by_key_impl_wrapped_configILNS1_25lookback_scan_determinismE0ES3_S9_NS6_6detail15normal_iteratorINS6_10device_ptrIfEEEESG_SG_SG_PmS8_22is_equal_div_10_reduceIfEEE10hipError_tPvRmT2_T3_mT4_T5_T6_T7_T8_P12ihipStream_tbENKUlT_T0_E_clISt17integral_constantIbLb1EES10_IbLb0EEEEDaSW_SX_EUlSW_E_NS1_11comp_targetILNS1_3genE5ELNS1_11target_archE942ELNS1_3gpuE9ELNS1_3repE0EEENS1_30default_config_static_selectorELNS0_4arch9wavefront6targetE0EEEvT1_.kd
    .uniform_work_group_size: 1
    .uses_dynamic_stack: false
    .vgpr_count:     0
    .vgpr_spill_count: 0
    .wavefront_size: 32
    .workgroup_processor_mode: 1
  - .args:
      - .offset:         0
        .size:           120
        .value_kind:     by_value
    .group_segment_fixed_size: 0
    .kernarg_segment_align: 8
    .kernarg_segment_size: 120
    .language:       OpenCL C
    .language_version:
      - 2
      - 0
    .max_flat_workgroup_size: 256
    .name:           _ZN7rocprim17ROCPRIM_400000_NS6detail17trampoline_kernelINS0_14default_configENS1_29reduce_by_key_config_selectorIffN6thrust23THRUST_200600_302600_NS4plusIfEEEEZZNS1_33reduce_by_key_impl_wrapped_configILNS1_25lookback_scan_determinismE0ES3_S9_NS6_6detail15normal_iteratorINS6_10device_ptrIfEEEESG_SG_SG_PmS8_22is_equal_div_10_reduceIfEEE10hipError_tPvRmT2_T3_mT4_T5_T6_T7_T8_P12ihipStream_tbENKUlT_T0_E_clISt17integral_constantIbLb1EES10_IbLb0EEEEDaSW_SX_EUlSW_E_NS1_11comp_targetILNS1_3genE4ELNS1_11target_archE910ELNS1_3gpuE8ELNS1_3repE0EEENS1_30default_config_static_selectorELNS0_4arch9wavefront6targetE0EEEvT1_
    .private_segment_fixed_size: 0
    .sgpr_count:     0
    .sgpr_spill_count: 0
    .symbol:         _ZN7rocprim17ROCPRIM_400000_NS6detail17trampoline_kernelINS0_14default_configENS1_29reduce_by_key_config_selectorIffN6thrust23THRUST_200600_302600_NS4plusIfEEEEZZNS1_33reduce_by_key_impl_wrapped_configILNS1_25lookback_scan_determinismE0ES3_S9_NS6_6detail15normal_iteratorINS6_10device_ptrIfEEEESG_SG_SG_PmS8_22is_equal_div_10_reduceIfEEE10hipError_tPvRmT2_T3_mT4_T5_T6_T7_T8_P12ihipStream_tbENKUlT_T0_E_clISt17integral_constantIbLb1EES10_IbLb0EEEEDaSW_SX_EUlSW_E_NS1_11comp_targetILNS1_3genE4ELNS1_11target_archE910ELNS1_3gpuE8ELNS1_3repE0EEENS1_30default_config_static_selectorELNS0_4arch9wavefront6targetE0EEEvT1_.kd
    .uniform_work_group_size: 1
    .uses_dynamic_stack: false
    .vgpr_count:     0
    .vgpr_spill_count: 0
    .wavefront_size: 32
    .workgroup_processor_mode: 1
  - .args:
      - .offset:         0
        .size:           120
        .value_kind:     by_value
    .group_segment_fixed_size: 0
    .kernarg_segment_align: 8
    .kernarg_segment_size: 120
    .language:       OpenCL C
    .language_version:
      - 2
      - 0
    .max_flat_workgroup_size: 256
    .name:           _ZN7rocprim17ROCPRIM_400000_NS6detail17trampoline_kernelINS0_14default_configENS1_29reduce_by_key_config_selectorIffN6thrust23THRUST_200600_302600_NS4plusIfEEEEZZNS1_33reduce_by_key_impl_wrapped_configILNS1_25lookback_scan_determinismE0ES3_S9_NS6_6detail15normal_iteratorINS6_10device_ptrIfEEEESG_SG_SG_PmS8_22is_equal_div_10_reduceIfEEE10hipError_tPvRmT2_T3_mT4_T5_T6_T7_T8_P12ihipStream_tbENKUlT_T0_E_clISt17integral_constantIbLb1EES10_IbLb0EEEEDaSW_SX_EUlSW_E_NS1_11comp_targetILNS1_3genE3ELNS1_11target_archE908ELNS1_3gpuE7ELNS1_3repE0EEENS1_30default_config_static_selectorELNS0_4arch9wavefront6targetE0EEEvT1_
    .private_segment_fixed_size: 0
    .sgpr_count:     0
    .sgpr_spill_count: 0
    .symbol:         _ZN7rocprim17ROCPRIM_400000_NS6detail17trampoline_kernelINS0_14default_configENS1_29reduce_by_key_config_selectorIffN6thrust23THRUST_200600_302600_NS4plusIfEEEEZZNS1_33reduce_by_key_impl_wrapped_configILNS1_25lookback_scan_determinismE0ES3_S9_NS6_6detail15normal_iteratorINS6_10device_ptrIfEEEESG_SG_SG_PmS8_22is_equal_div_10_reduceIfEEE10hipError_tPvRmT2_T3_mT4_T5_T6_T7_T8_P12ihipStream_tbENKUlT_T0_E_clISt17integral_constantIbLb1EES10_IbLb0EEEEDaSW_SX_EUlSW_E_NS1_11comp_targetILNS1_3genE3ELNS1_11target_archE908ELNS1_3gpuE7ELNS1_3repE0EEENS1_30default_config_static_selectorELNS0_4arch9wavefront6targetE0EEEvT1_.kd
    .uniform_work_group_size: 1
    .uses_dynamic_stack: false
    .vgpr_count:     0
    .vgpr_spill_count: 0
    .wavefront_size: 32
    .workgroup_processor_mode: 1
  - .args:
      - .offset:         0
        .size:           120
        .value_kind:     by_value
    .group_segment_fixed_size: 0
    .kernarg_segment_align: 8
    .kernarg_segment_size: 120
    .language:       OpenCL C
    .language_version:
      - 2
      - 0
    .max_flat_workgroup_size: 256
    .name:           _ZN7rocprim17ROCPRIM_400000_NS6detail17trampoline_kernelINS0_14default_configENS1_29reduce_by_key_config_selectorIffN6thrust23THRUST_200600_302600_NS4plusIfEEEEZZNS1_33reduce_by_key_impl_wrapped_configILNS1_25lookback_scan_determinismE0ES3_S9_NS6_6detail15normal_iteratorINS6_10device_ptrIfEEEESG_SG_SG_PmS8_22is_equal_div_10_reduceIfEEE10hipError_tPvRmT2_T3_mT4_T5_T6_T7_T8_P12ihipStream_tbENKUlT_T0_E_clISt17integral_constantIbLb1EES10_IbLb0EEEEDaSW_SX_EUlSW_E_NS1_11comp_targetILNS1_3genE2ELNS1_11target_archE906ELNS1_3gpuE6ELNS1_3repE0EEENS1_30default_config_static_selectorELNS0_4arch9wavefront6targetE0EEEvT1_
    .private_segment_fixed_size: 0
    .sgpr_count:     0
    .sgpr_spill_count: 0
    .symbol:         _ZN7rocprim17ROCPRIM_400000_NS6detail17trampoline_kernelINS0_14default_configENS1_29reduce_by_key_config_selectorIffN6thrust23THRUST_200600_302600_NS4plusIfEEEEZZNS1_33reduce_by_key_impl_wrapped_configILNS1_25lookback_scan_determinismE0ES3_S9_NS6_6detail15normal_iteratorINS6_10device_ptrIfEEEESG_SG_SG_PmS8_22is_equal_div_10_reduceIfEEE10hipError_tPvRmT2_T3_mT4_T5_T6_T7_T8_P12ihipStream_tbENKUlT_T0_E_clISt17integral_constantIbLb1EES10_IbLb0EEEEDaSW_SX_EUlSW_E_NS1_11comp_targetILNS1_3genE2ELNS1_11target_archE906ELNS1_3gpuE6ELNS1_3repE0EEENS1_30default_config_static_selectorELNS0_4arch9wavefront6targetE0EEEvT1_.kd
    .uniform_work_group_size: 1
    .uses_dynamic_stack: false
    .vgpr_count:     0
    .vgpr_spill_count: 0
    .wavefront_size: 32
    .workgroup_processor_mode: 1
  - .args:
      - .offset:         0
        .size:           120
        .value_kind:     by_value
    .group_segment_fixed_size: 0
    .kernarg_segment_align: 8
    .kernarg_segment_size: 120
    .language:       OpenCL C
    .language_version:
      - 2
      - 0
    .max_flat_workgroup_size: 256
    .name:           _ZN7rocprim17ROCPRIM_400000_NS6detail17trampoline_kernelINS0_14default_configENS1_29reduce_by_key_config_selectorIffN6thrust23THRUST_200600_302600_NS4plusIfEEEEZZNS1_33reduce_by_key_impl_wrapped_configILNS1_25lookback_scan_determinismE0ES3_S9_NS6_6detail15normal_iteratorINS6_10device_ptrIfEEEESG_SG_SG_PmS8_22is_equal_div_10_reduceIfEEE10hipError_tPvRmT2_T3_mT4_T5_T6_T7_T8_P12ihipStream_tbENKUlT_T0_E_clISt17integral_constantIbLb1EES10_IbLb0EEEEDaSW_SX_EUlSW_E_NS1_11comp_targetILNS1_3genE10ELNS1_11target_archE1201ELNS1_3gpuE5ELNS1_3repE0EEENS1_30default_config_static_selectorELNS0_4arch9wavefront6targetE0EEEvT1_
    .private_segment_fixed_size: 0
    .sgpr_count:     0
    .sgpr_spill_count: 0
    .symbol:         _ZN7rocprim17ROCPRIM_400000_NS6detail17trampoline_kernelINS0_14default_configENS1_29reduce_by_key_config_selectorIffN6thrust23THRUST_200600_302600_NS4plusIfEEEEZZNS1_33reduce_by_key_impl_wrapped_configILNS1_25lookback_scan_determinismE0ES3_S9_NS6_6detail15normal_iteratorINS6_10device_ptrIfEEEESG_SG_SG_PmS8_22is_equal_div_10_reduceIfEEE10hipError_tPvRmT2_T3_mT4_T5_T6_T7_T8_P12ihipStream_tbENKUlT_T0_E_clISt17integral_constantIbLb1EES10_IbLb0EEEEDaSW_SX_EUlSW_E_NS1_11comp_targetILNS1_3genE10ELNS1_11target_archE1201ELNS1_3gpuE5ELNS1_3repE0EEENS1_30default_config_static_selectorELNS0_4arch9wavefront6targetE0EEEvT1_.kd
    .uniform_work_group_size: 1
    .uses_dynamic_stack: false
    .vgpr_count:     0
    .vgpr_spill_count: 0
    .wavefront_size: 32
    .workgroup_processor_mode: 1
  - .args:
      - .offset:         0
        .size:           120
        .value_kind:     by_value
    .group_segment_fixed_size: 0
    .kernarg_segment_align: 8
    .kernarg_segment_size: 120
    .language:       OpenCL C
    .language_version:
      - 2
      - 0
    .max_flat_workgroup_size: 256
    .name:           _ZN7rocprim17ROCPRIM_400000_NS6detail17trampoline_kernelINS0_14default_configENS1_29reduce_by_key_config_selectorIffN6thrust23THRUST_200600_302600_NS4plusIfEEEEZZNS1_33reduce_by_key_impl_wrapped_configILNS1_25lookback_scan_determinismE0ES3_S9_NS6_6detail15normal_iteratorINS6_10device_ptrIfEEEESG_SG_SG_PmS8_22is_equal_div_10_reduceIfEEE10hipError_tPvRmT2_T3_mT4_T5_T6_T7_T8_P12ihipStream_tbENKUlT_T0_E_clISt17integral_constantIbLb1EES10_IbLb0EEEEDaSW_SX_EUlSW_E_NS1_11comp_targetILNS1_3genE10ELNS1_11target_archE1200ELNS1_3gpuE4ELNS1_3repE0EEENS1_30default_config_static_selectorELNS0_4arch9wavefront6targetE0EEEvT1_
    .private_segment_fixed_size: 0
    .sgpr_count:     0
    .sgpr_spill_count: 0
    .symbol:         _ZN7rocprim17ROCPRIM_400000_NS6detail17trampoline_kernelINS0_14default_configENS1_29reduce_by_key_config_selectorIffN6thrust23THRUST_200600_302600_NS4plusIfEEEEZZNS1_33reduce_by_key_impl_wrapped_configILNS1_25lookback_scan_determinismE0ES3_S9_NS6_6detail15normal_iteratorINS6_10device_ptrIfEEEESG_SG_SG_PmS8_22is_equal_div_10_reduceIfEEE10hipError_tPvRmT2_T3_mT4_T5_T6_T7_T8_P12ihipStream_tbENKUlT_T0_E_clISt17integral_constantIbLb1EES10_IbLb0EEEEDaSW_SX_EUlSW_E_NS1_11comp_targetILNS1_3genE10ELNS1_11target_archE1200ELNS1_3gpuE4ELNS1_3repE0EEENS1_30default_config_static_selectorELNS0_4arch9wavefront6targetE0EEEvT1_.kd
    .uniform_work_group_size: 1
    .uses_dynamic_stack: false
    .vgpr_count:     0
    .vgpr_spill_count: 0
    .wavefront_size: 32
    .workgroup_processor_mode: 1
  - .args:
      - .offset:         0
        .size:           120
        .value_kind:     by_value
    .group_segment_fixed_size: 15360
    .kernarg_segment_align: 8
    .kernarg_segment_size: 120
    .language:       OpenCL C
    .language_version:
      - 2
      - 0
    .max_flat_workgroup_size: 256
    .name:           _ZN7rocprim17ROCPRIM_400000_NS6detail17trampoline_kernelINS0_14default_configENS1_29reduce_by_key_config_selectorIffN6thrust23THRUST_200600_302600_NS4plusIfEEEEZZNS1_33reduce_by_key_impl_wrapped_configILNS1_25lookback_scan_determinismE0ES3_S9_NS6_6detail15normal_iteratorINS6_10device_ptrIfEEEESG_SG_SG_PmS8_22is_equal_div_10_reduceIfEEE10hipError_tPvRmT2_T3_mT4_T5_T6_T7_T8_P12ihipStream_tbENKUlT_T0_E_clISt17integral_constantIbLb1EES10_IbLb0EEEEDaSW_SX_EUlSW_E_NS1_11comp_targetILNS1_3genE9ELNS1_11target_archE1100ELNS1_3gpuE3ELNS1_3repE0EEENS1_30default_config_static_selectorELNS0_4arch9wavefront6targetE0EEEvT1_
    .private_segment_fixed_size: 0
    .sgpr_count:     46
    .sgpr_spill_count: 0
    .symbol:         _ZN7rocprim17ROCPRIM_400000_NS6detail17trampoline_kernelINS0_14default_configENS1_29reduce_by_key_config_selectorIffN6thrust23THRUST_200600_302600_NS4plusIfEEEEZZNS1_33reduce_by_key_impl_wrapped_configILNS1_25lookback_scan_determinismE0ES3_S9_NS6_6detail15normal_iteratorINS6_10device_ptrIfEEEESG_SG_SG_PmS8_22is_equal_div_10_reduceIfEEE10hipError_tPvRmT2_T3_mT4_T5_T6_T7_T8_P12ihipStream_tbENKUlT_T0_E_clISt17integral_constantIbLb1EES10_IbLb0EEEEDaSW_SX_EUlSW_E_NS1_11comp_targetILNS1_3genE9ELNS1_11target_archE1100ELNS1_3gpuE3ELNS1_3repE0EEENS1_30default_config_static_selectorELNS0_4arch9wavefront6targetE0EEEvT1_.kd
    .uniform_work_group_size: 1
    .uses_dynamic_stack: false
    .vgpr_count:     85
    .vgpr_spill_count: 0
    .wavefront_size: 32
    .workgroup_processor_mode: 1
  - .args:
      - .offset:         0
        .size:           120
        .value_kind:     by_value
    .group_segment_fixed_size: 0
    .kernarg_segment_align: 8
    .kernarg_segment_size: 120
    .language:       OpenCL C
    .language_version:
      - 2
      - 0
    .max_flat_workgroup_size: 256
    .name:           _ZN7rocprim17ROCPRIM_400000_NS6detail17trampoline_kernelINS0_14default_configENS1_29reduce_by_key_config_selectorIffN6thrust23THRUST_200600_302600_NS4plusIfEEEEZZNS1_33reduce_by_key_impl_wrapped_configILNS1_25lookback_scan_determinismE0ES3_S9_NS6_6detail15normal_iteratorINS6_10device_ptrIfEEEESG_SG_SG_PmS8_22is_equal_div_10_reduceIfEEE10hipError_tPvRmT2_T3_mT4_T5_T6_T7_T8_P12ihipStream_tbENKUlT_T0_E_clISt17integral_constantIbLb1EES10_IbLb0EEEEDaSW_SX_EUlSW_E_NS1_11comp_targetILNS1_3genE8ELNS1_11target_archE1030ELNS1_3gpuE2ELNS1_3repE0EEENS1_30default_config_static_selectorELNS0_4arch9wavefront6targetE0EEEvT1_
    .private_segment_fixed_size: 0
    .sgpr_count:     0
    .sgpr_spill_count: 0
    .symbol:         _ZN7rocprim17ROCPRIM_400000_NS6detail17trampoline_kernelINS0_14default_configENS1_29reduce_by_key_config_selectorIffN6thrust23THRUST_200600_302600_NS4plusIfEEEEZZNS1_33reduce_by_key_impl_wrapped_configILNS1_25lookback_scan_determinismE0ES3_S9_NS6_6detail15normal_iteratorINS6_10device_ptrIfEEEESG_SG_SG_PmS8_22is_equal_div_10_reduceIfEEE10hipError_tPvRmT2_T3_mT4_T5_T6_T7_T8_P12ihipStream_tbENKUlT_T0_E_clISt17integral_constantIbLb1EES10_IbLb0EEEEDaSW_SX_EUlSW_E_NS1_11comp_targetILNS1_3genE8ELNS1_11target_archE1030ELNS1_3gpuE2ELNS1_3repE0EEENS1_30default_config_static_selectorELNS0_4arch9wavefront6targetE0EEEvT1_.kd
    .uniform_work_group_size: 1
    .uses_dynamic_stack: false
    .vgpr_count:     0
    .vgpr_spill_count: 0
    .wavefront_size: 32
    .workgroup_processor_mode: 1
  - .args:
      - .offset:         0
        .size:           120
        .value_kind:     by_value
    .group_segment_fixed_size: 0
    .kernarg_segment_align: 8
    .kernarg_segment_size: 120
    .language:       OpenCL C
    .language_version:
      - 2
      - 0
    .max_flat_workgroup_size: 256
    .name:           _ZN7rocprim17ROCPRIM_400000_NS6detail17trampoline_kernelINS0_14default_configENS1_29reduce_by_key_config_selectorIffN6thrust23THRUST_200600_302600_NS4plusIfEEEEZZNS1_33reduce_by_key_impl_wrapped_configILNS1_25lookback_scan_determinismE0ES3_S9_NS6_6detail15normal_iteratorINS6_10device_ptrIfEEEESG_SG_SG_PmS8_22is_equal_div_10_reduceIfEEE10hipError_tPvRmT2_T3_mT4_T5_T6_T7_T8_P12ihipStream_tbENKUlT_T0_E_clISt17integral_constantIbLb0EES10_IbLb1EEEEDaSW_SX_EUlSW_E_NS1_11comp_targetILNS1_3genE0ELNS1_11target_archE4294967295ELNS1_3gpuE0ELNS1_3repE0EEENS1_30default_config_static_selectorELNS0_4arch9wavefront6targetE0EEEvT1_
    .private_segment_fixed_size: 0
    .sgpr_count:     0
    .sgpr_spill_count: 0
    .symbol:         _ZN7rocprim17ROCPRIM_400000_NS6detail17trampoline_kernelINS0_14default_configENS1_29reduce_by_key_config_selectorIffN6thrust23THRUST_200600_302600_NS4plusIfEEEEZZNS1_33reduce_by_key_impl_wrapped_configILNS1_25lookback_scan_determinismE0ES3_S9_NS6_6detail15normal_iteratorINS6_10device_ptrIfEEEESG_SG_SG_PmS8_22is_equal_div_10_reduceIfEEE10hipError_tPvRmT2_T3_mT4_T5_T6_T7_T8_P12ihipStream_tbENKUlT_T0_E_clISt17integral_constantIbLb0EES10_IbLb1EEEEDaSW_SX_EUlSW_E_NS1_11comp_targetILNS1_3genE0ELNS1_11target_archE4294967295ELNS1_3gpuE0ELNS1_3repE0EEENS1_30default_config_static_selectorELNS0_4arch9wavefront6targetE0EEEvT1_.kd
    .uniform_work_group_size: 1
    .uses_dynamic_stack: false
    .vgpr_count:     0
    .vgpr_spill_count: 0
    .wavefront_size: 32
    .workgroup_processor_mode: 1
  - .args:
      - .offset:         0
        .size:           120
        .value_kind:     by_value
    .group_segment_fixed_size: 0
    .kernarg_segment_align: 8
    .kernarg_segment_size: 120
    .language:       OpenCL C
    .language_version:
      - 2
      - 0
    .max_flat_workgroup_size: 256
    .name:           _ZN7rocprim17ROCPRIM_400000_NS6detail17trampoline_kernelINS0_14default_configENS1_29reduce_by_key_config_selectorIffN6thrust23THRUST_200600_302600_NS4plusIfEEEEZZNS1_33reduce_by_key_impl_wrapped_configILNS1_25lookback_scan_determinismE0ES3_S9_NS6_6detail15normal_iteratorINS6_10device_ptrIfEEEESG_SG_SG_PmS8_22is_equal_div_10_reduceIfEEE10hipError_tPvRmT2_T3_mT4_T5_T6_T7_T8_P12ihipStream_tbENKUlT_T0_E_clISt17integral_constantIbLb0EES10_IbLb1EEEEDaSW_SX_EUlSW_E_NS1_11comp_targetILNS1_3genE5ELNS1_11target_archE942ELNS1_3gpuE9ELNS1_3repE0EEENS1_30default_config_static_selectorELNS0_4arch9wavefront6targetE0EEEvT1_
    .private_segment_fixed_size: 0
    .sgpr_count:     0
    .sgpr_spill_count: 0
    .symbol:         _ZN7rocprim17ROCPRIM_400000_NS6detail17trampoline_kernelINS0_14default_configENS1_29reduce_by_key_config_selectorIffN6thrust23THRUST_200600_302600_NS4plusIfEEEEZZNS1_33reduce_by_key_impl_wrapped_configILNS1_25lookback_scan_determinismE0ES3_S9_NS6_6detail15normal_iteratorINS6_10device_ptrIfEEEESG_SG_SG_PmS8_22is_equal_div_10_reduceIfEEE10hipError_tPvRmT2_T3_mT4_T5_T6_T7_T8_P12ihipStream_tbENKUlT_T0_E_clISt17integral_constantIbLb0EES10_IbLb1EEEEDaSW_SX_EUlSW_E_NS1_11comp_targetILNS1_3genE5ELNS1_11target_archE942ELNS1_3gpuE9ELNS1_3repE0EEENS1_30default_config_static_selectorELNS0_4arch9wavefront6targetE0EEEvT1_.kd
    .uniform_work_group_size: 1
    .uses_dynamic_stack: false
    .vgpr_count:     0
    .vgpr_spill_count: 0
    .wavefront_size: 32
    .workgroup_processor_mode: 1
  - .args:
      - .offset:         0
        .size:           120
        .value_kind:     by_value
    .group_segment_fixed_size: 0
    .kernarg_segment_align: 8
    .kernarg_segment_size: 120
    .language:       OpenCL C
    .language_version:
      - 2
      - 0
    .max_flat_workgroup_size: 256
    .name:           _ZN7rocprim17ROCPRIM_400000_NS6detail17trampoline_kernelINS0_14default_configENS1_29reduce_by_key_config_selectorIffN6thrust23THRUST_200600_302600_NS4plusIfEEEEZZNS1_33reduce_by_key_impl_wrapped_configILNS1_25lookback_scan_determinismE0ES3_S9_NS6_6detail15normal_iteratorINS6_10device_ptrIfEEEESG_SG_SG_PmS8_22is_equal_div_10_reduceIfEEE10hipError_tPvRmT2_T3_mT4_T5_T6_T7_T8_P12ihipStream_tbENKUlT_T0_E_clISt17integral_constantIbLb0EES10_IbLb1EEEEDaSW_SX_EUlSW_E_NS1_11comp_targetILNS1_3genE4ELNS1_11target_archE910ELNS1_3gpuE8ELNS1_3repE0EEENS1_30default_config_static_selectorELNS0_4arch9wavefront6targetE0EEEvT1_
    .private_segment_fixed_size: 0
    .sgpr_count:     0
    .sgpr_spill_count: 0
    .symbol:         _ZN7rocprim17ROCPRIM_400000_NS6detail17trampoline_kernelINS0_14default_configENS1_29reduce_by_key_config_selectorIffN6thrust23THRUST_200600_302600_NS4plusIfEEEEZZNS1_33reduce_by_key_impl_wrapped_configILNS1_25lookback_scan_determinismE0ES3_S9_NS6_6detail15normal_iteratorINS6_10device_ptrIfEEEESG_SG_SG_PmS8_22is_equal_div_10_reduceIfEEE10hipError_tPvRmT2_T3_mT4_T5_T6_T7_T8_P12ihipStream_tbENKUlT_T0_E_clISt17integral_constantIbLb0EES10_IbLb1EEEEDaSW_SX_EUlSW_E_NS1_11comp_targetILNS1_3genE4ELNS1_11target_archE910ELNS1_3gpuE8ELNS1_3repE0EEENS1_30default_config_static_selectorELNS0_4arch9wavefront6targetE0EEEvT1_.kd
    .uniform_work_group_size: 1
    .uses_dynamic_stack: false
    .vgpr_count:     0
    .vgpr_spill_count: 0
    .wavefront_size: 32
    .workgroup_processor_mode: 1
  - .args:
      - .offset:         0
        .size:           120
        .value_kind:     by_value
    .group_segment_fixed_size: 0
    .kernarg_segment_align: 8
    .kernarg_segment_size: 120
    .language:       OpenCL C
    .language_version:
      - 2
      - 0
    .max_flat_workgroup_size: 256
    .name:           _ZN7rocprim17ROCPRIM_400000_NS6detail17trampoline_kernelINS0_14default_configENS1_29reduce_by_key_config_selectorIffN6thrust23THRUST_200600_302600_NS4plusIfEEEEZZNS1_33reduce_by_key_impl_wrapped_configILNS1_25lookback_scan_determinismE0ES3_S9_NS6_6detail15normal_iteratorINS6_10device_ptrIfEEEESG_SG_SG_PmS8_22is_equal_div_10_reduceIfEEE10hipError_tPvRmT2_T3_mT4_T5_T6_T7_T8_P12ihipStream_tbENKUlT_T0_E_clISt17integral_constantIbLb0EES10_IbLb1EEEEDaSW_SX_EUlSW_E_NS1_11comp_targetILNS1_3genE3ELNS1_11target_archE908ELNS1_3gpuE7ELNS1_3repE0EEENS1_30default_config_static_selectorELNS0_4arch9wavefront6targetE0EEEvT1_
    .private_segment_fixed_size: 0
    .sgpr_count:     0
    .sgpr_spill_count: 0
    .symbol:         _ZN7rocprim17ROCPRIM_400000_NS6detail17trampoline_kernelINS0_14default_configENS1_29reduce_by_key_config_selectorIffN6thrust23THRUST_200600_302600_NS4plusIfEEEEZZNS1_33reduce_by_key_impl_wrapped_configILNS1_25lookback_scan_determinismE0ES3_S9_NS6_6detail15normal_iteratorINS6_10device_ptrIfEEEESG_SG_SG_PmS8_22is_equal_div_10_reduceIfEEE10hipError_tPvRmT2_T3_mT4_T5_T6_T7_T8_P12ihipStream_tbENKUlT_T0_E_clISt17integral_constantIbLb0EES10_IbLb1EEEEDaSW_SX_EUlSW_E_NS1_11comp_targetILNS1_3genE3ELNS1_11target_archE908ELNS1_3gpuE7ELNS1_3repE0EEENS1_30default_config_static_selectorELNS0_4arch9wavefront6targetE0EEEvT1_.kd
    .uniform_work_group_size: 1
    .uses_dynamic_stack: false
    .vgpr_count:     0
    .vgpr_spill_count: 0
    .wavefront_size: 32
    .workgroup_processor_mode: 1
  - .args:
      - .offset:         0
        .size:           120
        .value_kind:     by_value
    .group_segment_fixed_size: 0
    .kernarg_segment_align: 8
    .kernarg_segment_size: 120
    .language:       OpenCL C
    .language_version:
      - 2
      - 0
    .max_flat_workgroup_size: 256
    .name:           _ZN7rocprim17ROCPRIM_400000_NS6detail17trampoline_kernelINS0_14default_configENS1_29reduce_by_key_config_selectorIffN6thrust23THRUST_200600_302600_NS4plusIfEEEEZZNS1_33reduce_by_key_impl_wrapped_configILNS1_25lookback_scan_determinismE0ES3_S9_NS6_6detail15normal_iteratorINS6_10device_ptrIfEEEESG_SG_SG_PmS8_22is_equal_div_10_reduceIfEEE10hipError_tPvRmT2_T3_mT4_T5_T6_T7_T8_P12ihipStream_tbENKUlT_T0_E_clISt17integral_constantIbLb0EES10_IbLb1EEEEDaSW_SX_EUlSW_E_NS1_11comp_targetILNS1_3genE2ELNS1_11target_archE906ELNS1_3gpuE6ELNS1_3repE0EEENS1_30default_config_static_selectorELNS0_4arch9wavefront6targetE0EEEvT1_
    .private_segment_fixed_size: 0
    .sgpr_count:     0
    .sgpr_spill_count: 0
    .symbol:         _ZN7rocprim17ROCPRIM_400000_NS6detail17trampoline_kernelINS0_14default_configENS1_29reduce_by_key_config_selectorIffN6thrust23THRUST_200600_302600_NS4plusIfEEEEZZNS1_33reduce_by_key_impl_wrapped_configILNS1_25lookback_scan_determinismE0ES3_S9_NS6_6detail15normal_iteratorINS6_10device_ptrIfEEEESG_SG_SG_PmS8_22is_equal_div_10_reduceIfEEE10hipError_tPvRmT2_T3_mT4_T5_T6_T7_T8_P12ihipStream_tbENKUlT_T0_E_clISt17integral_constantIbLb0EES10_IbLb1EEEEDaSW_SX_EUlSW_E_NS1_11comp_targetILNS1_3genE2ELNS1_11target_archE906ELNS1_3gpuE6ELNS1_3repE0EEENS1_30default_config_static_selectorELNS0_4arch9wavefront6targetE0EEEvT1_.kd
    .uniform_work_group_size: 1
    .uses_dynamic_stack: false
    .vgpr_count:     0
    .vgpr_spill_count: 0
    .wavefront_size: 32
    .workgroup_processor_mode: 1
  - .args:
      - .offset:         0
        .size:           120
        .value_kind:     by_value
    .group_segment_fixed_size: 0
    .kernarg_segment_align: 8
    .kernarg_segment_size: 120
    .language:       OpenCL C
    .language_version:
      - 2
      - 0
    .max_flat_workgroup_size: 256
    .name:           _ZN7rocprim17ROCPRIM_400000_NS6detail17trampoline_kernelINS0_14default_configENS1_29reduce_by_key_config_selectorIffN6thrust23THRUST_200600_302600_NS4plusIfEEEEZZNS1_33reduce_by_key_impl_wrapped_configILNS1_25lookback_scan_determinismE0ES3_S9_NS6_6detail15normal_iteratorINS6_10device_ptrIfEEEESG_SG_SG_PmS8_22is_equal_div_10_reduceIfEEE10hipError_tPvRmT2_T3_mT4_T5_T6_T7_T8_P12ihipStream_tbENKUlT_T0_E_clISt17integral_constantIbLb0EES10_IbLb1EEEEDaSW_SX_EUlSW_E_NS1_11comp_targetILNS1_3genE10ELNS1_11target_archE1201ELNS1_3gpuE5ELNS1_3repE0EEENS1_30default_config_static_selectorELNS0_4arch9wavefront6targetE0EEEvT1_
    .private_segment_fixed_size: 0
    .sgpr_count:     0
    .sgpr_spill_count: 0
    .symbol:         _ZN7rocprim17ROCPRIM_400000_NS6detail17trampoline_kernelINS0_14default_configENS1_29reduce_by_key_config_selectorIffN6thrust23THRUST_200600_302600_NS4plusIfEEEEZZNS1_33reduce_by_key_impl_wrapped_configILNS1_25lookback_scan_determinismE0ES3_S9_NS6_6detail15normal_iteratorINS6_10device_ptrIfEEEESG_SG_SG_PmS8_22is_equal_div_10_reduceIfEEE10hipError_tPvRmT2_T3_mT4_T5_T6_T7_T8_P12ihipStream_tbENKUlT_T0_E_clISt17integral_constantIbLb0EES10_IbLb1EEEEDaSW_SX_EUlSW_E_NS1_11comp_targetILNS1_3genE10ELNS1_11target_archE1201ELNS1_3gpuE5ELNS1_3repE0EEENS1_30default_config_static_selectorELNS0_4arch9wavefront6targetE0EEEvT1_.kd
    .uniform_work_group_size: 1
    .uses_dynamic_stack: false
    .vgpr_count:     0
    .vgpr_spill_count: 0
    .wavefront_size: 32
    .workgroup_processor_mode: 1
  - .args:
      - .offset:         0
        .size:           120
        .value_kind:     by_value
    .group_segment_fixed_size: 0
    .kernarg_segment_align: 8
    .kernarg_segment_size: 120
    .language:       OpenCL C
    .language_version:
      - 2
      - 0
    .max_flat_workgroup_size: 256
    .name:           _ZN7rocprim17ROCPRIM_400000_NS6detail17trampoline_kernelINS0_14default_configENS1_29reduce_by_key_config_selectorIffN6thrust23THRUST_200600_302600_NS4plusIfEEEEZZNS1_33reduce_by_key_impl_wrapped_configILNS1_25lookback_scan_determinismE0ES3_S9_NS6_6detail15normal_iteratorINS6_10device_ptrIfEEEESG_SG_SG_PmS8_22is_equal_div_10_reduceIfEEE10hipError_tPvRmT2_T3_mT4_T5_T6_T7_T8_P12ihipStream_tbENKUlT_T0_E_clISt17integral_constantIbLb0EES10_IbLb1EEEEDaSW_SX_EUlSW_E_NS1_11comp_targetILNS1_3genE10ELNS1_11target_archE1200ELNS1_3gpuE4ELNS1_3repE0EEENS1_30default_config_static_selectorELNS0_4arch9wavefront6targetE0EEEvT1_
    .private_segment_fixed_size: 0
    .sgpr_count:     0
    .sgpr_spill_count: 0
    .symbol:         _ZN7rocprim17ROCPRIM_400000_NS6detail17trampoline_kernelINS0_14default_configENS1_29reduce_by_key_config_selectorIffN6thrust23THRUST_200600_302600_NS4plusIfEEEEZZNS1_33reduce_by_key_impl_wrapped_configILNS1_25lookback_scan_determinismE0ES3_S9_NS6_6detail15normal_iteratorINS6_10device_ptrIfEEEESG_SG_SG_PmS8_22is_equal_div_10_reduceIfEEE10hipError_tPvRmT2_T3_mT4_T5_T6_T7_T8_P12ihipStream_tbENKUlT_T0_E_clISt17integral_constantIbLb0EES10_IbLb1EEEEDaSW_SX_EUlSW_E_NS1_11comp_targetILNS1_3genE10ELNS1_11target_archE1200ELNS1_3gpuE4ELNS1_3repE0EEENS1_30default_config_static_selectorELNS0_4arch9wavefront6targetE0EEEvT1_.kd
    .uniform_work_group_size: 1
    .uses_dynamic_stack: false
    .vgpr_count:     0
    .vgpr_spill_count: 0
    .wavefront_size: 32
    .workgroup_processor_mode: 1
  - .args:
      - .offset:         0
        .size:           120
        .value_kind:     by_value
    .group_segment_fixed_size: 15360
    .kernarg_segment_align: 8
    .kernarg_segment_size: 120
    .language:       OpenCL C
    .language_version:
      - 2
      - 0
    .max_flat_workgroup_size: 256
    .name:           _ZN7rocprim17ROCPRIM_400000_NS6detail17trampoline_kernelINS0_14default_configENS1_29reduce_by_key_config_selectorIffN6thrust23THRUST_200600_302600_NS4plusIfEEEEZZNS1_33reduce_by_key_impl_wrapped_configILNS1_25lookback_scan_determinismE0ES3_S9_NS6_6detail15normal_iteratorINS6_10device_ptrIfEEEESG_SG_SG_PmS8_22is_equal_div_10_reduceIfEEE10hipError_tPvRmT2_T3_mT4_T5_T6_T7_T8_P12ihipStream_tbENKUlT_T0_E_clISt17integral_constantIbLb0EES10_IbLb1EEEEDaSW_SX_EUlSW_E_NS1_11comp_targetILNS1_3genE9ELNS1_11target_archE1100ELNS1_3gpuE3ELNS1_3repE0EEENS1_30default_config_static_selectorELNS0_4arch9wavefront6targetE0EEEvT1_
    .private_segment_fixed_size: 0
    .sgpr_count:     46
    .sgpr_spill_count: 0
    .symbol:         _ZN7rocprim17ROCPRIM_400000_NS6detail17trampoline_kernelINS0_14default_configENS1_29reduce_by_key_config_selectorIffN6thrust23THRUST_200600_302600_NS4plusIfEEEEZZNS1_33reduce_by_key_impl_wrapped_configILNS1_25lookback_scan_determinismE0ES3_S9_NS6_6detail15normal_iteratorINS6_10device_ptrIfEEEESG_SG_SG_PmS8_22is_equal_div_10_reduceIfEEE10hipError_tPvRmT2_T3_mT4_T5_T6_T7_T8_P12ihipStream_tbENKUlT_T0_E_clISt17integral_constantIbLb0EES10_IbLb1EEEEDaSW_SX_EUlSW_E_NS1_11comp_targetILNS1_3genE9ELNS1_11target_archE1100ELNS1_3gpuE3ELNS1_3repE0EEENS1_30default_config_static_selectorELNS0_4arch9wavefront6targetE0EEEvT1_.kd
    .uniform_work_group_size: 1
    .uses_dynamic_stack: false
    .vgpr_count:     85
    .vgpr_spill_count: 0
    .wavefront_size: 32
    .workgroup_processor_mode: 1
  - .args:
      - .offset:         0
        .size:           120
        .value_kind:     by_value
    .group_segment_fixed_size: 0
    .kernarg_segment_align: 8
    .kernarg_segment_size: 120
    .language:       OpenCL C
    .language_version:
      - 2
      - 0
    .max_flat_workgroup_size: 256
    .name:           _ZN7rocprim17ROCPRIM_400000_NS6detail17trampoline_kernelINS0_14default_configENS1_29reduce_by_key_config_selectorIffN6thrust23THRUST_200600_302600_NS4plusIfEEEEZZNS1_33reduce_by_key_impl_wrapped_configILNS1_25lookback_scan_determinismE0ES3_S9_NS6_6detail15normal_iteratorINS6_10device_ptrIfEEEESG_SG_SG_PmS8_22is_equal_div_10_reduceIfEEE10hipError_tPvRmT2_T3_mT4_T5_T6_T7_T8_P12ihipStream_tbENKUlT_T0_E_clISt17integral_constantIbLb0EES10_IbLb1EEEEDaSW_SX_EUlSW_E_NS1_11comp_targetILNS1_3genE8ELNS1_11target_archE1030ELNS1_3gpuE2ELNS1_3repE0EEENS1_30default_config_static_selectorELNS0_4arch9wavefront6targetE0EEEvT1_
    .private_segment_fixed_size: 0
    .sgpr_count:     0
    .sgpr_spill_count: 0
    .symbol:         _ZN7rocprim17ROCPRIM_400000_NS6detail17trampoline_kernelINS0_14default_configENS1_29reduce_by_key_config_selectorIffN6thrust23THRUST_200600_302600_NS4plusIfEEEEZZNS1_33reduce_by_key_impl_wrapped_configILNS1_25lookback_scan_determinismE0ES3_S9_NS6_6detail15normal_iteratorINS6_10device_ptrIfEEEESG_SG_SG_PmS8_22is_equal_div_10_reduceIfEEE10hipError_tPvRmT2_T3_mT4_T5_T6_T7_T8_P12ihipStream_tbENKUlT_T0_E_clISt17integral_constantIbLb0EES10_IbLb1EEEEDaSW_SX_EUlSW_E_NS1_11comp_targetILNS1_3genE8ELNS1_11target_archE1030ELNS1_3gpuE2ELNS1_3repE0EEENS1_30default_config_static_selectorELNS0_4arch9wavefront6targetE0EEEvT1_.kd
    .uniform_work_group_size: 1
    .uses_dynamic_stack: false
    .vgpr_count:     0
    .vgpr_spill_count: 0
    .wavefront_size: 32
    .workgroup_processor_mode: 1
  - .args:
      - .offset:         0
        .size:           16
        .value_kind:     by_value
      - .offset:         16
        .size:           8
        .value_kind:     by_value
      - .offset:         24
        .size:           8
        .value_kind:     by_value
    .group_segment_fixed_size: 0
    .kernarg_segment_align: 8
    .kernarg_segment_size: 32
    .language:       OpenCL C
    .language_version:
      - 2
      - 0
    .max_flat_workgroup_size: 256
    .name:           _ZN6thrust23THRUST_200600_302600_NS11hip_rocprim14__parallel_for6kernelILj256ENS1_20__uninitialized_fill7functorINS0_10device_ptrIyEEyEEmLj1EEEvT0_T1_SA_
    .private_segment_fixed_size: 0
    .sgpr_count:     18
    .sgpr_spill_count: 0
    .symbol:         _ZN6thrust23THRUST_200600_302600_NS11hip_rocprim14__parallel_for6kernelILj256ENS1_20__uninitialized_fill7functorINS0_10device_ptrIyEEyEEmLj1EEEvT0_T1_SA_.kd
    .uniform_work_group_size: 1
    .uses_dynamic_stack: false
    .vgpr_count:     4
    .vgpr_spill_count: 0
    .wavefront_size: 32
    .workgroup_processor_mode: 1
  - .args:
      - .offset:         0
        .size:           24
        .value_kind:     by_value
      - .offset:         24
        .size:           4
        .value_kind:     by_value
      - .offset:         28
        .size:           1
        .value_kind:     by_value
      - .offset:         32
        .size:           4
        .value_kind:     by_value
      - .address_space:  global
        .offset:         40
        .size:           8
        .value_kind:     global_buffer
      - .address_space:  global
        .offset:         48
        .size:           8
        .value_kind:     global_buffer
      - .offset:         56
        .size:           1
        .value_kind:     by_value
      - .offset:         64
        .size:           4
        .value_kind:     hidden_block_count_x
      - .offset:         68
        .size:           4
        .value_kind:     hidden_block_count_y
      - .offset:         72
        .size:           4
        .value_kind:     hidden_block_count_z
      - .offset:         76
        .size:           2
        .value_kind:     hidden_group_size_x
      - .offset:         78
        .size:           2
        .value_kind:     hidden_group_size_y
      - .offset:         80
        .size:           2
        .value_kind:     hidden_group_size_z
      - .offset:         82
        .size:           2
        .value_kind:     hidden_remainder_x
      - .offset:         84
        .size:           2
        .value_kind:     hidden_remainder_y
      - .offset:         86
        .size:           2
        .value_kind:     hidden_remainder_z
      - .offset:         104
        .size:           8
        .value_kind:     hidden_global_offset_x
      - .offset:         112
        .size:           8
        .value_kind:     hidden_global_offset_y
      - .offset:         120
        .size:           8
        .value_kind:     hidden_global_offset_z
      - .offset:         128
        .size:           2
        .value_kind:     hidden_grid_dims
    .group_segment_fixed_size: 0
    .kernarg_segment_align: 8
    .kernarg_segment_size: 320
    .language:       OpenCL C
    .language_version:
      - 2
      - 0
    .max_flat_workgroup_size: 256
    .name:           _ZN7rocprim17ROCPRIM_400000_NS6detail25reduce_by_key_init_kernelINS1_19lookback_scan_stateINS0_5tupleIJjyEEELb0ELb0EEEyNS1_16block_id_wrapperIjLb0EEEEEvT_jbjPmPT0_T1_
    .private_segment_fixed_size: 0
    .sgpr_count:     19
    .sgpr_spill_count: 0
    .symbol:         _ZN7rocprim17ROCPRIM_400000_NS6detail25reduce_by_key_init_kernelINS1_19lookback_scan_stateINS0_5tupleIJjyEEELb0ELb0EEEyNS1_16block_id_wrapperIjLb0EEEEEvT_jbjPmPT0_T1_.kd
    .uniform_work_group_size: 1
    .uses_dynamic_stack: false
    .vgpr_count:     7
    .vgpr_spill_count: 0
    .wavefront_size: 32
    .workgroup_processor_mode: 1
  - .args:
      - .offset:         0
        .size:           136
        .value_kind:     by_value
    .group_segment_fixed_size: 0
    .kernarg_segment_align: 8
    .kernarg_segment_size: 136
    .language:       OpenCL C
    .language_version:
      - 2
      - 0
    .max_flat_workgroup_size: 256
    .name:           _ZN7rocprim17ROCPRIM_400000_NS6detail17trampoline_kernelINS0_14default_configENS1_29reduce_by_key_config_selectorIyyN6thrust23THRUST_200600_302600_NS4plusIyEEEEZZNS1_33reduce_by_key_impl_wrapped_configILNS1_25lookback_scan_determinismE0ES3_S9_NS6_6detail15normal_iteratorINS6_10device_ptrIyEEEESG_SG_SG_PmS8_NS6_8equal_toIyEEEE10hipError_tPvRmT2_T3_mT4_T5_T6_T7_T8_P12ihipStream_tbENKUlT_T0_E_clISt17integral_constantIbLb0EES11_EEDaSW_SX_EUlSW_E_NS1_11comp_targetILNS1_3genE0ELNS1_11target_archE4294967295ELNS1_3gpuE0ELNS1_3repE0EEENS1_30default_config_static_selectorELNS0_4arch9wavefront6targetE0EEEvT1_
    .private_segment_fixed_size: 0
    .sgpr_count:     0
    .sgpr_spill_count: 0
    .symbol:         _ZN7rocprim17ROCPRIM_400000_NS6detail17trampoline_kernelINS0_14default_configENS1_29reduce_by_key_config_selectorIyyN6thrust23THRUST_200600_302600_NS4plusIyEEEEZZNS1_33reduce_by_key_impl_wrapped_configILNS1_25lookback_scan_determinismE0ES3_S9_NS6_6detail15normal_iteratorINS6_10device_ptrIyEEEESG_SG_SG_PmS8_NS6_8equal_toIyEEEE10hipError_tPvRmT2_T3_mT4_T5_T6_T7_T8_P12ihipStream_tbENKUlT_T0_E_clISt17integral_constantIbLb0EES11_EEDaSW_SX_EUlSW_E_NS1_11comp_targetILNS1_3genE0ELNS1_11target_archE4294967295ELNS1_3gpuE0ELNS1_3repE0EEENS1_30default_config_static_selectorELNS0_4arch9wavefront6targetE0EEEvT1_.kd
    .uniform_work_group_size: 1
    .uses_dynamic_stack: false
    .vgpr_count:     0
    .vgpr_spill_count: 0
    .wavefront_size: 32
    .workgroup_processor_mode: 1
  - .args:
      - .offset:         0
        .size:           136
        .value_kind:     by_value
    .group_segment_fixed_size: 0
    .kernarg_segment_align: 8
    .kernarg_segment_size: 136
    .language:       OpenCL C
    .language_version:
      - 2
      - 0
    .max_flat_workgroup_size: 256
    .name:           _ZN7rocprim17ROCPRIM_400000_NS6detail17trampoline_kernelINS0_14default_configENS1_29reduce_by_key_config_selectorIyyN6thrust23THRUST_200600_302600_NS4plusIyEEEEZZNS1_33reduce_by_key_impl_wrapped_configILNS1_25lookback_scan_determinismE0ES3_S9_NS6_6detail15normal_iteratorINS6_10device_ptrIyEEEESG_SG_SG_PmS8_NS6_8equal_toIyEEEE10hipError_tPvRmT2_T3_mT4_T5_T6_T7_T8_P12ihipStream_tbENKUlT_T0_E_clISt17integral_constantIbLb0EES11_EEDaSW_SX_EUlSW_E_NS1_11comp_targetILNS1_3genE5ELNS1_11target_archE942ELNS1_3gpuE9ELNS1_3repE0EEENS1_30default_config_static_selectorELNS0_4arch9wavefront6targetE0EEEvT1_
    .private_segment_fixed_size: 0
    .sgpr_count:     0
    .sgpr_spill_count: 0
    .symbol:         _ZN7rocprim17ROCPRIM_400000_NS6detail17trampoline_kernelINS0_14default_configENS1_29reduce_by_key_config_selectorIyyN6thrust23THRUST_200600_302600_NS4plusIyEEEEZZNS1_33reduce_by_key_impl_wrapped_configILNS1_25lookback_scan_determinismE0ES3_S9_NS6_6detail15normal_iteratorINS6_10device_ptrIyEEEESG_SG_SG_PmS8_NS6_8equal_toIyEEEE10hipError_tPvRmT2_T3_mT4_T5_T6_T7_T8_P12ihipStream_tbENKUlT_T0_E_clISt17integral_constantIbLb0EES11_EEDaSW_SX_EUlSW_E_NS1_11comp_targetILNS1_3genE5ELNS1_11target_archE942ELNS1_3gpuE9ELNS1_3repE0EEENS1_30default_config_static_selectorELNS0_4arch9wavefront6targetE0EEEvT1_.kd
    .uniform_work_group_size: 1
    .uses_dynamic_stack: false
    .vgpr_count:     0
    .vgpr_spill_count: 0
    .wavefront_size: 32
    .workgroup_processor_mode: 1
  - .args:
      - .offset:         0
        .size:           136
        .value_kind:     by_value
    .group_segment_fixed_size: 0
    .kernarg_segment_align: 8
    .kernarg_segment_size: 136
    .language:       OpenCL C
    .language_version:
      - 2
      - 0
    .max_flat_workgroup_size: 256
    .name:           _ZN7rocprim17ROCPRIM_400000_NS6detail17trampoline_kernelINS0_14default_configENS1_29reduce_by_key_config_selectorIyyN6thrust23THRUST_200600_302600_NS4plusIyEEEEZZNS1_33reduce_by_key_impl_wrapped_configILNS1_25lookback_scan_determinismE0ES3_S9_NS6_6detail15normal_iteratorINS6_10device_ptrIyEEEESG_SG_SG_PmS8_NS6_8equal_toIyEEEE10hipError_tPvRmT2_T3_mT4_T5_T6_T7_T8_P12ihipStream_tbENKUlT_T0_E_clISt17integral_constantIbLb0EES11_EEDaSW_SX_EUlSW_E_NS1_11comp_targetILNS1_3genE4ELNS1_11target_archE910ELNS1_3gpuE8ELNS1_3repE0EEENS1_30default_config_static_selectorELNS0_4arch9wavefront6targetE0EEEvT1_
    .private_segment_fixed_size: 0
    .sgpr_count:     0
    .sgpr_spill_count: 0
    .symbol:         _ZN7rocprim17ROCPRIM_400000_NS6detail17trampoline_kernelINS0_14default_configENS1_29reduce_by_key_config_selectorIyyN6thrust23THRUST_200600_302600_NS4plusIyEEEEZZNS1_33reduce_by_key_impl_wrapped_configILNS1_25lookback_scan_determinismE0ES3_S9_NS6_6detail15normal_iteratorINS6_10device_ptrIyEEEESG_SG_SG_PmS8_NS6_8equal_toIyEEEE10hipError_tPvRmT2_T3_mT4_T5_T6_T7_T8_P12ihipStream_tbENKUlT_T0_E_clISt17integral_constantIbLb0EES11_EEDaSW_SX_EUlSW_E_NS1_11comp_targetILNS1_3genE4ELNS1_11target_archE910ELNS1_3gpuE8ELNS1_3repE0EEENS1_30default_config_static_selectorELNS0_4arch9wavefront6targetE0EEEvT1_.kd
    .uniform_work_group_size: 1
    .uses_dynamic_stack: false
    .vgpr_count:     0
    .vgpr_spill_count: 0
    .wavefront_size: 32
    .workgroup_processor_mode: 1
  - .args:
      - .offset:         0
        .size:           136
        .value_kind:     by_value
    .group_segment_fixed_size: 0
    .kernarg_segment_align: 8
    .kernarg_segment_size: 136
    .language:       OpenCL C
    .language_version:
      - 2
      - 0
    .max_flat_workgroup_size: 256
    .name:           _ZN7rocprim17ROCPRIM_400000_NS6detail17trampoline_kernelINS0_14default_configENS1_29reduce_by_key_config_selectorIyyN6thrust23THRUST_200600_302600_NS4plusIyEEEEZZNS1_33reduce_by_key_impl_wrapped_configILNS1_25lookback_scan_determinismE0ES3_S9_NS6_6detail15normal_iteratorINS6_10device_ptrIyEEEESG_SG_SG_PmS8_NS6_8equal_toIyEEEE10hipError_tPvRmT2_T3_mT4_T5_T6_T7_T8_P12ihipStream_tbENKUlT_T0_E_clISt17integral_constantIbLb0EES11_EEDaSW_SX_EUlSW_E_NS1_11comp_targetILNS1_3genE3ELNS1_11target_archE908ELNS1_3gpuE7ELNS1_3repE0EEENS1_30default_config_static_selectorELNS0_4arch9wavefront6targetE0EEEvT1_
    .private_segment_fixed_size: 0
    .sgpr_count:     0
    .sgpr_spill_count: 0
    .symbol:         _ZN7rocprim17ROCPRIM_400000_NS6detail17trampoline_kernelINS0_14default_configENS1_29reduce_by_key_config_selectorIyyN6thrust23THRUST_200600_302600_NS4plusIyEEEEZZNS1_33reduce_by_key_impl_wrapped_configILNS1_25lookback_scan_determinismE0ES3_S9_NS6_6detail15normal_iteratorINS6_10device_ptrIyEEEESG_SG_SG_PmS8_NS6_8equal_toIyEEEE10hipError_tPvRmT2_T3_mT4_T5_T6_T7_T8_P12ihipStream_tbENKUlT_T0_E_clISt17integral_constantIbLb0EES11_EEDaSW_SX_EUlSW_E_NS1_11comp_targetILNS1_3genE3ELNS1_11target_archE908ELNS1_3gpuE7ELNS1_3repE0EEENS1_30default_config_static_selectorELNS0_4arch9wavefront6targetE0EEEvT1_.kd
    .uniform_work_group_size: 1
    .uses_dynamic_stack: false
    .vgpr_count:     0
    .vgpr_spill_count: 0
    .wavefront_size: 32
    .workgroup_processor_mode: 1
  - .args:
      - .offset:         0
        .size:           136
        .value_kind:     by_value
    .group_segment_fixed_size: 0
    .kernarg_segment_align: 8
    .kernarg_segment_size: 136
    .language:       OpenCL C
    .language_version:
      - 2
      - 0
    .max_flat_workgroup_size: 256
    .name:           _ZN7rocprim17ROCPRIM_400000_NS6detail17trampoline_kernelINS0_14default_configENS1_29reduce_by_key_config_selectorIyyN6thrust23THRUST_200600_302600_NS4plusIyEEEEZZNS1_33reduce_by_key_impl_wrapped_configILNS1_25lookback_scan_determinismE0ES3_S9_NS6_6detail15normal_iteratorINS6_10device_ptrIyEEEESG_SG_SG_PmS8_NS6_8equal_toIyEEEE10hipError_tPvRmT2_T3_mT4_T5_T6_T7_T8_P12ihipStream_tbENKUlT_T0_E_clISt17integral_constantIbLb0EES11_EEDaSW_SX_EUlSW_E_NS1_11comp_targetILNS1_3genE2ELNS1_11target_archE906ELNS1_3gpuE6ELNS1_3repE0EEENS1_30default_config_static_selectorELNS0_4arch9wavefront6targetE0EEEvT1_
    .private_segment_fixed_size: 0
    .sgpr_count:     0
    .sgpr_spill_count: 0
    .symbol:         _ZN7rocprim17ROCPRIM_400000_NS6detail17trampoline_kernelINS0_14default_configENS1_29reduce_by_key_config_selectorIyyN6thrust23THRUST_200600_302600_NS4plusIyEEEEZZNS1_33reduce_by_key_impl_wrapped_configILNS1_25lookback_scan_determinismE0ES3_S9_NS6_6detail15normal_iteratorINS6_10device_ptrIyEEEESG_SG_SG_PmS8_NS6_8equal_toIyEEEE10hipError_tPvRmT2_T3_mT4_T5_T6_T7_T8_P12ihipStream_tbENKUlT_T0_E_clISt17integral_constantIbLb0EES11_EEDaSW_SX_EUlSW_E_NS1_11comp_targetILNS1_3genE2ELNS1_11target_archE906ELNS1_3gpuE6ELNS1_3repE0EEENS1_30default_config_static_selectorELNS0_4arch9wavefront6targetE0EEEvT1_.kd
    .uniform_work_group_size: 1
    .uses_dynamic_stack: false
    .vgpr_count:     0
    .vgpr_spill_count: 0
    .wavefront_size: 32
    .workgroup_processor_mode: 1
  - .args:
      - .offset:         0
        .size:           136
        .value_kind:     by_value
    .group_segment_fixed_size: 0
    .kernarg_segment_align: 8
    .kernarg_segment_size: 136
    .language:       OpenCL C
    .language_version:
      - 2
      - 0
    .max_flat_workgroup_size: 256
    .name:           _ZN7rocprim17ROCPRIM_400000_NS6detail17trampoline_kernelINS0_14default_configENS1_29reduce_by_key_config_selectorIyyN6thrust23THRUST_200600_302600_NS4plusIyEEEEZZNS1_33reduce_by_key_impl_wrapped_configILNS1_25lookback_scan_determinismE0ES3_S9_NS6_6detail15normal_iteratorINS6_10device_ptrIyEEEESG_SG_SG_PmS8_NS6_8equal_toIyEEEE10hipError_tPvRmT2_T3_mT4_T5_T6_T7_T8_P12ihipStream_tbENKUlT_T0_E_clISt17integral_constantIbLb0EES11_EEDaSW_SX_EUlSW_E_NS1_11comp_targetILNS1_3genE10ELNS1_11target_archE1201ELNS1_3gpuE5ELNS1_3repE0EEENS1_30default_config_static_selectorELNS0_4arch9wavefront6targetE0EEEvT1_
    .private_segment_fixed_size: 0
    .sgpr_count:     0
    .sgpr_spill_count: 0
    .symbol:         _ZN7rocprim17ROCPRIM_400000_NS6detail17trampoline_kernelINS0_14default_configENS1_29reduce_by_key_config_selectorIyyN6thrust23THRUST_200600_302600_NS4plusIyEEEEZZNS1_33reduce_by_key_impl_wrapped_configILNS1_25lookback_scan_determinismE0ES3_S9_NS6_6detail15normal_iteratorINS6_10device_ptrIyEEEESG_SG_SG_PmS8_NS6_8equal_toIyEEEE10hipError_tPvRmT2_T3_mT4_T5_T6_T7_T8_P12ihipStream_tbENKUlT_T0_E_clISt17integral_constantIbLb0EES11_EEDaSW_SX_EUlSW_E_NS1_11comp_targetILNS1_3genE10ELNS1_11target_archE1201ELNS1_3gpuE5ELNS1_3repE0EEENS1_30default_config_static_selectorELNS0_4arch9wavefront6targetE0EEEvT1_.kd
    .uniform_work_group_size: 1
    .uses_dynamic_stack: false
    .vgpr_count:     0
    .vgpr_spill_count: 0
    .wavefront_size: 32
    .workgroup_processor_mode: 1
  - .args:
      - .offset:         0
        .size:           136
        .value_kind:     by_value
    .group_segment_fixed_size: 0
    .kernarg_segment_align: 8
    .kernarg_segment_size: 136
    .language:       OpenCL C
    .language_version:
      - 2
      - 0
    .max_flat_workgroup_size: 256
    .name:           _ZN7rocprim17ROCPRIM_400000_NS6detail17trampoline_kernelINS0_14default_configENS1_29reduce_by_key_config_selectorIyyN6thrust23THRUST_200600_302600_NS4plusIyEEEEZZNS1_33reduce_by_key_impl_wrapped_configILNS1_25lookback_scan_determinismE0ES3_S9_NS6_6detail15normal_iteratorINS6_10device_ptrIyEEEESG_SG_SG_PmS8_NS6_8equal_toIyEEEE10hipError_tPvRmT2_T3_mT4_T5_T6_T7_T8_P12ihipStream_tbENKUlT_T0_E_clISt17integral_constantIbLb0EES11_EEDaSW_SX_EUlSW_E_NS1_11comp_targetILNS1_3genE10ELNS1_11target_archE1200ELNS1_3gpuE4ELNS1_3repE0EEENS1_30default_config_static_selectorELNS0_4arch9wavefront6targetE0EEEvT1_
    .private_segment_fixed_size: 0
    .sgpr_count:     0
    .sgpr_spill_count: 0
    .symbol:         _ZN7rocprim17ROCPRIM_400000_NS6detail17trampoline_kernelINS0_14default_configENS1_29reduce_by_key_config_selectorIyyN6thrust23THRUST_200600_302600_NS4plusIyEEEEZZNS1_33reduce_by_key_impl_wrapped_configILNS1_25lookback_scan_determinismE0ES3_S9_NS6_6detail15normal_iteratorINS6_10device_ptrIyEEEESG_SG_SG_PmS8_NS6_8equal_toIyEEEE10hipError_tPvRmT2_T3_mT4_T5_T6_T7_T8_P12ihipStream_tbENKUlT_T0_E_clISt17integral_constantIbLb0EES11_EEDaSW_SX_EUlSW_E_NS1_11comp_targetILNS1_3genE10ELNS1_11target_archE1200ELNS1_3gpuE4ELNS1_3repE0EEENS1_30default_config_static_selectorELNS0_4arch9wavefront6targetE0EEEvT1_.kd
    .uniform_work_group_size: 1
    .uses_dynamic_stack: false
    .vgpr_count:     0
    .vgpr_spill_count: 0
    .wavefront_size: 32
    .workgroup_processor_mode: 1
  - .args:
      - .offset:         0
        .size:           136
        .value_kind:     by_value
    .group_segment_fixed_size: 30720
    .kernarg_segment_align: 8
    .kernarg_segment_size: 136
    .language:       OpenCL C
    .language_version:
      - 2
      - 0
    .max_flat_workgroup_size: 256
    .name:           _ZN7rocprim17ROCPRIM_400000_NS6detail17trampoline_kernelINS0_14default_configENS1_29reduce_by_key_config_selectorIyyN6thrust23THRUST_200600_302600_NS4plusIyEEEEZZNS1_33reduce_by_key_impl_wrapped_configILNS1_25lookback_scan_determinismE0ES3_S9_NS6_6detail15normal_iteratorINS6_10device_ptrIyEEEESG_SG_SG_PmS8_NS6_8equal_toIyEEEE10hipError_tPvRmT2_T3_mT4_T5_T6_T7_T8_P12ihipStream_tbENKUlT_T0_E_clISt17integral_constantIbLb0EES11_EEDaSW_SX_EUlSW_E_NS1_11comp_targetILNS1_3genE9ELNS1_11target_archE1100ELNS1_3gpuE3ELNS1_3repE0EEENS1_30default_config_static_selectorELNS0_4arch9wavefront6targetE0EEEvT1_
    .private_segment_fixed_size: 0
    .sgpr_count:     54
    .sgpr_spill_count: 0
    .symbol:         _ZN7rocprim17ROCPRIM_400000_NS6detail17trampoline_kernelINS0_14default_configENS1_29reduce_by_key_config_selectorIyyN6thrust23THRUST_200600_302600_NS4plusIyEEEEZZNS1_33reduce_by_key_impl_wrapped_configILNS1_25lookback_scan_determinismE0ES3_S9_NS6_6detail15normal_iteratorINS6_10device_ptrIyEEEESG_SG_SG_PmS8_NS6_8equal_toIyEEEE10hipError_tPvRmT2_T3_mT4_T5_T6_T7_T8_P12ihipStream_tbENKUlT_T0_E_clISt17integral_constantIbLb0EES11_EEDaSW_SX_EUlSW_E_NS1_11comp_targetILNS1_3genE9ELNS1_11target_archE1100ELNS1_3gpuE3ELNS1_3repE0EEENS1_30default_config_static_selectorELNS0_4arch9wavefront6targetE0EEEvT1_.kd
    .uniform_work_group_size: 1
    .uses_dynamic_stack: false
    .vgpr_count:     121
    .vgpr_spill_count: 0
    .wavefront_size: 32
    .workgroup_processor_mode: 1
  - .args:
      - .offset:         0
        .size:           136
        .value_kind:     by_value
    .group_segment_fixed_size: 0
    .kernarg_segment_align: 8
    .kernarg_segment_size: 136
    .language:       OpenCL C
    .language_version:
      - 2
      - 0
    .max_flat_workgroup_size: 256
    .name:           _ZN7rocprim17ROCPRIM_400000_NS6detail17trampoline_kernelINS0_14default_configENS1_29reduce_by_key_config_selectorIyyN6thrust23THRUST_200600_302600_NS4plusIyEEEEZZNS1_33reduce_by_key_impl_wrapped_configILNS1_25lookback_scan_determinismE0ES3_S9_NS6_6detail15normal_iteratorINS6_10device_ptrIyEEEESG_SG_SG_PmS8_NS6_8equal_toIyEEEE10hipError_tPvRmT2_T3_mT4_T5_T6_T7_T8_P12ihipStream_tbENKUlT_T0_E_clISt17integral_constantIbLb0EES11_EEDaSW_SX_EUlSW_E_NS1_11comp_targetILNS1_3genE8ELNS1_11target_archE1030ELNS1_3gpuE2ELNS1_3repE0EEENS1_30default_config_static_selectorELNS0_4arch9wavefront6targetE0EEEvT1_
    .private_segment_fixed_size: 0
    .sgpr_count:     0
    .sgpr_spill_count: 0
    .symbol:         _ZN7rocprim17ROCPRIM_400000_NS6detail17trampoline_kernelINS0_14default_configENS1_29reduce_by_key_config_selectorIyyN6thrust23THRUST_200600_302600_NS4plusIyEEEEZZNS1_33reduce_by_key_impl_wrapped_configILNS1_25lookback_scan_determinismE0ES3_S9_NS6_6detail15normal_iteratorINS6_10device_ptrIyEEEESG_SG_SG_PmS8_NS6_8equal_toIyEEEE10hipError_tPvRmT2_T3_mT4_T5_T6_T7_T8_P12ihipStream_tbENKUlT_T0_E_clISt17integral_constantIbLb0EES11_EEDaSW_SX_EUlSW_E_NS1_11comp_targetILNS1_3genE8ELNS1_11target_archE1030ELNS1_3gpuE2ELNS1_3repE0EEENS1_30default_config_static_selectorELNS0_4arch9wavefront6targetE0EEEvT1_.kd
    .uniform_work_group_size: 1
    .uses_dynamic_stack: false
    .vgpr_count:     0
    .vgpr_spill_count: 0
    .wavefront_size: 32
    .workgroup_processor_mode: 1
  - .args:
      - .offset:         0
        .size:           24
        .value_kind:     by_value
      - .offset:         24
        .size:           4
        .value_kind:     by_value
      - .offset:         28
        .size:           1
        .value_kind:     by_value
      - .offset:         32
        .size:           4
        .value_kind:     by_value
      - .address_space:  global
        .offset:         40
        .size:           8
        .value_kind:     global_buffer
      - .address_space:  global
        .offset:         48
        .size:           8
        .value_kind:     global_buffer
      - .address_space:  global
        .offset:         56
        .size:           8
        .value_kind:     global_buffer
      - .offset:         64
        .size:           4
        .value_kind:     hidden_block_count_x
      - .offset:         68
        .size:           4
        .value_kind:     hidden_block_count_y
      - .offset:         72
        .size:           4
        .value_kind:     hidden_block_count_z
      - .offset:         76
        .size:           2
        .value_kind:     hidden_group_size_x
      - .offset:         78
        .size:           2
        .value_kind:     hidden_group_size_y
      - .offset:         80
        .size:           2
        .value_kind:     hidden_group_size_z
      - .offset:         82
        .size:           2
        .value_kind:     hidden_remainder_x
      - .offset:         84
        .size:           2
        .value_kind:     hidden_remainder_y
      - .offset:         86
        .size:           2
        .value_kind:     hidden_remainder_z
      - .offset:         104
        .size:           8
        .value_kind:     hidden_global_offset_x
      - .offset:         112
        .size:           8
        .value_kind:     hidden_global_offset_y
      - .offset:         120
        .size:           8
        .value_kind:     hidden_global_offset_z
      - .offset:         128
        .size:           2
        .value_kind:     hidden_grid_dims
    .group_segment_fixed_size: 0
    .kernarg_segment_align: 8
    .kernarg_segment_size: 320
    .language:       OpenCL C
    .language_version:
      - 2
      - 0
    .max_flat_workgroup_size: 256
    .name:           _ZN7rocprim17ROCPRIM_400000_NS6detail25reduce_by_key_init_kernelINS1_19lookback_scan_stateINS0_5tupleIJjyEEELb1ELb0EEEyNS1_16block_id_wrapperIjLb1EEEEEvT_jbjPmPT0_T1_
    .private_segment_fixed_size: 0
    .sgpr_count:     22
    .sgpr_spill_count: 0
    .symbol:         _ZN7rocprim17ROCPRIM_400000_NS6detail25reduce_by_key_init_kernelINS1_19lookback_scan_stateINS0_5tupleIJjyEEELb1ELb0EEEyNS1_16block_id_wrapperIjLb1EEEEEvT_jbjPmPT0_T1_.kd
    .uniform_work_group_size: 1
    .uses_dynamic_stack: false
    .vgpr_count:     7
    .vgpr_spill_count: 0
    .wavefront_size: 32
    .workgroup_processor_mode: 1
  - .args:
      - .offset:         0
        .size:           136
        .value_kind:     by_value
    .group_segment_fixed_size: 0
    .kernarg_segment_align: 8
    .kernarg_segment_size: 136
    .language:       OpenCL C
    .language_version:
      - 2
      - 0
    .max_flat_workgroup_size: 256
    .name:           _ZN7rocprim17ROCPRIM_400000_NS6detail17trampoline_kernelINS0_14default_configENS1_29reduce_by_key_config_selectorIyyN6thrust23THRUST_200600_302600_NS4plusIyEEEEZZNS1_33reduce_by_key_impl_wrapped_configILNS1_25lookback_scan_determinismE0ES3_S9_NS6_6detail15normal_iteratorINS6_10device_ptrIyEEEESG_SG_SG_PmS8_NS6_8equal_toIyEEEE10hipError_tPvRmT2_T3_mT4_T5_T6_T7_T8_P12ihipStream_tbENKUlT_T0_E_clISt17integral_constantIbLb1EES11_EEDaSW_SX_EUlSW_E_NS1_11comp_targetILNS1_3genE0ELNS1_11target_archE4294967295ELNS1_3gpuE0ELNS1_3repE0EEENS1_30default_config_static_selectorELNS0_4arch9wavefront6targetE0EEEvT1_
    .private_segment_fixed_size: 0
    .sgpr_count:     0
    .sgpr_spill_count: 0
    .symbol:         _ZN7rocprim17ROCPRIM_400000_NS6detail17trampoline_kernelINS0_14default_configENS1_29reduce_by_key_config_selectorIyyN6thrust23THRUST_200600_302600_NS4plusIyEEEEZZNS1_33reduce_by_key_impl_wrapped_configILNS1_25lookback_scan_determinismE0ES3_S9_NS6_6detail15normal_iteratorINS6_10device_ptrIyEEEESG_SG_SG_PmS8_NS6_8equal_toIyEEEE10hipError_tPvRmT2_T3_mT4_T5_T6_T7_T8_P12ihipStream_tbENKUlT_T0_E_clISt17integral_constantIbLb1EES11_EEDaSW_SX_EUlSW_E_NS1_11comp_targetILNS1_3genE0ELNS1_11target_archE4294967295ELNS1_3gpuE0ELNS1_3repE0EEENS1_30default_config_static_selectorELNS0_4arch9wavefront6targetE0EEEvT1_.kd
    .uniform_work_group_size: 1
    .uses_dynamic_stack: false
    .vgpr_count:     0
    .vgpr_spill_count: 0
    .wavefront_size: 32
    .workgroup_processor_mode: 1
  - .args:
      - .offset:         0
        .size:           136
        .value_kind:     by_value
    .group_segment_fixed_size: 0
    .kernarg_segment_align: 8
    .kernarg_segment_size: 136
    .language:       OpenCL C
    .language_version:
      - 2
      - 0
    .max_flat_workgroup_size: 256
    .name:           _ZN7rocprim17ROCPRIM_400000_NS6detail17trampoline_kernelINS0_14default_configENS1_29reduce_by_key_config_selectorIyyN6thrust23THRUST_200600_302600_NS4plusIyEEEEZZNS1_33reduce_by_key_impl_wrapped_configILNS1_25lookback_scan_determinismE0ES3_S9_NS6_6detail15normal_iteratorINS6_10device_ptrIyEEEESG_SG_SG_PmS8_NS6_8equal_toIyEEEE10hipError_tPvRmT2_T3_mT4_T5_T6_T7_T8_P12ihipStream_tbENKUlT_T0_E_clISt17integral_constantIbLb1EES11_EEDaSW_SX_EUlSW_E_NS1_11comp_targetILNS1_3genE5ELNS1_11target_archE942ELNS1_3gpuE9ELNS1_3repE0EEENS1_30default_config_static_selectorELNS0_4arch9wavefront6targetE0EEEvT1_
    .private_segment_fixed_size: 0
    .sgpr_count:     0
    .sgpr_spill_count: 0
    .symbol:         _ZN7rocprim17ROCPRIM_400000_NS6detail17trampoline_kernelINS0_14default_configENS1_29reduce_by_key_config_selectorIyyN6thrust23THRUST_200600_302600_NS4plusIyEEEEZZNS1_33reduce_by_key_impl_wrapped_configILNS1_25lookback_scan_determinismE0ES3_S9_NS6_6detail15normal_iteratorINS6_10device_ptrIyEEEESG_SG_SG_PmS8_NS6_8equal_toIyEEEE10hipError_tPvRmT2_T3_mT4_T5_T6_T7_T8_P12ihipStream_tbENKUlT_T0_E_clISt17integral_constantIbLb1EES11_EEDaSW_SX_EUlSW_E_NS1_11comp_targetILNS1_3genE5ELNS1_11target_archE942ELNS1_3gpuE9ELNS1_3repE0EEENS1_30default_config_static_selectorELNS0_4arch9wavefront6targetE0EEEvT1_.kd
    .uniform_work_group_size: 1
    .uses_dynamic_stack: false
    .vgpr_count:     0
    .vgpr_spill_count: 0
    .wavefront_size: 32
    .workgroup_processor_mode: 1
  - .args:
      - .offset:         0
        .size:           136
        .value_kind:     by_value
    .group_segment_fixed_size: 0
    .kernarg_segment_align: 8
    .kernarg_segment_size: 136
    .language:       OpenCL C
    .language_version:
      - 2
      - 0
    .max_flat_workgroup_size: 256
    .name:           _ZN7rocprim17ROCPRIM_400000_NS6detail17trampoline_kernelINS0_14default_configENS1_29reduce_by_key_config_selectorIyyN6thrust23THRUST_200600_302600_NS4plusIyEEEEZZNS1_33reduce_by_key_impl_wrapped_configILNS1_25lookback_scan_determinismE0ES3_S9_NS6_6detail15normal_iteratorINS6_10device_ptrIyEEEESG_SG_SG_PmS8_NS6_8equal_toIyEEEE10hipError_tPvRmT2_T3_mT4_T5_T6_T7_T8_P12ihipStream_tbENKUlT_T0_E_clISt17integral_constantIbLb1EES11_EEDaSW_SX_EUlSW_E_NS1_11comp_targetILNS1_3genE4ELNS1_11target_archE910ELNS1_3gpuE8ELNS1_3repE0EEENS1_30default_config_static_selectorELNS0_4arch9wavefront6targetE0EEEvT1_
    .private_segment_fixed_size: 0
    .sgpr_count:     0
    .sgpr_spill_count: 0
    .symbol:         _ZN7rocprim17ROCPRIM_400000_NS6detail17trampoline_kernelINS0_14default_configENS1_29reduce_by_key_config_selectorIyyN6thrust23THRUST_200600_302600_NS4plusIyEEEEZZNS1_33reduce_by_key_impl_wrapped_configILNS1_25lookback_scan_determinismE0ES3_S9_NS6_6detail15normal_iteratorINS6_10device_ptrIyEEEESG_SG_SG_PmS8_NS6_8equal_toIyEEEE10hipError_tPvRmT2_T3_mT4_T5_T6_T7_T8_P12ihipStream_tbENKUlT_T0_E_clISt17integral_constantIbLb1EES11_EEDaSW_SX_EUlSW_E_NS1_11comp_targetILNS1_3genE4ELNS1_11target_archE910ELNS1_3gpuE8ELNS1_3repE0EEENS1_30default_config_static_selectorELNS0_4arch9wavefront6targetE0EEEvT1_.kd
    .uniform_work_group_size: 1
    .uses_dynamic_stack: false
    .vgpr_count:     0
    .vgpr_spill_count: 0
    .wavefront_size: 32
    .workgroup_processor_mode: 1
  - .args:
      - .offset:         0
        .size:           136
        .value_kind:     by_value
    .group_segment_fixed_size: 0
    .kernarg_segment_align: 8
    .kernarg_segment_size: 136
    .language:       OpenCL C
    .language_version:
      - 2
      - 0
    .max_flat_workgroup_size: 256
    .name:           _ZN7rocprim17ROCPRIM_400000_NS6detail17trampoline_kernelINS0_14default_configENS1_29reduce_by_key_config_selectorIyyN6thrust23THRUST_200600_302600_NS4plusIyEEEEZZNS1_33reduce_by_key_impl_wrapped_configILNS1_25lookback_scan_determinismE0ES3_S9_NS6_6detail15normal_iteratorINS6_10device_ptrIyEEEESG_SG_SG_PmS8_NS6_8equal_toIyEEEE10hipError_tPvRmT2_T3_mT4_T5_T6_T7_T8_P12ihipStream_tbENKUlT_T0_E_clISt17integral_constantIbLb1EES11_EEDaSW_SX_EUlSW_E_NS1_11comp_targetILNS1_3genE3ELNS1_11target_archE908ELNS1_3gpuE7ELNS1_3repE0EEENS1_30default_config_static_selectorELNS0_4arch9wavefront6targetE0EEEvT1_
    .private_segment_fixed_size: 0
    .sgpr_count:     0
    .sgpr_spill_count: 0
    .symbol:         _ZN7rocprim17ROCPRIM_400000_NS6detail17trampoline_kernelINS0_14default_configENS1_29reduce_by_key_config_selectorIyyN6thrust23THRUST_200600_302600_NS4plusIyEEEEZZNS1_33reduce_by_key_impl_wrapped_configILNS1_25lookback_scan_determinismE0ES3_S9_NS6_6detail15normal_iteratorINS6_10device_ptrIyEEEESG_SG_SG_PmS8_NS6_8equal_toIyEEEE10hipError_tPvRmT2_T3_mT4_T5_T6_T7_T8_P12ihipStream_tbENKUlT_T0_E_clISt17integral_constantIbLb1EES11_EEDaSW_SX_EUlSW_E_NS1_11comp_targetILNS1_3genE3ELNS1_11target_archE908ELNS1_3gpuE7ELNS1_3repE0EEENS1_30default_config_static_selectorELNS0_4arch9wavefront6targetE0EEEvT1_.kd
    .uniform_work_group_size: 1
    .uses_dynamic_stack: false
    .vgpr_count:     0
    .vgpr_spill_count: 0
    .wavefront_size: 32
    .workgroup_processor_mode: 1
  - .args:
      - .offset:         0
        .size:           136
        .value_kind:     by_value
    .group_segment_fixed_size: 0
    .kernarg_segment_align: 8
    .kernarg_segment_size: 136
    .language:       OpenCL C
    .language_version:
      - 2
      - 0
    .max_flat_workgroup_size: 256
    .name:           _ZN7rocprim17ROCPRIM_400000_NS6detail17trampoline_kernelINS0_14default_configENS1_29reduce_by_key_config_selectorIyyN6thrust23THRUST_200600_302600_NS4plusIyEEEEZZNS1_33reduce_by_key_impl_wrapped_configILNS1_25lookback_scan_determinismE0ES3_S9_NS6_6detail15normal_iteratorINS6_10device_ptrIyEEEESG_SG_SG_PmS8_NS6_8equal_toIyEEEE10hipError_tPvRmT2_T3_mT4_T5_T6_T7_T8_P12ihipStream_tbENKUlT_T0_E_clISt17integral_constantIbLb1EES11_EEDaSW_SX_EUlSW_E_NS1_11comp_targetILNS1_3genE2ELNS1_11target_archE906ELNS1_3gpuE6ELNS1_3repE0EEENS1_30default_config_static_selectorELNS0_4arch9wavefront6targetE0EEEvT1_
    .private_segment_fixed_size: 0
    .sgpr_count:     0
    .sgpr_spill_count: 0
    .symbol:         _ZN7rocprim17ROCPRIM_400000_NS6detail17trampoline_kernelINS0_14default_configENS1_29reduce_by_key_config_selectorIyyN6thrust23THRUST_200600_302600_NS4plusIyEEEEZZNS1_33reduce_by_key_impl_wrapped_configILNS1_25lookback_scan_determinismE0ES3_S9_NS6_6detail15normal_iteratorINS6_10device_ptrIyEEEESG_SG_SG_PmS8_NS6_8equal_toIyEEEE10hipError_tPvRmT2_T3_mT4_T5_T6_T7_T8_P12ihipStream_tbENKUlT_T0_E_clISt17integral_constantIbLb1EES11_EEDaSW_SX_EUlSW_E_NS1_11comp_targetILNS1_3genE2ELNS1_11target_archE906ELNS1_3gpuE6ELNS1_3repE0EEENS1_30default_config_static_selectorELNS0_4arch9wavefront6targetE0EEEvT1_.kd
    .uniform_work_group_size: 1
    .uses_dynamic_stack: false
    .vgpr_count:     0
    .vgpr_spill_count: 0
    .wavefront_size: 32
    .workgroup_processor_mode: 1
  - .args:
      - .offset:         0
        .size:           136
        .value_kind:     by_value
    .group_segment_fixed_size: 0
    .kernarg_segment_align: 8
    .kernarg_segment_size: 136
    .language:       OpenCL C
    .language_version:
      - 2
      - 0
    .max_flat_workgroup_size: 256
    .name:           _ZN7rocprim17ROCPRIM_400000_NS6detail17trampoline_kernelINS0_14default_configENS1_29reduce_by_key_config_selectorIyyN6thrust23THRUST_200600_302600_NS4plusIyEEEEZZNS1_33reduce_by_key_impl_wrapped_configILNS1_25lookback_scan_determinismE0ES3_S9_NS6_6detail15normal_iteratorINS6_10device_ptrIyEEEESG_SG_SG_PmS8_NS6_8equal_toIyEEEE10hipError_tPvRmT2_T3_mT4_T5_T6_T7_T8_P12ihipStream_tbENKUlT_T0_E_clISt17integral_constantIbLb1EES11_EEDaSW_SX_EUlSW_E_NS1_11comp_targetILNS1_3genE10ELNS1_11target_archE1201ELNS1_3gpuE5ELNS1_3repE0EEENS1_30default_config_static_selectorELNS0_4arch9wavefront6targetE0EEEvT1_
    .private_segment_fixed_size: 0
    .sgpr_count:     0
    .sgpr_spill_count: 0
    .symbol:         _ZN7rocprim17ROCPRIM_400000_NS6detail17trampoline_kernelINS0_14default_configENS1_29reduce_by_key_config_selectorIyyN6thrust23THRUST_200600_302600_NS4plusIyEEEEZZNS1_33reduce_by_key_impl_wrapped_configILNS1_25lookback_scan_determinismE0ES3_S9_NS6_6detail15normal_iteratorINS6_10device_ptrIyEEEESG_SG_SG_PmS8_NS6_8equal_toIyEEEE10hipError_tPvRmT2_T3_mT4_T5_T6_T7_T8_P12ihipStream_tbENKUlT_T0_E_clISt17integral_constantIbLb1EES11_EEDaSW_SX_EUlSW_E_NS1_11comp_targetILNS1_3genE10ELNS1_11target_archE1201ELNS1_3gpuE5ELNS1_3repE0EEENS1_30default_config_static_selectorELNS0_4arch9wavefront6targetE0EEEvT1_.kd
    .uniform_work_group_size: 1
    .uses_dynamic_stack: false
    .vgpr_count:     0
    .vgpr_spill_count: 0
    .wavefront_size: 32
    .workgroup_processor_mode: 1
  - .args:
      - .offset:         0
        .size:           136
        .value_kind:     by_value
    .group_segment_fixed_size: 0
    .kernarg_segment_align: 8
    .kernarg_segment_size: 136
    .language:       OpenCL C
    .language_version:
      - 2
      - 0
    .max_flat_workgroup_size: 256
    .name:           _ZN7rocprim17ROCPRIM_400000_NS6detail17trampoline_kernelINS0_14default_configENS1_29reduce_by_key_config_selectorIyyN6thrust23THRUST_200600_302600_NS4plusIyEEEEZZNS1_33reduce_by_key_impl_wrapped_configILNS1_25lookback_scan_determinismE0ES3_S9_NS6_6detail15normal_iteratorINS6_10device_ptrIyEEEESG_SG_SG_PmS8_NS6_8equal_toIyEEEE10hipError_tPvRmT2_T3_mT4_T5_T6_T7_T8_P12ihipStream_tbENKUlT_T0_E_clISt17integral_constantIbLb1EES11_EEDaSW_SX_EUlSW_E_NS1_11comp_targetILNS1_3genE10ELNS1_11target_archE1200ELNS1_3gpuE4ELNS1_3repE0EEENS1_30default_config_static_selectorELNS0_4arch9wavefront6targetE0EEEvT1_
    .private_segment_fixed_size: 0
    .sgpr_count:     0
    .sgpr_spill_count: 0
    .symbol:         _ZN7rocprim17ROCPRIM_400000_NS6detail17trampoline_kernelINS0_14default_configENS1_29reduce_by_key_config_selectorIyyN6thrust23THRUST_200600_302600_NS4plusIyEEEEZZNS1_33reduce_by_key_impl_wrapped_configILNS1_25lookback_scan_determinismE0ES3_S9_NS6_6detail15normal_iteratorINS6_10device_ptrIyEEEESG_SG_SG_PmS8_NS6_8equal_toIyEEEE10hipError_tPvRmT2_T3_mT4_T5_T6_T7_T8_P12ihipStream_tbENKUlT_T0_E_clISt17integral_constantIbLb1EES11_EEDaSW_SX_EUlSW_E_NS1_11comp_targetILNS1_3genE10ELNS1_11target_archE1200ELNS1_3gpuE4ELNS1_3repE0EEENS1_30default_config_static_selectorELNS0_4arch9wavefront6targetE0EEEvT1_.kd
    .uniform_work_group_size: 1
    .uses_dynamic_stack: false
    .vgpr_count:     0
    .vgpr_spill_count: 0
    .wavefront_size: 32
    .workgroup_processor_mode: 1
  - .args:
      - .offset:         0
        .size:           136
        .value_kind:     by_value
    .group_segment_fixed_size: 30720
    .kernarg_segment_align: 8
    .kernarg_segment_size: 136
    .language:       OpenCL C
    .language_version:
      - 2
      - 0
    .max_flat_workgroup_size: 256
    .name:           _ZN7rocprim17ROCPRIM_400000_NS6detail17trampoline_kernelINS0_14default_configENS1_29reduce_by_key_config_selectorIyyN6thrust23THRUST_200600_302600_NS4plusIyEEEEZZNS1_33reduce_by_key_impl_wrapped_configILNS1_25lookback_scan_determinismE0ES3_S9_NS6_6detail15normal_iteratorINS6_10device_ptrIyEEEESG_SG_SG_PmS8_NS6_8equal_toIyEEEE10hipError_tPvRmT2_T3_mT4_T5_T6_T7_T8_P12ihipStream_tbENKUlT_T0_E_clISt17integral_constantIbLb1EES11_EEDaSW_SX_EUlSW_E_NS1_11comp_targetILNS1_3genE9ELNS1_11target_archE1100ELNS1_3gpuE3ELNS1_3repE0EEENS1_30default_config_static_selectorELNS0_4arch9wavefront6targetE0EEEvT1_
    .private_segment_fixed_size: 0
    .sgpr_count:     55
    .sgpr_spill_count: 0
    .symbol:         _ZN7rocprim17ROCPRIM_400000_NS6detail17trampoline_kernelINS0_14default_configENS1_29reduce_by_key_config_selectorIyyN6thrust23THRUST_200600_302600_NS4plusIyEEEEZZNS1_33reduce_by_key_impl_wrapped_configILNS1_25lookback_scan_determinismE0ES3_S9_NS6_6detail15normal_iteratorINS6_10device_ptrIyEEEESG_SG_SG_PmS8_NS6_8equal_toIyEEEE10hipError_tPvRmT2_T3_mT4_T5_T6_T7_T8_P12ihipStream_tbENKUlT_T0_E_clISt17integral_constantIbLb1EES11_EEDaSW_SX_EUlSW_E_NS1_11comp_targetILNS1_3genE9ELNS1_11target_archE1100ELNS1_3gpuE3ELNS1_3repE0EEENS1_30default_config_static_selectorELNS0_4arch9wavefront6targetE0EEEvT1_.kd
    .uniform_work_group_size: 1
    .uses_dynamic_stack: false
    .vgpr_count:     121
    .vgpr_spill_count: 0
    .wavefront_size: 32
    .workgroup_processor_mode: 1
  - .args:
      - .offset:         0
        .size:           136
        .value_kind:     by_value
    .group_segment_fixed_size: 0
    .kernarg_segment_align: 8
    .kernarg_segment_size: 136
    .language:       OpenCL C
    .language_version:
      - 2
      - 0
    .max_flat_workgroup_size: 256
    .name:           _ZN7rocprim17ROCPRIM_400000_NS6detail17trampoline_kernelINS0_14default_configENS1_29reduce_by_key_config_selectorIyyN6thrust23THRUST_200600_302600_NS4plusIyEEEEZZNS1_33reduce_by_key_impl_wrapped_configILNS1_25lookback_scan_determinismE0ES3_S9_NS6_6detail15normal_iteratorINS6_10device_ptrIyEEEESG_SG_SG_PmS8_NS6_8equal_toIyEEEE10hipError_tPvRmT2_T3_mT4_T5_T6_T7_T8_P12ihipStream_tbENKUlT_T0_E_clISt17integral_constantIbLb1EES11_EEDaSW_SX_EUlSW_E_NS1_11comp_targetILNS1_3genE8ELNS1_11target_archE1030ELNS1_3gpuE2ELNS1_3repE0EEENS1_30default_config_static_selectorELNS0_4arch9wavefront6targetE0EEEvT1_
    .private_segment_fixed_size: 0
    .sgpr_count:     0
    .sgpr_spill_count: 0
    .symbol:         _ZN7rocprim17ROCPRIM_400000_NS6detail17trampoline_kernelINS0_14default_configENS1_29reduce_by_key_config_selectorIyyN6thrust23THRUST_200600_302600_NS4plusIyEEEEZZNS1_33reduce_by_key_impl_wrapped_configILNS1_25lookback_scan_determinismE0ES3_S9_NS6_6detail15normal_iteratorINS6_10device_ptrIyEEEESG_SG_SG_PmS8_NS6_8equal_toIyEEEE10hipError_tPvRmT2_T3_mT4_T5_T6_T7_T8_P12ihipStream_tbENKUlT_T0_E_clISt17integral_constantIbLb1EES11_EEDaSW_SX_EUlSW_E_NS1_11comp_targetILNS1_3genE8ELNS1_11target_archE1030ELNS1_3gpuE2ELNS1_3repE0EEENS1_30default_config_static_selectorELNS0_4arch9wavefront6targetE0EEEvT1_.kd
    .uniform_work_group_size: 1
    .uses_dynamic_stack: false
    .vgpr_count:     0
    .vgpr_spill_count: 0
    .wavefront_size: 32
    .workgroup_processor_mode: 1
  - .args:
      - .offset:         0
        .size:           24
        .value_kind:     by_value
      - .offset:         24
        .size:           4
        .value_kind:     by_value
      - .offset:         28
        .size:           1
        .value_kind:     by_value
      - .offset:         32
        .size:           4
        .value_kind:     by_value
      - .address_space:  global
        .offset:         40
        .size:           8
        .value_kind:     global_buffer
      - .address_space:  global
        .offset:         48
        .size:           8
        .value_kind:     global_buffer
      - .offset:         56
        .size:           1
        .value_kind:     by_value
      - .offset:         64
        .size:           4
        .value_kind:     hidden_block_count_x
      - .offset:         68
        .size:           4
        .value_kind:     hidden_block_count_y
      - .offset:         72
        .size:           4
        .value_kind:     hidden_block_count_z
      - .offset:         76
        .size:           2
        .value_kind:     hidden_group_size_x
      - .offset:         78
        .size:           2
        .value_kind:     hidden_group_size_y
      - .offset:         80
        .size:           2
        .value_kind:     hidden_group_size_z
      - .offset:         82
        .size:           2
        .value_kind:     hidden_remainder_x
      - .offset:         84
        .size:           2
        .value_kind:     hidden_remainder_y
      - .offset:         86
        .size:           2
        .value_kind:     hidden_remainder_z
      - .offset:         104
        .size:           8
        .value_kind:     hidden_global_offset_x
      - .offset:         112
        .size:           8
        .value_kind:     hidden_global_offset_y
      - .offset:         120
        .size:           8
        .value_kind:     hidden_global_offset_z
      - .offset:         128
        .size:           2
        .value_kind:     hidden_grid_dims
    .group_segment_fixed_size: 0
    .kernarg_segment_align: 8
    .kernarg_segment_size: 320
    .language:       OpenCL C
    .language_version:
      - 2
      - 0
    .max_flat_workgroup_size: 256
    .name:           _ZN7rocprim17ROCPRIM_400000_NS6detail25reduce_by_key_init_kernelINS1_19lookback_scan_stateINS0_5tupleIJjyEEELb1ELb0EEEyNS1_16block_id_wrapperIjLb0EEEEEvT_jbjPmPT0_T1_
    .private_segment_fixed_size: 0
    .sgpr_count:     20
    .sgpr_spill_count: 0
    .symbol:         _ZN7rocprim17ROCPRIM_400000_NS6detail25reduce_by_key_init_kernelINS1_19lookback_scan_stateINS0_5tupleIJjyEEELb1ELb0EEEyNS1_16block_id_wrapperIjLb0EEEEEvT_jbjPmPT0_T1_.kd
    .uniform_work_group_size: 1
    .uses_dynamic_stack: false
    .vgpr_count:     7
    .vgpr_spill_count: 0
    .wavefront_size: 32
    .workgroup_processor_mode: 1
  - .args:
      - .offset:         0
        .size:           136
        .value_kind:     by_value
    .group_segment_fixed_size: 0
    .kernarg_segment_align: 8
    .kernarg_segment_size: 136
    .language:       OpenCL C
    .language_version:
      - 2
      - 0
    .max_flat_workgroup_size: 256
    .name:           _ZN7rocprim17ROCPRIM_400000_NS6detail17trampoline_kernelINS0_14default_configENS1_29reduce_by_key_config_selectorIyyN6thrust23THRUST_200600_302600_NS4plusIyEEEEZZNS1_33reduce_by_key_impl_wrapped_configILNS1_25lookback_scan_determinismE0ES3_S9_NS6_6detail15normal_iteratorINS6_10device_ptrIyEEEESG_SG_SG_PmS8_NS6_8equal_toIyEEEE10hipError_tPvRmT2_T3_mT4_T5_T6_T7_T8_P12ihipStream_tbENKUlT_T0_E_clISt17integral_constantIbLb1EES10_IbLb0EEEEDaSW_SX_EUlSW_E_NS1_11comp_targetILNS1_3genE0ELNS1_11target_archE4294967295ELNS1_3gpuE0ELNS1_3repE0EEENS1_30default_config_static_selectorELNS0_4arch9wavefront6targetE0EEEvT1_
    .private_segment_fixed_size: 0
    .sgpr_count:     0
    .sgpr_spill_count: 0
    .symbol:         _ZN7rocprim17ROCPRIM_400000_NS6detail17trampoline_kernelINS0_14default_configENS1_29reduce_by_key_config_selectorIyyN6thrust23THRUST_200600_302600_NS4plusIyEEEEZZNS1_33reduce_by_key_impl_wrapped_configILNS1_25lookback_scan_determinismE0ES3_S9_NS6_6detail15normal_iteratorINS6_10device_ptrIyEEEESG_SG_SG_PmS8_NS6_8equal_toIyEEEE10hipError_tPvRmT2_T3_mT4_T5_T6_T7_T8_P12ihipStream_tbENKUlT_T0_E_clISt17integral_constantIbLb1EES10_IbLb0EEEEDaSW_SX_EUlSW_E_NS1_11comp_targetILNS1_3genE0ELNS1_11target_archE4294967295ELNS1_3gpuE0ELNS1_3repE0EEENS1_30default_config_static_selectorELNS0_4arch9wavefront6targetE0EEEvT1_.kd
    .uniform_work_group_size: 1
    .uses_dynamic_stack: false
    .vgpr_count:     0
    .vgpr_spill_count: 0
    .wavefront_size: 32
    .workgroup_processor_mode: 1
  - .args:
      - .offset:         0
        .size:           136
        .value_kind:     by_value
    .group_segment_fixed_size: 0
    .kernarg_segment_align: 8
    .kernarg_segment_size: 136
    .language:       OpenCL C
    .language_version:
      - 2
      - 0
    .max_flat_workgroup_size: 256
    .name:           _ZN7rocprim17ROCPRIM_400000_NS6detail17trampoline_kernelINS0_14default_configENS1_29reduce_by_key_config_selectorIyyN6thrust23THRUST_200600_302600_NS4plusIyEEEEZZNS1_33reduce_by_key_impl_wrapped_configILNS1_25lookback_scan_determinismE0ES3_S9_NS6_6detail15normal_iteratorINS6_10device_ptrIyEEEESG_SG_SG_PmS8_NS6_8equal_toIyEEEE10hipError_tPvRmT2_T3_mT4_T5_T6_T7_T8_P12ihipStream_tbENKUlT_T0_E_clISt17integral_constantIbLb1EES10_IbLb0EEEEDaSW_SX_EUlSW_E_NS1_11comp_targetILNS1_3genE5ELNS1_11target_archE942ELNS1_3gpuE9ELNS1_3repE0EEENS1_30default_config_static_selectorELNS0_4arch9wavefront6targetE0EEEvT1_
    .private_segment_fixed_size: 0
    .sgpr_count:     0
    .sgpr_spill_count: 0
    .symbol:         _ZN7rocprim17ROCPRIM_400000_NS6detail17trampoline_kernelINS0_14default_configENS1_29reduce_by_key_config_selectorIyyN6thrust23THRUST_200600_302600_NS4plusIyEEEEZZNS1_33reduce_by_key_impl_wrapped_configILNS1_25lookback_scan_determinismE0ES3_S9_NS6_6detail15normal_iteratorINS6_10device_ptrIyEEEESG_SG_SG_PmS8_NS6_8equal_toIyEEEE10hipError_tPvRmT2_T3_mT4_T5_T6_T7_T8_P12ihipStream_tbENKUlT_T0_E_clISt17integral_constantIbLb1EES10_IbLb0EEEEDaSW_SX_EUlSW_E_NS1_11comp_targetILNS1_3genE5ELNS1_11target_archE942ELNS1_3gpuE9ELNS1_3repE0EEENS1_30default_config_static_selectorELNS0_4arch9wavefront6targetE0EEEvT1_.kd
    .uniform_work_group_size: 1
    .uses_dynamic_stack: false
    .vgpr_count:     0
    .vgpr_spill_count: 0
    .wavefront_size: 32
    .workgroup_processor_mode: 1
  - .args:
      - .offset:         0
        .size:           136
        .value_kind:     by_value
    .group_segment_fixed_size: 0
    .kernarg_segment_align: 8
    .kernarg_segment_size: 136
    .language:       OpenCL C
    .language_version:
      - 2
      - 0
    .max_flat_workgroup_size: 256
    .name:           _ZN7rocprim17ROCPRIM_400000_NS6detail17trampoline_kernelINS0_14default_configENS1_29reduce_by_key_config_selectorIyyN6thrust23THRUST_200600_302600_NS4plusIyEEEEZZNS1_33reduce_by_key_impl_wrapped_configILNS1_25lookback_scan_determinismE0ES3_S9_NS6_6detail15normal_iteratorINS6_10device_ptrIyEEEESG_SG_SG_PmS8_NS6_8equal_toIyEEEE10hipError_tPvRmT2_T3_mT4_T5_T6_T7_T8_P12ihipStream_tbENKUlT_T0_E_clISt17integral_constantIbLb1EES10_IbLb0EEEEDaSW_SX_EUlSW_E_NS1_11comp_targetILNS1_3genE4ELNS1_11target_archE910ELNS1_3gpuE8ELNS1_3repE0EEENS1_30default_config_static_selectorELNS0_4arch9wavefront6targetE0EEEvT1_
    .private_segment_fixed_size: 0
    .sgpr_count:     0
    .sgpr_spill_count: 0
    .symbol:         _ZN7rocprim17ROCPRIM_400000_NS6detail17trampoline_kernelINS0_14default_configENS1_29reduce_by_key_config_selectorIyyN6thrust23THRUST_200600_302600_NS4plusIyEEEEZZNS1_33reduce_by_key_impl_wrapped_configILNS1_25lookback_scan_determinismE0ES3_S9_NS6_6detail15normal_iteratorINS6_10device_ptrIyEEEESG_SG_SG_PmS8_NS6_8equal_toIyEEEE10hipError_tPvRmT2_T3_mT4_T5_T6_T7_T8_P12ihipStream_tbENKUlT_T0_E_clISt17integral_constantIbLb1EES10_IbLb0EEEEDaSW_SX_EUlSW_E_NS1_11comp_targetILNS1_3genE4ELNS1_11target_archE910ELNS1_3gpuE8ELNS1_3repE0EEENS1_30default_config_static_selectorELNS0_4arch9wavefront6targetE0EEEvT1_.kd
    .uniform_work_group_size: 1
    .uses_dynamic_stack: false
    .vgpr_count:     0
    .vgpr_spill_count: 0
    .wavefront_size: 32
    .workgroup_processor_mode: 1
  - .args:
      - .offset:         0
        .size:           136
        .value_kind:     by_value
    .group_segment_fixed_size: 0
    .kernarg_segment_align: 8
    .kernarg_segment_size: 136
    .language:       OpenCL C
    .language_version:
      - 2
      - 0
    .max_flat_workgroup_size: 256
    .name:           _ZN7rocprim17ROCPRIM_400000_NS6detail17trampoline_kernelINS0_14default_configENS1_29reduce_by_key_config_selectorIyyN6thrust23THRUST_200600_302600_NS4plusIyEEEEZZNS1_33reduce_by_key_impl_wrapped_configILNS1_25lookback_scan_determinismE0ES3_S9_NS6_6detail15normal_iteratorINS6_10device_ptrIyEEEESG_SG_SG_PmS8_NS6_8equal_toIyEEEE10hipError_tPvRmT2_T3_mT4_T5_T6_T7_T8_P12ihipStream_tbENKUlT_T0_E_clISt17integral_constantIbLb1EES10_IbLb0EEEEDaSW_SX_EUlSW_E_NS1_11comp_targetILNS1_3genE3ELNS1_11target_archE908ELNS1_3gpuE7ELNS1_3repE0EEENS1_30default_config_static_selectorELNS0_4arch9wavefront6targetE0EEEvT1_
    .private_segment_fixed_size: 0
    .sgpr_count:     0
    .sgpr_spill_count: 0
    .symbol:         _ZN7rocprim17ROCPRIM_400000_NS6detail17trampoline_kernelINS0_14default_configENS1_29reduce_by_key_config_selectorIyyN6thrust23THRUST_200600_302600_NS4plusIyEEEEZZNS1_33reduce_by_key_impl_wrapped_configILNS1_25lookback_scan_determinismE0ES3_S9_NS6_6detail15normal_iteratorINS6_10device_ptrIyEEEESG_SG_SG_PmS8_NS6_8equal_toIyEEEE10hipError_tPvRmT2_T3_mT4_T5_T6_T7_T8_P12ihipStream_tbENKUlT_T0_E_clISt17integral_constantIbLb1EES10_IbLb0EEEEDaSW_SX_EUlSW_E_NS1_11comp_targetILNS1_3genE3ELNS1_11target_archE908ELNS1_3gpuE7ELNS1_3repE0EEENS1_30default_config_static_selectorELNS0_4arch9wavefront6targetE0EEEvT1_.kd
    .uniform_work_group_size: 1
    .uses_dynamic_stack: false
    .vgpr_count:     0
    .vgpr_spill_count: 0
    .wavefront_size: 32
    .workgroup_processor_mode: 1
  - .args:
      - .offset:         0
        .size:           136
        .value_kind:     by_value
    .group_segment_fixed_size: 0
    .kernarg_segment_align: 8
    .kernarg_segment_size: 136
    .language:       OpenCL C
    .language_version:
      - 2
      - 0
    .max_flat_workgroup_size: 256
    .name:           _ZN7rocprim17ROCPRIM_400000_NS6detail17trampoline_kernelINS0_14default_configENS1_29reduce_by_key_config_selectorIyyN6thrust23THRUST_200600_302600_NS4plusIyEEEEZZNS1_33reduce_by_key_impl_wrapped_configILNS1_25lookback_scan_determinismE0ES3_S9_NS6_6detail15normal_iteratorINS6_10device_ptrIyEEEESG_SG_SG_PmS8_NS6_8equal_toIyEEEE10hipError_tPvRmT2_T3_mT4_T5_T6_T7_T8_P12ihipStream_tbENKUlT_T0_E_clISt17integral_constantIbLb1EES10_IbLb0EEEEDaSW_SX_EUlSW_E_NS1_11comp_targetILNS1_3genE2ELNS1_11target_archE906ELNS1_3gpuE6ELNS1_3repE0EEENS1_30default_config_static_selectorELNS0_4arch9wavefront6targetE0EEEvT1_
    .private_segment_fixed_size: 0
    .sgpr_count:     0
    .sgpr_spill_count: 0
    .symbol:         _ZN7rocprim17ROCPRIM_400000_NS6detail17trampoline_kernelINS0_14default_configENS1_29reduce_by_key_config_selectorIyyN6thrust23THRUST_200600_302600_NS4plusIyEEEEZZNS1_33reduce_by_key_impl_wrapped_configILNS1_25lookback_scan_determinismE0ES3_S9_NS6_6detail15normal_iteratorINS6_10device_ptrIyEEEESG_SG_SG_PmS8_NS6_8equal_toIyEEEE10hipError_tPvRmT2_T3_mT4_T5_T6_T7_T8_P12ihipStream_tbENKUlT_T0_E_clISt17integral_constantIbLb1EES10_IbLb0EEEEDaSW_SX_EUlSW_E_NS1_11comp_targetILNS1_3genE2ELNS1_11target_archE906ELNS1_3gpuE6ELNS1_3repE0EEENS1_30default_config_static_selectorELNS0_4arch9wavefront6targetE0EEEvT1_.kd
    .uniform_work_group_size: 1
    .uses_dynamic_stack: false
    .vgpr_count:     0
    .vgpr_spill_count: 0
    .wavefront_size: 32
    .workgroup_processor_mode: 1
  - .args:
      - .offset:         0
        .size:           136
        .value_kind:     by_value
    .group_segment_fixed_size: 0
    .kernarg_segment_align: 8
    .kernarg_segment_size: 136
    .language:       OpenCL C
    .language_version:
      - 2
      - 0
    .max_flat_workgroup_size: 256
    .name:           _ZN7rocprim17ROCPRIM_400000_NS6detail17trampoline_kernelINS0_14default_configENS1_29reduce_by_key_config_selectorIyyN6thrust23THRUST_200600_302600_NS4plusIyEEEEZZNS1_33reduce_by_key_impl_wrapped_configILNS1_25lookback_scan_determinismE0ES3_S9_NS6_6detail15normal_iteratorINS6_10device_ptrIyEEEESG_SG_SG_PmS8_NS6_8equal_toIyEEEE10hipError_tPvRmT2_T3_mT4_T5_T6_T7_T8_P12ihipStream_tbENKUlT_T0_E_clISt17integral_constantIbLb1EES10_IbLb0EEEEDaSW_SX_EUlSW_E_NS1_11comp_targetILNS1_3genE10ELNS1_11target_archE1201ELNS1_3gpuE5ELNS1_3repE0EEENS1_30default_config_static_selectorELNS0_4arch9wavefront6targetE0EEEvT1_
    .private_segment_fixed_size: 0
    .sgpr_count:     0
    .sgpr_spill_count: 0
    .symbol:         _ZN7rocprim17ROCPRIM_400000_NS6detail17trampoline_kernelINS0_14default_configENS1_29reduce_by_key_config_selectorIyyN6thrust23THRUST_200600_302600_NS4plusIyEEEEZZNS1_33reduce_by_key_impl_wrapped_configILNS1_25lookback_scan_determinismE0ES3_S9_NS6_6detail15normal_iteratorINS6_10device_ptrIyEEEESG_SG_SG_PmS8_NS6_8equal_toIyEEEE10hipError_tPvRmT2_T3_mT4_T5_T6_T7_T8_P12ihipStream_tbENKUlT_T0_E_clISt17integral_constantIbLb1EES10_IbLb0EEEEDaSW_SX_EUlSW_E_NS1_11comp_targetILNS1_3genE10ELNS1_11target_archE1201ELNS1_3gpuE5ELNS1_3repE0EEENS1_30default_config_static_selectorELNS0_4arch9wavefront6targetE0EEEvT1_.kd
    .uniform_work_group_size: 1
    .uses_dynamic_stack: false
    .vgpr_count:     0
    .vgpr_spill_count: 0
    .wavefront_size: 32
    .workgroup_processor_mode: 1
  - .args:
      - .offset:         0
        .size:           136
        .value_kind:     by_value
    .group_segment_fixed_size: 0
    .kernarg_segment_align: 8
    .kernarg_segment_size: 136
    .language:       OpenCL C
    .language_version:
      - 2
      - 0
    .max_flat_workgroup_size: 256
    .name:           _ZN7rocprim17ROCPRIM_400000_NS6detail17trampoline_kernelINS0_14default_configENS1_29reduce_by_key_config_selectorIyyN6thrust23THRUST_200600_302600_NS4plusIyEEEEZZNS1_33reduce_by_key_impl_wrapped_configILNS1_25lookback_scan_determinismE0ES3_S9_NS6_6detail15normal_iteratorINS6_10device_ptrIyEEEESG_SG_SG_PmS8_NS6_8equal_toIyEEEE10hipError_tPvRmT2_T3_mT4_T5_T6_T7_T8_P12ihipStream_tbENKUlT_T0_E_clISt17integral_constantIbLb1EES10_IbLb0EEEEDaSW_SX_EUlSW_E_NS1_11comp_targetILNS1_3genE10ELNS1_11target_archE1200ELNS1_3gpuE4ELNS1_3repE0EEENS1_30default_config_static_selectorELNS0_4arch9wavefront6targetE0EEEvT1_
    .private_segment_fixed_size: 0
    .sgpr_count:     0
    .sgpr_spill_count: 0
    .symbol:         _ZN7rocprim17ROCPRIM_400000_NS6detail17trampoline_kernelINS0_14default_configENS1_29reduce_by_key_config_selectorIyyN6thrust23THRUST_200600_302600_NS4plusIyEEEEZZNS1_33reduce_by_key_impl_wrapped_configILNS1_25lookback_scan_determinismE0ES3_S9_NS6_6detail15normal_iteratorINS6_10device_ptrIyEEEESG_SG_SG_PmS8_NS6_8equal_toIyEEEE10hipError_tPvRmT2_T3_mT4_T5_T6_T7_T8_P12ihipStream_tbENKUlT_T0_E_clISt17integral_constantIbLb1EES10_IbLb0EEEEDaSW_SX_EUlSW_E_NS1_11comp_targetILNS1_3genE10ELNS1_11target_archE1200ELNS1_3gpuE4ELNS1_3repE0EEENS1_30default_config_static_selectorELNS0_4arch9wavefront6targetE0EEEvT1_.kd
    .uniform_work_group_size: 1
    .uses_dynamic_stack: false
    .vgpr_count:     0
    .vgpr_spill_count: 0
    .wavefront_size: 32
    .workgroup_processor_mode: 1
  - .args:
      - .offset:         0
        .size:           136
        .value_kind:     by_value
    .group_segment_fixed_size: 30720
    .kernarg_segment_align: 8
    .kernarg_segment_size: 136
    .language:       OpenCL C
    .language_version:
      - 2
      - 0
    .max_flat_workgroup_size: 256
    .name:           _ZN7rocprim17ROCPRIM_400000_NS6detail17trampoline_kernelINS0_14default_configENS1_29reduce_by_key_config_selectorIyyN6thrust23THRUST_200600_302600_NS4plusIyEEEEZZNS1_33reduce_by_key_impl_wrapped_configILNS1_25lookback_scan_determinismE0ES3_S9_NS6_6detail15normal_iteratorINS6_10device_ptrIyEEEESG_SG_SG_PmS8_NS6_8equal_toIyEEEE10hipError_tPvRmT2_T3_mT4_T5_T6_T7_T8_P12ihipStream_tbENKUlT_T0_E_clISt17integral_constantIbLb1EES10_IbLb0EEEEDaSW_SX_EUlSW_E_NS1_11comp_targetILNS1_3genE9ELNS1_11target_archE1100ELNS1_3gpuE3ELNS1_3repE0EEENS1_30default_config_static_selectorELNS0_4arch9wavefront6targetE0EEEvT1_
    .private_segment_fixed_size: 0
    .sgpr_count:     54
    .sgpr_spill_count: 0
    .symbol:         _ZN7rocprim17ROCPRIM_400000_NS6detail17trampoline_kernelINS0_14default_configENS1_29reduce_by_key_config_selectorIyyN6thrust23THRUST_200600_302600_NS4plusIyEEEEZZNS1_33reduce_by_key_impl_wrapped_configILNS1_25lookback_scan_determinismE0ES3_S9_NS6_6detail15normal_iteratorINS6_10device_ptrIyEEEESG_SG_SG_PmS8_NS6_8equal_toIyEEEE10hipError_tPvRmT2_T3_mT4_T5_T6_T7_T8_P12ihipStream_tbENKUlT_T0_E_clISt17integral_constantIbLb1EES10_IbLb0EEEEDaSW_SX_EUlSW_E_NS1_11comp_targetILNS1_3genE9ELNS1_11target_archE1100ELNS1_3gpuE3ELNS1_3repE0EEENS1_30default_config_static_selectorELNS0_4arch9wavefront6targetE0EEEvT1_.kd
    .uniform_work_group_size: 1
    .uses_dynamic_stack: false
    .vgpr_count:     121
    .vgpr_spill_count: 0
    .wavefront_size: 32
    .workgroup_processor_mode: 1
  - .args:
      - .offset:         0
        .size:           136
        .value_kind:     by_value
    .group_segment_fixed_size: 0
    .kernarg_segment_align: 8
    .kernarg_segment_size: 136
    .language:       OpenCL C
    .language_version:
      - 2
      - 0
    .max_flat_workgroup_size: 256
    .name:           _ZN7rocprim17ROCPRIM_400000_NS6detail17trampoline_kernelINS0_14default_configENS1_29reduce_by_key_config_selectorIyyN6thrust23THRUST_200600_302600_NS4plusIyEEEEZZNS1_33reduce_by_key_impl_wrapped_configILNS1_25lookback_scan_determinismE0ES3_S9_NS6_6detail15normal_iteratorINS6_10device_ptrIyEEEESG_SG_SG_PmS8_NS6_8equal_toIyEEEE10hipError_tPvRmT2_T3_mT4_T5_T6_T7_T8_P12ihipStream_tbENKUlT_T0_E_clISt17integral_constantIbLb1EES10_IbLb0EEEEDaSW_SX_EUlSW_E_NS1_11comp_targetILNS1_3genE8ELNS1_11target_archE1030ELNS1_3gpuE2ELNS1_3repE0EEENS1_30default_config_static_selectorELNS0_4arch9wavefront6targetE0EEEvT1_
    .private_segment_fixed_size: 0
    .sgpr_count:     0
    .sgpr_spill_count: 0
    .symbol:         _ZN7rocprim17ROCPRIM_400000_NS6detail17trampoline_kernelINS0_14default_configENS1_29reduce_by_key_config_selectorIyyN6thrust23THRUST_200600_302600_NS4plusIyEEEEZZNS1_33reduce_by_key_impl_wrapped_configILNS1_25lookback_scan_determinismE0ES3_S9_NS6_6detail15normal_iteratorINS6_10device_ptrIyEEEESG_SG_SG_PmS8_NS6_8equal_toIyEEEE10hipError_tPvRmT2_T3_mT4_T5_T6_T7_T8_P12ihipStream_tbENKUlT_T0_E_clISt17integral_constantIbLb1EES10_IbLb0EEEEDaSW_SX_EUlSW_E_NS1_11comp_targetILNS1_3genE8ELNS1_11target_archE1030ELNS1_3gpuE2ELNS1_3repE0EEENS1_30default_config_static_selectorELNS0_4arch9wavefront6targetE0EEEvT1_.kd
    .uniform_work_group_size: 1
    .uses_dynamic_stack: false
    .vgpr_count:     0
    .vgpr_spill_count: 0
    .wavefront_size: 32
    .workgroup_processor_mode: 1
  - .args:
      - .offset:         0
        .size:           24
        .value_kind:     by_value
      - .offset:         24
        .size:           4
        .value_kind:     by_value
      - .offset:         28
        .size:           1
        .value_kind:     by_value
      - .offset:         32
        .size:           4
        .value_kind:     by_value
      - .address_space:  global
        .offset:         40
        .size:           8
        .value_kind:     global_buffer
      - .address_space:  global
        .offset:         48
        .size:           8
        .value_kind:     global_buffer
      - .address_space:  global
        .offset:         56
        .size:           8
        .value_kind:     global_buffer
      - .offset:         64
        .size:           4
        .value_kind:     hidden_block_count_x
      - .offset:         68
        .size:           4
        .value_kind:     hidden_block_count_y
      - .offset:         72
        .size:           4
        .value_kind:     hidden_block_count_z
      - .offset:         76
        .size:           2
        .value_kind:     hidden_group_size_x
      - .offset:         78
        .size:           2
        .value_kind:     hidden_group_size_y
      - .offset:         80
        .size:           2
        .value_kind:     hidden_group_size_z
      - .offset:         82
        .size:           2
        .value_kind:     hidden_remainder_x
      - .offset:         84
        .size:           2
        .value_kind:     hidden_remainder_y
      - .offset:         86
        .size:           2
        .value_kind:     hidden_remainder_z
      - .offset:         104
        .size:           8
        .value_kind:     hidden_global_offset_x
      - .offset:         112
        .size:           8
        .value_kind:     hidden_global_offset_y
      - .offset:         120
        .size:           8
        .value_kind:     hidden_global_offset_z
      - .offset:         128
        .size:           2
        .value_kind:     hidden_grid_dims
    .group_segment_fixed_size: 0
    .kernarg_segment_align: 8
    .kernarg_segment_size: 320
    .language:       OpenCL C
    .language_version:
      - 2
      - 0
    .max_flat_workgroup_size: 256
    .name:           _ZN7rocprim17ROCPRIM_400000_NS6detail25reduce_by_key_init_kernelINS1_19lookback_scan_stateINS0_5tupleIJjyEEELb0ELb0EEEyNS1_16block_id_wrapperIjLb1EEEEEvT_jbjPmPT0_T1_
    .private_segment_fixed_size: 0
    .sgpr_count:     21
    .sgpr_spill_count: 0
    .symbol:         _ZN7rocprim17ROCPRIM_400000_NS6detail25reduce_by_key_init_kernelINS1_19lookback_scan_stateINS0_5tupleIJjyEEELb0ELb0EEEyNS1_16block_id_wrapperIjLb1EEEEEvT_jbjPmPT0_T1_.kd
    .uniform_work_group_size: 1
    .uses_dynamic_stack: false
    .vgpr_count:     7
    .vgpr_spill_count: 0
    .wavefront_size: 32
    .workgroup_processor_mode: 1
  - .args:
      - .offset:         0
        .size:           136
        .value_kind:     by_value
    .group_segment_fixed_size: 0
    .kernarg_segment_align: 8
    .kernarg_segment_size: 136
    .language:       OpenCL C
    .language_version:
      - 2
      - 0
    .max_flat_workgroup_size: 256
    .name:           _ZN7rocprim17ROCPRIM_400000_NS6detail17trampoline_kernelINS0_14default_configENS1_29reduce_by_key_config_selectorIyyN6thrust23THRUST_200600_302600_NS4plusIyEEEEZZNS1_33reduce_by_key_impl_wrapped_configILNS1_25lookback_scan_determinismE0ES3_S9_NS6_6detail15normal_iteratorINS6_10device_ptrIyEEEESG_SG_SG_PmS8_NS6_8equal_toIyEEEE10hipError_tPvRmT2_T3_mT4_T5_T6_T7_T8_P12ihipStream_tbENKUlT_T0_E_clISt17integral_constantIbLb0EES10_IbLb1EEEEDaSW_SX_EUlSW_E_NS1_11comp_targetILNS1_3genE0ELNS1_11target_archE4294967295ELNS1_3gpuE0ELNS1_3repE0EEENS1_30default_config_static_selectorELNS0_4arch9wavefront6targetE0EEEvT1_
    .private_segment_fixed_size: 0
    .sgpr_count:     0
    .sgpr_spill_count: 0
    .symbol:         _ZN7rocprim17ROCPRIM_400000_NS6detail17trampoline_kernelINS0_14default_configENS1_29reduce_by_key_config_selectorIyyN6thrust23THRUST_200600_302600_NS4plusIyEEEEZZNS1_33reduce_by_key_impl_wrapped_configILNS1_25lookback_scan_determinismE0ES3_S9_NS6_6detail15normal_iteratorINS6_10device_ptrIyEEEESG_SG_SG_PmS8_NS6_8equal_toIyEEEE10hipError_tPvRmT2_T3_mT4_T5_T6_T7_T8_P12ihipStream_tbENKUlT_T0_E_clISt17integral_constantIbLb0EES10_IbLb1EEEEDaSW_SX_EUlSW_E_NS1_11comp_targetILNS1_3genE0ELNS1_11target_archE4294967295ELNS1_3gpuE0ELNS1_3repE0EEENS1_30default_config_static_selectorELNS0_4arch9wavefront6targetE0EEEvT1_.kd
    .uniform_work_group_size: 1
    .uses_dynamic_stack: false
    .vgpr_count:     0
    .vgpr_spill_count: 0
    .wavefront_size: 32
    .workgroup_processor_mode: 1
  - .args:
      - .offset:         0
        .size:           136
        .value_kind:     by_value
    .group_segment_fixed_size: 0
    .kernarg_segment_align: 8
    .kernarg_segment_size: 136
    .language:       OpenCL C
    .language_version:
      - 2
      - 0
    .max_flat_workgroup_size: 256
    .name:           _ZN7rocprim17ROCPRIM_400000_NS6detail17trampoline_kernelINS0_14default_configENS1_29reduce_by_key_config_selectorIyyN6thrust23THRUST_200600_302600_NS4plusIyEEEEZZNS1_33reduce_by_key_impl_wrapped_configILNS1_25lookback_scan_determinismE0ES3_S9_NS6_6detail15normal_iteratorINS6_10device_ptrIyEEEESG_SG_SG_PmS8_NS6_8equal_toIyEEEE10hipError_tPvRmT2_T3_mT4_T5_T6_T7_T8_P12ihipStream_tbENKUlT_T0_E_clISt17integral_constantIbLb0EES10_IbLb1EEEEDaSW_SX_EUlSW_E_NS1_11comp_targetILNS1_3genE5ELNS1_11target_archE942ELNS1_3gpuE9ELNS1_3repE0EEENS1_30default_config_static_selectorELNS0_4arch9wavefront6targetE0EEEvT1_
    .private_segment_fixed_size: 0
    .sgpr_count:     0
    .sgpr_spill_count: 0
    .symbol:         _ZN7rocprim17ROCPRIM_400000_NS6detail17trampoline_kernelINS0_14default_configENS1_29reduce_by_key_config_selectorIyyN6thrust23THRUST_200600_302600_NS4plusIyEEEEZZNS1_33reduce_by_key_impl_wrapped_configILNS1_25lookback_scan_determinismE0ES3_S9_NS6_6detail15normal_iteratorINS6_10device_ptrIyEEEESG_SG_SG_PmS8_NS6_8equal_toIyEEEE10hipError_tPvRmT2_T3_mT4_T5_T6_T7_T8_P12ihipStream_tbENKUlT_T0_E_clISt17integral_constantIbLb0EES10_IbLb1EEEEDaSW_SX_EUlSW_E_NS1_11comp_targetILNS1_3genE5ELNS1_11target_archE942ELNS1_3gpuE9ELNS1_3repE0EEENS1_30default_config_static_selectorELNS0_4arch9wavefront6targetE0EEEvT1_.kd
    .uniform_work_group_size: 1
    .uses_dynamic_stack: false
    .vgpr_count:     0
    .vgpr_spill_count: 0
    .wavefront_size: 32
    .workgroup_processor_mode: 1
  - .args:
      - .offset:         0
        .size:           136
        .value_kind:     by_value
    .group_segment_fixed_size: 0
    .kernarg_segment_align: 8
    .kernarg_segment_size: 136
    .language:       OpenCL C
    .language_version:
      - 2
      - 0
    .max_flat_workgroup_size: 256
    .name:           _ZN7rocprim17ROCPRIM_400000_NS6detail17trampoline_kernelINS0_14default_configENS1_29reduce_by_key_config_selectorIyyN6thrust23THRUST_200600_302600_NS4plusIyEEEEZZNS1_33reduce_by_key_impl_wrapped_configILNS1_25lookback_scan_determinismE0ES3_S9_NS6_6detail15normal_iteratorINS6_10device_ptrIyEEEESG_SG_SG_PmS8_NS6_8equal_toIyEEEE10hipError_tPvRmT2_T3_mT4_T5_T6_T7_T8_P12ihipStream_tbENKUlT_T0_E_clISt17integral_constantIbLb0EES10_IbLb1EEEEDaSW_SX_EUlSW_E_NS1_11comp_targetILNS1_3genE4ELNS1_11target_archE910ELNS1_3gpuE8ELNS1_3repE0EEENS1_30default_config_static_selectorELNS0_4arch9wavefront6targetE0EEEvT1_
    .private_segment_fixed_size: 0
    .sgpr_count:     0
    .sgpr_spill_count: 0
    .symbol:         _ZN7rocprim17ROCPRIM_400000_NS6detail17trampoline_kernelINS0_14default_configENS1_29reduce_by_key_config_selectorIyyN6thrust23THRUST_200600_302600_NS4plusIyEEEEZZNS1_33reduce_by_key_impl_wrapped_configILNS1_25lookback_scan_determinismE0ES3_S9_NS6_6detail15normal_iteratorINS6_10device_ptrIyEEEESG_SG_SG_PmS8_NS6_8equal_toIyEEEE10hipError_tPvRmT2_T3_mT4_T5_T6_T7_T8_P12ihipStream_tbENKUlT_T0_E_clISt17integral_constantIbLb0EES10_IbLb1EEEEDaSW_SX_EUlSW_E_NS1_11comp_targetILNS1_3genE4ELNS1_11target_archE910ELNS1_3gpuE8ELNS1_3repE0EEENS1_30default_config_static_selectorELNS0_4arch9wavefront6targetE0EEEvT1_.kd
    .uniform_work_group_size: 1
    .uses_dynamic_stack: false
    .vgpr_count:     0
    .vgpr_spill_count: 0
    .wavefront_size: 32
    .workgroup_processor_mode: 1
  - .args:
      - .offset:         0
        .size:           136
        .value_kind:     by_value
    .group_segment_fixed_size: 0
    .kernarg_segment_align: 8
    .kernarg_segment_size: 136
    .language:       OpenCL C
    .language_version:
      - 2
      - 0
    .max_flat_workgroup_size: 256
    .name:           _ZN7rocprim17ROCPRIM_400000_NS6detail17trampoline_kernelINS0_14default_configENS1_29reduce_by_key_config_selectorIyyN6thrust23THRUST_200600_302600_NS4plusIyEEEEZZNS1_33reduce_by_key_impl_wrapped_configILNS1_25lookback_scan_determinismE0ES3_S9_NS6_6detail15normal_iteratorINS6_10device_ptrIyEEEESG_SG_SG_PmS8_NS6_8equal_toIyEEEE10hipError_tPvRmT2_T3_mT4_T5_T6_T7_T8_P12ihipStream_tbENKUlT_T0_E_clISt17integral_constantIbLb0EES10_IbLb1EEEEDaSW_SX_EUlSW_E_NS1_11comp_targetILNS1_3genE3ELNS1_11target_archE908ELNS1_3gpuE7ELNS1_3repE0EEENS1_30default_config_static_selectorELNS0_4arch9wavefront6targetE0EEEvT1_
    .private_segment_fixed_size: 0
    .sgpr_count:     0
    .sgpr_spill_count: 0
    .symbol:         _ZN7rocprim17ROCPRIM_400000_NS6detail17trampoline_kernelINS0_14default_configENS1_29reduce_by_key_config_selectorIyyN6thrust23THRUST_200600_302600_NS4plusIyEEEEZZNS1_33reduce_by_key_impl_wrapped_configILNS1_25lookback_scan_determinismE0ES3_S9_NS6_6detail15normal_iteratorINS6_10device_ptrIyEEEESG_SG_SG_PmS8_NS6_8equal_toIyEEEE10hipError_tPvRmT2_T3_mT4_T5_T6_T7_T8_P12ihipStream_tbENKUlT_T0_E_clISt17integral_constantIbLb0EES10_IbLb1EEEEDaSW_SX_EUlSW_E_NS1_11comp_targetILNS1_3genE3ELNS1_11target_archE908ELNS1_3gpuE7ELNS1_3repE0EEENS1_30default_config_static_selectorELNS0_4arch9wavefront6targetE0EEEvT1_.kd
    .uniform_work_group_size: 1
    .uses_dynamic_stack: false
    .vgpr_count:     0
    .vgpr_spill_count: 0
    .wavefront_size: 32
    .workgroup_processor_mode: 1
  - .args:
      - .offset:         0
        .size:           136
        .value_kind:     by_value
    .group_segment_fixed_size: 0
    .kernarg_segment_align: 8
    .kernarg_segment_size: 136
    .language:       OpenCL C
    .language_version:
      - 2
      - 0
    .max_flat_workgroup_size: 256
    .name:           _ZN7rocprim17ROCPRIM_400000_NS6detail17trampoline_kernelINS0_14default_configENS1_29reduce_by_key_config_selectorIyyN6thrust23THRUST_200600_302600_NS4plusIyEEEEZZNS1_33reduce_by_key_impl_wrapped_configILNS1_25lookback_scan_determinismE0ES3_S9_NS6_6detail15normal_iteratorINS6_10device_ptrIyEEEESG_SG_SG_PmS8_NS6_8equal_toIyEEEE10hipError_tPvRmT2_T3_mT4_T5_T6_T7_T8_P12ihipStream_tbENKUlT_T0_E_clISt17integral_constantIbLb0EES10_IbLb1EEEEDaSW_SX_EUlSW_E_NS1_11comp_targetILNS1_3genE2ELNS1_11target_archE906ELNS1_3gpuE6ELNS1_3repE0EEENS1_30default_config_static_selectorELNS0_4arch9wavefront6targetE0EEEvT1_
    .private_segment_fixed_size: 0
    .sgpr_count:     0
    .sgpr_spill_count: 0
    .symbol:         _ZN7rocprim17ROCPRIM_400000_NS6detail17trampoline_kernelINS0_14default_configENS1_29reduce_by_key_config_selectorIyyN6thrust23THRUST_200600_302600_NS4plusIyEEEEZZNS1_33reduce_by_key_impl_wrapped_configILNS1_25lookback_scan_determinismE0ES3_S9_NS6_6detail15normal_iteratorINS6_10device_ptrIyEEEESG_SG_SG_PmS8_NS6_8equal_toIyEEEE10hipError_tPvRmT2_T3_mT4_T5_T6_T7_T8_P12ihipStream_tbENKUlT_T0_E_clISt17integral_constantIbLb0EES10_IbLb1EEEEDaSW_SX_EUlSW_E_NS1_11comp_targetILNS1_3genE2ELNS1_11target_archE906ELNS1_3gpuE6ELNS1_3repE0EEENS1_30default_config_static_selectorELNS0_4arch9wavefront6targetE0EEEvT1_.kd
    .uniform_work_group_size: 1
    .uses_dynamic_stack: false
    .vgpr_count:     0
    .vgpr_spill_count: 0
    .wavefront_size: 32
    .workgroup_processor_mode: 1
  - .args:
      - .offset:         0
        .size:           136
        .value_kind:     by_value
    .group_segment_fixed_size: 0
    .kernarg_segment_align: 8
    .kernarg_segment_size: 136
    .language:       OpenCL C
    .language_version:
      - 2
      - 0
    .max_flat_workgroup_size: 256
    .name:           _ZN7rocprim17ROCPRIM_400000_NS6detail17trampoline_kernelINS0_14default_configENS1_29reduce_by_key_config_selectorIyyN6thrust23THRUST_200600_302600_NS4plusIyEEEEZZNS1_33reduce_by_key_impl_wrapped_configILNS1_25lookback_scan_determinismE0ES3_S9_NS6_6detail15normal_iteratorINS6_10device_ptrIyEEEESG_SG_SG_PmS8_NS6_8equal_toIyEEEE10hipError_tPvRmT2_T3_mT4_T5_T6_T7_T8_P12ihipStream_tbENKUlT_T0_E_clISt17integral_constantIbLb0EES10_IbLb1EEEEDaSW_SX_EUlSW_E_NS1_11comp_targetILNS1_3genE10ELNS1_11target_archE1201ELNS1_3gpuE5ELNS1_3repE0EEENS1_30default_config_static_selectorELNS0_4arch9wavefront6targetE0EEEvT1_
    .private_segment_fixed_size: 0
    .sgpr_count:     0
    .sgpr_spill_count: 0
    .symbol:         _ZN7rocprim17ROCPRIM_400000_NS6detail17trampoline_kernelINS0_14default_configENS1_29reduce_by_key_config_selectorIyyN6thrust23THRUST_200600_302600_NS4plusIyEEEEZZNS1_33reduce_by_key_impl_wrapped_configILNS1_25lookback_scan_determinismE0ES3_S9_NS6_6detail15normal_iteratorINS6_10device_ptrIyEEEESG_SG_SG_PmS8_NS6_8equal_toIyEEEE10hipError_tPvRmT2_T3_mT4_T5_T6_T7_T8_P12ihipStream_tbENKUlT_T0_E_clISt17integral_constantIbLb0EES10_IbLb1EEEEDaSW_SX_EUlSW_E_NS1_11comp_targetILNS1_3genE10ELNS1_11target_archE1201ELNS1_3gpuE5ELNS1_3repE0EEENS1_30default_config_static_selectorELNS0_4arch9wavefront6targetE0EEEvT1_.kd
    .uniform_work_group_size: 1
    .uses_dynamic_stack: false
    .vgpr_count:     0
    .vgpr_spill_count: 0
    .wavefront_size: 32
    .workgroup_processor_mode: 1
  - .args:
      - .offset:         0
        .size:           136
        .value_kind:     by_value
    .group_segment_fixed_size: 0
    .kernarg_segment_align: 8
    .kernarg_segment_size: 136
    .language:       OpenCL C
    .language_version:
      - 2
      - 0
    .max_flat_workgroup_size: 256
    .name:           _ZN7rocprim17ROCPRIM_400000_NS6detail17trampoline_kernelINS0_14default_configENS1_29reduce_by_key_config_selectorIyyN6thrust23THRUST_200600_302600_NS4plusIyEEEEZZNS1_33reduce_by_key_impl_wrapped_configILNS1_25lookback_scan_determinismE0ES3_S9_NS6_6detail15normal_iteratorINS6_10device_ptrIyEEEESG_SG_SG_PmS8_NS6_8equal_toIyEEEE10hipError_tPvRmT2_T3_mT4_T5_T6_T7_T8_P12ihipStream_tbENKUlT_T0_E_clISt17integral_constantIbLb0EES10_IbLb1EEEEDaSW_SX_EUlSW_E_NS1_11comp_targetILNS1_3genE10ELNS1_11target_archE1200ELNS1_3gpuE4ELNS1_3repE0EEENS1_30default_config_static_selectorELNS0_4arch9wavefront6targetE0EEEvT1_
    .private_segment_fixed_size: 0
    .sgpr_count:     0
    .sgpr_spill_count: 0
    .symbol:         _ZN7rocprim17ROCPRIM_400000_NS6detail17trampoline_kernelINS0_14default_configENS1_29reduce_by_key_config_selectorIyyN6thrust23THRUST_200600_302600_NS4plusIyEEEEZZNS1_33reduce_by_key_impl_wrapped_configILNS1_25lookback_scan_determinismE0ES3_S9_NS6_6detail15normal_iteratorINS6_10device_ptrIyEEEESG_SG_SG_PmS8_NS6_8equal_toIyEEEE10hipError_tPvRmT2_T3_mT4_T5_T6_T7_T8_P12ihipStream_tbENKUlT_T0_E_clISt17integral_constantIbLb0EES10_IbLb1EEEEDaSW_SX_EUlSW_E_NS1_11comp_targetILNS1_3genE10ELNS1_11target_archE1200ELNS1_3gpuE4ELNS1_3repE0EEENS1_30default_config_static_selectorELNS0_4arch9wavefront6targetE0EEEvT1_.kd
    .uniform_work_group_size: 1
    .uses_dynamic_stack: false
    .vgpr_count:     0
    .vgpr_spill_count: 0
    .wavefront_size: 32
    .workgroup_processor_mode: 1
  - .args:
      - .offset:         0
        .size:           136
        .value_kind:     by_value
    .group_segment_fixed_size: 30720
    .kernarg_segment_align: 8
    .kernarg_segment_size: 136
    .language:       OpenCL C
    .language_version:
      - 2
      - 0
    .max_flat_workgroup_size: 256
    .name:           _ZN7rocprim17ROCPRIM_400000_NS6detail17trampoline_kernelINS0_14default_configENS1_29reduce_by_key_config_selectorIyyN6thrust23THRUST_200600_302600_NS4plusIyEEEEZZNS1_33reduce_by_key_impl_wrapped_configILNS1_25lookback_scan_determinismE0ES3_S9_NS6_6detail15normal_iteratorINS6_10device_ptrIyEEEESG_SG_SG_PmS8_NS6_8equal_toIyEEEE10hipError_tPvRmT2_T3_mT4_T5_T6_T7_T8_P12ihipStream_tbENKUlT_T0_E_clISt17integral_constantIbLb0EES10_IbLb1EEEEDaSW_SX_EUlSW_E_NS1_11comp_targetILNS1_3genE9ELNS1_11target_archE1100ELNS1_3gpuE3ELNS1_3repE0EEENS1_30default_config_static_selectorELNS0_4arch9wavefront6targetE0EEEvT1_
    .private_segment_fixed_size: 0
    .sgpr_count:     54
    .sgpr_spill_count: 0
    .symbol:         _ZN7rocprim17ROCPRIM_400000_NS6detail17trampoline_kernelINS0_14default_configENS1_29reduce_by_key_config_selectorIyyN6thrust23THRUST_200600_302600_NS4plusIyEEEEZZNS1_33reduce_by_key_impl_wrapped_configILNS1_25lookback_scan_determinismE0ES3_S9_NS6_6detail15normal_iteratorINS6_10device_ptrIyEEEESG_SG_SG_PmS8_NS6_8equal_toIyEEEE10hipError_tPvRmT2_T3_mT4_T5_T6_T7_T8_P12ihipStream_tbENKUlT_T0_E_clISt17integral_constantIbLb0EES10_IbLb1EEEEDaSW_SX_EUlSW_E_NS1_11comp_targetILNS1_3genE9ELNS1_11target_archE1100ELNS1_3gpuE3ELNS1_3repE0EEENS1_30default_config_static_selectorELNS0_4arch9wavefront6targetE0EEEvT1_.kd
    .uniform_work_group_size: 1
    .uses_dynamic_stack: false
    .vgpr_count:     121
    .vgpr_spill_count: 0
    .wavefront_size: 32
    .workgroup_processor_mode: 1
  - .args:
      - .offset:         0
        .size:           136
        .value_kind:     by_value
    .group_segment_fixed_size: 0
    .kernarg_segment_align: 8
    .kernarg_segment_size: 136
    .language:       OpenCL C
    .language_version:
      - 2
      - 0
    .max_flat_workgroup_size: 256
    .name:           _ZN7rocprim17ROCPRIM_400000_NS6detail17trampoline_kernelINS0_14default_configENS1_29reduce_by_key_config_selectorIyyN6thrust23THRUST_200600_302600_NS4plusIyEEEEZZNS1_33reduce_by_key_impl_wrapped_configILNS1_25lookback_scan_determinismE0ES3_S9_NS6_6detail15normal_iteratorINS6_10device_ptrIyEEEESG_SG_SG_PmS8_NS6_8equal_toIyEEEE10hipError_tPvRmT2_T3_mT4_T5_T6_T7_T8_P12ihipStream_tbENKUlT_T0_E_clISt17integral_constantIbLb0EES10_IbLb1EEEEDaSW_SX_EUlSW_E_NS1_11comp_targetILNS1_3genE8ELNS1_11target_archE1030ELNS1_3gpuE2ELNS1_3repE0EEENS1_30default_config_static_selectorELNS0_4arch9wavefront6targetE0EEEvT1_
    .private_segment_fixed_size: 0
    .sgpr_count:     0
    .sgpr_spill_count: 0
    .symbol:         _ZN7rocprim17ROCPRIM_400000_NS6detail17trampoline_kernelINS0_14default_configENS1_29reduce_by_key_config_selectorIyyN6thrust23THRUST_200600_302600_NS4plusIyEEEEZZNS1_33reduce_by_key_impl_wrapped_configILNS1_25lookback_scan_determinismE0ES3_S9_NS6_6detail15normal_iteratorINS6_10device_ptrIyEEEESG_SG_SG_PmS8_NS6_8equal_toIyEEEE10hipError_tPvRmT2_T3_mT4_T5_T6_T7_T8_P12ihipStream_tbENKUlT_T0_E_clISt17integral_constantIbLb0EES10_IbLb1EEEEDaSW_SX_EUlSW_E_NS1_11comp_targetILNS1_3genE8ELNS1_11target_archE1030ELNS1_3gpuE2ELNS1_3repE0EEENS1_30default_config_static_selectorELNS0_4arch9wavefront6targetE0EEEvT1_.kd
    .uniform_work_group_size: 1
    .uses_dynamic_stack: false
    .vgpr_count:     0
    .vgpr_spill_count: 0
    .wavefront_size: 32
    .workgroup_processor_mode: 1
  - .args:
      - .offset:         0
        .size:           136
        .value_kind:     by_value
    .group_segment_fixed_size: 0
    .kernarg_segment_align: 8
    .kernarg_segment_size: 136
    .language:       OpenCL C
    .language_version:
      - 2
      - 0
    .max_flat_workgroup_size: 256
    .name:           _ZN7rocprim17ROCPRIM_400000_NS6detail17trampoline_kernelINS0_14default_configENS1_29reduce_by_key_config_selectorIyyN6thrust23THRUST_200600_302600_NS4plusIyEEEEZZNS1_33reduce_by_key_impl_wrapped_configILNS1_25lookback_scan_determinismE0ES3_S9_NS6_6detail15normal_iteratorINS6_10device_ptrIyEEEESG_SG_SG_PmS8_22is_equal_div_10_reduceIyEEE10hipError_tPvRmT2_T3_mT4_T5_T6_T7_T8_P12ihipStream_tbENKUlT_T0_E_clISt17integral_constantIbLb0EES11_EEDaSW_SX_EUlSW_E_NS1_11comp_targetILNS1_3genE0ELNS1_11target_archE4294967295ELNS1_3gpuE0ELNS1_3repE0EEENS1_30default_config_static_selectorELNS0_4arch9wavefront6targetE0EEEvT1_
    .private_segment_fixed_size: 0
    .sgpr_count:     0
    .sgpr_spill_count: 0
    .symbol:         _ZN7rocprim17ROCPRIM_400000_NS6detail17trampoline_kernelINS0_14default_configENS1_29reduce_by_key_config_selectorIyyN6thrust23THRUST_200600_302600_NS4plusIyEEEEZZNS1_33reduce_by_key_impl_wrapped_configILNS1_25lookback_scan_determinismE0ES3_S9_NS6_6detail15normal_iteratorINS6_10device_ptrIyEEEESG_SG_SG_PmS8_22is_equal_div_10_reduceIyEEE10hipError_tPvRmT2_T3_mT4_T5_T6_T7_T8_P12ihipStream_tbENKUlT_T0_E_clISt17integral_constantIbLb0EES11_EEDaSW_SX_EUlSW_E_NS1_11comp_targetILNS1_3genE0ELNS1_11target_archE4294967295ELNS1_3gpuE0ELNS1_3repE0EEENS1_30default_config_static_selectorELNS0_4arch9wavefront6targetE0EEEvT1_.kd
    .uniform_work_group_size: 1
    .uses_dynamic_stack: false
    .vgpr_count:     0
    .vgpr_spill_count: 0
    .wavefront_size: 32
    .workgroup_processor_mode: 1
  - .args:
      - .offset:         0
        .size:           136
        .value_kind:     by_value
    .group_segment_fixed_size: 0
    .kernarg_segment_align: 8
    .kernarg_segment_size: 136
    .language:       OpenCL C
    .language_version:
      - 2
      - 0
    .max_flat_workgroup_size: 256
    .name:           _ZN7rocprim17ROCPRIM_400000_NS6detail17trampoline_kernelINS0_14default_configENS1_29reduce_by_key_config_selectorIyyN6thrust23THRUST_200600_302600_NS4plusIyEEEEZZNS1_33reduce_by_key_impl_wrapped_configILNS1_25lookback_scan_determinismE0ES3_S9_NS6_6detail15normal_iteratorINS6_10device_ptrIyEEEESG_SG_SG_PmS8_22is_equal_div_10_reduceIyEEE10hipError_tPvRmT2_T3_mT4_T5_T6_T7_T8_P12ihipStream_tbENKUlT_T0_E_clISt17integral_constantIbLb0EES11_EEDaSW_SX_EUlSW_E_NS1_11comp_targetILNS1_3genE5ELNS1_11target_archE942ELNS1_3gpuE9ELNS1_3repE0EEENS1_30default_config_static_selectorELNS0_4arch9wavefront6targetE0EEEvT1_
    .private_segment_fixed_size: 0
    .sgpr_count:     0
    .sgpr_spill_count: 0
    .symbol:         _ZN7rocprim17ROCPRIM_400000_NS6detail17trampoline_kernelINS0_14default_configENS1_29reduce_by_key_config_selectorIyyN6thrust23THRUST_200600_302600_NS4plusIyEEEEZZNS1_33reduce_by_key_impl_wrapped_configILNS1_25lookback_scan_determinismE0ES3_S9_NS6_6detail15normal_iteratorINS6_10device_ptrIyEEEESG_SG_SG_PmS8_22is_equal_div_10_reduceIyEEE10hipError_tPvRmT2_T3_mT4_T5_T6_T7_T8_P12ihipStream_tbENKUlT_T0_E_clISt17integral_constantIbLb0EES11_EEDaSW_SX_EUlSW_E_NS1_11comp_targetILNS1_3genE5ELNS1_11target_archE942ELNS1_3gpuE9ELNS1_3repE0EEENS1_30default_config_static_selectorELNS0_4arch9wavefront6targetE0EEEvT1_.kd
    .uniform_work_group_size: 1
    .uses_dynamic_stack: false
    .vgpr_count:     0
    .vgpr_spill_count: 0
    .wavefront_size: 32
    .workgroup_processor_mode: 1
  - .args:
      - .offset:         0
        .size:           136
        .value_kind:     by_value
    .group_segment_fixed_size: 0
    .kernarg_segment_align: 8
    .kernarg_segment_size: 136
    .language:       OpenCL C
    .language_version:
      - 2
      - 0
    .max_flat_workgroup_size: 256
    .name:           _ZN7rocprim17ROCPRIM_400000_NS6detail17trampoline_kernelINS0_14default_configENS1_29reduce_by_key_config_selectorIyyN6thrust23THRUST_200600_302600_NS4plusIyEEEEZZNS1_33reduce_by_key_impl_wrapped_configILNS1_25lookback_scan_determinismE0ES3_S9_NS6_6detail15normal_iteratorINS6_10device_ptrIyEEEESG_SG_SG_PmS8_22is_equal_div_10_reduceIyEEE10hipError_tPvRmT2_T3_mT4_T5_T6_T7_T8_P12ihipStream_tbENKUlT_T0_E_clISt17integral_constantIbLb0EES11_EEDaSW_SX_EUlSW_E_NS1_11comp_targetILNS1_3genE4ELNS1_11target_archE910ELNS1_3gpuE8ELNS1_3repE0EEENS1_30default_config_static_selectorELNS0_4arch9wavefront6targetE0EEEvT1_
    .private_segment_fixed_size: 0
    .sgpr_count:     0
    .sgpr_spill_count: 0
    .symbol:         _ZN7rocprim17ROCPRIM_400000_NS6detail17trampoline_kernelINS0_14default_configENS1_29reduce_by_key_config_selectorIyyN6thrust23THRUST_200600_302600_NS4plusIyEEEEZZNS1_33reduce_by_key_impl_wrapped_configILNS1_25lookback_scan_determinismE0ES3_S9_NS6_6detail15normal_iteratorINS6_10device_ptrIyEEEESG_SG_SG_PmS8_22is_equal_div_10_reduceIyEEE10hipError_tPvRmT2_T3_mT4_T5_T6_T7_T8_P12ihipStream_tbENKUlT_T0_E_clISt17integral_constantIbLb0EES11_EEDaSW_SX_EUlSW_E_NS1_11comp_targetILNS1_3genE4ELNS1_11target_archE910ELNS1_3gpuE8ELNS1_3repE0EEENS1_30default_config_static_selectorELNS0_4arch9wavefront6targetE0EEEvT1_.kd
    .uniform_work_group_size: 1
    .uses_dynamic_stack: false
    .vgpr_count:     0
    .vgpr_spill_count: 0
    .wavefront_size: 32
    .workgroup_processor_mode: 1
  - .args:
      - .offset:         0
        .size:           136
        .value_kind:     by_value
    .group_segment_fixed_size: 0
    .kernarg_segment_align: 8
    .kernarg_segment_size: 136
    .language:       OpenCL C
    .language_version:
      - 2
      - 0
    .max_flat_workgroup_size: 256
    .name:           _ZN7rocprim17ROCPRIM_400000_NS6detail17trampoline_kernelINS0_14default_configENS1_29reduce_by_key_config_selectorIyyN6thrust23THRUST_200600_302600_NS4plusIyEEEEZZNS1_33reduce_by_key_impl_wrapped_configILNS1_25lookback_scan_determinismE0ES3_S9_NS6_6detail15normal_iteratorINS6_10device_ptrIyEEEESG_SG_SG_PmS8_22is_equal_div_10_reduceIyEEE10hipError_tPvRmT2_T3_mT4_T5_T6_T7_T8_P12ihipStream_tbENKUlT_T0_E_clISt17integral_constantIbLb0EES11_EEDaSW_SX_EUlSW_E_NS1_11comp_targetILNS1_3genE3ELNS1_11target_archE908ELNS1_3gpuE7ELNS1_3repE0EEENS1_30default_config_static_selectorELNS0_4arch9wavefront6targetE0EEEvT1_
    .private_segment_fixed_size: 0
    .sgpr_count:     0
    .sgpr_spill_count: 0
    .symbol:         _ZN7rocprim17ROCPRIM_400000_NS6detail17trampoline_kernelINS0_14default_configENS1_29reduce_by_key_config_selectorIyyN6thrust23THRUST_200600_302600_NS4plusIyEEEEZZNS1_33reduce_by_key_impl_wrapped_configILNS1_25lookback_scan_determinismE0ES3_S9_NS6_6detail15normal_iteratorINS6_10device_ptrIyEEEESG_SG_SG_PmS8_22is_equal_div_10_reduceIyEEE10hipError_tPvRmT2_T3_mT4_T5_T6_T7_T8_P12ihipStream_tbENKUlT_T0_E_clISt17integral_constantIbLb0EES11_EEDaSW_SX_EUlSW_E_NS1_11comp_targetILNS1_3genE3ELNS1_11target_archE908ELNS1_3gpuE7ELNS1_3repE0EEENS1_30default_config_static_selectorELNS0_4arch9wavefront6targetE0EEEvT1_.kd
    .uniform_work_group_size: 1
    .uses_dynamic_stack: false
    .vgpr_count:     0
    .vgpr_spill_count: 0
    .wavefront_size: 32
    .workgroup_processor_mode: 1
  - .args:
      - .offset:         0
        .size:           136
        .value_kind:     by_value
    .group_segment_fixed_size: 0
    .kernarg_segment_align: 8
    .kernarg_segment_size: 136
    .language:       OpenCL C
    .language_version:
      - 2
      - 0
    .max_flat_workgroup_size: 256
    .name:           _ZN7rocprim17ROCPRIM_400000_NS6detail17trampoline_kernelINS0_14default_configENS1_29reduce_by_key_config_selectorIyyN6thrust23THRUST_200600_302600_NS4plusIyEEEEZZNS1_33reduce_by_key_impl_wrapped_configILNS1_25lookback_scan_determinismE0ES3_S9_NS6_6detail15normal_iteratorINS6_10device_ptrIyEEEESG_SG_SG_PmS8_22is_equal_div_10_reduceIyEEE10hipError_tPvRmT2_T3_mT4_T5_T6_T7_T8_P12ihipStream_tbENKUlT_T0_E_clISt17integral_constantIbLb0EES11_EEDaSW_SX_EUlSW_E_NS1_11comp_targetILNS1_3genE2ELNS1_11target_archE906ELNS1_3gpuE6ELNS1_3repE0EEENS1_30default_config_static_selectorELNS0_4arch9wavefront6targetE0EEEvT1_
    .private_segment_fixed_size: 0
    .sgpr_count:     0
    .sgpr_spill_count: 0
    .symbol:         _ZN7rocprim17ROCPRIM_400000_NS6detail17trampoline_kernelINS0_14default_configENS1_29reduce_by_key_config_selectorIyyN6thrust23THRUST_200600_302600_NS4plusIyEEEEZZNS1_33reduce_by_key_impl_wrapped_configILNS1_25lookback_scan_determinismE0ES3_S9_NS6_6detail15normal_iteratorINS6_10device_ptrIyEEEESG_SG_SG_PmS8_22is_equal_div_10_reduceIyEEE10hipError_tPvRmT2_T3_mT4_T5_T6_T7_T8_P12ihipStream_tbENKUlT_T0_E_clISt17integral_constantIbLb0EES11_EEDaSW_SX_EUlSW_E_NS1_11comp_targetILNS1_3genE2ELNS1_11target_archE906ELNS1_3gpuE6ELNS1_3repE0EEENS1_30default_config_static_selectorELNS0_4arch9wavefront6targetE0EEEvT1_.kd
    .uniform_work_group_size: 1
    .uses_dynamic_stack: false
    .vgpr_count:     0
    .vgpr_spill_count: 0
    .wavefront_size: 32
    .workgroup_processor_mode: 1
  - .args:
      - .offset:         0
        .size:           136
        .value_kind:     by_value
    .group_segment_fixed_size: 0
    .kernarg_segment_align: 8
    .kernarg_segment_size: 136
    .language:       OpenCL C
    .language_version:
      - 2
      - 0
    .max_flat_workgroup_size: 256
    .name:           _ZN7rocprim17ROCPRIM_400000_NS6detail17trampoline_kernelINS0_14default_configENS1_29reduce_by_key_config_selectorIyyN6thrust23THRUST_200600_302600_NS4plusIyEEEEZZNS1_33reduce_by_key_impl_wrapped_configILNS1_25lookback_scan_determinismE0ES3_S9_NS6_6detail15normal_iteratorINS6_10device_ptrIyEEEESG_SG_SG_PmS8_22is_equal_div_10_reduceIyEEE10hipError_tPvRmT2_T3_mT4_T5_T6_T7_T8_P12ihipStream_tbENKUlT_T0_E_clISt17integral_constantIbLb0EES11_EEDaSW_SX_EUlSW_E_NS1_11comp_targetILNS1_3genE10ELNS1_11target_archE1201ELNS1_3gpuE5ELNS1_3repE0EEENS1_30default_config_static_selectorELNS0_4arch9wavefront6targetE0EEEvT1_
    .private_segment_fixed_size: 0
    .sgpr_count:     0
    .sgpr_spill_count: 0
    .symbol:         _ZN7rocprim17ROCPRIM_400000_NS6detail17trampoline_kernelINS0_14default_configENS1_29reduce_by_key_config_selectorIyyN6thrust23THRUST_200600_302600_NS4plusIyEEEEZZNS1_33reduce_by_key_impl_wrapped_configILNS1_25lookback_scan_determinismE0ES3_S9_NS6_6detail15normal_iteratorINS6_10device_ptrIyEEEESG_SG_SG_PmS8_22is_equal_div_10_reduceIyEEE10hipError_tPvRmT2_T3_mT4_T5_T6_T7_T8_P12ihipStream_tbENKUlT_T0_E_clISt17integral_constantIbLb0EES11_EEDaSW_SX_EUlSW_E_NS1_11comp_targetILNS1_3genE10ELNS1_11target_archE1201ELNS1_3gpuE5ELNS1_3repE0EEENS1_30default_config_static_selectorELNS0_4arch9wavefront6targetE0EEEvT1_.kd
    .uniform_work_group_size: 1
    .uses_dynamic_stack: false
    .vgpr_count:     0
    .vgpr_spill_count: 0
    .wavefront_size: 32
    .workgroup_processor_mode: 1
  - .args:
      - .offset:         0
        .size:           136
        .value_kind:     by_value
    .group_segment_fixed_size: 0
    .kernarg_segment_align: 8
    .kernarg_segment_size: 136
    .language:       OpenCL C
    .language_version:
      - 2
      - 0
    .max_flat_workgroup_size: 256
    .name:           _ZN7rocprim17ROCPRIM_400000_NS6detail17trampoline_kernelINS0_14default_configENS1_29reduce_by_key_config_selectorIyyN6thrust23THRUST_200600_302600_NS4plusIyEEEEZZNS1_33reduce_by_key_impl_wrapped_configILNS1_25lookback_scan_determinismE0ES3_S9_NS6_6detail15normal_iteratorINS6_10device_ptrIyEEEESG_SG_SG_PmS8_22is_equal_div_10_reduceIyEEE10hipError_tPvRmT2_T3_mT4_T5_T6_T7_T8_P12ihipStream_tbENKUlT_T0_E_clISt17integral_constantIbLb0EES11_EEDaSW_SX_EUlSW_E_NS1_11comp_targetILNS1_3genE10ELNS1_11target_archE1200ELNS1_3gpuE4ELNS1_3repE0EEENS1_30default_config_static_selectorELNS0_4arch9wavefront6targetE0EEEvT1_
    .private_segment_fixed_size: 0
    .sgpr_count:     0
    .sgpr_spill_count: 0
    .symbol:         _ZN7rocprim17ROCPRIM_400000_NS6detail17trampoline_kernelINS0_14default_configENS1_29reduce_by_key_config_selectorIyyN6thrust23THRUST_200600_302600_NS4plusIyEEEEZZNS1_33reduce_by_key_impl_wrapped_configILNS1_25lookback_scan_determinismE0ES3_S9_NS6_6detail15normal_iteratorINS6_10device_ptrIyEEEESG_SG_SG_PmS8_22is_equal_div_10_reduceIyEEE10hipError_tPvRmT2_T3_mT4_T5_T6_T7_T8_P12ihipStream_tbENKUlT_T0_E_clISt17integral_constantIbLb0EES11_EEDaSW_SX_EUlSW_E_NS1_11comp_targetILNS1_3genE10ELNS1_11target_archE1200ELNS1_3gpuE4ELNS1_3repE0EEENS1_30default_config_static_selectorELNS0_4arch9wavefront6targetE0EEEvT1_.kd
    .uniform_work_group_size: 1
    .uses_dynamic_stack: false
    .vgpr_count:     0
    .vgpr_spill_count: 0
    .wavefront_size: 32
    .workgroup_processor_mode: 1
  - .args:
      - .offset:         0
        .size:           136
        .value_kind:     by_value
    .group_segment_fixed_size: 30720
    .kernarg_segment_align: 8
    .kernarg_segment_size: 136
    .language:       OpenCL C
    .language_version:
      - 2
      - 0
    .max_flat_workgroup_size: 256
    .name:           _ZN7rocprim17ROCPRIM_400000_NS6detail17trampoline_kernelINS0_14default_configENS1_29reduce_by_key_config_selectorIyyN6thrust23THRUST_200600_302600_NS4plusIyEEEEZZNS1_33reduce_by_key_impl_wrapped_configILNS1_25lookback_scan_determinismE0ES3_S9_NS6_6detail15normal_iteratorINS6_10device_ptrIyEEEESG_SG_SG_PmS8_22is_equal_div_10_reduceIyEEE10hipError_tPvRmT2_T3_mT4_T5_T6_T7_T8_P12ihipStream_tbENKUlT_T0_E_clISt17integral_constantIbLb0EES11_EEDaSW_SX_EUlSW_E_NS1_11comp_targetILNS1_3genE9ELNS1_11target_archE1100ELNS1_3gpuE3ELNS1_3repE0EEENS1_30default_config_static_selectorELNS0_4arch9wavefront6targetE0EEEvT1_
    .private_segment_fixed_size: 0
    .sgpr_count:     50
    .sgpr_spill_count: 0
    .symbol:         _ZN7rocprim17ROCPRIM_400000_NS6detail17trampoline_kernelINS0_14default_configENS1_29reduce_by_key_config_selectorIyyN6thrust23THRUST_200600_302600_NS4plusIyEEEEZZNS1_33reduce_by_key_impl_wrapped_configILNS1_25lookback_scan_determinismE0ES3_S9_NS6_6detail15normal_iteratorINS6_10device_ptrIyEEEESG_SG_SG_PmS8_22is_equal_div_10_reduceIyEEE10hipError_tPvRmT2_T3_mT4_T5_T6_T7_T8_P12ihipStream_tbENKUlT_T0_E_clISt17integral_constantIbLb0EES11_EEDaSW_SX_EUlSW_E_NS1_11comp_targetILNS1_3genE9ELNS1_11target_archE1100ELNS1_3gpuE3ELNS1_3repE0EEENS1_30default_config_static_selectorELNS0_4arch9wavefront6targetE0EEEvT1_.kd
    .uniform_work_group_size: 1
    .uses_dynamic_stack: false
    .vgpr_count:     120
    .vgpr_spill_count: 0
    .wavefront_size: 32
    .workgroup_processor_mode: 1
  - .args:
      - .offset:         0
        .size:           136
        .value_kind:     by_value
    .group_segment_fixed_size: 0
    .kernarg_segment_align: 8
    .kernarg_segment_size: 136
    .language:       OpenCL C
    .language_version:
      - 2
      - 0
    .max_flat_workgroup_size: 256
    .name:           _ZN7rocprim17ROCPRIM_400000_NS6detail17trampoline_kernelINS0_14default_configENS1_29reduce_by_key_config_selectorIyyN6thrust23THRUST_200600_302600_NS4plusIyEEEEZZNS1_33reduce_by_key_impl_wrapped_configILNS1_25lookback_scan_determinismE0ES3_S9_NS6_6detail15normal_iteratorINS6_10device_ptrIyEEEESG_SG_SG_PmS8_22is_equal_div_10_reduceIyEEE10hipError_tPvRmT2_T3_mT4_T5_T6_T7_T8_P12ihipStream_tbENKUlT_T0_E_clISt17integral_constantIbLb0EES11_EEDaSW_SX_EUlSW_E_NS1_11comp_targetILNS1_3genE8ELNS1_11target_archE1030ELNS1_3gpuE2ELNS1_3repE0EEENS1_30default_config_static_selectorELNS0_4arch9wavefront6targetE0EEEvT1_
    .private_segment_fixed_size: 0
    .sgpr_count:     0
    .sgpr_spill_count: 0
    .symbol:         _ZN7rocprim17ROCPRIM_400000_NS6detail17trampoline_kernelINS0_14default_configENS1_29reduce_by_key_config_selectorIyyN6thrust23THRUST_200600_302600_NS4plusIyEEEEZZNS1_33reduce_by_key_impl_wrapped_configILNS1_25lookback_scan_determinismE0ES3_S9_NS6_6detail15normal_iteratorINS6_10device_ptrIyEEEESG_SG_SG_PmS8_22is_equal_div_10_reduceIyEEE10hipError_tPvRmT2_T3_mT4_T5_T6_T7_T8_P12ihipStream_tbENKUlT_T0_E_clISt17integral_constantIbLb0EES11_EEDaSW_SX_EUlSW_E_NS1_11comp_targetILNS1_3genE8ELNS1_11target_archE1030ELNS1_3gpuE2ELNS1_3repE0EEENS1_30default_config_static_selectorELNS0_4arch9wavefront6targetE0EEEvT1_.kd
    .uniform_work_group_size: 1
    .uses_dynamic_stack: false
    .vgpr_count:     0
    .vgpr_spill_count: 0
    .wavefront_size: 32
    .workgroup_processor_mode: 1
  - .args:
      - .offset:         0
        .size:           136
        .value_kind:     by_value
    .group_segment_fixed_size: 0
    .kernarg_segment_align: 8
    .kernarg_segment_size: 136
    .language:       OpenCL C
    .language_version:
      - 2
      - 0
    .max_flat_workgroup_size: 256
    .name:           _ZN7rocprim17ROCPRIM_400000_NS6detail17trampoline_kernelINS0_14default_configENS1_29reduce_by_key_config_selectorIyyN6thrust23THRUST_200600_302600_NS4plusIyEEEEZZNS1_33reduce_by_key_impl_wrapped_configILNS1_25lookback_scan_determinismE0ES3_S9_NS6_6detail15normal_iteratorINS6_10device_ptrIyEEEESG_SG_SG_PmS8_22is_equal_div_10_reduceIyEEE10hipError_tPvRmT2_T3_mT4_T5_T6_T7_T8_P12ihipStream_tbENKUlT_T0_E_clISt17integral_constantIbLb1EES11_EEDaSW_SX_EUlSW_E_NS1_11comp_targetILNS1_3genE0ELNS1_11target_archE4294967295ELNS1_3gpuE0ELNS1_3repE0EEENS1_30default_config_static_selectorELNS0_4arch9wavefront6targetE0EEEvT1_
    .private_segment_fixed_size: 0
    .sgpr_count:     0
    .sgpr_spill_count: 0
    .symbol:         _ZN7rocprim17ROCPRIM_400000_NS6detail17trampoline_kernelINS0_14default_configENS1_29reduce_by_key_config_selectorIyyN6thrust23THRUST_200600_302600_NS4plusIyEEEEZZNS1_33reduce_by_key_impl_wrapped_configILNS1_25lookback_scan_determinismE0ES3_S9_NS6_6detail15normal_iteratorINS6_10device_ptrIyEEEESG_SG_SG_PmS8_22is_equal_div_10_reduceIyEEE10hipError_tPvRmT2_T3_mT4_T5_T6_T7_T8_P12ihipStream_tbENKUlT_T0_E_clISt17integral_constantIbLb1EES11_EEDaSW_SX_EUlSW_E_NS1_11comp_targetILNS1_3genE0ELNS1_11target_archE4294967295ELNS1_3gpuE0ELNS1_3repE0EEENS1_30default_config_static_selectorELNS0_4arch9wavefront6targetE0EEEvT1_.kd
    .uniform_work_group_size: 1
    .uses_dynamic_stack: false
    .vgpr_count:     0
    .vgpr_spill_count: 0
    .wavefront_size: 32
    .workgroup_processor_mode: 1
  - .args:
      - .offset:         0
        .size:           136
        .value_kind:     by_value
    .group_segment_fixed_size: 0
    .kernarg_segment_align: 8
    .kernarg_segment_size: 136
    .language:       OpenCL C
    .language_version:
      - 2
      - 0
    .max_flat_workgroup_size: 256
    .name:           _ZN7rocprim17ROCPRIM_400000_NS6detail17trampoline_kernelINS0_14default_configENS1_29reduce_by_key_config_selectorIyyN6thrust23THRUST_200600_302600_NS4plusIyEEEEZZNS1_33reduce_by_key_impl_wrapped_configILNS1_25lookback_scan_determinismE0ES3_S9_NS6_6detail15normal_iteratorINS6_10device_ptrIyEEEESG_SG_SG_PmS8_22is_equal_div_10_reduceIyEEE10hipError_tPvRmT2_T3_mT4_T5_T6_T7_T8_P12ihipStream_tbENKUlT_T0_E_clISt17integral_constantIbLb1EES11_EEDaSW_SX_EUlSW_E_NS1_11comp_targetILNS1_3genE5ELNS1_11target_archE942ELNS1_3gpuE9ELNS1_3repE0EEENS1_30default_config_static_selectorELNS0_4arch9wavefront6targetE0EEEvT1_
    .private_segment_fixed_size: 0
    .sgpr_count:     0
    .sgpr_spill_count: 0
    .symbol:         _ZN7rocprim17ROCPRIM_400000_NS6detail17trampoline_kernelINS0_14default_configENS1_29reduce_by_key_config_selectorIyyN6thrust23THRUST_200600_302600_NS4plusIyEEEEZZNS1_33reduce_by_key_impl_wrapped_configILNS1_25lookback_scan_determinismE0ES3_S9_NS6_6detail15normal_iteratorINS6_10device_ptrIyEEEESG_SG_SG_PmS8_22is_equal_div_10_reduceIyEEE10hipError_tPvRmT2_T3_mT4_T5_T6_T7_T8_P12ihipStream_tbENKUlT_T0_E_clISt17integral_constantIbLb1EES11_EEDaSW_SX_EUlSW_E_NS1_11comp_targetILNS1_3genE5ELNS1_11target_archE942ELNS1_3gpuE9ELNS1_3repE0EEENS1_30default_config_static_selectorELNS0_4arch9wavefront6targetE0EEEvT1_.kd
    .uniform_work_group_size: 1
    .uses_dynamic_stack: false
    .vgpr_count:     0
    .vgpr_spill_count: 0
    .wavefront_size: 32
    .workgroup_processor_mode: 1
  - .args:
      - .offset:         0
        .size:           136
        .value_kind:     by_value
    .group_segment_fixed_size: 0
    .kernarg_segment_align: 8
    .kernarg_segment_size: 136
    .language:       OpenCL C
    .language_version:
      - 2
      - 0
    .max_flat_workgroup_size: 256
    .name:           _ZN7rocprim17ROCPRIM_400000_NS6detail17trampoline_kernelINS0_14default_configENS1_29reduce_by_key_config_selectorIyyN6thrust23THRUST_200600_302600_NS4plusIyEEEEZZNS1_33reduce_by_key_impl_wrapped_configILNS1_25lookback_scan_determinismE0ES3_S9_NS6_6detail15normal_iteratorINS6_10device_ptrIyEEEESG_SG_SG_PmS8_22is_equal_div_10_reduceIyEEE10hipError_tPvRmT2_T3_mT4_T5_T6_T7_T8_P12ihipStream_tbENKUlT_T0_E_clISt17integral_constantIbLb1EES11_EEDaSW_SX_EUlSW_E_NS1_11comp_targetILNS1_3genE4ELNS1_11target_archE910ELNS1_3gpuE8ELNS1_3repE0EEENS1_30default_config_static_selectorELNS0_4arch9wavefront6targetE0EEEvT1_
    .private_segment_fixed_size: 0
    .sgpr_count:     0
    .sgpr_spill_count: 0
    .symbol:         _ZN7rocprim17ROCPRIM_400000_NS6detail17trampoline_kernelINS0_14default_configENS1_29reduce_by_key_config_selectorIyyN6thrust23THRUST_200600_302600_NS4plusIyEEEEZZNS1_33reduce_by_key_impl_wrapped_configILNS1_25lookback_scan_determinismE0ES3_S9_NS6_6detail15normal_iteratorINS6_10device_ptrIyEEEESG_SG_SG_PmS8_22is_equal_div_10_reduceIyEEE10hipError_tPvRmT2_T3_mT4_T5_T6_T7_T8_P12ihipStream_tbENKUlT_T0_E_clISt17integral_constantIbLb1EES11_EEDaSW_SX_EUlSW_E_NS1_11comp_targetILNS1_3genE4ELNS1_11target_archE910ELNS1_3gpuE8ELNS1_3repE0EEENS1_30default_config_static_selectorELNS0_4arch9wavefront6targetE0EEEvT1_.kd
    .uniform_work_group_size: 1
    .uses_dynamic_stack: false
    .vgpr_count:     0
    .vgpr_spill_count: 0
    .wavefront_size: 32
    .workgroup_processor_mode: 1
  - .args:
      - .offset:         0
        .size:           136
        .value_kind:     by_value
    .group_segment_fixed_size: 0
    .kernarg_segment_align: 8
    .kernarg_segment_size: 136
    .language:       OpenCL C
    .language_version:
      - 2
      - 0
    .max_flat_workgroup_size: 256
    .name:           _ZN7rocprim17ROCPRIM_400000_NS6detail17trampoline_kernelINS0_14default_configENS1_29reduce_by_key_config_selectorIyyN6thrust23THRUST_200600_302600_NS4plusIyEEEEZZNS1_33reduce_by_key_impl_wrapped_configILNS1_25lookback_scan_determinismE0ES3_S9_NS6_6detail15normal_iteratorINS6_10device_ptrIyEEEESG_SG_SG_PmS8_22is_equal_div_10_reduceIyEEE10hipError_tPvRmT2_T3_mT4_T5_T6_T7_T8_P12ihipStream_tbENKUlT_T0_E_clISt17integral_constantIbLb1EES11_EEDaSW_SX_EUlSW_E_NS1_11comp_targetILNS1_3genE3ELNS1_11target_archE908ELNS1_3gpuE7ELNS1_3repE0EEENS1_30default_config_static_selectorELNS0_4arch9wavefront6targetE0EEEvT1_
    .private_segment_fixed_size: 0
    .sgpr_count:     0
    .sgpr_spill_count: 0
    .symbol:         _ZN7rocprim17ROCPRIM_400000_NS6detail17trampoline_kernelINS0_14default_configENS1_29reduce_by_key_config_selectorIyyN6thrust23THRUST_200600_302600_NS4plusIyEEEEZZNS1_33reduce_by_key_impl_wrapped_configILNS1_25lookback_scan_determinismE0ES3_S9_NS6_6detail15normal_iteratorINS6_10device_ptrIyEEEESG_SG_SG_PmS8_22is_equal_div_10_reduceIyEEE10hipError_tPvRmT2_T3_mT4_T5_T6_T7_T8_P12ihipStream_tbENKUlT_T0_E_clISt17integral_constantIbLb1EES11_EEDaSW_SX_EUlSW_E_NS1_11comp_targetILNS1_3genE3ELNS1_11target_archE908ELNS1_3gpuE7ELNS1_3repE0EEENS1_30default_config_static_selectorELNS0_4arch9wavefront6targetE0EEEvT1_.kd
    .uniform_work_group_size: 1
    .uses_dynamic_stack: false
    .vgpr_count:     0
    .vgpr_spill_count: 0
    .wavefront_size: 32
    .workgroup_processor_mode: 1
  - .args:
      - .offset:         0
        .size:           136
        .value_kind:     by_value
    .group_segment_fixed_size: 0
    .kernarg_segment_align: 8
    .kernarg_segment_size: 136
    .language:       OpenCL C
    .language_version:
      - 2
      - 0
    .max_flat_workgroup_size: 256
    .name:           _ZN7rocprim17ROCPRIM_400000_NS6detail17trampoline_kernelINS0_14default_configENS1_29reduce_by_key_config_selectorIyyN6thrust23THRUST_200600_302600_NS4plusIyEEEEZZNS1_33reduce_by_key_impl_wrapped_configILNS1_25lookback_scan_determinismE0ES3_S9_NS6_6detail15normal_iteratorINS6_10device_ptrIyEEEESG_SG_SG_PmS8_22is_equal_div_10_reduceIyEEE10hipError_tPvRmT2_T3_mT4_T5_T6_T7_T8_P12ihipStream_tbENKUlT_T0_E_clISt17integral_constantIbLb1EES11_EEDaSW_SX_EUlSW_E_NS1_11comp_targetILNS1_3genE2ELNS1_11target_archE906ELNS1_3gpuE6ELNS1_3repE0EEENS1_30default_config_static_selectorELNS0_4arch9wavefront6targetE0EEEvT1_
    .private_segment_fixed_size: 0
    .sgpr_count:     0
    .sgpr_spill_count: 0
    .symbol:         _ZN7rocprim17ROCPRIM_400000_NS6detail17trampoline_kernelINS0_14default_configENS1_29reduce_by_key_config_selectorIyyN6thrust23THRUST_200600_302600_NS4plusIyEEEEZZNS1_33reduce_by_key_impl_wrapped_configILNS1_25lookback_scan_determinismE0ES3_S9_NS6_6detail15normal_iteratorINS6_10device_ptrIyEEEESG_SG_SG_PmS8_22is_equal_div_10_reduceIyEEE10hipError_tPvRmT2_T3_mT4_T5_T6_T7_T8_P12ihipStream_tbENKUlT_T0_E_clISt17integral_constantIbLb1EES11_EEDaSW_SX_EUlSW_E_NS1_11comp_targetILNS1_3genE2ELNS1_11target_archE906ELNS1_3gpuE6ELNS1_3repE0EEENS1_30default_config_static_selectorELNS0_4arch9wavefront6targetE0EEEvT1_.kd
    .uniform_work_group_size: 1
    .uses_dynamic_stack: false
    .vgpr_count:     0
    .vgpr_spill_count: 0
    .wavefront_size: 32
    .workgroup_processor_mode: 1
  - .args:
      - .offset:         0
        .size:           136
        .value_kind:     by_value
    .group_segment_fixed_size: 0
    .kernarg_segment_align: 8
    .kernarg_segment_size: 136
    .language:       OpenCL C
    .language_version:
      - 2
      - 0
    .max_flat_workgroup_size: 256
    .name:           _ZN7rocprim17ROCPRIM_400000_NS6detail17trampoline_kernelINS0_14default_configENS1_29reduce_by_key_config_selectorIyyN6thrust23THRUST_200600_302600_NS4plusIyEEEEZZNS1_33reduce_by_key_impl_wrapped_configILNS1_25lookback_scan_determinismE0ES3_S9_NS6_6detail15normal_iteratorINS6_10device_ptrIyEEEESG_SG_SG_PmS8_22is_equal_div_10_reduceIyEEE10hipError_tPvRmT2_T3_mT4_T5_T6_T7_T8_P12ihipStream_tbENKUlT_T0_E_clISt17integral_constantIbLb1EES11_EEDaSW_SX_EUlSW_E_NS1_11comp_targetILNS1_3genE10ELNS1_11target_archE1201ELNS1_3gpuE5ELNS1_3repE0EEENS1_30default_config_static_selectorELNS0_4arch9wavefront6targetE0EEEvT1_
    .private_segment_fixed_size: 0
    .sgpr_count:     0
    .sgpr_spill_count: 0
    .symbol:         _ZN7rocprim17ROCPRIM_400000_NS6detail17trampoline_kernelINS0_14default_configENS1_29reduce_by_key_config_selectorIyyN6thrust23THRUST_200600_302600_NS4plusIyEEEEZZNS1_33reduce_by_key_impl_wrapped_configILNS1_25lookback_scan_determinismE0ES3_S9_NS6_6detail15normal_iteratorINS6_10device_ptrIyEEEESG_SG_SG_PmS8_22is_equal_div_10_reduceIyEEE10hipError_tPvRmT2_T3_mT4_T5_T6_T7_T8_P12ihipStream_tbENKUlT_T0_E_clISt17integral_constantIbLb1EES11_EEDaSW_SX_EUlSW_E_NS1_11comp_targetILNS1_3genE10ELNS1_11target_archE1201ELNS1_3gpuE5ELNS1_3repE0EEENS1_30default_config_static_selectorELNS0_4arch9wavefront6targetE0EEEvT1_.kd
    .uniform_work_group_size: 1
    .uses_dynamic_stack: false
    .vgpr_count:     0
    .vgpr_spill_count: 0
    .wavefront_size: 32
    .workgroup_processor_mode: 1
  - .args:
      - .offset:         0
        .size:           136
        .value_kind:     by_value
    .group_segment_fixed_size: 0
    .kernarg_segment_align: 8
    .kernarg_segment_size: 136
    .language:       OpenCL C
    .language_version:
      - 2
      - 0
    .max_flat_workgroup_size: 256
    .name:           _ZN7rocprim17ROCPRIM_400000_NS6detail17trampoline_kernelINS0_14default_configENS1_29reduce_by_key_config_selectorIyyN6thrust23THRUST_200600_302600_NS4plusIyEEEEZZNS1_33reduce_by_key_impl_wrapped_configILNS1_25lookback_scan_determinismE0ES3_S9_NS6_6detail15normal_iteratorINS6_10device_ptrIyEEEESG_SG_SG_PmS8_22is_equal_div_10_reduceIyEEE10hipError_tPvRmT2_T3_mT4_T5_T6_T7_T8_P12ihipStream_tbENKUlT_T0_E_clISt17integral_constantIbLb1EES11_EEDaSW_SX_EUlSW_E_NS1_11comp_targetILNS1_3genE10ELNS1_11target_archE1200ELNS1_3gpuE4ELNS1_3repE0EEENS1_30default_config_static_selectorELNS0_4arch9wavefront6targetE0EEEvT1_
    .private_segment_fixed_size: 0
    .sgpr_count:     0
    .sgpr_spill_count: 0
    .symbol:         _ZN7rocprim17ROCPRIM_400000_NS6detail17trampoline_kernelINS0_14default_configENS1_29reduce_by_key_config_selectorIyyN6thrust23THRUST_200600_302600_NS4plusIyEEEEZZNS1_33reduce_by_key_impl_wrapped_configILNS1_25lookback_scan_determinismE0ES3_S9_NS6_6detail15normal_iteratorINS6_10device_ptrIyEEEESG_SG_SG_PmS8_22is_equal_div_10_reduceIyEEE10hipError_tPvRmT2_T3_mT4_T5_T6_T7_T8_P12ihipStream_tbENKUlT_T0_E_clISt17integral_constantIbLb1EES11_EEDaSW_SX_EUlSW_E_NS1_11comp_targetILNS1_3genE10ELNS1_11target_archE1200ELNS1_3gpuE4ELNS1_3repE0EEENS1_30default_config_static_selectorELNS0_4arch9wavefront6targetE0EEEvT1_.kd
    .uniform_work_group_size: 1
    .uses_dynamic_stack: false
    .vgpr_count:     0
    .vgpr_spill_count: 0
    .wavefront_size: 32
    .workgroup_processor_mode: 1
  - .args:
      - .offset:         0
        .size:           136
        .value_kind:     by_value
    .group_segment_fixed_size: 30720
    .kernarg_segment_align: 8
    .kernarg_segment_size: 136
    .language:       OpenCL C
    .language_version:
      - 2
      - 0
    .max_flat_workgroup_size: 256
    .name:           _ZN7rocprim17ROCPRIM_400000_NS6detail17trampoline_kernelINS0_14default_configENS1_29reduce_by_key_config_selectorIyyN6thrust23THRUST_200600_302600_NS4plusIyEEEEZZNS1_33reduce_by_key_impl_wrapped_configILNS1_25lookback_scan_determinismE0ES3_S9_NS6_6detail15normal_iteratorINS6_10device_ptrIyEEEESG_SG_SG_PmS8_22is_equal_div_10_reduceIyEEE10hipError_tPvRmT2_T3_mT4_T5_T6_T7_T8_P12ihipStream_tbENKUlT_T0_E_clISt17integral_constantIbLb1EES11_EEDaSW_SX_EUlSW_E_NS1_11comp_targetILNS1_3genE9ELNS1_11target_archE1100ELNS1_3gpuE3ELNS1_3repE0EEENS1_30default_config_static_selectorELNS0_4arch9wavefront6targetE0EEEvT1_
    .private_segment_fixed_size: 0
    .sgpr_count:     54
    .sgpr_spill_count: 0
    .symbol:         _ZN7rocprim17ROCPRIM_400000_NS6detail17trampoline_kernelINS0_14default_configENS1_29reduce_by_key_config_selectorIyyN6thrust23THRUST_200600_302600_NS4plusIyEEEEZZNS1_33reduce_by_key_impl_wrapped_configILNS1_25lookback_scan_determinismE0ES3_S9_NS6_6detail15normal_iteratorINS6_10device_ptrIyEEEESG_SG_SG_PmS8_22is_equal_div_10_reduceIyEEE10hipError_tPvRmT2_T3_mT4_T5_T6_T7_T8_P12ihipStream_tbENKUlT_T0_E_clISt17integral_constantIbLb1EES11_EEDaSW_SX_EUlSW_E_NS1_11comp_targetILNS1_3genE9ELNS1_11target_archE1100ELNS1_3gpuE3ELNS1_3repE0EEENS1_30default_config_static_selectorELNS0_4arch9wavefront6targetE0EEEvT1_.kd
    .uniform_work_group_size: 1
    .uses_dynamic_stack: false
    .vgpr_count:     120
    .vgpr_spill_count: 0
    .wavefront_size: 32
    .workgroup_processor_mode: 1
  - .args:
      - .offset:         0
        .size:           136
        .value_kind:     by_value
    .group_segment_fixed_size: 0
    .kernarg_segment_align: 8
    .kernarg_segment_size: 136
    .language:       OpenCL C
    .language_version:
      - 2
      - 0
    .max_flat_workgroup_size: 256
    .name:           _ZN7rocprim17ROCPRIM_400000_NS6detail17trampoline_kernelINS0_14default_configENS1_29reduce_by_key_config_selectorIyyN6thrust23THRUST_200600_302600_NS4plusIyEEEEZZNS1_33reduce_by_key_impl_wrapped_configILNS1_25lookback_scan_determinismE0ES3_S9_NS6_6detail15normal_iteratorINS6_10device_ptrIyEEEESG_SG_SG_PmS8_22is_equal_div_10_reduceIyEEE10hipError_tPvRmT2_T3_mT4_T5_T6_T7_T8_P12ihipStream_tbENKUlT_T0_E_clISt17integral_constantIbLb1EES11_EEDaSW_SX_EUlSW_E_NS1_11comp_targetILNS1_3genE8ELNS1_11target_archE1030ELNS1_3gpuE2ELNS1_3repE0EEENS1_30default_config_static_selectorELNS0_4arch9wavefront6targetE0EEEvT1_
    .private_segment_fixed_size: 0
    .sgpr_count:     0
    .sgpr_spill_count: 0
    .symbol:         _ZN7rocprim17ROCPRIM_400000_NS6detail17trampoline_kernelINS0_14default_configENS1_29reduce_by_key_config_selectorIyyN6thrust23THRUST_200600_302600_NS4plusIyEEEEZZNS1_33reduce_by_key_impl_wrapped_configILNS1_25lookback_scan_determinismE0ES3_S9_NS6_6detail15normal_iteratorINS6_10device_ptrIyEEEESG_SG_SG_PmS8_22is_equal_div_10_reduceIyEEE10hipError_tPvRmT2_T3_mT4_T5_T6_T7_T8_P12ihipStream_tbENKUlT_T0_E_clISt17integral_constantIbLb1EES11_EEDaSW_SX_EUlSW_E_NS1_11comp_targetILNS1_3genE8ELNS1_11target_archE1030ELNS1_3gpuE2ELNS1_3repE0EEENS1_30default_config_static_selectorELNS0_4arch9wavefront6targetE0EEEvT1_.kd
    .uniform_work_group_size: 1
    .uses_dynamic_stack: false
    .vgpr_count:     0
    .vgpr_spill_count: 0
    .wavefront_size: 32
    .workgroup_processor_mode: 1
  - .args:
      - .offset:         0
        .size:           136
        .value_kind:     by_value
    .group_segment_fixed_size: 0
    .kernarg_segment_align: 8
    .kernarg_segment_size: 136
    .language:       OpenCL C
    .language_version:
      - 2
      - 0
    .max_flat_workgroup_size: 256
    .name:           _ZN7rocprim17ROCPRIM_400000_NS6detail17trampoline_kernelINS0_14default_configENS1_29reduce_by_key_config_selectorIyyN6thrust23THRUST_200600_302600_NS4plusIyEEEEZZNS1_33reduce_by_key_impl_wrapped_configILNS1_25lookback_scan_determinismE0ES3_S9_NS6_6detail15normal_iteratorINS6_10device_ptrIyEEEESG_SG_SG_PmS8_22is_equal_div_10_reduceIyEEE10hipError_tPvRmT2_T3_mT4_T5_T6_T7_T8_P12ihipStream_tbENKUlT_T0_E_clISt17integral_constantIbLb1EES10_IbLb0EEEEDaSW_SX_EUlSW_E_NS1_11comp_targetILNS1_3genE0ELNS1_11target_archE4294967295ELNS1_3gpuE0ELNS1_3repE0EEENS1_30default_config_static_selectorELNS0_4arch9wavefront6targetE0EEEvT1_
    .private_segment_fixed_size: 0
    .sgpr_count:     0
    .sgpr_spill_count: 0
    .symbol:         _ZN7rocprim17ROCPRIM_400000_NS6detail17trampoline_kernelINS0_14default_configENS1_29reduce_by_key_config_selectorIyyN6thrust23THRUST_200600_302600_NS4plusIyEEEEZZNS1_33reduce_by_key_impl_wrapped_configILNS1_25lookback_scan_determinismE0ES3_S9_NS6_6detail15normal_iteratorINS6_10device_ptrIyEEEESG_SG_SG_PmS8_22is_equal_div_10_reduceIyEEE10hipError_tPvRmT2_T3_mT4_T5_T6_T7_T8_P12ihipStream_tbENKUlT_T0_E_clISt17integral_constantIbLb1EES10_IbLb0EEEEDaSW_SX_EUlSW_E_NS1_11comp_targetILNS1_3genE0ELNS1_11target_archE4294967295ELNS1_3gpuE0ELNS1_3repE0EEENS1_30default_config_static_selectorELNS0_4arch9wavefront6targetE0EEEvT1_.kd
    .uniform_work_group_size: 1
    .uses_dynamic_stack: false
    .vgpr_count:     0
    .vgpr_spill_count: 0
    .wavefront_size: 32
    .workgroup_processor_mode: 1
  - .args:
      - .offset:         0
        .size:           136
        .value_kind:     by_value
    .group_segment_fixed_size: 0
    .kernarg_segment_align: 8
    .kernarg_segment_size: 136
    .language:       OpenCL C
    .language_version:
      - 2
      - 0
    .max_flat_workgroup_size: 256
    .name:           _ZN7rocprim17ROCPRIM_400000_NS6detail17trampoline_kernelINS0_14default_configENS1_29reduce_by_key_config_selectorIyyN6thrust23THRUST_200600_302600_NS4plusIyEEEEZZNS1_33reduce_by_key_impl_wrapped_configILNS1_25lookback_scan_determinismE0ES3_S9_NS6_6detail15normal_iteratorINS6_10device_ptrIyEEEESG_SG_SG_PmS8_22is_equal_div_10_reduceIyEEE10hipError_tPvRmT2_T3_mT4_T5_T6_T7_T8_P12ihipStream_tbENKUlT_T0_E_clISt17integral_constantIbLb1EES10_IbLb0EEEEDaSW_SX_EUlSW_E_NS1_11comp_targetILNS1_3genE5ELNS1_11target_archE942ELNS1_3gpuE9ELNS1_3repE0EEENS1_30default_config_static_selectorELNS0_4arch9wavefront6targetE0EEEvT1_
    .private_segment_fixed_size: 0
    .sgpr_count:     0
    .sgpr_spill_count: 0
    .symbol:         _ZN7rocprim17ROCPRIM_400000_NS6detail17trampoline_kernelINS0_14default_configENS1_29reduce_by_key_config_selectorIyyN6thrust23THRUST_200600_302600_NS4plusIyEEEEZZNS1_33reduce_by_key_impl_wrapped_configILNS1_25lookback_scan_determinismE0ES3_S9_NS6_6detail15normal_iteratorINS6_10device_ptrIyEEEESG_SG_SG_PmS8_22is_equal_div_10_reduceIyEEE10hipError_tPvRmT2_T3_mT4_T5_T6_T7_T8_P12ihipStream_tbENKUlT_T0_E_clISt17integral_constantIbLb1EES10_IbLb0EEEEDaSW_SX_EUlSW_E_NS1_11comp_targetILNS1_3genE5ELNS1_11target_archE942ELNS1_3gpuE9ELNS1_3repE0EEENS1_30default_config_static_selectorELNS0_4arch9wavefront6targetE0EEEvT1_.kd
    .uniform_work_group_size: 1
    .uses_dynamic_stack: false
    .vgpr_count:     0
    .vgpr_spill_count: 0
    .wavefront_size: 32
    .workgroup_processor_mode: 1
  - .args:
      - .offset:         0
        .size:           136
        .value_kind:     by_value
    .group_segment_fixed_size: 0
    .kernarg_segment_align: 8
    .kernarg_segment_size: 136
    .language:       OpenCL C
    .language_version:
      - 2
      - 0
    .max_flat_workgroup_size: 256
    .name:           _ZN7rocprim17ROCPRIM_400000_NS6detail17trampoline_kernelINS0_14default_configENS1_29reduce_by_key_config_selectorIyyN6thrust23THRUST_200600_302600_NS4plusIyEEEEZZNS1_33reduce_by_key_impl_wrapped_configILNS1_25lookback_scan_determinismE0ES3_S9_NS6_6detail15normal_iteratorINS6_10device_ptrIyEEEESG_SG_SG_PmS8_22is_equal_div_10_reduceIyEEE10hipError_tPvRmT2_T3_mT4_T5_T6_T7_T8_P12ihipStream_tbENKUlT_T0_E_clISt17integral_constantIbLb1EES10_IbLb0EEEEDaSW_SX_EUlSW_E_NS1_11comp_targetILNS1_3genE4ELNS1_11target_archE910ELNS1_3gpuE8ELNS1_3repE0EEENS1_30default_config_static_selectorELNS0_4arch9wavefront6targetE0EEEvT1_
    .private_segment_fixed_size: 0
    .sgpr_count:     0
    .sgpr_spill_count: 0
    .symbol:         _ZN7rocprim17ROCPRIM_400000_NS6detail17trampoline_kernelINS0_14default_configENS1_29reduce_by_key_config_selectorIyyN6thrust23THRUST_200600_302600_NS4plusIyEEEEZZNS1_33reduce_by_key_impl_wrapped_configILNS1_25lookback_scan_determinismE0ES3_S9_NS6_6detail15normal_iteratorINS6_10device_ptrIyEEEESG_SG_SG_PmS8_22is_equal_div_10_reduceIyEEE10hipError_tPvRmT2_T3_mT4_T5_T6_T7_T8_P12ihipStream_tbENKUlT_T0_E_clISt17integral_constantIbLb1EES10_IbLb0EEEEDaSW_SX_EUlSW_E_NS1_11comp_targetILNS1_3genE4ELNS1_11target_archE910ELNS1_3gpuE8ELNS1_3repE0EEENS1_30default_config_static_selectorELNS0_4arch9wavefront6targetE0EEEvT1_.kd
    .uniform_work_group_size: 1
    .uses_dynamic_stack: false
    .vgpr_count:     0
    .vgpr_spill_count: 0
    .wavefront_size: 32
    .workgroup_processor_mode: 1
  - .args:
      - .offset:         0
        .size:           136
        .value_kind:     by_value
    .group_segment_fixed_size: 0
    .kernarg_segment_align: 8
    .kernarg_segment_size: 136
    .language:       OpenCL C
    .language_version:
      - 2
      - 0
    .max_flat_workgroup_size: 256
    .name:           _ZN7rocprim17ROCPRIM_400000_NS6detail17trampoline_kernelINS0_14default_configENS1_29reduce_by_key_config_selectorIyyN6thrust23THRUST_200600_302600_NS4plusIyEEEEZZNS1_33reduce_by_key_impl_wrapped_configILNS1_25lookback_scan_determinismE0ES3_S9_NS6_6detail15normal_iteratorINS6_10device_ptrIyEEEESG_SG_SG_PmS8_22is_equal_div_10_reduceIyEEE10hipError_tPvRmT2_T3_mT4_T5_T6_T7_T8_P12ihipStream_tbENKUlT_T0_E_clISt17integral_constantIbLb1EES10_IbLb0EEEEDaSW_SX_EUlSW_E_NS1_11comp_targetILNS1_3genE3ELNS1_11target_archE908ELNS1_3gpuE7ELNS1_3repE0EEENS1_30default_config_static_selectorELNS0_4arch9wavefront6targetE0EEEvT1_
    .private_segment_fixed_size: 0
    .sgpr_count:     0
    .sgpr_spill_count: 0
    .symbol:         _ZN7rocprim17ROCPRIM_400000_NS6detail17trampoline_kernelINS0_14default_configENS1_29reduce_by_key_config_selectorIyyN6thrust23THRUST_200600_302600_NS4plusIyEEEEZZNS1_33reduce_by_key_impl_wrapped_configILNS1_25lookback_scan_determinismE0ES3_S9_NS6_6detail15normal_iteratorINS6_10device_ptrIyEEEESG_SG_SG_PmS8_22is_equal_div_10_reduceIyEEE10hipError_tPvRmT2_T3_mT4_T5_T6_T7_T8_P12ihipStream_tbENKUlT_T0_E_clISt17integral_constantIbLb1EES10_IbLb0EEEEDaSW_SX_EUlSW_E_NS1_11comp_targetILNS1_3genE3ELNS1_11target_archE908ELNS1_3gpuE7ELNS1_3repE0EEENS1_30default_config_static_selectorELNS0_4arch9wavefront6targetE0EEEvT1_.kd
    .uniform_work_group_size: 1
    .uses_dynamic_stack: false
    .vgpr_count:     0
    .vgpr_spill_count: 0
    .wavefront_size: 32
    .workgroup_processor_mode: 1
  - .args:
      - .offset:         0
        .size:           136
        .value_kind:     by_value
    .group_segment_fixed_size: 0
    .kernarg_segment_align: 8
    .kernarg_segment_size: 136
    .language:       OpenCL C
    .language_version:
      - 2
      - 0
    .max_flat_workgroup_size: 256
    .name:           _ZN7rocprim17ROCPRIM_400000_NS6detail17trampoline_kernelINS0_14default_configENS1_29reduce_by_key_config_selectorIyyN6thrust23THRUST_200600_302600_NS4plusIyEEEEZZNS1_33reduce_by_key_impl_wrapped_configILNS1_25lookback_scan_determinismE0ES3_S9_NS6_6detail15normal_iteratorINS6_10device_ptrIyEEEESG_SG_SG_PmS8_22is_equal_div_10_reduceIyEEE10hipError_tPvRmT2_T3_mT4_T5_T6_T7_T8_P12ihipStream_tbENKUlT_T0_E_clISt17integral_constantIbLb1EES10_IbLb0EEEEDaSW_SX_EUlSW_E_NS1_11comp_targetILNS1_3genE2ELNS1_11target_archE906ELNS1_3gpuE6ELNS1_3repE0EEENS1_30default_config_static_selectorELNS0_4arch9wavefront6targetE0EEEvT1_
    .private_segment_fixed_size: 0
    .sgpr_count:     0
    .sgpr_spill_count: 0
    .symbol:         _ZN7rocprim17ROCPRIM_400000_NS6detail17trampoline_kernelINS0_14default_configENS1_29reduce_by_key_config_selectorIyyN6thrust23THRUST_200600_302600_NS4plusIyEEEEZZNS1_33reduce_by_key_impl_wrapped_configILNS1_25lookback_scan_determinismE0ES3_S9_NS6_6detail15normal_iteratorINS6_10device_ptrIyEEEESG_SG_SG_PmS8_22is_equal_div_10_reduceIyEEE10hipError_tPvRmT2_T3_mT4_T5_T6_T7_T8_P12ihipStream_tbENKUlT_T0_E_clISt17integral_constantIbLb1EES10_IbLb0EEEEDaSW_SX_EUlSW_E_NS1_11comp_targetILNS1_3genE2ELNS1_11target_archE906ELNS1_3gpuE6ELNS1_3repE0EEENS1_30default_config_static_selectorELNS0_4arch9wavefront6targetE0EEEvT1_.kd
    .uniform_work_group_size: 1
    .uses_dynamic_stack: false
    .vgpr_count:     0
    .vgpr_spill_count: 0
    .wavefront_size: 32
    .workgroup_processor_mode: 1
  - .args:
      - .offset:         0
        .size:           136
        .value_kind:     by_value
    .group_segment_fixed_size: 0
    .kernarg_segment_align: 8
    .kernarg_segment_size: 136
    .language:       OpenCL C
    .language_version:
      - 2
      - 0
    .max_flat_workgroup_size: 256
    .name:           _ZN7rocprim17ROCPRIM_400000_NS6detail17trampoline_kernelINS0_14default_configENS1_29reduce_by_key_config_selectorIyyN6thrust23THRUST_200600_302600_NS4plusIyEEEEZZNS1_33reduce_by_key_impl_wrapped_configILNS1_25lookback_scan_determinismE0ES3_S9_NS6_6detail15normal_iteratorINS6_10device_ptrIyEEEESG_SG_SG_PmS8_22is_equal_div_10_reduceIyEEE10hipError_tPvRmT2_T3_mT4_T5_T6_T7_T8_P12ihipStream_tbENKUlT_T0_E_clISt17integral_constantIbLb1EES10_IbLb0EEEEDaSW_SX_EUlSW_E_NS1_11comp_targetILNS1_3genE10ELNS1_11target_archE1201ELNS1_3gpuE5ELNS1_3repE0EEENS1_30default_config_static_selectorELNS0_4arch9wavefront6targetE0EEEvT1_
    .private_segment_fixed_size: 0
    .sgpr_count:     0
    .sgpr_spill_count: 0
    .symbol:         _ZN7rocprim17ROCPRIM_400000_NS6detail17trampoline_kernelINS0_14default_configENS1_29reduce_by_key_config_selectorIyyN6thrust23THRUST_200600_302600_NS4plusIyEEEEZZNS1_33reduce_by_key_impl_wrapped_configILNS1_25lookback_scan_determinismE0ES3_S9_NS6_6detail15normal_iteratorINS6_10device_ptrIyEEEESG_SG_SG_PmS8_22is_equal_div_10_reduceIyEEE10hipError_tPvRmT2_T3_mT4_T5_T6_T7_T8_P12ihipStream_tbENKUlT_T0_E_clISt17integral_constantIbLb1EES10_IbLb0EEEEDaSW_SX_EUlSW_E_NS1_11comp_targetILNS1_3genE10ELNS1_11target_archE1201ELNS1_3gpuE5ELNS1_3repE0EEENS1_30default_config_static_selectorELNS0_4arch9wavefront6targetE0EEEvT1_.kd
    .uniform_work_group_size: 1
    .uses_dynamic_stack: false
    .vgpr_count:     0
    .vgpr_spill_count: 0
    .wavefront_size: 32
    .workgroup_processor_mode: 1
  - .args:
      - .offset:         0
        .size:           136
        .value_kind:     by_value
    .group_segment_fixed_size: 0
    .kernarg_segment_align: 8
    .kernarg_segment_size: 136
    .language:       OpenCL C
    .language_version:
      - 2
      - 0
    .max_flat_workgroup_size: 256
    .name:           _ZN7rocprim17ROCPRIM_400000_NS6detail17trampoline_kernelINS0_14default_configENS1_29reduce_by_key_config_selectorIyyN6thrust23THRUST_200600_302600_NS4plusIyEEEEZZNS1_33reduce_by_key_impl_wrapped_configILNS1_25lookback_scan_determinismE0ES3_S9_NS6_6detail15normal_iteratorINS6_10device_ptrIyEEEESG_SG_SG_PmS8_22is_equal_div_10_reduceIyEEE10hipError_tPvRmT2_T3_mT4_T5_T6_T7_T8_P12ihipStream_tbENKUlT_T0_E_clISt17integral_constantIbLb1EES10_IbLb0EEEEDaSW_SX_EUlSW_E_NS1_11comp_targetILNS1_3genE10ELNS1_11target_archE1200ELNS1_3gpuE4ELNS1_3repE0EEENS1_30default_config_static_selectorELNS0_4arch9wavefront6targetE0EEEvT1_
    .private_segment_fixed_size: 0
    .sgpr_count:     0
    .sgpr_spill_count: 0
    .symbol:         _ZN7rocprim17ROCPRIM_400000_NS6detail17trampoline_kernelINS0_14default_configENS1_29reduce_by_key_config_selectorIyyN6thrust23THRUST_200600_302600_NS4plusIyEEEEZZNS1_33reduce_by_key_impl_wrapped_configILNS1_25lookback_scan_determinismE0ES3_S9_NS6_6detail15normal_iteratorINS6_10device_ptrIyEEEESG_SG_SG_PmS8_22is_equal_div_10_reduceIyEEE10hipError_tPvRmT2_T3_mT4_T5_T6_T7_T8_P12ihipStream_tbENKUlT_T0_E_clISt17integral_constantIbLb1EES10_IbLb0EEEEDaSW_SX_EUlSW_E_NS1_11comp_targetILNS1_3genE10ELNS1_11target_archE1200ELNS1_3gpuE4ELNS1_3repE0EEENS1_30default_config_static_selectorELNS0_4arch9wavefront6targetE0EEEvT1_.kd
    .uniform_work_group_size: 1
    .uses_dynamic_stack: false
    .vgpr_count:     0
    .vgpr_spill_count: 0
    .wavefront_size: 32
    .workgroup_processor_mode: 1
  - .args:
      - .offset:         0
        .size:           136
        .value_kind:     by_value
    .group_segment_fixed_size: 30720
    .kernarg_segment_align: 8
    .kernarg_segment_size: 136
    .language:       OpenCL C
    .language_version:
      - 2
      - 0
    .max_flat_workgroup_size: 256
    .name:           _ZN7rocprim17ROCPRIM_400000_NS6detail17trampoline_kernelINS0_14default_configENS1_29reduce_by_key_config_selectorIyyN6thrust23THRUST_200600_302600_NS4plusIyEEEEZZNS1_33reduce_by_key_impl_wrapped_configILNS1_25lookback_scan_determinismE0ES3_S9_NS6_6detail15normal_iteratorINS6_10device_ptrIyEEEESG_SG_SG_PmS8_22is_equal_div_10_reduceIyEEE10hipError_tPvRmT2_T3_mT4_T5_T6_T7_T8_P12ihipStream_tbENKUlT_T0_E_clISt17integral_constantIbLb1EES10_IbLb0EEEEDaSW_SX_EUlSW_E_NS1_11comp_targetILNS1_3genE9ELNS1_11target_archE1100ELNS1_3gpuE3ELNS1_3repE0EEENS1_30default_config_static_selectorELNS0_4arch9wavefront6targetE0EEEvT1_
    .private_segment_fixed_size: 0
    .sgpr_count:     50
    .sgpr_spill_count: 0
    .symbol:         _ZN7rocprim17ROCPRIM_400000_NS6detail17trampoline_kernelINS0_14default_configENS1_29reduce_by_key_config_selectorIyyN6thrust23THRUST_200600_302600_NS4plusIyEEEEZZNS1_33reduce_by_key_impl_wrapped_configILNS1_25lookback_scan_determinismE0ES3_S9_NS6_6detail15normal_iteratorINS6_10device_ptrIyEEEESG_SG_SG_PmS8_22is_equal_div_10_reduceIyEEE10hipError_tPvRmT2_T3_mT4_T5_T6_T7_T8_P12ihipStream_tbENKUlT_T0_E_clISt17integral_constantIbLb1EES10_IbLb0EEEEDaSW_SX_EUlSW_E_NS1_11comp_targetILNS1_3genE9ELNS1_11target_archE1100ELNS1_3gpuE3ELNS1_3repE0EEENS1_30default_config_static_selectorELNS0_4arch9wavefront6targetE0EEEvT1_.kd
    .uniform_work_group_size: 1
    .uses_dynamic_stack: false
    .vgpr_count:     120
    .vgpr_spill_count: 0
    .wavefront_size: 32
    .workgroup_processor_mode: 1
  - .args:
      - .offset:         0
        .size:           136
        .value_kind:     by_value
    .group_segment_fixed_size: 0
    .kernarg_segment_align: 8
    .kernarg_segment_size: 136
    .language:       OpenCL C
    .language_version:
      - 2
      - 0
    .max_flat_workgroup_size: 256
    .name:           _ZN7rocprim17ROCPRIM_400000_NS6detail17trampoline_kernelINS0_14default_configENS1_29reduce_by_key_config_selectorIyyN6thrust23THRUST_200600_302600_NS4plusIyEEEEZZNS1_33reduce_by_key_impl_wrapped_configILNS1_25lookback_scan_determinismE0ES3_S9_NS6_6detail15normal_iteratorINS6_10device_ptrIyEEEESG_SG_SG_PmS8_22is_equal_div_10_reduceIyEEE10hipError_tPvRmT2_T3_mT4_T5_T6_T7_T8_P12ihipStream_tbENKUlT_T0_E_clISt17integral_constantIbLb1EES10_IbLb0EEEEDaSW_SX_EUlSW_E_NS1_11comp_targetILNS1_3genE8ELNS1_11target_archE1030ELNS1_3gpuE2ELNS1_3repE0EEENS1_30default_config_static_selectorELNS0_4arch9wavefront6targetE0EEEvT1_
    .private_segment_fixed_size: 0
    .sgpr_count:     0
    .sgpr_spill_count: 0
    .symbol:         _ZN7rocprim17ROCPRIM_400000_NS6detail17trampoline_kernelINS0_14default_configENS1_29reduce_by_key_config_selectorIyyN6thrust23THRUST_200600_302600_NS4plusIyEEEEZZNS1_33reduce_by_key_impl_wrapped_configILNS1_25lookback_scan_determinismE0ES3_S9_NS6_6detail15normal_iteratorINS6_10device_ptrIyEEEESG_SG_SG_PmS8_22is_equal_div_10_reduceIyEEE10hipError_tPvRmT2_T3_mT4_T5_T6_T7_T8_P12ihipStream_tbENKUlT_T0_E_clISt17integral_constantIbLb1EES10_IbLb0EEEEDaSW_SX_EUlSW_E_NS1_11comp_targetILNS1_3genE8ELNS1_11target_archE1030ELNS1_3gpuE2ELNS1_3repE0EEENS1_30default_config_static_selectorELNS0_4arch9wavefront6targetE0EEEvT1_.kd
    .uniform_work_group_size: 1
    .uses_dynamic_stack: false
    .vgpr_count:     0
    .vgpr_spill_count: 0
    .wavefront_size: 32
    .workgroup_processor_mode: 1
  - .args:
      - .offset:         0
        .size:           136
        .value_kind:     by_value
    .group_segment_fixed_size: 0
    .kernarg_segment_align: 8
    .kernarg_segment_size: 136
    .language:       OpenCL C
    .language_version:
      - 2
      - 0
    .max_flat_workgroup_size: 256
    .name:           _ZN7rocprim17ROCPRIM_400000_NS6detail17trampoline_kernelINS0_14default_configENS1_29reduce_by_key_config_selectorIyyN6thrust23THRUST_200600_302600_NS4plusIyEEEEZZNS1_33reduce_by_key_impl_wrapped_configILNS1_25lookback_scan_determinismE0ES3_S9_NS6_6detail15normal_iteratorINS6_10device_ptrIyEEEESG_SG_SG_PmS8_22is_equal_div_10_reduceIyEEE10hipError_tPvRmT2_T3_mT4_T5_T6_T7_T8_P12ihipStream_tbENKUlT_T0_E_clISt17integral_constantIbLb0EES10_IbLb1EEEEDaSW_SX_EUlSW_E_NS1_11comp_targetILNS1_3genE0ELNS1_11target_archE4294967295ELNS1_3gpuE0ELNS1_3repE0EEENS1_30default_config_static_selectorELNS0_4arch9wavefront6targetE0EEEvT1_
    .private_segment_fixed_size: 0
    .sgpr_count:     0
    .sgpr_spill_count: 0
    .symbol:         _ZN7rocprim17ROCPRIM_400000_NS6detail17trampoline_kernelINS0_14default_configENS1_29reduce_by_key_config_selectorIyyN6thrust23THRUST_200600_302600_NS4plusIyEEEEZZNS1_33reduce_by_key_impl_wrapped_configILNS1_25lookback_scan_determinismE0ES3_S9_NS6_6detail15normal_iteratorINS6_10device_ptrIyEEEESG_SG_SG_PmS8_22is_equal_div_10_reduceIyEEE10hipError_tPvRmT2_T3_mT4_T5_T6_T7_T8_P12ihipStream_tbENKUlT_T0_E_clISt17integral_constantIbLb0EES10_IbLb1EEEEDaSW_SX_EUlSW_E_NS1_11comp_targetILNS1_3genE0ELNS1_11target_archE4294967295ELNS1_3gpuE0ELNS1_3repE0EEENS1_30default_config_static_selectorELNS0_4arch9wavefront6targetE0EEEvT1_.kd
    .uniform_work_group_size: 1
    .uses_dynamic_stack: false
    .vgpr_count:     0
    .vgpr_spill_count: 0
    .wavefront_size: 32
    .workgroup_processor_mode: 1
  - .args:
      - .offset:         0
        .size:           136
        .value_kind:     by_value
    .group_segment_fixed_size: 0
    .kernarg_segment_align: 8
    .kernarg_segment_size: 136
    .language:       OpenCL C
    .language_version:
      - 2
      - 0
    .max_flat_workgroup_size: 256
    .name:           _ZN7rocprim17ROCPRIM_400000_NS6detail17trampoline_kernelINS0_14default_configENS1_29reduce_by_key_config_selectorIyyN6thrust23THRUST_200600_302600_NS4plusIyEEEEZZNS1_33reduce_by_key_impl_wrapped_configILNS1_25lookback_scan_determinismE0ES3_S9_NS6_6detail15normal_iteratorINS6_10device_ptrIyEEEESG_SG_SG_PmS8_22is_equal_div_10_reduceIyEEE10hipError_tPvRmT2_T3_mT4_T5_T6_T7_T8_P12ihipStream_tbENKUlT_T0_E_clISt17integral_constantIbLb0EES10_IbLb1EEEEDaSW_SX_EUlSW_E_NS1_11comp_targetILNS1_3genE5ELNS1_11target_archE942ELNS1_3gpuE9ELNS1_3repE0EEENS1_30default_config_static_selectorELNS0_4arch9wavefront6targetE0EEEvT1_
    .private_segment_fixed_size: 0
    .sgpr_count:     0
    .sgpr_spill_count: 0
    .symbol:         _ZN7rocprim17ROCPRIM_400000_NS6detail17trampoline_kernelINS0_14default_configENS1_29reduce_by_key_config_selectorIyyN6thrust23THRUST_200600_302600_NS4plusIyEEEEZZNS1_33reduce_by_key_impl_wrapped_configILNS1_25lookback_scan_determinismE0ES3_S9_NS6_6detail15normal_iteratorINS6_10device_ptrIyEEEESG_SG_SG_PmS8_22is_equal_div_10_reduceIyEEE10hipError_tPvRmT2_T3_mT4_T5_T6_T7_T8_P12ihipStream_tbENKUlT_T0_E_clISt17integral_constantIbLb0EES10_IbLb1EEEEDaSW_SX_EUlSW_E_NS1_11comp_targetILNS1_3genE5ELNS1_11target_archE942ELNS1_3gpuE9ELNS1_3repE0EEENS1_30default_config_static_selectorELNS0_4arch9wavefront6targetE0EEEvT1_.kd
    .uniform_work_group_size: 1
    .uses_dynamic_stack: false
    .vgpr_count:     0
    .vgpr_spill_count: 0
    .wavefront_size: 32
    .workgroup_processor_mode: 1
  - .args:
      - .offset:         0
        .size:           136
        .value_kind:     by_value
    .group_segment_fixed_size: 0
    .kernarg_segment_align: 8
    .kernarg_segment_size: 136
    .language:       OpenCL C
    .language_version:
      - 2
      - 0
    .max_flat_workgroup_size: 256
    .name:           _ZN7rocprim17ROCPRIM_400000_NS6detail17trampoline_kernelINS0_14default_configENS1_29reduce_by_key_config_selectorIyyN6thrust23THRUST_200600_302600_NS4plusIyEEEEZZNS1_33reduce_by_key_impl_wrapped_configILNS1_25lookback_scan_determinismE0ES3_S9_NS6_6detail15normal_iteratorINS6_10device_ptrIyEEEESG_SG_SG_PmS8_22is_equal_div_10_reduceIyEEE10hipError_tPvRmT2_T3_mT4_T5_T6_T7_T8_P12ihipStream_tbENKUlT_T0_E_clISt17integral_constantIbLb0EES10_IbLb1EEEEDaSW_SX_EUlSW_E_NS1_11comp_targetILNS1_3genE4ELNS1_11target_archE910ELNS1_3gpuE8ELNS1_3repE0EEENS1_30default_config_static_selectorELNS0_4arch9wavefront6targetE0EEEvT1_
    .private_segment_fixed_size: 0
    .sgpr_count:     0
    .sgpr_spill_count: 0
    .symbol:         _ZN7rocprim17ROCPRIM_400000_NS6detail17trampoline_kernelINS0_14default_configENS1_29reduce_by_key_config_selectorIyyN6thrust23THRUST_200600_302600_NS4plusIyEEEEZZNS1_33reduce_by_key_impl_wrapped_configILNS1_25lookback_scan_determinismE0ES3_S9_NS6_6detail15normal_iteratorINS6_10device_ptrIyEEEESG_SG_SG_PmS8_22is_equal_div_10_reduceIyEEE10hipError_tPvRmT2_T3_mT4_T5_T6_T7_T8_P12ihipStream_tbENKUlT_T0_E_clISt17integral_constantIbLb0EES10_IbLb1EEEEDaSW_SX_EUlSW_E_NS1_11comp_targetILNS1_3genE4ELNS1_11target_archE910ELNS1_3gpuE8ELNS1_3repE0EEENS1_30default_config_static_selectorELNS0_4arch9wavefront6targetE0EEEvT1_.kd
    .uniform_work_group_size: 1
    .uses_dynamic_stack: false
    .vgpr_count:     0
    .vgpr_spill_count: 0
    .wavefront_size: 32
    .workgroup_processor_mode: 1
  - .args:
      - .offset:         0
        .size:           136
        .value_kind:     by_value
    .group_segment_fixed_size: 0
    .kernarg_segment_align: 8
    .kernarg_segment_size: 136
    .language:       OpenCL C
    .language_version:
      - 2
      - 0
    .max_flat_workgroup_size: 256
    .name:           _ZN7rocprim17ROCPRIM_400000_NS6detail17trampoline_kernelINS0_14default_configENS1_29reduce_by_key_config_selectorIyyN6thrust23THRUST_200600_302600_NS4plusIyEEEEZZNS1_33reduce_by_key_impl_wrapped_configILNS1_25lookback_scan_determinismE0ES3_S9_NS6_6detail15normal_iteratorINS6_10device_ptrIyEEEESG_SG_SG_PmS8_22is_equal_div_10_reduceIyEEE10hipError_tPvRmT2_T3_mT4_T5_T6_T7_T8_P12ihipStream_tbENKUlT_T0_E_clISt17integral_constantIbLb0EES10_IbLb1EEEEDaSW_SX_EUlSW_E_NS1_11comp_targetILNS1_3genE3ELNS1_11target_archE908ELNS1_3gpuE7ELNS1_3repE0EEENS1_30default_config_static_selectorELNS0_4arch9wavefront6targetE0EEEvT1_
    .private_segment_fixed_size: 0
    .sgpr_count:     0
    .sgpr_spill_count: 0
    .symbol:         _ZN7rocprim17ROCPRIM_400000_NS6detail17trampoline_kernelINS0_14default_configENS1_29reduce_by_key_config_selectorIyyN6thrust23THRUST_200600_302600_NS4plusIyEEEEZZNS1_33reduce_by_key_impl_wrapped_configILNS1_25lookback_scan_determinismE0ES3_S9_NS6_6detail15normal_iteratorINS6_10device_ptrIyEEEESG_SG_SG_PmS8_22is_equal_div_10_reduceIyEEE10hipError_tPvRmT2_T3_mT4_T5_T6_T7_T8_P12ihipStream_tbENKUlT_T0_E_clISt17integral_constantIbLb0EES10_IbLb1EEEEDaSW_SX_EUlSW_E_NS1_11comp_targetILNS1_3genE3ELNS1_11target_archE908ELNS1_3gpuE7ELNS1_3repE0EEENS1_30default_config_static_selectorELNS0_4arch9wavefront6targetE0EEEvT1_.kd
    .uniform_work_group_size: 1
    .uses_dynamic_stack: false
    .vgpr_count:     0
    .vgpr_spill_count: 0
    .wavefront_size: 32
    .workgroup_processor_mode: 1
  - .args:
      - .offset:         0
        .size:           136
        .value_kind:     by_value
    .group_segment_fixed_size: 0
    .kernarg_segment_align: 8
    .kernarg_segment_size: 136
    .language:       OpenCL C
    .language_version:
      - 2
      - 0
    .max_flat_workgroup_size: 256
    .name:           _ZN7rocprim17ROCPRIM_400000_NS6detail17trampoline_kernelINS0_14default_configENS1_29reduce_by_key_config_selectorIyyN6thrust23THRUST_200600_302600_NS4plusIyEEEEZZNS1_33reduce_by_key_impl_wrapped_configILNS1_25lookback_scan_determinismE0ES3_S9_NS6_6detail15normal_iteratorINS6_10device_ptrIyEEEESG_SG_SG_PmS8_22is_equal_div_10_reduceIyEEE10hipError_tPvRmT2_T3_mT4_T5_T6_T7_T8_P12ihipStream_tbENKUlT_T0_E_clISt17integral_constantIbLb0EES10_IbLb1EEEEDaSW_SX_EUlSW_E_NS1_11comp_targetILNS1_3genE2ELNS1_11target_archE906ELNS1_3gpuE6ELNS1_3repE0EEENS1_30default_config_static_selectorELNS0_4arch9wavefront6targetE0EEEvT1_
    .private_segment_fixed_size: 0
    .sgpr_count:     0
    .sgpr_spill_count: 0
    .symbol:         _ZN7rocprim17ROCPRIM_400000_NS6detail17trampoline_kernelINS0_14default_configENS1_29reduce_by_key_config_selectorIyyN6thrust23THRUST_200600_302600_NS4plusIyEEEEZZNS1_33reduce_by_key_impl_wrapped_configILNS1_25lookback_scan_determinismE0ES3_S9_NS6_6detail15normal_iteratorINS6_10device_ptrIyEEEESG_SG_SG_PmS8_22is_equal_div_10_reduceIyEEE10hipError_tPvRmT2_T3_mT4_T5_T6_T7_T8_P12ihipStream_tbENKUlT_T0_E_clISt17integral_constantIbLb0EES10_IbLb1EEEEDaSW_SX_EUlSW_E_NS1_11comp_targetILNS1_3genE2ELNS1_11target_archE906ELNS1_3gpuE6ELNS1_3repE0EEENS1_30default_config_static_selectorELNS0_4arch9wavefront6targetE0EEEvT1_.kd
    .uniform_work_group_size: 1
    .uses_dynamic_stack: false
    .vgpr_count:     0
    .vgpr_spill_count: 0
    .wavefront_size: 32
    .workgroup_processor_mode: 1
  - .args:
      - .offset:         0
        .size:           136
        .value_kind:     by_value
    .group_segment_fixed_size: 0
    .kernarg_segment_align: 8
    .kernarg_segment_size: 136
    .language:       OpenCL C
    .language_version:
      - 2
      - 0
    .max_flat_workgroup_size: 256
    .name:           _ZN7rocprim17ROCPRIM_400000_NS6detail17trampoline_kernelINS0_14default_configENS1_29reduce_by_key_config_selectorIyyN6thrust23THRUST_200600_302600_NS4plusIyEEEEZZNS1_33reduce_by_key_impl_wrapped_configILNS1_25lookback_scan_determinismE0ES3_S9_NS6_6detail15normal_iteratorINS6_10device_ptrIyEEEESG_SG_SG_PmS8_22is_equal_div_10_reduceIyEEE10hipError_tPvRmT2_T3_mT4_T5_T6_T7_T8_P12ihipStream_tbENKUlT_T0_E_clISt17integral_constantIbLb0EES10_IbLb1EEEEDaSW_SX_EUlSW_E_NS1_11comp_targetILNS1_3genE10ELNS1_11target_archE1201ELNS1_3gpuE5ELNS1_3repE0EEENS1_30default_config_static_selectorELNS0_4arch9wavefront6targetE0EEEvT1_
    .private_segment_fixed_size: 0
    .sgpr_count:     0
    .sgpr_spill_count: 0
    .symbol:         _ZN7rocprim17ROCPRIM_400000_NS6detail17trampoline_kernelINS0_14default_configENS1_29reduce_by_key_config_selectorIyyN6thrust23THRUST_200600_302600_NS4plusIyEEEEZZNS1_33reduce_by_key_impl_wrapped_configILNS1_25lookback_scan_determinismE0ES3_S9_NS6_6detail15normal_iteratorINS6_10device_ptrIyEEEESG_SG_SG_PmS8_22is_equal_div_10_reduceIyEEE10hipError_tPvRmT2_T3_mT4_T5_T6_T7_T8_P12ihipStream_tbENKUlT_T0_E_clISt17integral_constantIbLb0EES10_IbLb1EEEEDaSW_SX_EUlSW_E_NS1_11comp_targetILNS1_3genE10ELNS1_11target_archE1201ELNS1_3gpuE5ELNS1_3repE0EEENS1_30default_config_static_selectorELNS0_4arch9wavefront6targetE0EEEvT1_.kd
    .uniform_work_group_size: 1
    .uses_dynamic_stack: false
    .vgpr_count:     0
    .vgpr_spill_count: 0
    .wavefront_size: 32
    .workgroup_processor_mode: 1
  - .args:
      - .offset:         0
        .size:           136
        .value_kind:     by_value
    .group_segment_fixed_size: 0
    .kernarg_segment_align: 8
    .kernarg_segment_size: 136
    .language:       OpenCL C
    .language_version:
      - 2
      - 0
    .max_flat_workgroup_size: 256
    .name:           _ZN7rocprim17ROCPRIM_400000_NS6detail17trampoline_kernelINS0_14default_configENS1_29reduce_by_key_config_selectorIyyN6thrust23THRUST_200600_302600_NS4plusIyEEEEZZNS1_33reduce_by_key_impl_wrapped_configILNS1_25lookback_scan_determinismE0ES3_S9_NS6_6detail15normal_iteratorINS6_10device_ptrIyEEEESG_SG_SG_PmS8_22is_equal_div_10_reduceIyEEE10hipError_tPvRmT2_T3_mT4_T5_T6_T7_T8_P12ihipStream_tbENKUlT_T0_E_clISt17integral_constantIbLb0EES10_IbLb1EEEEDaSW_SX_EUlSW_E_NS1_11comp_targetILNS1_3genE10ELNS1_11target_archE1200ELNS1_3gpuE4ELNS1_3repE0EEENS1_30default_config_static_selectorELNS0_4arch9wavefront6targetE0EEEvT1_
    .private_segment_fixed_size: 0
    .sgpr_count:     0
    .sgpr_spill_count: 0
    .symbol:         _ZN7rocprim17ROCPRIM_400000_NS6detail17trampoline_kernelINS0_14default_configENS1_29reduce_by_key_config_selectorIyyN6thrust23THRUST_200600_302600_NS4plusIyEEEEZZNS1_33reduce_by_key_impl_wrapped_configILNS1_25lookback_scan_determinismE0ES3_S9_NS6_6detail15normal_iteratorINS6_10device_ptrIyEEEESG_SG_SG_PmS8_22is_equal_div_10_reduceIyEEE10hipError_tPvRmT2_T3_mT4_T5_T6_T7_T8_P12ihipStream_tbENKUlT_T0_E_clISt17integral_constantIbLb0EES10_IbLb1EEEEDaSW_SX_EUlSW_E_NS1_11comp_targetILNS1_3genE10ELNS1_11target_archE1200ELNS1_3gpuE4ELNS1_3repE0EEENS1_30default_config_static_selectorELNS0_4arch9wavefront6targetE0EEEvT1_.kd
    .uniform_work_group_size: 1
    .uses_dynamic_stack: false
    .vgpr_count:     0
    .vgpr_spill_count: 0
    .wavefront_size: 32
    .workgroup_processor_mode: 1
  - .args:
      - .offset:         0
        .size:           136
        .value_kind:     by_value
    .group_segment_fixed_size: 30720
    .kernarg_segment_align: 8
    .kernarg_segment_size: 136
    .language:       OpenCL C
    .language_version:
      - 2
      - 0
    .max_flat_workgroup_size: 256
    .name:           _ZN7rocprim17ROCPRIM_400000_NS6detail17trampoline_kernelINS0_14default_configENS1_29reduce_by_key_config_selectorIyyN6thrust23THRUST_200600_302600_NS4plusIyEEEEZZNS1_33reduce_by_key_impl_wrapped_configILNS1_25lookback_scan_determinismE0ES3_S9_NS6_6detail15normal_iteratorINS6_10device_ptrIyEEEESG_SG_SG_PmS8_22is_equal_div_10_reduceIyEEE10hipError_tPvRmT2_T3_mT4_T5_T6_T7_T8_P12ihipStream_tbENKUlT_T0_E_clISt17integral_constantIbLb0EES10_IbLb1EEEEDaSW_SX_EUlSW_E_NS1_11comp_targetILNS1_3genE9ELNS1_11target_archE1100ELNS1_3gpuE3ELNS1_3repE0EEENS1_30default_config_static_selectorELNS0_4arch9wavefront6targetE0EEEvT1_
    .private_segment_fixed_size: 0
    .sgpr_count:     54
    .sgpr_spill_count: 0
    .symbol:         _ZN7rocprim17ROCPRIM_400000_NS6detail17trampoline_kernelINS0_14default_configENS1_29reduce_by_key_config_selectorIyyN6thrust23THRUST_200600_302600_NS4plusIyEEEEZZNS1_33reduce_by_key_impl_wrapped_configILNS1_25lookback_scan_determinismE0ES3_S9_NS6_6detail15normal_iteratorINS6_10device_ptrIyEEEESG_SG_SG_PmS8_22is_equal_div_10_reduceIyEEE10hipError_tPvRmT2_T3_mT4_T5_T6_T7_T8_P12ihipStream_tbENKUlT_T0_E_clISt17integral_constantIbLb0EES10_IbLb1EEEEDaSW_SX_EUlSW_E_NS1_11comp_targetILNS1_3genE9ELNS1_11target_archE1100ELNS1_3gpuE3ELNS1_3repE0EEENS1_30default_config_static_selectorELNS0_4arch9wavefront6targetE0EEEvT1_.kd
    .uniform_work_group_size: 1
    .uses_dynamic_stack: false
    .vgpr_count:     120
    .vgpr_spill_count: 0
    .wavefront_size: 32
    .workgroup_processor_mode: 1
  - .args:
      - .offset:         0
        .size:           136
        .value_kind:     by_value
    .group_segment_fixed_size: 0
    .kernarg_segment_align: 8
    .kernarg_segment_size: 136
    .language:       OpenCL C
    .language_version:
      - 2
      - 0
    .max_flat_workgroup_size: 256
    .name:           _ZN7rocprim17ROCPRIM_400000_NS6detail17trampoline_kernelINS0_14default_configENS1_29reduce_by_key_config_selectorIyyN6thrust23THRUST_200600_302600_NS4plusIyEEEEZZNS1_33reduce_by_key_impl_wrapped_configILNS1_25lookback_scan_determinismE0ES3_S9_NS6_6detail15normal_iteratorINS6_10device_ptrIyEEEESG_SG_SG_PmS8_22is_equal_div_10_reduceIyEEE10hipError_tPvRmT2_T3_mT4_T5_T6_T7_T8_P12ihipStream_tbENKUlT_T0_E_clISt17integral_constantIbLb0EES10_IbLb1EEEEDaSW_SX_EUlSW_E_NS1_11comp_targetILNS1_3genE8ELNS1_11target_archE1030ELNS1_3gpuE2ELNS1_3repE0EEENS1_30default_config_static_selectorELNS0_4arch9wavefront6targetE0EEEvT1_
    .private_segment_fixed_size: 0
    .sgpr_count:     0
    .sgpr_spill_count: 0
    .symbol:         _ZN7rocprim17ROCPRIM_400000_NS6detail17trampoline_kernelINS0_14default_configENS1_29reduce_by_key_config_selectorIyyN6thrust23THRUST_200600_302600_NS4plusIyEEEEZZNS1_33reduce_by_key_impl_wrapped_configILNS1_25lookback_scan_determinismE0ES3_S9_NS6_6detail15normal_iteratorINS6_10device_ptrIyEEEESG_SG_SG_PmS8_22is_equal_div_10_reduceIyEEE10hipError_tPvRmT2_T3_mT4_T5_T6_T7_T8_P12ihipStream_tbENKUlT_T0_E_clISt17integral_constantIbLb0EES10_IbLb1EEEEDaSW_SX_EUlSW_E_NS1_11comp_targetILNS1_3genE8ELNS1_11target_archE1030ELNS1_3gpuE2ELNS1_3repE0EEENS1_30default_config_static_selectorELNS0_4arch9wavefront6targetE0EEEvT1_.kd
    .uniform_work_group_size: 1
    .uses_dynamic_stack: false
    .vgpr_count:     0
    .vgpr_spill_count: 0
    .wavefront_size: 32
    .workgroup_processor_mode: 1
  - .args:
      - .offset:         0
        .size:           16
        .value_kind:     by_value
      - .offset:         16
        .size:           8
        .value_kind:     by_value
      - .offset:         24
        .size:           8
        .value_kind:     by_value
    .group_segment_fixed_size: 0
    .kernarg_segment_align: 8
    .kernarg_segment_size: 32
    .language:       OpenCL C
    .language_version:
      - 2
      - 0
    .max_flat_workgroup_size: 256
    .name:           _ZN6thrust23THRUST_200600_302600_NS11hip_rocprim14__parallel_for6kernelILj256ENS1_20__uninitialized_fill7functorINS0_10device_ptrIjEEjEEmLj1EEEvT0_T1_SA_
    .private_segment_fixed_size: 0
    .sgpr_count:     18
    .sgpr_spill_count: 0
    .symbol:         _ZN6thrust23THRUST_200600_302600_NS11hip_rocprim14__parallel_for6kernelILj256ENS1_20__uninitialized_fill7functorINS0_10device_ptrIjEEjEEmLj1EEEvT0_T1_SA_.kd
    .uniform_work_group_size: 1
    .uses_dynamic_stack: false
    .vgpr_count:     3
    .vgpr_spill_count: 0
    .wavefront_size: 32
    .workgroup_processor_mode: 1
  - .args:
      - .address_space:  global
        .offset:         0
        .size:           8
        .value_kind:     global_buffer
      - .offset:         8
        .size:           4
        .value_kind:     by_value
      - .offset:         12
        .size:           1
        .value_kind:     by_value
      - .offset:         16
        .size:           4
        .value_kind:     by_value
      - .address_space:  global
        .offset:         24
        .size:           8
        .value_kind:     global_buffer
      - .address_space:  global
        .offset:         32
        .size:           8
        .value_kind:     global_buffer
      - .offset:         40
        .size:           1
        .value_kind:     by_value
      - .offset:         48
        .size:           4
        .value_kind:     hidden_block_count_x
      - .offset:         52
        .size:           4
        .value_kind:     hidden_block_count_y
      - .offset:         56
        .size:           4
        .value_kind:     hidden_block_count_z
      - .offset:         60
        .size:           2
        .value_kind:     hidden_group_size_x
      - .offset:         62
        .size:           2
        .value_kind:     hidden_group_size_y
      - .offset:         64
        .size:           2
        .value_kind:     hidden_group_size_z
      - .offset:         66
        .size:           2
        .value_kind:     hidden_remainder_x
      - .offset:         68
        .size:           2
        .value_kind:     hidden_remainder_y
      - .offset:         70
        .size:           2
        .value_kind:     hidden_remainder_z
      - .offset:         88
        .size:           8
        .value_kind:     hidden_global_offset_x
      - .offset:         96
        .size:           8
        .value_kind:     hidden_global_offset_y
      - .offset:         104
        .size:           8
        .value_kind:     hidden_global_offset_z
      - .offset:         112
        .size:           2
        .value_kind:     hidden_grid_dims
    .group_segment_fixed_size: 0
    .kernarg_segment_align: 8
    .kernarg_segment_size: 304
    .language:       OpenCL C
    .language_version:
      - 2
      - 0
    .max_flat_workgroup_size: 256
    .name:           _ZN7rocprim17ROCPRIM_400000_NS6detail25reduce_by_key_init_kernelINS1_19lookback_scan_stateINS0_5tupleIJjjEEELb0ELb1EEEjNS1_16block_id_wrapperIjLb0EEEEEvT_jbjPmPT0_T1_
    .private_segment_fixed_size: 0
    .sgpr_count:     18
    .sgpr_spill_count: 0
    .symbol:         _ZN7rocprim17ROCPRIM_400000_NS6detail25reduce_by_key_init_kernelINS1_19lookback_scan_stateINS0_5tupleIJjjEEELb0ELb1EEEjNS1_16block_id_wrapperIjLb0EEEEEvT_jbjPmPT0_T1_.kd
    .uniform_work_group_size: 1
    .uses_dynamic_stack: false
    .vgpr_count:     9
    .vgpr_spill_count: 0
    .wavefront_size: 32
    .workgroup_processor_mode: 1
  - .args:
      - .offset:         0
        .size:           120
        .value_kind:     by_value
    .group_segment_fixed_size: 0
    .kernarg_segment_align: 8
    .kernarg_segment_size: 120
    .language:       OpenCL C
    .language_version:
      - 2
      - 0
    .max_flat_workgroup_size: 256
    .name:           _ZN7rocprim17ROCPRIM_400000_NS6detail17trampoline_kernelINS0_14default_configENS1_29reduce_by_key_config_selectorIjjN6thrust23THRUST_200600_302600_NS4plusIjEEEEZZNS1_33reduce_by_key_impl_wrapped_configILNS1_25lookback_scan_determinismE0ES3_S9_NS6_6detail15normal_iteratorINS6_10device_ptrIjEEEESG_SG_SG_PmS8_NS6_8equal_toIjEEEE10hipError_tPvRmT2_T3_mT4_T5_T6_T7_T8_P12ihipStream_tbENKUlT_T0_E_clISt17integral_constantIbLb0EES11_EEDaSW_SX_EUlSW_E_NS1_11comp_targetILNS1_3genE0ELNS1_11target_archE4294967295ELNS1_3gpuE0ELNS1_3repE0EEENS1_30default_config_static_selectorELNS0_4arch9wavefront6targetE0EEEvT1_
    .private_segment_fixed_size: 0
    .sgpr_count:     0
    .sgpr_spill_count: 0
    .symbol:         _ZN7rocprim17ROCPRIM_400000_NS6detail17trampoline_kernelINS0_14default_configENS1_29reduce_by_key_config_selectorIjjN6thrust23THRUST_200600_302600_NS4plusIjEEEEZZNS1_33reduce_by_key_impl_wrapped_configILNS1_25lookback_scan_determinismE0ES3_S9_NS6_6detail15normal_iteratorINS6_10device_ptrIjEEEESG_SG_SG_PmS8_NS6_8equal_toIjEEEE10hipError_tPvRmT2_T3_mT4_T5_T6_T7_T8_P12ihipStream_tbENKUlT_T0_E_clISt17integral_constantIbLb0EES11_EEDaSW_SX_EUlSW_E_NS1_11comp_targetILNS1_3genE0ELNS1_11target_archE4294967295ELNS1_3gpuE0ELNS1_3repE0EEENS1_30default_config_static_selectorELNS0_4arch9wavefront6targetE0EEEvT1_.kd
    .uniform_work_group_size: 1
    .uses_dynamic_stack: false
    .vgpr_count:     0
    .vgpr_spill_count: 0
    .wavefront_size: 32
    .workgroup_processor_mode: 1
  - .args:
      - .offset:         0
        .size:           120
        .value_kind:     by_value
    .group_segment_fixed_size: 0
    .kernarg_segment_align: 8
    .kernarg_segment_size: 120
    .language:       OpenCL C
    .language_version:
      - 2
      - 0
    .max_flat_workgroup_size: 256
    .name:           _ZN7rocprim17ROCPRIM_400000_NS6detail17trampoline_kernelINS0_14default_configENS1_29reduce_by_key_config_selectorIjjN6thrust23THRUST_200600_302600_NS4plusIjEEEEZZNS1_33reduce_by_key_impl_wrapped_configILNS1_25lookback_scan_determinismE0ES3_S9_NS6_6detail15normal_iteratorINS6_10device_ptrIjEEEESG_SG_SG_PmS8_NS6_8equal_toIjEEEE10hipError_tPvRmT2_T3_mT4_T5_T6_T7_T8_P12ihipStream_tbENKUlT_T0_E_clISt17integral_constantIbLb0EES11_EEDaSW_SX_EUlSW_E_NS1_11comp_targetILNS1_3genE5ELNS1_11target_archE942ELNS1_3gpuE9ELNS1_3repE0EEENS1_30default_config_static_selectorELNS0_4arch9wavefront6targetE0EEEvT1_
    .private_segment_fixed_size: 0
    .sgpr_count:     0
    .sgpr_spill_count: 0
    .symbol:         _ZN7rocprim17ROCPRIM_400000_NS6detail17trampoline_kernelINS0_14default_configENS1_29reduce_by_key_config_selectorIjjN6thrust23THRUST_200600_302600_NS4plusIjEEEEZZNS1_33reduce_by_key_impl_wrapped_configILNS1_25lookback_scan_determinismE0ES3_S9_NS6_6detail15normal_iteratorINS6_10device_ptrIjEEEESG_SG_SG_PmS8_NS6_8equal_toIjEEEE10hipError_tPvRmT2_T3_mT4_T5_T6_T7_T8_P12ihipStream_tbENKUlT_T0_E_clISt17integral_constantIbLb0EES11_EEDaSW_SX_EUlSW_E_NS1_11comp_targetILNS1_3genE5ELNS1_11target_archE942ELNS1_3gpuE9ELNS1_3repE0EEENS1_30default_config_static_selectorELNS0_4arch9wavefront6targetE0EEEvT1_.kd
    .uniform_work_group_size: 1
    .uses_dynamic_stack: false
    .vgpr_count:     0
    .vgpr_spill_count: 0
    .wavefront_size: 32
    .workgroup_processor_mode: 1
  - .args:
      - .offset:         0
        .size:           120
        .value_kind:     by_value
    .group_segment_fixed_size: 0
    .kernarg_segment_align: 8
    .kernarg_segment_size: 120
    .language:       OpenCL C
    .language_version:
      - 2
      - 0
    .max_flat_workgroup_size: 256
    .name:           _ZN7rocprim17ROCPRIM_400000_NS6detail17trampoline_kernelINS0_14default_configENS1_29reduce_by_key_config_selectorIjjN6thrust23THRUST_200600_302600_NS4plusIjEEEEZZNS1_33reduce_by_key_impl_wrapped_configILNS1_25lookback_scan_determinismE0ES3_S9_NS6_6detail15normal_iteratorINS6_10device_ptrIjEEEESG_SG_SG_PmS8_NS6_8equal_toIjEEEE10hipError_tPvRmT2_T3_mT4_T5_T6_T7_T8_P12ihipStream_tbENKUlT_T0_E_clISt17integral_constantIbLb0EES11_EEDaSW_SX_EUlSW_E_NS1_11comp_targetILNS1_3genE4ELNS1_11target_archE910ELNS1_3gpuE8ELNS1_3repE0EEENS1_30default_config_static_selectorELNS0_4arch9wavefront6targetE0EEEvT1_
    .private_segment_fixed_size: 0
    .sgpr_count:     0
    .sgpr_spill_count: 0
    .symbol:         _ZN7rocprim17ROCPRIM_400000_NS6detail17trampoline_kernelINS0_14default_configENS1_29reduce_by_key_config_selectorIjjN6thrust23THRUST_200600_302600_NS4plusIjEEEEZZNS1_33reduce_by_key_impl_wrapped_configILNS1_25lookback_scan_determinismE0ES3_S9_NS6_6detail15normal_iteratorINS6_10device_ptrIjEEEESG_SG_SG_PmS8_NS6_8equal_toIjEEEE10hipError_tPvRmT2_T3_mT4_T5_T6_T7_T8_P12ihipStream_tbENKUlT_T0_E_clISt17integral_constantIbLb0EES11_EEDaSW_SX_EUlSW_E_NS1_11comp_targetILNS1_3genE4ELNS1_11target_archE910ELNS1_3gpuE8ELNS1_3repE0EEENS1_30default_config_static_selectorELNS0_4arch9wavefront6targetE0EEEvT1_.kd
    .uniform_work_group_size: 1
    .uses_dynamic_stack: false
    .vgpr_count:     0
    .vgpr_spill_count: 0
    .wavefront_size: 32
    .workgroup_processor_mode: 1
  - .args:
      - .offset:         0
        .size:           120
        .value_kind:     by_value
    .group_segment_fixed_size: 0
    .kernarg_segment_align: 8
    .kernarg_segment_size: 120
    .language:       OpenCL C
    .language_version:
      - 2
      - 0
    .max_flat_workgroup_size: 256
    .name:           _ZN7rocprim17ROCPRIM_400000_NS6detail17trampoline_kernelINS0_14default_configENS1_29reduce_by_key_config_selectorIjjN6thrust23THRUST_200600_302600_NS4plusIjEEEEZZNS1_33reduce_by_key_impl_wrapped_configILNS1_25lookback_scan_determinismE0ES3_S9_NS6_6detail15normal_iteratorINS6_10device_ptrIjEEEESG_SG_SG_PmS8_NS6_8equal_toIjEEEE10hipError_tPvRmT2_T3_mT4_T5_T6_T7_T8_P12ihipStream_tbENKUlT_T0_E_clISt17integral_constantIbLb0EES11_EEDaSW_SX_EUlSW_E_NS1_11comp_targetILNS1_3genE3ELNS1_11target_archE908ELNS1_3gpuE7ELNS1_3repE0EEENS1_30default_config_static_selectorELNS0_4arch9wavefront6targetE0EEEvT1_
    .private_segment_fixed_size: 0
    .sgpr_count:     0
    .sgpr_spill_count: 0
    .symbol:         _ZN7rocprim17ROCPRIM_400000_NS6detail17trampoline_kernelINS0_14default_configENS1_29reduce_by_key_config_selectorIjjN6thrust23THRUST_200600_302600_NS4plusIjEEEEZZNS1_33reduce_by_key_impl_wrapped_configILNS1_25lookback_scan_determinismE0ES3_S9_NS6_6detail15normal_iteratorINS6_10device_ptrIjEEEESG_SG_SG_PmS8_NS6_8equal_toIjEEEE10hipError_tPvRmT2_T3_mT4_T5_T6_T7_T8_P12ihipStream_tbENKUlT_T0_E_clISt17integral_constantIbLb0EES11_EEDaSW_SX_EUlSW_E_NS1_11comp_targetILNS1_3genE3ELNS1_11target_archE908ELNS1_3gpuE7ELNS1_3repE0EEENS1_30default_config_static_selectorELNS0_4arch9wavefront6targetE0EEEvT1_.kd
    .uniform_work_group_size: 1
    .uses_dynamic_stack: false
    .vgpr_count:     0
    .vgpr_spill_count: 0
    .wavefront_size: 32
    .workgroup_processor_mode: 1
  - .args:
      - .offset:         0
        .size:           120
        .value_kind:     by_value
    .group_segment_fixed_size: 0
    .kernarg_segment_align: 8
    .kernarg_segment_size: 120
    .language:       OpenCL C
    .language_version:
      - 2
      - 0
    .max_flat_workgroup_size: 256
    .name:           _ZN7rocprim17ROCPRIM_400000_NS6detail17trampoline_kernelINS0_14default_configENS1_29reduce_by_key_config_selectorIjjN6thrust23THRUST_200600_302600_NS4plusIjEEEEZZNS1_33reduce_by_key_impl_wrapped_configILNS1_25lookback_scan_determinismE0ES3_S9_NS6_6detail15normal_iteratorINS6_10device_ptrIjEEEESG_SG_SG_PmS8_NS6_8equal_toIjEEEE10hipError_tPvRmT2_T3_mT4_T5_T6_T7_T8_P12ihipStream_tbENKUlT_T0_E_clISt17integral_constantIbLb0EES11_EEDaSW_SX_EUlSW_E_NS1_11comp_targetILNS1_3genE2ELNS1_11target_archE906ELNS1_3gpuE6ELNS1_3repE0EEENS1_30default_config_static_selectorELNS0_4arch9wavefront6targetE0EEEvT1_
    .private_segment_fixed_size: 0
    .sgpr_count:     0
    .sgpr_spill_count: 0
    .symbol:         _ZN7rocprim17ROCPRIM_400000_NS6detail17trampoline_kernelINS0_14default_configENS1_29reduce_by_key_config_selectorIjjN6thrust23THRUST_200600_302600_NS4plusIjEEEEZZNS1_33reduce_by_key_impl_wrapped_configILNS1_25lookback_scan_determinismE0ES3_S9_NS6_6detail15normal_iteratorINS6_10device_ptrIjEEEESG_SG_SG_PmS8_NS6_8equal_toIjEEEE10hipError_tPvRmT2_T3_mT4_T5_T6_T7_T8_P12ihipStream_tbENKUlT_T0_E_clISt17integral_constantIbLb0EES11_EEDaSW_SX_EUlSW_E_NS1_11comp_targetILNS1_3genE2ELNS1_11target_archE906ELNS1_3gpuE6ELNS1_3repE0EEENS1_30default_config_static_selectorELNS0_4arch9wavefront6targetE0EEEvT1_.kd
    .uniform_work_group_size: 1
    .uses_dynamic_stack: false
    .vgpr_count:     0
    .vgpr_spill_count: 0
    .wavefront_size: 32
    .workgroup_processor_mode: 1
  - .args:
      - .offset:         0
        .size:           120
        .value_kind:     by_value
    .group_segment_fixed_size: 0
    .kernarg_segment_align: 8
    .kernarg_segment_size: 120
    .language:       OpenCL C
    .language_version:
      - 2
      - 0
    .max_flat_workgroup_size: 256
    .name:           _ZN7rocprim17ROCPRIM_400000_NS6detail17trampoline_kernelINS0_14default_configENS1_29reduce_by_key_config_selectorIjjN6thrust23THRUST_200600_302600_NS4plusIjEEEEZZNS1_33reduce_by_key_impl_wrapped_configILNS1_25lookback_scan_determinismE0ES3_S9_NS6_6detail15normal_iteratorINS6_10device_ptrIjEEEESG_SG_SG_PmS8_NS6_8equal_toIjEEEE10hipError_tPvRmT2_T3_mT4_T5_T6_T7_T8_P12ihipStream_tbENKUlT_T0_E_clISt17integral_constantIbLb0EES11_EEDaSW_SX_EUlSW_E_NS1_11comp_targetILNS1_3genE10ELNS1_11target_archE1201ELNS1_3gpuE5ELNS1_3repE0EEENS1_30default_config_static_selectorELNS0_4arch9wavefront6targetE0EEEvT1_
    .private_segment_fixed_size: 0
    .sgpr_count:     0
    .sgpr_spill_count: 0
    .symbol:         _ZN7rocprim17ROCPRIM_400000_NS6detail17trampoline_kernelINS0_14default_configENS1_29reduce_by_key_config_selectorIjjN6thrust23THRUST_200600_302600_NS4plusIjEEEEZZNS1_33reduce_by_key_impl_wrapped_configILNS1_25lookback_scan_determinismE0ES3_S9_NS6_6detail15normal_iteratorINS6_10device_ptrIjEEEESG_SG_SG_PmS8_NS6_8equal_toIjEEEE10hipError_tPvRmT2_T3_mT4_T5_T6_T7_T8_P12ihipStream_tbENKUlT_T0_E_clISt17integral_constantIbLb0EES11_EEDaSW_SX_EUlSW_E_NS1_11comp_targetILNS1_3genE10ELNS1_11target_archE1201ELNS1_3gpuE5ELNS1_3repE0EEENS1_30default_config_static_selectorELNS0_4arch9wavefront6targetE0EEEvT1_.kd
    .uniform_work_group_size: 1
    .uses_dynamic_stack: false
    .vgpr_count:     0
    .vgpr_spill_count: 0
    .wavefront_size: 32
    .workgroup_processor_mode: 1
  - .args:
      - .offset:         0
        .size:           120
        .value_kind:     by_value
    .group_segment_fixed_size: 0
    .kernarg_segment_align: 8
    .kernarg_segment_size: 120
    .language:       OpenCL C
    .language_version:
      - 2
      - 0
    .max_flat_workgroup_size: 256
    .name:           _ZN7rocprim17ROCPRIM_400000_NS6detail17trampoline_kernelINS0_14default_configENS1_29reduce_by_key_config_selectorIjjN6thrust23THRUST_200600_302600_NS4plusIjEEEEZZNS1_33reduce_by_key_impl_wrapped_configILNS1_25lookback_scan_determinismE0ES3_S9_NS6_6detail15normal_iteratorINS6_10device_ptrIjEEEESG_SG_SG_PmS8_NS6_8equal_toIjEEEE10hipError_tPvRmT2_T3_mT4_T5_T6_T7_T8_P12ihipStream_tbENKUlT_T0_E_clISt17integral_constantIbLb0EES11_EEDaSW_SX_EUlSW_E_NS1_11comp_targetILNS1_3genE10ELNS1_11target_archE1200ELNS1_3gpuE4ELNS1_3repE0EEENS1_30default_config_static_selectorELNS0_4arch9wavefront6targetE0EEEvT1_
    .private_segment_fixed_size: 0
    .sgpr_count:     0
    .sgpr_spill_count: 0
    .symbol:         _ZN7rocprim17ROCPRIM_400000_NS6detail17trampoline_kernelINS0_14default_configENS1_29reduce_by_key_config_selectorIjjN6thrust23THRUST_200600_302600_NS4plusIjEEEEZZNS1_33reduce_by_key_impl_wrapped_configILNS1_25lookback_scan_determinismE0ES3_S9_NS6_6detail15normal_iteratorINS6_10device_ptrIjEEEESG_SG_SG_PmS8_NS6_8equal_toIjEEEE10hipError_tPvRmT2_T3_mT4_T5_T6_T7_T8_P12ihipStream_tbENKUlT_T0_E_clISt17integral_constantIbLb0EES11_EEDaSW_SX_EUlSW_E_NS1_11comp_targetILNS1_3genE10ELNS1_11target_archE1200ELNS1_3gpuE4ELNS1_3repE0EEENS1_30default_config_static_selectorELNS0_4arch9wavefront6targetE0EEEvT1_.kd
    .uniform_work_group_size: 1
    .uses_dynamic_stack: false
    .vgpr_count:     0
    .vgpr_spill_count: 0
    .wavefront_size: 32
    .workgroup_processor_mode: 1
  - .args:
      - .offset:         0
        .size:           120
        .value_kind:     by_value
    .group_segment_fixed_size: 15360
    .kernarg_segment_align: 8
    .kernarg_segment_size: 120
    .language:       OpenCL C
    .language_version:
      - 2
      - 0
    .max_flat_workgroup_size: 256
    .name:           _ZN7rocprim17ROCPRIM_400000_NS6detail17trampoline_kernelINS0_14default_configENS1_29reduce_by_key_config_selectorIjjN6thrust23THRUST_200600_302600_NS4plusIjEEEEZZNS1_33reduce_by_key_impl_wrapped_configILNS1_25lookback_scan_determinismE0ES3_S9_NS6_6detail15normal_iteratorINS6_10device_ptrIjEEEESG_SG_SG_PmS8_NS6_8equal_toIjEEEE10hipError_tPvRmT2_T3_mT4_T5_T6_T7_T8_P12ihipStream_tbENKUlT_T0_E_clISt17integral_constantIbLb0EES11_EEDaSW_SX_EUlSW_E_NS1_11comp_targetILNS1_3genE9ELNS1_11target_archE1100ELNS1_3gpuE3ELNS1_3repE0EEENS1_30default_config_static_selectorELNS0_4arch9wavefront6targetE0EEEvT1_
    .private_segment_fixed_size: 0
    .sgpr_count:     48
    .sgpr_spill_count: 0
    .symbol:         _ZN7rocprim17ROCPRIM_400000_NS6detail17trampoline_kernelINS0_14default_configENS1_29reduce_by_key_config_selectorIjjN6thrust23THRUST_200600_302600_NS4plusIjEEEEZZNS1_33reduce_by_key_impl_wrapped_configILNS1_25lookback_scan_determinismE0ES3_S9_NS6_6detail15normal_iteratorINS6_10device_ptrIjEEEESG_SG_SG_PmS8_NS6_8equal_toIjEEEE10hipError_tPvRmT2_T3_mT4_T5_T6_T7_T8_P12ihipStream_tbENKUlT_T0_E_clISt17integral_constantIbLb0EES11_EEDaSW_SX_EUlSW_E_NS1_11comp_targetILNS1_3genE9ELNS1_11target_archE1100ELNS1_3gpuE3ELNS1_3repE0EEENS1_30default_config_static_selectorELNS0_4arch9wavefront6targetE0EEEvT1_.kd
    .uniform_work_group_size: 1
    .uses_dynamic_stack: false
    .vgpr_count:     87
    .vgpr_spill_count: 0
    .wavefront_size: 32
    .workgroup_processor_mode: 1
  - .args:
      - .offset:         0
        .size:           120
        .value_kind:     by_value
    .group_segment_fixed_size: 0
    .kernarg_segment_align: 8
    .kernarg_segment_size: 120
    .language:       OpenCL C
    .language_version:
      - 2
      - 0
    .max_flat_workgroup_size: 256
    .name:           _ZN7rocprim17ROCPRIM_400000_NS6detail17trampoline_kernelINS0_14default_configENS1_29reduce_by_key_config_selectorIjjN6thrust23THRUST_200600_302600_NS4plusIjEEEEZZNS1_33reduce_by_key_impl_wrapped_configILNS1_25lookback_scan_determinismE0ES3_S9_NS6_6detail15normal_iteratorINS6_10device_ptrIjEEEESG_SG_SG_PmS8_NS6_8equal_toIjEEEE10hipError_tPvRmT2_T3_mT4_T5_T6_T7_T8_P12ihipStream_tbENKUlT_T0_E_clISt17integral_constantIbLb0EES11_EEDaSW_SX_EUlSW_E_NS1_11comp_targetILNS1_3genE8ELNS1_11target_archE1030ELNS1_3gpuE2ELNS1_3repE0EEENS1_30default_config_static_selectorELNS0_4arch9wavefront6targetE0EEEvT1_
    .private_segment_fixed_size: 0
    .sgpr_count:     0
    .sgpr_spill_count: 0
    .symbol:         _ZN7rocprim17ROCPRIM_400000_NS6detail17trampoline_kernelINS0_14default_configENS1_29reduce_by_key_config_selectorIjjN6thrust23THRUST_200600_302600_NS4plusIjEEEEZZNS1_33reduce_by_key_impl_wrapped_configILNS1_25lookback_scan_determinismE0ES3_S9_NS6_6detail15normal_iteratorINS6_10device_ptrIjEEEESG_SG_SG_PmS8_NS6_8equal_toIjEEEE10hipError_tPvRmT2_T3_mT4_T5_T6_T7_T8_P12ihipStream_tbENKUlT_T0_E_clISt17integral_constantIbLb0EES11_EEDaSW_SX_EUlSW_E_NS1_11comp_targetILNS1_3genE8ELNS1_11target_archE1030ELNS1_3gpuE2ELNS1_3repE0EEENS1_30default_config_static_selectorELNS0_4arch9wavefront6targetE0EEEvT1_.kd
    .uniform_work_group_size: 1
    .uses_dynamic_stack: false
    .vgpr_count:     0
    .vgpr_spill_count: 0
    .wavefront_size: 32
    .workgroup_processor_mode: 1
  - .args:
      - .address_space:  global
        .offset:         0
        .size:           8
        .value_kind:     global_buffer
      - .offset:         8
        .size:           4
        .value_kind:     by_value
      - .offset:         12
        .size:           1
        .value_kind:     by_value
      - .offset:         16
        .size:           4
        .value_kind:     by_value
      - .address_space:  global
        .offset:         24
        .size:           8
        .value_kind:     global_buffer
      - .address_space:  global
        .offset:         32
        .size:           8
        .value_kind:     global_buffer
      - .address_space:  global
        .offset:         40
        .size:           8
        .value_kind:     global_buffer
      - .offset:         48
        .size:           4
        .value_kind:     hidden_block_count_x
      - .offset:         52
        .size:           4
        .value_kind:     hidden_block_count_y
      - .offset:         56
        .size:           4
        .value_kind:     hidden_block_count_z
      - .offset:         60
        .size:           2
        .value_kind:     hidden_group_size_x
      - .offset:         62
        .size:           2
        .value_kind:     hidden_group_size_y
      - .offset:         64
        .size:           2
        .value_kind:     hidden_group_size_z
      - .offset:         66
        .size:           2
        .value_kind:     hidden_remainder_x
      - .offset:         68
        .size:           2
        .value_kind:     hidden_remainder_y
      - .offset:         70
        .size:           2
        .value_kind:     hidden_remainder_z
      - .offset:         88
        .size:           8
        .value_kind:     hidden_global_offset_x
      - .offset:         96
        .size:           8
        .value_kind:     hidden_global_offset_y
      - .offset:         104
        .size:           8
        .value_kind:     hidden_global_offset_z
      - .offset:         112
        .size:           2
        .value_kind:     hidden_grid_dims
    .group_segment_fixed_size: 0
    .kernarg_segment_align: 8
    .kernarg_segment_size: 304
    .language:       OpenCL C
    .language_version:
      - 2
      - 0
    .max_flat_workgroup_size: 256
    .name:           _ZN7rocprim17ROCPRIM_400000_NS6detail25reduce_by_key_init_kernelINS1_19lookback_scan_stateINS0_5tupleIJjjEEELb1ELb1EEEjNS1_16block_id_wrapperIjLb1EEEEEvT_jbjPmPT0_T1_
    .private_segment_fixed_size: 0
    .sgpr_count:     18
    .sgpr_spill_count: 0
    .symbol:         _ZN7rocprim17ROCPRIM_400000_NS6detail25reduce_by_key_init_kernelINS1_19lookback_scan_stateINS0_5tupleIJjjEEELb1ELb1EEEjNS1_16block_id_wrapperIjLb1EEEEEvT_jbjPmPT0_T1_.kd
    .uniform_work_group_size: 1
    .uses_dynamic_stack: false
    .vgpr_count:     9
    .vgpr_spill_count: 0
    .wavefront_size: 32
    .workgroup_processor_mode: 1
  - .args:
      - .offset:         0
        .size:           120
        .value_kind:     by_value
    .group_segment_fixed_size: 0
    .kernarg_segment_align: 8
    .kernarg_segment_size: 120
    .language:       OpenCL C
    .language_version:
      - 2
      - 0
    .max_flat_workgroup_size: 256
    .name:           _ZN7rocprim17ROCPRIM_400000_NS6detail17trampoline_kernelINS0_14default_configENS1_29reduce_by_key_config_selectorIjjN6thrust23THRUST_200600_302600_NS4plusIjEEEEZZNS1_33reduce_by_key_impl_wrapped_configILNS1_25lookback_scan_determinismE0ES3_S9_NS6_6detail15normal_iteratorINS6_10device_ptrIjEEEESG_SG_SG_PmS8_NS6_8equal_toIjEEEE10hipError_tPvRmT2_T3_mT4_T5_T6_T7_T8_P12ihipStream_tbENKUlT_T0_E_clISt17integral_constantIbLb1EES11_EEDaSW_SX_EUlSW_E_NS1_11comp_targetILNS1_3genE0ELNS1_11target_archE4294967295ELNS1_3gpuE0ELNS1_3repE0EEENS1_30default_config_static_selectorELNS0_4arch9wavefront6targetE0EEEvT1_
    .private_segment_fixed_size: 0
    .sgpr_count:     0
    .sgpr_spill_count: 0
    .symbol:         _ZN7rocprim17ROCPRIM_400000_NS6detail17trampoline_kernelINS0_14default_configENS1_29reduce_by_key_config_selectorIjjN6thrust23THRUST_200600_302600_NS4plusIjEEEEZZNS1_33reduce_by_key_impl_wrapped_configILNS1_25lookback_scan_determinismE0ES3_S9_NS6_6detail15normal_iteratorINS6_10device_ptrIjEEEESG_SG_SG_PmS8_NS6_8equal_toIjEEEE10hipError_tPvRmT2_T3_mT4_T5_T6_T7_T8_P12ihipStream_tbENKUlT_T0_E_clISt17integral_constantIbLb1EES11_EEDaSW_SX_EUlSW_E_NS1_11comp_targetILNS1_3genE0ELNS1_11target_archE4294967295ELNS1_3gpuE0ELNS1_3repE0EEENS1_30default_config_static_selectorELNS0_4arch9wavefront6targetE0EEEvT1_.kd
    .uniform_work_group_size: 1
    .uses_dynamic_stack: false
    .vgpr_count:     0
    .vgpr_spill_count: 0
    .wavefront_size: 32
    .workgroup_processor_mode: 1
  - .args:
      - .offset:         0
        .size:           120
        .value_kind:     by_value
    .group_segment_fixed_size: 0
    .kernarg_segment_align: 8
    .kernarg_segment_size: 120
    .language:       OpenCL C
    .language_version:
      - 2
      - 0
    .max_flat_workgroup_size: 256
    .name:           _ZN7rocprim17ROCPRIM_400000_NS6detail17trampoline_kernelINS0_14default_configENS1_29reduce_by_key_config_selectorIjjN6thrust23THRUST_200600_302600_NS4plusIjEEEEZZNS1_33reduce_by_key_impl_wrapped_configILNS1_25lookback_scan_determinismE0ES3_S9_NS6_6detail15normal_iteratorINS6_10device_ptrIjEEEESG_SG_SG_PmS8_NS6_8equal_toIjEEEE10hipError_tPvRmT2_T3_mT4_T5_T6_T7_T8_P12ihipStream_tbENKUlT_T0_E_clISt17integral_constantIbLb1EES11_EEDaSW_SX_EUlSW_E_NS1_11comp_targetILNS1_3genE5ELNS1_11target_archE942ELNS1_3gpuE9ELNS1_3repE0EEENS1_30default_config_static_selectorELNS0_4arch9wavefront6targetE0EEEvT1_
    .private_segment_fixed_size: 0
    .sgpr_count:     0
    .sgpr_spill_count: 0
    .symbol:         _ZN7rocprim17ROCPRIM_400000_NS6detail17trampoline_kernelINS0_14default_configENS1_29reduce_by_key_config_selectorIjjN6thrust23THRUST_200600_302600_NS4plusIjEEEEZZNS1_33reduce_by_key_impl_wrapped_configILNS1_25lookback_scan_determinismE0ES3_S9_NS6_6detail15normal_iteratorINS6_10device_ptrIjEEEESG_SG_SG_PmS8_NS6_8equal_toIjEEEE10hipError_tPvRmT2_T3_mT4_T5_T6_T7_T8_P12ihipStream_tbENKUlT_T0_E_clISt17integral_constantIbLb1EES11_EEDaSW_SX_EUlSW_E_NS1_11comp_targetILNS1_3genE5ELNS1_11target_archE942ELNS1_3gpuE9ELNS1_3repE0EEENS1_30default_config_static_selectorELNS0_4arch9wavefront6targetE0EEEvT1_.kd
    .uniform_work_group_size: 1
    .uses_dynamic_stack: false
    .vgpr_count:     0
    .vgpr_spill_count: 0
    .wavefront_size: 32
    .workgroup_processor_mode: 1
  - .args:
      - .offset:         0
        .size:           120
        .value_kind:     by_value
    .group_segment_fixed_size: 0
    .kernarg_segment_align: 8
    .kernarg_segment_size: 120
    .language:       OpenCL C
    .language_version:
      - 2
      - 0
    .max_flat_workgroup_size: 256
    .name:           _ZN7rocprim17ROCPRIM_400000_NS6detail17trampoline_kernelINS0_14default_configENS1_29reduce_by_key_config_selectorIjjN6thrust23THRUST_200600_302600_NS4plusIjEEEEZZNS1_33reduce_by_key_impl_wrapped_configILNS1_25lookback_scan_determinismE0ES3_S9_NS6_6detail15normal_iteratorINS6_10device_ptrIjEEEESG_SG_SG_PmS8_NS6_8equal_toIjEEEE10hipError_tPvRmT2_T3_mT4_T5_T6_T7_T8_P12ihipStream_tbENKUlT_T0_E_clISt17integral_constantIbLb1EES11_EEDaSW_SX_EUlSW_E_NS1_11comp_targetILNS1_3genE4ELNS1_11target_archE910ELNS1_3gpuE8ELNS1_3repE0EEENS1_30default_config_static_selectorELNS0_4arch9wavefront6targetE0EEEvT1_
    .private_segment_fixed_size: 0
    .sgpr_count:     0
    .sgpr_spill_count: 0
    .symbol:         _ZN7rocprim17ROCPRIM_400000_NS6detail17trampoline_kernelINS0_14default_configENS1_29reduce_by_key_config_selectorIjjN6thrust23THRUST_200600_302600_NS4plusIjEEEEZZNS1_33reduce_by_key_impl_wrapped_configILNS1_25lookback_scan_determinismE0ES3_S9_NS6_6detail15normal_iteratorINS6_10device_ptrIjEEEESG_SG_SG_PmS8_NS6_8equal_toIjEEEE10hipError_tPvRmT2_T3_mT4_T5_T6_T7_T8_P12ihipStream_tbENKUlT_T0_E_clISt17integral_constantIbLb1EES11_EEDaSW_SX_EUlSW_E_NS1_11comp_targetILNS1_3genE4ELNS1_11target_archE910ELNS1_3gpuE8ELNS1_3repE0EEENS1_30default_config_static_selectorELNS0_4arch9wavefront6targetE0EEEvT1_.kd
    .uniform_work_group_size: 1
    .uses_dynamic_stack: false
    .vgpr_count:     0
    .vgpr_spill_count: 0
    .wavefront_size: 32
    .workgroup_processor_mode: 1
  - .args:
      - .offset:         0
        .size:           120
        .value_kind:     by_value
    .group_segment_fixed_size: 0
    .kernarg_segment_align: 8
    .kernarg_segment_size: 120
    .language:       OpenCL C
    .language_version:
      - 2
      - 0
    .max_flat_workgroup_size: 256
    .name:           _ZN7rocprim17ROCPRIM_400000_NS6detail17trampoline_kernelINS0_14default_configENS1_29reduce_by_key_config_selectorIjjN6thrust23THRUST_200600_302600_NS4plusIjEEEEZZNS1_33reduce_by_key_impl_wrapped_configILNS1_25lookback_scan_determinismE0ES3_S9_NS6_6detail15normal_iteratorINS6_10device_ptrIjEEEESG_SG_SG_PmS8_NS6_8equal_toIjEEEE10hipError_tPvRmT2_T3_mT4_T5_T6_T7_T8_P12ihipStream_tbENKUlT_T0_E_clISt17integral_constantIbLb1EES11_EEDaSW_SX_EUlSW_E_NS1_11comp_targetILNS1_3genE3ELNS1_11target_archE908ELNS1_3gpuE7ELNS1_3repE0EEENS1_30default_config_static_selectorELNS0_4arch9wavefront6targetE0EEEvT1_
    .private_segment_fixed_size: 0
    .sgpr_count:     0
    .sgpr_spill_count: 0
    .symbol:         _ZN7rocprim17ROCPRIM_400000_NS6detail17trampoline_kernelINS0_14default_configENS1_29reduce_by_key_config_selectorIjjN6thrust23THRUST_200600_302600_NS4plusIjEEEEZZNS1_33reduce_by_key_impl_wrapped_configILNS1_25lookback_scan_determinismE0ES3_S9_NS6_6detail15normal_iteratorINS6_10device_ptrIjEEEESG_SG_SG_PmS8_NS6_8equal_toIjEEEE10hipError_tPvRmT2_T3_mT4_T5_T6_T7_T8_P12ihipStream_tbENKUlT_T0_E_clISt17integral_constantIbLb1EES11_EEDaSW_SX_EUlSW_E_NS1_11comp_targetILNS1_3genE3ELNS1_11target_archE908ELNS1_3gpuE7ELNS1_3repE0EEENS1_30default_config_static_selectorELNS0_4arch9wavefront6targetE0EEEvT1_.kd
    .uniform_work_group_size: 1
    .uses_dynamic_stack: false
    .vgpr_count:     0
    .vgpr_spill_count: 0
    .wavefront_size: 32
    .workgroup_processor_mode: 1
  - .args:
      - .offset:         0
        .size:           120
        .value_kind:     by_value
    .group_segment_fixed_size: 0
    .kernarg_segment_align: 8
    .kernarg_segment_size: 120
    .language:       OpenCL C
    .language_version:
      - 2
      - 0
    .max_flat_workgroup_size: 256
    .name:           _ZN7rocprim17ROCPRIM_400000_NS6detail17trampoline_kernelINS0_14default_configENS1_29reduce_by_key_config_selectorIjjN6thrust23THRUST_200600_302600_NS4plusIjEEEEZZNS1_33reduce_by_key_impl_wrapped_configILNS1_25lookback_scan_determinismE0ES3_S9_NS6_6detail15normal_iteratorINS6_10device_ptrIjEEEESG_SG_SG_PmS8_NS6_8equal_toIjEEEE10hipError_tPvRmT2_T3_mT4_T5_T6_T7_T8_P12ihipStream_tbENKUlT_T0_E_clISt17integral_constantIbLb1EES11_EEDaSW_SX_EUlSW_E_NS1_11comp_targetILNS1_3genE2ELNS1_11target_archE906ELNS1_3gpuE6ELNS1_3repE0EEENS1_30default_config_static_selectorELNS0_4arch9wavefront6targetE0EEEvT1_
    .private_segment_fixed_size: 0
    .sgpr_count:     0
    .sgpr_spill_count: 0
    .symbol:         _ZN7rocprim17ROCPRIM_400000_NS6detail17trampoline_kernelINS0_14default_configENS1_29reduce_by_key_config_selectorIjjN6thrust23THRUST_200600_302600_NS4plusIjEEEEZZNS1_33reduce_by_key_impl_wrapped_configILNS1_25lookback_scan_determinismE0ES3_S9_NS6_6detail15normal_iteratorINS6_10device_ptrIjEEEESG_SG_SG_PmS8_NS6_8equal_toIjEEEE10hipError_tPvRmT2_T3_mT4_T5_T6_T7_T8_P12ihipStream_tbENKUlT_T0_E_clISt17integral_constantIbLb1EES11_EEDaSW_SX_EUlSW_E_NS1_11comp_targetILNS1_3genE2ELNS1_11target_archE906ELNS1_3gpuE6ELNS1_3repE0EEENS1_30default_config_static_selectorELNS0_4arch9wavefront6targetE0EEEvT1_.kd
    .uniform_work_group_size: 1
    .uses_dynamic_stack: false
    .vgpr_count:     0
    .vgpr_spill_count: 0
    .wavefront_size: 32
    .workgroup_processor_mode: 1
  - .args:
      - .offset:         0
        .size:           120
        .value_kind:     by_value
    .group_segment_fixed_size: 0
    .kernarg_segment_align: 8
    .kernarg_segment_size: 120
    .language:       OpenCL C
    .language_version:
      - 2
      - 0
    .max_flat_workgroup_size: 256
    .name:           _ZN7rocprim17ROCPRIM_400000_NS6detail17trampoline_kernelINS0_14default_configENS1_29reduce_by_key_config_selectorIjjN6thrust23THRUST_200600_302600_NS4plusIjEEEEZZNS1_33reduce_by_key_impl_wrapped_configILNS1_25lookback_scan_determinismE0ES3_S9_NS6_6detail15normal_iteratorINS6_10device_ptrIjEEEESG_SG_SG_PmS8_NS6_8equal_toIjEEEE10hipError_tPvRmT2_T3_mT4_T5_T6_T7_T8_P12ihipStream_tbENKUlT_T0_E_clISt17integral_constantIbLb1EES11_EEDaSW_SX_EUlSW_E_NS1_11comp_targetILNS1_3genE10ELNS1_11target_archE1201ELNS1_3gpuE5ELNS1_3repE0EEENS1_30default_config_static_selectorELNS0_4arch9wavefront6targetE0EEEvT1_
    .private_segment_fixed_size: 0
    .sgpr_count:     0
    .sgpr_spill_count: 0
    .symbol:         _ZN7rocprim17ROCPRIM_400000_NS6detail17trampoline_kernelINS0_14default_configENS1_29reduce_by_key_config_selectorIjjN6thrust23THRUST_200600_302600_NS4plusIjEEEEZZNS1_33reduce_by_key_impl_wrapped_configILNS1_25lookback_scan_determinismE0ES3_S9_NS6_6detail15normal_iteratorINS6_10device_ptrIjEEEESG_SG_SG_PmS8_NS6_8equal_toIjEEEE10hipError_tPvRmT2_T3_mT4_T5_T6_T7_T8_P12ihipStream_tbENKUlT_T0_E_clISt17integral_constantIbLb1EES11_EEDaSW_SX_EUlSW_E_NS1_11comp_targetILNS1_3genE10ELNS1_11target_archE1201ELNS1_3gpuE5ELNS1_3repE0EEENS1_30default_config_static_selectorELNS0_4arch9wavefront6targetE0EEEvT1_.kd
    .uniform_work_group_size: 1
    .uses_dynamic_stack: false
    .vgpr_count:     0
    .vgpr_spill_count: 0
    .wavefront_size: 32
    .workgroup_processor_mode: 1
  - .args:
      - .offset:         0
        .size:           120
        .value_kind:     by_value
    .group_segment_fixed_size: 0
    .kernarg_segment_align: 8
    .kernarg_segment_size: 120
    .language:       OpenCL C
    .language_version:
      - 2
      - 0
    .max_flat_workgroup_size: 256
    .name:           _ZN7rocprim17ROCPRIM_400000_NS6detail17trampoline_kernelINS0_14default_configENS1_29reduce_by_key_config_selectorIjjN6thrust23THRUST_200600_302600_NS4plusIjEEEEZZNS1_33reduce_by_key_impl_wrapped_configILNS1_25lookback_scan_determinismE0ES3_S9_NS6_6detail15normal_iteratorINS6_10device_ptrIjEEEESG_SG_SG_PmS8_NS6_8equal_toIjEEEE10hipError_tPvRmT2_T3_mT4_T5_T6_T7_T8_P12ihipStream_tbENKUlT_T0_E_clISt17integral_constantIbLb1EES11_EEDaSW_SX_EUlSW_E_NS1_11comp_targetILNS1_3genE10ELNS1_11target_archE1200ELNS1_3gpuE4ELNS1_3repE0EEENS1_30default_config_static_selectorELNS0_4arch9wavefront6targetE0EEEvT1_
    .private_segment_fixed_size: 0
    .sgpr_count:     0
    .sgpr_spill_count: 0
    .symbol:         _ZN7rocprim17ROCPRIM_400000_NS6detail17trampoline_kernelINS0_14default_configENS1_29reduce_by_key_config_selectorIjjN6thrust23THRUST_200600_302600_NS4plusIjEEEEZZNS1_33reduce_by_key_impl_wrapped_configILNS1_25lookback_scan_determinismE0ES3_S9_NS6_6detail15normal_iteratorINS6_10device_ptrIjEEEESG_SG_SG_PmS8_NS6_8equal_toIjEEEE10hipError_tPvRmT2_T3_mT4_T5_T6_T7_T8_P12ihipStream_tbENKUlT_T0_E_clISt17integral_constantIbLb1EES11_EEDaSW_SX_EUlSW_E_NS1_11comp_targetILNS1_3genE10ELNS1_11target_archE1200ELNS1_3gpuE4ELNS1_3repE0EEENS1_30default_config_static_selectorELNS0_4arch9wavefront6targetE0EEEvT1_.kd
    .uniform_work_group_size: 1
    .uses_dynamic_stack: false
    .vgpr_count:     0
    .vgpr_spill_count: 0
    .wavefront_size: 32
    .workgroup_processor_mode: 1
  - .args:
      - .offset:         0
        .size:           120
        .value_kind:     by_value
    .group_segment_fixed_size: 15360
    .kernarg_segment_align: 8
    .kernarg_segment_size: 120
    .language:       OpenCL C
    .language_version:
      - 2
      - 0
    .max_flat_workgroup_size: 256
    .name:           _ZN7rocprim17ROCPRIM_400000_NS6detail17trampoline_kernelINS0_14default_configENS1_29reduce_by_key_config_selectorIjjN6thrust23THRUST_200600_302600_NS4plusIjEEEEZZNS1_33reduce_by_key_impl_wrapped_configILNS1_25lookback_scan_determinismE0ES3_S9_NS6_6detail15normal_iteratorINS6_10device_ptrIjEEEESG_SG_SG_PmS8_NS6_8equal_toIjEEEE10hipError_tPvRmT2_T3_mT4_T5_T6_T7_T8_P12ihipStream_tbENKUlT_T0_E_clISt17integral_constantIbLb1EES11_EEDaSW_SX_EUlSW_E_NS1_11comp_targetILNS1_3genE9ELNS1_11target_archE1100ELNS1_3gpuE3ELNS1_3repE0EEENS1_30default_config_static_selectorELNS0_4arch9wavefront6targetE0EEEvT1_
    .private_segment_fixed_size: 0
    .sgpr_count:     51
    .sgpr_spill_count: 0
    .symbol:         _ZN7rocprim17ROCPRIM_400000_NS6detail17trampoline_kernelINS0_14default_configENS1_29reduce_by_key_config_selectorIjjN6thrust23THRUST_200600_302600_NS4plusIjEEEEZZNS1_33reduce_by_key_impl_wrapped_configILNS1_25lookback_scan_determinismE0ES3_S9_NS6_6detail15normal_iteratorINS6_10device_ptrIjEEEESG_SG_SG_PmS8_NS6_8equal_toIjEEEE10hipError_tPvRmT2_T3_mT4_T5_T6_T7_T8_P12ihipStream_tbENKUlT_T0_E_clISt17integral_constantIbLb1EES11_EEDaSW_SX_EUlSW_E_NS1_11comp_targetILNS1_3genE9ELNS1_11target_archE1100ELNS1_3gpuE3ELNS1_3repE0EEENS1_30default_config_static_selectorELNS0_4arch9wavefront6targetE0EEEvT1_.kd
    .uniform_work_group_size: 1
    .uses_dynamic_stack: false
    .vgpr_count:     87
    .vgpr_spill_count: 0
    .wavefront_size: 32
    .workgroup_processor_mode: 1
  - .args:
      - .offset:         0
        .size:           120
        .value_kind:     by_value
    .group_segment_fixed_size: 0
    .kernarg_segment_align: 8
    .kernarg_segment_size: 120
    .language:       OpenCL C
    .language_version:
      - 2
      - 0
    .max_flat_workgroup_size: 256
    .name:           _ZN7rocprim17ROCPRIM_400000_NS6detail17trampoline_kernelINS0_14default_configENS1_29reduce_by_key_config_selectorIjjN6thrust23THRUST_200600_302600_NS4plusIjEEEEZZNS1_33reduce_by_key_impl_wrapped_configILNS1_25lookback_scan_determinismE0ES3_S9_NS6_6detail15normal_iteratorINS6_10device_ptrIjEEEESG_SG_SG_PmS8_NS6_8equal_toIjEEEE10hipError_tPvRmT2_T3_mT4_T5_T6_T7_T8_P12ihipStream_tbENKUlT_T0_E_clISt17integral_constantIbLb1EES11_EEDaSW_SX_EUlSW_E_NS1_11comp_targetILNS1_3genE8ELNS1_11target_archE1030ELNS1_3gpuE2ELNS1_3repE0EEENS1_30default_config_static_selectorELNS0_4arch9wavefront6targetE0EEEvT1_
    .private_segment_fixed_size: 0
    .sgpr_count:     0
    .sgpr_spill_count: 0
    .symbol:         _ZN7rocprim17ROCPRIM_400000_NS6detail17trampoline_kernelINS0_14default_configENS1_29reduce_by_key_config_selectorIjjN6thrust23THRUST_200600_302600_NS4plusIjEEEEZZNS1_33reduce_by_key_impl_wrapped_configILNS1_25lookback_scan_determinismE0ES3_S9_NS6_6detail15normal_iteratorINS6_10device_ptrIjEEEESG_SG_SG_PmS8_NS6_8equal_toIjEEEE10hipError_tPvRmT2_T3_mT4_T5_T6_T7_T8_P12ihipStream_tbENKUlT_T0_E_clISt17integral_constantIbLb1EES11_EEDaSW_SX_EUlSW_E_NS1_11comp_targetILNS1_3genE8ELNS1_11target_archE1030ELNS1_3gpuE2ELNS1_3repE0EEENS1_30default_config_static_selectorELNS0_4arch9wavefront6targetE0EEEvT1_.kd
    .uniform_work_group_size: 1
    .uses_dynamic_stack: false
    .vgpr_count:     0
    .vgpr_spill_count: 0
    .wavefront_size: 32
    .workgroup_processor_mode: 1
  - .args:
      - .address_space:  global
        .offset:         0
        .size:           8
        .value_kind:     global_buffer
      - .offset:         8
        .size:           4
        .value_kind:     by_value
      - .offset:         12
        .size:           1
        .value_kind:     by_value
      - .offset:         16
        .size:           4
        .value_kind:     by_value
      - .address_space:  global
        .offset:         24
        .size:           8
        .value_kind:     global_buffer
      - .address_space:  global
        .offset:         32
        .size:           8
        .value_kind:     global_buffer
      - .offset:         40
        .size:           1
        .value_kind:     by_value
      - .offset:         48
        .size:           4
        .value_kind:     hidden_block_count_x
      - .offset:         52
        .size:           4
        .value_kind:     hidden_block_count_y
      - .offset:         56
        .size:           4
        .value_kind:     hidden_block_count_z
      - .offset:         60
        .size:           2
        .value_kind:     hidden_group_size_x
      - .offset:         62
        .size:           2
        .value_kind:     hidden_group_size_y
      - .offset:         64
        .size:           2
        .value_kind:     hidden_group_size_z
      - .offset:         66
        .size:           2
        .value_kind:     hidden_remainder_x
      - .offset:         68
        .size:           2
        .value_kind:     hidden_remainder_y
      - .offset:         70
        .size:           2
        .value_kind:     hidden_remainder_z
      - .offset:         88
        .size:           8
        .value_kind:     hidden_global_offset_x
      - .offset:         96
        .size:           8
        .value_kind:     hidden_global_offset_y
      - .offset:         104
        .size:           8
        .value_kind:     hidden_global_offset_z
      - .offset:         112
        .size:           2
        .value_kind:     hidden_grid_dims
    .group_segment_fixed_size: 0
    .kernarg_segment_align: 8
    .kernarg_segment_size: 304
    .language:       OpenCL C
    .language_version:
      - 2
      - 0
    .max_flat_workgroup_size: 256
    .name:           _ZN7rocprim17ROCPRIM_400000_NS6detail25reduce_by_key_init_kernelINS1_19lookback_scan_stateINS0_5tupleIJjjEEELb1ELb1EEEjNS1_16block_id_wrapperIjLb0EEEEEvT_jbjPmPT0_T1_
    .private_segment_fixed_size: 0
    .sgpr_count:     18
    .sgpr_spill_count: 0
    .symbol:         _ZN7rocprim17ROCPRIM_400000_NS6detail25reduce_by_key_init_kernelINS1_19lookback_scan_stateINS0_5tupleIJjjEEELb1ELb1EEEjNS1_16block_id_wrapperIjLb0EEEEEvT_jbjPmPT0_T1_.kd
    .uniform_work_group_size: 1
    .uses_dynamic_stack: false
    .vgpr_count:     9
    .vgpr_spill_count: 0
    .wavefront_size: 32
    .workgroup_processor_mode: 1
  - .args:
      - .offset:         0
        .size:           120
        .value_kind:     by_value
    .group_segment_fixed_size: 0
    .kernarg_segment_align: 8
    .kernarg_segment_size: 120
    .language:       OpenCL C
    .language_version:
      - 2
      - 0
    .max_flat_workgroup_size: 256
    .name:           _ZN7rocprim17ROCPRIM_400000_NS6detail17trampoline_kernelINS0_14default_configENS1_29reduce_by_key_config_selectorIjjN6thrust23THRUST_200600_302600_NS4plusIjEEEEZZNS1_33reduce_by_key_impl_wrapped_configILNS1_25lookback_scan_determinismE0ES3_S9_NS6_6detail15normal_iteratorINS6_10device_ptrIjEEEESG_SG_SG_PmS8_NS6_8equal_toIjEEEE10hipError_tPvRmT2_T3_mT4_T5_T6_T7_T8_P12ihipStream_tbENKUlT_T0_E_clISt17integral_constantIbLb1EES10_IbLb0EEEEDaSW_SX_EUlSW_E_NS1_11comp_targetILNS1_3genE0ELNS1_11target_archE4294967295ELNS1_3gpuE0ELNS1_3repE0EEENS1_30default_config_static_selectorELNS0_4arch9wavefront6targetE0EEEvT1_
    .private_segment_fixed_size: 0
    .sgpr_count:     0
    .sgpr_spill_count: 0
    .symbol:         _ZN7rocprim17ROCPRIM_400000_NS6detail17trampoline_kernelINS0_14default_configENS1_29reduce_by_key_config_selectorIjjN6thrust23THRUST_200600_302600_NS4plusIjEEEEZZNS1_33reduce_by_key_impl_wrapped_configILNS1_25lookback_scan_determinismE0ES3_S9_NS6_6detail15normal_iteratorINS6_10device_ptrIjEEEESG_SG_SG_PmS8_NS6_8equal_toIjEEEE10hipError_tPvRmT2_T3_mT4_T5_T6_T7_T8_P12ihipStream_tbENKUlT_T0_E_clISt17integral_constantIbLb1EES10_IbLb0EEEEDaSW_SX_EUlSW_E_NS1_11comp_targetILNS1_3genE0ELNS1_11target_archE4294967295ELNS1_3gpuE0ELNS1_3repE0EEENS1_30default_config_static_selectorELNS0_4arch9wavefront6targetE0EEEvT1_.kd
    .uniform_work_group_size: 1
    .uses_dynamic_stack: false
    .vgpr_count:     0
    .vgpr_spill_count: 0
    .wavefront_size: 32
    .workgroup_processor_mode: 1
  - .args:
      - .offset:         0
        .size:           120
        .value_kind:     by_value
    .group_segment_fixed_size: 0
    .kernarg_segment_align: 8
    .kernarg_segment_size: 120
    .language:       OpenCL C
    .language_version:
      - 2
      - 0
    .max_flat_workgroup_size: 256
    .name:           _ZN7rocprim17ROCPRIM_400000_NS6detail17trampoline_kernelINS0_14default_configENS1_29reduce_by_key_config_selectorIjjN6thrust23THRUST_200600_302600_NS4plusIjEEEEZZNS1_33reduce_by_key_impl_wrapped_configILNS1_25lookback_scan_determinismE0ES3_S9_NS6_6detail15normal_iteratorINS6_10device_ptrIjEEEESG_SG_SG_PmS8_NS6_8equal_toIjEEEE10hipError_tPvRmT2_T3_mT4_T5_T6_T7_T8_P12ihipStream_tbENKUlT_T0_E_clISt17integral_constantIbLb1EES10_IbLb0EEEEDaSW_SX_EUlSW_E_NS1_11comp_targetILNS1_3genE5ELNS1_11target_archE942ELNS1_3gpuE9ELNS1_3repE0EEENS1_30default_config_static_selectorELNS0_4arch9wavefront6targetE0EEEvT1_
    .private_segment_fixed_size: 0
    .sgpr_count:     0
    .sgpr_spill_count: 0
    .symbol:         _ZN7rocprim17ROCPRIM_400000_NS6detail17trampoline_kernelINS0_14default_configENS1_29reduce_by_key_config_selectorIjjN6thrust23THRUST_200600_302600_NS4plusIjEEEEZZNS1_33reduce_by_key_impl_wrapped_configILNS1_25lookback_scan_determinismE0ES3_S9_NS6_6detail15normal_iteratorINS6_10device_ptrIjEEEESG_SG_SG_PmS8_NS6_8equal_toIjEEEE10hipError_tPvRmT2_T3_mT4_T5_T6_T7_T8_P12ihipStream_tbENKUlT_T0_E_clISt17integral_constantIbLb1EES10_IbLb0EEEEDaSW_SX_EUlSW_E_NS1_11comp_targetILNS1_3genE5ELNS1_11target_archE942ELNS1_3gpuE9ELNS1_3repE0EEENS1_30default_config_static_selectorELNS0_4arch9wavefront6targetE0EEEvT1_.kd
    .uniform_work_group_size: 1
    .uses_dynamic_stack: false
    .vgpr_count:     0
    .vgpr_spill_count: 0
    .wavefront_size: 32
    .workgroup_processor_mode: 1
  - .args:
      - .offset:         0
        .size:           120
        .value_kind:     by_value
    .group_segment_fixed_size: 0
    .kernarg_segment_align: 8
    .kernarg_segment_size: 120
    .language:       OpenCL C
    .language_version:
      - 2
      - 0
    .max_flat_workgroup_size: 256
    .name:           _ZN7rocprim17ROCPRIM_400000_NS6detail17trampoline_kernelINS0_14default_configENS1_29reduce_by_key_config_selectorIjjN6thrust23THRUST_200600_302600_NS4plusIjEEEEZZNS1_33reduce_by_key_impl_wrapped_configILNS1_25lookback_scan_determinismE0ES3_S9_NS6_6detail15normal_iteratorINS6_10device_ptrIjEEEESG_SG_SG_PmS8_NS6_8equal_toIjEEEE10hipError_tPvRmT2_T3_mT4_T5_T6_T7_T8_P12ihipStream_tbENKUlT_T0_E_clISt17integral_constantIbLb1EES10_IbLb0EEEEDaSW_SX_EUlSW_E_NS1_11comp_targetILNS1_3genE4ELNS1_11target_archE910ELNS1_3gpuE8ELNS1_3repE0EEENS1_30default_config_static_selectorELNS0_4arch9wavefront6targetE0EEEvT1_
    .private_segment_fixed_size: 0
    .sgpr_count:     0
    .sgpr_spill_count: 0
    .symbol:         _ZN7rocprim17ROCPRIM_400000_NS6detail17trampoline_kernelINS0_14default_configENS1_29reduce_by_key_config_selectorIjjN6thrust23THRUST_200600_302600_NS4plusIjEEEEZZNS1_33reduce_by_key_impl_wrapped_configILNS1_25lookback_scan_determinismE0ES3_S9_NS6_6detail15normal_iteratorINS6_10device_ptrIjEEEESG_SG_SG_PmS8_NS6_8equal_toIjEEEE10hipError_tPvRmT2_T3_mT4_T5_T6_T7_T8_P12ihipStream_tbENKUlT_T0_E_clISt17integral_constantIbLb1EES10_IbLb0EEEEDaSW_SX_EUlSW_E_NS1_11comp_targetILNS1_3genE4ELNS1_11target_archE910ELNS1_3gpuE8ELNS1_3repE0EEENS1_30default_config_static_selectorELNS0_4arch9wavefront6targetE0EEEvT1_.kd
    .uniform_work_group_size: 1
    .uses_dynamic_stack: false
    .vgpr_count:     0
    .vgpr_spill_count: 0
    .wavefront_size: 32
    .workgroup_processor_mode: 1
  - .args:
      - .offset:         0
        .size:           120
        .value_kind:     by_value
    .group_segment_fixed_size: 0
    .kernarg_segment_align: 8
    .kernarg_segment_size: 120
    .language:       OpenCL C
    .language_version:
      - 2
      - 0
    .max_flat_workgroup_size: 256
    .name:           _ZN7rocprim17ROCPRIM_400000_NS6detail17trampoline_kernelINS0_14default_configENS1_29reduce_by_key_config_selectorIjjN6thrust23THRUST_200600_302600_NS4plusIjEEEEZZNS1_33reduce_by_key_impl_wrapped_configILNS1_25lookback_scan_determinismE0ES3_S9_NS6_6detail15normal_iteratorINS6_10device_ptrIjEEEESG_SG_SG_PmS8_NS6_8equal_toIjEEEE10hipError_tPvRmT2_T3_mT4_T5_T6_T7_T8_P12ihipStream_tbENKUlT_T0_E_clISt17integral_constantIbLb1EES10_IbLb0EEEEDaSW_SX_EUlSW_E_NS1_11comp_targetILNS1_3genE3ELNS1_11target_archE908ELNS1_3gpuE7ELNS1_3repE0EEENS1_30default_config_static_selectorELNS0_4arch9wavefront6targetE0EEEvT1_
    .private_segment_fixed_size: 0
    .sgpr_count:     0
    .sgpr_spill_count: 0
    .symbol:         _ZN7rocprim17ROCPRIM_400000_NS6detail17trampoline_kernelINS0_14default_configENS1_29reduce_by_key_config_selectorIjjN6thrust23THRUST_200600_302600_NS4plusIjEEEEZZNS1_33reduce_by_key_impl_wrapped_configILNS1_25lookback_scan_determinismE0ES3_S9_NS6_6detail15normal_iteratorINS6_10device_ptrIjEEEESG_SG_SG_PmS8_NS6_8equal_toIjEEEE10hipError_tPvRmT2_T3_mT4_T5_T6_T7_T8_P12ihipStream_tbENKUlT_T0_E_clISt17integral_constantIbLb1EES10_IbLb0EEEEDaSW_SX_EUlSW_E_NS1_11comp_targetILNS1_3genE3ELNS1_11target_archE908ELNS1_3gpuE7ELNS1_3repE0EEENS1_30default_config_static_selectorELNS0_4arch9wavefront6targetE0EEEvT1_.kd
    .uniform_work_group_size: 1
    .uses_dynamic_stack: false
    .vgpr_count:     0
    .vgpr_spill_count: 0
    .wavefront_size: 32
    .workgroup_processor_mode: 1
  - .args:
      - .offset:         0
        .size:           120
        .value_kind:     by_value
    .group_segment_fixed_size: 0
    .kernarg_segment_align: 8
    .kernarg_segment_size: 120
    .language:       OpenCL C
    .language_version:
      - 2
      - 0
    .max_flat_workgroup_size: 256
    .name:           _ZN7rocprim17ROCPRIM_400000_NS6detail17trampoline_kernelINS0_14default_configENS1_29reduce_by_key_config_selectorIjjN6thrust23THRUST_200600_302600_NS4plusIjEEEEZZNS1_33reduce_by_key_impl_wrapped_configILNS1_25lookback_scan_determinismE0ES3_S9_NS6_6detail15normal_iteratorINS6_10device_ptrIjEEEESG_SG_SG_PmS8_NS6_8equal_toIjEEEE10hipError_tPvRmT2_T3_mT4_T5_T6_T7_T8_P12ihipStream_tbENKUlT_T0_E_clISt17integral_constantIbLb1EES10_IbLb0EEEEDaSW_SX_EUlSW_E_NS1_11comp_targetILNS1_3genE2ELNS1_11target_archE906ELNS1_3gpuE6ELNS1_3repE0EEENS1_30default_config_static_selectorELNS0_4arch9wavefront6targetE0EEEvT1_
    .private_segment_fixed_size: 0
    .sgpr_count:     0
    .sgpr_spill_count: 0
    .symbol:         _ZN7rocprim17ROCPRIM_400000_NS6detail17trampoline_kernelINS0_14default_configENS1_29reduce_by_key_config_selectorIjjN6thrust23THRUST_200600_302600_NS4plusIjEEEEZZNS1_33reduce_by_key_impl_wrapped_configILNS1_25lookback_scan_determinismE0ES3_S9_NS6_6detail15normal_iteratorINS6_10device_ptrIjEEEESG_SG_SG_PmS8_NS6_8equal_toIjEEEE10hipError_tPvRmT2_T3_mT4_T5_T6_T7_T8_P12ihipStream_tbENKUlT_T0_E_clISt17integral_constantIbLb1EES10_IbLb0EEEEDaSW_SX_EUlSW_E_NS1_11comp_targetILNS1_3genE2ELNS1_11target_archE906ELNS1_3gpuE6ELNS1_3repE0EEENS1_30default_config_static_selectorELNS0_4arch9wavefront6targetE0EEEvT1_.kd
    .uniform_work_group_size: 1
    .uses_dynamic_stack: false
    .vgpr_count:     0
    .vgpr_spill_count: 0
    .wavefront_size: 32
    .workgroup_processor_mode: 1
  - .args:
      - .offset:         0
        .size:           120
        .value_kind:     by_value
    .group_segment_fixed_size: 0
    .kernarg_segment_align: 8
    .kernarg_segment_size: 120
    .language:       OpenCL C
    .language_version:
      - 2
      - 0
    .max_flat_workgroup_size: 256
    .name:           _ZN7rocprim17ROCPRIM_400000_NS6detail17trampoline_kernelINS0_14default_configENS1_29reduce_by_key_config_selectorIjjN6thrust23THRUST_200600_302600_NS4plusIjEEEEZZNS1_33reduce_by_key_impl_wrapped_configILNS1_25lookback_scan_determinismE0ES3_S9_NS6_6detail15normal_iteratorINS6_10device_ptrIjEEEESG_SG_SG_PmS8_NS6_8equal_toIjEEEE10hipError_tPvRmT2_T3_mT4_T5_T6_T7_T8_P12ihipStream_tbENKUlT_T0_E_clISt17integral_constantIbLb1EES10_IbLb0EEEEDaSW_SX_EUlSW_E_NS1_11comp_targetILNS1_3genE10ELNS1_11target_archE1201ELNS1_3gpuE5ELNS1_3repE0EEENS1_30default_config_static_selectorELNS0_4arch9wavefront6targetE0EEEvT1_
    .private_segment_fixed_size: 0
    .sgpr_count:     0
    .sgpr_spill_count: 0
    .symbol:         _ZN7rocprim17ROCPRIM_400000_NS6detail17trampoline_kernelINS0_14default_configENS1_29reduce_by_key_config_selectorIjjN6thrust23THRUST_200600_302600_NS4plusIjEEEEZZNS1_33reduce_by_key_impl_wrapped_configILNS1_25lookback_scan_determinismE0ES3_S9_NS6_6detail15normal_iteratorINS6_10device_ptrIjEEEESG_SG_SG_PmS8_NS6_8equal_toIjEEEE10hipError_tPvRmT2_T3_mT4_T5_T6_T7_T8_P12ihipStream_tbENKUlT_T0_E_clISt17integral_constantIbLb1EES10_IbLb0EEEEDaSW_SX_EUlSW_E_NS1_11comp_targetILNS1_3genE10ELNS1_11target_archE1201ELNS1_3gpuE5ELNS1_3repE0EEENS1_30default_config_static_selectorELNS0_4arch9wavefront6targetE0EEEvT1_.kd
    .uniform_work_group_size: 1
    .uses_dynamic_stack: false
    .vgpr_count:     0
    .vgpr_spill_count: 0
    .wavefront_size: 32
    .workgroup_processor_mode: 1
  - .args:
      - .offset:         0
        .size:           120
        .value_kind:     by_value
    .group_segment_fixed_size: 0
    .kernarg_segment_align: 8
    .kernarg_segment_size: 120
    .language:       OpenCL C
    .language_version:
      - 2
      - 0
    .max_flat_workgroup_size: 256
    .name:           _ZN7rocprim17ROCPRIM_400000_NS6detail17trampoline_kernelINS0_14default_configENS1_29reduce_by_key_config_selectorIjjN6thrust23THRUST_200600_302600_NS4plusIjEEEEZZNS1_33reduce_by_key_impl_wrapped_configILNS1_25lookback_scan_determinismE0ES3_S9_NS6_6detail15normal_iteratorINS6_10device_ptrIjEEEESG_SG_SG_PmS8_NS6_8equal_toIjEEEE10hipError_tPvRmT2_T3_mT4_T5_T6_T7_T8_P12ihipStream_tbENKUlT_T0_E_clISt17integral_constantIbLb1EES10_IbLb0EEEEDaSW_SX_EUlSW_E_NS1_11comp_targetILNS1_3genE10ELNS1_11target_archE1200ELNS1_3gpuE4ELNS1_3repE0EEENS1_30default_config_static_selectorELNS0_4arch9wavefront6targetE0EEEvT1_
    .private_segment_fixed_size: 0
    .sgpr_count:     0
    .sgpr_spill_count: 0
    .symbol:         _ZN7rocprim17ROCPRIM_400000_NS6detail17trampoline_kernelINS0_14default_configENS1_29reduce_by_key_config_selectorIjjN6thrust23THRUST_200600_302600_NS4plusIjEEEEZZNS1_33reduce_by_key_impl_wrapped_configILNS1_25lookback_scan_determinismE0ES3_S9_NS6_6detail15normal_iteratorINS6_10device_ptrIjEEEESG_SG_SG_PmS8_NS6_8equal_toIjEEEE10hipError_tPvRmT2_T3_mT4_T5_T6_T7_T8_P12ihipStream_tbENKUlT_T0_E_clISt17integral_constantIbLb1EES10_IbLb0EEEEDaSW_SX_EUlSW_E_NS1_11comp_targetILNS1_3genE10ELNS1_11target_archE1200ELNS1_3gpuE4ELNS1_3repE0EEENS1_30default_config_static_selectorELNS0_4arch9wavefront6targetE0EEEvT1_.kd
    .uniform_work_group_size: 1
    .uses_dynamic_stack: false
    .vgpr_count:     0
    .vgpr_spill_count: 0
    .wavefront_size: 32
    .workgroup_processor_mode: 1
  - .args:
      - .offset:         0
        .size:           120
        .value_kind:     by_value
    .group_segment_fixed_size: 15360
    .kernarg_segment_align: 8
    .kernarg_segment_size: 120
    .language:       OpenCL C
    .language_version:
      - 2
      - 0
    .max_flat_workgroup_size: 256
    .name:           _ZN7rocprim17ROCPRIM_400000_NS6detail17trampoline_kernelINS0_14default_configENS1_29reduce_by_key_config_selectorIjjN6thrust23THRUST_200600_302600_NS4plusIjEEEEZZNS1_33reduce_by_key_impl_wrapped_configILNS1_25lookback_scan_determinismE0ES3_S9_NS6_6detail15normal_iteratorINS6_10device_ptrIjEEEESG_SG_SG_PmS8_NS6_8equal_toIjEEEE10hipError_tPvRmT2_T3_mT4_T5_T6_T7_T8_P12ihipStream_tbENKUlT_T0_E_clISt17integral_constantIbLb1EES10_IbLb0EEEEDaSW_SX_EUlSW_E_NS1_11comp_targetILNS1_3genE9ELNS1_11target_archE1100ELNS1_3gpuE3ELNS1_3repE0EEENS1_30default_config_static_selectorELNS0_4arch9wavefront6targetE0EEEvT1_
    .private_segment_fixed_size: 0
    .sgpr_count:     50
    .sgpr_spill_count: 0
    .symbol:         _ZN7rocprim17ROCPRIM_400000_NS6detail17trampoline_kernelINS0_14default_configENS1_29reduce_by_key_config_selectorIjjN6thrust23THRUST_200600_302600_NS4plusIjEEEEZZNS1_33reduce_by_key_impl_wrapped_configILNS1_25lookback_scan_determinismE0ES3_S9_NS6_6detail15normal_iteratorINS6_10device_ptrIjEEEESG_SG_SG_PmS8_NS6_8equal_toIjEEEE10hipError_tPvRmT2_T3_mT4_T5_T6_T7_T8_P12ihipStream_tbENKUlT_T0_E_clISt17integral_constantIbLb1EES10_IbLb0EEEEDaSW_SX_EUlSW_E_NS1_11comp_targetILNS1_3genE9ELNS1_11target_archE1100ELNS1_3gpuE3ELNS1_3repE0EEENS1_30default_config_static_selectorELNS0_4arch9wavefront6targetE0EEEvT1_.kd
    .uniform_work_group_size: 1
    .uses_dynamic_stack: false
    .vgpr_count:     87
    .vgpr_spill_count: 0
    .wavefront_size: 32
    .workgroup_processor_mode: 1
  - .args:
      - .offset:         0
        .size:           120
        .value_kind:     by_value
    .group_segment_fixed_size: 0
    .kernarg_segment_align: 8
    .kernarg_segment_size: 120
    .language:       OpenCL C
    .language_version:
      - 2
      - 0
    .max_flat_workgroup_size: 256
    .name:           _ZN7rocprim17ROCPRIM_400000_NS6detail17trampoline_kernelINS0_14default_configENS1_29reduce_by_key_config_selectorIjjN6thrust23THRUST_200600_302600_NS4plusIjEEEEZZNS1_33reduce_by_key_impl_wrapped_configILNS1_25lookback_scan_determinismE0ES3_S9_NS6_6detail15normal_iteratorINS6_10device_ptrIjEEEESG_SG_SG_PmS8_NS6_8equal_toIjEEEE10hipError_tPvRmT2_T3_mT4_T5_T6_T7_T8_P12ihipStream_tbENKUlT_T0_E_clISt17integral_constantIbLb1EES10_IbLb0EEEEDaSW_SX_EUlSW_E_NS1_11comp_targetILNS1_3genE8ELNS1_11target_archE1030ELNS1_3gpuE2ELNS1_3repE0EEENS1_30default_config_static_selectorELNS0_4arch9wavefront6targetE0EEEvT1_
    .private_segment_fixed_size: 0
    .sgpr_count:     0
    .sgpr_spill_count: 0
    .symbol:         _ZN7rocprim17ROCPRIM_400000_NS6detail17trampoline_kernelINS0_14default_configENS1_29reduce_by_key_config_selectorIjjN6thrust23THRUST_200600_302600_NS4plusIjEEEEZZNS1_33reduce_by_key_impl_wrapped_configILNS1_25lookback_scan_determinismE0ES3_S9_NS6_6detail15normal_iteratorINS6_10device_ptrIjEEEESG_SG_SG_PmS8_NS6_8equal_toIjEEEE10hipError_tPvRmT2_T3_mT4_T5_T6_T7_T8_P12ihipStream_tbENKUlT_T0_E_clISt17integral_constantIbLb1EES10_IbLb0EEEEDaSW_SX_EUlSW_E_NS1_11comp_targetILNS1_3genE8ELNS1_11target_archE1030ELNS1_3gpuE2ELNS1_3repE0EEENS1_30default_config_static_selectorELNS0_4arch9wavefront6targetE0EEEvT1_.kd
    .uniform_work_group_size: 1
    .uses_dynamic_stack: false
    .vgpr_count:     0
    .vgpr_spill_count: 0
    .wavefront_size: 32
    .workgroup_processor_mode: 1
  - .args:
      - .address_space:  global
        .offset:         0
        .size:           8
        .value_kind:     global_buffer
      - .offset:         8
        .size:           4
        .value_kind:     by_value
      - .offset:         12
        .size:           1
        .value_kind:     by_value
      - .offset:         16
        .size:           4
        .value_kind:     by_value
      - .address_space:  global
        .offset:         24
        .size:           8
        .value_kind:     global_buffer
      - .address_space:  global
        .offset:         32
        .size:           8
        .value_kind:     global_buffer
      - .address_space:  global
        .offset:         40
        .size:           8
        .value_kind:     global_buffer
      - .offset:         48
        .size:           4
        .value_kind:     hidden_block_count_x
      - .offset:         52
        .size:           4
        .value_kind:     hidden_block_count_y
      - .offset:         56
        .size:           4
        .value_kind:     hidden_block_count_z
      - .offset:         60
        .size:           2
        .value_kind:     hidden_group_size_x
      - .offset:         62
        .size:           2
        .value_kind:     hidden_group_size_y
      - .offset:         64
        .size:           2
        .value_kind:     hidden_group_size_z
      - .offset:         66
        .size:           2
        .value_kind:     hidden_remainder_x
      - .offset:         68
        .size:           2
        .value_kind:     hidden_remainder_y
      - .offset:         70
        .size:           2
        .value_kind:     hidden_remainder_z
      - .offset:         88
        .size:           8
        .value_kind:     hidden_global_offset_x
      - .offset:         96
        .size:           8
        .value_kind:     hidden_global_offset_y
      - .offset:         104
        .size:           8
        .value_kind:     hidden_global_offset_z
      - .offset:         112
        .size:           2
        .value_kind:     hidden_grid_dims
    .group_segment_fixed_size: 0
    .kernarg_segment_align: 8
    .kernarg_segment_size: 304
    .language:       OpenCL C
    .language_version:
      - 2
      - 0
    .max_flat_workgroup_size: 256
    .name:           _ZN7rocprim17ROCPRIM_400000_NS6detail25reduce_by_key_init_kernelINS1_19lookback_scan_stateINS0_5tupleIJjjEEELb0ELb1EEEjNS1_16block_id_wrapperIjLb1EEEEEvT_jbjPmPT0_T1_
    .private_segment_fixed_size: 0
    .sgpr_count:     18
    .sgpr_spill_count: 0
    .symbol:         _ZN7rocprim17ROCPRIM_400000_NS6detail25reduce_by_key_init_kernelINS1_19lookback_scan_stateINS0_5tupleIJjjEEELb0ELb1EEEjNS1_16block_id_wrapperIjLb1EEEEEvT_jbjPmPT0_T1_.kd
    .uniform_work_group_size: 1
    .uses_dynamic_stack: false
    .vgpr_count:     9
    .vgpr_spill_count: 0
    .wavefront_size: 32
    .workgroup_processor_mode: 1
  - .args:
      - .offset:         0
        .size:           120
        .value_kind:     by_value
    .group_segment_fixed_size: 0
    .kernarg_segment_align: 8
    .kernarg_segment_size: 120
    .language:       OpenCL C
    .language_version:
      - 2
      - 0
    .max_flat_workgroup_size: 256
    .name:           _ZN7rocprim17ROCPRIM_400000_NS6detail17trampoline_kernelINS0_14default_configENS1_29reduce_by_key_config_selectorIjjN6thrust23THRUST_200600_302600_NS4plusIjEEEEZZNS1_33reduce_by_key_impl_wrapped_configILNS1_25lookback_scan_determinismE0ES3_S9_NS6_6detail15normal_iteratorINS6_10device_ptrIjEEEESG_SG_SG_PmS8_NS6_8equal_toIjEEEE10hipError_tPvRmT2_T3_mT4_T5_T6_T7_T8_P12ihipStream_tbENKUlT_T0_E_clISt17integral_constantIbLb0EES10_IbLb1EEEEDaSW_SX_EUlSW_E_NS1_11comp_targetILNS1_3genE0ELNS1_11target_archE4294967295ELNS1_3gpuE0ELNS1_3repE0EEENS1_30default_config_static_selectorELNS0_4arch9wavefront6targetE0EEEvT1_
    .private_segment_fixed_size: 0
    .sgpr_count:     0
    .sgpr_spill_count: 0
    .symbol:         _ZN7rocprim17ROCPRIM_400000_NS6detail17trampoline_kernelINS0_14default_configENS1_29reduce_by_key_config_selectorIjjN6thrust23THRUST_200600_302600_NS4plusIjEEEEZZNS1_33reduce_by_key_impl_wrapped_configILNS1_25lookback_scan_determinismE0ES3_S9_NS6_6detail15normal_iteratorINS6_10device_ptrIjEEEESG_SG_SG_PmS8_NS6_8equal_toIjEEEE10hipError_tPvRmT2_T3_mT4_T5_T6_T7_T8_P12ihipStream_tbENKUlT_T0_E_clISt17integral_constantIbLb0EES10_IbLb1EEEEDaSW_SX_EUlSW_E_NS1_11comp_targetILNS1_3genE0ELNS1_11target_archE4294967295ELNS1_3gpuE0ELNS1_3repE0EEENS1_30default_config_static_selectorELNS0_4arch9wavefront6targetE0EEEvT1_.kd
    .uniform_work_group_size: 1
    .uses_dynamic_stack: false
    .vgpr_count:     0
    .vgpr_spill_count: 0
    .wavefront_size: 32
    .workgroup_processor_mode: 1
  - .args:
      - .offset:         0
        .size:           120
        .value_kind:     by_value
    .group_segment_fixed_size: 0
    .kernarg_segment_align: 8
    .kernarg_segment_size: 120
    .language:       OpenCL C
    .language_version:
      - 2
      - 0
    .max_flat_workgroup_size: 256
    .name:           _ZN7rocprim17ROCPRIM_400000_NS6detail17trampoline_kernelINS0_14default_configENS1_29reduce_by_key_config_selectorIjjN6thrust23THRUST_200600_302600_NS4plusIjEEEEZZNS1_33reduce_by_key_impl_wrapped_configILNS1_25lookback_scan_determinismE0ES3_S9_NS6_6detail15normal_iteratorINS6_10device_ptrIjEEEESG_SG_SG_PmS8_NS6_8equal_toIjEEEE10hipError_tPvRmT2_T3_mT4_T5_T6_T7_T8_P12ihipStream_tbENKUlT_T0_E_clISt17integral_constantIbLb0EES10_IbLb1EEEEDaSW_SX_EUlSW_E_NS1_11comp_targetILNS1_3genE5ELNS1_11target_archE942ELNS1_3gpuE9ELNS1_3repE0EEENS1_30default_config_static_selectorELNS0_4arch9wavefront6targetE0EEEvT1_
    .private_segment_fixed_size: 0
    .sgpr_count:     0
    .sgpr_spill_count: 0
    .symbol:         _ZN7rocprim17ROCPRIM_400000_NS6detail17trampoline_kernelINS0_14default_configENS1_29reduce_by_key_config_selectorIjjN6thrust23THRUST_200600_302600_NS4plusIjEEEEZZNS1_33reduce_by_key_impl_wrapped_configILNS1_25lookback_scan_determinismE0ES3_S9_NS6_6detail15normal_iteratorINS6_10device_ptrIjEEEESG_SG_SG_PmS8_NS6_8equal_toIjEEEE10hipError_tPvRmT2_T3_mT4_T5_T6_T7_T8_P12ihipStream_tbENKUlT_T0_E_clISt17integral_constantIbLb0EES10_IbLb1EEEEDaSW_SX_EUlSW_E_NS1_11comp_targetILNS1_3genE5ELNS1_11target_archE942ELNS1_3gpuE9ELNS1_3repE0EEENS1_30default_config_static_selectorELNS0_4arch9wavefront6targetE0EEEvT1_.kd
    .uniform_work_group_size: 1
    .uses_dynamic_stack: false
    .vgpr_count:     0
    .vgpr_spill_count: 0
    .wavefront_size: 32
    .workgroup_processor_mode: 1
  - .args:
      - .offset:         0
        .size:           120
        .value_kind:     by_value
    .group_segment_fixed_size: 0
    .kernarg_segment_align: 8
    .kernarg_segment_size: 120
    .language:       OpenCL C
    .language_version:
      - 2
      - 0
    .max_flat_workgroup_size: 256
    .name:           _ZN7rocprim17ROCPRIM_400000_NS6detail17trampoline_kernelINS0_14default_configENS1_29reduce_by_key_config_selectorIjjN6thrust23THRUST_200600_302600_NS4plusIjEEEEZZNS1_33reduce_by_key_impl_wrapped_configILNS1_25lookback_scan_determinismE0ES3_S9_NS6_6detail15normal_iteratorINS6_10device_ptrIjEEEESG_SG_SG_PmS8_NS6_8equal_toIjEEEE10hipError_tPvRmT2_T3_mT4_T5_T6_T7_T8_P12ihipStream_tbENKUlT_T0_E_clISt17integral_constantIbLb0EES10_IbLb1EEEEDaSW_SX_EUlSW_E_NS1_11comp_targetILNS1_3genE4ELNS1_11target_archE910ELNS1_3gpuE8ELNS1_3repE0EEENS1_30default_config_static_selectorELNS0_4arch9wavefront6targetE0EEEvT1_
    .private_segment_fixed_size: 0
    .sgpr_count:     0
    .sgpr_spill_count: 0
    .symbol:         _ZN7rocprim17ROCPRIM_400000_NS6detail17trampoline_kernelINS0_14default_configENS1_29reduce_by_key_config_selectorIjjN6thrust23THRUST_200600_302600_NS4plusIjEEEEZZNS1_33reduce_by_key_impl_wrapped_configILNS1_25lookback_scan_determinismE0ES3_S9_NS6_6detail15normal_iteratorINS6_10device_ptrIjEEEESG_SG_SG_PmS8_NS6_8equal_toIjEEEE10hipError_tPvRmT2_T3_mT4_T5_T6_T7_T8_P12ihipStream_tbENKUlT_T0_E_clISt17integral_constantIbLb0EES10_IbLb1EEEEDaSW_SX_EUlSW_E_NS1_11comp_targetILNS1_3genE4ELNS1_11target_archE910ELNS1_3gpuE8ELNS1_3repE0EEENS1_30default_config_static_selectorELNS0_4arch9wavefront6targetE0EEEvT1_.kd
    .uniform_work_group_size: 1
    .uses_dynamic_stack: false
    .vgpr_count:     0
    .vgpr_spill_count: 0
    .wavefront_size: 32
    .workgroup_processor_mode: 1
  - .args:
      - .offset:         0
        .size:           120
        .value_kind:     by_value
    .group_segment_fixed_size: 0
    .kernarg_segment_align: 8
    .kernarg_segment_size: 120
    .language:       OpenCL C
    .language_version:
      - 2
      - 0
    .max_flat_workgroup_size: 256
    .name:           _ZN7rocprim17ROCPRIM_400000_NS6detail17trampoline_kernelINS0_14default_configENS1_29reduce_by_key_config_selectorIjjN6thrust23THRUST_200600_302600_NS4plusIjEEEEZZNS1_33reduce_by_key_impl_wrapped_configILNS1_25lookback_scan_determinismE0ES3_S9_NS6_6detail15normal_iteratorINS6_10device_ptrIjEEEESG_SG_SG_PmS8_NS6_8equal_toIjEEEE10hipError_tPvRmT2_T3_mT4_T5_T6_T7_T8_P12ihipStream_tbENKUlT_T0_E_clISt17integral_constantIbLb0EES10_IbLb1EEEEDaSW_SX_EUlSW_E_NS1_11comp_targetILNS1_3genE3ELNS1_11target_archE908ELNS1_3gpuE7ELNS1_3repE0EEENS1_30default_config_static_selectorELNS0_4arch9wavefront6targetE0EEEvT1_
    .private_segment_fixed_size: 0
    .sgpr_count:     0
    .sgpr_spill_count: 0
    .symbol:         _ZN7rocprim17ROCPRIM_400000_NS6detail17trampoline_kernelINS0_14default_configENS1_29reduce_by_key_config_selectorIjjN6thrust23THRUST_200600_302600_NS4plusIjEEEEZZNS1_33reduce_by_key_impl_wrapped_configILNS1_25lookback_scan_determinismE0ES3_S9_NS6_6detail15normal_iteratorINS6_10device_ptrIjEEEESG_SG_SG_PmS8_NS6_8equal_toIjEEEE10hipError_tPvRmT2_T3_mT4_T5_T6_T7_T8_P12ihipStream_tbENKUlT_T0_E_clISt17integral_constantIbLb0EES10_IbLb1EEEEDaSW_SX_EUlSW_E_NS1_11comp_targetILNS1_3genE3ELNS1_11target_archE908ELNS1_3gpuE7ELNS1_3repE0EEENS1_30default_config_static_selectorELNS0_4arch9wavefront6targetE0EEEvT1_.kd
    .uniform_work_group_size: 1
    .uses_dynamic_stack: false
    .vgpr_count:     0
    .vgpr_spill_count: 0
    .wavefront_size: 32
    .workgroup_processor_mode: 1
  - .args:
      - .offset:         0
        .size:           120
        .value_kind:     by_value
    .group_segment_fixed_size: 0
    .kernarg_segment_align: 8
    .kernarg_segment_size: 120
    .language:       OpenCL C
    .language_version:
      - 2
      - 0
    .max_flat_workgroup_size: 256
    .name:           _ZN7rocprim17ROCPRIM_400000_NS6detail17trampoline_kernelINS0_14default_configENS1_29reduce_by_key_config_selectorIjjN6thrust23THRUST_200600_302600_NS4plusIjEEEEZZNS1_33reduce_by_key_impl_wrapped_configILNS1_25lookback_scan_determinismE0ES3_S9_NS6_6detail15normal_iteratorINS6_10device_ptrIjEEEESG_SG_SG_PmS8_NS6_8equal_toIjEEEE10hipError_tPvRmT2_T3_mT4_T5_T6_T7_T8_P12ihipStream_tbENKUlT_T0_E_clISt17integral_constantIbLb0EES10_IbLb1EEEEDaSW_SX_EUlSW_E_NS1_11comp_targetILNS1_3genE2ELNS1_11target_archE906ELNS1_3gpuE6ELNS1_3repE0EEENS1_30default_config_static_selectorELNS0_4arch9wavefront6targetE0EEEvT1_
    .private_segment_fixed_size: 0
    .sgpr_count:     0
    .sgpr_spill_count: 0
    .symbol:         _ZN7rocprim17ROCPRIM_400000_NS6detail17trampoline_kernelINS0_14default_configENS1_29reduce_by_key_config_selectorIjjN6thrust23THRUST_200600_302600_NS4plusIjEEEEZZNS1_33reduce_by_key_impl_wrapped_configILNS1_25lookback_scan_determinismE0ES3_S9_NS6_6detail15normal_iteratorINS6_10device_ptrIjEEEESG_SG_SG_PmS8_NS6_8equal_toIjEEEE10hipError_tPvRmT2_T3_mT4_T5_T6_T7_T8_P12ihipStream_tbENKUlT_T0_E_clISt17integral_constantIbLb0EES10_IbLb1EEEEDaSW_SX_EUlSW_E_NS1_11comp_targetILNS1_3genE2ELNS1_11target_archE906ELNS1_3gpuE6ELNS1_3repE0EEENS1_30default_config_static_selectorELNS0_4arch9wavefront6targetE0EEEvT1_.kd
    .uniform_work_group_size: 1
    .uses_dynamic_stack: false
    .vgpr_count:     0
    .vgpr_spill_count: 0
    .wavefront_size: 32
    .workgroup_processor_mode: 1
  - .args:
      - .offset:         0
        .size:           120
        .value_kind:     by_value
    .group_segment_fixed_size: 0
    .kernarg_segment_align: 8
    .kernarg_segment_size: 120
    .language:       OpenCL C
    .language_version:
      - 2
      - 0
    .max_flat_workgroup_size: 256
    .name:           _ZN7rocprim17ROCPRIM_400000_NS6detail17trampoline_kernelINS0_14default_configENS1_29reduce_by_key_config_selectorIjjN6thrust23THRUST_200600_302600_NS4plusIjEEEEZZNS1_33reduce_by_key_impl_wrapped_configILNS1_25lookback_scan_determinismE0ES3_S9_NS6_6detail15normal_iteratorINS6_10device_ptrIjEEEESG_SG_SG_PmS8_NS6_8equal_toIjEEEE10hipError_tPvRmT2_T3_mT4_T5_T6_T7_T8_P12ihipStream_tbENKUlT_T0_E_clISt17integral_constantIbLb0EES10_IbLb1EEEEDaSW_SX_EUlSW_E_NS1_11comp_targetILNS1_3genE10ELNS1_11target_archE1201ELNS1_3gpuE5ELNS1_3repE0EEENS1_30default_config_static_selectorELNS0_4arch9wavefront6targetE0EEEvT1_
    .private_segment_fixed_size: 0
    .sgpr_count:     0
    .sgpr_spill_count: 0
    .symbol:         _ZN7rocprim17ROCPRIM_400000_NS6detail17trampoline_kernelINS0_14default_configENS1_29reduce_by_key_config_selectorIjjN6thrust23THRUST_200600_302600_NS4plusIjEEEEZZNS1_33reduce_by_key_impl_wrapped_configILNS1_25lookback_scan_determinismE0ES3_S9_NS6_6detail15normal_iteratorINS6_10device_ptrIjEEEESG_SG_SG_PmS8_NS6_8equal_toIjEEEE10hipError_tPvRmT2_T3_mT4_T5_T6_T7_T8_P12ihipStream_tbENKUlT_T0_E_clISt17integral_constantIbLb0EES10_IbLb1EEEEDaSW_SX_EUlSW_E_NS1_11comp_targetILNS1_3genE10ELNS1_11target_archE1201ELNS1_3gpuE5ELNS1_3repE0EEENS1_30default_config_static_selectorELNS0_4arch9wavefront6targetE0EEEvT1_.kd
    .uniform_work_group_size: 1
    .uses_dynamic_stack: false
    .vgpr_count:     0
    .vgpr_spill_count: 0
    .wavefront_size: 32
    .workgroup_processor_mode: 1
  - .args:
      - .offset:         0
        .size:           120
        .value_kind:     by_value
    .group_segment_fixed_size: 0
    .kernarg_segment_align: 8
    .kernarg_segment_size: 120
    .language:       OpenCL C
    .language_version:
      - 2
      - 0
    .max_flat_workgroup_size: 256
    .name:           _ZN7rocprim17ROCPRIM_400000_NS6detail17trampoline_kernelINS0_14default_configENS1_29reduce_by_key_config_selectorIjjN6thrust23THRUST_200600_302600_NS4plusIjEEEEZZNS1_33reduce_by_key_impl_wrapped_configILNS1_25lookback_scan_determinismE0ES3_S9_NS6_6detail15normal_iteratorINS6_10device_ptrIjEEEESG_SG_SG_PmS8_NS6_8equal_toIjEEEE10hipError_tPvRmT2_T3_mT4_T5_T6_T7_T8_P12ihipStream_tbENKUlT_T0_E_clISt17integral_constantIbLb0EES10_IbLb1EEEEDaSW_SX_EUlSW_E_NS1_11comp_targetILNS1_3genE10ELNS1_11target_archE1200ELNS1_3gpuE4ELNS1_3repE0EEENS1_30default_config_static_selectorELNS0_4arch9wavefront6targetE0EEEvT1_
    .private_segment_fixed_size: 0
    .sgpr_count:     0
    .sgpr_spill_count: 0
    .symbol:         _ZN7rocprim17ROCPRIM_400000_NS6detail17trampoline_kernelINS0_14default_configENS1_29reduce_by_key_config_selectorIjjN6thrust23THRUST_200600_302600_NS4plusIjEEEEZZNS1_33reduce_by_key_impl_wrapped_configILNS1_25lookback_scan_determinismE0ES3_S9_NS6_6detail15normal_iteratorINS6_10device_ptrIjEEEESG_SG_SG_PmS8_NS6_8equal_toIjEEEE10hipError_tPvRmT2_T3_mT4_T5_T6_T7_T8_P12ihipStream_tbENKUlT_T0_E_clISt17integral_constantIbLb0EES10_IbLb1EEEEDaSW_SX_EUlSW_E_NS1_11comp_targetILNS1_3genE10ELNS1_11target_archE1200ELNS1_3gpuE4ELNS1_3repE0EEENS1_30default_config_static_selectorELNS0_4arch9wavefront6targetE0EEEvT1_.kd
    .uniform_work_group_size: 1
    .uses_dynamic_stack: false
    .vgpr_count:     0
    .vgpr_spill_count: 0
    .wavefront_size: 32
    .workgroup_processor_mode: 1
  - .args:
      - .offset:         0
        .size:           120
        .value_kind:     by_value
    .group_segment_fixed_size: 15360
    .kernarg_segment_align: 8
    .kernarg_segment_size: 120
    .language:       OpenCL C
    .language_version:
      - 2
      - 0
    .max_flat_workgroup_size: 256
    .name:           _ZN7rocprim17ROCPRIM_400000_NS6detail17trampoline_kernelINS0_14default_configENS1_29reduce_by_key_config_selectorIjjN6thrust23THRUST_200600_302600_NS4plusIjEEEEZZNS1_33reduce_by_key_impl_wrapped_configILNS1_25lookback_scan_determinismE0ES3_S9_NS6_6detail15normal_iteratorINS6_10device_ptrIjEEEESG_SG_SG_PmS8_NS6_8equal_toIjEEEE10hipError_tPvRmT2_T3_mT4_T5_T6_T7_T8_P12ihipStream_tbENKUlT_T0_E_clISt17integral_constantIbLb0EES10_IbLb1EEEEDaSW_SX_EUlSW_E_NS1_11comp_targetILNS1_3genE9ELNS1_11target_archE1100ELNS1_3gpuE3ELNS1_3repE0EEENS1_30default_config_static_selectorELNS0_4arch9wavefront6targetE0EEEvT1_
    .private_segment_fixed_size: 0
    .sgpr_count:     46
    .sgpr_spill_count: 0
    .symbol:         _ZN7rocprim17ROCPRIM_400000_NS6detail17trampoline_kernelINS0_14default_configENS1_29reduce_by_key_config_selectorIjjN6thrust23THRUST_200600_302600_NS4plusIjEEEEZZNS1_33reduce_by_key_impl_wrapped_configILNS1_25lookback_scan_determinismE0ES3_S9_NS6_6detail15normal_iteratorINS6_10device_ptrIjEEEESG_SG_SG_PmS8_NS6_8equal_toIjEEEE10hipError_tPvRmT2_T3_mT4_T5_T6_T7_T8_P12ihipStream_tbENKUlT_T0_E_clISt17integral_constantIbLb0EES10_IbLb1EEEEDaSW_SX_EUlSW_E_NS1_11comp_targetILNS1_3genE9ELNS1_11target_archE1100ELNS1_3gpuE3ELNS1_3repE0EEENS1_30default_config_static_selectorELNS0_4arch9wavefront6targetE0EEEvT1_.kd
    .uniform_work_group_size: 1
    .uses_dynamic_stack: false
    .vgpr_count:     86
    .vgpr_spill_count: 0
    .wavefront_size: 32
    .workgroup_processor_mode: 1
  - .args:
      - .offset:         0
        .size:           120
        .value_kind:     by_value
    .group_segment_fixed_size: 0
    .kernarg_segment_align: 8
    .kernarg_segment_size: 120
    .language:       OpenCL C
    .language_version:
      - 2
      - 0
    .max_flat_workgroup_size: 256
    .name:           _ZN7rocprim17ROCPRIM_400000_NS6detail17trampoline_kernelINS0_14default_configENS1_29reduce_by_key_config_selectorIjjN6thrust23THRUST_200600_302600_NS4plusIjEEEEZZNS1_33reduce_by_key_impl_wrapped_configILNS1_25lookback_scan_determinismE0ES3_S9_NS6_6detail15normal_iteratorINS6_10device_ptrIjEEEESG_SG_SG_PmS8_NS6_8equal_toIjEEEE10hipError_tPvRmT2_T3_mT4_T5_T6_T7_T8_P12ihipStream_tbENKUlT_T0_E_clISt17integral_constantIbLb0EES10_IbLb1EEEEDaSW_SX_EUlSW_E_NS1_11comp_targetILNS1_3genE8ELNS1_11target_archE1030ELNS1_3gpuE2ELNS1_3repE0EEENS1_30default_config_static_selectorELNS0_4arch9wavefront6targetE0EEEvT1_
    .private_segment_fixed_size: 0
    .sgpr_count:     0
    .sgpr_spill_count: 0
    .symbol:         _ZN7rocprim17ROCPRIM_400000_NS6detail17trampoline_kernelINS0_14default_configENS1_29reduce_by_key_config_selectorIjjN6thrust23THRUST_200600_302600_NS4plusIjEEEEZZNS1_33reduce_by_key_impl_wrapped_configILNS1_25lookback_scan_determinismE0ES3_S9_NS6_6detail15normal_iteratorINS6_10device_ptrIjEEEESG_SG_SG_PmS8_NS6_8equal_toIjEEEE10hipError_tPvRmT2_T3_mT4_T5_T6_T7_T8_P12ihipStream_tbENKUlT_T0_E_clISt17integral_constantIbLb0EES10_IbLb1EEEEDaSW_SX_EUlSW_E_NS1_11comp_targetILNS1_3genE8ELNS1_11target_archE1030ELNS1_3gpuE2ELNS1_3repE0EEENS1_30default_config_static_selectorELNS0_4arch9wavefront6targetE0EEEvT1_.kd
    .uniform_work_group_size: 1
    .uses_dynamic_stack: false
    .vgpr_count:     0
    .vgpr_spill_count: 0
    .wavefront_size: 32
    .workgroup_processor_mode: 1
  - .args:
      - .offset:         0
        .size:           120
        .value_kind:     by_value
    .group_segment_fixed_size: 0
    .kernarg_segment_align: 8
    .kernarg_segment_size: 120
    .language:       OpenCL C
    .language_version:
      - 2
      - 0
    .max_flat_workgroup_size: 256
    .name:           _ZN7rocprim17ROCPRIM_400000_NS6detail17trampoline_kernelINS0_14default_configENS1_29reduce_by_key_config_selectorIjjN6thrust23THRUST_200600_302600_NS4plusIjEEEEZZNS1_33reduce_by_key_impl_wrapped_configILNS1_25lookback_scan_determinismE0ES3_S9_NS6_6detail15normal_iteratorINS6_10device_ptrIjEEEESG_SG_SG_PmS8_22is_equal_div_10_reduceIjEEE10hipError_tPvRmT2_T3_mT4_T5_T6_T7_T8_P12ihipStream_tbENKUlT_T0_E_clISt17integral_constantIbLb0EES11_EEDaSW_SX_EUlSW_E_NS1_11comp_targetILNS1_3genE0ELNS1_11target_archE4294967295ELNS1_3gpuE0ELNS1_3repE0EEENS1_30default_config_static_selectorELNS0_4arch9wavefront6targetE0EEEvT1_
    .private_segment_fixed_size: 0
    .sgpr_count:     0
    .sgpr_spill_count: 0
    .symbol:         _ZN7rocprim17ROCPRIM_400000_NS6detail17trampoline_kernelINS0_14default_configENS1_29reduce_by_key_config_selectorIjjN6thrust23THRUST_200600_302600_NS4plusIjEEEEZZNS1_33reduce_by_key_impl_wrapped_configILNS1_25lookback_scan_determinismE0ES3_S9_NS6_6detail15normal_iteratorINS6_10device_ptrIjEEEESG_SG_SG_PmS8_22is_equal_div_10_reduceIjEEE10hipError_tPvRmT2_T3_mT4_T5_T6_T7_T8_P12ihipStream_tbENKUlT_T0_E_clISt17integral_constantIbLb0EES11_EEDaSW_SX_EUlSW_E_NS1_11comp_targetILNS1_3genE0ELNS1_11target_archE4294967295ELNS1_3gpuE0ELNS1_3repE0EEENS1_30default_config_static_selectorELNS0_4arch9wavefront6targetE0EEEvT1_.kd
    .uniform_work_group_size: 1
    .uses_dynamic_stack: false
    .vgpr_count:     0
    .vgpr_spill_count: 0
    .wavefront_size: 32
    .workgroup_processor_mode: 1
  - .args:
      - .offset:         0
        .size:           120
        .value_kind:     by_value
    .group_segment_fixed_size: 0
    .kernarg_segment_align: 8
    .kernarg_segment_size: 120
    .language:       OpenCL C
    .language_version:
      - 2
      - 0
    .max_flat_workgroup_size: 256
    .name:           _ZN7rocprim17ROCPRIM_400000_NS6detail17trampoline_kernelINS0_14default_configENS1_29reduce_by_key_config_selectorIjjN6thrust23THRUST_200600_302600_NS4plusIjEEEEZZNS1_33reduce_by_key_impl_wrapped_configILNS1_25lookback_scan_determinismE0ES3_S9_NS6_6detail15normal_iteratorINS6_10device_ptrIjEEEESG_SG_SG_PmS8_22is_equal_div_10_reduceIjEEE10hipError_tPvRmT2_T3_mT4_T5_T6_T7_T8_P12ihipStream_tbENKUlT_T0_E_clISt17integral_constantIbLb0EES11_EEDaSW_SX_EUlSW_E_NS1_11comp_targetILNS1_3genE5ELNS1_11target_archE942ELNS1_3gpuE9ELNS1_3repE0EEENS1_30default_config_static_selectorELNS0_4arch9wavefront6targetE0EEEvT1_
    .private_segment_fixed_size: 0
    .sgpr_count:     0
    .sgpr_spill_count: 0
    .symbol:         _ZN7rocprim17ROCPRIM_400000_NS6detail17trampoline_kernelINS0_14default_configENS1_29reduce_by_key_config_selectorIjjN6thrust23THRUST_200600_302600_NS4plusIjEEEEZZNS1_33reduce_by_key_impl_wrapped_configILNS1_25lookback_scan_determinismE0ES3_S9_NS6_6detail15normal_iteratorINS6_10device_ptrIjEEEESG_SG_SG_PmS8_22is_equal_div_10_reduceIjEEE10hipError_tPvRmT2_T3_mT4_T5_T6_T7_T8_P12ihipStream_tbENKUlT_T0_E_clISt17integral_constantIbLb0EES11_EEDaSW_SX_EUlSW_E_NS1_11comp_targetILNS1_3genE5ELNS1_11target_archE942ELNS1_3gpuE9ELNS1_3repE0EEENS1_30default_config_static_selectorELNS0_4arch9wavefront6targetE0EEEvT1_.kd
    .uniform_work_group_size: 1
    .uses_dynamic_stack: false
    .vgpr_count:     0
    .vgpr_spill_count: 0
    .wavefront_size: 32
    .workgroup_processor_mode: 1
  - .args:
      - .offset:         0
        .size:           120
        .value_kind:     by_value
    .group_segment_fixed_size: 0
    .kernarg_segment_align: 8
    .kernarg_segment_size: 120
    .language:       OpenCL C
    .language_version:
      - 2
      - 0
    .max_flat_workgroup_size: 256
    .name:           _ZN7rocprim17ROCPRIM_400000_NS6detail17trampoline_kernelINS0_14default_configENS1_29reduce_by_key_config_selectorIjjN6thrust23THRUST_200600_302600_NS4plusIjEEEEZZNS1_33reduce_by_key_impl_wrapped_configILNS1_25lookback_scan_determinismE0ES3_S9_NS6_6detail15normal_iteratorINS6_10device_ptrIjEEEESG_SG_SG_PmS8_22is_equal_div_10_reduceIjEEE10hipError_tPvRmT2_T3_mT4_T5_T6_T7_T8_P12ihipStream_tbENKUlT_T0_E_clISt17integral_constantIbLb0EES11_EEDaSW_SX_EUlSW_E_NS1_11comp_targetILNS1_3genE4ELNS1_11target_archE910ELNS1_3gpuE8ELNS1_3repE0EEENS1_30default_config_static_selectorELNS0_4arch9wavefront6targetE0EEEvT1_
    .private_segment_fixed_size: 0
    .sgpr_count:     0
    .sgpr_spill_count: 0
    .symbol:         _ZN7rocprim17ROCPRIM_400000_NS6detail17trampoline_kernelINS0_14default_configENS1_29reduce_by_key_config_selectorIjjN6thrust23THRUST_200600_302600_NS4plusIjEEEEZZNS1_33reduce_by_key_impl_wrapped_configILNS1_25lookback_scan_determinismE0ES3_S9_NS6_6detail15normal_iteratorINS6_10device_ptrIjEEEESG_SG_SG_PmS8_22is_equal_div_10_reduceIjEEE10hipError_tPvRmT2_T3_mT4_T5_T6_T7_T8_P12ihipStream_tbENKUlT_T0_E_clISt17integral_constantIbLb0EES11_EEDaSW_SX_EUlSW_E_NS1_11comp_targetILNS1_3genE4ELNS1_11target_archE910ELNS1_3gpuE8ELNS1_3repE0EEENS1_30default_config_static_selectorELNS0_4arch9wavefront6targetE0EEEvT1_.kd
    .uniform_work_group_size: 1
    .uses_dynamic_stack: false
    .vgpr_count:     0
    .vgpr_spill_count: 0
    .wavefront_size: 32
    .workgroup_processor_mode: 1
  - .args:
      - .offset:         0
        .size:           120
        .value_kind:     by_value
    .group_segment_fixed_size: 0
    .kernarg_segment_align: 8
    .kernarg_segment_size: 120
    .language:       OpenCL C
    .language_version:
      - 2
      - 0
    .max_flat_workgroup_size: 256
    .name:           _ZN7rocprim17ROCPRIM_400000_NS6detail17trampoline_kernelINS0_14default_configENS1_29reduce_by_key_config_selectorIjjN6thrust23THRUST_200600_302600_NS4plusIjEEEEZZNS1_33reduce_by_key_impl_wrapped_configILNS1_25lookback_scan_determinismE0ES3_S9_NS6_6detail15normal_iteratorINS6_10device_ptrIjEEEESG_SG_SG_PmS8_22is_equal_div_10_reduceIjEEE10hipError_tPvRmT2_T3_mT4_T5_T6_T7_T8_P12ihipStream_tbENKUlT_T0_E_clISt17integral_constantIbLb0EES11_EEDaSW_SX_EUlSW_E_NS1_11comp_targetILNS1_3genE3ELNS1_11target_archE908ELNS1_3gpuE7ELNS1_3repE0EEENS1_30default_config_static_selectorELNS0_4arch9wavefront6targetE0EEEvT1_
    .private_segment_fixed_size: 0
    .sgpr_count:     0
    .sgpr_spill_count: 0
    .symbol:         _ZN7rocprim17ROCPRIM_400000_NS6detail17trampoline_kernelINS0_14default_configENS1_29reduce_by_key_config_selectorIjjN6thrust23THRUST_200600_302600_NS4plusIjEEEEZZNS1_33reduce_by_key_impl_wrapped_configILNS1_25lookback_scan_determinismE0ES3_S9_NS6_6detail15normal_iteratorINS6_10device_ptrIjEEEESG_SG_SG_PmS8_22is_equal_div_10_reduceIjEEE10hipError_tPvRmT2_T3_mT4_T5_T6_T7_T8_P12ihipStream_tbENKUlT_T0_E_clISt17integral_constantIbLb0EES11_EEDaSW_SX_EUlSW_E_NS1_11comp_targetILNS1_3genE3ELNS1_11target_archE908ELNS1_3gpuE7ELNS1_3repE0EEENS1_30default_config_static_selectorELNS0_4arch9wavefront6targetE0EEEvT1_.kd
    .uniform_work_group_size: 1
    .uses_dynamic_stack: false
    .vgpr_count:     0
    .vgpr_spill_count: 0
    .wavefront_size: 32
    .workgroup_processor_mode: 1
  - .args:
      - .offset:         0
        .size:           120
        .value_kind:     by_value
    .group_segment_fixed_size: 0
    .kernarg_segment_align: 8
    .kernarg_segment_size: 120
    .language:       OpenCL C
    .language_version:
      - 2
      - 0
    .max_flat_workgroup_size: 256
    .name:           _ZN7rocprim17ROCPRIM_400000_NS6detail17trampoline_kernelINS0_14default_configENS1_29reduce_by_key_config_selectorIjjN6thrust23THRUST_200600_302600_NS4plusIjEEEEZZNS1_33reduce_by_key_impl_wrapped_configILNS1_25lookback_scan_determinismE0ES3_S9_NS6_6detail15normal_iteratorINS6_10device_ptrIjEEEESG_SG_SG_PmS8_22is_equal_div_10_reduceIjEEE10hipError_tPvRmT2_T3_mT4_T5_T6_T7_T8_P12ihipStream_tbENKUlT_T0_E_clISt17integral_constantIbLb0EES11_EEDaSW_SX_EUlSW_E_NS1_11comp_targetILNS1_3genE2ELNS1_11target_archE906ELNS1_3gpuE6ELNS1_3repE0EEENS1_30default_config_static_selectorELNS0_4arch9wavefront6targetE0EEEvT1_
    .private_segment_fixed_size: 0
    .sgpr_count:     0
    .sgpr_spill_count: 0
    .symbol:         _ZN7rocprim17ROCPRIM_400000_NS6detail17trampoline_kernelINS0_14default_configENS1_29reduce_by_key_config_selectorIjjN6thrust23THRUST_200600_302600_NS4plusIjEEEEZZNS1_33reduce_by_key_impl_wrapped_configILNS1_25lookback_scan_determinismE0ES3_S9_NS6_6detail15normal_iteratorINS6_10device_ptrIjEEEESG_SG_SG_PmS8_22is_equal_div_10_reduceIjEEE10hipError_tPvRmT2_T3_mT4_T5_T6_T7_T8_P12ihipStream_tbENKUlT_T0_E_clISt17integral_constantIbLb0EES11_EEDaSW_SX_EUlSW_E_NS1_11comp_targetILNS1_3genE2ELNS1_11target_archE906ELNS1_3gpuE6ELNS1_3repE0EEENS1_30default_config_static_selectorELNS0_4arch9wavefront6targetE0EEEvT1_.kd
    .uniform_work_group_size: 1
    .uses_dynamic_stack: false
    .vgpr_count:     0
    .vgpr_spill_count: 0
    .wavefront_size: 32
    .workgroup_processor_mode: 1
  - .args:
      - .offset:         0
        .size:           120
        .value_kind:     by_value
    .group_segment_fixed_size: 0
    .kernarg_segment_align: 8
    .kernarg_segment_size: 120
    .language:       OpenCL C
    .language_version:
      - 2
      - 0
    .max_flat_workgroup_size: 256
    .name:           _ZN7rocprim17ROCPRIM_400000_NS6detail17trampoline_kernelINS0_14default_configENS1_29reduce_by_key_config_selectorIjjN6thrust23THRUST_200600_302600_NS4plusIjEEEEZZNS1_33reduce_by_key_impl_wrapped_configILNS1_25lookback_scan_determinismE0ES3_S9_NS6_6detail15normal_iteratorINS6_10device_ptrIjEEEESG_SG_SG_PmS8_22is_equal_div_10_reduceIjEEE10hipError_tPvRmT2_T3_mT4_T5_T6_T7_T8_P12ihipStream_tbENKUlT_T0_E_clISt17integral_constantIbLb0EES11_EEDaSW_SX_EUlSW_E_NS1_11comp_targetILNS1_3genE10ELNS1_11target_archE1201ELNS1_3gpuE5ELNS1_3repE0EEENS1_30default_config_static_selectorELNS0_4arch9wavefront6targetE0EEEvT1_
    .private_segment_fixed_size: 0
    .sgpr_count:     0
    .sgpr_spill_count: 0
    .symbol:         _ZN7rocprim17ROCPRIM_400000_NS6detail17trampoline_kernelINS0_14default_configENS1_29reduce_by_key_config_selectorIjjN6thrust23THRUST_200600_302600_NS4plusIjEEEEZZNS1_33reduce_by_key_impl_wrapped_configILNS1_25lookback_scan_determinismE0ES3_S9_NS6_6detail15normal_iteratorINS6_10device_ptrIjEEEESG_SG_SG_PmS8_22is_equal_div_10_reduceIjEEE10hipError_tPvRmT2_T3_mT4_T5_T6_T7_T8_P12ihipStream_tbENKUlT_T0_E_clISt17integral_constantIbLb0EES11_EEDaSW_SX_EUlSW_E_NS1_11comp_targetILNS1_3genE10ELNS1_11target_archE1201ELNS1_3gpuE5ELNS1_3repE0EEENS1_30default_config_static_selectorELNS0_4arch9wavefront6targetE0EEEvT1_.kd
    .uniform_work_group_size: 1
    .uses_dynamic_stack: false
    .vgpr_count:     0
    .vgpr_spill_count: 0
    .wavefront_size: 32
    .workgroup_processor_mode: 1
  - .args:
      - .offset:         0
        .size:           120
        .value_kind:     by_value
    .group_segment_fixed_size: 0
    .kernarg_segment_align: 8
    .kernarg_segment_size: 120
    .language:       OpenCL C
    .language_version:
      - 2
      - 0
    .max_flat_workgroup_size: 256
    .name:           _ZN7rocprim17ROCPRIM_400000_NS6detail17trampoline_kernelINS0_14default_configENS1_29reduce_by_key_config_selectorIjjN6thrust23THRUST_200600_302600_NS4plusIjEEEEZZNS1_33reduce_by_key_impl_wrapped_configILNS1_25lookback_scan_determinismE0ES3_S9_NS6_6detail15normal_iteratorINS6_10device_ptrIjEEEESG_SG_SG_PmS8_22is_equal_div_10_reduceIjEEE10hipError_tPvRmT2_T3_mT4_T5_T6_T7_T8_P12ihipStream_tbENKUlT_T0_E_clISt17integral_constantIbLb0EES11_EEDaSW_SX_EUlSW_E_NS1_11comp_targetILNS1_3genE10ELNS1_11target_archE1200ELNS1_3gpuE4ELNS1_3repE0EEENS1_30default_config_static_selectorELNS0_4arch9wavefront6targetE0EEEvT1_
    .private_segment_fixed_size: 0
    .sgpr_count:     0
    .sgpr_spill_count: 0
    .symbol:         _ZN7rocprim17ROCPRIM_400000_NS6detail17trampoline_kernelINS0_14default_configENS1_29reduce_by_key_config_selectorIjjN6thrust23THRUST_200600_302600_NS4plusIjEEEEZZNS1_33reduce_by_key_impl_wrapped_configILNS1_25lookback_scan_determinismE0ES3_S9_NS6_6detail15normal_iteratorINS6_10device_ptrIjEEEESG_SG_SG_PmS8_22is_equal_div_10_reduceIjEEE10hipError_tPvRmT2_T3_mT4_T5_T6_T7_T8_P12ihipStream_tbENKUlT_T0_E_clISt17integral_constantIbLb0EES11_EEDaSW_SX_EUlSW_E_NS1_11comp_targetILNS1_3genE10ELNS1_11target_archE1200ELNS1_3gpuE4ELNS1_3repE0EEENS1_30default_config_static_selectorELNS0_4arch9wavefront6targetE0EEEvT1_.kd
    .uniform_work_group_size: 1
    .uses_dynamic_stack: false
    .vgpr_count:     0
    .vgpr_spill_count: 0
    .wavefront_size: 32
    .workgroup_processor_mode: 1
  - .args:
      - .offset:         0
        .size:           120
        .value_kind:     by_value
    .group_segment_fixed_size: 15360
    .kernarg_segment_align: 8
    .kernarg_segment_size: 120
    .language:       OpenCL C
    .language_version:
      - 2
      - 0
    .max_flat_workgroup_size: 256
    .name:           _ZN7rocprim17ROCPRIM_400000_NS6detail17trampoline_kernelINS0_14default_configENS1_29reduce_by_key_config_selectorIjjN6thrust23THRUST_200600_302600_NS4plusIjEEEEZZNS1_33reduce_by_key_impl_wrapped_configILNS1_25lookback_scan_determinismE0ES3_S9_NS6_6detail15normal_iteratorINS6_10device_ptrIjEEEESG_SG_SG_PmS8_22is_equal_div_10_reduceIjEEE10hipError_tPvRmT2_T3_mT4_T5_T6_T7_T8_P12ihipStream_tbENKUlT_T0_E_clISt17integral_constantIbLb0EES11_EEDaSW_SX_EUlSW_E_NS1_11comp_targetILNS1_3genE9ELNS1_11target_archE1100ELNS1_3gpuE3ELNS1_3repE0EEENS1_30default_config_static_selectorELNS0_4arch9wavefront6targetE0EEEvT1_
    .private_segment_fixed_size: 0
    .sgpr_count:     46
    .sgpr_spill_count: 0
    .symbol:         _ZN7rocprim17ROCPRIM_400000_NS6detail17trampoline_kernelINS0_14default_configENS1_29reduce_by_key_config_selectorIjjN6thrust23THRUST_200600_302600_NS4plusIjEEEEZZNS1_33reduce_by_key_impl_wrapped_configILNS1_25lookback_scan_determinismE0ES3_S9_NS6_6detail15normal_iteratorINS6_10device_ptrIjEEEESG_SG_SG_PmS8_22is_equal_div_10_reduceIjEEE10hipError_tPvRmT2_T3_mT4_T5_T6_T7_T8_P12ihipStream_tbENKUlT_T0_E_clISt17integral_constantIbLb0EES11_EEDaSW_SX_EUlSW_E_NS1_11comp_targetILNS1_3genE9ELNS1_11target_archE1100ELNS1_3gpuE3ELNS1_3repE0EEENS1_30default_config_static_selectorELNS0_4arch9wavefront6targetE0EEEvT1_.kd
    .uniform_work_group_size: 1
    .uses_dynamic_stack: false
    .vgpr_count:     86
    .vgpr_spill_count: 0
    .wavefront_size: 32
    .workgroup_processor_mode: 1
  - .args:
      - .offset:         0
        .size:           120
        .value_kind:     by_value
    .group_segment_fixed_size: 0
    .kernarg_segment_align: 8
    .kernarg_segment_size: 120
    .language:       OpenCL C
    .language_version:
      - 2
      - 0
    .max_flat_workgroup_size: 256
    .name:           _ZN7rocprim17ROCPRIM_400000_NS6detail17trampoline_kernelINS0_14default_configENS1_29reduce_by_key_config_selectorIjjN6thrust23THRUST_200600_302600_NS4plusIjEEEEZZNS1_33reduce_by_key_impl_wrapped_configILNS1_25lookback_scan_determinismE0ES3_S9_NS6_6detail15normal_iteratorINS6_10device_ptrIjEEEESG_SG_SG_PmS8_22is_equal_div_10_reduceIjEEE10hipError_tPvRmT2_T3_mT4_T5_T6_T7_T8_P12ihipStream_tbENKUlT_T0_E_clISt17integral_constantIbLb0EES11_EEDaSW_SX_EUlSW_E_NS1_11comp_targetILNS1_3genE8ELNS1_11target_archE1030ELNS1_3gpuE2ELNS1_3repE0EEENS1_30default_config_static_selectorELNS0_4arch9wavefront6targetE0EEEvT1_
    .private_segment_fixed_size: 0
    .sgpr_count:     0
    .sgpr_spill_count: 0
    .symbol:         _ZN7rocprim17ROCPRIM_400000_NS6detail17trampoline_kernelINS0_14default_configENS1_29reduce_by_key_config_selectorIjjN6thrust23THRUST_200600_302600_NS4plusIjEEEEZZNS1_33reduce_by_key_impl_wrapped_configILNS1_25lookback_scan_determinismE0ES3_S9_NS6_6detail15normal_iteratorINS6_10device_ptrIjEEEESG_SG_SG_PmS8_22is_equal_div_10_reduceIjEEE10hipError_tPvRmT2_T3_mT4_T5_T6_T7_T8_P12ihipStream_tbENKUlT_T0_E_clISt17integral_constantIbLb0EES11_EEDaSW_SX_EUlSW_E_NS1_11comp_targetILNS1_3genE8ELNS1_11target_archE1030ELNS1_3gpuE2ELNS1_3repE0EEENS1_30default_config_static_selectorELNS0_4arch9wavefront6targetE0EEEvT1_.kd
    .uniform_work_group_size: 1
    .uses_dynamic_stack: false
    .vgpr_count:     0
    .vgpr_spill_count: 0
    .wavefront_size: 32
    .workgroup_processor_mode: 1
  - .args:
      - .offset:         0
        .size:           120
        .value_kind:     by_value
    .group_segment_fixed_size: 0
    .kernarg_segment_align: 8
    .kernarg_segment_size: 120
    .language:       OpenCL C
    .language_version:
      - 2
      - 0
    .max_flat_workgroup_size: 256
    .name:           _ZN7rocprim17ROCPRIM_400000_NS6detail17trampoline_kernelINS0_14default_configENS1_29reduce_by_key_config_selectorIjjN6thrust23THRUST_200600_302600_NS4plusIjEEEEZZNS1_33reduce_by_key_impl_wrapped_configILNS1_25lookback_scan_determinismE0ES3_S9_NS6_6detail15normal_iteratorINS6_10device_ptrIjEEEESG_SG_SG_PmS8_22is_equal_div_10_reduceIjEEE10hipError_tPvRmT2_T3_mT4_T5_T6_T7_T8_P12ihipStream_tbENKUlT_T0_E_clISt17integral_constantIbLb1EES11_EEDaSW_SX_EUlSW_E_NS1_11comp_targetILNS1_3genE0ELNS1_11target_archE4294967295ELNS1_3gpuE0ELNS1_3repE0EEENS1_30default_config_static_selectorELNS0_4arch9wavefront6targetE0EEEvT1_
    .private_segment_fixed_size: 0
    .sgpr_count:     0
    .sgpr_spill_count: 0
    .symbol:         _ZN7rocprim17ROCPRIM_400000_NS6detail17trampoline_kernelINS0_14default_configENS1_29reduce_by_key_config_selectorIjjN6thrust23THRUST_200600_302600_NS4plusIjEEEEZZNS1_33reduce_by_key_impl_wrapped_configILNS1_25lookback_scan_determinismE0ES3_S9_NS6_6detail15normal_iteratorINS6_10device_ptrIjEEEESG_SG_SG_PmS8_22is_equal_div_10_reduceIjEEE10hipError_tPvRmT2_T3_mT4_T5_T6_T7_T8_P12ihipStream_tbENKUlT_T0_E_clISt17integral_constantIbLb1EES11_EEDaSW_SX_EUlSW_E_NS1_11comp_targetILNS1_3genE0ELNS1_11target_archE4294967295ELNS1_3gpuE0ELNS1_3repE0EEENS1_30default_config_static_selectorELNS0_4arch9wavefront6targetE0EEEvT1_.kd
    .uniform_work_group_size: 1
    .uses_dynamic_stack: false
    .vgpr_count:     0
    .vgpr_spill_count: 0
    .wavefront_size: 32
    .workgroup_processor_mode: 1
  - .args:
      - .offset:         0
        .size:           120
        .value_kind:     by_value
    .group_segment_fixed_size: 0
    .kernarg_segment_align: 8
    .kernarg_segment_size: 120
    .language:       OpenCL C
    .language_version:
      - 2
      - 0
    .max_flat_workgroup_size: 256
    .name:           _ZN7rocprim17ROCPRIM_400000_NS6detail17trampoline_kernelINS0_14default_configENS1_29reduce_by_key_config_selectorIjjN6thrust23THRUST_200600_302600_NS4plusIjEEEEZZNS1_33reduce_by_key_impl_wrapped_configILNS1_25lookback_scan_determinismE0ES3_S9_NS6_6detail15normal_iteratorINS6_10device_ptrIjEEEESG_SG_SG_PmS8_22is_equal_div_10_reduceIjEEE10hipError_tPvRmT2_T3_mT4_T5_T6_T7_T8_P12ihipStream_tbENKUlT_T0_E_clISt17integral_constantIbLb1EES11_EEDaSW_SX_EUlSW_E_NS1_11comp_targetILNS1_3genE5ELNS1_11target_archE942ELNS1_3gpuE9ELNS1_3repE0EEENS1_30default_config_static_selectorELNS0_4arch9wavefront6targetE0EEEvT1_
    .private_segment_fixed_size: 0
    .sgpr_count:     0
    .sgpr_spill_count: 0
    .symbol:         _ZN7rocprim17ROCPRIM_400000_NS6detail17trampoline_kernelINS0_14default_configENS1_29reduce_by_key_config_selectorIjjN6thrust23THRUST_200600_302600_NS4plusIjEEEEZZNS1_33reduce_by_key_impl_wrapped_configILNS1_25lookback_scan_determinismE0ES3_S9_NS6_6detail15normal_iteratorINS6_10device_ptrIjEEEESG_SG_SG_PmS8_22is_equal_div_10_reduceIjEEE10hipError_tPvRmT2_T3_mT4_T5_T6_T7_T8_P12ihipStream_tbENKUlT_T0_E_clISt17integral_constantIbLb1EES11_EEDaSW_SX_EUlSW_E_NS1_11comp_targetILNS1_3genE5ELNS1_11target_archE942ELNS1_3gpuE9ELNS1_3repE0EEENS1_30default_config_static_selectorELNS0_4arch9wavefront6targetE0EEEvT1_.kd
    .uniform_work_group_size: 1
    .uses_dynamic_stack: false
    .vgpr_count:     0
    .vgpr_spill_count: 0
    .wavefront_size: 32
    .workgroup_processor_mode: 1
  - .args:
      - .offset:         0
        .size:           120
        .value_kind:     by_value
    .group_segment_fixed_size: 0
    .kernarg_segment_align: 8
    .kernarg_segment_size: 120
    .language:       OpenCL C
    .language_version:
      - 2
      - 0
    .max_flat_workgroup_size: 256
    .name:           _ZN7rocprim17ROCPRIM_400000_NS6detail17trampoline_kernelINS0_14default_configENS1_29reduce_by_key_config_selectorIjjN6thrust23THRUST_200600_302600_NS4plusIjEEEEZZNS1_33reduce_by_key_impl_wrapped_configILNS1_25lookback_scan_determinismE0ES3_S9_NS6_6detail15normal_iteratorINS6_10device_ptrIjEEEESG_SG_SG_PmS8_22is_equal_div_10_reduceIjEEE10hipError_tPvRmT2_T3_mT4_T5_T6_T7_T8_P12ihipStream_tbENKUlT_T0_E_clISt17integral_constantIbLb1EES11_EEDaSW_SX_EUlSW_E_NS1_11comp_targetILNS1_3genE4ELNS1_11target_archE910ELNS1_3gpuE8ELNS1_3repE0EEENS1_30default_config_static_selectorELNS0_4arch9wavefront6targetE0EEEvT1_
    .private_segment_fixed_size: 0
    .sgpr_count:     0
    .sgpr_spill_count: 0
    .symbol:         _ZN7rocprim17ROCPRIM_400000_NS6detail17trampoline_kernelINS0_14default_configENS1_29reduce_by_key_config_selectorIjjN6thrust23THRUST_200600_302600_NS4plusIjEEEEZZNS1_33reduce_by_key_impl_wrapped_configILNS1_25lookback_scan_determinismE0ES3_S9_NS6_6detail15normal_iteratorINS6_10device_ptrIjEEEESG_SG_SG_PmS8_22is_equal_div_10_reduceIjEEE10hipError_tPvRmT2_T3_mT4_T5_T6_T7_T8_P12ihipStream_tbENKUlT_T0_E_clISt17integral_constantIbLb1EES11_EEDaSW_SX_EUlSW_E_NS1_11comp_targetILNS1_3genE4ELNS1_11target_archE910ELNS1_3gpuE8ELNS1_3repE0EEENS1_30default_config_static_selectorELNS0_4arch9wavefront6targetE0EEEvT1_.kd
    .uniform_work_group_size: 1
    .uses_dynamic_stack: false
    .vgpr_count:     0
    .vgpr_spill_count: 0
    .wavefront_size: 32
    .workgroup_processor_mode: 1
  - .args:
      - .offset:         0
        .size:           120
        .value_kind:     by_value
    .group_segment_fixed_size: 0
    .kernarg_segment_align: 8
    .kernarg_segment_size: 120
    .language:       OpenCL C
    .language_version:
      - 2
      - 0
    .max_flat_workgroup_size: 256
    .name:           _ZN7rocprim17ROCPRIM_400000_NS6detail17trampoline_kernelINS0_14default_configENS1_29reduce_by_key_config_selectorIjjN6thrust23THRUST_200600_302600_NS4plusIjEEEEZZNS1_33reduce_by_key_impl_wrapped_configILNS1_25lookback_scan_determinismE0ES3_S9_NS6_6detail15normal_iteratorINS6_10device_ptrIjEEEESG_SG_SG_PmS8_22is_equal_div_10_reduceIjEEE10hipError_tPvRmT2_T3_mT4_T5_T6_T7_T8_P12ihipStream_tbENKUlT_T0_E_clISt17integral_constantIbLb1EES11_EEDaSW_SX_EUlSW_E_NS1_11comp_targetILNS1_3genE3ELNS1_11target_archE908ELNS1_3gpuE7ELNS1_3repE0EEENS1_30default_config_static_selectorELNS0_4arch9wavefront6targetE0EEEvT1_
    .private_segment_fixed_size: 0
    .sgpr_count:     0
    .sgpr_spill_count: 0
    .symbol:         _ZN7rocprim17ROCPRIM_400000_NS6detail17trampoline_kernelINS0_14default_configENS1_29reduce_by_key_config_selectorIjjN6thrust23THRUST_200600_302600_NS4plusIjEEEEZZNS1_33reduce_by_key_impl_wrapped_configILNS1_25lookback_scan_determinismE0ES3_S9_NS6_6detail15normal_iteratorINS6_10device_ptrIjEEEESG_SG_SG_PmS8_22is_equal_div_10_reduceIjEEE10hipError_tPvRmT2_T3_mT4_T5_T6_T7_T8_P12ihipStream_tbENKUlT_T0_E_clISt17integral_constantIbLb1EES11_EEDaSW_SX_EUlSW_E_NS1_11comp_targetILNS1_3genE3ELNS1_11target_archE908ELNS1_3gpuE7ELNS1_3repE0EEENS1_30default_config_static_selectorELNS0_4arch9wavefront6targetE0EEEvT1_.kd
    .uniform_work_group_size: 1
    .uses_dynamic_stack: false
    .vgpr_count:     0
    .vgpr_spill_count: 0
    .wavefront_size: 32
    .workgroup_processor_mode: 1
  - .args:
      - .offset:         0
        .size:           120
        .value_kind:     by_value
    .group_segment_fixed_size: 0
    .kernarg_segment_align: 8
    .kernarg_segment_size: 120
    .language:       OpenCL C
    .language_version:
      - 2
      - 0
    .max_flat_workgroup_size: 256
    .name:           _ZN7rocprim17ROCPRIM_400000_NS6detail17trampoline_kernelINS0_14default_configENS1_29reduce_by_key_config_selectorIjjN6thrust23THRUST_200600_302600_NS4plusIjEEEEZZNS1_33reduce_by_key_impl_wrapped_configILNS1_25lookback_scan_determinismE0ES3_S9_NS6_6detail15normal_iteratorINS6_10device_ptrIjEEEESG_SG_SG_PmS8_22is_equal_div_10_reduceIjEEE10hipError_tPvRmT2_T3_mT4_T5_T6_T7_T8_P12ihipStream_tbENKUlT_T0_E_clISt17integral_constantIbLb1EES11_EEDaSW_SX_EUlSW_E_NS1_11comp_targetILNS1_3genE2ELNS1_11target_archE906ELNS1_3gpuE6ELNS1_3repE0EEENS1_30default_config_static_selectorELNS0_4arch9wavefront6targetE0EEEvT1_
    .private_segment_fixed_size: 0
    .sgpr_count:     0
    .sgpr_spill_count: 0
    .symbol:         _ZN7rocprim17ROCPRIM_400000_NS6detail17trampoline_kernelINS0_14default_configENS1_29reduce_by_key_config_selectorIjjN6thrust23THRUST_200600_302600_NS4plusIjEEEEZZNS1_33reduce_by_key_impl_wrapped_configILNS1_25lookback_scan_determinismE0ES3_S9_NS6_6detail15normal_iteratorINS6_10device_ptrIjEEEESG_SG_SG_PmS8_22is_equal_div_10_reduceIjEEE10hipError_tPvRmT2_T3_mT4_T5_T6_T7_T8_P12ihipStream_tbENKUlT_T0_E_clISt17integral_constantIbLb1EES11_EEDaSW_SX_EUlSW_E_NS1_11comp_targetILNS1_3genE2ELNS1_11target_archE906ELNS1_3gpuE6ELNS1_3repE0EEENS1_30default_config_static_selectorELNS0_4arch9wavefront6targetE0EEEvT1_.kd
    .uniform_work_group_size: 1
    .uses_dynamic_stack: false
    .vgpr_count:     0
    .vgpr_spill_count: 0
    .wavefront_size: 32
    .workgroup_processor_mode: 1
  - .args:
      - .offset:         0
        .size:           120
        .value_kind:     by_value
    .group_segment_fixed_size: 0
    .kernarg_segment_align: 8
    .kernarg_segment_size: 120
    .language:       OpenCL C
    .language_version:
      - 2
      - 0
    .max_flat_workgroup_size: 256
    .name:           _ZN7rocprim17ROCPRIM_400000_NS6detail17trampoline_kernelINS0_14default_configENS1_29reduce_by_key_config_selectorIjjN6thrust23THRUST_200600_302600_NS4plusIjEEEEZZNS1_33reduce_by_key_impl_wrapped_configILNS1_25lookback_scan_determinismE0ES3_S9_NS6_6detail15normal_iteratorINS6_10device_ptrIjEEEESG_SG_SG_PmS8_22is_equal_div_10_reduceIjEEE10hipError_tPvRmT2_T3_mT4_T5_T6_T7_T8_P12ihipStream_tbENKUlT_T0_E_clISt17integral_constantIbLb1EES11_EEDaSW_SX_EUlSW_E_NS1_11comp_targetILNS1_3genE10ELNS1_11target_archE1201ELNS1_3gpuE5ELNS1_3repE0EEENS1_30default_config_static_selectorELNS0_4arch9wavefront6targetE0EEEvT1_
    .private_segment_fixed_size: 0
    .sgpr_count:     0
    .sgpr_spill_count: 0
    .symbol:         _ZN7rocprim17ROCPRIM_400000_NS6detail17trampoline_kernelINS0_14default_configENS1_29reduce_by_key_config_selectorIjjN6thrust23THRUST_200600_302600_NS4plusIjEEEEZZNS1_33reduce_by_key_impl_wrapped_configILNS1_25lookback_scan_determinismE0ES3_S9_NS6_6detail15normal_iteratorINS6_10device_ptrIjEEEESG_SG_SG_PmS8_22is_equal_div_10_reduceIjEEE10hipError_tPvRmT2_T3_mT4_T5_T6_T7_T8_P12ihipStream_tbENKUlT_T0_E_clISt17integral_constantIbLb1EES11_EEDaSW_SX_EUlSW_E_NS1_11comp_targetILNS1_3genE10ELNS1_11target_archE1201ELNS1_3gpuE5ELNS1_3repE0EEENS1_30default_config_static_selectorELNS0_4arch9wavefront6targetE0EEEvT1_.kd
    .uniform_work_group_size: 1
    .uses_dynamic_stack: false
    .vgpr_count:     0
    .vgpr_spill_count: 0
    .wavefront_size: 32
    .workgroup_processor_mode: 1
  - .args:
      - .offset:         0
        .size:           120
        .value_kind:     by_value
    .group_segment_fixed_size: 0
    .kernarg_segment_align: 8
    .kernarg_segment_size: 120
    .language:       OpenCL C
    .language_version:
      - 2
      - 0
    .max_flat_workgroup_size: 256
    .name:           _ZN7rocprim17ROCPRIM_400000_NS6detail17trampoline_kernelINS0_14default_configENS1_29reduce_by_key_config_selectorIjjN6thrust23THRUST_200600_302600_NS4plusIjEEEEZZNS1_33reduce_by_key_impl_wrapped_configILNS1_25lookback_scan_determinismE0ES3_S9_NS6_6detail15normal_iteratorINS6_10device_ptrIjEEEESG_SG_SG_PmS8_22is_equal_div_10_reduceIjEEE10hipError_tPvRmT2_T3_mT4_T5_T6_T7_T8_P12ihipStream_tbENKUlT_T0_E_clISt17integral_constantIbLb1EES11_EEDaSW_SX_EUlSW_E_NS1_11comp_targetILNS1_3genE10ELNS1_11target_archE1200ELNS1_3gpuE4ELNS1_3repE0EEENS1_30default_config_static_selectorELNS0_4arch9wavefront6targetE0EEEvT1_
    .private_segment_fixed_size: 0
    .sgpr_count:     0
    .sgpr_spill_count: 0
    .symbol:         _ZN7rocprim17ROCPRIM_400000_NS6detail17trampoline_kernelINS0_14default_configENS1_29reduce_by_key_config_selectorIjjN6thrust23THRUST_200600_302600_NS4plusIjEEEEZZNS1_33reduce_by_key_impl_wrapped_configILNS1_25lookback_scan_determinismE0ES3_S9_NS6_6detail15normal_iteratorINS6_10device_ptrIjEEEESG_SG_SG_PmS8_22is_equal_div_10_reduceIjEEE10hipError_tPvRmT2_T3_mT4_T5_T6_T7_T8_P12ihipStream_tbENKUlT_T0_E_clISt17integral_constantIbLb1EES11_EEDaSW_SX_EUlSW_E_NS1_11comp_targetILNS1_3genE10ELNS1_11target_archE1200ELNS1_3gpuE4ELNS1_3repE0EEENS1_30default_config_static_selectorELNS0_4arch9wavefront6targetE0EEEvT1_.kd
    .uniform_work_group_size: 1
    .uses_dynamic_stack: false
    .vgpr_count:     0
    .vgpr_spill_count: 0
    .wavefront_size: 32
    .workgroup_processor_mode: 1
  - .args:
      - .offset:         0
        .size:           120
        .value_kind:     by_value
    .group_segment_fixed_size: 15360
    .kernarg_segment_align: 8
    .kernarg_segment_size: 120
    .language:       OpenCL C
    .language_version:
      - 2
      - 0
    .max_flat_workgroup_size: 256
    .name:           _ZN7rocprim17ROCPRIM_400000_NS6detail17trampoline_kernelINS0_14default_configENS1_29reduce_by_key_config_selectorIjjN6thrust23THRUST_200600_302600_NS4plusIjEEEEZZNS1_33reduce_by_key_impl_wrapped_configILNS1_25lookback_scan_determinismE0ES3_S9_NS6_6detail15normal_iteratorINS6_10device_ptrIjEEEESG_SG_SG_PmS8_22is_equal_div_10_reduceIjEEE10hipError_tPvRmT2_T3_mT4_T5_T6_T7_T8_P12ihipStream_tbENKUlT_T0_E_clISt17integral_constantIbLb1EES11_EEDaSW_SX_EUlSW_E_NS1_11comp_targetILNS1_3genE9ELNS1_11target_archE1100ELNS1_3gpuE3ELNS1_3repE0EEENS1_30default_config_static_selectorELNS0_4arch9wavefront6targetE0EEEvT1_
    .private_segment_fixed_size: 0
    .sgpr_count:     46
    .sgpr_spill_count: 0
    .symbol:         _ZN7rocprim17ROCPRIM_400000_NS6detail17trampoline_kernelINS0_14default_configENS1_29reduce_by_key_config_selectorIjjN6thrust23THRUST_200600_302600_NS4plusIjEEEEZZNS1_33reduce_by_key_impl_wrapped_configILNS1_25lookback_scan_determinismE0ES3_S9_NS6_6detail15normal_iteratorINS6_10device_ptrIjEEEESG_SG_SG_PmS8_22is_equal_div_10_reduceIjEEE10hipError_tPvRmT2_T3_mT4_T5_T6_T7_T8_P12ihipStream_tbENKUlT_T0_E_clISt17integral_constantIbLb1EES11_EEDaSW_SX_EUlSW_E_NS1_11comp_targetILNS1_3genE9ELNS1_11target_archE1100ELNS1_3gpuE3ELNS1_3repE0EEENS1_30default_config_static_selectorELNS0_4arch9wavefront6targetE0EEEvT1_.kd
    .uniform_work_group_size: 1
    .uses_dynamic_stack: false
    .vgpr_count:     87
    .vgpr_spill_count: 0
    .wavefront_size: 32
    .workgroup_processor_mode: 1
  - .args:
      - .offset:         0
        .size:           120
        .value_kind:     by_value
    .group_segment_fixed_size: 0
    .kernarg_segment_align: 8
    .kernarg_segment_size: 120
    .language:       OpenCL C
    .language_version:
      - 2
      - 0
    .max_flat_workgroup_size: 256
    .name:           _ZN7rocprim17ROCPRIM_400000_NS6detail17trampoline_kernelINS0_14default_configENS1_29reduce_by_key_config_selectorIjjN6thrust23THRUST_200600_302600_NS4plusIjEEEEZZNS1_33reduce_by_key_impl_wrapped_configILNS1_25lookback_scan_determinismE0ES3_S9_NS6_6detail15normal_iteratorINS6_10device_ptrIjEEEESG_SG_SG_PmS8_22is_equal_div_10_reduceIjEEE10hipError_tPvRmT2_T3_mT4_T5_T6_T7_T8_P12ihipStream_tbENKUlT_T0_E_clISt17integral_constantIbLb1EES11_EEDaSW_SX_EUlSW_E_NS1_11comp_targetILNS1_3genE8ELNS1_11target_archE1030ELNS1_3gpuE2ELNS1_3repE0EEENS1_30default_config_static_selectorELNS0_4arch9wavefront6targetE0EEEvT1_
    .private_segment_fixed_size: 0
    .sgpr_count:     0
    .sgpr_spill_count: 0
    .symbol:         _ZN7rocprim17ROCPRIM_400000_NS6detail17trampoline_kernelINS0_14default_configENS1_29reduce_by_key_config_selectorIjjN6thrust23THRUST_200600_302600_NS4plusIjEEEEZZNS1_33reduce_by_key_impl_wrapped_configILNS1_25lookback_scan_determinismE0ES3_S9_NS6_6detail15normal_iteratorINS6_10device_ptrIjEEEESG_SG_SG_PmS8_22is_equal_div_10_reduceIjEEE10hipError_tPvRmT2_T3_mT4_T5_T6_T7_T8_P12ihipStream_tbENKUlT_T0_E_clISt17integral_constantIbLb1EES11_EEDaSW_SX_EUlSW_E_NS1_11comp_targetILNS1_3genE8ELNS1_11target_archE1030ELNS1_3gpuE2ELNS1_3repE0EEENS1_30default_config_static_selectorELNS0_4arch9wavefront6targetE0EEEvT1_.kd
    .uniform_work_group_size: 1
    .uses_dynamic_stack: false
    .vgpr_count:     0
    .vgpr_spill_count: 0
    .wavefront_size: 32
    .workgroup_processor_mode: 1
  - .args:
      - .offset:         0
        .size:           120
        .value_kind:     by_value
    .group_segment_fixed_size: 0
    .kernarg_segment_align: 8
    .kernarg_segment_size: 120
    .language:       OpenCL C
    .language_version:
      - 2
      - 0
    .max_flat_workgroup_size: 256
    .name:           _ZN7rocprim17ROCPRIM_400000_NS6detail17trampoline_kernelINS0_14default_configENS1_29reduce_by_key_config_selectorIjjN6thrust23THRUST_200600_302600_NS4plusIjEEEEZZNS1_33reduce_by_key_impl_wrapped_configILNS1_25lookback_scan_determinismE0ES3_S9_NS6_6detail15normal_iteratorINS6_10device_ptrIjEEEESG_SG_SG_PmS8_22is_equal_div_10_reduceIjEEE10hipError_tPvRmT2_T3_mT4_T5_T6_T7_T8_P12ihipStream_tbENKUlT_T0_E_clISt17integral_constantIbLb1EES10_IbLb0EEEEDaSW_SX_EUlSW_E_NS1_11comp_targetILNS1_3genE0ELNS1_11target_archE4294967295ELNS1_3gpuE0ELNS1_3repE0EEENS1_30default_config_static_selectorELNS0_4arch9wavefront6targetE0EEEvT1_
    .private_segment_fixed_size: 0
    .sgpr_count:     0
    .sgpr_spill_count: 0
    .symbol:         _ZN7rocprim17ROCPRIM_400000_NS6detail17trampoline_kernelINS0_14default_configENS1_29reduce_by_key_config_selectorIjjN6thrust23THRUST_200600_302600_NS4plusIjEEEEZZNS1_33reduce_by_key_impl_wrapped_configILNS1_25lookback_scan_determinismE0ES3_S9_NS6_6detail15normal_iteratorINS6_10device_ptrIjEEEESG_SG_SG_PmS8_22is_equal_div_10_reduceIjEEE10hipError_tPvRmT2_T3_mT4_T5_T6_T7_T8_P12ihipStream_tbENKUlT_T0_E_clISt17integral_constantIbLb1EES10_IbLb0EEEEDaSW_SX_EUlSW_E_NS1_11comp_targetILNS1_3genE0ELNS1_11target_archE4294967295ELNS1_3gpuE0ELNS1_3repE0EEENS1_30default_config_static_selectorELNS0_4arch9wavefront6targetE0EEEvT1_.kd
    .uniform_work_group_size: 1
    .uses_dynamic_stack: false
    .vgpr_count:     0
    .vgpr_spill_count: 0
    .wavefront_size: 32
    .workgroup_processor_mode: 1
  - .args:
      - .offset:         0
        .size:           120
        .value_kind:     by_value
    .group_segment_fixed_size: 0
    .kernarg_segment_align: 8
    .kernarg_segment_size: 120
    .language:       OpenCL C
    .language_version:
      - 2
      - 0
    .max_flat_workgroup_size: 256
    .name:           _ZN7rocprim17ROCPRIM_400000_NS6detail17trampoline_kernelINS0_14default_configENS1_29reduce_by_key_config_selectorIjjN6thrust23THRUST_200600_302600_NS4plusIjEEEEZZNS1_33reduce_by_key_impl_wrapped_configILNS1_25lookback_scan_determinismE0ES3_S9_NS6_6detail15normal_iteratorINS6_10device_ptrIjEEEESG_SG_SG_PmS8_22is_equal_div_10_reduceIjEEE10hipError_tPvRmT2_T3_mT4_T5_T6_T7_T8_P12ihipStream_tbENKUlT_T0_E_clISt17integral_constantIbLb1EES10_IbLb0EEEEDaSW_SX_EUlSW_E_NS1_11comp_targetILNS1_3genE5ELNS1_11target_archE942ELNS1_3gpuE9ELNS1_3repE0EEENS1_30default_config_static_selectorELNS0_4arch9wavefront6targetE0EEEvT1_
    .private_segment_fixed_size: 0
    .sgpr_count:     0
    .sgpr_spill_count: 0
    .symbol:         _ZN7rocprim17ROCPRIM_400000_NS6detail17trampoline_kernelINS0_14default_configENS1_29reduce_by_key_config_selectorIjjN6thrust23THRUST_200600_302600_NS4plusIjEEEEZZNS1_33reduce_by_key_impl_wrapped_configILNS1_25lookback_scan_determinismE0ES3_S9_NS6_6detail15normal_iteratorINS6_10device_ptrIjEEEESG_SG_SG_PmS8_22is_equal_div_10_reduceIjEEE10hipError_tPvRmT2_T3_mT4_T5_T6_T7_T8_P12ihipStream_tbENKUlT_T0_E_clISt17integral_constantIbLb1EES10_IbLb0EEEEDaSW_SX_EUlSW_E_NS1_11comp_targetILNS1_3genE5ELNS1_11target_archE942ELNS1_3gpuE9ELNS1_3repE0EEENS1_30default_config_static_selectorELNS0_4arch9wavefront6targetE0EEEvT1_.kd
    .uniform_work_group_size: 1
    .uses_dynamic_stack: false
    .vgpr_count:     0
    .vgpr_spill_count: 0
    .wavefront_size: 32
    .workgroup_processor_mode: 1
  - .args:
      - .offset:         0
        .size:           120
        .value_kind:     by_value
    .group_segment_fixed_size: 0
    .kernarg_segment_align: 8
    .kernarg_segment_size: 120
    .language:       OpenCL C
    .language_version:
      - 2
      - 0
    .max_flat_workgroup_size: 256
    .name:           _ZN7rocprim17ROCPRIM_400000_NS6detail17trampoline_kernelINS0_14default_configENS1_29reduce_by_key_config_selectorIjjN6thrust23THRUST_200600_302600_NS4plusIjEEEEZZNS1_33reduce_by_key_impl_wrapped_configILNS1_25lookback_scan_determinismE0ES3_S9_NS6_6detail15normal_iteratorINS6_10device_ptrIjEEEESG_SG_SG_PmS8_22is_equal_div_10_reduceIjEEE10hipError_tPvRmT2_T3_mT4_T5_T6_T7_T8_P12ihipStream_tbENKUlT_T0_E_clISt17integral_constantIbLb1EES10_IbLb0EEEEDaSW_SX_EUlSW_E_NS1_11comp_targetILNS1_3genE4ELNS1_11target_archE910ELNS1_3gpuE8ELNS1_3repE0EEENS1_30default_config_static_selectorELNS0_4arch9wavefront6targetE0EEEvT1_
    .private_segment_fixed_size: 0
    .sgpr_count:     0
    .sgpr_spill_count: 0
    .symbol:         _ZN7rocprim17ROCPRIM_400000_NS6detail17trampoline_kernelINS0_14default_configENS1_29reduce_by_key_config_selectorIjjN6thrust23THRUST_200600_302600_NS4plusIjEEEEZZNS1_33reduce_by_key_impl_wrapped_configILNS1_25lookback_scan_determinismE0ES3_S9_NS6_6detail15normal_iteratorINS6_10device_ptrIjEEEESG_SG_SG_PmS8_22is_equal_div_10_reduceIjEEE10hipError_tPvRmT2_T3_mT4_T5_T6_T7_T8_P12ihipStream_tbENKUlT_T0_E_clISt17integral_constantIbLb1EES10_IbLb0EEEEDaSW_SX_EUlSW_E_NS1_11comp_targetILNS1_3genE4ELNS1_11target_archE910ELNS1_3gpuE8ELNS1_3repE0EEENS1_30default_config_static_selectorELNS0_4arch9wavefront6targetE0EEEvT1_.kd
    .uniform_work_group_size: 1
    .uses_dynamic_stack: false
    .vgpr_count:     0
    .vgpr_spill_count: 0
    .wavefront_size: 32
    .workgroup_processor_mode: 1
  - .args:
      - .offset:         0
        .size:           120
        .value_kind:     by_value
    .group_segment_fixed_size: 0
    .kernarg_segment_align: 8
    .kernarg_segment_size: 120
    .language:       OpenCL C
    .language_version:
      - 2
      - 0
    .max_flat_workgroup_size: 256
    .name:           _ZN7rocprim17ROCPRIM_400000_NS6detail17trampoline_kernelINS0_14default_configENS1_29reduce_by_key_config_selectorIjjN6thrust23THRUST_200600_302600_NS4plusIjEEEEZZNS1_33reduce_by_key_impl_wrapped_configILNS1_25lookback_scan_determinismE0ES3_S9_NS6_6detail15normal_iteratorINS6_10device_ptrIjEEEESG_SG_SG_PmS8_22is_equal_div_10_reduceIjEEE10hipError_tPvRmT2_T3_mT4_T5_T6_T7_T8_P12ihipStream_tbENKUlT_T0_E_clISt17integral_constantIbLb1EES10_IbLb0EEEEDaSW_SX_EUlSW_E_NS1_11comp_targetILNS1_3genE3ELNS1_11target_archE908ELNS1_3gpuE7ELNS1_3repE0EEENS1_30default_config_static_selectorELNS0_4arch9wavefront6targetE0EEEvT1_
    .private_segment_fixed_size: 0
    .sgpr_count:     0
    .sgpr_spill_count: 0
    .symbol:         _ZN7rocprim17ROCPRIM_400000_NS6detail17trampoline_kernelINS0_14default_configENS1_29reduce_by_key_config_selectorIjjN6thrust23THRUST_200600_302600_NS4plusIjEEEEZZNS1_33reduce_by_key_impl_wrapped_configILNS1_25lookback_scan_determinismE0ES3_S9_NS6_6detail15normal_iteratorINS6_10device_ptrIjEEEESG_SG_SG_PmS8_22is_equal_div_10_reduceIjEEE10hipError_tPvRmT2_T3_mT4_T5_T6_T7_T8_P12ihipStream_tbENKUlT_T0_E_clISt17integral_constantIbLb1EES10_IbLb0EEEEDaSW_SX_EUlSW_E_NS1_11comp_targetILNS1_3genE3ELNS1_11target_archE908ELNS1_3gpuE7ELNS1_3repE0EEENS1_30default_config_static_selectorELNS0_4arch9wavefront6targetE0EEEvT1_.kd
    .uniform_work_group_size: 1
    .uses_dynamic_stack: false
    .vgpr_count:     0
    .vgpr_spill_count: 0
    .wavefront_size: 32
    .workgroup_processor_mode: 1
  - .args:
      - .offset:         0
        .size:           120
        .value_kind:     by_value
    .group_segment_fixed_size: 0
    .kernarg_segment_align: 8
    .kernarg_segment_size: 120
    .language:       OpenCL C
    .language_version:
      - 2
      - 0
    .max_flat_workgroup_size: 256
    .name:           _ZN7rocprim17ROCPRIM_400000_NS6detail17trampoline_kernelINS0_14default_configENS1_29reduce_by_key_config_selectorIjjN6thrust23THRUST_200600_302600_NS4plusIjEEEEZZNS1_33reduce_by_key_impl_wrapped_configILNS1_25lookback_scan_determinismE0ES3_S9_NS6_6detail15normal_iteratorINS6_10device_ptrIjEEEESG_SG_SG_PmS8_22is_equal_div_10_reduceIjEEE10hipError_tPvRmT2_T3_mT4_T5_T6_T7_T8_P12ihipStream_tbENKUlT_T0_E_clISt17integral_constantIbLb1EES10_IbLb0EEEEDaSW_SX_EUlSW_E_NS1_11comp_targetILNS1_3genE2ELNS1_11target_archE906ELNS1_3gpuE6ELNS1_3repE0EEENS1_30default_config_static_selectorELNS0_4arch9wavefront6targetE0EEEvT1_
    .private_segment_fixed_size: 0
    .sgpr_count:     0
    .sgpr_spill_count: 0
    .symbol:         _ZN7rocprim17ROCPRIM_400000_NS6detail17trampoline_kernelINS0_14default_configENS1_29reduce_by_key_config_selectorIjjN6thrust23THRUST_200600_302600_NS4plusIjEEEEZZNS1_33reduce_by_key_impl_wrapped_configILNS1_25lookback_scan_determinismE0ES3_S9_NS6_6detail15normal_iteratorINS6_10device_ptrIjEEEESG_SG_SG_PmS8_22is_equal_div_10_reduceIjEEE10hipError_tPvRmT2_T3_mT4_T5_T6_T7_T8_P12ihipStream_tbENKUlT_T0_E_clISt17integral_constantIbLb1EES10_IbLb0EEEEDaSW_SX_EUlSW_E_NS1_11comp_targetILNS1_3genE2ELNS1_11target_archE906ELNS1_3gpuE6ELNS1_3repE0EEENS1_30default_config_static_selectorELNS0_4arch9wavefront6targetE0EEEvT1_.kd
    .uniform_work_group_size: 1
    .uses_dynamic_stack: false
    .vgpr_count:     0
    .vgpr_spill_count: 0
    .wavefront_size: 32
    .workgroup_processor_mode: 1
  - .args:
      - .offset:         0
        .size:           120
        .value_kind:     by_value
    .group_segment_fixed_size: 0
    .kernarg_segment_align: 8
    .kernarg_segment_size: 120
    .language:       OpenCL C
    .language_version:
      - 2
      - 0
    .max_flat_workgroup_size: 256
    .name:           _ZN7rocprim17ROCPRIM_400000_NS6detail17trampoline_kernelINS0_14default_configENS1_29reduce_by_key_config_selectorIjjN6thrust23THRUST_200600_302600_NS4plusIjEEEEZZNS1_33reduce_by_key_impl_wrapped_configILNS1_25lookback_scan_determinismE0ES3_S9_NS6_6detail15normal_iteratorINS6_10device_ptrIjEEEESG_SG_SG_PmS8_22is_equal_div_10_reduceIjEEE10hipError_tPvRmT2_T3_mT4_T5_T6_T7_T8_P12ihipStream_tbENKUlT_T0_E_clISt17integral_constantIbLb1EES10_IbLb0EEEEDaSW_SX_EUlSW_E_NS1_11comp_targetILNS1_3genE10ELNS1_11target_archE1201ELNS1_3gpuE5ELNS1_3repE0EEENS1_30default_config_static_selectorELNS0_4arch9wavefront6targetE0EEEvT1_
    .private_segment_fixed_size: 0
    .sgpr_count:     0
    .sgpr_spill_count: 0
    .symbol:         _ZN7rocprim17ROCPRIM_400000_NS6detail17trampoline_kernelINS0_14default_configENS1_29reduce_by_key_config_selectorIjjN6thrust23THRUST_200600_302600_NS4plusIjEEEEZZNS1_33reduce_by_key_impl_wrapped_configILNS1_25lookback_scan_determinismE0ES3_S9_NS6_6detail15normal_iteratorINS6_10device_ptrIjEEEESG_SG_SG_PmS8_22is_equal_div_10_reduceIjEEE10hipError_tPvRmT2_T3_mT4_T5_T6_T7_T8_P12ihipStream_tbENKUlT_T0_E_clISt17integral_constantIbLb1EES10_IbLb0EEEEDaSW_SX_EUlSW_E_NS1_11comp_targetILNS1_3genE10ELNS1_11target_archE1201ELNS1_3gpuE5ELNS1_3repE0EEENS1_30default_config_static_selectorELNS0_4arch9wavefront6targetE0EEEvT1_.kd
    .uniform_work_group_size: 1
    .uses_dynamic_stack: false
    .vgpr_count:     0
    .vgpr_spill_count: 0
    .wavefront_size: 32
    .workgroup_processor_mode: 1
  - .args:
      - .offset:         0
        .size:           120
        .value_kind:     by_value
    .group_segment_fixed_size: 0
    .kernarg_segment_align: 8
    .kernarg_segment_size: 120
    .language:       OpenCL C
    .language_version:
      - 2
      - 0
    .max_flat_workgroup_size: 256
    .name:           _ZN7rocprim17ROCPRIM_400000_NS6detail17trampoline_kernelINS0_14default_configENS1_29reduce_by_key_config_selectorIjjN6thrust23THRUST_200600_302600_NS4plusIjEEEEZZNS1_33reduce_by_key_impl_wrapped_configILNS1_25lookback_scan_determinismE0ES3_S9_NS6_6detail15normal_iteratorINS6_10device_ptrIjEEEESG_SG_SG_PmS8_22is_equal_div_10_reduceIjEEE10hipError_tPvRmT2_T3_mT4_T5_T6_T7_T8_P12ihipStream_tbENKUlT_T0_E_clISt17integral_constantIbLb1EES10_IbLb0EEEEDaSW_SX_EUlSW_E_NS1_11comp_targetILNS1_3genE10ELNS1_11target_archE1200ELNS1_3gpuE4ELNS1_3repE0EEENS1_30default_config_static_selectorELNS0_4arch9wavefront6targetE0EEEvT1_
    .private_segment_fixed_size: 0
    .sgpr_count:     0
    .sgpr_spill_count: 0
    .symbol:         _ZN7rocprim17ROCPRIM_400000_NS6detail17trampoline_kernelINS0_14default_configENS1_29reduce_by_key_config_selectorIjjN6thrust23THRUST_200600_302600_NS4plusIjEEEEZZNS1_33reduce_by_key_impl_wrapped_configILNS1_25lookback_scan_determinismE0ES3_S9_NS6_6detail15normal_iteratorINS6_10device_ptrIjEEEESG_SG_SG_PmS8_22is_equal_div_10_reduceIjEEE10hipError_tPvRmT2_T3_mT4_T5_T6_T7_T8_P12ihipStream_tbENKUlT_T0_E_clISt17integral_constantIbLb1EES10_IbLb0EEEEDaSW_SX_EUlSW_E_NS1_11comp_targetILNS1_3genE10ELNS1_11target_archE1200ELNS1_3gpuE4ELNS1_3repE0EEENS1_30default_config_static_selectorELNS0_4arch9wavefront6targetE0EEEvT1_.kd
    .uniform_work_group_size: 1
    .uses_dynamic_stack: false
    .vgpr_count:     0
    .vgpr_spill_count: 0
    .wavefront_size: 32
    .workgroup_processor_mode: 1
  - .args:
      - .offset:         0
        .size:           120
        .value_kind:     by_value
    .group_segment_fixed_size: 15360
    .kernarg_segment_align: 8
    .kernarg_segment_size: 120
    .language:       OpenCL C
    .language_version:
      - 2
      - 0
    .max_flat_workgroup_size: 256
    .name:           _ZN7rocprim17ROCPRIM_400000_NS6detail17trampoline_kernelINS0_14default_configENS1_29reduce_by_key_config_selectorIjjN6thrust23THRUST_200600_302600_NS4plusIjEEEEZZNS1_33reduce_by_key_impl_wrapped_configILNS1_25lookback_scan_determinismE0ES3_S9_NS6_6detail15normal_iteratorINS6_10device_ptrIjEEEESG_SG_SG_PmS8_22is_equal_div_10_reduceIjEEE10hipError_tPvRmT2_T3_mT4_T5_T6_T7_T8_P12ihipStream_tbENKUlT_T0_E_clISt17integral_constantIbLb1EES10_IbLb0EEEEDaSW_SX_EUlSW_E_NS1_11comp_targetILNS1_3genE9ELNS1_11target_archE1100ELNS1_3gpuE3ELNS1_3repE0EEENS1_30default_config_static_selectorELNS0_4arch9wavefront6targetE0EEEvT1_
    .private_segment_fixed_size: 0
    .sgpr_count:     46
    .sgpr_spill_count: 0
    .symbol:         _ZN7rocprim17ROCPRIM_400000_NS6detail17trampoline_kernelINS0_14default_configENS1_29reduce_by_key_config_selectorIjjN6thrust23THRUST_200600_302600_NS4plusIjEEEEZZNS1_33reduce_by_key_impl_wrapped_configILNS1_25lookback_scan_determinismE0ES3_S9_NS6_6detail15normal_iteratorINS6_10device_ptrIjEEEESG_SG_SG_PmS8_22is_equal_div_10_reduceIjEEE10hipError_tPvRmT2_T3_mT4_T5_T6_T7_T8_P12ihipStream_tbENKUlT_T0_E_clISt17integral_constantIbLb1EES10_IbLb0EEEEDaSW_SX_EUlSW_E_NS1_11comp_targetILNS1_3genE9ELNS1_11target_archE1100ELNS1_3gpuE3ELNS1_3repE0EEENS1_30default_config_static_selectorELNS0_4arch9wavefront6targetE0EEEvT1_.kd
    .uniform_work_group_size: 1
    .uses_dynamic_stack: false
    .vgpr_count:     87
    .vgpr_spill_count: 0
    .wavefront_size: 32
    .workgroup_processor_mode: 1
  - .args:
      - .offset:         0
        .size:           120
        .value_kind:     by_value
    .group_segment_fixed_size: 0
    .kernarg_segment_align: 8
    .kernarg_segment_size: 120
    .language:       OpenCL C
    .language_version:
      - 2
      - 0
    .max_flat_workgroup_size: 256
    .name:           _ZN7rocprim17ROCPRIM_400000_NS6detail17trampoline_kernelINS0_14default_configENS1_29reduce_by_key_config_selectorIjjN6thrust23THRUST_200600_302600_NS4plusIjEEEEZZNS1_33reduce_by_key_impl_wrapped_configILNS1_25lookback_scan_determinismE0ES3_S9_NS6_6detail15normal_iteratorINS6_10device_ptrIjEEEESG_SG_SG_PmS8_22is_equal_div_10_reduceIjEEE10hipError_tPvRmT2_T3_mT4_T5_T6_T7_T8_P12ihipStream_tbENKUlT_T0_E_clISt17integral_constantIbLb1EES10_IbLb0EEEEDaSW_SX_EUlSW_E_NS1_11comp_targetILNS1_3genE8ELNS1_11target_archE1030ELNS1_3gpuE2ELNS1_3repE0EEENS1_30default_config_static_selectorELNS0_4arch9wavefront6targetE0EEEvT1_
    .private_segment_fixed_size: 0
    .sgpr_count:     0
    .sgpr_spill_count: 0
    .symbol:         _ZN7rocprim17ROCPRIM_400000_NS6detail17trampoline_kernelINS0_14default_configENS1_29reduce_by_key_config_selectorIjjN6thrust23THRUST_200600_302600_NS4plusIjEEEEZZNS1_33reduce_by_key_impl_wrapped_configILNS1_25lookback_scan_determinismE0ES3_S9_NS6_6detail15normal_iteratorINS6_10device_ptrIjEEEESG_SG_SG_PmS8_22is_equal_div_10_reduceIjEEE10hipError_tPvRmT2_T3_mT4_T5_T6_T7_T8_P12ihipStream_tbENKUlT_T0_E_clISt17integral_constantIbLb1EES10_IbLb0EEEEDaSW_SX_EUlSW_E_NS1_11comp_targetILNS1_3genE8ELNS1_11target_archE1030ELNS1_3gpuE2ELNS1_3repE0EEENS1_30default_config_static_selectorELNS0_4arch9wavefront6targetE0EEEvT1_.kd
    .uniform_work_group_size: 1
    .uses_dynamic_stack: false
    .vgpr_count:     0
    .vgpr_spill_count: 0
    .wavefront_size: 32
    .workgroup_processor_mode: 1
  - .args:
      - .offset:         0
        .size:           120
        .value_kind:     by_value
    .group_segment_fixed_size: 0
    .kernarg_segment_align: 8
    .kernarg_segment_size: 120
    .language:       OpenCL C
    .language_version:
      - 2
      - 0
    .max_flat_workgroup_size: 256
    .name:           _ZN7rocprim17ROCPRIM_400000_NS6detail17trampoline_kernelINS0_14default_configENS1_29reduce_by_key_config_selectorIjjN6thrust23THRUST_200600_302600_NS4plusIjEEEEZZNS1_33reduce_by_key_impl_wrapped_configILNS1_25lookback_scan_determinismE0ES3_S9_NS6_6detail15normal_iteratorINS6_10device_ptrIjEEEESG_SG_SG_PmS8_22is_equal_div_10_reduceIjEEE10hipError_tPvRmT2_T3_mT4_T5_T6_T7_T8_P12ihipStream_tbENKUlT_T0_E_clISt17integral_constantIbLb0EES10_IbLb1EEEEDaSW_SX_EUlSW_E_NS1_11comp_targetILNS1_3genE0ELNS1_11target_archE4294967295ELNS1_3gpuE0ELNS1_3repE0EEENS1_30default_config_static_selectorELNS0_4arch9wavefront6targetE0EEEvT1_
    .private_segment_fixed_size: 0
    .sgpr_count:     0
    .sgpr_spill_count: 0
    .symbol:         _ZN7rocprim17ROCPRIM_400000_NS6detail17trampoline_kernelINS0_14default_configENS1_29reduce_by_key_config_selectorIjjN6thrust23THRUST_200600_302600_NS4plusIjEEEEZZNS1_33reduce_by_key_impl_wrapped_configILNS1_25lookback_scan_determinismE0ES3_S9_NS6_6detail15normal_iteratorINS6_10device_ptrIjEEEESG_SG_SG_PmS8_22is_equal_div_10_reduceIjEEE10hipError_tPvRmT2_T3_mT4_T5_T6_T7_T8_P12ihipStream_tbENKUlT_T0_E_clISt17integral_constantIbLb0EES10_IbLb1EEEEDaSW_SX_EUlSW_E_NS1_11comp_targetILNS1_3genE0ELNS1_11target_archE4294967295ELNS1_3gpuE0ELNS1_3repE0EEENS1_30default_config_static_selectorELNS0_4arch9wavefront6targetE0EEEvT1_.kd
    .uniform_work_group_size: 1
    .uses_dynamic_stack: false
    .vgpr_count:     0
    .vgpr_spill_count: 0
    .wavefront_size: 32
    .workgroup_processor_mode: 1
  - .args:
      - .offset:         0
        .size:           120
        .value_kind:     by_value
    .group_segment_fixed_size: 0
    .kernarg_segment_align: 8
    .kernarg_segment_size: 120
    .language:       OpenCL C
    .language_version:
      - 2
      - 0
    .max_flat_workgroup_size: 256
    .name:           _ZN7rocprim17ROCPRIM_400000_NS6detail17trampoline_kernelINS0_14default_configENS1_29reduce_by_key_config_selectorIjjN6thrust23THRUST_200600_302600_NS4plusIjEEEEZZNS1_33reduce_by_key_impl_wrapped_configILNS1_25lookback_scan_determinismE0ES3_S9_NS6_6detail15normal_iteratorINS6_10device_ptrIjEEEESG_SG_SG_PmS8_22is_equal_div_10_reduceIjEEE10hipError_tPvRmT2_T3_mT4_T5_T6_T7_T8_P12ihipStream_tbENKUlT_T0_E_clISt17integral_constantIbLb0EES10_IbLb1EEEEDaSW_SX_EUlSW_E_NS1_11comp_targetILNS1_3genE5ELNS1_11target_archE942ELNS1_3gpuE9ELNS1_3repE0EEENS1_30default_config_static_selectorELNS0_4arch9wavefront6targetE0EEEvT1_
    .private_segment_fixed_size: 0
    .sgpr_count:     0
    .sgpr_spill_count: 0
    .symbol:         _ZN7rocprim17ROCPRIM_400000_NS6detail17trampoline_kernelINS0_14default_configENS1_29reduce_by_key_config_selectorIjjN6thrust23THRUST_200600_302600_NS4plusIjEEEEZZNS1_33reduce_by_key_impl_wrapped_configILNS1_25lookback_scan_determinismE0ES3_S9_NS6_6detail15normal_iteratorINS6_10device_ptrIjEEEESG_SG_SG_PmS8_22is_equal_div_10_reduceIjEEE10hipError_tPvRmT2_T3_mT4_T5_T6_T7_T8_P12ihipStream_tbENKUlT_T0_E_clISt17integral_constantIbLb0EES10_IbLb1EEEEDaSW_SX_EUlSW_E_NS1_11comp_targetILNS1_3genE5ELNS1_11target_archE942ELNS1_3gpuE9ELNS1_3repE0EEENS1_30default_config_static_selectorELNS0_4arch9wavefront6targetE0EEEvT1_.kd
    .uniform_work_group_size: 1
    .uses_dynamic_stack: false
    .vgpr_count:     0
    .vgpr_spill_count: 0
    .wavefront_size: 32
    .workgroup_processor_mode: 1
  - .args:
      - .offset:         0
        .size:           120
        .value_kind:     by_value
    .group_segment_fixed_size: 0
    .kernarg_segment_align: 8
    .kernarg_segment_size: 120
    .language:       OpenCL C
    .language_version:
      - 2
      - 0
    .max_flat_workgroup_size: 256
    .name:           _ZN7rocprim17ROCPRIM_400000_NS6detail17trampoline_kernelINS0_14default_configENS1_29reduce_by_key_config_selectorIjjN6thrust23THRUST_200600_302600_NS4plusIjEEEEZZNS1_33reduce_by_key_impl_wrapped_configILNS1_25lookback_scan_determinismE0ES3_S9_NS6_6detail15normal_iteratorINS6_10device_ptrIjEEEESG_SG_SG_PmS8_22is_equal_div_10_reduceIjEEE10hipError_tPvRmT2_T3_mT4_T5_T6_T7_T8_P12ihipStream_tbENKUlT_T0_E_clISt17integral_constantIbLb0EES10_IbLb1EEEEDaSW_SX_EUlSW_E_NS1_11comp_targetILNS1_3genE4ELNS1_11target_archE910ELNS1_3gpuE8ELNS1_3repE0EEENS1_30default_config_static_selectorELNS0_4arch9wavefront6targetE0EEEvT1_
    .private_segment_fixed_size: 0
    .sgpr_count:     0
    .sgpr_spill_count: 0
    .symbol:         _ZN7rocprim17ROCPRIM_400000_NS6detail17trampoline_kernelINS0_14default_configENS1_29reduce_by_key_config_selectorIjjN6thrust23THRUST_200600_302600_NS4plusIjEEEEZZNS1_33reduce_by_key_impl_wrapped_configILNS1_25lookback_scan_determinismE0ES3_S9_NS6_6detail15normal_iteratorINS6_10device_ptrIjEEEESG_SG_SG_PmS8_22is_equal_div_10_reduceIjEEE10hipError_tPvRmT2_T3_mT4_T5_T6_T7_T8_P12ihipStream_tbENKUlT_T0_E_clISt17integral_constantIbLb0EES10_IbLb1EEEEDaSW_SX_EUlSW_E_NS1_11comp_targetILNS1_3genE4ELNS1_11target_archE910ELNS1_3gpuE8ELNS1_3repE0EEENS1_30default_config_static_selectorELNS0_4arch9wavefront6targetE0EEEvT1_.kd
    .uniform_work_group_size: 1
    .uses_dynamic_stack: false
    .vgpr_count:     0
    .vgpr_spill_count: 0
    .wavefront_size: 32
    .workgroup_processor_mode: 1
  - .args:
      - .offset:         0
        .size:           120
        .value_kind:     by_value
    .group_segment_fixed_size: 0
    .kernarg_segment_align: 8
    .kernarg_segment_size: 120
    .language:       OpenCL C
    .language_version:
      - 2
      - 0
    .max_flat_workgroup_size: 256
    .name:           _ZN7rocprim17ROCPRIM_400000_NS6detail17trampoline_kernelINS0_14default_configENS1_29reduce_by_key_config_selectorIjjN6thrust23THRUST_200600_302600_NS4plusIjEEEEZZNS1_33reduce_by_key_impl_wrapped_configILNS1_25lookback_scan_determinismE0ES3_S9_NS6_6detail15normal_iteratorINS6_10device_ptrIjEEEESG_SG_SG_PmS8_22is_equal_div_10_reduceIjEEE10hipError_tPvRmT2_T3_mT4_T5_T6_T7_T8_P12ihipStream_tbENKUlT_T0_E_clISt17integral_constantIbLb0EES10_IbLb1EEEEDaSW_SX_EUlSW_E_NS1_11comp_targetILNS1_3genE3ELNS1_11target_archE908ELNS1_3gpuE7ELNS1_3repE0EEENS1_30default_config_static_selectorELNS0_4arch9wavefront6targetE0EEEvT1_
    .private_segment_fixed_size: 0
    .sgpr_count:     0
    .sgpr_spill_count: 0
    .symbol:         _ZN7rocprim17ROCPRIM_400000_NS6detail17trampoline_kernelINS0_14default_configENS1_29reduce_by_key_config_selectorIjjN6thrust23THRUST_200600_302600_NS4plusIjEEEEZZNS1_33reduce_by_key_impl_wrapped_configILNS1_25lookback_scan_determinismE0ES3_S9_NS6_6detail15normal_iteratorINS6_10device_ptrIjEEEESG_SG_SG_PmS8_22is_equal_div_10_reduceIjEEE10hipError_tPvRmT2_T3_mT4_T5_T6_T7_T8_P12ihipStream_tbENKUlT_T0_E_clISt17integral_constantIbLb0EES10_IbLb1EEEEDaSW_SX_EUlSW_E_NS1_11comp_targetILNS1_3genE3ELNS1_11target_archE908ELNS1_3gpuE7ELNS1_3repE0EEENS1_30default_config_static_selectorELNS0_4arch9wavefront6targetE0EEEvT1_.kd
    .uniform_work_group_size: 1
    .uses_dynamic_stack: false
    .vgpr_count:     0
    .vgpr_spill_count: 0
    .wavefront_size: 32
    .workgroup_processor_mode: 1
  - .args:
      - .offset:         0
        .size:           120
        .value_kind:     by_value
    .group_segment_fixed_size: 0
    .kernarg_segment_align: 8
    .kernarg_segment_size: 120
    .language:       OpenCL C
    .language_version:
      - 2
      - 0
    .max_flat_workgroup_size: 256
    .name:           _ZN7rocprim17ROCPRIM_400000_NS6detail17trampoline_kernelINS0_14default_configENS1_29reduce_by_key_config_selectorIjjN6thrust23THRUST_200600_302600_NS4plusIjEEEEZZNS1_33reduce_by_key_impl_wrapped_configILNS1_25lookback_scan_determinismE0ES3_S9_NS6_6detail15normal_iteratorINS6_10device_ptrIjEEEESG_SG_SG_PmS8_22is_equal_div_10_reduceIjEEE10hipError_tPvRmT2_T3_mT4_T5_T6_T7_T8_P12ihipStream_tbENKUlT_T0_E_clISt17integral_constantIbLb0EES10_IbLb1EEEEDaSW_SX_EUlSW_E_NS1_11comp_targetILNS1_3genE2ELNS1_11target_archE906ELNS1_3gpuE6ELNS1_3repE0EEENS1_30default_config_static_selectorELNS0_4arch9wavefront6targetE0EEEvT1_
    .private_segment_fixed_size: 0
    .sgpr_count:     0
    .sgpr_spill_count: 0
    .symbol:         _ZN7rocprim17ROCPRIM_400000_NS6detail17trampoline_kernelINS0_14default_configENS1_29reduce_by_key_config_selectorIjjN6thrust23THRUST_200600_302600_NS4plusIjEEEEZZNS1_33reduce_by_key_impl_wrapped_configILNS1_25lookback_scan_determinismE0ES3_S9_NS6_6detail15normal_iteratorINS6_10device_ptrIjEEEESG_SG_SG_PmS8_22is_equal_div_10_reduceIjEEE10hipError_tPvRmT2_T3_mT4_T5_T6_T7_T8_P12ihipStream_tbENKUlT_T0_E_clISt17integral_constantIbLb0EES10_IbLb1EEEEDaSW_SX_EUlSW_E_NS1_11comp_targetILNS1_3genE2ELNS1_11target_archE906ELNS1_3gpuE6ELNS1_3repE0EEENS1_30default_config_static_selectorELNS0_4arch9wavefront6targetE0EEEvT1_.kd
    .uniform_work_group_size: 1
    .uses_dynamic_stack: false
    .vgpr_count:     0
    .vgpr_spill_count: 0
    .wavefront_size: 32
    .workgroup_processor_mode: 1
  - .args:
      - .offset:         0
        .size:           120
        .value_kind:     by_value
    .group_segment_fixed_size: 0
    .kernarg_segment_align: 8
    .kernarg_segment_size: 120
    .language:       OpenCL C
    .language_version:
      - 2
      - 0
    .max_flat_workgroup_size: 256
    .name:           _ZN7rocprim17ROCPRIM_400000_NS6detail17trampoline_kernelINS0_14default_configENS1_29reduce_by_key_config_selectorIjjN6thrust23THRUST_200600_302600_NS4plusIjEEEEZZNS1_33reduce_by_key_impl_wrapped_configILNS1_25lookback_scan_determinismE0ES3_S9_NS6_6detail15normal_iteratorINS6_10device_ptrIjEEEESG_SG_SG_PmS8_22is_equal_div_10_reduceIjEEE10hipError_tPvRmT2_T3_mT4_T5_T6_T7_T8_P12ihipStream_tbENKUlT_T0_E_clISt17integral_constantIbLb0EES10_IbLb1EEEEDaSW_SX_EUlSW_E_NS1_11comp_targetILNS1_3genE10ELNS1_11target_archE1201ELNS1_3gpuE5ELNS1_3repE0EEENS1_30default_config_static_selectorELNS0_4arch9wavefront6targetE0EEEvT1_
    .private_segment_fixed_size: 0
    .sgpr_count:     0
    .sgpr_spill_count: 0
    .symbol:         _ZN7rocprim17ROCPRIM_400000_NS6detail17trampoline_kernelINS0_14default_configENS1_29reduce_by_key_config_selectorIjjN6thrust23THRUST_200600_302600_NS4plusIjEEEEZZNS1_33reduce_by_key_impl_wrapped_configILNS1_25lookback_scan_determinismE0ES3_S9_NS6_6detail15normal_iteratorINS6_10device_ptrIjEEEESG_SG_SG_PmS8_22is_equal_div_10_reduceIjEEE10hipError_tPvRmT2_T3_mT4_T5_T6_T7_T8_P12ihipStream_tbENKUlT_T0_E_clISt17integral_constantIbLb0EES10_IbLb1EEEEDaSW_SX_EUlSW_E_NS1_11comp_targetILNS1_3genE10ELNS1_11target_archE1201ELNS1_3gpuE5ELNS1_3repE0EEENS1_30default_config_static_selectorELNS0_4arch9wavefront6targetE0EEEvT1_.kd
    .uniform_work_group_size: 1
    .uses_dynamic_stack: false
    .vgpr_count:     0
    .vgpr_spill_count: 0
    .wavefront_size: 32
    .workgroup_processor_mode: 1
  - .args:
      - .offset:         0
        .size:           120
        .value_kind:     by_value
    .group_segment_fixed_size: 0
    .kernarg_segment_align: 8
    .kernarg_segment_size: 120
    .language:       OpenCL C
    .language_version:
      - 2
      - 0
    .max_flat_workgroup_size: 256
    .name:           _ZN7rocprim17ROCPRIM_400000_NS6detail17trampoline_kernelINS0_14default_configENS1_29reduce_by_key_config_selectorIjjN6thrust23THRUST_200600_302600_NS4plusIjEEEEZZNS1_33reduce_by_key_impl_wrapped_configILNS1_25lookback_scan_determinismE0ES3_S9_NS6_6detail15normal_iteratorINS6_10device_ptrIjEEEESG_SG_SG_PmS8_22is_equal_div_10_reduceIjEEE10hipError_tPvRmT2_T3_mT4_T5_T6_T7_T8_P12ihipStream_tbENKUlT_T0_E_clISt17integral_constantIbLb0EES10_IbLb1EEEEDaSW_SX_EUlSW_E_NS1_11comp_targetILNS1_3genE10ELNS1_11target_archE1200ELNS1_3gpuE4ELNS1_3repE0EEENS1_30default_config_static_selectorELNS0_4arch9wavefront6targetE0EEEvT1_
    .private_segment_fixed_size: 0
    .sgpr_count:     0
    .sgpr_spill_count: 0
    .symbol:         _ZN7rocprim17ROCPRIM_400000_NS6detail17trampoline_kernelINS0_14default_configENS1_29reduce_by_key_config_selectorIjjN6thrust23THRUST_200600_302600_NS4plusIjEEEEZZNS1_33reduce_by_key_impl_wrapped_configILNS1_25lookback_scan_determinismE0ES3_S9_NS6_6detail15normal_iteratorINS6_10device_ptrIjEEEESG_SG_SG_PmS8_22is_equal_div_10_reduceIjEEE10hipError_tPvRmT2_T3_mT4_T5_T6_T7_T8_P12ihipStream_tbENKUlT_T0_E_clISt17integral_constantIbLb0EES10_IbLb1EEEEDaSW_SX_EUlSW_E_NS1_11comp_targetILNS1_3genE10ELNS1_11target_archE1200ELNS1_3gpuE4ELNS1_3repE0EEENS1_30default_config_static_selectorELNS0_4arch9wavefront6targetE0EEEvT1_.kd
    .uniform_work_group_size: 1
    .uses_dynamic_stack: false
    .vgpr_count:     0
    .vgpr_spill_count: 0
    .wavefront_size: 32
    .workgroup_processor_mode: 1
  - .args:
      - .offset:         0
        .size:           120
        .value_kind:     by_value
    .group_segment_fixed_size: 15360
    .kernarg_segment_align: 8
    .kernarg_segment_size: 120
    .language:       OpenCL C
    .language_version:
      - 2
      - 0
    .max_flat_workgroup_size: 256
    .name:           _ZN7rocprim17ROCPRIM_400000_NS6detail17trampoline_kernelINS0_14default_configENS1_29reduce_by_key_config_selectorIjjN6thrust23THRUST_200600_302600_NS4plusIjEEEEZZNS1_33reduce_by_key_impl_wrapped_configILNS1_25lookback_scan_determinismE0ES3_S9_NS6_6detail15normal_iteratorINS6_10device_ptrIjEEEESG_SG_SG_PmS8_22is_equal_div_10_reduceIjEEE10hipError_tPvRmT2_T3_mT4_T5_T6_T7_T8_P12ihipStream_tbENKUlT_T0_E_clISt17integral_constantIbLb0EES10_IbLb1EEEEDaSW_SX_EUlSW_E_NS1_11comp_targetILNS1_3genE9ELNS1_11target_archE1100ELNS1_3gpuE3ELNS1_3repE0EEENS1_30default_config_static_selectorELNS0_4arch9wavefront6targetE0EEEvT1_
    .private_segment_fixed_size: 0
    .sgpr_count:     46
    .sgpr_spill_count: 0
    .symbol:         _ZN7rocprim17ROCPRIM_400000_NS6detail17trampoline_kernelINS0_14default_configENS1_29reduce_by_key_config_selectorIjjN6thrust23THRUST_200600_302600_NS4plusIjEEEEZZNS1_33reduce_by_key_impl_wrapped_configILNS1_25lookback_scan_determinismE0ES3_S9_NS6_6detail15normal_iteratorINS6_10device_ptrIjEEEESG_SG_SG_PmS8_22is_equal_div_10_reduceIjEEE10hipError_tPvRmT2_T3_mT4_T5_T6_T7_T8_P12ihipStream_tbENKUlT_T0_E_clISt17integral_constantIbLb0EES10_IbLb1EEEEDaSW_SX_EUlSW_E_NS1_11comp_targetILNS1_3genE9ELNS1_11target_archE1100ELNS1_3gpuE3ELNS1_3repE0EEENS1_30default_config_static_selectorELNS0_4arch9wavefront6targetE0EEEvT1_.kd
    .uniform_work_group_size: 1
    .uses_dynamic_stack: false
    .vgpr_count:     86
    .vgpr_spill_count: 0
    .wavefront_size: 32
    .workgroup_processor_mode: 1
  - .args:
      - .offset:         0
        .size:           120
        .value_kind:     by_value
    .group_segment_fixed_size: 0
    .kernarg_segment_align: 8
    .kernarg_segment_size: 120
    .language:       OpenCL C
    .language_version:
      - 2
      - 0
    .max_flat_workgroup_size: 256
    .name:           _ZN7rocprim17ROCPRIM_400000_NS6detail17trampoline_kernelINS0_14default_configENS1_29reduce_by_key_config_selectorIjjN6thrust23THRUST_200600_302600_NS4plusIjEEEEZZNS1_33reduce_by_key_impl_wrapped_configILNS1_25lookback_scan_determinismE0ES3_S9_NS6_6detail15normal_iteratorINS6_10device_ptrIjEEEESG_SG_SG_PmS8_22is_equal_div_10_reduceIjEEE10hipError_tPvRmT2_T3_mT4_T5_T6_T7_T8_P12ihipStream_tbENKUlT_T0_E_clISt17integral_constantIbLb0EES10_IbLb1EEEEDaSW_SX_EUlSW_E_NS1_11comp_targetILNS1_3genE8ELNS1_11target_archE1030ELNS1_3gpuE2ELNS1_3repE0EEENS1_30default_config_static_selectorELNS0_4arch9wavefront6targetE0EEEvT1_
    .private_segment_fixed_size: 0
    .sgpr_count:     0
    .sgpr_spill_count: 0
    .symbol:         _ZN7rocprim17ROCPRIM_400000_NS6detail17trampoline_kernelINS0_14default_configENS1_29reduce_by_key_config_selectorIjjN6thrust23THRUST_200600_302600_NS4plusIjEEEEZZNS1_33reduce_by_key_impl_wrapped_configILNS1_25lookback_scan_determinismE0ES3_S9_NS6_6detail15normal_iteratorINS6_10device_ptrIjEEEESG_SG_SG_PmS8_22is_equal_div_10_reduceIjEEE10hipError_tPvRmT2_T3_mT4_T5_T6_T7_T8_P12ihipStream_tbENKUlT_T0_E_clISt17integral_constantIbLb0EES10_IbLb1EEEEDaSW_SX_EUlSW_E_NS1_11comp_targetILNS1_3genE8ELNS1_11target_archE1030ELNS1_3gpuE2ELNS1_3repE0EEENS1_30default_config_static_selectorELNS0_4arch9wavefront6targetE0EEEvT1_.kd
    .uniform_work_group_size: 1
    .uses_dynamic_stack: false
    .vgpr_count:     0
    .vgpr_spill_count: 0
    .wavefront_size: 32
    .workgroup_processor_mode: 1
  - .args:
      - .offset:         0
        .size:           16
        .value_kind:     by_value
      - .offset:         16
        .size:           8
        .value_kind:     by_value
      - .offset:         24
        .size:           8
        .value_kind:     by_value
    .group_segment_fixed_size: 0
    .kernarg_segment_align: 8
    .kernarg_segment_size: 32
    .language:       OpenCL C
    .language_version:
      - 2
      - 0
    .max_flat_workgroup_size: 256
    .name:           _ZN6thrust23THRUST_200600_302600_NS11hip_rocprim14__parallel_for6kernelILj256ENS1_20__uninitialized_fill7functorINS0_10device_ptrItEEtEEmLj1EEEvT0_T1_SA_
    .private_segment_fixed_size: 0
    .sgpr_count:     18
    .sgpr_spill_count: 0
    .symbol:         _ZN6thrust23THRUST_200600_302600_NS11hip_rocprim14__parallel_for6kernelILj256ENS1_20__uninitialized_fill7functorINS0_10device_ptrItEEtEEmLj1EEEvT0_T1_SA_.kd
    .uniform_work_group_size: 1
    .uses_dynamic_stack: false
    .vgpr_count:     3
    .vgpr_spill_count: 0
    .wavefront_size: 32
    .workgroup_processor_mode: 1
  - .args:
      - .address_space:  global
        .offset:         0
        .size:           8
        .value_kind:     global_buffer
      - .offset:         8
        .size:           4
        .value_kind:     by_value
      - .offset:         12
        .size:           1
        .value_kind:     by_value
      - .offset:         16
        .size:           4
        .value_kind:     by_value
      - .address_space:  global
        .offset:         24
        .size:           8
        .value_kind:     global_buffer
      - .address_space:  global
        .offset:         32
        .size:           8
        .value_kind:     global_buffer
      - .offset:         40
        .size:           1
        .value_kind:     by_value
      - .offset:         48
        .size:           4
        .value_kind:     hidden_block_count_x
      - .offset:         52
        .size:           4
        .value_kind:     hidden_block_count_y
      - .offset:         56
        .size:           4
        .value_kind:     hidden_block_count_z
      - .offset:         60
        .size:           2
        .value_kind:     hidden_group_size_x
      - .offset:         62
        .size:           2
        .value_kind:     hidden_group_size_y
      - .offset:         64
        .size:           2
        .value_kind:     hidden_group_size_z
      - .offset:         66
        .size:           2
        .value_kind:     hidden_remainder_x
      - .offset:         68
        .size:           2
        .value_kind:     hidden_remainder_y
      - .offset:         70
        .size:           2
        .value_kind:     hidden_remainder_z
      - .offset:         88
        .size:           8
        .value_kind:     hidden_global_offset_x
      - .offset:         96
        .size:           8
        .value_kind:     hidden_global_offset_y
      - .offset:         104
        .size:           8
        .value_kind:     hidden_global_offset_z
      - .offset:         112
        .size:           2
        .value_kind:     hidden_grid_dims
    .group_segment_fixed_size: 0
    .kernarg_segment_align: 8
    .kernarg_segment_size: 304
    .language:       OpenCL C
    .language_version:
      - 2
      - 0
    .max_flat_workgroup_size: 256
    .name:           _ZN7rocprim17ROCPRIM_400000_NS6detail25reduce_by_key_init_kernelINS1_19lookback_scan_stateINS0_5tupleIJjtEEELb0ELb1EEEtNS1_16block_id_wrapperIjLb0EEEEEvT_jbjPmPT0_T1_
    .private_segment_fixed_size: 0
    .sgpr_count:     18
    .sgpr_spill_count: 0
    .symbol:         _ZN7rocprim17ROCPRIM_400000_NS6detail25reduce_by_key_init_kernelINS1_19lookback_scan_stateINS0_5tupleIJjtEEELb0ELb1EEEtNS1_16block_id_wrapperIjLb0EEEEEvT_jbjPmPT0_T1_.kd
    .uniform_work_group_size: 1
    .uses_dynamic_stack: false
    .vgpr_count:     9
    .vgpr_spill_count: 0
    .wavefront_size: 32
    .workgroup_processor_mode: 1
  - .args:
      - .offset:         0
        .size:           120
        .value_kind:     by_value
    .group_segment_fixed_size: 0
    .kernarg_segment_align: 8
    .kernarg_segment_size: 120
    .language:       OpenCL C
    .language_version:
      - 2
      - 0
    .max_flat_workgroup_size: 256
    .name:           _ZN7rocprim17ROCPRIM_400000_NS6detail17trampoline_kernelINS0_14default_configENS1_29reduce_by_key_config_selectorIttN6thrust23THRUST_200600_302600_NS4plusItEEEEZZNS1_33reduce_by_key_impl_wrapped_configILNS1_25lookback_scan_determinismE0ES3_S9_NS6_6detail15normal_iteratorINS6_10device_ptrItEEEESG_SG_SG_PmS8_NS6_8equal_toItEEEE10hipError_tPvRmT2_T3_mT4_T5_T6_T7_T8_P12ihipStream_tbENKUlT_T0_E_clISt17integral_constantIbLb0EES11_EEDaSW_SX_EUlSW_E_NS1_11comp_targetILNS1_3genE0ELNS1_11target_archE4294967295ELNS1_3gpuE0ELNS1_3repE0EEENS1_30default_config_static_selectorELNS0_4arch9wavefront6targetE0EEEvT1_
    .private_segment_fixed_size: 0
    .sgpr_count:     0
    .sgpr_spill_count: 0
    .symbol:         _ZN7rocprim17ROCPRIM_400000_NS6detail17trampoline_kernelINS0_14default_configENS1_29reduce_by_key_config_selectorIttN6thrust23THRUST_200600_302600_NS4plusItEEEEZZNS1_33reduce_by_key_impl_wrapped_configILNS1_25lookback_scan_determinismE0ES3_S9_NS6_6detail15normal_iteratorINS6_10device_ptrItEEEESG_SG_SG_PmS8_NS6_8equal_toItEEEE10hipError_tPvRmT2_T3_mT4_T5_T6_T7_T8_P12ihipStream_tbENKUlT_T0_E_clISt17integral_constantIbLb0EES11_EEDaSW_SX_EUlSW_E_NS1_11comp_targetILNS1_3genE0ELNS1_11target_archE4294967295ELNS1_3gpuE0ELNS1_3repE0EEENS1_30default_config_static_selectorELNS0_4arch9wavefront6targetE0EEEvT1_.kd
    .uniform_work_group_size: 1
    .uses_dynamic_stack: false
    .vgpr_count:     0
    .vgpr_spill_count: 0
    .wavefront_size: 32
    .workgroup_processor_mode: 1
  - .args:
      - .offset:         0
        .size:           120
        .value_kind:     by_value
    .group_segment_fixed_size: 0
    .kernarg_segment_align: 8
    .kernarg_segment_size: 120
    .language:       OpenCL C
    .language_version:
      - 2
      - 0
    .max_flat_workgroup_size: 256
    .name:           _ZN7rocprim17ROCPRIM_400000_NS6detail17trampoline_kernelINS0_14default_configENS1_29reduce_by_key_config_selectorIttN6thrust23THRUST_200600_302600_NS4plusItEEEEZZNS1_33reduce_by_key_impl_wrapped_configILNS1_25lookback_scan_determinismE0ES3_S9_NS6_6detail15normal_iteratorINS6_10device_ptrItEEEESG_SG_SG_PmS8_NS6_8equal_toItEEEE10hipError_tPvRmT2_T3_mT4_T5_T6_T7_T8_P12ihipStream_tbENKUlT_T0_E_clISt17integral_constantIbLb0EES11_EEDaSW_SX_EUlSW_E_NS1_11comp_targetILNS1_3genE5ELNS1_11target_archE942ELNS1_3gpuE9ELNS1_3repE0EEENS1_30default_config_static_selectorELNS0_4arch9wavefront6targetE0EEEvT1_
    .private_segment_fixed_size: 0
    .sgpr_count:     0
    .sgpr_spill_count: 0
    .symbol:         _ZN7rocprim17ROCPRIM_400000_NS6detail17trampoline_kernelINS0_14default_configENS1_29reduce_by_key_config_selectorIttN6thrust23THRUST_200600_302600_NS4plusItEEEEZZNS1_33reduce_by_key_impl_wrapped_configILNS1_25lookback_scan_determinismE0ES3_S9_NS6_6detail15normal_iteratorINS6_10device_ptrItEEEESG_SG_SG_PmS8_NS6_8equal_toItEEEE10hipError_tPvRmT2_T3_mT4_T5_T6_T7_T8_P12ihipStream_tbENKUlT_T0_E_clISt17integral_constantIbLb0EES11_EEDaSW_SX_EUlSW_E_NS1_11comp_targetILNS1_3genE5ELNS1_11target_archE942ELNS1_3gpuE9ELNS1_3repE0EEENS1_30default_config_static_selectorELNS0_4arch9wavefront6targetE0EEEvT1_.kd
    .uniform_work_group_size: 1
    .uses_dynamic_stack: false
    .vgpr_count:     0
    .vgpr_spill_count: 0
    .wavefront_size: 32
    .workgroup_processor_mode: 1
  - .args:
      - .offset:         0
        .size:           120
        .value_kind:     by_value
    .group_segment_fixed_size: 0
    .kernarg_segment_align: 8
    .kernarg_segment_size: 120
    .language:       OpenCL C
    .language_version:
      - 2
      - 0
    .max_flat_workgroup_size: 256
    .name:           _ZN7rocprim17ROCPRIM_400000_NS6detail17trampoline_kernelINS0_14default_configENS1_29reduce_by_key_config_selectorIttN6thrust23THRUST_200600_302600_NS4plusItEEEEZZNS1_33reduce_by_key_impl_wrapped_configILNS1_25lookback_scan_determinismE0ES3_S9_NS6_6detail15normal_iteratorINS6_10device_ptrItEEEESG_SG_SG_PmS8_NS6_8equal_toItEEEE10hipError_tPvRmT2_T3_mT4_T5_T6_T7_T8_P12ihipStream_tbENKUlT_T0_E_clISt17integral_constantIbLb0EES11_EEDaSW_SX_EUlSW_E_NS1_11comp_targetILNS1_3genE4ELNS1_11target_archE910ELNS1_3gpuE8ELNS1_3repE0EEENS1_30default_config_static_selectorELNS0_4arch9wavefront6targetE0EEEvT1_
    .private_segment_fixed_size: 0
    .sgpr_count:     0
    .sgpr_spill_count: 0
    .symbol:         _ZN7rocprim17ROCPRIM_400000_NS6detail17trampoline_kernelINS0_14default_configENS1_29reduce_by_key_config_selectorIttN6thrust23THRUST_200600_302600_NS4plusItEEEEZZNS1_33reduce_by_key_impl_wrapped_configILNS1_25lookback_scan_determinismE0ES3_S9_NS6_6detail15normal_iteratorINS6_10device_ptrItEEEESG_SG_SG_PmS8_NS6_8equal_toItEEEE10hipError_tPvRmT2_T3_mT4_T5_T6_T7_T8_P12ihipStream_tbENKUlT_T0_E_clISt17integral_constantIbLb0EES11_EEDaSW_SX_EUlSW_E_NS1_11comp_targetILNS1_3genE4ELNS1_11target_archE910ELNS1_3gpuE8ELNS1_3repE0EEENS1_30default_config_static_selectorELNS0_4arch9wavefront6targetE0EEEvT1_.kd
    .uniform_work_group_size: 1
    .uses_dynamic_stack: false
    .vgpr_count:     0
    .vgpr_spill_count: 0
    .wavefront_size: 32
    .workgroup_processor_mode: 1
  - .args:
      - .offset:         0
        .size:           120
        .value_kind:     by_value
    .group_segment_fixed_size: 0
    .kernarg_segment_align: 8
    .kernarg_segment_size: 120
    .language:       OpenCL C
    .language_version:
      - 2
      - 0
    .max_flat_workgroup_size: 256
    .name:           _ZN7rocprim17ROCPRIM_400000_NS6detail17trampoline_kernelINS0_14default_configENS1_29reduce_by_key_config_selectorIttN6thrust23THRUST_200600_302600_NS4plusItEEEEZZNS1_33reduce_by_key_impl_wrapped_configILNS1_25lookback_scan_determinismE0ES3_S9_NS6_6detail15normal_iteratorINS6_10device_ptrItEEEESG_SG_SG_PmS8_NS6_8equal_toItEEEE10hipError_tPvRmT2_T3_mT4_T5_T6_T7_T8_P12ihipStream_tbENKUlT_T0_E_clISt17integral_constantIbLb0EES11_EEDaSW_SX_EUlSW_E_NS1_11comp_targetILNS1_3genE3ELNS1_11target_archE908ELNS1_3gpuE7ELNS1_3repE0EEENS1_30default_config_static_selectorELNS0_4arch9wavefront6targetE0EEEvT1_
    .private_segment_fixed_size: 0
    .sgpr_count:     0
    .sgpr_spill_count: 0
    .symbol:         _ZN7rocprim17ROCPRIM_400000_NS6detail17trampoline_kernelINS0_14default_configENS1_29reduce_by_key_config_selectorIttN6thrust23THRUST_200600_302600_NS4plusItEEEEZZNS1_33reduce_by_key_impl_wrapped_configILNS1_25lookback_scan_determinismE0ES3_S9_NS6_6detail15normal_iteratorINS6_10device_ptrItEEEESG_SG_SG_PmS8_NS6_8equal_toItEEEE10hipError_tPvRmT2_T3_mT4_T5_T6_T7_T8_P12ihipStream_tbENKUlT_T0_E_clISt17integral_constantIbLb0EES11_EEDaSW_SX_EUlSW_E_NS1_11comp_targetILNS1_3genE3ELNS1_11target_archE908ELNS1_3gpuE7ELNS1_3repE0EEENS1_30default_config_static_selectorELNS0_4arch9wavefront6targetE0EEEvT1_.kd
    .uniform_work_group_size: 1
    .uses_dynamic_stack: false
    .vgpr_count:     0
    .vgpr_spill_count: 0
    .wavefront_size: 32
    .workgroup_processor_mode: 1
  - .args:
      - .offset:         0
        .size:           120
        .value_kind:     by_value
    .group_segment_fixed_size: 0
    .kernarg_segment_align: 8
    .kernarg_segment_size: 120
    .language:       OpenCL C
    .language_version:
      - 2
      - 0
    .max_flat_workgroup_size: 256
    .name:           _ZN7rocprim17ROCPRIM_400000_NS6detail17trampoline_kernelINS0_14default_configENS1_29reduce_by_key_config_selectorIttN6thrust23THRUST_200600_302600_NS4plusItEEEEZZNS1_33reduce_by_key_impl_wrapped_configILNS1_25lookback_scan_determinismE0ES3_S9_NS6_6detail15normal_iteratorINS6_10device_ptrItEEEESG_SG_SG_PmS8_NS6_8equal_toItEEEE10hipError_tPvRmT2_T3_mT4_T5_T6_T7_T8_P12ihipStream_tbENKUlT_T0_E_clISt17integral_constantIbLb0EES11_EEDaSW_SX_EUlSW_E_NS1_11comp_targetILNS1_3genE2ELNS1_11target_archE906ELNS1_3gpuE6ELNS1_3repE0EEENS1_30default_config_static_selectorELNS0_4arch9wavefront6targetE0EEEvT1_
    .private_segment_fixed_size: 0
    .sgpr_count:     0
    .sgpr_spill_count: 0
    .symbol:         _ZN7rocprim17ROCPRIM_400000_NS6detail17trampoline_kernelINS0_14default_configENS1_29reduce_by_key_config_selectorIttN6thrust23THRUST_200600_302600_NS4plusItEEEEZZNS1_33reduce_by_key_impl_wrapped_configILNS1_25lookback_scan_determinismE0ES3_S9_NS6_6detail15normal_iteratorINS6_10device_ptrItEEEESG_SG_SG_PmS8_NS6_8equal_toItEEEE10hipError_tPvRmT2_T3_mT4_T5_T6_T7_T8_P12ihipStream_tbENKUlT_T0_E_clISt17integral_constantIbLb0EES11_EEDaSW_SX_EUlSW_E_NS1_11comp_targetILNS1_3genE2ELNS1_11target_archE906ELNS1_3gpuE6ELNS1_3repE0EEENS1_30default_config_static_selectorELNS0_4arch9wavefront6targetE0EEEvT1_.kd
    .uniform_work_group_size: 1
    .uses_dynamic_stack: false
    .vgpr_count:     0
    .vgpr_spill_count: 0
    .wavefront_size: 32
    .workgroup_processor_mode: 1
  - .args:
      - .offset:         0
        .size:           120
        .value_kind:     by_value
    .group_segment_fixed_size: 0
    .kernarg_segment_align: 8
    .kernarg_segment_size: 120
    .language:       OpenCL C
    .language_version:
      - 2
      - 0
    .max_flat_workgroup_size: 256
    .name:           _ZN7rocprim17ROCPRIM_400000_NS6detail17trampoline_kernelINS0_14default_configENS1_29reduce_by_key_config_selectorIttN6thrust23THRUST_200600_302600_NS4plusItEEEEZZNS1_33reduce_by_key_impl_wrapped_configILNS1_25lookback_scan_determinismE0ES3_S9_NS6_6detail15normal_iteratorINS6_10device_ptrItEEEESG_SG_SG_PmS8_NS6_8equal_toItEEEE10hipError_tPvRmT2_T3_mT4_T5_T6_T7_T8_P12ihipStream_tbENKUlT_T0_E_clISt17integral_constantIbLb0EES11_EEDaSW_SX_EUlSW_E_NS1_11comp_targetILNS1_3genE10ELNS1_11target_archE1201ELNS1_3gpuE5ELNS1_3repE0EEENS1_30default_config_static_selectorELNS0_4arch9wavefront6targetE0EEEvT1_
    .private_segment_fixed_size: 0
    .sgpr_count:     0
    .sgpr_spill_count: 0
    .symbol:         _ZN7rocprim17ROCPRIM_400000_NS6detail17trampoline_kernelINS0_14default_configENS1_29reduce_by_key_config_selectorIttN6thrust23THRUST_200600_302600_NS4plusItEEEEZZNS1_33reduce_by_key_impl_wrapped_configILNS1_25lookback_scan_determinismE0ES3_S9_NS6_6detail15normal_iteratorINS6_10device_ptrItEEEESG_SG_SG_PmS8_NS6_8equal_toItEEEE10hipError_tPvRmT2_T3_mT4_T5_T6_T7_T8_P12ihipStream_tbENKUlT_T0_E_clISt17integral_constantIbLb0EES11_EEDaSW_SX_EUlSW_E_NS1_11comp_targetILNS1_3genE10ELNS1_11target_archE1201ELNS1_3gpuE5ELNS1_3repE0EEENS1_30default_config_static_selectorELNS0_4arch9wavefront6targetE0EEEvT1_.kd
    .uniform_work_group_size: 1
    .uses_dynamic_stack: false
    .vgpr_count:     0
    .vgpr_spill_count: 0
    .wavefront_size: 32
    .workgroup_processor_mode: 1
  - .args:
      - .offset:         0
        .size:           120
        .value_kind:     by_value
    .group_segment_fixed_size: 0
    .kernarg_segment_align: 8
    .kernarg_segment_size: 120
    .language:       OpenCL C
    .language_version:
      - 2
      - 0
    .max_flat_workgroup_size: 256
    .name:           _ZN7rocprim17ROCPRIM_400000_NS6detail17trampoline_kernelINS0_14default_configENS1_29reduce_by_key_config_selectorIttN6thrust23THRUST_200600_302600_NS4plusItEEEEZZNS1_33reduce_by_key_impl_wrapped_configILNS1_25lookback_scan_determinismE0ES3_S9_NS6_6detail15normal_iteratorINS6_10device_ptrItEEEESG_SG_SG_PmS8_NS6_8equal_toItEEEE10hipError_tPvRmT2_T3_mT4_T5_T6_T7_T8_P12ihipStream_tbENKUlT_T0_E_clISt17integral_constantIbLb0EES11_EEDaSW_SX_EUlSW_E_NS1_11comp_targetILNS1_3genE10ELNS1_11target_archE1200ELNS1_3gpuE4ELNS1_3repE0EEENS1_30default_config_static_selectorELNS0_4arch9wavefront6targetE0EEEvT1_
    .private_segment_fixed_size: 0
    .sgpr_count:     0
    .sgpr_spill_count: 0
    .symbol:         _ZN7rocprim17ROCPRIM_400000_NS6detail17trampoline_kernelINS0_14default_configENS1_29reduce_by_key_config_selectorIttN6thrust23THRUST_200600_302600_NS4plusItEEEEZZNS1_33reduce_by_key_impl_wrapped_configILNS1_25lookback_scan_determinismE0ES3_S9_NS6_6detail15normal_iteratorINS6_10device_ptrItEEEESG_SG_SG_PmS8_NS6_8equal_toItEEEE10hipError_tPvRmT2_T3_mT4_T5_T6_T7_T8_P12ihipStream_tbENKUlT_T0_E_clISt17integral_constantIbLb0EES11_EEDaSW_SX_EUlSW_E_NS1_11comp_targetILNS1_3genE10ELNS1_11target_archE1200ELNS1_3gpuE4ELNS1_3repE0EEENS1_30default_config_static_selectorELNS0_4arch9wavefront6targetE0EEEvT1_.kd
    .uniform_work_group_size: 1
    .uses_dynamic_stack: false
    .vgpr_count:     0
    .vgpr_spill_count: 0
    .wavefront_size: 32
    .workgroup_processor_mode: 1
  - .args:
      - .offset:         0
        .size:           120
        .value_kind:     by_value
    .group_segment_fixed_size: 7680
    .kernarg_segment_align: 8
    .kernarg_segment_size: 120
    .language:       OpenCL C
    .language_version:
      - 2
      - 0
    .max_flat_workgroup_size: 256
    .name:           _ZN7rocprim17ROCPRIM_400000_NS6detail17trampoline_kernelINS0_14default_configENS1_29reduce_by_key_config_selectorIttN6thrust23THRUST_200600_302600_NS4plusItEEEEZZNS1_33reduce_by_key_impl_wrapped_configILNS1_25lookback_scan_determinismE0ES3_S9_NS6_6detail15normal_iteratorINS6_10device_ptrItEEEESG_SG_SG_PmS8_NS6_8equal_toItEEEE10hipError_tPvRmT2_T3_mT4_T5_T6_T7_T8_P12ihipStream_tbENKUlT_T0_E_clISt17integral_constantIbLb0EES11_EEDaSW_SX_EUlSW_E_NS1_11comp_targetILNS1_3genE9ELNS1_11target_archE1100ELNS1_3gpuE3ELNS1_3repE0EEENS1_30default_config_static_selectorELNS0_4arch9wavefront6targetE0EEEvT1_
    .private_segment_fixed_size: 0
    .sgpr_count:     46
    .sgpr_spill_count: 0
    .symbol:         _ZN7rocprim17ROCPRIM_400000_NS6detail17trampoline_kernelINS0_14default_configENS1_29reduce_by_key_config_selectorIttN6thrust23THRUST_200600_302600_NS4plusItEEEEZZNS1_33reduce_by_key_impl_wrapped_configILNS1_25lookback_scan_determinismE0ES3_S9_NS6_6detail15normal_iteratorINS6_10device_ptrItEEEESG_SG_SG_PmS8_NS6_8equal_toItEEEE10hipError_tPvRmT2_T3_mT4_T5_T6_T7_T8_P12ihipStream_tbENKUlT_T0_E_clISt17integral_constantIbLb0EES11_EEDaSW_SX_EUlSW_E_NS1_11comp_targetILNS1_3genE9ELNS1_11target_archE1100ELNS1_3gpuE3ELNS1_3repE0EEENS1_30default_config_static_selectorELNS0_4arch9wavefront6targetE0EEEvT1_.kd
    .uniform_work_group_size: 1
    .uses_dynamic_stack: false
    .vgpr_count:     102
    .vgpr_spill_count: 0
    .wavefront_size: 32
    .workgroup_processor_mode: 1
  - .args:
      - .offset:         0
        .size:           120
        .value_kind:     by_value
    .group_segment_fixed_size: 0
    .kernarg_segment_align: 8
    .kernarg_segment_size: 120
    .language:       OpenCL C
    .language_version:
      - 2
      - 0
    .max_flat_workgroup_size: 256
    .name:           _ZN7rocprim17ROCPRIM_400000_NS6detail17trampoline_kernelINS0_14default_configENS1_29reduce_by_key_config_selectorIttN6thrust23THRUST_200600_302600_NS4plusItEEEEZZNS1_33reduce_by_key_impl_wrapped_configILNS1_25lookback_scan_determinismE0ES3_S9_NS6_6detail15normal_iteratorINS6_10device_ptrItEEEESG_SG_SG_PmS8_NS6_8equal_toItEEEE10hipError_tPvRmT2_T3_mT4_T5_T6_T7_T8_P12ihipStream_tbENKUlT_T0_E_clISt17integral_constantIbLb0EES11_EEDaSW_SX_EUlSW_E_NS1_11comp_targetILNS1_3genE8ELNS1_11target_archE1030ELNS1_3gpuE2ELNS1_3repE0EEENS1_30default_config_static_selectorELNS0_4arch9wavefront6targetE0EEEvT1_
    .private_segment_fixed_size: 0
    .sgpr_count:     0
    .sgpr_spill_count: 0
    .symbol:         _ZN7rocprim17ROCPRIM_400000_NS6detail17trampoline_kernelINS0_14default_configENS1_29reduce_by_key_config_selectorIttN6thrust23THRUST_200600_302600_NS4plusItEEEEZZNS1_33reduce_by_key_impl_wrapped_configILNS1_25lookback_scan_determinismE0ES3_S9_NS6_6detail15normal_iteratorINS6_10device_ptrItEEEESG_SG_SG_PmS8_NS6_8equal_toItEEEE10hipError_tPvRmT2_T3_mT4_T5_T6_T7_T8_P12ihipStream_tbENKUlT_T0_E_clISt17integral_constantIbLb0EES11_EEDaSW_SX_EUlSW_E_NS1_11comp_targetILNS1_3genE8ELNS1_11target_archE1030ELNS1_3gpuE2ELNS1_3repE0EEENS1_30default_config_static_selectorELNS0_4arch9wavefront6targetE0EEEvT1_.kd
    .uniform_work_group_size: 1
    .uses_dynamic_stack: false
    .vgpr_count:     0
    .vgpr_spill_count: 0
    .wavefront_size: 32
    .workgroup_processor_mode: 1
  - .args:
      - .address_space:  global
        .offset:         0
        .size:           8
        .value_kind:     global_buffer
      - .offset:         8
        .size:           4
        .value_kind:     by_value
      - .offset:         12
        .size:           1
        .value_kind:     by_value
      - .offset:         16
        .size:           4
        .value_kind:     by_value
      - .address_space:  global
        .offset:         24
        .size:           8
        .value_kind:     global_buffer
      - .address_space:  global
        .offset:         32
        .size:           8
        .value_kind:     global_buffer
      - .address_space:  global
        .offset:         40
        .size:           8
        .value_kind:     global_buffer
      - .offset:         48
        .size:           4
        .value_kind:     hidden_block_count_x
      - .offset:         52
        .size:           4
        .value_kind:     hidden_block_count_y
      - .offset:         56
        .size:           4
        .value_kind:     hidden_block_count_z
      - .offset:         60
        .size:           2
        .value_kind:     hidden_group_size_x
      - .offset:         62
        .size:           2
        .value_kind:     hidden_group_size_y
      - .offset:         64
        .size:           2
        .value_kind:     hidden_group_size_z
      - .offset:         66
        .size:           2
        .value_kind:     hidden_remainder_x
      - .offset:         68
        .size:           2
        .value_kind:     hidden_remainder_y
      - .offset:         70
        .size:           2
        .value_kind:     hidden_remainder_z
      - .offset:         88
        .size:           8
        .value_kind:     hidden_global_offset_x
      - .offset:         96
        .size:           8
        .value_kind:     hidden_global_offset_y
      - .offset:         104
        .size:           8
        .value_kind:     hidden_global_offset_z
      - .offset:         112
        .size:           2
        .value_kind:     hidden_grid_dims
    .group_segment_fixed_size: 0
    .kernarg_segment_align: 8
    .kernarg_segment_size: 304
    .language:       OpenCL C
    .language_version:
      - 2
      - 0
    .max_flat_workgroup_size: 256
    .name:           _ZN7rocprim17ROCPRIM_400000_NS6detail25reduce_by_key_init_kernelINS1_19lookback_scan_stateINS0_5tupleIJjtEEELb1ELb1EEEtNS1_16block_id_wrapperIjLb1EEEEEvT_jbjPmPT0_T1_
    .private_segment_fixed_size: 0
    .sgpr_count:     18
    .sgpr_spill_count: 0
    .symbol:         _ZN7rocprim17ROCPRIM_400000_NS6detail25reduce_by_key_init_kernelINS1_19lookback_scan_stateINS0_5tupleIJjtEEELb1ELb1EEEtNS1_16block_id_wrapperIjLb1EEEEEvT_jbjPmPT0_T1_.kd
    .uniform_work_group_size: 1
    .uses_dynamic_stack: false
    .vgpr_count:     9
    .vgpr_spill_count: 0
    .wavefront_size: 32
    .workgroup_processor_mode: 1
  - .args:
      - .offset:         0
        .size:           120
        .value_kind:     by_value
    .group_segment_fixed_size: 0
    .kernarg_segment_align: 8
    .kernarg_segment_size: 120
    .language:       OpenCL C
    .language_version:
      - 2
      - 0
    .max_flat_workgroup_size: 256
    .name:           _ZN7rocprim17ROCPRIM_400000_NS6detail17trampoline_kernelINS0_14default_configENS1_29reduce_by_key_config_selectorIttN6thrust23THRUST_200600_302600_NS4plusItEEEEZZNS1_33reduce_by_key_impl_wrapped_configILNS1_25lookback_scan_determinismE0ES3_S9_NS6_6detail15normal_iteratorINS6_10device_ptrItEEEESG_SG_SG_PmS8_NS6_8equal_toItEEEE10hipError_tPvRmT2_T3_mT4_T5_T6_T7_T8_P12ihipStream_tbENKUlT_T0_E_clISt17integral_constantIbLb1EES11_EEDaSW_SX_EUlSW_E_NS1_11comp_targetILNS1_3genE0ELNS1_11target_archE4294967295ELNS1_3gpuE0ELNS1_3repE0EEENS1_30default_config_static_selectorELNS0_4arch9wavefront6targetE0EEEvT1_
    .private_segment_fixed_size: 0
    .sgpr_count:     0
    .sgpr_spill_count: 0
    .symbol:         _ZN7rocprim17ROCPRIM_400000_NS6detail17trampoline_kernelINS0_14default_configENS1_29reduce_by_key_config_selectorIttN6thrust23THRUST_200600_302600_NS4plusItEEEEZZNS1_33reduce_by_key_impl_wrapped_configILNS1_25lookback_scan_determinismE0ES3_S9_NS6_6detail15normal_iteratorINS6_10device_ptrItEEEESG_SG_SG_PmS8_NS6_8equal_toItEEEE10hipError_tPvRmT2_T3_mT4_T5_T6_T7_T8_P12ihipStream_tbENKUlT_T0_E_clISt17integral_constantIbLb1EES11_EEDaSW_SX_EUlSW_E_NS1_11comp_targetILNS1_3genE0ELNS1_11target_archE4294967295ELNS1_3gpuE0ELNS1_3repE0EEENS1_30default_config_static_selectorELNS0_4arch9wavefront6targetE0EEEvT1_.kd
    .uniform_work_group_size: 1
    .uses_dynamic_stack: false
    .vgpr_count:     0
    .vgpr_spill_count: 0
    .wavefront_size: 32
    .workgroup_processor_mode: 1
  - .args:
      - .offset:         0
        .size:           120
        .value_kind:     by_value
    .group_segment_fixed_size: 0
    .kernarg_segment_align: 8
    .kernarg_segment_size: 120
    .language:       OpenCL C
    .language_version:
      - 2
      - 0
    .max_flat_workgroup_size: 256
    .name:           _ZN7rocprim17ROCPRIM_400000_NS6detail17trampoline_kernelINS0_14default_configENS1_29reduce_by_key_config_selectorIttN6thrust23THRUST_200600_302600_NS4plusItEEEEZZNS1_33reduce_by_key_impl_wrapped_configILNS1_25lookback_scan_determinismE0ES3_S9_NS6_6detail15normal_iteratorINS6_10device_ptrItEEEESG_SG_SG_PmS8_NS6_8equal_toItEEEE10hipError_tPvRmT2_T3_mT4_T5_T6_T7_T8_P12ihipStream_tbENKUlT_T0_E_clISt17integral_constantIbLb1EES11_EEDaSW_SX_EUlSW_E_NS1_11comp_targetILNS1_3genE5ELNS1_11target_archE942ELNS1_3gpuE9ELNS1_3repE0EEENS1_30default_config_static_selectorELNS0_4arch9wavefront6targetE0EEEvT1_
    .private_segment_fixed_size: 0
    .sgpr_count:     0
    .sgpr_spill_count: 0
    .symbol:         _ZN7rocprim17ROCPRIM_400000_NS6detail17trampoline_kernelINS0_14default_configENS1_29reduce_by_key_config_selectorIttN6thrust23THRUST_200600_302600_NS4plusItEEEEZZNS1_33reduce_by_key_impl_wrapped_configILNS1_25lookback_scan_determinismE0ES3_S9_NS6_6detail15normal_iteratorINS6_10device_ptrItEEEESG_SG_SG_PmS8_NS6_8equal_toItEEEE10hipError_tPvRmT2_T3_mT4_T5_T6_T7_T8_P12ihipStream_tbENKUlT_T0_E_clISt17integral_constantIbLb1EES11_EEDaSW_SX_EUlSW_E_NS1_11comp_targetILNS1_3genE5ELNS1_11target_archE942ELNS1_3gpuE9ELNS1_3repE0EEENS1_30default_config_static_selectorELNS0_4arch9wavefront6targetE0EEEvT1_.kd
    .uniform_work_group_size: 1
    .uses_dynamic_stack: false
    .vgpr_count:     0
    .vgpr_spill_count: 0
    .wavefront_size: 32
    .workgroup_processor_mode: 1
  - .args:
      - .offset:         0
        .size:           120
        .value_kind:     by_value
    .group_segment_fixed_size: 0
    .kernarg_segment_align: 8
    .kernarg_segment_size: 120
    .language:       OpenCL C
    .language_version:
      - 2
      - 0
    .max_flat_workgroup_size: 256
    .name:           _ZN7rocprim17ROCPRIM_400000_NS6detail17trampoline_kernelINS0_14default_configENS1_29reduce_by_key_config_selectorIttN6thrust23THRUST_200600_302600_NS4plusItEEEEZZNS1_33reduce_by_key_impl_wrapped_configILNS1_25lookback_scan_determinismE0ES3_S9_NS6_6detail15normal_iteratorINS6_10device_ptrItEEEESG_SG_SG_PmS8_NS6_8equal_toItEEEE10hipError_tPvRmT2_T3_mT4_T5_T6_T7_T8_P12ihipStream_tbENKUlT_T0_E_clISt17integral_constantIbLb1EES11_EEDaSW_SX_EUlSW_E_NS1_11comp_targetILNS1_3genE4ELNS1_11target_archE910ELNS1_3gpuE8ELNS1_3repE0EEENS1_30default_config_static_selectorELNS0_4arch9wavefront6targetE0EEEvT1_
    .private_segment_fixed_size: 0
    .sgpr_count:     0
    .sgpr_spill_count: 0
    .symbol:         _ZN7rocprim17ROCPRIM_400000_NS6detail17trampoline_kernelINS0_14default_configENS1_29reduce_by_key_config_selectorIttN6thrust23THRUST_200600_302600_NS4plusItEEEEZZNS1_33reduce_by_key_impl_wrapped_configILNS1_25lookback_scan_determinismE0ES3_S9_NS6_6detail15normal_iteratorINS6_10device_ptrItEEEESG_SG_SG_PmS8_NS6_8equal_toItEEEE10hipError_tPvRmT2_T3_mT4_T5_T6_T7_T8_P12ihipStream_tbENKUlT_T0_E_clISt17integral_constantIbLb1EES11_EEDaSW_SX_EUlSW_E_NS1_11comp_targetILNS1_3genE4ELNS1_11target_archE910ELNS1_3gpuE8ELNS1_3repE0EEENS1_30default_config_static_selectorELNS0_4arch9wavefront6targetE0EEEvT1_.kd
    .uniform_work_group_size: 1
    .uses_dynamic_stack: false
    .vgpr_count:     0
    .vgpr_spill_count: 0
    .wavefront_size: 32
    .workgroup_processor_mode: 1
  - .args:
      - .offset:         0
        .size:           120
        .value_kind:     by_value
    .group_segment_fixed_size: 0
    .kernarg_segment_align: 8
    .kernarg_segment_size: 120
    .language:       OpenCL C
    .language_version:
      - 2
      - 0
    .max_flat_workgroup_size: 256
    .name:           _ZN7rocprim17ROCPRIM_400000_NS6detail17trampoline_kernelINS0_14default_configENS1_29reduce_by_key_config_selectorIttN6thrust23THRUST_200600_302600_NS4plusItEEEEZZNS1_33reduce_by_key_impl_wrapped_configILNS1_25lookback_scan_determinismE0ES3_S9_NS6_6detail15normal_iteratorINS6_10device_ptrItEEEESG_SG_SG_PmS8_NS6_8equal_toItEEEE10hipError_tPvRmT2_T3_mT4_T5_T6_T7_T8_P12ihipStream_tbENKUlT_T0_E_clISt17integral_constantIbLb1EES11_EEDaSW_SX_EUlSW_E_NS1_11comp_targetILNS1_3genE3ELNS1_11target_archE908ELNS1_3gpuE7ELNS1_3repE0EEENS1_30default_config_static_selectorELNS0_4arch9wavefront6targetE0EEEvT1_
    .private_segment_fixed_size: 0
    .sgpr_count:     0
    .sgpr_spill_count: 0
    .symbol:         _ZN7rocprim17ROCPRIM_400000_NS6detail17trampoline_kernelINS0_14default_configENS1_29reduce_by_key_config_selectorIttN6thrust23THRUST_200600_302600_NS4plusItEEEEZZNS1_33reduce_by_key_impl_wrapped_configILNS1_25lookback_scan_determinismE0ES3_S9_NS6_6detail15normal_iteratorINS6_10device_ptrItEEEESG_SG_SG_PmS8_NS6_8equal_toItEEEE10hipError_tPvRmT2_T3_mT4_T5_T6_T7_T8_P12ihipStream_tbENKUlT_T0_E_clISt17integral_constantIbLb1EES11_EEDaSW_SX_EUlSW_E_NS1_11comp_targetILNS1_3genE3ELNS1_11target_archE908ELNS1_3gpuE7ELNS1_3repE0EEENS1_30default_config_static_selectorELNS0_4arch9wavefront6targetE0EEEvT1_.kd
    .uniform_work_group_size: 1
    .uses_dynamic_stack: false
    .vgpr_count:     0
    .vgpr_spill_count: 0
    .wavefront_size: 32
    .workgroup_processor_mode: 1
  - .args:
      - .offset:         0
        .size:           120
        .value_kind:     by_value
    .group_segment_fixed_size: 0
    .kernarg_segment_align: 8
    .kernarg_segment_size: 120
    .language:       OpenCL C
    .language_version:
      - 2
      - 0
    .max_flat_workgroup_size: 256
    .name:           _ZN7rocprim17ROCPRIM_400000_NS6detail17trampoline_kernelINS0_14default_configENS1_29reduce_by_key_config_selectorIttN6thrust23THRUST_200600_302600_NS4plusItEEEEZZNS1_33reduce_by_key_impl_wrapped_configILNS1_25lookback_scan_determinismE0ES3_S9_NS6_6detail15normal_iteratorINS6_10device_ptrItEEEESG_SG_SG_PmS8_NS6_8equal_toItEEEE10hipError_tPvRmT2_T3_mT4_T5_T6_T7_T8_P12ihipStream_tbENKUlT_T0_E_clISt17integral_constantIbLb1EES11_EEDaSW_SX_EUlSW_E_NS1_11comp_targetILNS1_3genE2ELNS1_11target_archE906ELNS1_3gpuE6ELNS1_3repE0EEENS1_30default_config_static_selectorELNS0_4arch9wavefront6targetE0EEEvT1_
    .private_segment_fixed_size: 0
    .sgpr_count:     0
    .sgpr_spill_count: 0
    .symbol:         _ZN7rocprim17ROCPRIM_400000_NS6detail17trampoline_kernelINS0_14default_configENS1_29reduce_by_key_config_selectorIttN6thrust23THRUST_200600_302600_NS4plusItEEEEZZNS1_33reduce_by_key_impl_wrapped_configILNS1_25lookback_scan_determinismE0ES3_S9_NS6_6detail15normal_iteratorINS6_10device_ptrItEEEESG_SG_SG_PmS8_NS6_8equal_toItEEEE10hipError_tPvRmT2_T3_mT4_T5_T6_T7_T8_P12ihipStream_tbENKUlT_T0_E_clISt17integral_constantIbLb1EES11_EEDaSW_SX_EUlSW_E_NS1_11comp_targetILNS1_3genE2ELNS1_11target_archE906ELNS1_3gpuE6ELNS1_3repE0EEENS1_30default_config_static_selectorELNS0_4arch9wavefront6targetE0EEEvT1_.kd
    .uniform_work_group_size: 1
    .uses_dynamic_stack: false
    .vgpr_count:     0
    .vgpr_spill_count: 0
    .wavefront_size: 32
    .workgroup_processor_mode: 1
  - .args:
      - .offset:         0
        .size:           120
        .value_kind:     by_value
    .group_segment_fixed_size: 0
    .kernarg_segment_align: 8
    .kernarg_segment_size: 120
    .language:       OpenCL C
    .language_version:
      - 2
      - 0
    .max_flat_workgroup_size: 256
    .name:           _ZN7rocprim17ROCPRIM_400000_NS6detail17trampoline_kernelINS0_14default_configENS1_29reduce_by_key_config_selectorIttN6thrust23THRUST_200600_302600_NS4plusItEEEEZZNS1_33reduce_by_key_impl_wrapped_configILNS1_25lookback_scan_determinismE0ES3_S9_NS6_6detail15normal_iteratorINS6_10device_ptrItEEEESG_SG_SG_PmS8_NS6_8equal_toItEEEE10hipError_tPvRmT2_T3_mT4_T5_T6_T7_T8_P12ihipStream_tbENKUlT_T0_E_clISt17integral_constantIbLb1EES11_EEDaSW_SX_EUlSW_E_NS1_11comp_targetILNS1_3genE10ELNS1_11target_archE1201ELNS1_3gpuE5ELNS1_3repE0EEENS1_30default_config_static_selectorELNS0_4arch9wavefront6targetE0EEEvT1_
    .private_segment_fixed_size: 0
    .sgpr_count:     0
    .sgpr_spill_count: 0
    .symbol:         _ZN7rocprim17ROCPRIM_400000_NS6detail17trampoline_kernelINS0_14default_configENS1_29reduce_by_key_config_selectorIttN6thrust23THRUST_200600_302600_NS4plusItEEEEZZNS1_33reduce_by_key_impl_wrapped_configILNS1_25lookback_scan_determinismE0ES3_S9_NS6_6detail15normal_iteratorINS6_10device_ptrItEEEESG_SG_SG_PmS8_NS6_8equal_toItEEEE10hipError_tPvRmT2_T3_mT4_T5_T6_T7_T8_P12ihipStream_tbENKUlT_T0_E_clISt17integral_constantIbLb1EES11_EEDaSW_SX_EUlSW_E_NS1_11comp_targetILNS1_3genE10ELNS1_11target_archE1201ELNS1_3gpuE5ELNS1_3repE0EEENS1_30default_config_static_selectorELNS0_4arch9wavefront6targetE0EEEvT1_.kd
    .uniform_work_group_size: 1
    .uses_dynamic_stack: false
    .vgpr_count:     0
    .vgpr_spill_count: 0
    .wavefront_size: 32
    .workgroup_processor_mode: 1
  - .args:
      - .offset:         0
        .size:           120
        .value_kind:     by_value
    .group_segment_fixed_size: 0
    .kernarg_segment_align: 8
    .kernarg_segment_size: 120
    .language:       OpenCL C
    .language_version:
      - 2
      - 0
    .max_flat_workgroup_size: 256
    .name:           _ZN7rocprim17ROCPRIM_400000_NS6detail17trampoline_kernelINS0_14default_configENS1_29reduce_by_key_config_selectorIttN6thrust23THRUST_200600_302600_NS4plusItEEEEZZNS1_33reduce_by_key_impl_wrapped_configILNS1_25lookback_scan_determinismE0ES3_S9_NS6_6detail15normal_iteratorINS6_10device_ptrItEEEESG_SG_SG_PmS8_NS6_8equal_toItEEEE10hipError_tPvRmT2_T3_mT4_T5_T6_T7_T8_P12ihipStream_tbENKUlT_T0_E_clISt17integral_constantIbLb1EES11_EEDaSW_SX_EUlSW_E_NS1_11comp_targetILNS1_3genE10ELNS1_11target_archE1200ELNS1_3gpuE4ELNS1_3repE0EEENS1_30default_config_static_selectorELNS0_4arch9wavefront6targetE0EEEvT1_
    .private_segment_fixed_size: 0
    .sgpr_count:     0
    .sgpr_spill_count: 0
    .symbol:         _ZN7rocprim17ROCPRIM_400000_NS6detail17trampoline_kernelINS0_14default_configENS1_29reduce_by_key_config_selectorIttN6thrust23THRUST_200600_302600_NS4plusItEEEEZZNS1_33reduce_by_key_impl_wrapped_configILNS1_25lookback_scan_determinismE0ES3_S9_NS6_6detail15normal_iteratorINS6_10device_ptrItEEEESG_SG_SG_PmS8_NS6_8equal_toItEEEE10hipError_tPvRmT2_T3_mT4_T5_T6_T7_T8_P12ihipStream_tbENKUlT_T0_E_clISt17integral_constantIbLb1EES11_EEDaSW_SX_EUlSW_E_NS1_11comp_targetILNS1_3genE10ELNS1_11target_archE1200ELNS1_3gpuE4ELNS1_3repE0EEENS1_30default_config_static_selectorELNS0_4arch9wavefront6targetE0EEEvT1_.kd
    .uniform_work_group_size: 1
    .uses_dynamic_stack: false
    .vgpr_count:     0
    .vgpr_spill_count: 0
    .wavefront_size: 32
    .workgroup_processor_mode: 1
  - .args:
      - .offset:         0
        .size:           120
        .value_kind:     by_value
    .group_segment_fixed_size: 7680
    .kernarg_segment_align: 8
    .kernarg_segment_size: 120
    .language:       OpenCL C
    .language_version:
      - 2
      - 0
    .max_flat_workgroup_size: 256
    .name:           _ZN7rocprim17ROCPRIM_400000_NS6detail17trampoline_kernelINS0_14default_configENS1_29reduce_by_key_config_selectorIttN6thrust23THRUST_200600_302600_NS4plusItEEEEZZNS1_33reduce_by_key_impl_wrapped_configILNS1_25lookback_scan_determinismE0ES3_S9_NS6_6detail15normal_iteratorINS6_10device_ptrItEEEESG_SG_SG_PmS8_NS6_8equal_toItEEEE10hipError_tPvRmT2_T3_mT4_T5_T6_T7_T8_P12ihipStream_tbENKUlT_T0_E_clISt17integral_constantIbLb1EES11_EEDaSW_SX_EUlSW_E_NS1_11comp_targetILNS1_3genE9ELNS1_11target_archE1100ELNS1_3gpuE3ELNS1_3repE0EEENS1_30default_config_static_selectorELNS0_4arch9wavefront6targetE0EEEvT1_
    .private_segment_fixed_size: 0
    .sgpr_count:     48
    .sgpr_spill_count: 0
    .symbol:         _ZN7rocprim17ROCPRIM_400000_NS6detail17trampoline_kernelINS0_14default_configENS1_29reduce_by_key_config_selectorIttN6thrust23THRUST_200600_302600_NS4plusItEEEEZZNS1_33reduce_by_key_impl_wrapped_configILNS1_25lookback_scan_determinismE0ES3_S9_NS6_6detail15normal_iteratorINS6_10device_ptrItEEEESG_SG_SG_PmS8_NS6_8equal_toItEEEE10hipError_tPvRmT2_T3_mT4_T5_T6_T7_T8_P12ihipStream_tbENKUlT_T0_E_clISt17integral_constantIbLb1EES11_EEDaSW_SX_EUlSW_E_NS1_11comp_targetILNS1_3genE9ELNS1_11target_archE1100ELNS1_3gpuE3ELNS1_3repE0EEENS1_30default_config_static_selectorELNS0_4arch9wavefront6targetE0EEEvT1_.kd
    .uniform_work_group_size: 1
    .uses_dynamic_stack: false
    .vgpr_count:     102
    .vgpr_spill_count: 0
    .wavefront_size: 32
    .workgroup_processor_mode: 1
  - .args:
      - .offset:         0
        .size:           120
        .value_kind:     by_value
    .group_segment_fixed_size: 0
    .kernarg_segment_align: 8
    .kernarg_segment_size: 120
    .language:       OpenCL C
    .language_version:
      - 2
      - 0
    .max_flat_workgroup_size: 256
    .name:           _ZN7rocprim17ROCPRIM_400000_NS6detail17trampoline_kernelINS0_14default_configENS1_29reduce_by_key_config_selectorIttN6thrust23THRUST_200600_302600_NS4plusItEEEEZZNS1_33reduce_by_key_impl_wrapped_configILNS1_25lookback_scan_determinismE0ES3_S9_NS6_6detail15normal_iteratorINS6_10device_ptrItEEEESG_SG_SG_PmS8_NS6_8equal_toItEEEE10hipError_tPvRmT2_T3_mT4_T5_T6_T7_T8_P12ihipStream_tbENKUlT_T0_E_clISt17integral_constantIbLb1EES11_EEDaSW_SX_EUlSW_E_NS1_11comp_targetILNS1_3genE8ELNS1_11target_archE1030ELNS1_3gpuE2ELNS1_3repE0EEENS1_30default_config_static_selectorELNS0_4arch9wavefront6targetE0EEEvT1_
    .private_segment_fixed_size: 0
    .sgpr_count:     0
    .sgpr_spill_count: 0
    .symbol:         _ZN7rocprim17ROCPRIM_400000_NS6detail17trampoline_kernelINS0_14default_configENS1_29reduce_by_key_config_selectorIttN6thrust23THRUST_200600_302600_NS4plusItEEEEZZNS1_33reduce_by_key_impl_wrapped_configILNS1_25lookback_scan_determinismE0ES3_S9_NS6_6detail15normal_iteratorINS6_10device_ptrItEEEESG_SG_SG_PmS8_NS6_8equal_toItEEEE10hipError_tPvRmT2_T3_mT4_T5_T6_T7_T8_P12ihipStream_tbENKUlT_T0_E_clISt17integral_constantIbLb1EES11_EEDaSW_SX_EUlSW_E_NS1_11comp_targetILNS1_3genE8ELNS1_11target_archE1030ELNS1_3gpuE2ELNS1_3repE0EEENS1_30default_config_static_selectorELNS0_4arch9wavefront6targetE0EEEvT1_.kd
    .uniform_work_group_size: 1
    .uses_dynamic_stack: false
    .vgpr_count:     0
    .vgpr_spill_count: 0
    .wavefront_size: 32
    .workgroup_processor_mode: 1
  - .args:
      - .address_space:  global
        .offset:         0
        .size:           8
        .value_kind:     global_buffer
      - .offset:         8
        .size:           4
        .value_kind:     by_value
      - .offset:         12
        .size:           1
        .value_kind:     by_value
      - .offset:         16
        .size:           4
        .value_kind:     by_value
      - .address_space:  global
        .offset:         24
        .size:           8
        .value_kind:     global_buffer
      - .address_space:  global
        .offset:         32
        .size:           8
        .value_kind:     global_buffer
      - .offset:         40
        .size:           1
        .value_kind:     by_value
      - .offset:         48
        .size:           4
        .value_kind:     hidden_block_count_x
      - .offset:         52
        .size:           4
        .value_kind:     hidden_block_count_y
      - .offset:         56
        .size:           4
        .value_kind:     hidden_block_count_z
      - .offset:         60
        .size:           2
        .value_kind:     hidden_group_size_x
      - .offset:         62
        .size:           2
        .value_kind:     hidden_group_size_y
      - .offset:         64
        .size:           2
        .value_kind:     hidden_group_size_z
      - .offset:         66
        .size:           2
        .value_kind:     hidden_remainder_x
      - .offset:         68
        .size:           2
        .value_kind:     hidden_remainder_y
      - .offset:         70
        .size:           2
        .value_kind:     hidden_remainder_z
      - .offset:         88
        .size:           8
        .value_kind:     hidden_global_offset_x
      - .offset:         96
        .size:           8
        .value_kind:     hidden_global_offset_y
      - .offset:         104
        .size:           8
        .value_kind:     hidden_global_offset_z
      - .offset:         112
        .size:           2
        .value_kind:     hidden_grid_dims
    .group_segment_fixed_size: 0
    .kernarg_segment_align: 8
    .kernarg_segment_size: 304
    .language:       OpenCL C
    .language_version:
      - 2
      - 0
    .max_flat_workgroup_size: 256
    .name:           _ZN7rocprim17ROCPRIM_400000_NS6detail25reduce_by_key_init_kernelINS1_19lookback_scan_stateINS0_5tupleIJjtEEELb1ELb1EEEtNS1_16block_id_wrapperIjLb0EEEEEvT_jbjPmPT0_T1_
    .private_segment_fixed_size: 0
    .sgpr_count:     18
    .sgpr_spill_count: 0
    .symbol:         _ZN7rocprim17ROCPRIM_400000_NS6detail25reduce_by_key_init_kernelINS1_19lookback_scan_stateINS0_5tupleIJjtEEELb1ELb1EEEtNS1_16block_id_wrapperIjLb0EEEEEvT_jbjPmPT0_T1_.kd
    .uniform_work_group_size: 1
    .uses_dynamic_stack: false
    .vgpr_count:     9
    .vgpr_spill_count: 0
    .wavefront_size: 32
    .workgroup_processor_mode: 1
  - .args:
      - .offset:         0
        .size:           120
        .value_kind:     by_value
    .group_segment_fixed_size: 0
    .kernarg_segment_align: 8
    .kernarg_segment_size: 120
    .language:       OpenCL C
    .language_version:
      - 2
      - 0
    .max_flat_workgroup_size: 256
    .name:           _ZN7rocprim17ROCPRIM_400000_NS6detail17trampoline_kernelINS0_14default_configENS1_29reduce_by_key_config_selectorIttN6thrust23THRUST_200600_302600_NS4plusItEEEEZZNS1_33reduce_by_key_impl_wrapped_configILNS1_25lookback_scan_determinismE0ES3_S9_NS6_6detail15normal_iteratorINS6_10device_ptrItEEEESG_SG_SG_PmS8_NS6_8equal_toItEEEE10hipError_tPvRmT2_T3_mT4_T5_T6_T7_T8_P12ihipStream_tbENKUlT_T0_E_clISt17integral_constantIbLb1EES10_IbLb0EEEEDaSW_SX_EUlSW_E_NS1_11comp_targetILNS1_3genE0ELNS1_11target_archE4294967295ELNS1_3gpuE0ELNS1_3repE0EEENS1_30default_config_static_selectorELNS0_4arch9wavefront6targetE0EEEvT1_
    .private_segment_fixed_size: 0
    .sgpr_count:     0
    .sgpr_spill_count: 0
    .symbol:         _ZN7rocprim17ROCPRIM_400000_NS6detail17trampoline_kernelINS0_14default_configENS1_29reduce_by_key_config_selectorIttN6thrust23THRUST_200600_302600_NS4plusItEEEEZZNS1_33reduce_by_key_impl_wrapped_configILNS1_25lookback_scan_determinismE0ES3_S9_NS6_6detail15normal_iteratorINS6_10device_ptrItEEEESG_SG_SG_PmS8_NS6_8equal_toItEEEE10hipError_tPvRmT2_T3_mT4_T5_T6_T7_T8_P12ihipStream_tbENKUlT_T0_E_clISt17integral_constantIbLb1EES10_IbLb0EEEEDaSW_SX_EUlSW_E_NS1_11comp_targetILNS1_3genE0ELNS1_11target_archE4294967295ELNS1_3gpuE0ELNS1_3repE0EEENS1_30default_config_static_selectorELNS0_4arch9wavefront6targetE0EEEvT1_.kd
    .uniform_work_group_size: 1
    .uses_dynamic_stack: false
    .vgpr_count:     0
    .vgpr_spill_count: 0
    .wavefront_size: 32
    .workgroup_processor_mode: 1
  - .args:
      - .offset:         0
        .size:           120
        .value_kind:     by_value
    .group_segment_fixed_size: 0
    .kernarg_segment_align: 8
    .kernarg_segment_size: 120
    .language:       OpenCL C
    .language_version:
      - 2
      - 0
    .max_flat_workgroup_size: 256
    .name:           _ZN7rocprim17ROCPRIM_400000_NS6detail17trampoline_kernelINS0_14default_configENS1_29reduce_by_key_config_selectorIttN6thrust23THRUST_200600_302600_NS4plusItEEEEZZNS1_33reduce_by_key_impl_wrapped_configILNS1_25lookback_scan_determinismE0ES3_S9_NS6_6detail15normal_iteratorINS6_10device_ptrItEEEESG_SG_SG_PmS8_NS6_8equal_toItEEEE10hipError_tPvRmT2_T3_mT4_T5_T6_T7_T8_P12ihipStream_tbENKUlT_T0_E_clISt17integral_constantIbLb1EES10_IbLb0EEEEDaSW_SX_EUlSW_E_NS1_11comp_targetILNS1_3genE5ELNS1_11target_archE942ELNS1_3gpuE9ELNS1_3repE0EEENS1_30default_config_static_selectorELNS0_4arch9wavefront6targetE0EEEvT1_
    .private_segment_fixed_size: 0
    .sgpr_count:     0
    .sgpr_spill_count: 0
    .symbol:         _ZN7rocprim17ROCPRIM_400000_NS6detail17trampoline_kernelINS0_14default_configENS1_29reduce_by_key_config_selectorIttN6thrust23THRUST_200600_302600_NS4plusItEEEEZZNS1_33reduce_by_key_impl_wrapped_configILNS1_25lookback_scan_determinismE0ES3_S9_NS6_6detail15normal_iteratorINS6_10device_ptrItEEEESG_SG_SG_PmS8_NS6_8equal_toItEEEE10hipError_tPvRmT2_T3_mT4_T5_T6_T7_T8_P12ihipStream_tbENKUlT_T0_E_clISt17integral_constantIbLb1EES10_IbLb0EEEEDaSW_SX_EUlSW_E_NS1_11comp_targetILNS1_3genE5ELNS1_11target_archE942ELNS1_3gpuE9ELNS1_3repE0EEENS1_30default_config_static_selectorELNS0_4arch9wavefront6targetE0EEEvT1_.kd
    .uniform_work_group_size: 1
    .uses_dynamic_stack: false
    .vgpr_count:     0
    .vgpr_spill_count: 0
    .wavefront_size: 32
    .workgroup_processor_mode: 1
  - .args:
      - .offset:         0
        .size:           120
        .value_kind:     by_value
    .group_segment_fixed_size: 0
    .kernarg_segment_align: 8
    .kernarg_segment_size: 120
    .language:       OpenCL C
    .language_version:
      - 2
      - 0
    .max_flat_workgroup_size: 256
    .name:           _ZN7rocprim17ROCPRIM_400000_NS6detail17trampoline_kernelINS0_14default_configENS1_29reduce_by_key_config_selectorIttN6thrust23THRUST_200600_302600_NS4plusItEEEEZZNS1_33reduce_by_key_impl_wrapped_configILNS1_25lookback_scan_determinismE0ES3_S9_NS6_6detail15normal_iteratorINS6_10device_ptrItEEEESG_SG_SG_PmS8_NS6_8equal_toItEEEE10hipError_tPvRmT2_T3_mT4_T5_T6_T7_T8_P12ihipStream_tbENKUlT_T0_E_clISt17integral_constantIbLb1EES10_IbLb0EEEEDaSW_SX_EUlSW_E_NS1_11comp_targetILNS1_3genE4ELNS1_11target_archE910ELNS1_3gpuE8ELNS1_3repE0EEENS1_30default_config_static_selectorELNS0_4arch9wavefront6targetE0EEEvT1_
    .private_segment_fixed_size: 0
    .sgpr_count:     0
    .sgpr_spill_count: 0
    .symbol:         _ZN7rocprim17ROCPRIM_400000_NS6detail17trampoline_kernelINS0_14default_configENS1_29reduce_by_key_config_selectorIttN6thrust23THRUST_200600_302600_NS4plusItEEEEZZNS1_33reduce_by_key_impl_wrapped_configILNS1_25lookback_scan_determinismE0ES3_S9_NS6_6detail15normal_iteratorINS6_10device_ptrItEEEESG_SG_SG_PmS8_NS6_8equal_toItEEEE10hipError_tPvRmT2_T3_mT4_T5_T6_T7_T8_P12ihipStream_tbENKUlT_T0_E_clISt17integral_constantIbLb1EES10_IbLb0EEEEDaSW_SX_EUlSW_E_NS1_11comp_targetILNS1_3genE4ELNS1_11target_archE910ELNS1_3gpuE8ELNS1_3repE0EEENS1_30default_config_static_selectorELNS0_4arch9wavefront6targetE0EEEvT1_.kd
    .uniform_work_group_size: 1
    .uses_dynamic_stack: false
    .vgpr_count:     0
    .vgpr_spill_count: 0
    .wavefront_size: 32
    .workgroup_processor_mode: 1
  - .args:
      - .offset:         0
        .size:           120
        .value_kind:     by_value
    .group_segment_fixed_size: 0
    .kernarg_segment_align: 8
    .kernarg_segment_size: 120
    .language:       OpenCL C
    .language_version:
      - 2
      - 0
    .max_flat_workgroup_size: 256
    .name:           _ZN7rocprim17ROCPRIM_400000_NS6detail17trampoline_kernelINS0_14default_configENS1_29reduce_by_key_config_selectorIttN6thrust23THRUST_200600_302600_NS4plusItEEEEZZNS1_33reduce_by_key_impl_wrapped_configILNS1_25lookback_scan_determinismE0ES3_S9_NS6_6detail15normal_iteratorINS6_10device_ptrItEEEESG_SG_SG_PmS8_NS6_8equal_toItEEEE10hipError_tPvRmT2_T3_mT4_T5_T6_T7_T8_P12ihipStream_tbENKUlT_T0_E_clISt17integral_constantIbLb1EES10_IbLb0EEEEDaSW_SX_EUlSW_E_NS1_11comp_targetILNS1_3genE3ELNS1_11target_archE908ELNS1_3gpuE7ELNS1_3repE0EEENS1_30default_config_static_selectorELNS0_4arch9wavefront6targetE0EEEvT1_
    .private_segment_fixed_size: 0
    .sgpr_count:     0
    .sgpr_spill_count: 0
    .symbol:         _ZN7rocprim17ROCPRIM_400000_NS6detail17trampoline_kernelINS0_14default_configENS1_29reduce_by_key_config_selectorIttN6thrust23THRUST_200600_302600_NS4plusItEEEEZZNS1_33reduce_by_key_impl_wrapped_configILNS1_25lookback_scan_determinismE0ES3_S9_NS6_6detail15normal_iteratorINS6_10device_ptrItEEEESG_SG_SG_PmS8_NS6_8equal_toItEEEE10hipError_tPvRmT2_T3_mT4_T5_T6_T7_T8_P12ihipStream_tbENKUlT_T0_E_clISt17integral_constantIbLb1EES10_IbLb0EEEEDaSW_SX_EUlSW_E_NS1_11comp_targetILNS1_3genE3ELNS1_11target_archE908ELNS1_3gpuE7ELNS1_3repE0EEENS1_30default_config_static_selectorELNS0_4arch9wavefront6targetE0EEEvT1_.kd
    .uniform_work_group_size: 1
    .uses_dynamic_stack: false
    .vgpr_count:     0
    .vgpr_spill_count: 0
    .wavefront_size: 32
    .workgroup_processor_mode: 1
  - .args:
      - .offset:         0
        .size:           120
        .value_kind:     by_value
    .group_segment_fixed_size: 0
    .kernarg_segment_align: 8
    .kernarg_segment_size: 120
    .language:       OpenCL C
    .language_version:
      - 2
      - 0
    .max_flat_workgroup_size: 256
    .name:           _ZN7rocprim17ROCPRIM_400000_NS6detail17trampoline_kernelINS0_14default_configENS1_29reduce_by_key_config_selectorIttN6thrust23THRUST_200600_302600_NS4plusItEEEEZZNS1_33reduce_by_key_impl_wrapped_configILNS1_25lookback_scan_determinismE0ES3_S9_NS6_6detail15normal_iteratorINS6_10device_ptrItEEEESG_SG_SG_PmS8_NS6_8equal_toItEEEE10hipError_tPvRmT2_T3_mT4_T5_T6_T7_T8_P12ihipStream_tbENKUlT_T0_E_clISt17integral_constantIbLb1EES10_IbLb0EEEEDaSW_SX_EUlSW_E_NS1_11comp_targetILNS1_3genE2ELNS1_11target_archE906ELNS1_3gpuE6ELNS1_3repE0EEENS1_30default_config_static_selectorELNS0_4arch9wavefront6targetE0EEEvT1_
    .private_segment_fixed_size: 0
    .sgpr_count:     0
    .sgpr_spill_count: 0
    .symbol:         _ZN7rocprim17ROCPRIM_400000_NS6detail17trampoline_kernelINS0_14default_configENS1_29reduce_by_key_config_selectorIttN6thrust23THRUST_200600_302600_NS4plusItEEEEZZNS1_33reduce_by_key_impl_wrapped_configILNS1_25lookback_scan_determinismE0ES3_S9_NS6_6detail15normal_iteratorINS6_10device_ptrItEEEESG_SG_SG_PmS8_NS6_8equal_toItEEEE10hipError_tPvRmT2_T3_mT4_T5_T6_T7_T8_P12ihipStream_tbENKUlT_T0_E_clISt17integral_constantIbLb1EES10_IbLb0EEEEDaSW_SX_EUlSW_E_NS1_11comp_targetILNS1_3genE2ELNS1_11target_archE906ELNS1_3gpuE6ELNS1_3repE0EEENS1_30default_config_static_selectorELNS0_4arch9wavefront6targetE0EEEvT1_.kd
    .uniform_work_group_size: 1
    .uses_dynamic_stack: false
    .vgpr_count:     0
    .vgpr_spill_count: 0
    .wavefront_size: 32
    .workgroup_processor_mode: 1
  - .args:
      - .offset:         0
        .size:           120
        .value_kind:     by_value
    .group_segment_fixed_size: 0
    .kernarg_segment_align: 8
    .kernarg_segment_size: 120
    .language:       OpenCL C
    .language_version:
      - 2
      - 0
    .max_flat_workgroup_size: 256
    .name:           _ZN7rocprim17ROCPRIM_400000_NS6detail17trampoline_kernelINS0_14default_configENS1_29reduce_by_key_config_selectorIttN6thrust23THRUST_200600_302600_NS4plusItEEEEZZNS1_33reduce_by_key_impl_wrapped_configILNS1_25lookback_scan_determinismE0ES3_S9_NS6_6detail15normal_iteratorINS6_10device_ptrItEEEESG_SG_SG_PmS8_NS6_8equal_toItEEEE10hipError_tPvRmT2_T3_mT4_T5_T6_T7_T8_P12ihipStream_tbENKUlT_T0_E_clISt17integral_constantIbLb1EES10_IbLb0EEEEDaSW_SX_EUlSW_E_NS1_11comp_targetILNS1_3genE10ELNS1_11target_archE1201ELNS1_3gpuE5ELNS1_3repE0EEENS1_30default_config_static_selectorELNS0_4arch9wavefront6targetE0EEEvT1_
    .private_segment_fixed_size: 0
    .sgpr_count:     0
    .sgpr_spill_count: 0
    .symbol:         _ZN7rocprim17ROCPRIM_400000_NS6detail17trampoline_kernelINS0_14default_configENS1_29reduce_by_key_config_selectorIttN6thrust23THRUST_200600_302600_NS4plusItEEEEZZNS1_33reduce_by_key_impl_wrapped_configILNS1_25lookback_scan_determinismE0ES3_S9_NS6_6detail15normal_iteratorINS6_10device_ptrItEEEESG_SG_SG_PmS8_NS6_8equal_toItEEEE10hipError_tPvRmT2_T3_mT4_T5_T6_T7_T8_P12ihipStream_tbENKUlT_T0_E_clISt17integral_constantIbLb1EES10_IbLb0EEEEDaSW_SX_EUlSW_E_NS1_11comp_targetILNS1_3genE10ELNS1_11target_archE1201ELNS1_3gpuE5ELNS1_3repE0EEENS1_30default_config_static_selectorELNS0_4arch9wavefront6targetE0EEEvT1_.kd
    .uniform_work_group_size: 1
    .uses_dynamic_stack: false
    .vgpr_count:     0
    .vgpr_spill_count: 0
    .wavefront_size: 32
    .workgroup_processor_mode: 1
  - .args:
      - .offset:         0
        .size:           120
        .value_kind:     by_value
    .group_segment_fixed_size: 0
    .kernarg_segment_align: 8
    .kernarg_segment_size: 120
    .language:       OpenCL C
    .language_version:
      - 2
      - 0
    .max_flat_workgroup_size: 256
    .name:           _ZN7rocprim17ROCPRIM_400000_NS6detail17trampoline_kernelINS0_14default_configENS1_29reduce_by_key_config_selectorIttN6thrust23THRUST_200600_302600_NS4plusItEEEEZZNS1_33reduce_by_key_impl_wrapped_configILNS1_25lookback_scan_determinismE0ES3_S9_NS6_6detail15normal_iteratorINS6_10device_ptrItEEEESG_SG_SG_PmS8_NS6_8equal_toItEEEE10hipError_tPvRmT2_T3_mT4_T5_T6_T7_T8_P12ihipStream_tbENKUlT_T0_E_clISt17integral_constantIbLb1EES10_IbLb0EEEEDaSW_SX_EUlSW_E_NS1_11comp_targetILNS1_3genE10ELNS1_11target_archE1200ELNS1_3gpuE4ELNS1_3repE0EEENS1_30default_config_static_selectorELNS0_4arch9wavefront6targetE0EEEvT1_
    .private_segment_fixed_size: 0
    .sgpr_count:     0
    .sgpr_spill_count: 0
    .symbol:         _ZN7rocprim17ROCPRIM_400000_NS6detail17trampoline_kernelINS0_14default_configENS1_29reduce_by_key_config_selectorIttN6thrust23THRUST_200600_302600_NS4plusItEEEEZZNS1_33reduce_by_key_impl_wrapped_configILNS1_25lookback_scan_determinismE0ES3_S9_NS6_6detail15normal_iteratorINS6_10device_ptrItEEEESG_SG_SG_PmS8_NS6_8equal_toItEEEE10hipError_tPvRmT2_T3_mT4_T5_T6_T7_T8_P12ihipStream_tbENKUlT_T0_E_clISt17integral_constantIbLb1EES10_IbLb0EEEEDaSW_SX_EUlSW_E_NS1_11comp_targetILNS1_3genE10ELNS1_11target_archE1200ELNS1_3gpuE4ELNS1_3repE0EEENS1_30default_config_static_selectorELNS0_4arch9wavefront6targetE0EEEvT1_.kd
    .uniform_work_group_size: 1
    .uses_dynamic_stack: false
    .vgpr_count:     0
    .vgpr_spill_count: 0
    .wavefront_size: 32
    .workgroup_processor_mode: 1
  - .args:
      - .offset:         0
        .size:           120
        .value_kind:     by_value
    .group_segment_fixed_size: 7680
    .kernarg_segment_align: 8
    .kernarg_segment_size: 120
    .language:       OpenCL C
    .language_version:
      - 2
      - 0
    .max_flat_workgroup_size: 256
    .name:           _ZN7rocprim17ROCPRIM_400000_NS6detail17trampoline_kernelINS0_14default_configENS1_29reduce_by_key_config_selectorIttN6thrust23THRUST_200600_302600_NS4plusItEEEEZZNS1_33reduce_by_key_impl_wrapped_configILNS1_25lookback_scan_determinismE0ES3_S9_NS6_6detail15normal_iteratorINS6_10device_ptrItEEEESG_SG_SG_PmS8_NS6_8equal_toItEEEE10hipError_tPvRmT2_T3_mT4_T5_T6_T7_T8_P12ihipStream_tbENKUlT_T0_E_clISt17integral_constantIbLb1EES10_IbLb0EEEEDaSW_SX_EUlSW_E_NS1_11comp_targetILNS1_3genE9ELNS1_11target_archE1100ELNS1_3gpuE3ELNS1_3repE0EEENS1_30default_config_static_selectorELNS0_4arch9wavefront6targetE0EEEvT1_
    .private_segment_fixed_size: 0
    .sgpr_count:     48
    .sgpr_spill_count: 0
    .symbol:         _ZN7rocprim17ROCPRIM_400000_NS6detail17trampoline_kernelINS0_14default_configENS1_29reduce_by_key_config_selectorIttN6thrust23THRUST_200600_302600_NS4plusItEEEEZZNS1_33reduce_by_key_impl_wrapped_configILNS1_25lookback_scan_determinismE0ES3_S9_NS6_6detail15normal_iteratorINS6_10device_ptrItEEEESG_SG_SG_PmS8_NS6_8equal_toItEEEE10hipError_tPvRmT2_T3_mT4_T5_T6_T7_T8_P12ihipStream_tbENKUlT_T0_E_clISt17integral_constantIbLb1EES10_IbLb0EEEEDaSW_SX_EUlSW_E_NS1_11comp_targetILNS1_3genE9ELNS1_11target_archE1100ELNS1_3gpuE3ELNS1_3repE0EEENS1_30default_config_static_selectorELNS0_4arch9wavefront6targetE0EEEvT1_.kd
    .uniform_work_group_size: 1
    .uses_dynamic_stack: false
    .vgpr_count:     102
    .vgpr_spill_count: 0
    .wavefront_size: 32
    .workgroup_processor_mode: 1
  - .args:
      - .offset:         0
        .size:           120
        .value_kind:     by_value
    .group_segment_fixed_size: 0
    .kernarg_segment_align: 8
    .kernarg_segment_size: 120
    .language:       OpenCL C
    .language_version:
      - 2
      - 0
    .max_flat_workgroup_size: 256
    .name:           _ZN7rocprim17ROCPRIM_400000_NS6detail17trampoline_kernelINS0_14default_configENS1_29reduce_by_key_config_selectorIttN6thrust23THRUST_200600_302600_NS4plusItEEEEZZNS1_33reduce_by_key_impl_wrapped_configILNS1_25lookback_scan_determinismE0ES3_S9_NS6_6detail15normal_iteratorINS6_10device_ptrItEEEESG_SG_SG_PmS8_NS6_8equal_toItEEEE10hipError_tPvRmT2_T3_mT4_T5_T6_T7_T8_P12ihipStream_tbENKUlT_T0_E_clISt17integral_constantIbLb1EES10_IbLb0EEEEDaSW_SX_EUlSW_E_NS1_11comp_targetILNS1_3genE8ELNS1_11target_archE1030ELNS1_3gpuE2ELNS1_3repE0EEENS1_30default_config_static_selectorELNS0_4arch9wavefront6targetE0EEEvT1_
    .private_segment_fixed_size: 0
    .sgpr_count:     0
    .sgpr_spill_count: 0
    .symbol:         _ZN7rocprim17ROCPRIM_400000_NS6detail17trampoline_kernelINS0_14default_configENS1_29reduce_by_key_config_selectorIttN6thrust23THRUST_200600_302600_NS4plusItEEEEZZNS1_33reduce_by_key_impl_wrapped_configILNS1_25lookback_scan_determinismE0ES3_S9_NS6_6detail15normal_iteratorINS6_10device_ptrItEEEESG_SG_SG_PmS8_NS6_8equal_toItEEEE10hipError_tPvRmT2_T3_mT4_T5_T6_T7_T8_P12ihipStream_tbENKUlT_T0_E_clISt17integral_constantIbLb1EES10_IbLb0EEEEDaSW_SX_EUlSW_E_NS1_11comp_targetILNS1_3genE8ELNS1_11target_archE1030ELNS1_3gpuE2ELNS1_3repE0EEENS1_30default_config_static_selectorELNS0_4arch9wavefront6targetE0EEEvT1_.kd
    .uniform_work_group_size: 1
    .uses_dynamic_stack: false
    .vgpr_count:     0
    .vgpr_spill_count: 0
    .wavefront_size: 32
    .workgroup_processor_mode: 1
  - .args:
      - .address_space:  global
        .offset:         0
        .size:           8
        .value_kind:     global_buffer
      - .offset:         8
        .size:           4
        .value_kind:     by_value
      - .offset:         12
        .size:           1
        .value_kind:     by_value
      - .offset:         16
        .size:           4
        .value_kind:     by_value
      - .address_space:  global
        .offset:         24
        .size:           8
        .value_kind:     global_buffer
      - .address_space:  global
        .offset:         32
        .size:           8
        .value_kind:     global_buffer
      - .address_space:  global
        .offset:         40
        .size:           8
        .value_kind:     global_buffer
      - .offset:         48
        .size:           4
        .value_kind:     hidden_block_count_x
      - .offset:         52
        .size:           4
        .value_kind:     hidden_block_count_y
      - .offset:         56
        .size:           4
        .value_kind:     hidden_block_count_z
      - .offset:         60
        .size:           2
        .value_kind:     hidden_group_size_x
      - .offset:         62
        .size:           2
        .value_kind:     hidden_group_size_y
      - .offset:         64
        .size:           2
        .value_kind:     hidden_group_size_z
      - .offset:         66
        .size:           2
        .value_kind:     hidden_remainder_x
      - .offset:         68
        .size:           2
        .value_kind:     hidden_remainder_y
      - .offset:         70
        .size:           2
        .value_kind:     hidden_remainder_z
      - .offset:         88
        .size:           8
        .value_kind:     hidden_global_offset_x
      - .offset:         96
        .size:           8
        .value_kind:     hidden_global_offset_y
      - .offset:         104
        .size:           8
        .value_kind:     hidden_global_offset_z
      - .offset:         112
        .size:           2
        .value_kind:     hidden_grid_dims
    .group_segment_fixed_size: 0
    .kernarg_segment_align: 8
    .kernarg_segment_size: 304
    .language:       OpenCL C
    .language_version:
      - 2
      - 0
    .max_flat_workgroup_size: 256
    .name:           _ZN7rocprim17ROCPRIM_400000_NS6detail25reduce_by_key_init_kernelINS1_19lookback_scan_stateINS0_5tupleIJjtEEELb0ELb1EEEtNS1_16block_id_wrapperIjLb1EEEEEvT_jbjPmPT0_T1_
    .private_segment_fixed_size: 0
    .sgpr_count:     18
    .sgpr_spill_count: 0
    .symbol:         _ZN7rocprim17ROCPRIM_400000_NS6detail25reduce_by_key_init_kernelINS1_19lookback_scan_stateINS0_5tupleIJjtEEELb0ELb1EEEtNS1_16block_id_wrapperIjLb1EEEEEvT_jbjPmPT0_T1_.kd
    .uniform_work_group_size: 1
    .uses_dynamic_stack: false
    .vgpr_count:     9
    .vgpr_spill_count: 0
    .wavefront_size: 32
    .workgroup_processor_mode: 1
  - .args:
      - .offset:         0
        .size:           120
        .value_kind:     by_value
    .group_segment_fixed_size: 0
    .kernarg_segment_align: 8
    .kernarg_segment_size: 120
    .language:       OpenCL C
    .language_version:
      - 2
      - 0
    .max_flat_workgroup_size: 256
    .name:           _ZN7rocprim17ROCPRIM_400000_NS6detail17trampoline_kernelINS0_14default_configENS1_29reduce_by_key_config_selectorIttN6thrust23THRUST_200600_302600_NS4plusItEEEEZZNS1_33reduce_by_key_impl_wrapped_configILNS1_25lookback_scan_determinismE0ES3_S9_NS6_6detail15normal_iteratorINS6_10device_ptrItEEEESG_SG_SG_PmS8_NS6_8equal_toItEEEE10hipError_tPvRmT2_T3_mT4_T5_T6_T7_T8_P12ihipStream_tbENKUlT_T0_E_clISt17integral_constantIbLb0EES10_IbLb1EEEEDaSW_SX_EUlSW_E_NS1_11comp_targetILNS1_3genE0ELNS1_11target_archE4294967295ELNS1_3gpuE0ELNS1_3repE0EEENS1_30default_config_static_selectorELNS0_4arch9wavefront6targetE0EEEvT1_
    .private_segment_fixed_size: 0
    .sgpr_count:     0
    .sgpr_spill_count: 0
    .symbol:         _ZN7rocprim17ROCPRIM_400000_NS6detail17trampoline_kernelINS0_14default_configENS1_29reduce_by_key_config_selectorIttN6thrust23THRUST_200600_302600_NS4plusItEEEEZZNS1_33reduce_by_key_impl_wrapped_configILNS1_25lookback_scan_determinismE0ES3_S9_NS6_6detail15normal_iteratorINS6_10device_ptrItEEEESG_SG_SG_PmS8_NS6_8equal_toItEEEE10hipError_tPvRmT2_T3_mT4_T5_T6_T7_T8_P12ihipStream_tbENKUlT_T0_E_clISt17integral_constantIbLb0EES10_IbLb1EEEEDaSW_SX_EUlSW_E_NS1_11comp_targetILNS1_3genE0ELNS1_11target_archE4294967295ELNS1_3gpuE0ELNS1_3repE0EEENS1_30default_config_static_selectorELNS0_4arch9wavefront6targetE0EEEvT1_.kd
    .uniform_work_group_size: 1
    .uses_dynamic_stack: false
    .vgpr_count:     0
    .vgpr_spill_count: 0
    .wavefront_size: 32
    .workgroup_processor_mode: 1
  - .args:
      - .offset:         0
        .size:           120
        .value_kind:     by_value
    .group_segment_fixed_size: 0
    .kernarg_segment_align: 8
    .kernarg_segment_size: 120
    .language:       OpenCL C
    .language_version:
      - 2
      - 0
    .max_flat_workgroup_size: 256
    .name:           _ZN7rocprim17ROCPRIM_400000_NS6detail17trampoline_kernelINS0_14default_configENS1_29reduce_by_key_config_selectorIttN6thrust23THRUST_200600_302600_NS4plusItEEEEZZNS1_33reduce_by_key_impl_wrapped_configILNS1_25lookback_scan_determinismE0ES3_S9_NS6_6detail15normal_iteratorINS6_10device_ptrItEEEESG_SG_SG_PmS8_NS6_8equal_toItEEEE10hipError_tPvRmT2_T3_mT4_T5_T6_T7_T8_P12ihipStream_tbENKUlT_T0_E_clISt17integral_constantIbLb0EES10_IbLb1EEEEDaSW_SX_EUlSW_E_NS1_11comp_targetILNS1_3genE5ELNS1_11target_archE942ELNS1_3gpuE9ELNS1_3repE0EEENS1_30default_config_static_selectorELNS0_4arch9wavefront6targetE0EEEvT1_
    .private_segment_fixed_size: 0
    .sgpr_count:     0
    .sgpr_spill_count: 0
    .symbol:         _ZN7rocprim17ROCPRIM_400000_NS6detail17trampoline_kernelINS0_14default_configENS1_29reduce_by_key_config_selectorIttN6thrust23THRUST_200600_302600_NS4plusItEEEEZZNS1_33reduce_by_key_impl_wrapped_configILNS1_25lookback_scan_determinismE0ES3_S9_NS6_6detail15normal_iteratorINS6_10device_ptrItEEEESG_SG_SG_PmS8_NS6_8equal_toItEEEE10hipError_tPvRmT2_T3_mT4_T5_T6_T7_T8_P12ihipStream_tbENKUlT_T0_E_clISt17integral_constantIbLb0EES10_IbLb1EEEEDaSW_SX_EUlSW_E_NS1_11comp_targetILNS1_3genE5ELNS1_11target_archE942ELNS1_3gpuE9ELNS1_3repE0EEENS1_30default_config_static_selectorELNS0_4arch9wavefront6targetE0EEEvT1_.kd
    .uniform_work_group_size: 1
    .uses_dynamic_stack: false
    .vgpr_count:     0
    .vgpr_spill_count: 0
    .wavefront_size: 32
    .workgroup_processor_mode: 1
  - .args:
      - .offset:         0
        .size:           120
        .value_kind:     by_value
    .group_segment_fixed_size: 0
    .kernarg_segment_align: 8
    .kernarg_segment_size: 120
    .language:       OpenCL C
    .language_version:
      - 2
      - 0
    .max_flat_workgroup_size: 256
    .name:           _ZN7rocprim17ROCPRIM_400000_NS6detail17trampoline_kernelINS0_14default_configENS1_29reduce_by_key_config_selectorIttN6thrust23THRUST_200600_302600_NS4plusItEEEEZZNS1_33reduce_by_key_impl_wrapped_configILNS1_25lookback_scan_determinismE0ES3_S9_NS6_6detail15normal_iteratorINS6_10device_ptrItEEEESG_SG_SG_PmS8_NS6_8equal_toItEEEE10hipError_tPvRmT2_T3_mT4_T5_T6_T7_T8_P12ihipStream_tbENKUlT_T0_E_clISt17integral_constantIbLb0EES10_IbLb1EEEEDaSW_SX_EUlSW_E_NS1_11comp_targetILNS1_3genE4ELNS1_11target_archE910ELNS1_3gpuE8ELNS1_3repE0EEENS1_30default_config_static_selectorELNS0_4arch9wavefront6targetE0EEEvT1_
    .private_segment_fixed_size: 0
    .sgpr_count:     0
    .sgpr_spill_count: 0
    .symbol:         _ZN7rocprim17ROCPRIM_400000_NS6detail17trampoline_kernelINS0_14default_configENS1_29reduce_by_key_config_selectorIttN6thrust23THRUST_200600_302600_NS4plusItEEEEZZNS1_33reduce_by_key_impl_wrapped_configILNS1_25lookback_scan_determinismE0ES3_S9_NS6_6detail15normal_iteratorINS6_10device_ptrItEEEESG_SG_SG_PmS8_NS6_8equal_toItEEEE10hipError_tPvRmT2_T3_mT4_T5_T6_T7_T8_P12ihipStream_tbENKUlT_T0_E_clISt17integral_constantIbLb0EES10_IbLb1EEEEDaSW_SX_EUlSW_E_NS1_11comp_targetILNS1_3genE4ELNS1_11target_archE910ELNS1_3gpuE8ELNS1_3repE0EEENS1_30default_config_static_selectorELNS0_4arch9wavefront6targetE0EEEvT1_.kd
    .uniform_work_group_size: 1
    .uses_dynamic_stack: false
    .vgpr_count:     0
    .vgpr_spill_count: 0
    .wavefront_size: 32
    .workgroup_processor_mode: 1
  - .args:
      - .offset:         0
        .size:           120
        .value_kind:     by_value
    .group_segment_fixed_size: 0
    .kernarg_segment_align: 8
    .kernarg_segment_size: 120
    .language:       OpenCL C
    .language_version:
      - 2
      - 0
    .max_flat_workgroup_size: 256
    .name:           _ZN7rocprim17ROCPRIM_400000_NS6detail17trampoline_kernelINS0_14default_configENS1_29reduce_by_key_config_selectorIttN6thrust23THRUST_200600_302600_NS4plusItEEEEZZNS1_33reduce_by_key_impl_wrapped_configILNS1_25lookback_scan_determinismE0ES3_S9_NS6_6detail15normal_iteratorINS6_10device_ptrItEEEESG_SG_SG_PmS8_NS6_8equal_toItEEEE10hipError_tPvRmT2_T3_mT4_T5_T6_T7_T8_P12ihipStream_tbENKUlT_T0_E_clISt17integral_constantIbLb0EES10_IbLb1EEEEDaSW_SX_EUlSW_E_NS1_11comp_targetILNS1_3genE3ELNS1_11target_archE908ELNS1_3gpuE7ELNS1_3repE0EEENS1_30default_config_static_selectorELNS0_4arch9wavefront6targetE0EEEvT1_
    .private_segment_fixed_size: 0
    .sgpr_count:     0
    .sgpr_spill_count: 0
    .symbol:         _ZN7rocprim17ROCPRIM_400000_NS6detail17trampoline_kernelINS0_14default_configENS1_29reduce_by_key_config_selectorIttN6thrust23THRUST_200600_302600_NS4plusItEEEEZZNS1_33reduce_by_key_impl_wrapped_configILNS1_25lookback_scan_determinismE0ES3_S9_NS6_6detail15normal_iteratorINS6_10device_ptrItEEEESG_SG_SG_PmS8_NS6_8equal_toItEEEE10hipError_tPvRmT2_T3_mT4_T5_T6_T7_T8_P12ihipStream_tbENKUlT_T0_E_clISt17integral_constantIbLb0EES10_IbLb1EEEEDaSW_SX_EUlSW_E_NS1_11comp_targetILNS1_3genE3ELNS1_11target_archE908ELNS1_3gpuE7ELNS1_3repE0EEENS1_30default_config_static_selectorELNS0_4arch9wavefront6targetE0EEEvT1_.kd
    .uniform_work_group_size: 1
    .uses_dynamic_stack: false
    .vgpr_count:     0
    .vgpr_spill_count: 0
    .wavefront_size: 32
    .workgroup_processor_mode: 1
  - .args:
      - .offset:         0
        .size:           120
        .value_kind:     by_value
    .group_segment_fixed_size: 0
    .kernarg_segment_align: 8
    .kernarg_segment_size: 120
    .language:       OpenCL C
    .language_version:
      - 2
      - 0
    .max_flat_workgroup_size: 256
    .name:           _ZN7rocprim17ROCPRIM_400000_NS6detail17trampoline_kernelINS0_14default_configENS1_29reduce_by_key_config_selectorIttN6thrust23THRUST_200600_302600_NS4plusItEEEEZZNS1_33reduce_by_key_impl_wrapped_configILNS1_25lookback_scan_determinismE0ES3_S9_NS6_6detail15normal_iteratorINS6_10device_ptrItEEEESG_SG_SG_PmS8_NS6_8equal_toItEEEE10hipError_tPvRmT2_T3_mT4_T5_T6_T7_T8_P12ihipStream_tbENKUlT_T0_E_clISt17integral_constantIbLb0EES10_IbLb1EEEEDaSW_SX_EUlSW_E_NS1_11comp_targetILNS1_3genE2ELNS1_11target_archE906ELNS1_3gpuE6ELNS1_3repE0EEENS1_30default_config_static_selectorELNS0_4arch9wavefront6targetE0EEEvT1_
    .private_segment_fixed_size: 0
    .sgpr_count:     0
    .sgpr_spill_count: 0
    .symbol:         _ZN7rocprim17ROCPRIM_400000_NS6detail17trampoline_kernelINS0_14default_configENS1_29reduce_by_key_config_selectorIttN6thrust23THRUST_200600_302600_NS4plusItEEEEZZNS1_33reduce_by_key_impl_wrapped_configILNS1_25lookback_scan_determinismE0ES3_S9_NS6_6detail15normal_iteratorINS6_10device_ptrItEEEESG_SG_SG_PmS8_NS6_8equal_toItEEEE10hipError_tPvRmT2_T3_mT4_T5_T6_T7_T8_P12ihipStream_tbENKUlT_T0_E_clISt17integral_constantIbLb0EES10_IbLb1EEEEDaSW_SX_EUlSW_E_NS1_11comp_targetILNS1_3genE2ELNS1_11target_archE906ELNS1_3gpuE6ELNS1_3repE0EEENS1_30default_config_static_selectorELNS0_4arch9wavefront6targetE0EEEvT1_.kd
    .uniform_work_group_size: 1
    .uses_dynamic_stack: false
    .vgpr_count:     0
    .vgpr_spill_count: 0
    .wavefront_size: 32
    .workgroup_processor_mode: 1
  - .args:
      - .offset:         0
        .size:           120
        .value_kind:     by_value
    .group_segment_fixed_size: 0
    .kernarg_segment_align: 8
    .kernarg_segment_size: 120
    .language:       OpenCL C
    .language_version:
      - 2
      - 0
    .max_flat_workgroup_size: 256
    .name:           _ZN7rocprim17ROCPRIM_400000_NS6detail17trampoline_kernelINS0_14default_configENS1_29reduce_by_key_config_selectorIttN6thrust23THRUST_200600_302600_NS4plusItEEEEZZNS1_33reduce_by_key_impl_wrapped_configILNS1_25lookback_scan_determinismE0ES3_S9_NS6_6detail15normal_iteratorINS6_10device_ptrItEEEESG_SG_SG_PmS8_NS6_8equal_toItEEEE10hipError_tPvRmT2_T3_mT4_T5_T6_T7_T8_P12ihipStream_tbENKUlT_T0_E_clISt17integral_constantIbLb0EES10_IbLb1EEEEDaSW_SX_EUlSW_E_NS1_11comp_targetILNS1_3genE10ELNS1_11target_archE1201ELNS1_3gpuE5ELNS1_3repE0EEENS1_30default_config_static_selectorELNS0_4arch9wavefront6targetE0EEEvT1_
    .private_segment_fixed_size: 0
    .sgpr_count:     0
    .sgpr_spill_count: 0
    .symbol:         _ZN7rocprim17ROCPRIM_400000_NS6detail17trampoline_kernelINS0_14default_configENS1_29reduce_by_key_config_selectorIttN6thrust23THRUST_200600_302600_NS4plusItEEEEZZNS1_33reduce_by_key_impl_wrapped_configILNS1_25lookback_scan_determinismE0ES3_S9_NS6_6detail15normal_iteratorINS6_10device_ptrItEEEESG_SG_SG_PmS8_NS6_8equal_toItEEEE10hipError_tPvRmT2_T3_mT4_T5_T6_T7_T8_P12ihipStream_tbENKUlT_T0_E_clISt17integral_constantIbLb0EES10_IbLb1EEEEDaSW_SX_EUlSW_E_NS1_11comp_targetILNS1_3genE10ELNS1_11target_archE1201ELNS1_3gpuE5ELNS1_3repE0EEENS1_30default_config_static_selectorELNS0_4arch9wavefront6targetE0EEEvT1_.kd
    .uniform_work_group_size: 1
    .uses_dynamic_stack: false
    .vgpr_count:     0
    .vgpr_spill_count: 0
    .wavefront_size: 32
    .workgroup_processor_mode: 1
  - .args:
      - .offset:         0
        .size:           120
        .value_kind:     by_value
    .group_segment_fixed_size: 0
    .kernarg_segment_align: 8
    .kernarg_segment_size: 120
    .language:       OpenCL C
    .language_version:
      - 2
      - 0
    .max_flat_workgroup_size: 256
    .name:           _ZN7rocprim17ROCPRIM_400000_NS6detail17trampoline_kernelINS0_14default_configENS1_29reduce_by_key_config_selectorIttN6thrust23THRUST_200600_302600_NS4plusItEEEEZZNS1_33reduce_by_key_impl_wrapped_configILNS1_25lookback_scan_determinismE0ES3_S9_NS6_6detail15normal_iteratorINS6_10device_ptrItEEEESG_SG_SG_PmS8_NS6_8equal_toItEEEE10hipError_tPvRmT2_T3_mT4_T5_T6_T7_T8_P12ihipStream_tbENKUlT_T0_E_clISt17integral_constantIbLb0EES10_IbLb1EEEEDaSW_SX_EUlSW_E_NS1_11comp_targetILNS1_3genE10ELNS1_11target_archE1200ELNS1_3gpuE4ELNS1_3repE0EEENS1_30default_config_static_selectorELNS0_4arch9wavefront6targetE0EEEvT1_
    .private_segment_fixed_size: 0
    .sgpr_count:     0
    .sgpr_spill_count: 0
    .symbol:         _ZN7rocprim17ROCPRIM_400000_NS6detail17trampoline_kernelINS0_14default_configENS1_29reduce_by_key_config_selectorIttN6thrust23THRUST_200600_302600_NS4plusItEEEEZZNS1_33reduce_by_key_impl_wrapped_configILNS1_25lookback_scan_determinismE0ES3_S9_NS6_6detail15normal_iteratorINS6_10device_ptrItEEEESG_SG_SG_PmS8_NS6_8equal_toItEEEE10hipError_tPvRmT2_T3_mT4_T5_T6_T7_T8_P12ihipStream_tbENKUlT_T0_E_clISt17integral_constantIbLb0EES10_IbLb1EEEEDaSW_SX_EUlSW_E_NS1_11comp_targetILNS1_3genE10ELNS1_11target_archE1200ELNS1_3gpuE4ELNS1_3repE0EEENS1_30default_config_static_selectorELNS0_4arch9wavefront6targetE0EEEvT1_.kd
    .uniform_work_group_size: 1
    .uses_dynamic_stack: false
    .vgpr_count:     0
    .vgpr_spill_count: 0
    .wavefront_size: 32
    .workgroup_processor_mode: 1
  - .args:
      - .offset:         0
        .size:           120
        .value_kind:     by_value
    .group_segment_fixed_size: 7680
    .kernarg_segment_align: 8
    .kernarg_segment_size: 120
    .language:       OpenCL C
    .language_version:
      - 2
      - 0
    .max_flat_workgroup_size: 256
    .name:           _ZN7rocprim17ROCPRIM_400000_NS6detail17trampoline_kernelINS0_14default_configENS1_29reduce_by_key_config_selectorIttN6thrust23THRUST_200600_302600_NS4plusItEEEEZZNS1_33reduce_by_key_impl_wrapped_configILNS1_25lookback_scan_determinismE0ES3_S9_NS6_6detail15normal_iteratorINS6_10device_ptrItEEEESG_SG_SG_PmS8_NS6_8equal_toItEEEE10hipError_tPvRmT2_T3_mT4_T5_T6_T7_T8_P12ihipStream_tbENKUlT_T0_E_clISt17integral_constantIbLb0EES10_IbLb1EEEEDaSW_SX_EUlSW_E_NS1_11comp_targetILNS1_3genE9ELNS1_11target_archE1100ELNS1_3gpuE3ELNS1_3repE0EEENS1_30default_config_static_selectorELNS0_4arch9wavefront6targetE0EEEvT1_
    .private_segment_fixed_size: 0
    .sgpr_count:     47
    .sgpr_spill_count: 0
    .symbol:         _ZN7rocprim17ROCPRIM_400000_NS6detail17trampoline_kernelINS0_14default_configENS1_29reduce_by_key_config_selectorIttN6thrust23THRUST_200600_302600_NS4plusItEEEEZZNS1_33reduce_by_key_impl_wrapped_configILNS1_25lookback_scan_determinismE0ES3_S9_NS6_6detail15normal_iteratorINS6_10device_ptrItEEEESG_SG_SG_PmS8_NS6_8equal_toItEEEE10hipError_tPvRmT2_T3_mT4_T5_T6_T7_T8_P12ihipStream_tbENKUlT_T0_E_clISt17integral_constantIbLb0EES10_IbLb1EEEEDaSW_SX_EUlSW_E_NS1_11comp_targetILNS1_3genE9ELNS1_11target_archE1100ELNS1_3gpuE3ELNS1_3repE0EEENS1_30default_config_static_selectorELNS0_4arch9wavefront6targetE0EEEvT1_.kd
    .uniform_work_group_size: 1
    .uses_dynamic_stack: false
    .vgpr_count:     102
    .vgpr_spill_count: 0
    .wavefront_size: 32
    .workgroup_processor_mode: 1
  - .args:
      - .offset:         0
        .size:           120
        .value_kind:     by_value
    .group_segment_fixed_size: 0
    .kernarg_segment_align: 8
    .kernarg_segment_size: 120
    .language:       OpenCL C
    .language_version:
      - 2
      - 0
    .max_flat_workgroup_size: 256
    .name:           _ZN7rocprim17ROCPRIM_400000_NS6detail17trampoline_kernelINS0_14default_configENS1_29reduce_by_key_config_selectorIttN6thrust23THRUST_200600_302600_NS4plusItEEEEZZNS1_33reduce_by_key_impl_wrapped_configILNS1_25lookback_scan_determinismE0ES3_S9_NS6_6detail15normal_iteratorINS6_10device_ptrItEEEESG_SG_SG_PmS8_NS6_8equal_toItEEEE10hipError_tPvRmT2_T3_mT4_T5_T6_T7_T8_P12ihipStream_tbENKUlT_T0_E_clISt17integral_constantIbLb0EES10_IbLb1EEEEDaSW_SX_EUlSW_E_NS1_11comp_targetILNS1_3genE8ELNS1_11target_archE1030ELNS1_3gpuE2ELNS1_3repE0EEENS1_30default_config_static_selectorELNS0_4arch9wavefront6targetE0EEEvT1_
    .private_segment_fixed_size: 0
    .sgpr_count:     0
    .sgpr_spill_count: 0
    .symbol:         _ZN7rocprim17ROCPRIM_400000_NS6detail17trampoline_kernelINS0_14default_configENS1_29reduce_by_key_config_selectorIttN6thrust23THRUST_200600_302600_NS4plusItEEEEZZNS1_33reduce_by_key_impl_wrapped_configILNS1_25lookback_scan_determinismE0ES3_S9_NS6_6detail15normal_iteratorINS6_10device_ptrItEEEESG_SG_SG_PmS8_NS6_8equal_toItEEEE10hipError_tPvRmT2_T3_mT4_T5_T6_T7_T8_P12ihipStream_tbENKUlT_T0_E_clISt17integral_constantIbLb0EES10_IbLb1EEEEDaSW_SX_EUlSW_E_NS1_11comp_targetILNS1_3genE8ELNS1_11target_archE1030ELNS1_3gpuE2ELNS1_3repE0EEENS1_30default_config_static_selectorELNS0_4arch9wavefront6targetE0EEEvT1_.kd
    .uniform_work_group_size: 1
    .uses_dynamic_stack: false
    .vgpr_count:     0
    .vgpr_spill_count: 0
    .wavefront_size: 32
    .workgroup_processor_mode: 1
  - .args:
      - .offset:         0
        .size:           120
        .value_kind:     by_value
    .group_segment_fixed_size: 0
    .kernarg_segment_align: 8
    .kernarg_segment_size: 120
    .language:       OpenCL C
    .language_version:
      - 2
      - 0
    .max_flat_workgroup_size: 256
    .name:           _ZN7rocprim17ROCPRIM_400000_NS6detail17trampoline_kernelINS0_14default_configENS1_29reduce_by_key_config_selectorIttN6thrust23THRUST_200600_302600_NS4plusItEEEEZZNS1_33reduce_by_key_impl_wrapped_configILNS1_25lookback_scan_determinismE0ES3_S9_NS6_6detail15normal_iteratorINS6_10device_ptrItEEEESG_SG_SG_PmS8_22is_equal_div_10_reduceItEEE10hipError_tPvRmT2_T3_mT4_T5_T6_T7_T8_P12ihipStream_tbENKUlT_T0_E_clISt17integral_constantIbLb0EES11_EEDaSW_SX_EUlSW_E_NS1_11comp_targetILNS1_3genE0ELNS1_11target_archE4294967295ELNS1_3gpuE0ELNS1_3repE0EEENS1_30default_config_static_selectorELNS0_4arch9wavefront6targetE0EEEvT1_
    .private_segment_fixed_size: 0
    .sgpr_count:     0
    .sgpr_spill_count: 0
    .symbol:         _ZN7rocprim17ROCPRIM_400000_NS6detail17trampoline_kernelINS0_14default_configENS1_29reduce_by_key_config_selectorIttN6thrust23THRUST_200600_302600_NS4plusItEEEEZZNS1_33reduce_by_key_impl_wrapped_configILNS1_25lookback_scan_determinismE0ES3_S9_NS6_6detail15normal_iteratorINS6_10device_ptrItEEEESG_SG_SG_PmS8_22is_equal_div_10_reduceItEEE10hipError_tPvRmT2_T3_mT4_T5_T6_T7_T8_P12ihipStream_tbENKUlT_T0_E_clISt17integral_constantIbLb0EES11_EEDaSW_SX_EUlSW_E_NS1_11comp_targetILNS1_3genE0ELNS1_11target_archE4294967295ELNS1_3gpuE0ELNS1_3repE0EEENS1_30default_config_static_selectorELNS0_4arch9wavefront6targetE0EEEvT1_.kd
    .uniform_work_group_size: 1
    .uses_dynamic_stack: false
    .vgpr_count:     0
    .vgpr_spill_count: 0
    .wavefront_size: 32
    .workgroup_processor_mode: 1
  - .args:
      - .offset:         0
        .size:           120
        .value_kind:     by_value
    .group_segment_fixed_size: 0
    .kernarg_segment_align: 8
    .kernarg_segment_size: 120
    .language:       OpenCL C
    .language_version:
      - 2
      - 0
    .max_flat_workgroup_size: 256
    .name:           _ZN7rocprim17ROCPRIM_400000_NS6detail17trampoline_kernelINS0_14default_configENS1_29reduce_by_key_config_selectorIttN6thrust23THRUST_200600_302600_NS4plusItEEEEZZNS1_33reduce_by_key_impl_wrapped_configILNS1_25lookback_scan_determinismE0ES3_S9_NS6_6detail15normal_iteratorINS6_10device_ptrItEEEESG_SG_SG_PmS8_22is_equal_div_10_reduceItEEE10hipError_tPvRmT2_T3_mT4_T5_T6_T7_T8_P12ihipStream_tbENKUlT_T0_E_clISt17integral_constantIbLb0EES11_EEDaSW_SX_EUlSW_E_NS1_11comp_targetILNS1_3genE5ELNS1_11target_archE942ELNS1_3gpuE9ELNS1_3repE0EEENS1_30default_config_static_selectorELNS0_4arch9wavefront6targetE0EEEvT1_
    .private_segment_fixed_size: 0
    .sgpr_count:     0
    .sgpr_spill_count: 0
    .symbol:         _ZN7rocprim17ROCPRIM_400000_NS6detail17trampoline_kernelINS0_14default_configENS1_29reduce_by_key_config_selectorIttN6thrust23THRUST_200600_302600_NS4plusItEEEEZZNS1_33reduce_by_key_impl_wrapped_configILNS1_25lookback_scan_determinismE0ES3_S9_NS6_6detail15normal_iteratorINS6_10device_ptrItEEEESG_SG_SG_PmS8_22is_equal_div_10_reduceItEEE10hipError_tPvRmT2_T3_mT4_T5_T6_T7_T8_P12ihipStream_tbENKUlT_T0_E_clISt17integral_constantIbLb0EES11_EEDaSW_SX_EUlSW_E_NS1_11comp_targetILNS1_3genE5ELNS1_11target_archE942ELNS1_3gpuE9ELNS1_3repE0EEENS1_30default_config_static_selectorELNS0_4arch9wavefront6targetE0EEEvT1_.kd
    .uniform_work_group_size: 1
    .uses_dynamic_stack: false
    .vgpr_count:     0
    .vgpr_spill_count: 0
    .wavefront_size: 32
    .workgroup_processor_mode: 1
  - .args:
      - .offset:         0
        .size:           120
        .value_kind:     by_value
    .group_segment_fixed_size: 0
    .kernarg_segment_align: 8
    .kernarg_segment_size: 120
    .language:       OpenCL C
    .language_version:
      - 2
      - 0
    .max_flat_workgroup_size: 256
    .name:           _ZN7rocprim17ROCPRIM_400000_NS6detail17trampoline_kernelINS0_14default_configENS1_29reduce_by_key_config_selectorIttN6thrust23THRUST_200600_302600_NS4plusItEEEEZZNS1_33reduce_by_key_impl_wrapped_configILNS1_25lookback_scan_determinismE0ES3_S9_NS6_6detail15normal_iteratorINS6_10device_ptrItEEEESG_SG_SG_PmS8_22is_equal_div_10_reduceItEEE10hipError_tPvRmT2_T3_mT4_T5_T6_T7_T8_P12ihipStream_tbENKUlT_T0_E_clISt17integral_constantIbLb0EES11_EEDaSW_SX_EUlSW_E_NS1_11comp_targetILNS1_3genE4ELNS1_11target_archE910ELNS1_3gpuE8ELNS1_3repE0EEENS1_30default_config_static_selectorELNS0_4arch9wavefront6targetE0EEEvT1_
    .private_segment_fixed_size: 0
    .sgpr_count:     0
    .sgpr_spill_count: 0
    .symbol:         _ZN7rocprim17ROCPRIM_400000_NS6detail17trampoline_kernelINS0_14default_configENS1_29reduce_by_key_config_selectorIttN6thrust23THRUST_200600_302600_NS4plusItEEEEZZNS1_33reduce_by_key_impl_wrapped_configILNS1_25lookback_scan_determinismE0ES3_S9_NS6_6detail15normal_iteratorINS6_10device_ptrItEEEESG_SG_SG_PmS8_22is_equal_div_10_reduceItEEE10hipError_tPvRmT2_T3_mT4_T5_T6_T7_T8_P12ihipStream_tbENKUlT_T0_E_clISt17integral_constantIbLb0EES11_EEDaSW_SX_EUlSW_E_NS1_11comp_targetILNS1_3genE4ELNS1_11target_archE910ELNS1_3gpuE8ELNS1_3repE0EEENS1_30default_config_static_selectorELNS0_4arch9wavefront6targetE0EEEvT1_.kd
    .uniform_work_group_size: 1
    .uses_dynamic_stack: false
    .vgpr_count:     0
    .vgpr_spill_count: 0
    .wavefront_size: 32
    .workgroup_processor_mode: 1
  - .args:
      - .offset:         0
        .size:           120
        .value_kind:     by_value
    .group_segment_fixed_size: 0
    .kernarg_segment_align: 8
    .kernarg_segment_size: 120
    .language:       OpenCL C
    .language_version:
      - 2
      - 0
    .max_flat_workgroup_size: 256
    .name:           _ZN7rocprim17ROCPRIM_400000_NS6detail17trampoline_kernelINS0_14default_configENS1_29reduce_by_key_config_selectorIttN6thrust23THRUST_200600_302600_NS4plusItEEEEZZNS1_33reduce_by_key_impl_wrapped_configILNS1_25lookback_scan_determinismE0ES3_S9_NS6_6detail15normal_iteratorINS6_10device_ptrItEEEESG_SG_SG_PmS8_22is_equal_div_10_reduceItEEE10hipError_tPvRmT2_T3_mT4_T5_T6_T7_T8_P12ihipStream_tbENKUlT_T0_E_clISt17integral_constantIbLb0EES11_EEDaSW_SX_EUlSW_E_NS1_11comp_targetILNS1_3genE3ELNS1_11target_archE908ELNS1_3gpuE7ELNS1_3repE0EEENS1_30default_config_static_selectorELNS0_4arch9wavefront6targetE0EEEvT1_
    .private_segment_fixed_size: 0
    .sgpr_count:     0
    .sgpr_spill_count: 0
    .symbol:         _ZN7rocprim17ROCPRIM_400000_NS6detail17trampoline_kernelINS0_14default_configENS1_29reduce_by_key_config_selectorIttN6thrust23THRUST_200600_302600_NS4plusItEEEEZZNS1_33reduce_by_key_impl_wrapped_configILNS1_25lookback_scan_determinismE0ES3_S9_NS6_6detail15normal_iteratorINS6_10device_ptrItEEEESG_SG_SG_PmS8_22is_equal_div_10_reduceItEEE10hipError_tPvRmT2_T3_mT4_T5_T6_T7_T8_P12ihipStream_tbENKUlT_T0_E_clISt17integral_constantIbLb0EES11_EEDaSW_SX_EUlSW_E_NS1_11comp_targetILNS1_3genE3ELNS1_11target_archE908ELNS1_3gpuE7ELNS1_3repE0EEENS1_30default_config_static_selectorELNS0_4arch9wavefront6targetE0EEEvT1_.kd
    .uniform_work_group_size: 1
    .uses_dynamic_stack: false
    .vgpr_count:     0
    .vgpr_spill_count: 0
    .wavefront_size: 32
    .workgroup_processor_mode: 1
  - .args:
      - .offset:         0
        .size:           120
        .value_kind:     by_value
    .group_segment_fixed_size: 0
    .kernarg_segment_align: 8
    .kernarg_segment_size: 120
    .language:       OpenCL C
    .language_version:
      - 2
      - 0
    .max_flat_workgroup_size: 256
    .name:           _ZN7rocprim17ROCPRIM_400000_NS6detail17trampoline_kernelINS0_14default_configENS1_29reduce_by_key_config_selectorIttN6thrust23THRUST_200600_302600_NS4plusItEEEEZZNS1_33reduce_by_key_impl_wrapped_configILNS1_25lookback_scan_determinismE0ES3_S9_NS6_6detail15normal_iteratorINS6_10device_ptrItEEEESG_SG_SG_PmS8_22is_equal_div_10_reduceItEEE10hipError_tPvRmT2_T3_mT4_T5_T6_T7_T8_P12ihipStream_tbENKUlT_T0_E_clISt17integral_constantIbLb0EES11_EEDaSW_SX_EUlSW_E_NS1_11comp_targetILNS1_3genE2ELNS1_11target_archE906ELNS1_3gpuE6ELNS1_3repE0EEENS1_30default_config_static_selectorELNS0_4arch9wavefront6targetE0EEEvT1_
    .private_segment_fixed_size: 0
    .sgpr_count:     0
    .sgpr_spill_count: 0
    .symbol:         _ZN7rocprim17ROCPRIM_400000_NS6detail17trampoline_kernelINS0_14default_configENS1_29reduce_by_key_config_selectorIttN6thrust23THRUST_200600_302600_NS4plusItEEEEZZNS1_33reduce_by_key_impl_wrapped_configILNS1_25lookback_scan_determinismE0ES3_S9_NS6_6detail15normal_iteratorINS6_10device_ptrItEEEESG_SG_SG_PmS8_22is_equal_div_10_reduceItEEE10hipError_tPvRmT2_T3_mT4_T5_T6_T7_T8_P12ihipStream_tbENKUlT_T0_E_clISt17integral_constantIbLb0EES11_EEDaSW_SX_EUlSW_E_NS1_11comp_targetILNS1_3genE2ELNS1_11target_archE906ELNS1_3gpuE6ELNS1_3repE0EEENS1_30default_config_static_selectorELNS0_4arch9wavefront6targetE0EEEvT1_.kd
    .uniform_work_group_size: 1
    .uses_dynamic_stack: false
    .vgpr_count:     0
    .vgpr_spill_count: 0
    .wavefront_size: 32
    .workgroup_processor_mode: 1
  - .args:
      - .offset:         0
        .size:           120
        .value_kind:     by_value
    .group_segment_fixed_size: 0
    .kernarg_segment_align: 8
    .kernarg_segment_size: 120
    .language:       OpenCL C
    .language_version:
      - 2
      - 0
    .max_flat_workgroup_size: 256
    .name:           _ZN7rocprim17ROCPRIM_400000_NS6detail17trampoline_kernelINS0_14default_configENS1_29reduce_by_key_config_selectorIttN6thrust23THRUST_200600_302600_NS4plusItEEEEZZNS1_33reduce_by_key_impl_wrapped_configILNS1_25lookback_scan_determinismE0ES3_S9_NS6_6detail15normal_iteratorINS6_10device_ptrItEEEESG_SG_SG_PmS8_22is_equal_div_10_reduceItEEE10hipError_tPvRmT2_T3_mT4_T5_T6_T7_T8_P12ihipStream_tbENKUlT_T0_E_clISt17integral_constantIbLb0EES11_EEDaSW_SX_EUlSW_E_NS1_11comp_targetILNS1_3genE10ELNS1_11target_archE1201ELNS1_3gpuE5ELNS1_3repE0EEENS1_30default_config_static_selectorELNS0_4arch9wavefront6targetE0EEEvT1_
    .private_segment_fixed_size: 0
    .sgpr_count:     0
    .sgpr_spill_count: 0
    .symbol:         _ZN7rocprim17ROCPRIM_400000_NS6detail17trampoline_kernelINS0_14default_configENS1_29reduce_by_key_config_selectorIttN6thrust23THRUST_200600_302600_NS4plusItEEEEZZNS1_33reduce_by_key_impl_wrapped_configILNS1_25lookback_scan_determinismE0ES3_S9_NS6_6detail15normal_iteratorINS6_10device_ptrItEEEESG_SG_SG_PmS8_22is_equal_div_10_reduceItEEE10hipError_tPvRmT2_T3_mT4_T5_T6_T7_T8_P12ihipStream_tbENKUlT_T0_E_clISt17integral_constantIbLb0EES11_EEDaSW_SX_EUlSW_E_NS1_11comp_targetILNS1_3genE10ELNS1_11target_archE1201ELNS1_3gpuE5ELNS1_3repE0EEENS1_30default_config_static_selectorELNS0_4arch9wavefront6targetE0EEEvT1_.kd
    .uniform_work_group_size: 1
    .uses_dynamic_stack: false
    .vgpr_count:     0
    .vgpr_spill_count: 0
    .wavefront_size: 32
    .workgroup_processor_mode: 1
  - .args:
      - .offset:         0
        .size:           120
        .value_kind:     by_value
    .group_segment_fixed_size: 0
    .kernarg_segment_align: 8
    .kernarg_segment_size: 120
    .language:       OpenCL C
    .language_version:
      - 2
      - 0
    .max_flat_workgroup_size: 256
    .name:           _ZN7rocprim17ROCPRIM_400000_NS6detail17trampoline_kernelINS0_14default_configENS1_29reduce_by_key_config_selectorIttN6thrust23THRUST_200600_302600_NS4plusItEEEEZZNS1_33reduce_by_key_impl_wrapped_configILNS1_25lookback_scan_determinismE0ES3_S9_NS6_6detail15normal_iteratorINS6_10device_ptrItEEEESG_SG_SG_PmS8_22is_equal_div_10_reduceItEEE10hipError_tPvRmT2_T3_mT4_T5_T6_T7_T8_P12ihipStream_tbENKUlT_T0_E_clISt17integral_constantIbLb0EES11_EEDaSW_SX_EUlSW_E_NS1_11comp_targetILNS1_3genE10ELNS1_11target_archE1200ELNS1_3gpuE4ELNS1_3repE0EEENS1_30default_config_static_selectorELNS0_4arch9wavefront6targetE0EEEvT1_
    .private_segment_fixed_size: 0
    .sgpr_count:     0
    .sgpr_spill_count: 0
    .symbol:         _ZN7rocprim17ROCPRIM_400000_NS6detail17trampoline_kernelINS0_14default_configENS1_29reduce_by_key_config_selectorIttN6thrust23THRUST_200600_302600_NS4plusItEEEEZZNS1_33reduce_by_key_impl_wrapped_configILNS1_25lookback_scan_determinismE0ES3_S9_NS6_6detail15normal_iteratorINS6_10device_ptrItEEEESG_SG_SG_PmS8_22is_equal_div_10_reduceItEEE10hipError_tPvRmT2_T3_mT4_T5_T6_T7_T8_P12ihipStream_tbENKUlT_T0_E_clISt17integral_constantIbLb0EES11_EEDaSW_SX_EUlSW_E_NS1_11comp_targetILNS1_3genE10ELNS1_11target_archE1200ELNS1_3gpuE4ELNS1_3repE0EEENS1_30default_config_static_selectorELNS0_4arch9wavefront6targetE0EEEvT1_.kd
    .uniform_work_group_size: 1
    .uses_dynamic_stack: false
    .vgpr_count:     0
    .vgpr_spill_count: 0
    .wavefront_size: 32
    .workgroup_processor_mode: 1
  - .args:
      - .offset:         0
        .size:           120
        .value_kind:     by_value
    .group_segment_fixed_size: 7680
    .kernarg_segment_align: 8
    .kernarg_segment_size: 120
    .language:       OpenCL C
    .language_version:
      - 2
      - 0
    .max_flat_workgroup_size: 256
    .name:           _ZN7rocprim17ROCPRIM_400000_NS6detail17trampoline_kernelINS0_14default_configENS1_29reduce_by_key_config_selectorIttN6thrust23THRUST_200600_302600_NS4plusItEEEEZZNS1_33reduce_by_key_impl_wrapped_configILNS1_25lookback_scan_determinismE0ES3_S9_NS6_6detail15normal_iteratorINS6_10device_ptrItEEEESG_SG_SG_PmS8_22is_equal_div_10_reduceItEEE10hipError_tPvRmT2_T3_mT4_T5_T6_T7_T8_P12ihipStream_tbENKUlT_T0_E_clISt17integral_constantIbLb0EES11_EEDaSW_SX_EUlSW_E_NS1_11comp_targetILNS1_3genE9ELNS1_11target_archE1100ELNS1_3gpuE3ELNS1_3repE0EEENS1_30default_config_static_selectorELNS0_4arch9wavefront6targetE0EEEvT1_
    .private_segment_fixed_size: 0
    .sgpr_count:     46
    .sgpr_spill_count: 0
    .symbol:         _ZN7rocprim17ROCPRIM_400000_NS6detail17trampoline_kernelINS0_14default_configENS1_29reduce_by_key_config_selectorIttN6thrust23THRUST_200600_302600_NS4plusItEEEEZZNS1_33reduce_by_key_impl_wrapped_configILNS1_25lookback_scan_determinismE0ES3_S9_NS6_6detail15normal_iteratorINS6_10device_ptrItEEEESG_SG_SG_PmS8_22is_equal_div_10_reduceItEEE10hipError_tPvRmT2_T3_mT4_T5_T6_T7_T8_P12ihipStream_tbENKUlT_T0_E_clISt17integral_constantIbLb0EES11_EEDaSW_SX_EUlSW_E_NS1_11comp_targetILNS1_3genE9ELNS1_11target_archE1100ELNS1_3gpuE3ELNS1_3repE0EEENS1_30default_config_static_selectorELNS0_4arch9wavefront6targetE0EEEvT1_.kd
    .uniform_work_group_size: 1
    .uses_dynamic_stack: false
    .vgpr_count:     102
    .vgpr_spill_count: 0
    .wavefront_size: 32
    .workgroup_processor_mode: 1
  - .args:
      - .offset:         0
        .size:           120
        .value_kind:     by_value
    .group_segment_fixed_size: 0
    .kernarg_segment_align: 8
    .kernarg_segment_size: 120
    .language:       OpenCL C
    .language_version:
      - 2
      - 0
    .max_flat_workgroup_size: 256
    .name:           _ZN7rocprim17ROCPRIM_400000_NS6detail17trampoline_kernelINS0_14default_configENS1_29reduce_by_key_config_selectorIttN6thrust23THRUST_200600_302600_NS4plusItEEEEZZNS1_33reduce_by_key_impl_wrapped_configILNS1_25lookback_scan_determinismE0ES3_S9_NS6_6detail15normal_iteratorINS6_10device_ptrItEEEESG_SG_SG_PmS8_22is_equal_div_10_reduceItEEE10hipError_tPvRmT2_T3_mT4_T5_T6_T7_T8_P12ihipStream_tbENKUlT_T0_E_clISt17integral_constantIbLb0EES11_EEDaSW_SX_EUlSW_E_NS1_11comp_targetILNS1_3genE8ELNS1_11target_archE1030ELNS1_3gpuE2ELNS1_3repE0EEENS1_30default_config_static_selectorELNS0_4arch9wavefront6targetE0EEEvT1_
    .private_segment_fixed_size: 0
    .sgpr_count:     0
    .sgpr_spill_count: 0
    .symbol:         _ZN7rocprim17ROCPRIM_400000_NS6detail17trampoline_kernelINS0_14default_configENS1_29reduce_by_key_config_selectorIttN6thrust23THRUST_200600_302600_NS4plusItEEEEZZNS1_33reduce_by_key_impl_wrapped_configILNS1_25lookback_scan_determinismE0ES3_S9_NS6_6detail15normal_iteratorINS6_10device_ptrItEEEESG_SG_SG_PmS8_22is_equal_div_10_reduceItEEE10hipError_tPvRmT2_T3_mT4_T5_T6_T7_T8_P12ihipStream_tbENKUlT_T0_E_clISt17integral_constantIbLb0EES11_EEDaSW_SX_EUlSW_E_NS1_11comp_targetILNS1_3genE8ELNS1_11target_archE1030ELNS1_3gpuE2ELNS1_3repE0EEENS1_30default_config_static_selectorELNS0_4arch9wavefront6targetE0EEEvT1_.kd
    .uniform_work_group_size: 1
    .uses_dynamic_stack: false
    .vgpr_count:     0
    .vgpr_spill_count: 0
    .wavefront_size: 32
    .workgroup_processor_mode: 1
  - .args:
      - .offset:         0
        .size:           120
        .value_kind:     by_value
    .group_segment_fixed_size: 0
    .kernarg_segment_align: 8
    .kernarg_segment_size: 120
    .language:       OpenCL C
    .language_version:
      - 2
      - 0
    .max_flat_workgroup_size: 256
    .name:           _ZN7rocprim17ROCPRIM_400000_NS6detail17trampoline_kernelINS0_14default_configENS1_29reduce_by_key_config_selectorIttN6thrust23THRUST_200600_302600_NS4plusItEEEEZZNS1_33reduce_by_key_impl_wrapped_configILNS1_25lookback_scan_determinismE0ES3_S9_NS6_6detail15normal_iteratorINS6_10device_ptrItEEEESG_SG_SG_PmS8_22is_equal_div_10_reduceItEEE10hipError_tPvRmT2_T3_mT4_T5_T6_T7_T8_P12ihipStream_tbENKUlT_T0_E_clISt17integral_constantIbLb1EES11_EEDaSW_SX_EUlSW_E_NS1_11comp_targetILNS1_3genE0ELNS1_11target_archE4294967295ELNS1_3gpuE0ELNS1_3repE0EEENS1_30default_config_static_selectorELNS0_4arch9wavefront6targetE0EEEvT1_
    .private_segment_fixed_size: 0
    .sgpr_count:     0
    .sgpr_spill_count: 0
    .symbol:         _ZN7rocprim17ROCPRIM_400000_NS6detail17trampoline_kernelINS0_14default_configENS1_29reduce_by_key_config_selectorIttN6thrust23THRUST_200600_302600_NS4plusItEEEEZZNS1_33reduce_by_key_impl_wrapped_configILNS1_25lookback_scan_determinismE0ES3_S9_NS6_6detail15normal_iteratorINS6_10device_ptrItEEEESG_SG_SG_PmS8_22is_equal_div_10_reduceItEEE10hipError_tPvRmT2_T3_mT4_T5_T6_T7_T8_P12ihipStream_tbENKUlT_T0_E_clISt17integral_constantIbLb1EES11_EEDaSW_SX_EUlSW_E_NS1_11comp_targetILNS1_3genE0ELNS1_11target_archE4294967295ELNS1_3gpuE0ELNS1_3repE0EEENS1_30default_config_static_selectorELNS0_4arch9wavefront6targetE0EEEvT1_.kd
    .uniform_work_group_size: 1
    .uses_dynamic_stack: false
    .vgpr_count:     0
    .vgpr_spill_count: 0
    .wavefront_size: 32
    .workgroup_processor_mode: 1
  - .args:
      - .offset:         0
        .size:           120
        .value_kind:     by_value
    .group_segment_fixed_size: 0
    .kernarg_segment_align: 8
    .kernarg_segment_size: 120
    .language:       OpenCL C
    .language_version:
      - 2
      - 0
    .max_flat_workgroup_size: 256
    .name:           _ZN7rocprim17ROCPRIM_400000_NS6detail17trampoline_kernelINS0_14default_configENS1_29reduce_by_key_config_selectorIttN6thrust23THRUST_200600_302600_NS4plusItEEEEZZNS1_33reduce_by_key_impl_wrapped_configILNS1_25lookback_scan_determinismE0ES3_S9_NS6_6detail15normal_iteratorINS6_10device_ptrItEEEESG_SG_SG_PmS8_22is_equal_div_10_reduceItEEE10hipError_tPvRmT2_T3_mT4_T5_T6_T7_T8_P12ihipStream_tbENKUlT_T0_E_clISt17integral_constantIbLb1EES11_EEDaSW_SX_EUlSW_E_NS1_11comp_targetILNS1_3genE5ELNS1_11target_archE942ELNS1_3gpuE9ELNS1_3repE0EEENS1_30default_config_static_selectorELNS0_4arch9wavefront6targetE0EEEvT1_
    .private_segment_fixed_size: 0
    .sgpr_count:     0
    .sgpr_spill_count: 0
    .symbol:         _ZN7rocprim17ROCPRIM_400000_NS6detail17trampoline_kernelINS0_14default_configENS1_29reduce_by_key_config_selectorIttN6thrust23THRUST_200600_302600_NS4plusItEEEEZZNS1_33reduce_by_key_impl_wrapped_configILNS1_25lookback_scan_determinismE0ES3_S9_NS6_6detail15normal_iteratorINS6_10device_ptrItEEEESG_SG_SG_PmS8_22is_equal_div_10_reduceItEEE10hipError_tPvRmT2_T3_mT4_T5_T6_T7_T8_P12ihipStream_tbENKUlT_T0_E_clISt17integral_constantIbLb1EES11_EEDaSW_SX_EUlSW_E_NS1_11comp_targetILNS1_3genE5ELNS1_11target_archE942ELNS1_3gpuE9ELNS1_3repE0EEENS1_30default_config_static_selectorELNS0_4arch9wavefront6targetE0EEEvT1_.kd
    .uniform_work_group_size: 1
    .uses_dynamic_stack: false
    .vgpr_count:     0
    .vgpr_spill_count: 0
    .wavefront_size: 32
    .workgroup_processor_mode: 1
  - .args:
      - .offset:         0
        .size:           120
        .value_kind:     by_value
    .group_segment_fixed_size: 0
    .kernarg_segment_align: 8
    .kernarg_segment_size: 120
    .language:       OpenCL C
    .language_version:
      - 2
      - 0
    .max_flat_workgroup_size: 256
    .name:           _ZN7rocprim17ROCPRIM_400000_NS6detail17trampoline_kernelINS0_14default_configENS1_29reduce_by_key_config_selectorIttN6thrust23THRUST_200600_302600_NS4plusItEEEEZZNS1_33reduce_by_key_impl_wrapped_configILNS1_25lookback_scan_determinismE0ES3_S9_NS6_6detail15normal_iteratorINS6_10device_ptrItEEEESG_SG_SG_PmS8_22is_equal_div_10_reduceItEEE10hipError_tPvRmT2_T3_mT4_T5_T6_T7_T8_P12ihipStream_tbENKUlT_T0_E_clISt17integral_constantIbLb1EES11_EEDaSW_SX_EUlSW_E_NS1_11comp_targetILNS1_3genE4ELNS1_11target_archE910ELNS1_3gpuE8ELNS1_3repE0EEENS1_30default_config_static_selectorELNS0_4arch9wavefront6targetE0EEEvT1_
    .private_segment_fixed_size: 0
    .sgpr_count:     0
    .sgpr_spill_count: 0
    .symbol:         _ZN7rocprim17ROCPRIM_400000_NS6detail17trampoline_kernelINS0_14default_configENS1_29reduce_by_key_config_selectorIttN6thrust23THRUST_200600_302600_NS4plusItEEEEZZNS1_33reduce_by_key_impl_wrapped_configILNS1_25lookback_scan_determinismE0ES3_S9_NS6_6detail15normal_iteratorINS6_10device_ptrItEEEESG_SG_SG_PmS8_22is_equal_div_10_reduceItEEE10hipError_tPvRmT2_T3_mT4_T5_T6_T7_T8_P12ihipStream_tbENKUlT_T0_E_clISt17integral_constantIbLb1EES11_EEDaSW_SX_EUlSW_E_NS1_11comp_targetILNS1_3genE4ELNS1_11target_archE910ELNS1_3gpuE8ELNS1_3repE0EEENS1_30default_config_static_selectorELNS0_4arch9wavefront6targetE0EEEvT1_.kd
    .uniform_work_group_size: 1
    .uses_dynamic_stack: false
    .vgpr_count:     0
    .vgpr_spill_count: 0
    .wavefront_size: 32
    .workgroup_processor_mode: 1
  - .args:
      - .offset:         0
        .size:           120
        .value_kind:     by_value
    .group_segment_fixed_size: 0
    .kernarg_segment_align: 8
    .kernarg_segment_size: 120
    .language:       OpenCL C
    .language_version:
      - 2
      - 0
    .max_flat_workgroup_size: 256
    .name:           _ZN7rocprim17ROCPRIM_400000_NS6detail17trampoline_kernelINS0_14default_configENS1_29reduce_by_key_config_selectorIttN6thrust23THRUST_200600_302600_NS4plusItEEEEZZNS1_33reduce_by_key_impl_wrapped_configILNS1_25lookback_scan_determinismE0ES3_S9_NS6_6detail15normal_iteratorINS6_10device_ptrItEEEESG_SG_SG_PmS8_22is_equal_div_10_reduceItEEE10hipError_tPvRmT2_T3_mT4_T5_T6_T7_T8_P12ihipStream_tbENKUlT_T0_E_clISt17integral_constantIbLb1EES11_EEDaSW_SX_EUlSW_E_NS1_11comp_targetILNS1_3genE3ELNS1_11target_archE908ELNS1_3gpuE7ELNS1_3repE0EEENS1_30default_config_static_selectorELNS0_4arch9wavefront6targetE0EEEvT1_
    .private_segment_fixed_size: 0
    .sgpr_count:     0
    .sgpr_spill_count: 0
    .symbol:         _ZN7rocprim17ROCPRIM_400000_NS6detail17trampoline_kernelINS0_14default_configENS1_29reduce_by_key_config_selectorIttN6thrust23THRUST_200600_302600_NS4plusItEEEEZZNS1_33reduce_by_key_impl_wrapped_configILNS1_25lookback_scan_determinismE0ES3_S9_NS6_6detail15normal_iteratorINS6_10device_ptrItEEEESG_SG_SG_PmS8_22is_equal_div_10_reduceItEEE10hipError_tPvRmT2_T3_mT4_T5_T6_T7_T8_P12ihipStream_tbENKUlT_T0_E_clISt17integral_constantIbLb1EES11_EEDaSW_SX_EUlSW_E_NS1_11comp_targetILNS1_3genE3ELNS1_11target_archE908ELNS1_3gpuE7ELNS1_3repE0EEENS1_30default_config_static_selectorELNS0_4arch9wavefront6targetE0EEEvT1_.kd
    .uniform_work_group_size: 1
    .uses_dynamic_stack: false
    .vgpr_count:     0
    .vgpr_spill_count: 0
    .wavefront_size: 32
    .workgroup_processor_mode: 1
  - .args:
      - .offset:         0
        .size:           120
        .value_kind:     by_value
    .group_segment_fixed_size: 0
    .kernarg_segment_align: 8
    .kernarg_segment_size: 120
    .language:       OpenCL C
    .language_version:
      - 2
      - 0
    .max_flat_workgroup_size: 256
    .name:           _ZN7rocprim17ROCPRIM_400000_NS6detail17trampoline_kernelINS0_14default_configENS1_29reduce_by_key_config_selectorIttN6thrust23THRUST_200600_302600_NS4plusItEEEEZZNS1_33reduce_by_key_impl_wrapped_configILNS1_25lookback_scan_determinismE0ES3_S9_NS6_6detail15normal_iteratorINS6_10device_ptrItEEEESG_SG_SG_PmS8_22is_equal_div_10_reduceItEEE10hipError_tPvRmT2_T3_mT4_T5_T6_T7_T8_P12ihipStream_tbENKUlT_T0_E_clISt17integral_constantIbLb1EES11_EEDaSW_SX_EUlSW_E_NS1_11comp_targetILNS1_3genE2ELNS1_11target_archE906ELNS1_3gpuE6ELNS1_3repE0EEENS1_30default_config_static_selectorELNS0_4arch9wavefront6targetE0EEEvT1_
    .private_segment_fixed_size: 0
    .sgpr_count:     0
    .sgpr_spill_count: 0
    .symbol:         _ZN7rocprim17ROCPRIM_400000_NS6detail17trampoline_kernelINS0_14default_configENS1_29reduce_by_key_config_selectorIttN6thrust23THRUST_200600_302600_NS4plusItEEEEZZNS1_33reduce_by_key_impl_wrapped_configILNS1_25lookback_scan_determinismE0ES3_S9_NS6_6detail15normal_iteratorINS6_10device_ptrItEEEESG_SG_SG_PmS8_22is_equal_div_10_reduceItEEE10hipError_tPvRmT2_T3_mT4_T5_T6_T7_T8_P12ihipStream_tbENKUlT_T0_E_clISt17integral_constantIbLb1EES11_EEDaSW_SX_EUlSW_E_NS1_11comp_targetILNS1_3genE2ELNS1_11target_archE906ELNS1_3gpuE6ELNS1_3repE0EEENS1_30default_config_static_selectorELNS0_4arch9wavefront6targetE0EEEvT1_.kd
    .uniform_work_group_size: 1
    .uses_dynamic_stack: false
    .vgpr_count:     0
    .vgpr_spill_count: 0
    .wavefront_size: 32
    .workgroup_processor_mode: 1
  - .args:
      - .offset:         0
        .size:           120
        .value_kind:     by_value
    .group_segment_fixed_size: 0
    .kernarg_segment_align: 8
    .kernarg_segment_size: 120
    .language:       OpenCL C
    .language_version:
      - 2
      - 0
    .max_flat_workgroup_size: 256
    .name:           _ZN7rocprim17ROCPRIM_400000_NS6detail17trampoline_kernelINS0_14default_configENS1_29reduce_by_key_config_selectorIttN6thrust23THRUST_200600_302600_NS4plusItEEEEZZNS1_33reduce_by_key_impl_wrapped_configILNS1_25lookback_scan_determinismE0ES3_S9_NS6_6detail15normal_iteratorINS6_10device_ptrItEEEESG_SG_SG_PmS8_22is_equal_div_10_reduceItEEE10hipError_tPvRmT2_T3_mT4_T5_T6_T7_T8_P12ihipStream_tbENKUlT_T0_E_clISt17integral_constantIbLb1EES11_EEDaSW_SX_EUlSW_E_NS1_11comp_targetILNS1_3genE10ELNS1_11target_archE1201ELNS1_3gpuE5ELNS1_3repE0EEENS1_30default_config_static_selectorELNS0_4arch9wavefront6targetE0EEEvT1_
    .private_segment_fixed_size: 0
    .sgpr_count:     0
    .sgpr_spill_count: 0
    .symbol:         _ZN7rocprim17ROCPRIM_400000_NS6detail17trampoline_kernelINS0_14default_configENS1_29reduce_by_key_config_selectorIttN6thrust23THRUST_200600_302600_NS4plusItEEEEZZNS1_33reduce_by_key_impl_wrapped_configILNS1_25lookback_scan_determinismE0ES3_S9_NS6_6detail15normal_iteratorINS6_10device_ptrItEEEESG_SG_SG_PmS8_22is_equal_div_10_reduceItEEE10hipError_tPvRmT2_T3_mT4_T5_T6_T7_T8_P12ihipStream_tbENKUlT_T0_E_clISt17integral_constantIbLb1EES11_EEDaSW_SX_EUlSW_E_NS1_11comp_targetILNS1_3genE10ELNS1_11target_archE1201ELNS1_3gpuE5ELNS1_3repE0EEENS1_30default_config_static_selectorELNS0_4arch9wavefront6targetE0EEEvT1_.kd
    .uniform_work_group_size: 1
    .uses_dynamic_stack: false
    .vgpr_count:     0
    .vgpr_spill_count: 0
    .wavefront_size: 32
    .workgroup_processor_mode: 1
  - .args:
      - .offset:         0
        .size:           120
        .value_kind:     by_value
    .group_segment_fixed_size: 0
    .kernarg_segment_align: 8
    .kernarg_segment_size: 120
    .language:       OpenCL C
    .language_version:
      - 2
      - 0
    .max_flat_workgroup_size: 256
    .name:           _ZN7rocprim17ROCPRIM_400000_NS6detail17trampoline_kernelINS0_14default_configENS1_29reduce_by_key_config_selectorIttN6thrust23THRUST_200600_302600_NS4plusItEEEEZZNS1_33reduce_by_key_impl_wrapped_configILNS1_25lookback_scan_determinismE0ES3_S9_NS6_6detail15normal_iteratorINS6_10device_ptrItEEEESG_SG_SG_PmS8_22is_equal_div_10_reduceItEEE10hipError_tPvRmT2_T3_mT4_T5_T6_T7_T8_P12ihipStream_tbENKUlT_T0_E_clISt17integral_constantIbLb1EES11_EEDaSW_SX_EUlSW_E_NS1_11comp_targetILNS1_3genE10ELNS1_11target_archE1200ELNS1_3gpuE4ELNS1_3repE0EEENS1_30default_config_static_selectorELNS0_4arch9wavefront6targetE0EEEvT1_
    .private_segment_fixed_size: 0
    .sgpr_count:     0
    .sgpr_spill_count: 0
    .symbol:         _ZN7rocprim17ROCPRIM_400000_NS6detail17trampoline_kernelINS0_14default_configENS1_29reduce_by_key_config_selectorIttN6thrust23THRUST_200600_302600_NS4plusItEEEEZZNS1_33reduce_by_key_impl_wrapped_configILNS1_25lookback_scan_determinismE0ES3_S9_NS6_6detail15normal_iteratorINS6_10device_ptrItEEEESG_SG_SG_PmS8_22is_equal_div_10_reduceItEEE10hipError_tPvRmT2_T3_mT4_T5_T6_T7_T8_P12ihipStream_tbENKUlT_T0_E_clISt17integral_constantIbLb1EES11_EEDaSW_SX_EUlSW_E_NS1_11comp_targetILNS1_3genE10ELNS1_11target_archE1200ELNS1_3gpuE4ELNS1_3repE0EEENS1_30default_config_static_selectorELNS0_4arch9wavefront6targetE0EEEvT1_.kd
    .uniform_work_group_size: 1
    .uses_dynamic_stack: false
    .vgpr_count:     0
    .vgpr_spill_count: 0
    .wavefront_size: 32
    .workgroup_processor_mode: 1
  - .args:
      - .offset:         0
        .size:           120
        .value_kind:     by_value
    .group_segment_fixed_size: 7680
    .kernarg_segment_align: 8
    .kernarg_segment_size: 120
    .language:       OpenCL C
    .language_version:
      - 2
      - 0
    .max_flat_workgroup_size: 256
    .name:           _ZN7rocprim17ROCPRIM_400000_NS6detail17trampoline_kernelINS0_14default_configENS1_29reduce_by_key_config_selectorIttN6thrust23THRUST_200600_302600_NS4plusItEEEEZZNS1_33reduce_by_key_impl_wrapped_configILNS1_25lookback_scan_determinismE0ES3_S9_NS6_6detail15normal_iteratorINS6_10device_ptrItEEEESG_SG_SG_PmS8_22is_equal_div_10_reduceItEEE10hipError_tPvRmT2_T3_mT4_T5_T6_T7_T8_P12ihipStream_tbENKUlT_T0_E_clISt17integral_constantIbLb1EES11_EEDaSW_SX_EUlSW_E_NS1_11comp_targetILNS1_3genE9ELNS1_11target_archE1100ELNS1_3gpuE3ELNS1_3repE0EEENS1_30default_config_static_selectorELNS0_4arch9wavefront6targetE0EEEvT1_
    .private_segment_fixed_size: 0
    .sgpr_count:     46
    .sgpr_spill_count: 0
    .symbol:         _ZN7rocprim17ROCPRIM_400000_NS6detail17trampoline_kernelINS0_14default_configENS1_29reduce_by_key_config_selectorIttN6thrust23THRUST_200600_302600_NS4plusItEEEEZZNS1_33reduce_by_key_impl_wrapped_configILNS1_25lookback_scan_determinismE0ES3_S9_NS6_6detail15normal_iteratorINS6_10device_ptrItEEEESG_SG_SG_PmS8_22is_equal_div_10_reduceItEEE10hipError_tPvRmT2_T3_mT4_T5_T6_T7_T8_P12ihipStream_tbENKUlT_T0_E_clISt17integral_constantIbLb1EES11_EEDaSW_SX_EUlSW_E_NS1_11comp_targetILNS1_3genE9ELNS1_11target_archE1100ELNS1_3gpuE3ELNS1_3repE0EEENS1_30default_config_static_selectorELNS0_4arch9wavefront6targetE0EEEvT1_.kd
    .uniform_work_group_size: 1
    .uses_dynamic_stack: false
    .vgpr_count:     102
    .vgpr_spill_count: 0
    .wavefront_size: 32
    .workgroup_processor_mode: 1
  - .args:
      - .offset:         0
        .size:           120
        .value_kind:     by_value
    .group_segment_fixed_size: 0
    .kernarg_segment_align: 8
    .kernarg_segment_size: 120
    .language:       OpenCL C
    .language_version:
      - 2
      - 0
    .max_flat_workgroup_size: 256
    .name:           _ZN7rocprim17ROCPRIM_400000_NS6detail17trampoline_kernelINS0_14default_configENS1_29reduce_by_key_config_selectorIttN6thrust23THRUST_200600_302600_NS4plusItEEEEZZNS1_33reduce_by_key_impl_wrapped_configILNS1_25lookback_scan_determinismE0ES3_S9_NS6_6detail15normal_iteratorINS6_10device_ptrItEEEESG_SG_SG_PmS8_22is_equal_div_10_reduceItEEE10hipError_tPvRmT2_T3_mT4_T5_T6_T7_T8_P12ihipStream_tbENKUlT_T0_E_clISt17integral_constantIbLb1EES11_EEDaSW_SX_EUlSW_E_NS1_11comp_targetILNS1_3genE8ELNS1_11target_archE1030ELNS1_3gpuE2ELNS1_3repE0EEENS1_30default_config_static_selectorELNS0_4arch9wavefront6targetE0EEEvT1_
    .private_segment_fixed_size: 0
    .sgpr_count:     0
    .sgpr_spill_count: 0
    .symbol:         _ZN7rocprim17ROCPRIM_400000_NS6detail17trampoline_kernelINS0_14default_configENS1_29reduce_by_key_config_selectorIttN6thrust23THRUST_200600_302600_NS4plusItEEEEZZNS1_33reduce_by_key_impl_wrapped_configILNS1_25lookback_scan_determinismE0ES3_S9_NS6_6detail15normal_iteratorINS6_10device_ptrItEEEESG_SG_SG_PmS8_22is_equal_div_10_reduceItEEE10hipError_tPvRmT2_T3_mT4_T5_T6_T7_T8_P12ihipStream_tbENKUlT_T0_E_clISt17integral_constantIbLb1EES11_EEDaSW_SX_EUlSW_E_NS1_11comp_targetILNS1_3genE8ELNS1_11target_archE1030ELNS1_3gpuE2ELNS1_3repE0EEENS1_30default_config_static_selectorELNS0_4arch9wavefront6targetE0EEEvT1_.kd
    .uniform_work_group_size: 1
    .uses_dynamic_stack: false
    .vgpr_count:     0
    .vgpr_spill_count: 0
    .wavefront_size: 32
    .workgroup_processor_mode: 1
  - .args:
      - .offset:         0
        .size:           120
        .value_kind:     by_value
    .group_segment_fixed_size: 0
    .kernarg_segment_align: 8
    .kernarg_segment_size: 120
    .language:       OpenCL C
    .language_version:
      - 2
      - 0
    .max_flat_workgroup_size: 256
    .name:           _ZN7rocprim17ROCPRIM_400000_NS6detail17trampoline_kernelINS0_14default_configENS1_29reduce_by_key_config_selectorIttN6thrust23THRUST_200600_302600_NS4plusItEEEEZZNS1_33reduce_by_key_impl_wrapped_configILNS1_25lookback_scan_determinismE0ES3_S9_NS6_6detail15normal_iteratorINS6_10device_ptrItEEEESG_SG_SG_PmS8_22is_equal_div_10_reduceItEEE10hipError_tPvRmT2_T3_mT4_T5_T6_T7_T8_P12ihipStream_tbENKUlT_T0_E_clISt17integral_constantIbLb1EES10_IbLb0EEEEDaSW_SX_EUlSW_E_NS1_11comp_targetILNS1_3genE0ELNS1_11target_archE4294967295ELNS1_3gpuE0ELNS1_3repE0EEENS1_30default_config_static_selectorELNS0_4arch9wavefront6targetE0EEEvT1_
    .private_segment_fixed_size: 0
    .sgpr_count:     0
    .sgpr_spill_count: 0
    .symbol:         _ZN7rocprim17ROCPRIM_400000_NS6detail17trampoline_kernelINS0_14default_configENS1_29reduce_by_key_config_selectorIttN6thrust23THRUST_200600_302600_NS4plusItEEEEZZNS1_33reduce_by_key_impl_wrapped_configILNS1_25lookback_scan_determinismE0ES3_S9_NS6_6detail15normal_iteratorINS6_10device_ptrItEEEESG_SG_SG_PmS8_22is_equal_div_10_reduceItEEE10hipError_tPvRmT2_T3_mT4_T5_T6_T7_T8_P12ihipStream_tbENKUlT_T0_E_clISt17integral_constantIbLb1EES10_IbLb0EEEEDaSW_SX_EUlSW_E_NS1_11comp_targetILNS1_3genE0ELNS1_11target_archE4294967295ELNS1_3gpuE0ELNS1_3repE0EEENS1_30default_config_static_selectorELNS0_4arch9wavefront6targetE0EEEvT1_.kd
    .uniform_work_group_size: 1
    .uses_dynamic_stack: false
    .vgpr_count:     0
    .vgpr_spill_count: 0
    .wavefront_size: 32
    .workgroup_processor_mode: 1
  - .args:
      - .offset:         0
        .size:           120
        .value_kind:     by_value
    .group_segment_fixed_size: 0
    .kernarg_segment_align: 8
    .kernarg_segment_size: 120
    .language:       OpenCL C
    .language_version:
      - 2
      - 0
    .max_flat_workgroup_size: 256
    .name:           _ZN7rocprim17ROCPRIM_400000_NS6detail17trampoline_kernelINS0_14default_configENS1_29reduce_by_key_config_selectorIttN6thrust23THRUST_200600_302600_NS4plusItEEEEZZNS1_33reduce_by_key_impl_wrapped_configILNS1_25lookback_scan_determinismE0ES3_S9_NS6_6detail15normal_iteratorINS6_10device_ptrItEEEESG_SG_SG_PmS8_22is_equal_div_10_reduceItEEE10hipError_tPvRmT2_T3_mT4_T5_T6_T7_T8_P12ihipStream_tbENKUlT_T0_E_clISt17integral_constantIbLb1EES10_IbLb0EEEEDaSW_SX_EUlSW_E_NS1_11comp_targetILNS1_3genE5ELNS1_11target_archE942ELNS1_3gpuE9ELNS1_3repE0EEENS1_30default_config_static_selectorELNS0_4arch9wavefront6targetE0EEEvT1_
    .private_segment_fixed_size: 0
    .sgpr_count:     0
    .sgpr_spill_count: 0
    .symbol:         _ZN7rocprim17ROCPRIM_400000_NS6detail17trampoline_kernelINS0_14default_configENS1_29reduce_by_key_config_selectorIttN6thrust23THRUST_200600_302600_NS4plusItEEEEZZNS1_33reduce_by_key_impl_wrapped_configILNS1_25lookback_scan_determinismE0ES3_S9_NS6_6detail15normal_iteratorINS6_10device_ptrItEEEESG_SG_SG_PmS8_22is_equal_div_10_reduceItEEE10hipError_tPvRmT2_T3_mT4_T5_T6_T7_T8_P12ihipStream_tbENKUlT_T0_E_clISt17integral_constantIbLb1EES10_IbLb0EEEEDaSW_SX_EUlSW_E_NS1_11comp_targetILNS1_3genE5ELNS1_11target_archE942ELNS1_3gpuE9ELNS1_3repE0EEENS1_30default_config_static_selectorELNS0_4arch9wavefront6targetE0EEEvT1_.kd
    .uniform_work_group_size: 1
    .uses_dynamic_stack: false
    .vgpr_count:     0
    .vgpr_spill_count: 0
    .wavefront_size: 32
    .workgroup_processor_mode: 1
  - .args:
      - .offset:         0
        .size:           120
        .value_kind:     by_value
    .group_segment_fixed_size: 0
    .kernarg_segment_align: 8
    .kernarg_segment_size: 120
    .language:       OpenCL C
    .language_version:
      - 2
      - 0
    .max_flat_workgroup_size: 256
    .name:           _ZN7rocprim17ROCPRIM_400000_NS6detail17trampoline_kernelINS0_14default_configENS1_29reduce_by_key_config_selectorIttN6thrust23THRUST_200600_302600_NS4plusItEEEEZZNS1_33reduce_by_key_impl_wrapped_configILNS1_25lookback_scan_determinismE0ES3_S9_NS6_6detail15normal_iteratorINS6_10device_ptrItEEEESG_SG_SG_PmS8_22is_equal_div_10_reduceItEEE10hipError_tPvRmT2_T3_mT4_T5_T6_T7_T8_P12ihipStream_tbENKUlT_T0_E_clISt17integral_constantIbLb1EES10_IbLb0EEEEDaSW_SX_EUlSW_E_NS1_11comp_targetILNS1_3genE4ELNS1_11target_archE910ELNS1_3gpuE8ELNS1_3repE0EEENS1_30default_config_static_selectorELNS0_4arch9wavefront6targetE0EEEvT1_
    .private_segment_fixed_size: 0
    .sgpr_count:     0
    .sgpr_spill_count: 0
    .symbol:         _ZN7rocprim17ROCPRIM_400000_NS6detail17trampoline_kernelINS0_14default_configENS1_29reduce_by_key_config_selectorIttN6thrust23THRUST_200600_302600_NS4plusItEEEEZZNS1_33reduce_by_key_impl_wrapped_configILNS1_25lookback_scan_determinismE0ES3_S9_NS6_6detail15normal_iteratorINS6_10device_ptrItEEEESG_SG_SG_PmS8_22is_equal_div_10_reduceItEEE10hipError_tPvRmT2_T3_mT4_T5_T6_T7_T8_P12ihipStream_tbENKUlT_T0_E_clISt17integral_constantIbLb1EES10_IbLb0EEEEDaSW_SX_EUlSW_E_NS1_11comp_targetILNS1_3genE4ELNS1_11target_archE910ELNS1_3gpuE8ELNS1_3repE0EEENS1_30default_config_static_selectorELNS0_4arch9wavefront6targetE0EEEvT1_.kd
    .uniform_work_group_size: 1
    .uses_dynamic_stack: false
    .vgpr_count:     0
    .vgpr_spill_count: 0
    .wavefront_size: 32
    .workgroup_processor_mode: 1
  - .args:
      - .offset:         0
        .size:           120
        .value_kind:     by_value
    .group_segment_fixed_size: 0
    .kernarg_segment_align: 8
    .kernarg_segment_size: 120
    .language:       OpenCL C
    .language_version:
      - 2
      - 0
    .max_flat_workgroup_size: 256
    .name:           _ZN7rocprim17ROCPRIM_400000_NS6detail17trampoline_kernelINS0_14default_configENS1_29reduce_by_key_config_selectorIttN6thrust23THRUST_200600_302600_NS4plusItEEEEZZNS1_33reduce_by_key_impl_wrapped_configILNS1_25lookback_scan_determinismE0ES3_S9_NS6_6detail15normal_iteratorINS6_10device_ptrItEEEESG_SG_SG_PmS8_22is_equal_div_10_reduceItEEE10hipError_tPvRmT2_T3_mT4_T5_T6_T7_T8_P12ihipStream_tbENKUlT_T0_E_clISt17integral_constantIbLb1EES10_IbLb0EEEEDaSW_SX_EUlSW_E_NS1_11comp_targetILNS1_3genE3ELNS1_11target_archE908ELNS1_3gpuE7ELNS1_3repE0EEENS1_30default_config_static_selectorELNS0_4arch9wavefront6targetE0EEEvT1_
    .private_segment_fixed_size: 0
    .sgpr_count:     0
    .sgpr_spill_count: 0
    .symbol:         _ZN7rocprim17ROCPRIM_400000_NS6detail17trampoline_kernelINS0_14default_configENS1_29reduce_by_key_config_selectorIttN6thrust23THRUST_200600_302600_NS4plusItEEEEZZNS1_33reduce_by_key_impl_wrapped_configILNS1_25lookback_scan_determinismE0ES3_S9_NS6_6detail15normal_iteratorINS6_10device_ptrItEEEESG_SG_SG_PmS8_22is_equal_div_10_reduceItEEE10hipError_tPvRmT2_T3_mT4_T5_T6_T7_T8_P12ihipStream_tbENKUlT_T0_E_clISt17integral_constantIbLb1EES10_IbLb0EEEEDaSW_SX_EUlSW_E_NS1_11comp_targetILNS1_3genE3ELNS1_11target_archE908ELNS1_3gpuE7ELNS1_3repE0EEENS1_30default_config_static_selectorELNS0_4arch9wavefront6targetE0EEEvT1_.kd
    .uniform_work_group_size: 1
    .uses_dynamic_stack: false
    .vgpr_count:     0
    .vgpr_spill_count: 0
    .wavefront_size: 32
    .workgroup_processor_mode: 1
  - .args:
      - .offset:         0
        .size:           120
        .value_kind:     by_value
    .group_segment_fixed_size: 0
    .kernarg_segment_align: 8
    .kernarg_segment_size: 120
    .language:       OpenCL C
    .language_version:
      - 2
      - 0
    .max_flat_workgroup_size: 256
    .name:           _ZN7rocprim17ROCPRIM_400000_NS6detail17trampoline_kernelINS0_14default_configENS1_29reduce_by_key_config_selectorIttN6thrust23THRUST_200600_302600_NS4plusItEEEEZZNS1_33reduce_by_key_impl_wrapped_configILNS1_25lookback_scan_determinismE0ES3_S9_NS6_6detail15normal_iteratorINS6_10device_ptrItEEEESG_SG_SG_PmS8_22is_equal_div_10_reduceItEEE10hipError_tPvRmT2_T3_mT4_T5_T6_T7_T8_P12ihipStream_tbENKUlT_T0_E_clISt17integral_constantIbLb1EES10_IbLb0EEEEDaSW_SX_EUlSW_E_NS1_11comp_targetILNS1_3genE2ELNS1_11target_archE906ELNS1_3gpuE6ELNS1_3repE0EEENS1_30default_config_static_selectorELNS0_4arch9wavefront6targetE0EEEvT1_
    .private_segment_fixed_size: 0
    .sgpr_count:     0
    .sgpr_spill_count: 0
    .symbol:         _ZN7rocprim17ROCPRIM_400000_NS6detail17trampoline_kernelINS0_14default_configENS1_29reduce_by_key_config_selectorIttN6thrust23THRUST_200600_302600_NS4plusItEEEEZZNS1_33reduce_by_key_impl_wrapped_configILNS1_25lookback_scan_determinismE0ES3_S9_NS6_6detail15normal_iteratorINS6_10device_ptrItEEEESG_SG_SG_PmS8_22is_equal_div_10_reduceItEEE10hipError_tPvRmT2_T3_mT4_T5_T6_T7_T8_P12ihipStream_tbENKUlT_T0_E_clISt17integral_constantIbLb1EES10_IbLb0EEEEDaSW_SX_EUlSW_E_NS1_11comp_targetILNS1_3genE2ELNS1_11target_archE906ELNS1_3gpuE6ELNS1_3repE0EEENS1_30default_config_static_selectorELNS0_4arch9wavefront6targetE0EEEvT1_.kd
    .uniform_work_group_size: 1
    .uses_dynamic_stack: false
    .vgpr_count:     0
    .vgpr_spill_count: 0
    .wavefront_size: 32
    .workgroup_processor_mode: 1
  - .args:
      - .offset:         0
        .size:           120
        .value_kind:     by_value
    .group_segment_fixed_size: 0
    .kernarg_segment_align: 8
    .kernarg_segment_size: 120
    .language:       OpenCL C
    .language_version:
      - 2
      - 0
    .max_flat_workgroup_size: 256
    .name:           _ZN7rocprim17ROCPRIM_400000_NS6detail17trampoline_kernelINS0_14default_configENS1_29reduce_by_key_config_selectorIttN6thrust23THRUST_200600_302600_NS4plusItEEEEZZNS1_33reduce_by_key_impl_wrapped_configILNS1_25lookback_scan_determinismE0ES3_S9_NS6_6detail15normal_iteratorINS6_10device_ptrItEEEESG_SG_SG_PmS8_22is_equal_div_10_reduceItEEE10hipError_tPvRmT2_T3_mT4_T5_T6_T7_T8_P12ihipStream_tbENKUlT_T0_E_clISt17integral_constantIbLb1EES10_IbLb0EEEEDaSW_SX_EUlSW_E_NS1_11comp_targetILNS1_3genE10ELNS1_11target_archE1201ELNS1_3gpuE5ELNS1_3repE0EEENS1_30default_config_static_selectorELNS0_4arch9wavefront6targetE0EEEvT1_
    .private_segment_fixed_size: 0
    .sgpr_count:     0
    .sgpr_spill_count: 0
    .symbol:         _ZN7rocprim17ROCPRIM_400000_NS6detail17trampoline_kernelINS0_14default_configENS1_29reduce_by_key_config_selectorIttN6thrust23THRUST_200600_302600_NS4plusItEEEEZZNS1_33reduce_by_key_impl_wrapped_configILNS1_25lookback_scan_determinismE0ES3_S9_NS6_6detail15normal_iteratorINS6_10device_ptrItEEEESG_SG_SG_PmS8_22is_equal_div_10_reduceItEEE10hipError_tPvRmT2_T3_mT4_T5_T6_T7_T8_P12ihipStream_tbENKUlT_T0_E_clISt17integral_constantIbLb1EES10_IbLb0EEEEDaSW_SX_EUlSW_E_NS1_11comp_targetILNS1_3genE10ELNS1_11target_archE1201ELNS1_3gpuE5ELNS1_3repE0EEENS1_30default_config_static_selectorELNS0_4arch9wavefront6targetE0EEEvT1_.kd
    .uniform_work_group_size: 1
    .uses_dynamic_stack: false
    .vgpr_count:     0
    .vgpr_spill_count: 0
    .wavefront_size: 32
    .workgroup_processor_mode: 1
  - .args:
      - .offset:         0
        .size:           120
        .value_kind:     by_value
    .group_segment_fixed_size: 0
    .kernarg_segment_align: 8
    .kernarg_segment_size: 120
    .language:       OpenCL C
    .language_version:
      - 2
      - 0
    .max_flat_workgroup_size: 256
    .name:           _ZN7rocprim17ROCPRIM_400000_NS6detail17trampoline_kernelINS0_14default_configENS1_29reduce_by_key_config_selectorIttN6thrust23THRUST_200600_302600_NS4plusItEEEEZZNS1_33reduce_by_key_impl_wrapped_configILNS1_25lookback_scan_determinismE0ES3_S9_NS6_6detail15normal_iteratorINS6_10device_ptrItEEEESG_SG_SG_PmS8_22is_equal_div_10_reduceItEEE10hipError_tPvRmT2_T3_mT4_T5_T6_T7_T8_P12ihipStream_tbENKUlT_T0_E_clISt17integral_constantIbLb1EES10_IbLb0EEEEDaSW_SX_EUlSW_E_NS1_11comp_targetILNS1_3genE10ELNS1_11target_archE1200ELNS1_3gpuE4ELNS1_3repE0EEENS1_30default_config_static_selectorELNS0_4arch9wavefront6targetE0EEEvT1_
    .private_segment_fixed_size: 0
    .sgpr_count:     0
    .sgpr_spill_count: 0
    .symbol:         _ZN7rocprim17ROCPRIM_400000_NS6detail17trampoline_kernelINS0_14default_configENS1_29reduce_by_key_config_selectorIttN6thrust23THRUST_200600_302600_NS4plusItEEEEZZNS1_33reduce_by_key_impl_wrapped_configILNS1_25lookback_scan_determinismE0ES3_S9_NS6_6detail15normal_iteratorINS6_10device_ptrItEEEESG_SG_SG_PmS8_22is_equal_div_10_reduceItEEE10hipError_tPvRmT2_T3_mT4_T5_T6_T7_T8_P12ihipStream_tbENKUlT_T0_E_clISt17integral_constantIbLb1EES10_IbLb0EEEEDaSW_SX_EUlSW_E_NS1_11comp_targetILNS1_3genE10ELNS1_11target_archE1200ELNS1_3gpuE4ELNS1_3repE0EEENS1_30default_config_static_selectorELNS0_4arch9wavefront6targetE0EEEvT1_.kd
    .uniform_work_group_size: 1
    .uses_dynamic_stack: false
    .vgpr_count:     0
    .vgpr_spill_count: 0
    .wavefront_size: 32
    .workgroup_processor_mode: 1
  - .args:
      - .offset:         0
        .size:           120
        .value_kind:     by_value
    .group_segment_fixed_size: 7680
    .kernarg_segment_align: 8
    .kernarg_segment_size: 120
    .language:       OpenCL C
    .language_version:
      - 2
      - 0
    .max_flat_workgroup_size: 256
    .name:           _ZN7rocprim17ROCPRIM_400000_NS6detail17trampoline_kernelINS0_14default_configENS1_29reduce_by_key_config_selectorIttN6thrust23THRUST_200600_302600_NS4plusItEEEEZZNS1_33reduce_by_key_impl_wrapped_configILNS1_25lookback_scan_determinismE0ES3_S9_NS6_6detail15normal_iteratorINS6_10device_ptrItEEEESG_SG_SG_PmS8_22is_equal_div_10_reduceItEEE10hipError_tPvRmT2_T3_mT4_T5_T6_T7_T8_P12ihipStream_tbENKUlT_T0_E_clISt17integral_constantIbLb1EES10_IbLb0EEEEDaSW_SX_EUlSW_E_NS1_11comp_targetILNS1_3genE9ELNS1_11target_archE1100ELNS1_3gpuE3ELNS1_3repE0EEENS1_30default_config_static_selectorELNS0_4arch9wavefront6targetE0EEEvT1_
    .private_segment_fixed_size: 0
    .sgpr_count:     46
    .sgpr_spill_count: 0
    .symbol:         _ZN7rocprim17ROCPRIM_400000_NS6detail17trampoline_kernelINS0_14default_configENS1_29reduce_by_key_config_selectorIttN6thrust23THRUST_200600_302600_NS4plusItEEEEZZNS1_33reduce_by_key_impl_wrapped_configILNS1_25lookback_scan_determinismE0ES3_S9_NS6_6detail15normal_iteratorINS6_10device_ptrItEEEESG_SG_SG_PmS8_22is_equal_div_10_reduceItEEE10hipError_tPvRmT2_T3_mT4_T5_T6_T7_T8_P12ihipStream_tbENKUlT_T0_E_clISt17integral_constantIbLb1EES10_IbLb0EEEEDaSW_SX_EUlSW_E_NS1_11comp_targetILNS1_3genE9ELNS1_11target_archE1100ELNS1_3gpuE3ELNS1_3repE0EEENS1_30default_config_static_selectorELNS0_4arch9wavefront6targetE0EEEvT1_.kd
    .uniform_work_group_size: 1
    .uses_dynamic_stack: false
    .vgpr_count:     102
    .vgpr_spill_count: 0
    .wavefront_size: 32
    .workgroup_processor_mode: 1
  - .args:
      - .offset:         0
        .size:           120
        .value_kind:     by_value
    .group_segment_fixed_size: 0
    .kernarg_segment_align: 8
    .kernarg_segment_size: 120
    .language:       OpenCL C
    .language_version:
      - 2
      - 0
    .max_flat_workgroup_size: 256
    .name:           _ZN7rocprim17ROCPRIM_400000_NS6detail17trampoline_kernelINS0_14default_configENS1_29reduce_by_key_config_selectorIttN6thrust23THRUST_200600_302600_NS4plusItEEEEZZNS1_33reduce_by_key_impl_wrapped_configILNS1_25lookback_scan_determinismE0ES3_S9_NS6_6detail15normal_iteratorINS6_10device_ptrItEEEESG_SG_SG_PmS8_22is_equal_div_10_reduceItEEE10hipError_tPvRmT2_T3_mT4_T5_T6_T7_T8_P12ihipStream_tbENKUlT_T0_E_clISt17integral_constantIbLb1EES10_IbLb0EEEEDaSW_SX_EUlSW_E_NS1_11comp_targetILNS1_3genE8ELNS1_11target_archE1030ELNS1_3gpuE2ELNS1_3repE0EEENS1_30default_config_static_selectorELNS0_4arch9wavefront6targetE0EEEvT1_
    .private_segment_fixed_size: 0
    .sgpr_count:     0
    .sgpr_spill_count: 0
    .symbol:         _ZN7rocprim17ROCPRIM_400000_NS6detail17trampoline_kernelINS0_14default_configENS1_29reduce_by_key_config_selectorIttN6thrust23THRUST_200600_302600_NS4plusItEEEEZZNS1_33reduce_by_key_impl_wrapped_configILNS1_25lookback_scan_determinismE0ES3_S9_NS6_6detail15normal_iteratorINS6_10device_ptrItEEEESG_SG_SG_PmS8_22is_equal_div_10_reduceItEEE10hipError_tPvRmT2_T3_mT4_T5_T6_T7_T8_P12ihipStream_tbENKUlT_T0_E_clISt17integral_constantIbLb1EES10_IbLb0EEEEDaSW_SX_EUlSW_E_NS1_11comp_targetILNS1_3genE8ELNS1_11target_archE1030ELNS1_3gpuE2ELNS1_3repE0EEENS1_30default_config_static_selectorELNS0_4arch9wavefront6targetE0EEEvT1_.kd
    .uniform_work_group_size: 1
    .uses_dynamic_stack: false
    .vgpr_count:     0
    .vgpr_spill_count: 0
    .wavefront_size: 32
    .workgroup_processor_mode: 1
  - .args:
      - .offset:         0
        .size:           120
        .value_kind:     by_value
    .group_segment_fixed_size: 0
    .kernarg_segment_align: 8
    .kernarg_segment_size: 120
    .language:       OpenCL C
    .language_version:
      - 2
      - 0
    .max_flat_workgroup_size: 256
    .name:           _ZN7rocprim17ROCPRIM_400000_NS6detail17trampoline_kernelINS0_14default_configENS1_29reduce_by_key_config_selectorIttN6thrust23THRUST_200600_302600_NS4plusItEEEEZZNS1_33reduce_by_key_impl_wrapped_configILNS1_25lookback_scan_determinismE0ES3_S9_NS6_6detail15normal_iteratorINS6_10device_ptrItEEEESG_SG_SG_PmS8_22is_equal_div_10_reduceItEEE10hipError_tPvRmT2_T3_mT4_T5_T6_T7_T8_P12ihipStream_tbENKUlT_T0_E_clISt17integral_constantIbLb0EES10_IbLb1EEEEDaSW_SX_EUlSW_E_NS1_11comp_targetILNS1_3genE0ELNS1_11target_archE4294967295ELNS1_3gpuE0ELNS1_3repE0EEENS1_30default_config_static_selectorELNS0_4arch9wavefront6targetE0EEEvT1_
    .private_segment_fixed_size: 0
    .sgpr_count:     0
    .sgpr_spill_count: 0
    .symbol:         _ZN7rocprim17ROCPRIM_400000_NS6detail17trampoline_kernelINS0_14default_configENS1_29reduce_by_key_config_selectorIttN6thrust23THRUST_200600_302600_NS4plusItEEEEZZNS1_33reduce_by_key_impl_wrapped_configILNS1_25lookback_scan_determinismE0ES3_S9_NS6_6detail15normal_iteratorINS6_10device_ptrItEEEESG_SG_SG_PmS8_22is_equal_div_10_reduceItEEE10hipError_tPvRmT2_T3_mT4_T5_T6_T7_T8_P12ihipStream_tbENKUlT_T0_E_clISt17integral_constantIbLb0EES10_IbLb1EEEEDaSW_SX_EUlSW_E_NS1_11comp_targetILNS1_3genE0ELNS1_11target_archE4294967295ELNS1_3gpuE0ELNS1_3repE0EEENS1_30default_config_static_selectorELNS0_4arch9wavefront6targetE0EEEvT1_.kd
    .uniform_work_group_size: 1
    .uses_dynamic_stack: false
    .vgpr_count:     0
    .vgpr_spill_count: 0
    .wavefront_size: 32
    .workgroup_processor_mode: 1
  - .args:
      - .offset:         0
        .size:           120
        .value_kind:     by_value
    .group_segment_fixed_size: 0
    .kernarg_segment_align: 8
    .kernarg_segment_size: 120
    .language:       OpenCL C
    .language_version:
      - 2
      - 0
    .max_flat_workgroup_size: 256
    .name:           _ZN7rocprim17ROCPRIM_400000_NS6detail17trampoline_kernelINS0_14default_configENS1_29reduce_by_key_config_selectorIttN6thrust23THRUST_200600_302600_NS4plusItEEEEZZNS1_33reduce_by_key_impl_wrapped_configILNS1_25lookback_scan_determinismE0ES3_S9_NS6_6detail15normal_iteratorINS6_10device_ptrItEEEESG_SG_SG_PmS8_22is_equal_div_10_reduceItEEE10hipError_tPvRmT2_T3_mT4_T5_T6_T7_T8_P12ihipStream_tbENKUlT_T0_E_clISt17integral_constantIbLb0EES10_IbLb1EEEEDaSW_SX_EUlSW_E_NS1_11comp_targetILNS1_3genE5ELNS1_11target_archE942ELNS1_3gpuE9ELNS1_3repE0EEENS1_30default_config_static_selectorELNS0_4arch9wavefront6targetE0EEEvT1_
    .private_segment_fixed_size: 0
    .sgpr_count:     0
    .sgpr_spill_count: 0
    .symbol:         _ZN7rocprim17ROCPRIM_400000_NS6detail17trampoline_kernelINS0_14default_configENS1_29reduce_by_key_config_selectorIttN6thrust23THRUST_200600_302600_NS4plusItEEEEZZNS1_33reduce_by_key_impl_wrapped_configILNS1_25lookback_scan_determinismE0ES3_S9_NS6_6detail15normal_iteratorINS6_10device_ptrItEEEESG_SG_SG_PmS8_22is_equal_div_10_reduceItEEE10hipError_tPvRmT2_T3_mT4_T5_T6_T7_T8_P12ihipStream_tbENKUlT_T0_E_clISt17integral_constantIbLb0EES10_IbLb1EEEEDaSW_SX_EUlSW_E_NS1_11comp_targetILNS1_3genE5ELNS1_11target_archE942ELNS1_3gpuE9ELNS1_3repE0EEENS1_30default_config_static_selectorELNS0_4arch9wavefront6targetE0EEEvT1_.kd
    .uniform_work_group_size: 1
    .uses_dynamic_stack: false
    .vgpr_count:     0
    .vgpr_spill_count: 0
    .wavefront_size: 32
    .workgroup_processor_mode: 1
  - .args:
      - .offset:         0
        .size:           120
        .value_kind:     by_value
    .group_segment_fixed_size: 0
    .kernarg_segment_align: 8
    .kernarg_segment_size: 120
    .language:       OpenCL C
    .language_version:
      - 2
      - 0
    .max_flat_workgroup_size: 256
    .name:           _ZN7rocprim17ROCPRIM_400000_NS6detail17trampoline_kernelINS0_14default_configENS1_29reduce_by_key_config_selectorIttN6thrust23THRUST_200600_302600_NS4plusItEEEEZZNS1_33reduce_by_key_impl_wrapped_configILNS1_25lookback_scan_determinismE0ES3_S9_NS6_6detail15normal_iteratorINS6_10device_ptrItEEEESG_SG_SG_PmS8_22is_equal_div_10_reduceItEEE10hipError_tPvRmT2_T3_mT4_T5_T6_T7_T8_P12ihipStream_tbENKUlT_T0_E_clISt17integral_constantIbLb0EES10_IbLb1EEEEDaSW_SX_EUlSW_E_NS1_11comp_targetILNS1_3genE4ELNS1_11target_archE910ELNS1_3gpuE8ELNS1_3repE0EEENS1_30default_config_static_selectorELNS0_4arch9wavefront6targetE0EEEvT1_
    .private_segment_fixed_size: 0
    .sgpr_count:     0
    .sgpr_spill_count: 0
    .symbol:         _ZN7rocprim17ROCPRIM_400000_NS6detail17trampoline_kernelINS0_14default_configENS1_29reduce_by_key_config_selectorIttN6thrust23THRUST_200600_302600_NS4plusItEEEEZZNS1_33reduce_by_key_impl_wrapped_configILNS1_25lookback_scan_determinismE0ES3_S9_NS6_6detail15normal_iteratorINS6_10device_ptrItEEEESG_SG_SG_PmS8_22is_equal_div_10_reduceItEEE10hipError_tPvRmT2_T3_mT4_T5_T6_T7_T8_P12ihipStream_tbENKUlT_T0_E_clISt17integral_constantIbLb0EES10_IbLb1EEEEDaSW_SX_EUlSW_E_NS1_11comp_targetILNS1_3genE4ELNS1_11target_archE910ELNS1_3gpuE8ELNS1_3repE0EEENS1_30default_config_static_selectorELNS0_4arch9wavefront6targetE0EEEvT1_.kd
    .uniform_work_group_size: 1
    .uses_dynamic_stack: false
    .vgpr_count:     0
    .vgpr_spill_count: 0
    .wavefront_size: 32
    .workgroup_processor_mode: 1
  - .args:
      - .offset:         0
        .size:           120
        .value_kind:     by_value
    .group_segment_fixed_size: 0
    .kernarg_segment_align: 8
    .kernarg_segment_size: 120
    .language:       OpenCL C
    .language_version:
      - 2
      - 0
    .max_flat_workgroup_size: 256
    .name:           _ZN7rocprim17ROCPRIM_400000_NS6detail17trampoline_kernelINS0_14default_configENS1_29reduce_by_key_config_selectorIttN6thrust23THRUST_200600_302600_NS4plusItEEEEZZNS1_33reduce_by_key_impl_wrapped_configILNS1_25lookback_scan_determinismE0ES3_S9_NS6_6detail15normal_iteratorINS6_10device_ptrItEEEESG_SG_SG_PmS8_22is_equal_div_10_reduceItEEE10hipError_tPvRmT2_T3_mT4_T5_T6_T7_T8_P12ihipStream_tbENKUlT_T0_E_clISt17integral_constantIbLb0EES10_IbLb1EEEEDaSW_SX_EUlSW_E_NS1_11comp_targetILNS1_3genE3ELNS1_11target_archE908ELNS1_3gpuE7ELNS1_3repE0EEENS1_30default_config_static_selectorELNS0_4arch9wavefront6targetE0EEEvT1_
    .private_segment_fixed_size: 0
    .sgpr_count:     0
    .sgpr_spill_count: 0
    .symbol:         _ZN7rocprim17ROCPRIM_400000_NS6detail17trampoline_kernelINS0_14default_configENS1_29reduce_by_key_config_selectorIttN6thrust23THRUST_200600_302600_NS4plusItEEEEZZNS1_33reduce_by_key_impl_wrapped_configILNS1_25lookback_scan_determinismE0ES3_S9_NS6_6detail15normal_iteratorINS6_10device_ptrItEEEESG_SG_SG_PmS8_22is_equal_div_10_reduceItEEE10hipError_tPvRmT2_T3_mT4_T5_T6_T7_T8_P12ihipStream_tbENKUlT_T0_E_clISt17integral_constantIbLb0EES10_IbLb1EEEEDaSW_SX_EUlSW_E_NS1_11comp_targetILNS1_3genE3ELNS1_11target_archE908ELNS1_3gpuE7ELNS1_3repE0EEENS1_30default_config_static_selectorELNS0_4arch9wavefront6targetE0EEEvT1_.kd
    .uniform_work_group_size: 1
    .uses_dynamic_stack: false
    .vgpr_count:     0
    .vgpr_spill_count: 0
    .wavefront_size: 32
    .workgroup_processor_mode: 1
  - .args:
      - .offset:         0
        .size:           120
        .value_kind:     by_value
    .group_segment_fixed_size: 0
    .kernarg_segment_align: 8
    .kernarg_segment_size: 120
    .language:       OpenCL C
    .language_version:
      - 2
      - 0
    .max_flat_workgroup_size: 256
    .name:           _ZN7rocprim17ROCPRIM_400000_NS6detail17trampoline_kernelINS0_14default_configENS1_29reduce_by_key_config_selectorIttN6thrust23THRUST_200600_302600_NS4plusItEEEEZZNS1_33reduce_by_key_impl_wrapped_configILNS1_25lookback_scan_determinismE0ES3_S9_NS6_6detail15normal_iteratorINS6_10device_ptrItEEEESG_SG_SG_PmS8_22is_equal_div_10_reduceItEEE10hipError_tPvRmT2_T3_mT4_T5_T6_T7_T8_P12ihipStream_tbENKUlT_T0_E_clISt17integral_constantIbLb0EES10_IbLb1EEEEDaSW_SX_EUlSW_E_NS1_11comp_targetILNS1_3genE2ELNS1_11target_archE906ELNS1_3gpuE6ELNS1_3repE0EEENS1_30default_config_static_selectorELNS0_4arch9wavefront6targetE0EEEvT1_
    .private_segment_fixed_size: 0
    .sgpr_count:     0
    .sgpr_spill_count: 0
    .symbol:         _ZN7rocprim17ROCPRIM_400000_NS6detail17trampoline_kernelINS0_14default_configENS1_29reduce_by_key_config_selectorIttN6thrust23THRUST_200600_302600_NS4plusItEEEEZZNS1_33reduce_by_key_impl_wrapped_configILNS1_25lookback_scan_determinismE0ES3_S9_NS6_6detail15normal_iteratorINS6_10device_ptrItEEEESG_SG_SG_PmS8_22is_equal_div_10_reduceItEEE10hipError_tPvRmT2_T3_mT4_T5_T6_T7_T8_P12ihipStream_tbENKUlT_T0_E_clISt17integral_constantIbLb0EES10_IbLb1EEEEDaSW_SX_EUlSW_E_NS1_11comp_targetILNS1_3genE2ELNS1_11target_archE906ELNS1_3gpuE6ELNS1_3repE0EEENS1_30default_config_static_selectorELNS0_4arch9wavefront6targetE0EEEvT1_.kd
    .uniform_work_group_size: 1
    .uses_dynamic_stack: false
    .vgpr_count:     0
    .vgpr_spill_count: 0
    .wavefront_size: 32
    .workgroup_processor_mode: 1
  - .args:
      - .offset:         0
        .size:           120
        .value_kind:     by_value
    .group_segment_fixed_size: 0
    .kernarg_segment_align: 8
    .kernarg_segment_size: 120
    .language:       OpenCL C
    .language_version:
      - 2
      - 0
    .max_flat_workgroup_size: 256
    .name:           _ZN7rocprim17ROCPRIM_400000_NS6detail17trampoline_kernelINS0_14default_configENS1_29reduce_by_key_config_selectorIttN6thrust23THRUST_200600_302600_NS4plusItEEEEZZNS1_33reduce_by_key_impl_wrapped_configILNS1_25lookback_scan_determinismE0ES3_S9_NS6_6detail15normal_iteratorINS6_10device_ptrItEEEESG_SG_SG_PmS8_22is_equal_div_10_reduceItEEE10hipError_tPvRmT2_T3_mT4_T5_T6_T7_T8_P12ihipStream_tbENKUlT_T0_E_clISt17integral_constantIbLb0EES10_IbLb1EEEEDaSW_SX_EUlSW_E_NS1_11comp_targetILNS1_3genE10ELNS1_11target_archE1201ELNS1_3gpuE5ELNS1_3repE0EEENS1_30default_config_static_selectorELNS0_4arch9wavefront6targetE0EEEvT1_
    .private_segment_fixed_size: 0
    .sgpr_count:     0
    .sgpr_spill_count: 0
    .symbol:         _ZN7rocprim17ROCPRIM_400000_NS6detail17trampoline_kernelINS0_14default_configENS1_29reduce_by_key_config_selectorIttN6thrust23THRUST_200600_302600_NS4plusItEEEEZZNS1_33reduce_by_key_impl_wrapped_configILNS1_25lookback_scan_determinismE0ES3_S9_NS6_6detail15normal_iteratorINS6_10device_ptrItEEEESG_SG_SG_PmS8_22is_equal_div_10_reduceItEEE10hipError_tPvRmT2_T3_mT4_T5_T6_T7_T8_P12ihipStream_tbENKUlT_T0_E_clISt17integral_constantIbLb0EES10_IbLb1EEEEDaSW_SX_EUlSW_E_NS1_11comp_targetILNS1_3genE10ELNS1_11target_archE1201ELNS1_3gpuE5ELNS1_3repE0EEENS1_30default_config_static_selectorELNS0_4arch9wavefront6targetE0EEEvT1_.kd
    .uniform_work_group_size: 1
    .uses_dynamic_stack: false
    .vgpr_count:     0
    .vgpr_spill_count: 0
    .wavefront_size: 32
    .workgroup_processor_mode: 1
  - .args:
      - .offset:         0
        .size:           120
        .value_kind:     by_value
    .group_segment_fixed_size: 0
    .kernarg_segment_align: 8
    .kernarg_segment_size: 120
    .language:       OpenCL C
    .language_version:
      - 2
      - 0
    .max_flat_workgroup_size: 256
    .name:           _ZN7rocprim17ROCPRIM_400000_NS6detail17trampoline_kernelINS0_14default_configENS1_29reduce_by_key_config_selectorIttN6thrust23THRUST_200600_302600_NS4plusItEEEEZZNS1_33reduce_by_key_impl_wrapped_configILNS1_25lookback_scan_determinismE0ES3_S9_NS6_6detail15normal_iteratorINS6_10device_ptrItEEEESG_SG_SG_PmS8_22is_equal_div_10_reduceItEEE10hipError_tPvRmT2_T3_mT4_T5_T6_T7_T8_P12ihipStream_tbENKUlT_T0_E_clISt17integral_constantIbLb0EES10_IbLb1EEEEDaSW_SX_EUlSW_E_NS1_11comp_targetILNS1_3genE10ELNS1_11target_archE1200ELNS1_3gpuE4ELNS1_3repE0EEENS1_30default_config_static_selectorELNS0_4arch9wavefront6targetE0EEEvT1_
    .private_segment_fixed_size: 0
    .sgpr_count:     0
    .sgpr_spill_count: 0
    .symbol:         _ZN7rocprim17ROCPRIM_400000_NS6detail17trampoline_kernelINS0_14default_configENS1_29reduce_by_key_config_selectorIttN6thrust23THRUST_200600_302600_NS4plusItEEEEZZNS1_33reduce_by_key_impl_wrapped_configILNS1_25lookback_scan_determinismE0ES3_S9_NS6_6detail15normal_iteratorINS6_10device_ptrItEEEESG_SG_SG_PmS8_22is_equal_div_10_reduceItEEE10hipError_tPvRmT2_T3_mT4_T5_T6_T7_T8_P12ihipStream_tbENKUlT_T0_E_clISt17integral_constantIbLb0EES10_IbLb1EEEEDaSW_SX_EUlSW_E_NS1_11comp_targetILNS1_3genE10ELNS1_11target_archE1200ELNS1_3gpuE4ELNS1_3repE0EEENS1_30default_config_static_selectorELNS0_4arch9wavefront6targetE0EEEvT1_.kd
    .uniform_work_group_size: 1
    .uses_dynamic_stack: false
    .vgpr_count:     0
    .vgpr_spill_count: 0
    .wavefront_size: 32
    .workgroup_processor_mode: 1
  - .args:
      - .offset:         0
        .size:           120
        .value_kind:     by_value
    .group_segment_fixed_size: 7680
    .kernarg_segment_align: 8
    .kernarg_segment_size: 120
    .language:       OpenCL C
    .language_version:
      - 2
      - 0
    .max_flat_workgroup_size: 256
    .name:           _ZN7rocprim17ROCPRIM_400000_NS6detail17trampoline_kernelINS0_14default_configENS1_29reduce_by_key_config_selectorIttN6thrust23THRUST_200600_302600_NS4plusItEEEEZZNS1_33reduce_by_key_impl_wrapped_configILNS1_25lookback_scan_determinismE0ES3_S9_NS6_6detail15normal_iteratorINS6_10device_ptrItEEEESG_SG_SG_PmS8_22is_equal_div_10_reduceItEEE10hipError_tPvRmT2_T3_mT4_T5_T6_T7_T8_P12ihipStream_tbENKUlT_T0_E_clISt17integral_constantIbLb0EES10_IbLb1EEEEDaSW_SX_EUlSW_E_NS1_11comp_targetILNS1_3genE9ELNS1_11target_archE1100ELNS1_3gpuE3ELNS1_3repE0EEENS1_30default_config_static_selectorELNS0_4arch9wavefront6targetE0EEEvT1_
    .private_segment_fixed_size: 0
    .sgpr_count:     46
    .sgpr_spill_count: 0
    .symbol:         _ZN7rocprim17ROCPRIM_400000_NS6detail17trampoline_kernelINS0_14default_configENS1_29reduce_by_key_config_selectorIttN6thrust23THRUST_200600_302600_NS4plusItEEEEZZNS1_33reduce_by_key_impl_wrapped_configILNS1_25lookback_scan_determinismE0ES3_S9_NS6_6detail15normal_iteratorINS6_10device_ptrItEEEESG_SG_SG_PmS8_22is_equal_div_10_reduceItEEE10hipError_tPvRmT2_T3_mT4_T5_T6_T7_T8_P12ihipStream_tbENKUlT_T0_E_clISt17integral_constantIbLb0EES10_IbLb1EEEEDaSW_SX_EUlSW_E_NS1_11comp_targetILNS1_3genE9ELNS1_11target_archE1100ELNS1_3gpuE3ELNS1_3repE0EEENS1_30default_config_static_selectorELNS0_4arch9wavefront6targetE0EEEvT1_.kd
    .uniform_work_group_size: 1
    .uses_dynamic_stack: false
    .vgpr_count:     102
    .vgpr_spill_count: 0
    .wavefront_size: 32
    .workgroup_processor_mode: 1
  - .args:
      - .offset:         0
        .size:           120
        .value_kind:     by_value
    .group_segment_fixed_size: 0
    .kernarg_segment_align: 8
    .kernarg_segment_size: 120
    .language:       OpenCL C
    .language_version:
      - 2
      - 0
    .max_flat_workgroup_size: 256
    .name:           _ZN7rocprim17ROCPRIM_400000_NS6detail17trampoline_kernelINS0_14default_configENS1_29reduce_by_key_config_selectorIttN6thrust23THRUST_200600_302600_NS4plusItEEEEZZNS1_33reduce_by_key_impl_wrapped_configILNS1_25lookback_scan_determinismE0ES3_S9_NS6_6detail15normal_iteratorINS6_10device_ptrItEEEESG_SG_SG_PmS8_22is_equal_div_10_reduceItEEE10hipError_tPvRmT2_T3_mT4_T5_T6_T7_T8_P12ihipStream_tbENKUlT_T0_E_clISt17integral_constantIbLb0EES10_IbLb1EEEEDaSW_SX_EUlSW_E_NS1_11comp_targetILNS1_3genE8ELNS1_11target_archE1030ELNS1_3gpuE2ELNS1_3repE0EEENS1_30default_config_static_selectorELNS0_4arch9wavefront6targetE0EEEvT1_
    .private_segment_fixed_size: 0
    .sgpr_count:     0
    .sgpr_spill_count: 0
    .symbol:         _ZN7rocprim17ROCPRIM_400000_NS6detail17trampoline_kernelINS0_14default_configENS1_29reduce_by_key_config_selectorIttN6thrust23THRUST_200600_302600_NS4plusItEEEEZZNS1_33reduce_by_key_impl_wrapped_configILNS1_25lookback_scan_determinismE0ES3_S9_NS6_6detail15normal_iteratorINS6_10device_ptrItEEEESG_SG_SG_PmS8_22is_equal_div_10_reduceItEEE10hipError_tPvRmT2_T3_mT4_T5_T6_T7_T8_P12ihipStream_tbENKUlT_T0_E_clISt17integral_constantIbLb0EES10_IbLb1EEEEDaSW_SX_EUlSW_E_NS1_11comp_targetILNS1_3genE8ELNS1_11target_archE1030ELNS1_3gpuE2ELNS1_3repE0EEENS1_30default_config_static_selectorELNS0_4arch9wavefront6targetE0EEEvT1_.kd
    .uniform_work_group_size: 1
    .uses_dynamic_stack: false
    .vgpr_count:     0
    .vgpr_spill_count: 0
    .wavefront_size: 32
    .workgroup_processor_mode: 1
  - .args:
      - .offset:         0
        .size:           16
        .value_kind:     by_value
      - .offset:         16
        .size:           8
        .value_kind:     by_value
      - .offset:         24
        .size:           8
        .value_kind:     by_value
    .group_segment_fixed_size: 0
    .kernarg_segment_align: 8
    .kernarg_segment_size: 32
    .language:       OpenCL C
    .language_version:
      - 2
      - 0
    .max_flat_workgroup_size: 256
    .name:           _ZN6thrust23THRUST_200600_302600_NS11hip_rocprim14__parallel_for6kernelILj256ENS1_20__uninitialized_fill7functorINS0_10device_ptrIxEExEEmLj1EEEvT0_T1_SA_
    .private_segment_fixed_size: 0
    .sgpr_count:     18
    .sgpr_spill_count: 0
    .symbol:         _ZN6thrust23THRUST_200600_302600_NS11hip_rocprim14__parallel_for6kernelILj256ENS1_20__uninitialized_fill7functorINS0_10device_ptrIxEExEEmLj1EEEvT0_T1_SA_.kd
    .uniform_work_group_size: 1
    .uses_dynamic_stack: false
    .vgpr_count:     4
    .vgpr_spill_count: 0
    .wavefront_size: 32
    .workgroup_processor_mode: 1
  - .args:
      - .offset:         0
        .size:           24
        .value_kind:     by_value
      - .offset:         24
        .size:           4
        .value_kind:     by_value
      - .offset:         28
        .size:           1
        .value_kind:     by_value
      - .offset:         32
        .size:           4
        .value_kind:     by_value
      - .address_space:  global
        .offset:         40
        .size:           8
        .value_kind:     global_buffer
      - .address_space:  global
        .offset:         48
        .size:           8
        .value_kind:     global_buffer
      - .offset:         56
        .size:           1
        .value_kind:     by_value
      - .offset:         64
        .size:           4
        .value_kind:     hidden_block_count_x
      - .offset:         68
        .size:           4
        .value_kind:     hidden_block_count_y
      - .offset:         72
        .size:           4
        .value_kind:     hidden_block_count_z
      - .offset:         76
        .size:           2
        .value_kind:     hidden_group_size_x
      - .offset:         78
        .size:           2
        .value_kind:     hidden_group_size_y
      - .offset:         80
        .size:           2
        .value_kind:     hidden_group_size_z
      - .offset:         82
        .size:           2
        .value_kind:     hidden_remainder_x
      - .offset:         84
        .size:           2
        .value_kind:     hidden_remainder_y
      - .offset:         86
        .size:           2
        .value_kind:     hidden_remainder_z
      - .offset:         104
        .size:           8
        .value_kind:     hidden_global_offset_x
      - .offset:         112
        .size:           8
        .value_kind:     hidden_global_offset_y
      - .offset:         120
        .size:           8
        .value_kind:     hidden_global_offset_z
      - .offset:         128
        .size:           2
        .value_kind:     hidden_grid_dims
    .group_segment_fixed_size: 0
    .kernarg_segment_align: 8
    .kernarg_segment_size: 320
    .language:       OpenCL C
    .language_version:
      - 2
      - 0
    .max_flat_workgroup_size: 256
    .name:           _ZN7rocprim17ROCPRIM_400000_NS6detail25reduce_by_key_init_kernelINS1_19lookback_scan_stateINS0_5tupleIJjxEEELb0ELb0EEExNS1_16block_id_wrapperIjLb0EEEEEvT_jbjPmPT0_T1_
    .private_segment_fixed_size: 0
    .sgpr_count:     19
    .sgpr_spill_count: 0
    .symbol:         _ZN7rocprim17ROCPRIM_400000_NS6detail25reduce_by_key_init_kernelINS1_19lookback_scan_stateINS0_5tupleIJjxEEELb0ELb0EEExNS1_16block_id_wrapperIjLb0EEEEEvT_jbjPmPT0_T1_.kd
    .uniform_work_group_size: 1
    .uses_dynamic_stack: false
    .vgpr_count:     7
    .vgpr_spill_count: 0
    .wavefront_size: 32
    .workgroup_processor_mode: 1
  - .args:
      - .offset:         0
        .size:           136
        .value_kind:     by_value
    .group_segment_fixed_size: 0
    .kernarg_segment_align: 8
    .kernarg_segment_size: 136
    .language:       OpenCL C
    .language_version:
      - 2
      - 0
    .max_flat_workgroup_size: 256
    .name:           _ZN7rocprim17ROCPRIM_400000_NS6detail17trampoline_kernelINS0_14default_configENS1_29reduce_by_key_config_selectorIxxN6thrust23THRUST_200600_302600_NS4plusIxEEEEZZNS1_33reduce_by_key_impl_wrapped_configILNS1_25lookback_scan_determinismE0ES3_S9_NS6_6detail15normal_iteratorINS6_10device_ptrIxEEEESG_SG_SG_PmS8_NS6_8equal_toIxEEEE10hipError_tPvRmT2_T3_mT4_T5_T6_T7_T8_P12ihipStream_tbENKUlT_T0_E_clISt17integral_constantIbLb0EES11_EEDaSW_SX_EUlSW_E_NS1_11comp_targetILNS1_3genE0ELNS1_11target_archE4294967295ELNS1_3gpuE0ELNS1_3repE0EEENS1_30default_config_static_selectorELNS0_4arch9wavefront6targetE0EEEvT1_
    .private_segment_fixed_size: 0
    .sgpr_count:     0
    .sgpr_spill_count: 0
    .symbol:         _ZN7rocprim17ROCPRIM_400000_NS6detail17trampoline_kernelINS0_14default_configENS1_29reduce_by_key_config_selectorIxxN6thrust23THRUST_200600_302600_NS4plusIxEEEEZZNS1_33reduce_by_key_impl_wrapped_configILNS1_25lookback_scan_determinismE0ES3_S9_NS6_6detail15normal_iteratorINS6_10device_ptrIxEEEESG_SG_SG_PmS8_NS6_8equal_toIxEEEE10hipError_tPvRmT2_T3_mT4_T5_T6_T7_T8_P12ihipStream_tbENKUlT_T0_E_clISt17integral_constantIbLb0EES11_EEDaSW_SX_EUlSW_E_NS1_11comp_targetILNS1_3genE0ELNS1_11target_archE4294967295ELNS1_3gpuE0ELNS1_3repE0EEENS1_30default_config_static_selectorELNS0_4arch9wavefront6targetE0EEEvT1_.kd
    .uniform_work_group_size: 1
    .uses_dynamic_stack: false
    .vgpr_count:     0
    .vgpr_spill_count: 0
    .wavefront_size: 32
    .workgroup_processor_mode: 1
  - .args:
      - .offset:         0
        .size:           136
        .value_kind:     by_value
    .group_segment_fixed_size: 0
    .kernarg_segment_align: 8
    .kernarg_segment_size: 136
    .language:       OpenCL C
    .language_version:
      - 2
      - 0
    .max_flat_workgroup_size: 256
    .name:           _ZN7rocprim17ROCPRIM_400000_NS6detail17trampoline_kernelINS0_14default_configENS1_29reduce_by_key_config_selectorIxxN6thrust23THRUST_200600_302600_NS4plusIxEEEEZZNS1_33reduce_by_key_impl_wrapped_configILNS1_25lookback_scan_determinismE0ES3_S9_NS6_6detail15normal_iteratorINS6_10device_ptrIxEEEESG_SG_SG_PmS8_NS6_8equal_toIxEEEE10hipError_tPvRmT2_T3_mT4_T5_T6_T7_T8_P12ihipStream_tbENKUlT_T0_E_clISt17integral_constantIbLb0EES11_EEDaSW_SX_EUlSW_E_NS1_11comp_targetILNS1_3genE5ELNS1_11target_archE942ELNS1_3gpuE9ELNS1_3repE0EEENS1_30default_config_static_selectorELNS0_4arch9wavefront6targetE0EEEvT1_
    .private_segment_fixed_size: 0
    .sgpr_count:     0
    .sgpr_spill_count: 0
    .symbol:         _ZN7rocprim17ROCPRIM_400000_NS6detail17trampoline_kernelINS0_14default_configENS1_29reduce_by_key_config_selectorIxxN6thrust23THRUST_200600_302600_NS4plusIxEEEEZZNS1_33reduce_by_key_impl_wrapped_configILNS1_25lookback_scan_determinismE0ES3_S9_NS6_6detail15normal_iteratorINS6_10device_ptrIxEEEESG_SG_SG_PmS8_NS6_8equal_toIxEEEE10hipError_tPvRmT2_T3_mT4_T5_T6_T7_T8_P12ihipStream_tbENKUlT_T0_E_clISt17integral_constantIbLb0EES11_EEDaSW_SX_EUlSW_E_NS1_11comp_targetILNS1_3genE5ELNS1_11target_archE942ELNS1_3gpuE9ELNS1_3repE0EEENS1_30default_config_static_selectorELNS0_4arch9wavefront6targetE0EEEvT1_.kd
    .uniform_work_group_size: 1
    .uses_dynamic_stack: false
    .vgpr_count:     0
    .vgpr_spill_count: 0
    .wavefront_size: 32
    .workgroup_processor_mode: 1
  - .args:
      - .offset:         0
        .size:           136
        .value_kind:     by_value
    .group_segment_fixed_size: 0
    .kernarg_segment_align: 8
    .kernarg_segment_size: 136
    .language:       OpenCL C
    .language_version:
      - 2
      - 0
    .max_flat_workgroup_size: 256
    .name:           _ZN7rocprim17ROCPRIM_400000_NS6detail17trampoline_kernelINS0_14default_configENS1_29reduce_by_key_config_selectorIxxN6thrust23THRUST_200600_302600_NS4plusIxEEEEZZNS1_33reduce_by_key_impl_wrapped_configILNS1_25lookback_scan_determinismE0ES3_S9_NS6_6detail15normal_iteratorINS6_10device_ptrIxEEEESG_SG_SG_PmS8_NS6_8equal_toIxEEEE10hipError_tPvRmT2_T3_mT4_T5_T6_T7_T8_P12ihipStream_tbENKUlT_T0_E_clISt17integral_constantIbLb0EES11_EEDaSW_SX_EUlSW_E_NS1_11comp_targetILNS1_3genE4ELNS1_11target_archE910ELNS1_3gpuE8ELNS1_3repE0EEENS1_30default_config_static_selectorELNS0_4arch9wavefront6targetE0EEEvT1_
    .private_segment_fixed_size: 0
    .sgpr_count:     0
    .sgpr_spill_count: 0
    .symbol:         _ZN7rocprim17ROCPRIM_400000_NS6detail17trampoline_kernelINS0_14default_configENS1_29reduce_by_key_config_selectorIxxN6thrust23THRUST_200600_302600_NS4plusIxEEEEZZNS1_33reduce_by_key_impl_wrapped_configILNS1_25lookback_scan_determinismE0ES3_S9_NS6_6detail15normal_iteratorINS6_10device_ptrIxEEEESG_SG_SG_PmS8_NS6_8equal_toIxEEEE10hipError_tPvRmT2_T3_mT4_T5_T6_T7_T8_P12ihipStream_tbENKUlT_T0_E_clISt17integral_constantIbLb0EES11_EEDaSW_SX_EUlSW_E_NS1_11comp_targetILNS1_3genE4ELNS1_11target_archE910ELNS1_3gpuE8ELNS1_3repE0EEENS1_30default_config_static_selectorELNS0_4arch9wavefront6targetE0EEEvT1_.kd
    .uniform_work_group_size: 1
    .uses_dynamic_stack: false
    .vgpr_count:     0
    .vgpr_spill_count: 0
    .wavefront_size: 32
    .workgroup_processor_mode: 1
  - .args:
      - .offset:         0
        .size:           136
        .value_kind:     by_value
    .group_segment_fixed_size: 0
    .kernarg_segment_align: 8
    .kernarg_segment_size: 136
    .language:       OpenCL C
    .language_version:
      - 2
      - 0
    .max_flat_workgroup_size: 256
    .name:           _ZN7rocprim17ROCPRIM_400000_NS6detail17trampoline_kernelINS0_14default_configENS1_29reduce_by_key_config_selectorIxxN6thrust23THRUST_200600_302600_NS4plusIxEEEEZZNS1_33reduce_by_key_impl_wrapped_configILNS1_25lookback_scan_determinismE0ES3_S9_NS6_6detail15normal_iteratorINS6_10device_ptrIxEEEESG_SG_SG_PmS8_NS6_8equal_toIxEEEE10hipError_tPvRmT2_T3_mT4_T5_T6_T7_T8_P12ihipStream_tbENKUlT_T0_E_clISt17integral_constantIbLb0EES11_EEDaSW_SX_EUlSW_E_NS1_11comp_targetILNS1_3genE3ELNS1_11target_archE908ELNS1_3gpuE7ELNS1_3repE0EEENS1_30default_config_static_selectorELNS0_4arch9wavefront6targetE0EEEvT1_
    .private_segment_fixed_size: 0
    .sgpr_count:     0
    .sgpr_spill_count: 0
    .symbol:         _ZN7rocprim17ROCPRIM_400000_NS6detail17trampoline_kernelINS0_14default_configENS1_29reduce_by_key_config_selectorIxxN6thrust23THRUST_200600_302600_NS4plusIxEEEEZZNS1_33reduce_by_key_impl_wrapped_configILNS1_25lookback_scan_determinismE0ES3_S9_NS6_6detail15normal_iteratorINS6_10device_ptrIxEEEESG_SG_SG_PmS8_NS6_8equal_toIxEEEE10hipError_tPvRmT2_T3_mT4_T5_T6_T7_T8_P12ihipStream_tbENKUlT_T0_E_clISt17integral_constantIbLb0EES11_EEDaSW_SX_EUlSW_E_NS1_11comp_targetILNS1_3genE3ELNS1_11target_archE908ELNS1_3gpuE7ELNS1_3repE0EEENS1_30default_config_static_selectorELNS0_4arch9wavefront6targetE0EEEvT1_.kd
    .uniform_work_group_size: 1
    .uses_dynamic_stack: false
    .vgpr_count:     0
    .vgpr_spill_count: 0
    .wavefront_size: 32
    .workgroup_processor_mode: 1
  - .args:
      - .offset:         0
        .size:           136
        .value_kind:     by_value
    .group_segment_fixed_size: 0
    .kernarg_segment_align: 8
    .kernarg_segment_size: 136
    .language:       OpenCL C
    .language_version:
      - 2
      - 0
    .max_flat_workgroup_size: 256
    .name:           _ZN7rocprim17ROCPRIM_400000_NS6detail17trampoline_kernelINS0_14default_configENS1_29reduce_by_key_config_selectorIxxN6thrust23THRUST_200600_302600_NS4plusIxEEEEZZNS1_33reduce_by_key_impl_wrapped_configILNS1_25lookback_scan_determinismE0ES3_S9_NS6_6detail15normal_iteratorINS6_10device_ptrIxEEEESG_SG_SG_PmS8_NS6_8equal_toIxEEEE10hipError_tPvRmT2_T3_mT4_T5_T6_T7_T8_P12ihipStream_tbENKUlT_T0_E_clISt17integral_constantIbLb0EES11_EEDaSW_SX_EUlSW_E_NS1_11comp_targetILNS1_3genE2ELNS1_11target_archE906ELNS1_3gpuE6ELNS1_3repE0EEENS1_30default_config_static_selectorELNS0_4arch9wavefront6targetE0EEEvT1_
    .private_segment_fixed_size: 0
    .sgpr_count:     0
    .sgpr_spill_count: 0
    .symbol:         _ZN7rocprim17ROCPRIM_400000_NS6detail17trampoline_kernelINS0_14default_configENS1_29reduce_by_key_config_selectorIxxN6thrust23THRUST_200600_302600_NS4plusIxEEEEZZNS1_33reduce_by_key_impl_wrapped_configILNS1_25lookback_scan_determinismE0ES3_S9_NS6_6detail15normal_iteratorINS6_10device_ptrIxEEEESG_SG_SG_PmS8_NS6_8equal_toIxEEEE10hipError_tPvRmT2_T3_mT4_T5_T6_T7_T8_P12ihipStream_tbENKUlT_T0_E_clISt17integral_constantIbLb0EES11_EEDaSW_SX_EUlSW_E_NS1_11comp_targetILNS1_3genE2ELNS1_11target_archE906ELNS1_3gpuE6ELNS1_3repE0EEENS1_30default_config_static_selectorELNS0_4arch9wavefront6targetE0EEEvT1_.kd
    .uniform_work_group_size: 1
    .uses_dynamic_stack: false
    .vgpr_count:     0
    .vgpr_spill_count: 0
    .wavefront_size: 32
    .workgroup_processor_mode: 1
  - .args:
      - .offset:         0
        .size:           136
        .value_kind:     by_value
    .group_segment_fixed_size: 0
    .kernarg_segment_align: 8
    .kernarg_segment_size: 136
    .language:       OpenCL C
    .language_version:
      - 2
      - 0
    .max_flat_workgroup_size: 256
    .name:           _ZN7rocprim17ROCPRIM_400000_NS6detail17trampoline_kernelINS0_14default_configENS1_29reduce_by_key_config_selectorIxxN6thrust23THRUST_200600_302600_NS4plusIxEEEEZZNS1_33reduce_by_key_impl_wrapped_configILNS1_25lookback_scan_determinismE0ES3_S9_NS6_6detail15normal_iteratorINS6_10device_ptrIxEEEESG_SG_SG_PmS8_NS6_8equal_toIxEEEE10hipError_tPvRmT2_T3_mT4_T5_T6_T7_T8_P12ihipStream_tbENKUlT_T0_E_clISt17integral_constantIbLb0EES11_EEDaSW_SX_EUlSW_E_NS1_11comp_targetILNS1_3genE10ELNS1_11target_archE1201ELNS1_3gpuE5ELNS1_3repE0EEENS1_30default_config_static_selectorELNS0_4arch9wavefront6targetE0EEEvT1_
    .private_segment_fixed_size: 0
    .sgpr_count:     0
    .sgpr_spill_count: 0
    .symbol:         _ZN7rocprim17ROCPRIM_400000_NS6detail17trampoline_kernelINS0_14default_configENS1_29reduce_by_key_config_selectorIxxN6thrust23THRUST_200600_302600_NS4plusIxEEEEZZNS1_33reduce_by_key_impl_wrapped_configILNS1_25lookback_scan_determinismE0ES3_S9_NS6_6detail15normal_iteratorINS6_10device_ptrIxEEEESG_SG_SG_PmS8_NS6_8equal_toIxEEEE10hipError_tPvRmT2_T3_mT4_T5_T6_T7_T8_P12ihipStream_tbENKUlT_T0_E_clISt17integral_constantIbLb0EES11_EEDaSW_SX_EUlSW_E_NS1_11comp_targetILNS1_3genE10ELNS1_11target_archE1201ELNS1_3gpuE5ELNS1_3repE0EEENS1_30default_config_static_selectorELNS0_4arch9wavefront6targetE0EEEvT1_.kd
    .uniform_work_group_size: 1
    .uses_dynamic_stack: false
    .vgpr_count:     0
    .vgpr_spill_count: 0
    .wavefront_size: 32
    .workgroup_processor_mode: 1
  - .args:
      - .offset:         0
        .size:           136
        .value_kind:     by_value
    .group_segment_fixed_size: 0
    .kernarg_segment_align: 8
    .kernarg_segment_size: 136
    .language:       OpenCL C
    .language_version:
      - 2
      - 0
    .max_flat_workgroup_size: 256
    .name:           _ZN7rocprim17ROCPRIM_400000_NS6detail17trampoline_kernelINS0_14default_configENS1_29reduce_by_key_config_selectorIxxN6thrust23THRUST_200600_302600_NS4plusIxEEEEZZNS1_33reduce_by_key_impl_wrapped_configILNS1_25lookback_scan_determinismE0ES3_S9_NS6_6detail15normal_iteratorINS6_10device_ptrIxEEEESG_SG_SG_PmS8_NS6_8equal_toIxEEEE10hipError_tPvRmT2_T3_mT4_T5_T6_T7_T8_P12ihipStream_tbENKUlT_T0_E_clISt17integral_constantIbLb0EES11_EEDaSW_SX_EUlSW_E_NS1_11comp_targetILNS1_3genE10ELNS1_11target_archE1200ELNS1_3gpuE4ELNS1_3repE0EEENS1_30default_config_static_selectorELNS0_4arch9wavefront6targetE0EEEvT1_
    .private_segment_fixed_size: 0
    .sgpr_count:     0
    .sgpr_spill_count: 0
    .symbol:         _ZN7rocprim17ROCPRIM_400000_NS6detail17trampoline_kernelINS0_14default_configENS1_29reduce_by_key_config_selectorIxxN6thrust23THRUST_200600_302600_NS4plusIxEEEEZZNS1_33reduce_by_key_impl_wrapped_configILNS1_25lookback_scan_determinismE0ES3_S9_NS6_6detail15normal_iteratorINS6_10device_ptrIxEEEESG_SG_SG_PmS8_NS6_8equal_toIxEEEE10hipError_tPvRmT2_T3_mT4_T5_T6_T7_T8_P12ihipStream_tbENKUlT_T0_E_clISt17integral_constantIbLb0EES11_EEDaSW_SX_EUlSW_E_NS1_11comp_targetILNS1_3genE10ELNS1_11target_archE1200ELNS1_3gpuE4ELNS1_3repE0EEENS1_30default_config_static_selectorELNS0_4arch9wavefront6targetE0EEEvT1_.kd
    .uniform_work_group_size: 1
    .uses_dynamic_stack: false
    .vgpr_count:     0
    .vgpr_spill_count: 0
    .wavefront_size: 32
    .workgroup_processor_mode: 1
  - .args:
      - .offset:         0
        .size:           136
        .value_kind:     by_value
    .group_segment_fixed_size: 30720
    .kernarg_segment_align: 8
    .kernarg_segment_size: 136
    .language:       OpenCL C
    .language_version:
      - 2
      - 0
    .max_flat_workgroup_size: 256
    .name:           _ZN7rocprim17ROCPRIM_400000_NS6detail17trampoline_kernelINS0_14default_configENS1_29reduce_by_key_config_selectorIxxN6thrust23THRUST_200600_302600_NS4plusIxEEEEZZNS1_33reduce_by_key_impl_wrapped_configILNS1_25lookback_scan_determinismE0ES3_S9_NS6_6detail15normal_iteratorINS6_10device_ptrIxEEEESG_SG_SG_PmS8_NS6_8equal_toIxEEEE10hipError_tPvRmT2_T3_mT4_T5_T6_T7_T8_P12ihipStream_tbENKUlT_T0_E_clISt17integral_constantIbLb0EES11_EEDaSW_SX_EUlSW_E_NS1_11comp_targetILNS1_3genE9ELNS1_11target_archE1100ELNS1_3gpuE3ELNS1_3repE0EEENS1_30default_config_static_selectorELNS0_4arch9wavefront6targetE0EEEvT1_
    .private_segment_fixed_size: 0
    .sgpr_count:     54
    .sgpr_spill_count: 0
    .symbol:         _ZN7rocprim17ROCPRIM_400000_NS6detail17trampoline_kernelINS0_14default_configENS1_29reduce_by_key_config_selectorIxxN6thrust23THRUST_200600_302600_NS4plusIxEEEEZZNS1_33reduce_by_key_impl_wrapped_configILNS1_25lookback_scan_determinismE0ES3_S9_NS6_6detail15normal_iteratorINS6_10device_ptrIxEEEESG_SG_SG_PmS8_NS6_8equal_toIxEEEE10hipError_tPvRmT2_T3_mT4_T5_T6_T7_T8_P12ihipStream_tbENKUlT_T0_E_clISt17integral_constantIbLb0EES11_EEDaSW_SX_EUlSW_E_NS1_11comp_targetILNS1_3genE9ELNS1_11target_archE1100ELNS1_3gpuE3ELNS1_3repE0EEENS1_30default_config_static_selectorELNS0_4arch9wavefront6targetE0EEEvT1_.kd
    .uniform_work_group_size: 1
    .uses_dynamic_stack: false
    .vgpr_count:     121
    .vgpr_spill_count: 0
    .wavefront_size: 32
    .workgroup_processor_mode: 1
  - .args:
      - .offset:         0
        .size:           136
        .value_kind:     by_value
    .group_segment_fixed_size: 0
    .kernarg_segment_align: 8
    .kernarg_segment_size: 136
    .language:       OpenCL C
    .language_version:
      - 2
      - 0
    .max_flat_workgroup_size: 256
    .name:           _ZN7rocprim17ROCPRIM_400000_NS6detail17trampoline_kernelINS0_14default_configENS1_29reduce_by_key_config_selectorIxxN6thrust23THRUST_200600_302600_NS4plusIxEEEEZZNS1_33reduce_by_key_impl_wrapped_configILNS1_25lookback_scan_determinismE0ES3_S9_NS6_6detail15normal_iteratorINS6_10device_ptrIxEEEESG_SG_SG_PmS8_NS6_8equal_toIxEEEE10hipError_tPvRmT2_T3_mT4_T5_T6_T7_T8_P12ihipStream_tbENKUlT_T0_E_clISt17integral_constantIbLb0EES11_EEDaSW_SX_EUlSW_E_NS1_11comp_targetILNS1_3genE8ELNS1_11target_archE1030ELNS1_3gpuE2ELNS1_3repE0EEENS1_30default_config_static_selectorELNS0_4arch9wavefront6targetE0EEEvT1_
    .private_segment_fixed_size: 0
    .sgpr_count:     0
    .sgpr_spill_count: 0
    .symbol:         _ZN7rocprim17ROCPRIM_400000_NS6detail17trampoline_kernelINS0_14default_configENS1_29reduce_by_key_config_selectorIxxN6thrust23THRUST_200600_302600_NS4plusIxEEEEZZNS1_33reduce_by_key_impl_wrapped_configILNS1_25lookback_scan_determinismE0ES3_S9_NS6_6detail15normal_iteratorINS6_10device_ptrIxEEEESG_SG_SG_PmS8_NS6_8equal_toIxEEEE10hipError_tPvRmT2_T3_mT4_T5_T6_T7_T8_P12ihipStream_tbENKUlT_T0_E_clISt17integral_constantIbLb0EES11_EEDaSW_SX_EUlSW_E_NS1_11comp_targetILNS1_3genE8ELNS1_11target_archE1030ELNS1_3gpuE2ELNS1_3repE0EEENS1_30default_config_static_selectorELNS0_4arch9wavefront6targetE0EEEvT1_.kd
    .uniform_work_group_size: 1
    .uses_dynamic_stack: false
    .vgpr_count:     0
    .vgpr_spill_count: 0
    .wavefront_size: 32
    .workgroup_processor_mode: 1
  - .args:
      - .offset:         0
        .size:           24
        .value_kind:     by_value
      - .offset:         24
        .size:           4
        .value_kind:     by_value
      - .offset:         28
        .size:           1
        .value_kind:     by_value
      - .offset:         32
        .size:           4
        .value_kind:     by_value
      - .address_space:  global
        .offset:         40
        .size:           8
        .value_kind:     global_buffer
      - .address_space:  global
        .offset:         48
        .size:           8
        .value_kind:     global_buffer
      - .address_space:  global
        .offset:         56
        .size:           8
        .value_kind:     global_buffer
      - .offset:         64
        .size:           4
        .value_kind:     hidden_block_count_x
      - .offset:         68
        .size:           4
        .value_kind:     hidden_block_count_y
      - .offset:         72
        .size:           4
        .value_kind:     hidden_block_count_z
      - .offset:         76
        .size:           2
        .value_kind:     hidden_group_size_x
      - .offset:         78
        .size:           2
        .value_kind:     hidden_group_size_y
      - .offset:         80
        .size:           2
        .value_kind:     hidden_group_size_z
      - .offset:         82
        .size:           2
        .value_kind:     hidden_remainder_x
      - .offset:         84
        .size:           2
        .value_kind:     hidden_remainder_y
      - .offset:         86
        .size:           2
        .value_kind:     hidden_remainder_z
      - .offset:         104
        .size:           8
        .value_kind:     hidden_global_offset_x
      - .offset:         112
        .size:           8
        .value_kind:     hidden_global_offset_y
      - .offset:         120
        .size:           8
        .value_kind:     hidden_global_offset_z
      - .offset:         128
        .size:           2
        .value_kind:     hidden_grid_dims
    .group_segment_fixed_size: 0
    .kernarg_segment_align: 8
    .kernarg_segment_size: 320
    .language:       OpenCL C
    .language_version:
      - 2
      - 0
    .max_flat_workgroup_size: 256
    .name:           _ZN7rocprim17ROCPRIM_400000_NS6detail25reduce_by_key_init_kernelINS1_19lookback_scan_stateINS0_5tupleIJjxEEELb1ELb0EEExNS1_16block_id_wrapperIjLb1EEEEEvT_jbjPmPT0_T1_
    .private_segment_fixed_size: 0
    .sgpr_count:     22
    .sgpr_spill_count: 0
    .symbol:         _ZN7rocprim17ROCPRIM_400000_NS6detail25reduce_by_key_init_kernelINS1_19lookback_scan_stateINS0_5tupleIJjxEEELb1ELb0EEExNS1_16block_id_wrapperIjLb1EEEEEvT_jbjPmPT0_T1_.kd
    .uniform_work_group_size: 1
    .uses_dynamic_stack: false
    .vgpr_count:     7
    .vgpr_spill_count: 0
    .wavefront_size: 32
    .workgroup_processor_mode: 1
  - .args:
      - .offset:         0
        .size:           136
        .value_kind:     by_value
    .group_segment_fixed_size: 0
    .kernarg_segment_align: 8
    .kernarg_segment_size: 136
    .language:       OpenCL C
    .language_version:
      - 2
      - 0
    .max_flat_workgroup_size: 256
    .name:           _ZN7rocprim17ROCPRIM_400000_NS6detail17trampoline_kernelINS0_14default_configENS1_29reduce_by_key_config_selectorIxxN6thrust23THRUST_200600_302600_NS4plusIxEEEEZZNS1_33reduce_by_key_impl_wrapped_configILNS1_25lookback_scan_determinismE0ES3_S9_NS6_6detail15normal_iteratorINS6_10device_ptrIxEEEESG_SG_SG_PmS8_NS6_8equal_toIxEEEE10hipError_tPvRmT2_T3_mT4_T5_T6_T7_T8_P12ihipStream_tbENKUlT_T0_E_clISt17integral_constantIbLb1EES11_EEDaSW_SX_EUlSW_E_NS1_11comp_targetILNS1_3genE0ELNS1_11target_archE4294967295ELNS1_3gpuE0ELNS1_3repE0EEENS1_30default_config_static_selectorELNS0_4arch9wavefront6targetE0EEEvT1_
    .private_segment_fixed_size: 0
    .sgpr_count:     0
    .sgpr_spill_count: 0
    .symbol:         _ZN7rocprim17ROCPRIM_400000_NS6detail17trampoline_kernelINS0_14default_configENS1_29reduce_by_key_config_selectorIxxN6thrust23THRUST_200600_302600_NS4plusIxEEEEZZNS1_33reduce_by_key_impl_wrapped_configILNS1_25lookback_scan_determinismE0ES3_S9_NS6_6detail15normal_iteratorINS6_10device_ptrIxEEEESG_SG_SG_PmS8_NS6_8equal_toIxEEEE10hipError_tPvRmT2_T3_mT4_T5_T6_T7_T8_P12ihipStream_tbENKUlT_T0_E_clISt17integral_constantIbLb1EES11_EEDaSW_SX_EUlSW_E_NS1_11comp_targetILNS1_3genE0ELNS1_11target_archE4294967295ELNS1_3gpuE0ELNS1_3repE0EEENS1_30default_config_static_selectorELNS0_4arch9wavefront6targetE0EEEvT1_.kd
    .uniform_work_group_size: 1
    .uses_dynamic_stack: false
    .vgpr_count:     0
    .vgpr_spill_count: 0
    .wavefront_size: 32
    .workgroup_processor_mode: 1
  - .args:
      - .offset:         0
        .size:           136
        .value_kind:     by_value
    .group_segment_fixed_size: 0
    .kernarg_segment_align: 8
    .kernarg_segment_size: 136
    .language:       OpenCL C
    .language_version:
      - 2
      - 0
    .max_flat_workgroup_size: 256
    .name:           _ZN7rocprim17ROCPRIM_400000_NS6detail17trampoline_kernelINS0_14default_configENS1_29reduce_by_key_config_selectorIxxN6thrust23THRUST_200600_302600_NS4plusIxEEEEZZNS1_33reduce_by_key_impl_wrapped_configILNS1_25lookback_scan_determinismE0ES3_S9_NS6_6detail15normal_iteratorINS6_10device_ptrIxEEEESG_SG_SG_PmS8_NS6_8equal_toIxEEEE10hipError_tPvRmT2_T3_mT4_T5_T6_T7_T8_P12ihipStream_tbENKUlT_T0_E_clISt17integral_constantIbLb1EES11_EEDaSW_SX_EUlSW_E_NS1_11comp_targetILNS1_3genE5ELNS1_11target_archE942ELNS1_3gpuE9ELNS1_3repE0EEENS1_30default_config_static_selectorELNS0_4arch9wavefront6targetE0EEEvT1_
    .private_segment_fixed_size: 0
    .sgpr_count:     0
    .sgpr_spill_count: 0
    .symbol:         _ZN7rocprim17ROCPRIM_400000_NS6detail17trampoline_kernelINS0_14default_configENS1_29reduce_by_key_config_selectorIxxN6thrust23THRUST_200600_302600_NS4plusIxEEEEZZNS1_33reduce_by_key_impl_wrapped_configILNS1_25lookback_scan_determinismE0ES3_S9_NS6_6detail15normal_iteratorINS6_10device_ptrIxEEEESG_SG_SG_PmS8_NS6_8equal_toIxEEEE10hipError_tPvRmT2_T3_mT4_T5_T6_T7_T8_P12ihipStream_tbENKUlT_T0_E_clISt17integral_constantIbLb1EES11_EEDaSW_SX_EUlSW_E_NS1_11comp_targetILNS1_3genE5ELNS1_11target_archE942ELNS1_3gpuE9ELNS1_3repE0EEENS1_30default_config_static_selectorELNS0_4arch9wavefront6targetE0EEEvT1_.kd
    .uniform_work_group_size: 1
    .uses_dynamic_stack: false
    .vgpr_count:     0
    .vgpr_spill_count: 0
    .wavefront_size: 32
    .workgroup_processor_mode: 1
  - .args:
      - .offset:         0
        .size:           136
        .value_kind:     by_value
    .group_segment_fixed_size: 0
    .kernarg_segment_align: 8
    .kernarg_segment_size: 136
    .language:       OpenCL C
    .language_version:
      - 2
      - 0
    .max_flat_workgroup_size: 256
    .name:           _ZN7rocprim17ROCPRIM_400000_NS6detail17trampoline_kernelINS0_14default_configENS1_29reduce_by_key_config_selectorIxxN6thrust23THRUST_200600_302600_NS4plusIxEEEEZZNS1_33reduce_by_key_impl_wrapped_configILNS1_25lookback_scan_determinismE0ES3_S9_NS6_6detail15normal_iteratorINS6_10device_ptrIxEEEESG_SG_SG_PmS8_NS6_8equal_toIxEEEE10hipError_tPvRmT2_T3_mT4_T5_T6_T7_T8_P12ihipStream_tbENKUlT_T0_E_clISt17integral_constantIbLb1EES11_EEDaSW_SX_EUlSW_E_NS1_11comp_targetILNS1_3genE4ELNS1_11target_archE910ELNS1_3gpuE8ELNS1_3repE0EEENS1_30default_config_static_selectorELNS0_4arch9wavefront6targetE0EEEvT1_
    .private_segment_fixed_size: 0
    .sgpr_count:     0
    .sgpr_spill_count: 0
    .symbol:         _ZN7rocprim17ROCPRIM_400000_NS6detail17trampoline_kernelINS0_14default_configENS1_29reduce_by_key_config_selectorIxxN6thrust23THRUST_200600_302600_NS4plusIxEEEEZZNS1_33reduce_by_key_impl_wrapped_configILNS1_25lookback_scan_determinismE0ES3_S9_NS6_6detail15normal_iteratorINS6_10device_ptrIxEEEESG_SG_SG_PmS8_NS6_8equal_toIxEEEE10hipError_tPvRmT2_T3_mT4_T5_T6_T7_T8_P12ihipStream_tbENKUlT_T0_E_clISt17integral_constantIbLb1EES11_EEDaSW_SX_EUlSW_E_NS1_11comp_targetILNS1_3genE4ELNS1_11target_archE910ELNS1_3gpuE8ELNS1_3repE0EEENS1_30default_config_static_selectorELNS0_4arch9wavefront6targetE0EEEvT1_.kd
    .uniform_work_group_size: 1
    .uses_dynamic_stack: false
    .vgpr_count:     0
    .vgpr_spill_count: 0
    .wavefront_size: 32
    .workgroup_processor_mode: 1
  - .args:
      - .offset:         0
        .size:           136
        .value_kind:     by_value
    .group_segment_fixed_size: 0
    .kernarg_segment_align: 8
    .kernarg_segment_size: 136
    .language:       OpenCL C
    .language_version:
      - 2
      - 0
    .max_flat_workgroup_size: 256
    .name:           _ZN7rocprim17ROCPRIM_400000_NS6detail17trampoline_kernelINS0_14default_configENS1_29reduce_by_key_config_selectorIxxN6thrust23THRUST_200600_302600_NS4plusIxEEEEZZNS1_33reduce_by_key_impl_wrapped_configILNS1_25lookback_scan_determinismE0ES3_S9_NS6_6detail15normal_iteratorINS6_10device_ptrIxEEEESG_SG_SG_PmS8_NS6_8equal_toIxEEEE10hipError_tPvRmT2_T3_mT4_T5_T6_T7_T8_P12ihipStream_tbENKUlT_T0_E_clISt17integral_constantIbLb1EES11_EEDaSW_SX_EUlSW_E_NS1_11comp_targetILNS1_3genE3ELNS1_11target_archE908ELNS1_3gpuE7ELNS1_3repE0EEENS1_30default_config_static_selectorELNS0_4arch9wavefront6targetE0EEEvT1_
    .private_segment_fixed_size: 0
    .sgpr_count:     0
    .sgpr_spill_count: 0
    .symbol:         _ZN7rocprim17ROCPRIM_400000_NS6detail17trampoline_kernelINS0_14default_configENS1_29reduce_by_key_config_selectorIxxN6thrust23THRUST_200600_302600_NS4plusIxEEEEZZNS1_33reduce_by_key_impl_wrapped_configILNS1_25lookback_scan_determinismE0ES3_S9_NS6_6detail15normal_iteratorINS6_10device_ptrIxEEEESG_SG_SG_PmS8_NS6_8equal_toIxEEEE10hipError_tPvRmT2_T3_mT4_T5_T6_T7_T8_P12ihipStream_tbENKUlT_T0_E_clISt17integral_constantIbLb1EES11_EEDaSW_SX_EUlSW_E_NS1_11comp_targetILNS1_3genE3ELNS1_11target_archE908ELNS1_3gpuE7ELNS1_3repE0EEENS1_30default_config_static_selectorELNS0_4arch9wavefront6targetE0EEEvT1_.kd
    .uniform_work_group_size: 1
    .uses_dynamic_stack: false
    .vgpr_count:     0
    .vgpr_spill_count: 0
    .wavefront_size: 32
    .workgroup_processor_mode: 1
  - .args:
      - .offset:         0
        .size:           136
        .value_kind:     by_value
    .group_segment_fixed_size: 0
    .kernarg_segment_align: 8
    .kernarg_segment_size: 136
    .language:       OpenCL C
    .language_version:
      - 2
      - 0
    .max_flat_workgroup_size: 256
    .name:           _ZN7rocprim17ROCPRIM_400000_NS6detail17trampoline_kernelINS0_14default_configENS1_29reduce_by_key_config_selectorIxxN6thrust23THRUST_200600_302600_NS4plusIxEEEEZZNS1_33reduce_by_key_impl_wrapped_configILNS1_25lookback_scan_determinismE0ES3_S9_NS6_6detail15normal_iteratorINS6_10device_ptrIxEEEESG_SG_SG_PmS8_NS6_8equal_toIxEEEE10hipError_tPvRmT2_T3_mT4_T5_T6_T7_T8_P12ihipStream_tbENKUlT_T0_E_clISt17integral_constantIbLb1EES11_EEDaSW_SX_EUlSW_E_NS1_11comp_targetILNS1_3genE2ELNS1_11target_archE906ELNS1_3gpuE6ELNS1_3repE0EEENS1_30default_config_static_selectorELNS0_4arch9wavefront6targetE0EEEvT1_
    .private_segment_fixed_size: 0
    .sgpr_count:     0
    .sgpr_spill_count: 0
    .symbol:         _ZN7rocprim17ROCPRIM_400000_NS6detail17trampoline_kernelINS0_14default_configENS1_29reduce_by_key_config_selectorIxxN6thrust23THRUST_200600_302600_NS4plusIxEEEEZZNS1_33reduce_by_key_impl_wrapped_configILNS1_25lookback_scan_determinismE0ES3_S9_NS6_6detail15normal_iteratorINS6_10device_ptrIxEEEESG_SG_SG_PmS8_NS6_8equal_toIxEEEE10hipError_tPvRmT2_T3_mT4_T5_T6_T7_T8_P12ihipStream_tbENKUlT_T0_E_clISt17integral_constantIbLb1EES11_EEDaSW_SX_EUlSW_E_NS1_11comp_targetILNS1_3genE2ELNS1_11target_archE906ELNS1_3gpuE6ELNS1_3repE0EEENS1_30default_config_static_selectorELNS0_4arch9wavefront6targetE0EEEvT1_.kd
    .uniform_work_group_size: 1
    .uses_dynamic_stack: false
    .vgpr_count:     0
    .vgpr_spill_count: 0
    .wavefront_size: 32
    .workgroup_processor_mode: 1
  - .args:
      - .offset:         0
        .size:           136
        .value_kind:     by_value
    .group_segment_fixed_size: 0
    .kernarg_segment_align: 8
    .kernarg_segment_size: 136
    .language:       OpenCL C
    .language_version:
      - 2
      - 0
    .max_flat_workgroup_size: 256
    .name:           _ZN7rocprim17ROCPRIM_400000_NS6detail17trampoline_kernelINS0_14default_configENS1_29reduce_by_key_config_selectorIxxN6thrust23THRUST_200600_302600_NS4plusIxEEEEZZNS1_33reduce_by_key_impl_wrapped_configILNS1_25lookback_scan_determinismE0ES3_S9_NS6_6detail15normal_iteratorINS6_10device_ptrIxEEEESG_SG_SG_PmS8_NS6_8equal_toIxEEEE10hipError_tPvRmT2_T3_mT4_T5_T6_T7_T8_P12ihipStream_tbENKUlT_T0_E_clISt17integral_constantIbLb1EES11_EEDaSW_SX_EUlSW_E_NS1_11comp_targetILNS1_3genE10ELNS1_11target_archE1201ELNS1_3gpuE5ELNS1_3repE0EEENS1_30default_config_static_selectorELNS0_4arch9wavefront6targetE0EEEvT1_
    .private_segment_fixed_size: 0
    .sgpr_count:     0
    .sgpr_spill_count: 0
    .symbol:         _ZN7rocprim17ROCPRIM_400000_NS6detail17trampoline_kernelINS0_14default_configENS1_29reduce_by_key_config_selectorIxxN6thrust23THRUST_200600_302600_NS4plusIxEEEEZZNS1_33reduce_by_key_impl_wrapped_configILNS1_25lookback_scan_determinismE0ES3_S9_NS6_6detail15normal_iteratorINS6_10device_ptrIxEEEESG_SG_SG_PmS8_NS6_8equal_toIxEEEE10hipError_tPvRmT2_T3_mT4_T5_T6_T7_T8_P12ihipStream_tbENKUlT_T0_E_clISt17integral_constantIbLb1EES11_EEDaSW_SX_EUlSW_E_NS1_11comp_targetILNS1_3genE10ELNS1_11target_archE1201ELNS1_3gpuE5ELNS1_3repE0EEENS1_30default_config_static_selectorELNS0_4arch9wavefront6targetE0EEEvT1_.kd
    .uniform_work_group_size: 1
    .uses_dynamic_stack: false
    .vgpr_count:     0
    .vgpr_spill_count: 0
    .wavefront_size: 32
    .workgroup_processor_mode: 1
  - .args:
      - .offset:         0
        .size:           136
        .value_kind:     by_value
    .group_segment_fixed_size: 0
    .kernarg_segment_align: 8
    .kernarg_segment_size: 136
    .language:       OpenCL C
    .language_version:
      - 2
      - 0
    .max_flat_workgroup_size: 256
    .name:           _ZN7rocprim17ROCPRIM_400000_NS6detail17trampoline_kernelINS0_14default_configENS1_29reduce_by_key_config_selectorIxxN6thrust23THRUST_200600_302600_NS4plusIxEEEEZZNS1_33reduce_by_key_impl_wrapped_configILNS1_25lookback_scan_determinismE0ES3_S9_NS6_6detail15normal_iteratorINS6_10device_ptrIxEEEESG_SG_SG_PmS8_NS6_8equal_toIxEEEE10hipError_tPvRmT2_T3_mT4_T5_T6_T7_T8_P12ihipStream_tbENKUlT_T0_E_clISt17integral_constantIbLb1EES11_EEDaSW_SX_EUlSW_E_NS1_11comp_targetILNS1_3genE10ELNS1_11target_archE1200ELNS1_3gpuE4ELNS1_3repE0EEENS1_30default_config_static_selectorELNS0_4arch9wavefront6targetE0EEEvT1_
    .private_segment_fixed_size: 0
    .sgpr_count:     0
    .sgpr_spill_count: 0
    .symbol:         _ZN7rocprim17ROCPRIM_400000_NS6detail17trampoline_kernelINS0_14default_configENS1_29reduce_by_key_config_selectorIxxN6thrust23THRUST_200600_302600_NS4plusIxEEEEZZNS1_33reduce_by_key_impl_wrapped_configILNS1_25lookback_scan_determinismE0ES3_S9_NS6_6detail15normal_iteratorINS6_10device_ptrIxEEEESG_SG_SG_PmS8_NS6_8equal_toIxEEEE10hipError_tPvRmT2_T3_mT4_T5_T6_T7_T8_P12ihipStream_tbENKUlT_T0_E_clISt17integral_constantIbLb1EES11_EEDaSW_SX_EUlSW_E_NS1_11comp_targetILNS1_3genE10ELNS1_11target_archE1200ELNS1_3gpuE4ELNS1_3repE0EEENS1_30default_config_static_selectorELNS0_4arch9wavefront6targetE0EEEvT1_.kd
    .uniform_work_group_size: 1
    .uses_dynamic_stack: false
    .vgpr_count:     0
    .vgpr_spill_count: 0
    .wavefront_size: 32
    .workgroup_processor_mode: 1
  - .args:
      - .offset:         0
        .size:           136
        .value_kind:     by_value
    .group_segment_fixed_size: 30720
    .kernarg_segment_align: 8
    .kernarg_segment_size: 136
    .language:       OpenCL C
    .language_version:
      - 2
      - 0
    .max_flat_workgroup_size: 256
    .name:           _ZN7rocprim17ROCPRIM_400000_NS6detail17trampoline_kernelINS0_14default_configENS1_29reduce_by_key_config_selectorIxxN6thrust23THRUST_200600_302600_NS4plusIxEEEEZZNS1_33reduce_by_key_impl_wrapped_configILNS1_25lookback_scan_determinismE0ES3_S9_NS6_6detail15normal_iteratorINS6_10device_ptrIxEEEESG_SG_SG_PmS8_NS6_8equal_toIxEEEE10hipError_tPvRmT2_T3_mT4_T5_T6_T7_T8_P12ihipStream_tbENKUlT_T0_E_clISt17integral_constantIbLb1EES11_EEDaSW_SX_EUlSW_E_NS1_11comp_targetILNS1_3genE9ELNS1_11target_archE1100ELNS1_3gpuE3ELNS1_3repE0EEENS1_30default_config_static_selectorELNS0_4arch9wavefront6targetE0EEEvT1_
    .private_segment_fixed_size: 0
    .sgpr_count:     55
    .sgpr_spill_count: 0
    .symbol:         _ZN7rocprim17ROCPRIM_400000_NS6detail17trampoline_kernelINS0_14default_configENS1_29reduce_by_key_config_selectorIxxN6thrust23THRUST_200600_302600_NS4plusIxEEEEZZNS1_33reduce_by_key_impl_wrapped_configILNS1_25lookback_scan_determinismE0ES3_S9_NS6_6detail15normal_iteratorINS6_10device_ptrIxEEEESG_SG_SG_PmS8_NS6_8equal_toIxEEEE10hipError_tPvRmT2_T3_mT4_T5_T6_T7_T8_P12ihipStream_tbENKUlT_T0_E_clISt17integral_constantIbLb1EES11_EEDaSW_SX_EUlSW_E_NS1_11comp_targetILNS1_3genE9ELNS1_11target_archE1100ELNS1_3gpuE3ELNS1_3repE0EEENS1_30default_config_static_selectorELNS0_4arch9wavefront6targetE0EEEvT1_.kd
    .uniform_work_group_size: 1
    .uses_dynamic_stack: false
    .vgpr_count:     121
    .vgpr_spill_count: 0
    .wavefront_size: 32
    .workgroup_processor_mode: 1
  - .args:
      - .offset:         0
        .size:           136
        .value_kind:     by_value
    .group_segment_fixed_size: 0
    .kernarg_segment_align: 8
    .kernarg_segment_size: 136
    .language:       OpenCL C
    .language_version:
      - 2
      - 0
    .max_flat_workgroup_size: 256
    .name:           _ZN7rocprim17ROCPRIM_400000_NS6detail17trampoline_kernelINS0_14default_configENS1_29reduce_by_key_config_selectorIxxN6thrust23THRUST_200600_302600_NS4plusIxEEEEZZNS1_33reduce_by_key_impl_wrapped_configILNS1_25lookback_scan_determinismE0ES3_S9_NS6_6detail15normal_iteratorINS6_10device_ptrIxEEEESG_SG_SG_PmS8_NS6_8equal_toIxEEEE10hipError_tPvRmT2_T3_mT4_T5_T6_T7_T8_P12ihipStream_tbENKUlT_T0_E_clISt17integral_constantIbLb1EES11_EEDaSW_SX_EUlSW_E_NS1_11comp_targetILNS1_3genE8ELNS1_11target_archE1030ELNS1_3gpuE2ELNS1_3repE0EEENS1_30default_config_static_selectorELNS0_4arch9wavefront6targetE0EEEvT1_
    .private_segment_fixed_size: 0
    .sgpr_count:     0
    .sgpr_spill_count: 0
    .symbol:         _ZN7rocprim17ROCPRIM_400000_NS6detail17trampoline_kernelINS0_14default_configENS1_29reduce_by_key_config_selectorIxxN6thrust23THRUST_200600_302600_NS4plusIxEEEEZZNS1_33reduce_by_key_impl_wrapped_configILNS1_25lookback_scan_determinismE0ES3_S9_NS6_6detail15normal_iteratorINS6_10device_ptrIxEEEESG_SG_SG_PmS8_NS6_8equal_toIxEEEE10hipError_tPvRmT2_T3_mT4_T5_T6_T7_T8_P12ihipStream_tbENKUlT_T0_E_clISt17integral_constantIbLb1EES11_EEDaSW_SX_EUlSW_E_NS1_11comp_targetILNS1_3genE8ELNS1_11target_archE1030ELNS1_3gpuE2ELNS1_3repE0EEENS1_30default_config_static_selectorELNS0_4arch9wavefront6targetE0EEEvT1_.kd
    .uniform_work_group_size: 1
    .uses_dynamic_stack: false
    .vgpr_count:     0
    .vgpr_spill_count: 0
    .wavefront_size: 32
    .workgroup_processor_mode: 1
  - .args:
      - .offset:         0
        .size:           24
        .value_kind:     by_value
      - .offset:         24
        .size:           4
        .value_kind:     by_value
      - .offset:         28
        .size:           1
        .value_kind:     by_value
      - .offset:         32
        .size:           4
        .value_kind:     by_value
      - .address_space:  global
        .offset:         40
        .size:           8
        .value_kind:     global_buffer
      - .address_space:  global
        .offset:         48
        .size:           8
        .value_kind:     global_buffer
      - .offset:         56
        .size:           1
        .value_kind:     by_value
      - .offset:         64
        .size:           4
        .value_kind:     hidden_block_count_x
      - .offset:         68
        .size:           4
        .value_kind:     hidden_block_count_y
      - .offset:         72
        .size:           4
        .value_kind:     hidden_block_count_z
      - .offset:         76
        .size:           2
        .value_kind:     hidden_group_size_x
      - .offset:         78
        .size:           2
        .value_kind:     hidden_group_size_y
      - .offset:         80
        .size:           2
        .value_kind:     hidden_group_size_z
      - .offset:         82
        .size:           2
        .value_kind:     hidden_remainder_x
      - .offset:         84
        .size:           2
        .value_kind:     hidden_remainder_y
      - .offset:         86
        .size:           2
        .value_kind:     hidden_remainder_z
      - .offset:         104
        .size:           8
        .value_kind:     hidden_global_offset_x
      - .offset:         112
        .size:           8
        .value_kind:     hidden_global_offset_y
      - .offset:         120
        .size:           8
        .value_kind:     hidden_global_offset_z
      - .offset:         128
        .size:           2
        .value_kind:     hidden_grid_dims
    .group_segment_fixed_size: 0
    .kernarg_segment_align: 8
    .kernarg_segment_size: 320
    .language:       OpenCL C
    .language_version:
      - 2
      - 0
    .max_flat_workgroup_size: 256
    .name:           _ZN7rocprim17ROCPRIM_400000_NS6detail25reduce_by_key_init_kernelINS1_19lookback_scan_stateINS0_5tupleIJjxEEELb1ELb0EEExNS1_16block_id_wrapperIjLb0EEEEEvT_jbjPmPT0_T1_
    .private_segment_fixed_size: 0
    .sgpr_count:     20
    .sgpr_spill_count: 0
    .symbol:         _ZN7rocprim17ROCPRIM_400000_NS6detail25reduce_by_key_init_kernelINS1_19lookback_scan_stateINS0_5tupleIJjxEEELb1ELb0EEExNS1_16block_id_wrapperIjLb0EEEEEvT_jbjPmPT0_T1_.kd
    .uniform_work_group_size: 1
    .uses_dynamic_stack: false
    .vgpr_count:     7
    .vgpr_spill_count: 0
    .wavefront_size: 32
    .workgroup_processor_mode: 1
  - .args:
      - .offset:         0
        .size:           136
        .value_kind:     by_value
    .group_segment_fixed_size: 0
    .kernarg_segment_align: 8
    .kernarg_segment_size: 136
    .language:       OpenCL C
    .language_version:
      - 2
      - 0
    .max_flat_workgroup_size: 256
    .name:           _ZN7rocprim17ROCPRIM_400000_NS6detail17trampoline_kernelINS0_14default_configENS1_29reduce_by_key_config_selectorIxxN6thrust23THRUST_200600_302600_NS4plusIxEEEEZZNS1_33reduce_by_key_impl_wrapped_configILNS1_25lookback_scan_determinismE0ES3_S9_NS6_6detail15normal_iteratorINS6_10device_ptrIxEEEESG_SG_SG_PmS8_NS6_8equal_toIxEEEE10hipError_tPvRmT2_T3_mT4_T5_T6_T7_T8_P12ihipStream_tbENKUlT_T0_E_clISt17integral_constantIbLb1EES10_IbLb0EEEEDaSW_SX_EUlSW_E_NS1_11comp_targetILNS1_3genE0ELNS1_11target_archE4294967295ELNS1_3gpuE0ELNS1_3repE0EEENS1_30default_config_static_selectorELNS0_4arch9wavefront6targetE0EEEvT1_
    .private_segment_fixed_size: 0
    .sgpr_count:     0
    .sgpr_spill_count: 0
    .symbol:         _ZN7rocprim17ROCPRIM_400000_NS6detail17trampoline_kernelINS0_14default_configENS1_29reduce_by_key_config_selectorIxxN6thrust23THRUST_200600_302600_NS4plusIxEEEEZZNS1_33reduce_by_key_impl_wrapped_configILNS1_25lookback_scan_determinismE0ES3_S9_NS6_6detail15normal_iteratorINS6_10device_ptrIxEEEESG_SG_SG_PmS8_NS6_8equal_toIxEEEE10hipError_tPvRmT2_T3_mT4_T5_T6_T7_T8_P12ihipStream_tbENKUlT_T0_E_clISt17integral_constantIbLb1EES10_IbLb0EEEEDaSW_SX_EUlSW_E_NS1_11comp_targetILNS1_3genE0ELNS1_11target_archE4294967295ELNS1_3gpuE0ELNS1_3repE0EEENS1_30default_config_static_selectorELNS0_4arch9wavefront6targetE0EEEvT1_.kd
    .uniform_work_group_size: 1
    .uses_dynamic_stack: false
    .vgpr_count:     0
    .vgpr_spill_count: 0
    .wavefront_size: 32
    .workgroup_processor_mode: 1
  - .args:
      - .offset:         0
        .size:           136
        .value_kind:     by_value
    .group_segment_fixed_size: 0
    .kernarg_segment_align: 8
    .kernarg_segment_size: 136
    .language:       OpenCL C
    .language_version:
      - 2
      - 0
    .max_flat_workgroup_size: 256
    .name:           _ZN7rocprim17ROCPRIM_400000_NS6detail17trampoline_kernelINS0_14default_configENS1_29reduce_by_key_config_selectorIxxN6thrust23THRUST_200600_302600_NS4plusIxEEEEZZNS1_33reduce_by_key_impl_wrapped_configILNS1_25lookback_scan_determinismE0ES3_S9_NS6_6detail15normal_iteratorINS6_10device_ptrIxEEEESG_SG_SG_PmS8_NS6_8equal_toIxEEEE10hipError_tPvRmT2_T3_mT4_T5_T6_T7_T8_P12ihipStream_tbENKUlT_T0_E_clISt17integral_constantIbLb1EES10_IbLb0EEEEDaSW_SX_EUlSW_E_NS1_11comp_targetILNS1_3genE5ELNS1_11target_archE942ELNS1_3gpuE9ELNS1_3repE0EEENS1_30default_config_static_selectorELNS0_4arch9wavefront6targetE0EEEvT1_
    .private_segment_fixed_size: 0
    .sgpr_count:     0
    .sgpr_spill_count: 0
    .symbol:         _ZN7rocprim17ROCPRIM_400000_NS6detail17trampoline_kernelINS0_14default_configENS1_29reduce_by_key_config_selectorIxxN6thrust23THRUST_200600_302600_NS4plusIxEEEEZZNS1_33reduce_by_key_impl_wrapped_configILNS1_25lookback_scan_determinismE0ES3_S9_NS6_6detail15normal_iteratorINS6_10device_ptrIxEEEESG_SG_SG_PmS8_NS6_8equal_toIxEEEE10hipError_tPvRmT2_T3_mT4_T5_T6_T7_T8_P12ihipStream_tbENKUlT_T0_E_clISt17integral_constantIbLb1EES10_IbLb0EEEEDaSW_SX_EUlSW_E_NS1_11comp_targetILNS1_3genE5ELNS1_11target_archE942ELNS1_3gpuE9ELNS1_3repE0EEENS1_30default_config_static_selectorELNS0_4arch9wavefront6targetE0EEEvT1_.kd
    .uniform_work_group_size: 1
    .uses_dynamic_stack: false
    .vgpr_count:     0
    .vgpr_spill_count: 0
    .wavefront_size: 32
    .workgroup_processor_mode: 1
  - .args:
      - .offset:         0
        .size:           136
        .value_kind:     by_value
    .group_segment_fixed_size: 0
    .kernarg_segment_align: 8
    .kernarg_segment_size: 136
    .language:       OpenCL C
    .language_version:
      - 2
      - 0
    .max_flat_workgroup_size: 256
    .name:           _ZN7rocprim17ROCPRIM_400000_NS6detail17trampoline_kernelINS0_14default_configENS1_29reduce_by_key_config_selectorIxxN6thrust23THRUST_200600_302600_NS4plusIxEEEEZZNS1_33reduce_by_key_impl_wrapped_configILNS1_25lookback_scan_determinismE0ES3_S9_NS6_6detail15normal_iteratorINS6_10device_ptrIxEEEESG_SG_SG_PmS8_NS6_8equal_toIxEEEE10hipError_tPvRmT2_T3_mT4_T5_T6_T7_T8_P12ihipStream_tbENKUlT_T0_E_clISt17integral_constantIbLb1EES10_IbLb0EEEEDaSW_SX_EUlSW_E_NS1_11comp_targetILNS1_3genE4ELNS1_11target_archE910ELNS1_3gpuE8ELNS1_3repE0EEENS1_30default_config_static_selectorELNS0_4arch9wavefront6targetE0EEEvT1_
    .private_segment_fixed_size: 0
    .sgpr_count:     0
    .sgpr_spill_count: 0
    .symbol:         _ZN7rocprim17ROCPRIM_400000_NS6detail17trampoline_kernelINS0_14default_configENS1_29reduce_by_key_config_selectorIxxN6thrust23THRUST_200600_302600_NS4plusIxEEEEZZNS1_33reduce_by_key_impl_wrapped_configILNS1_25lookback_scan_determinismE0ES3_S9_NS6_6detail15normal_iteratorINS6_10device_ptrIxEEEESG_SG_SG_PmS8_NS6_8equal_toIxEEEE10hipError_tPvRmT2_T3_mT4_T5_T6_T7_T8_P12ihipStream_tbENKUlT_T0_E_clISt17integral_constantIbLb1EES10_IbLb0EEEEDaSW_SX_EUlSW_E_NS1_11comp_targetILNS1_3genE4ELNS1_11target_archE910ELNS1_3gpuE8ELNS1_3repE0EEENS1_30default_config_static_selectorELNS0_4arch9wavefront6targetE0EEEvT1_.kd
    .uniform_work_group_size: 1
    .uses_dynamic_stack: false
    .vgpr_count:     0
    .vgpr_spill_count: 0
    .wavefront_size: 32
    .workgroup_processor_mode: 1
  - .args:
      - .offset:         0
        .size:           136
        .value_kind:     by_value
    .group_segment_fixed_size: 0
    .kernarg_segment_align: 8
    .kernarg_segment_size: 136
    .language:       OpenCL C
    .language_version:
      - 2
      - 0
    .max_flat_workgroup_size: 256
    .name:           _ZN7rocprim17ROCPRIM_400000_NS6detail17trampoline_kernelINS0_14default_configENS1_29reduce_by_key_config_selectorIxxN6thrust23THRUST_200600_302600_NS4plusIxEEEEZZNS1_33reduce_by_key_impl_wrapped_configILNS1_25lookback_scan_determinismE0ES3_S9_NS6_6detail15normal_iteratorINS6_10device_ptrIxEEEESG_SG_SG_PmS8_NS6_8equal_toIxEEEE10hipError_tPvRmT2_T3_mT4_T5_T6_T7_T8_P12ihipStream_tbENKUlT_T0_E_clISt17integral_constantIbLb1EES10_IbLb0EEEEDaSW_SX_EUlSW_E_NS1_11comp_targetILNS1_3genE3ELNS1_11target_archE908ELNS1_3gpuE7ELNS1_3repE0EEENS1_30default_config_static_selectorELNS0_4arch9wavefront6targetE0EEEvT1_
    .private_segment_fixed_size: 0
    .sgpr_count:     0
    .sgpr_spill_count: 0
    .symbol:         _ZN7rocprim17ROCPRIM_400000_NS6detail17trampoline_kernelINS0_14default_configENS1_29reduce_by_key_config_selectorIxxN6thrust23THRUST_200600_302600_NS4plusIxEEEEZZNS1_33reduce_by_key_impl_wrapped_configILNS1_25lookback_scan_determinismE0ES3_S9_NS6_6detail15normal_iteratorINS6_10device_ptrIxEEEESG_SG_SG_PmS8_NS6_8equal_toIxEEEE10hipError_tPvRmT2_T3_mT4_T5_T6_T7_T8_P12ihipStream_tbENKUlT_T0_E_clISt17integral_constantIbLb1EES10_IbLb0EEEEDaSW_SX_EUlSW_E_NS1_11comp_targetILNS1_3genE3ELNS1_11target_archE908ELNS1_3gpuE7ELNS1_3repE0EEENS1_30default_config_static_selectorELNS0_4arch9wavefront6targetE0EEEvT1_.kd
    .uniform_work_group_size: 1
    .uses_dynamic_stack: false
    .vgpr_count:     0
    .vgpr_spill_count: 0
    .wavefront_size: 32
    .workgroup_processor_mode: 1
  - .args:
      - .offset:         0
        .size:           136
        .value_kind:     by_value
    .group_segment_fixed_size: 0
    .kernarg_segment_align: 8
    .kernarg_segment_size: 136
    .language:       OpenCL C
    .language_version:
      - 2
      - 0
    .max_flat_workgroup_size: 256
    .name:           _ZN7rocprim17ROCPRIM_400000_NS6detail17trampoline_kernelINS0_14default_configENS1_29reduce_by_key_config_selectorIxxN6thrust23THRUST_200600_302600_NS4plusIxEEEEZZNS1_33reduce_by_key_impl_wrapped_configILNS1_25lookback_scan_determinismE0ES3_S9_NS6_6detail15normal_iteratorINS6_10device_ptrIxEEEESG_SG_SG_PmS8_NS6_8equal_toIxEEEE10hipError_tPvRmT2_T3_mT4_T5_T6_T7_T8_P12ihipStream_tbENKUlT_T0_E_clISt17integral_constantIbLb1EES10_IbLb0EEEEDaSW_SX_EUlSW_E_NS1_11comp_targetILNS1_3genE2ELNS1_11target_archE906ELNS1_3gpuE6ELNS1_3repE0EEENS1_30default_config_static_selectorELNS0_4arch9wavefront6targetE0EEEvT1_
    .private_segment_fixed_size: 0
    .sgpr_count:     0
    .sgpr_spill_count: 0
    .symbol:         _ZN7rocprim17ROCPRIM_400000_NS6detail17trampoline_kernelINS0_14default_configENS1_29reduce_by_key_config_selectorIxxN6thrust23THRUST_200600_302600_NS4plusIxEEEEZZNS1_33reduce_by_key_impl_wrapped_configILNS1_25lookback_scan_determinismE0ES3_S9_NS6_6detail15normal_iteratorINS6_10device_ptrIxEEEESG_SG_SG_PmS8_NS6_8equal_toIxEEEE10hipError_tPvRmT2_T3_mT4_T5_T6_T7_T8_P12ihipStream_tbENKUlT_T0_E_clISt17integral_constantIbLb1EES10_IbLb0EEEEDaSW_SX_EUlSW_E_NS1_11comp_targetILNS1_3genE2ELNS1_11target_archE906ELNS1_3gpuE6ELNS1_3repE0EEENS1_30default_config_static_selectorELNS0_4arch9wavefront6targetE0EEEvT1_.kd
    .uniform_work_group_size: 1
    .uses_dynamic_stack: false
    .vgpr_count:     0
    .vgpr_spill_count: 0
    .wavefront_size: 32
    .workgroup_processor_mode: 1
  - .args:
      - .offset:         0
        .size:           136
        .value_kind:     by_value
    .group_segment_fixed_size: 0
    .kernarg_segment_align: 8
    .kernarg_segment_size: 136
    .language:       OpenCL C
    .language_version:
      - 2
      - 0
    .max_flat_workgroup_size: 256
    .name:           _ZN7rocprim17ROCPRIM_400000_NS6detail17trampoline_kernelINS0_14default_configENS1_29reduce_by_key_config_selectorIxxN6thrust23THRUST_200600_302600_NS4plusIxEEEEZZNS1_33reduce_by_key_impl_wrapped_configILNS1_25lookback_scan_determinismE0ES3_S9_NS6_6detail15normal_iteratorINS6_10device_ptrIxEEEESG_SG_SG_PmS8_NS6_8equal_toIxEEEE10hipError_tPvRmT2_T3_mT4_T5_T6_T7_T8_P12ihipStream_tbENKUlT_T0_E_clISt17integral_constantIbLb1EES10_IbLb0EEEEDaSW_SX_EUlSW_E_NS1_11comp_targetILNS1_3genE10ELNS1_11target_archE1201ELNS1_3gpuE5ELNS1_3repE0EEENS1_30default_config_static_selectorELNS0_4arch9wavefront6targetE0EEEvT1_
    .private_segment_fixed_size: 0
    .sgpr_count:     0
    .sgpr_spill_count: 0
    .symbol:         _ZN7rocprim17ROCPRIM_400000_NS6detail17trampoline_kernelINS0_14default_configENS1_29reduce_by_key_config_selectorIxxN6thrust23THRUST_200600_302600_NS4plusIxEEEEZZNS1_33reduce_by_key_impl_wrapped_configILNS1_25lookback_scan_determinismE0ES3_S9_NS6_6detail15normal_iteratorINS6_10device_ptrIxEEEESG_SG_SG_PmS8_NS6_8equal_toIxEEEE10hipError_tPvRmT2_T3_mT4_T5_T6_T7_T8_P12ihipStream_tbENKUlT_T0_E_clISt17integral_constantIbLb1EES10_IbLb0EEEEDaSW_SX_EUlSW_E_NS1_11comp_targetILNS1_3genE10ELNS1_11target_archE1201ELNS1_3gpuE5ELNS1_3repE0EEENS1_30default_config_static_selectorELNS0_4arch9wavefront6targetE0EEEvT1_.kd
    .uniform_work_group_size: 1
    .uses_dynamic_stack: false
    .vgpr_count:     0
    .vgpr_spill_count: 0
    .wavefront_size: 32
    .workgroup_processor_mode: 1
  - .args:
      - .offset:         0
        .size:           136
        .value_kind:     by_value
    .group_segment_fixed_size: 0
    .kernarg_segment_align: 8
    .kernarg_segment_size: 136
    .language:       OpenCL C
    .language_version:
      - 2
      - 0
    .max_flat_workgroup_size: 256
    .name:           _ZN7rocprim17ROCPRIM_400000_NS6detail17trampoline_kernelINS0_14default_configENS1_29reduce_by_key_config_selectorIxxN6thrust23THRUST_200600_302600_NS4plusIxEEEEZZNS1_33reduce_by_key_impl_wrapped_configILNS1_25lookback_scan_determinismE0ES3_S9_NS6_6detail15normal_iteratorINS6_10device_ptrIxEEEESG_SG_SG_PmS8_NS6_8equal_toIxEEEE10hipError_tPvRmT2_T3_mT4_T5_T6_T7_T8_P12ihipStream_tbENKUlT_T0_E_clISt17integral_constantIbLb1EES10_IbLb0EEEEDaSW_SX_EUlSW_E_NS1_11comp_targetILNS1_3genE10ELNS1_11target_archE1200ELNS1_3gpuE4ELNS1_3repE0EEENS1_30default_config_static_selectorELNS0_4arch9wavefront6targetE0EEEvT1_
    .private_segment_fixed_size: 0
    .sgpr_count:     0
    .sgpr_spill_count: 0
    .symbol:         _ZN7rocprim17ROCPRIM_400000_NS6detail17trampoline_kernelINS0_14default_configENS1_29reduce_by_key_config_selectorIxxN6thrust23THRUST_200600_302600_NS4plusIxEEEEZZNS1_33reduce_by_key_impl_wrapped_configILNS1_25lookback_scan_determinismE0ES3_S9_NS6_6detail15normal_iteratorINS6_10device_ptrIxEEEESG_SG_SG_PmS8_NS6_8equal_toIxEEEE10hipError_tPvRmT2_T3_mT4_T5_T6_T7_T8_P12ihipStream_tbENKUlT_T0_E_clISt17integral_constantIbLb1EES10_IbLb0EEEEDaSW_SX_EUlSW_E_NS1_11comp_targetILNS1_3genE10ELNS1_11target_archE1200ELNS1_3gpuE4ELNS1_3repE0EEENS1_30default_config_static_selectorELNS0_4arch9wavefront6targetE0EEEvT1_.kd
    .uniform_work_group_size: 1
    .uses_dynamic_stack: false
    .vgpr_count:     0
    .vgpr_spill_count: 0
    .wavefront_size: 32
    .workgroup_processor_mode: 1
  - .args:
      - .offset:         0
        .size:           136
        .value_kind:     by_value
    .group_segment_fixed_size: 30720
    .kernarg_segment_align: 8
    .kernarg_segment_size: 136
    .language:       OpenCL C
    .language_version:
      - 2
      - 0
    .max_flat_workgroup_size: 256
    .name:           _ZN7rocprim17ROCPRIM_400000_NS6detail17trampoline_kernelINS0_14default_configENS1_29reduce_by_key_config_selectorIxxN6thrust23THRUST_200600_302600_NS4plusIxEEEEZZNS1_33reduce_by_key_impl_wrapped_configILNS1_25lookback_scan_determinismE0ES3_S9_NS6_6detail15normal_iteratorINS6_10device_ptrIxEEEESG_SG_SG_PmS8_NS6_8equal_toIxEEEE10hipError_tPvRmT2_T3_mT4_T5_T6_T7_T8_P12ihipStream_tbENKUlT_T0_E_clISt17integral_constantIbLb1EES10_IbLb0EEEEDaSW_SX_EUlSW_E_NS1_11comp_targetILNS1_3genE9ELNS1_11target_archE1100ELNS1_3gpuE3ELNS1_3repE0EEENS1_30default_config_static_selectorELNS0_4arch9wavefront6targetE0EEEvT1_
    .private_segment_fixed_size: 0
    .sgpr_count:     54
    .sgpr_spill_count: 0
    .symbol:         _ZN7rocprim17ROCPRIM_400000_NS6detail17trampoline_kernelINS0_14default_configENS1_29reduce_by_key_config_selectorIxxN6thrust23THRUST_200600_302600_NS4plusIxEEEEZZNS1_33reduce_by_key_impl_wrapped_configILNS1_25lookback_scan_determinismE0ES3_S9_NS6_6detail15normal_iteratorINS6_10device_ptrIxEEEESG_SG_SG_PmS8_NS6_8equal_toIxEEEE10hipError_tPvRmT2_T3_mT4_T5_T6_T7_T8_P12ihipStream_tbENKUlT_T0_E_clISt17integral_constantIbLb1EES10_IbLb0EEEEDaSW_SX_EUlSW_E_NS1_11comp_targetILNS1_3genE9ELNS1_11target_archE1100ELNS1_3gpuE3ELNS1_3repE0EEENS1_30default_config_static_selectorELNS0_4arch9wavefront6targetE0EEEvT1_.kd
    .uniform_work_group_size: 1
    .uses_dynamic_stack: false
    .vgpr_count:     121
    .vgpr_spill_count: 0
    .wavefront_size: 32
    .workgroup_processor_mode: 1
  - .args:
      - .offset:         0
        .size:           136
        .value_kind:     by_value
    .group_segment_fixed_size: 0
    .kernarg_segment_align: 8
    .kernarg_segment_size: 136
    .language:       OpenCL C
    .language_version:
      - 2
      - 0
    .max_flat_workgroup_size: 256
    .name:           _ZN7rocprim17ROCPRIM_400000_NS6detail17trampoline_kernelINS0_14default_configENS1_29reduce_by_key_config_selectorIxxN6thrust23THRUST_200600_302600_NS4plusIxEEEEZZNS1_33reduce_by_key_impl_wrapped_configILNS1_25lookback_scan_determinismE0ES3_S9_NS6_6detail15normal_iteratorINS6_10device_ptrIxEEEESG_SG_SG_PmS8_NS6_8equal_toIxEEEE10hipError_tPvRmT2_T3_mT4_T5_T6_T7_T8_P12ihipStream_tbENKUlT_T0_E_clISt17integral_constantIbLb1EES10_IbLb0EEEEDaSW_SX_EUlSW_E_NS1_11comp_targetILNS1_3genE8ELNS1_11target_archE1030ELNS1_3gpuE2ELNS1_3repE0EEENS1_30default_config_static_selectorELNS0_4arch9wavefront6targetE0EEEvT1_
    .private_segment_fixed_size: 0
    .sgpr_count:     0
    .sgpr_spill_count: 0
    .symbol:         _ZN7rocprim17ROCPRIM_400000_NS6detail17trampoline_kernelINS0_14default_configENS1_29reduce_by_key_config_selectorIxxN6thrust23THRUST_200600_302600_NS4plusIxEEEEZZNS1_33reduce_by_key_impl_wrapped_configILNS1_25lookback_scan_determinismE0ES3_S9_NS6_6detail15normal_iteratorINS6_10device_ptrIxEEEESG_SG_SG_PmS8_NS6_8equal_toIxEEEE10hipError_tPvRmT2_T3_mT4_T5_T6_T7_T8_P12ihipStream_tbENKUlT_T0_E_clISt17integral_constantIbLb1EES10_IbLb0EEEEDaSW_SX_EUlSW_E_NS1_11comp_targetILNS1_3genE8ELNS1_11target_archE1030ELNS1_3gpuE2ELNS1_3repE0EEENS1_30default_config_static_selectorELNS0_4arch9wavefront6targetE0EEEvT1_.kd
    .uniform_work_group_size: 1
    .uses_dynamic_stack: false
    .vgpr_count:     0
    .vgpr_spill_count: 0
    .wavefront_size: 32
    .workgroup_processor_mode: 1
  - .args:
      - .offset:         0
        .size:           24
        .value_kind:     by_value
      - .offset:         24
        .size:           4
        .value_kind:     by_value
      - .offset:         28
        .size:           1
        .value_kind:     by_value
      - .offset:         32
        .size:           4
        .value_kind:     by_value
      - .address_space:  global
        .offset:         40
        .size:           8
        .value_kind:     global_buffer
      - .address_space:  global
        .offset:         48
        .size:           8
        .value_kind:     global_buffer
      - .address_space:  global
        .offset:         56
        .size:           8
        .value_kind:     global_buffer
      - .offset:         64
        .size:           4
        .value_kind:     hidden_block_count_x
      - .offset:         68
        .size:           4
        .value_kind:     hidden_block_count_y
      - .offset:         72
        .size:           4
        .value_kind:     hidden_block_count_z
      - .offset:         76
        .size:           2
        .value_kind:     hidden_group_size_x
      - .offset:         78
        .size:           2
        .value_kind:     hidden_group_size_y
      - .offset:         80
        .size:           2
        .value_kind:     hidden_group_size_z
      - .offset:         82
        .size:           2
        .value_kind:     hidden_remainder_x
      - .offset:         84
        .size:           2
        .value_kind:     hidden_remainder_y
      - .offset:         86
        .size:           2
        .value_kind:     hidden_remainder_z
      - .offset:         104
        .size:           8
        .value_kind:     hidden_global_offset_x
      - .offset:         112
        .size:           8
        .value_kind:     hidden_global_offset_y
      - .offset:         120
        .size:           8
        .value_kind:     hidden_global_offset_z
      - .offset:         128
        .size:           2
        .value_kind:     hidden_grid_dims
    .group_segment_fixed_size: 0
    .kernarg_segment_align: 8
    .kernarg_segment_size: 320
    .language:       OpenCL C
    .language_version:
      - 2
      - 0
    .max_flat_workgroup_size: 256
    .name:           _ZN7rocprim17ROCPRIM_400000_NS6detail25reduce_by_key_init_kernelINS1_19lookback_scan_stateINS0_5tupleIJjxEEELb0ELb0EEExNS1_16block_id_wrapperIjLb1EEEEEvT_jbjPmPT0_T1_
    .private_segment_fixed_size: 0
    .sgpr_count:     21
    .sgpr_spill_count: 0
    .symbol:         _ZN7rocprim17ROCPRIM_400000_NS6detail25reduce_by_key_init_kernelINS1_19lookback_scan_stateINS0_5tupleIJjxEEELb0ELb0EEExNS1_16block_id_wrapperIjLb1EEEEEvT_jbjPmPT0_T1_.kd
    .uniform_work_group_size: 1
    .uses_dynamic_stack: false
    .vgpr_count:     7
    .vgpr_spill_count: 0
    .wavefront_size: 32
    .workgroup_processor_mode: 1
  - .args:
      - .offset:         0
        .size:           136
        .value_kind:     by_value
    .group_segment_fixed_size: 0
    .kernarg_segment_align: 8
    .kernarg_segment_size: 136
    .language:       OpenCL C
    .language_version:
      - 2
      - 0
    .max_flat_workgroup_size: 256
    .name:           _ZN7rocprim17ROCPRIM_400000_NS6detail17trampoline_kernelINS0_14default_configENS1_29reduce_by_key_config_selectorIxxN6thrust23THRUST_200600_302600_NS4plusIxEEEEZZNS1_33reduce_by_key_impl_wrapped_configILNS1_25lookback_scan_determinismE0ES3_S9_NS6_6detail15normal_iteratorINS6_10device_ptrIxEEEESG_SG_SG_PmS8_NS6_8equal_toIxEEEE10hipError_tPvRmT2_T3_mT4_T5_T6_T7_T8_P12ihipStream_tbENKUlT_T0_E_clISt17integral_constantIbLb0EES10_IbLb1EEEEDaSW_SX_EUlSW_E_NS1_11comp_targetILNS1_3genE0ELNS1_11target_archE4294967295ELNS1_3gpuE0ELNS1_3repE0EEENS1_30default_config_static_selectorELNS0_4arch9wavefront6targetE0EEEvT1_
    .private_segment_fixed_size: 0
    .sgpr_count:     0
    .sgpr_spill_count: 0
    .symbol:         _ZN7rocprim17ROCPRIM_400000_NS6detail17trampoline_kernelINS0_14default_configENS1_29reduce_by_key_config_selectorIxxN6thrust23THRUST_200600_302600_NS4plusIxEEEEZZNS1_33reduce_by_key_impl_wrapped_configILNS1_25lookback_scan_determinismE0ES3_S9_NS6_6detail15normal_iteratorINS6_10device_ptrIxEEEESG_SG_SG_PmS8_NS6_8equal_toIxEEEE10hipError_tPvRmT2_T3_mT4_T5_T6_T7_T8_P12ihipStream_tbENKUlT_T0_E_clISt17integral_constantIbLb0EES10_IbLb1EEEEDaSW_SX_EUlSW_E_NS1_11comp_targetILNS1_3genE0ELNS1_11target_archE4294967295ELNS1_3gpuE0ELNS1_3repE0EEENS1_30default_config_static_selectorELNS0_4arch9wavefront6targetE0EEEvT1_.kd
    .uniform_work_group_size: 1
    .uses_dynamic_stack: false
    .vgpr_count:     0
    .vgpr_spill_count: 0
    .wavefront_size: 32
    .workgroup_processor_mode: 1
  - .args:
      - .offset:         0
        .size:           136
        .value_kind:     by_value
    .group_segment_fixed_size: 0
    .kernarg_segment_align: 8
    .kernarg_segment_size: 136
    .language:       OpenCL C
    .language_version:
      - 2
      - 0
    .max_flat_workgroup_size: 256
    .name:           _ZN7rocprim17ROCPRIM_400000_NS6detail17trampoline_kernelINS0_14default_configENS1_29reduce_by_key_config_selectorIxxN6thrust23THRUST_200600_302600_NS4plusIxEEEEZZNS1_33reduce_by_key_impl_wrapped_configILNS1_25lookback_scan_determinismE0ES3_S9_NS6_6detail15normal_iteratorINS6_10device_ptrIxEEEESG_SG_SG_PmS8_NS6_8equal_toIxEEEE10hipError_tPvRmT2_T3_mT4_T5_T6_T7_T8_P12ihipStream_tbENKUlT_T0_E_clISt17integral_constantIbLb0EES10_IbLb1EEEEDaSW_SX_EUlSW_E_NS1_11comp_targetILNS1_3genE5ELNS1_11target_archE942ELNS1_3gpuE9ELNS1_3repE0EEENS1_30default_config_static_selectorELNS0_4arch9wavefront6targetE0EEEvT1_
    .private_segment_fixed_size: 0
    .sgpr_count:     0
    .sgpr_spill_count: 0
    .symbol:         _ZN7rocprim17ROCPRIM_400000_NS6detail17trampoline_kernelINS0_14default_configENS1_29reduce_by_key_config_selectorIxxN6thrust23THRUST_200600_302600_NS4plusIxEEEEZZNS1_33reduce_by_key_impl_wrapped_configILNS1_25lookback_scan_determinismE0ES3_S9_NS6_6detail15normal_iteratorINS6_10device_ptrIxEEEESG_SG_SG_PmS8_NS6_8equal_toIxEEEE10hipError_tPvRmT2_T3_mT4_T5_T6_T7_T8_P12ihipStream_tbENKUlT_T0_E_clISt17integral_constantIbLb0EES10_IbLb1EEEEDaSW_SX_EUlSW_E_NS1_11comp_targetILNS1_3genE5ELNS1_11target_archE942ELNS1_3gpuE9ELNS1_3repE0EEENS1_30default_config_static_selectorELNS0_4arch9wavefront6targetE0EEEvT1_.kd
    .uniform_work_group_size: 1
    .uses_dynamic_stack: false
    .vgpr_count:     0
    .vgpr_spill_count: 0
    .wavefront_size: 32
    .workgroup_processor_mode: 1
  - .args:
      - .offset:         0
        .size:           136
        .value_kind:     by_value
    .group_segment_fixed_size: 0
    .kernarg_segment_align: 8
    .kernarg_segment_size: 136
    .language:       OpenCL C
    .language_version:
      - 2
      - 0
    .max_flat_workgroup_size: 256
    .name:           _ZN7rocprim17ROCPRIM_400000_NS6detail17trampoline_kernelINS0_14default_configENS1_29reduce_by_key_config_selectorIxxN6thrust23THRUST_200600_302600_NS4plusIxEEEEZZNS1_33reduce_by_key_impl_wrapped_configILNS1_25lookback_scan_determinismE0ES3_S9_NS6_6detail15normal_iteratorINS6_10device_ptrIxEEEESG_SG_SG_PmS8_NS6_8equal_toIxEEEE10hipError_tPvRmT2_T3_mT4_T5_T6_T7_T8_P12ihipStream_tbENKUlT_T0_E_clISt17integral_constantIbLb0EES10_IbLb1EEEEDaSW_SX_EUlSW_E_NS1_11comp_targetILNS1_3genE4ELNS1_11target_archE910ELNS1_3gpuE8ELNS1_3repE0EEENS1_30default_config_static_selectorELNS0_4arch9wavefront6targetE0EEEvT1_
    .private_segment_fixed_size: 0
    .sgpr_count:     0
    .sgpr_spill_count: 0
    .symbol:         _ZN7rocprim17ROCPRIM_400000_NS6detail17trampoline_kernelINS0_14default_configENS1_29reduce_by_key_config_selectorIxxN6thrust23THRUST_200600_302600_NS4plusIxEEEEZZNS1_33reduce_by_key_impl_wrapped_configILNS1_25lookback_scan_determinismE0ES3_S9_NS6_6detail15normal_iteratorINS6_10device_ptrIxEEEESG_SG_SG_PmS8_NS6_8equal_toIxEEEE10hipError_tPvRmT2_T3_mT4_T5_T6_T7_T8_P12ihipStream_tbENKUlT_T0_E_clISt17integral_constantIbLb0EES10_IbLb1EEEEDaSW_SX_EUlSW_E_NS1_11comp_targetILNS1_3genE4ELNS1_11target_archE910ELNS1_3gpuE8ELNS1_3repE0EEENS1_30default_config_static_selectorELNS0_4arch9wavefront6targetE0EEEvT1_.kd
    .uniform_work_group_size: 1
    .uses_dynamic_stack: false
    .vgpr_count:     0
    .vgpr_spill_count: 0
    .wavefront_size: 32
    .workgroup_processor_mode: 1
  - .args:
      - .offset:         0
        .size:           136
        .value_kind:     by_value
    .group_segment_fixed_size: 0
    .kernarg_segment_align: 8
    .kernarg_segment_size: 136
    .language:       OpenCL C
    .language_version:
      - 2
      - 0
    .max_flat_workgroup_size: 256
    .name:           _ZN7rocprim17ROCPRIM_400000_NS6detail17trampoline_kernelINS0_14default_configENS1_29reduce_by_key_config_selectorIxxN6thrust23THRUST_200600_302600_NS4plusIxEEEEZZNS1_33reduce_by_key_impl_wrapped_configILNS1_25lookback_scan_determinismE0ES3_S9_NS6_6detail15normal_iteratorINS6_10device_ptrIxEEEESG_SG_SG_PmS8_NS6_8equal_toIxEEEE10hipError_tPvRmT2_T3_mT4_T5_T6_T7_T8_P12ihipStream_tbENKUlT_T0_E_clISt17integral_constantIbLb0EES10_IbLb1EEEEDaSW_SX_EUlSW_E_NS1_11comp_targetILNS1_3genE3ELNS1_11target_archE908ELNS1_3gpuE7ELNS1_3repE0EEENS1_30default_config_static_selectorELNS0_4arch9wavefront6targetE0EEEvT1_
    .private_segment_fixed_size: 0
    .sgpr_count:     0
    .sgpr_spill_count: 0
    .symbol:         _ZN7rocprim17ROCPRIM_400000_NS6detail17trampoline_kernelINS0_14default_configENS1_29reduce_by_key_config_selectorIxxN6thrust23THRUST_200600_302600_NS4plusIxEEEEZZNS1_33reduce_by_key_impl_wrapped_configILNS1_25lookback_scan_determinismE0ES3_S9_NS6_6detail15normal_iteratorINS6_10device_ptrIxEEEESG_SG_SG_PmS8_NS6_8equal_toIxEEEE10hipError_tPvRmT2_T3_mT4_T5_T6_T7_T8_P12ihipStream_tbENKUlT_T0_E_clISt17integral_constantIbLb0EES10_IbLb1EEEEDaSW_SX_EUlSW_E_NS1_11comp_targetILNS1_3genE3ELNS1_11target_archE908ELNS1_3gpuE7ELNS1_3repE0EEENS1_30default_config_static_selectorELNS0_4arch9wavefront6targetE0EEEvT1_.kd
    .uniform_work_group_size: 1
    .uses_dynamic_stack: false
    .vgpr_count:     0
    .vgpr_spill_count: 0
    .wavefront_size: 32
    .workgroup_processor_mode: 1
  - .args:
      - .offset:         0
        .size:           136
        .value_kind:     by_value
    .group_segment_fixed_size: 0
    .kernarg_segment_align: 8
    .kernarg_segment_size: 136
    .language:       OpenCL C
    .language_version:
      - 2
      - 0
    .max_flat_workgroup_size: 256
    .name:           _ZN7rocprim17ROCPRIM_400000_NS6detail17trampoline_kernelINS0_14default_configENS1_29reduce_by_key_config_selectorIxxN6thrust23THRUST_200600_302600_NS4plusIxEEEEZZNS1_33reduce_by_key_impl_wrapped_configILNS1_25lookback_scan_determinismE0ES3_S9_NS6_6detail15normal_iteratorINS6_10device_ptrIxEEEESG_SG_SG_PmS8_NS6_8equal_toIxEEEE10hipError_tPvRmT2_T3_mT4_T5_T6_T7_T8_P12ihipStream_tbENKUlT_T0_E_clISt17integral_constantIbLb0EES10_IbLb1EEEEDaSW_SX_EUlSW_E_NS1_11comp_targetILNS1_3genE2ELNS1_11target_archE906ELNS1_3gpuE6ELNS1_3repE0EEENS1_30default_config_static_selectorELNS0_4arch9wavefront6targetE0EEEvT1_
    .private_segment_fixed_size: 0
    .sgpr_count:     0
    .sgpr_spill_count: 0
    .symbol:         _ZN7rocprim17ROCPRIM_400000_NS6detail17trampoline_kernelINS0_14default_configENS1_29reduce_by_key_config_selectorIxxN6thrust23THRUST_200600_302600_NS4plusIxEEEEZZNS1_33reduce_by_key_impl_wrapped_configILNS1_25lookback_scan_determinismE0ES3_S9_NS6_6detail15normal_iteratorINS6_10device_ptrIxEEEESG_SG_SG_PmS8_NS6_8equal_toIxEEEE10hipError_tPvRmT2_T3_mT4_T5_T6_T7_T8_P12ihipStream_tbENKUlT_T0_E_clISt17integral_constantIbLb0EES10_IbLb1EEEEDaSW_SX_EUlSW_E_NS1_11comp_targetILNS1_3genE2ELNS1_11target_archE906ELNS1_3gpuE6ELNS1_3repE0EEENS1_30default_config_static_selectorELNS0_4arch9wavefront6targetE0EEEvT1_.kd
    .uniform_work_group_size: 1
    .uses_dynamic_stack: false
    .vgpr_count:     0
    .vgpr_spill_count: 0
    .wavefront_size: 32
    .workgroup_processor_mode: 1
  - .args:
      - .offset:         0
        .size:           136
        .value_kind:     by_value
    .group_segment_fixed_size: 0
    .kernarg_segment_align: 8
    .kernarg_segment_size: 136
    .language:       OpenCL C
    .language_version:
      - 2
      - 0
    .max_flat_workgroup_size: 256
    .name:           _ZN7rocprim17ROCPRIM_400000_NS6detail17trampoline_kernelINS0_14default_configENS1_29reduce_by_key_config_selectorIxxN6thrust23THRUST_200600_302600_NS4plusIxEEEEZZNS1_33reduce_by_key_impl_wrapped_configILNS1_25lookback_scan_determinismE0ES3_S9_NS6_6detail15normal_iteratorINS6_10device_ptrIxEEEESG_SG_SG_PmS8_NS6_8equal_toIxEEEE10hipError_tPvRmT2_T3_mT4_T5_T6_T7_T8_P12ihipStream_tbENKUlT_T0_E_clISt17integral_constantIbLb0EES10_IbLb1EEEEDaSW_SX_EUlSW_E_NS1_11comp_targetILNS1_3genE10ELNS1_11target_archE1201ELNS1_3gpuE5ELNS1_3repE0EEENS1_30default_config_static_selectorELNS0_4arch9wavefront6targetE0EEEvT1_
    .private_segment_fixed_size: 0
    .sgpr_count:     0
    .sgpr_spill_count: 0
    .symbol:         _ZN7rocprim17ROCPRIM_400000_NS6detail17trampoline_kernelINS0_14default_configENS1_29reduce_by_key_config_selectorIxxN6thrust23THRUST_200600_302600_NS4plusIxEEEEZZNS1_33reduce_by_key_impl_wrapped_configILNS1_25lookback_scan_determinismE0ES3_S9_NS6_6detail15normal_iteratorINS6_10device_ptrIxEEEESG_SG_SG_PmS8_NS6_8equal_toIxEEEE10hipError_tPvRmT2_T3_mT4_T5_T6_T7_T8_P12ihipStream_tbENKUlT_T0_E_clISt17integral_constantIbLb0EES10_IbLb1EEEEDaSW_SX_EUlSW_E_NS1_11comp_targetILNS1_3genE10ELNS1_11target_archE1201ELNS1_3gpuE5ELNS1_3repE0EEENS1_30default_config_static_selectorELNS0_4arch9wavefront6targetE0EEEvT1_.kd
    .uniform_work_group_size: 1
    .uses_dynamic_stack: false
    .vgpr_count:     0
    .vgpr_spill_count: 0
    .wavefront_size: 32
    .workgroup_processor_mode: 1
  - .args:
      - .offset:         0
        .size:           136
        .value_kind:     by_value
    .group_segment_fixed_size: 0
    .kernarg_segment_align: 8
    .kernarg_segment_size: 136
    .language:       OpenCL C
    .language_version:
      - 2
      - 0
    .max_flat_workgroup_size: 256
    .name:           _ZN7rocprim17ROCPRIM_400000_NS6detail17trampoline_kernelINS0_14default_configENS1_29reduce_by_key_config_selectorIxxN6thrust23THRUST_200600_302600_NS4plusIxEEEEZZNS1_33reduce_by_key_impl_wrapped_configILNS1_25lookback_scan_determinismE0ES3_S9_NS6_6detail15normal_iteratorINS6_10device_ptrIxEEEESG_SG_SG_PmS8_NS6_8equal_toIxEEEE10hipError_tPvRmT2_T3_mT4_T5_T6_T7_T8_P12ihipStream_tbENKUlT_T0_E_clISt17integral_constantIbLb0EES10_IbLb1EEEEDaSW_SX_EUlSW_E_NS1_11comp_targetILNS1_3genE10ELNS1_11target_archE1200ELNS1_3gpuE4ELNS1_3repE0EEENS1_30default_config_static_selectorELNS0_4arch9wavefront6targetE0EEEvT1_
    .private_segment_fixed_size: 0
    .sgpr_count:     0
    .sgpr_spill_count: 0
    .symbol:         _ZN7rocprim17ROCPRIM_400000_NS6detail17trampoline_kernelINS0_14default_configENS1_29reduce_by_key_config_selectorIxxN6thrust23THRUST_200600_302600_NS4plusIxEEEEZZNS1_33reduce_by_key_impl_wrapped_configILNS1_25lookback_scan_determinismE0ES3_S9_NS6_6detail15normal_iteratorINS6_10device_ptrIxEEEESG_SG_SG_PmS8_NS6_8equal_toIxEEEE10hipError_tPvRmT2_T3_mT4_T5_T6_T7_T8_P12ihipStream_tbENKUlT_T0_E_clISt17integral_constantIbLb0EES10_IbLb1EEEEDaSW_SX_EUlSW_E_NS1_11comp_targetILNS1_3genE10ELNS1_11target_archE1200ELNS1_3gpuE4ELNS1_3repE0EEENS1_30default_config_static_selectorELNS0_4arch9wavefront6targetE0EEEvT1_.kd
    .uniform_work_group_size: 1
    .uses_dynamic_stack: false
    .vgpr_count:     0
    .vgpr_spill_count: 0
    .wavefront_size: 32
    .workgroup_processor_mode: 1
  - .args:
      - .offset:         0
        .size:           136
        .value_kind:     by_value
    .group_segment_fixed_size: 30720
    .kernarg_segment_align: 8
    .kernarg_segment_size: 136
    .language:       OpenCL C
    .language_version:
      - 2
      - 0
    .max_flat_workgroup_size: 256
    .name:           _ZN7rocprim17ROCPRIM_400000_NS6detail17trampoline_kernelINS0_14default_configENS1_29reduce_by_key_config_selectorIxxN6thrust23THRUST_200600_302600_NS4plusIxEEEEZZNS1_33reduce_by_key_impl_wrapped_configILNS1_25lookback_scan_determinismE0ES3_S9_NS6_6detail15normal_iteratorINS6_10device_ptrIxEEEESG_SG_SG_PmS8_NS6_8equal_toIxEEEE10hipError_tPvRmT2_T3_mT4_T5_T6_T7_T8_P12ihipStream_tbENKUlT_T0_E_clISt17integral_constantIbLb0EES10_IbLb1EEEEDaSW_SX_EUlSW_E_NS1_11comp_targetILNS1_3genE9ELNS1_11target_archE1100ELNS1_3gpuE3ELNS1_3repE0EEENS1_30default_config_static_selectorELNS0_4arch9wavefront6targetE0EEEvT1_
    .private_segment_fixed_size: 0
    .sgpr_count:     54
    .sgpr_spill_count: 0
    .symbol:         _ZN7rocprim17ROCPRIM_400000_NS6detail17trampoline_kernelINS0_14default_configENS1_29reduce_by_key_config_selectorIxxN6thrust23THRUST_200600_302600_NS4plusIxEEEEZZNS1_33reduce_by_key_impl_wrapped_configILNS1_25lookback_scan_determinismE0ES3_S9_NS6_6detail15normal_iteratorINS6_10device_ptrIxEEEESG_SG_SG_PmS8_NS6_8equal_toIxEEEE10hipError_tPvRmT2_T3_mT4_T5_T6_T7_T8_P12ihipStream_tbENKUlT_T0_E_clISt17integral_constantIbLb0EES10_IbLb1EEEEDaSW_SX_EUlSW_E_NS1_11comp_targetILNS1_3genE9ELNS1_11target_archE1100ELNS1_3gpuE3ELNS1_3repE0EEENS1_30default_config_static_selectorELNS0_4arch9wavefront6targetE0EEEvT1_.kd
    .uniform_work_group_size: 1
    .uses_dynamic_stack: false
    .vgpr_count:     121
    .vgpr_spill_count: 0
    .wavefront_size: 32
    .workgroup_processor_mode: 1
  - .args:
      - .offset:         0
        .size:           136
        .value_kind:     by_value
    .group_segment_fixed_size: 0
    .kernarg_segment_align: 8
    .kernarg_segment_size: 136
    .language:       OpenCL C
    .language_version:
      - 2
      - 0
    .max_flat_workgroup_size: 256
    .name:           _ZN7rocprim17ROCPRIM_400000_NS6detail17trampoline_kernelINS0_14default_configENS1_29reduce_by_key_config_selectorIxxN6thrust23THRUST_200600_302600_NS4plusIxEEEEZZNS1_33reduce_by_key_impl_wrapped_configILNS1_25lookback_scan_determinismE0ES3_S9_NS6_6detail15normal_iteratorINS6_10device_ptrIxEEEESG_SG_SG_PmS8_NS6_8equal_toIxEEEE10hipError_tPvRmT2_T3_mT4_T5_T6_T7_T8_P12ihipStream_tbENKUlT_T0_E_clISt17integral_constantIbLb0EES10_IbLb1EEEEDaSW_SX_EUlSW_E_NS1_11comp_targetILNS1_3genE8ELNS1_11target_archE1030ELNS1_3gpuE2ELNS1_3repE0EEENS1_30default_config_static_selectorELNS0_4arch9wavefront6targetE0EEEvT1_
    .private_segment_fixed_size: 0
    .sgpr_count:     0
    .sgpr_spill_count: 0
    .symbol:         _ZN7rocprim17ROCPRIM_400000_NS6detail17trampoline_kernelINS0_14default_configENS1_29reduce_by_key_config_selectorIxxN6thrust23THRUST_200600_302600_NS4plusIxEEEEZZNS1_33reduce_by_key_impl_wrapped_configILNS1_25lookback_scan_determinismE0ES3_S9_NS6_6detail15normal_iteratorINS6_10device_ptrIxEEEESG_SG_SG_PmS8_NS6_8equal_toIxEEEE10hipError_tPvRmT2_T3_mT4_T5_T6_T7_T8_P12ihipStream_tbENKUlT_T0_E_clISt17integral_constantIbLb0EES10_IbLb1EEEEDaSW_SX_EUlSW_E_NS1_11comp_targetILNS1_3genE8ELNS1_11target_archE1030ELNS1_3gpuE2ELNS1_3repE0EEENS1_30default_config_static_selectorELNS0_4arch9wavefront6targetE0EEEvT1_.kd
    .uniform_work_group_size: 1
    .uses_dynamic_stack: false
    .vgpr_count:     0
    .vgpr_spill_count: 0
    .wavefront_size: 32
    .workgroup_processor_mode: 1
  - .args:
      - .offset:         0
        .size:           136
        .value_kind:     by_value
    .group_segment_fixed_size: 0
    .kernarg_segment_align: 8
    .kernarg_segment_size: 136
    .language:       OpenCL C
    .language_version:
      - 2
      - 0
    .max_flat_workgroup_size: 256
    .name:           _ZN7rocprim17ROCPRIM_400000_NS6detail17trampoline_kernelINS0_14default_configENS1_29reduce_by_key_config_selectorIxxN6thrust23THRUST_200600_302600_NS4plusIxEEEEZZNS1_33reduce_by_key_impl_wrapped_configILNS1_25lookback_scan_determinismE0ES3_S9_NS6_6detail15normal_iteratorINS6_10device_ptrIxEEEESG_SG_SG_PmS8_22is_equal_div_10_reduceIxEEE10hipError_tPvRmT2_T3_mT4_T5_T6_T7_T8_P12ihipStream_tbENKUlT_T0_E_clISt17integral_constantIbLb0EES11_EEDaSW_SX_EUlSW_E_NS1_11comp_targetILNS1_3genE0ELNS1_11target_archE4294967295ELNS1_3gpuE0ELNS1_3repE0EEENS1_30default_config_static_selectorELNS0_4arch9wavefront6targetE0EEEvT1_
    .private_segment_fixed_size: 0
    .sgpr_count:     0
    .sgpr_spill_count: 0
    .symbol:         _ZN7rocprim17ROCPRIM_400000_NS6detail17trampoline_kernelINS0_14default_configENS1_29reduce_by_key_config_selectorIxxN6thrust23THRUST_200600_302600_NS4plusIxEEEEZZNS1_33reduce_by_key_impl_wrapped_configILNS1_25lookback_scan_determinismE0ES3_S9_NS6_6detail15normal_iteratorINS6_10device_ptrIxEEEESG_SG_SG_PmS8_22is_equal_div_10_reduceIxEEE10hipError_tPvRmT2_T3_mT4_T5_T6_T7_T8_P12ihipStream_tbENKUlT_T0_E_clISt17integral_constantIbLb0EES11_EEDaSW_SX_EUlSW_E_NS1_11comp_targetILNS1_3genE0ELNS1_11target_archE4294967295ELNS1_3gpuE0ELNS1_3repE0EEENS1_30default_config_static_selectorELNS0_4arch9wavefront6targetE0EEEvT1_.kd
    .uniform_work_group_size: 1
    .uses_dynamic_stack: false
    .vgpr_count:     0
    .vgpr_spill_count: 0
    .wavefront_size: 32
    .workgroup_processor_mode: 1
  - .args:
      - .offset:         0
        .size:           136
        .value_kind:     by_value
    .group_segment_fixed_size: 0
    .kernarg_segment_align: 8
    .kernarg_segment_size: 136
    .language:       OpenCL C
    .language_version:
      - 2
      - 0
    .max_flat_workgroup_size: 256
    .name:           _ZN7rocprim17ROCPRIM_400000_NS6detail17trampoline_kernelINS0_14default_configENS1_29reduce_by_key_config_selectorIxxN6thrust23THRUST_200600_302600_NS4plusIxEEEEZZNS1_33reduce_by_key_impl_wrapped_configILNS1_25lookback_scan_determinismE0ES3_S9_NS6_6detail15normal_iteratorINS6_10device_ptrIxEEEESG_SG_SG_PmS8_22is_equal_div_10_reduceIxEEE10hipError_tPvRmT2_T3_mT4_T5_T6_T7_T8_P12ihipStream_tbENKUlT_T0_E_clISt17integral_constantIbLb0EES11_EEDaSW_SX_EUlSW_E_NS1_11comp_targetILNS1_3genE5ELNS1_11target_archE942ELNS1_3gpuE9ELNS1_3repE0EEENS1_30default_config_static_selectorELNS0_4arch9wavefront6targetE0EEEvT1_
    .private_segment_fixed_size: 0
    .sgpr_count:     0
    .sgpr_spill_count: 0
    .symbol:         _ZN7rocprim17ROCPRIM_400000_NS6detail17trampoline_kernelINS0_14default_configENS1_29reduce_by_key_config_selectorIxxN6thrust23THRUST_200600_302600_NS4plusIxEEEEZZNS1_33reduce_by_key_impl_wrapped_configILNS1_25lookback_scan_determinismE0ES3_S9_NS6_6detail15normal_iteratorINS6_10device_ptrIxEEEESG_SG_SG_PmS8_22is_equal_div_10_reduceIxEEE10hipError_tPvRmT2_T3_mT4_T5_T6_T7_T8_P12ihipStream_tbENKUlT_T0_E_clISt17integral_constantIbLb0EES11_EEDaSW_SX_EUlSW_E_NS1_11comp_targetILNS1_3genE5ELNS1_11target_archE942ELNS1_3gpuE9ELNS1_3repE0EEENS1_30default_config_static_selectorELNS0_4arch9wavefront6targetE0EEEvT1_.kd
    .uniform_work_group_size: 1
    .uses_dynamic_stack: false
    .vgpr_count:     0
    .vgpr_spill_count: 0
    .wavefront_size: 32
    .workgroup_processor_mode: 1
  - .args:
      - .offset:         0
        .size:           136
        .value_kind:     by_value
    .group_segment_fixed_size: 0
    .kernarg_segment_align: 8
    .kernarg_segment_size: 136
    .language:       OpenCL C
    .language_version:
      - 2
      - 0
    .max_flat_workgroup_size: 256
    .name:           _ZN7rocprim17ROCPRIM_400000_NS6detail17trampoline_kernelINS0_14default_configENS1_29reduce_by_key_config_selectorIxxN6thrust23THRUST_200600_302600_NS4plusIxEEEEZZNS1_33reduce_by_key_impl_wrapped_configILNS1_25lookback_scan_determinismE0ES3_S9_NS6_6detail15normal_iteratorINS6_10device_ptrIxEEEESG_SG_SG_PmS8_22is_equal_div_10_reduceIxEEE10hipError_tPvRmT2_T3_mT4_T5_T6_T7_T8_P12ihipStream_tbENKUlT_T0_E_clISt17integral_constantIbLb0EES11_EEDaSW_SX_EUlSW_E_NS1_11comp_targetILNS1_3genE4ELNS1_11target_archE910ELNS1_3gpuE8ELNS1_3repE0EEENS1_30default_config_static_selectorELNS0_4arch9wavefront6targetE0EEEvT1_
    .private_segment_fixed_size: 0
    .sgpr_count:     0
    .sgpr_spill_count: 0
    .symbol:         _ZN7rocprim17ROCPRIM_400000_NS6detail17trampoline_kernelINS0_14default_configENS1_29reduce_by_key_config_selectorIxxN6thrust23THRUST_200600_302600_NS4plusIxEEEEZZNS1_33reduce_by_key_impl_wrapped_configILNS1_25lookback_scan_determinismE0ES3_S9_NS6_6detail15normal_iteratorINS6_10device_ptrIxEEEESG_SG_SG_PmS8_22is_equal_div_10_reduceIxEEE10hipError_tPvRmT2_T3_mT4_T5_T6_T7_T8_P12ihipStream_tbENKUlT_T0_E_clISt17integral_constantIbLb0EES11_EEDaSW_SX_EUlSW_E_NS1_11comp_targetILNS1_3genE4ELNS1_11target_archE910ELNS1_3gpuE8ELNS1_3repE0EEENS1_30default_config_static_selectorELNS0_4arch9wavefront6targetE0EEEvT1_.kd
    .uniform_work_group_size: 1
    .uses_dynamic_stack: false
    .vgpr_count:     0
    .vgpr_spill_count: 0
    .wavefront_size: 32
    .workgroup_processor_mode: 1
  - .args:
      - .offset:         0
        .size:           136
        .value_kind:     by_value
    .group_segment_fixed_size: 0
    .kernarg_segment_align: 8
    .kernarg_segment_size: 136
    .language:       OpenCL C
    .language_version:
      - 2
      - 0
    .max_flat_workgroup_size: 256
    .name:           _ZN7rocprim17ROCPRIM_400000_NS6detail17trampoline_kernelINS0_14default_configENS1_29reduce_by_key_config_selectorIxxN6thrust23THRUST_200600_302600_NS4plusIxEEEEZZNS1_33reduce_by_key_impl_wrapped_configILNS1_25lookback_scan_determinismE0ES3_S9_NS6_6detail15normal_iteratorINS6_10device_ptrIxEEEESG_SG_SG_PmS8_22is_equal_div_10_reduceIxEEE10hipError_tPvRmT2_T3_mT4_T5_T6_T7_T8_P12ihipStream_tbENKUlT_T0_E_clISt17integral_constantIbLb0EES11_EEDaSW_SX_EUlSW_E_NS1_11comp_targetILNS1_3genE3ELNS1_11target_archE908ELNS1_3gpuE7ELNS1_3repE0EEENS1_30default_config_static_selectorELNS0_4arch9wavefront6targetE0EEEvT1_
    .private_segment_fixed_size: 0
    .sgpr_count:     0
    .sgpr_spill_count: 0
    .symbol:         _ZN7rocprim17ROCPRIM_400000_NS6detail17trampoline_kernelINS0_14default_configENS1_29reduce_by_key_config_selectorIxxN6thrust23THRUST_200600_302600_NS4plusIxEEEEZZNS1_33reduce_by_key_impl_wrapped_configILNS1_25lookback_scan_determinismE0ES3_S9_NS6_6detail15normal_iteratorINS6_10device_ptrIxEEEESG_SG_SG_PmS8_22is_equal_div_10_reduceIxEEE10hipError_tPvRmT2_T3_mT4_T5_T6_T7_T8_P12ihipStream_tbENKUlT_T0_E_clISt17integral_constantIbLb0EES11_EEDaSW_SX_EUlSW_E_NS1_11comp_targetILNS1_3genE3ELNS1_11target_archE908ELNS1_3gpuE7ELNS1_3repE0EEENS1_30default_config_static_selectorELNS0_4arch9wavefront6targetE0EEEvT1_.kd
    .uniform_work_group_size: 1
    .uses_dynamic_stack: false
    .vgpr_count:     0
    .vgpr_spill_count: 0
    .wavefront_size: 32
    .workgroup_processor_mode: 1
  - .args:
      - .offset:         0
        .size:           136
        .value_kind:     by_value
    .group_segment_fixed_size: 0
    .kernarg_segment_align: 8
    .kernarg_segment_size: 136
    .language:       OpenCL C
    .language_version:
      - 2
      - 0
    .max_flat_workgroup_size: 256
    .name:           _ZN7rocprim17ROCPRIM_400000_NS6detail17trampoline_kernelINS0_14default_configENS1_29reduce_by_key_config_selectorIxxN6thrust23THRUST_200600_302600_NS4plusIxEEEEZZNS1_33reduce_by_key_impl_wrapped_configILNS1_25lookback_scan_determinismE0ES3_S9_NS6_6detail15normal_iteratorINS6_10device_ptrIxEEEESG_SG_SG_PmS8_22is_equal_div_10_reduceIxEEE10hipError_tPvRmT2_T3_mT4_T5_T6_T7_T8_P12ihipStream_tbENKUlT_T0_E_clISt17integral_constantIbLb0EES11_EEDaSW_SX_EUlSW_E_NS1_11comp_targetILNS1_3genE2ELNS1_11target_archE906ELNS1_3gpuE6ELNS1_3repE0EEENS1_30default_config_static_selectorELNS0_4arch9wavefront6targetE0EEEvT1_
    .private_segment_fixed_size: 0
    .sgpr_count:     0
    .sgpr_spill_count: 0
    .symbol:         _ZN7rocprim17ROCPRIM_400000_NS6detail17trampoline_kernelINS0_14default_configENS1_29reduce_by_key_config_selectorIxxN6thrust23THRUST_200600_302600_NS4plusIxEEEEZZNS1_33reduce_by_key_impl_wrapped_configILNS1_25lookback_scan_determinismE0ES3_S9_NS6_6detail15normal_iteratorINS6_10device_ptrIxEEEESG_SG_SG_PmS8_22is_equal_div_10_reduceIxEEE10hipError_tPvRmT2_T3_mT4_T5_T6_T7_T8_P12ihipStream_tbENKUlT_T0_E_clISt17integral_constantIbLb0EES11_EEDaSW_SX_EUlSW_E_NS1_11comp_targetILNS1_3genE2ELNS1_11target_archE906ELNS1_3gpuE6ELNS1_3repE0EEENS1_30default_config_static_selectorELNS0_4arch9wavefront6targetE0EEEvT1_.kd
    .uniform_work_group_size: 1
    .uses_dynamic_stack: false
    .vgpr_count:     0
    .vgpr_spill_count: 0
    .wavefront_size: 32
    .workgroup_processor_mode: 1
  - .args:
      - .offset:         0
        .size:           136
        .value_kind:     by_value
    .group_segment_fixed_size: 0
    .kernarg_segment_align: 8
    .kernarg_segment_size: 136
    .language:       OpenCL C
    .language_version:
      - 2
      - 0
    .max_flat_workgroup_size: 256
    .name:           _ZN7rocprim17ROCPRIM_400000_NS6detail17trampoline_kernelINS0_14default_configENS1_29reduce_by_key_config_selectorIxxN6thrust23THRUST_200600_302600_NS4plusIxEEEEZZNS1_33reduce_by_key_impl_wrapped_configILNS1_25lookback_scan_determinismE0ES3_S9_NS6_6detail15normal_iteratorINS6_10device_ptrIxEEEESG_SG_SG_PmS8_22is_equal_div_10_reduceIxEEE10hipError_tPvRmT2_T3_mT4_T5_T6_T7_T8_P12ihipStream_tbENKUlT_T0_E_clISt17integral_constantIbLb0EES11_EEDaSW_SX_EUlSW_E_NS1_11comp_targetILNS1_3genE10ELNS1_11target_archE1201ELNS1_3gpuE5ELNS1_3repE0EEENS1_30default_config_static_selectorELNS0_4arch9wavefront6targetE0EEEvT1_
    .private_segment_fixed_size: 0
    .sgpr_count:     0
    .sgpr_spill_count: 0
    .symbol:         _ZN7rocprim17ROCPRIM_400000_NS6detail17trampoline_kernelINS0_14default_configENS1_29reduce_by_key_config_selectorIxxN6thrust23THRUST_200600_302600_NS4plusIxEEEEZZNS1_33reduce_by_key_impl_wrapped_configILNS1_25lookback_scan_determinismE0ES3_S9_NS6_6detail15normal_iteratorINS6_10device_ptrIxEEEESG_SG_SG_PmS8_22is_equal_div_10_reduceIxEEE10hipError_tPvRmT2_T3_mT4_T5_T6_T7_T8_P12ihipStream_tbENKUlT_T0_E_clISt17integral_constantIbLb0EES11_EEDaSW_SX_EUlSW_E_NS1_11comp_targetILNS1_3genE10ELNS1_11target_archE1201ELNS1_3gpuE5ELNS1_3repE0EEENS1_30default_config_static_selectorELNS0_4arch9wavefront6targetE0EEEvT1_.kd
    .uniform_work_group_size: 1
    .uses_dynamic_stack: false
    .vgpr_count:     0
    .vgpr_spill_count: 0
    .wavefront_size: 32
    .workgroup_processor_mode: 1
  - .args:
      - .offset:         0
        .size:           136
        .value_kind:     by_value
    .group_segment_fixed_size: 0
    .kernarg_segment_align: 8
    .kernarg_segment_size: 136
    .language:       OpenCL C
    .language_version:
      - 2
      - 0
    .max_flat_workgroup_size: 256
    .name:           _ZN7rocprim17ROCPRIM_400000_NS6detail17trampoline_kernelINS0_14default_configENS1_29reduce_by_key_config_selectorIxxN6thrust23THRUST_200600_302600_NS4plusIxEEEEZZNS1_33reduce_by_key_impl_wrapped_configILNS1_25lookback_scan_determinismE0ES3_S9_NS6_6detail15normal_iteratorINS6_10device_ptrIxEEEESG_SG_SG_PmS8_22is_equal_div_10_reduceIxEEE10hipError_tPvRmT2_T3_mT4_T5_T6_T7_T8_P12ihipStream_tbENKUlT_T0_E_clISt17integral_constantIbLb0EES11_EEDaSW_SX_EUlSW_E_NS1_11comp_targetILNS1_3genE10ELNS1_11target_archE1200ELNS1_3gpuE4ELNS1_3repE0EEENS1_30default_config_static_selectorELNS0_4arch9wavefront6targetE0EEEvT1_
    .private_segment_fixed_size: 0
    .sgpr_count:     0
    .sgpr_spill_count: 0
    .symbol:         _ZN7rocprim17ROCPRIM_400000_NS6detail17trampoline_kernelINS0_14default_configENS1_29reduce_by_key_config_selectorIxxN6thrust23THRUST_200600_302600_NS4plusIxEEEEZZNS1_33reduce_by_key_impl_wrapped_configILNS1_25lookback_scan_determinismE0ES3_S9_NS6_6detail15normal_iteratorINS6_10device_ptrIxEEEESG_SG_SG_PmS8_22is_equal_div_10_reduceIxEEE10hipError_tPvRmT2_T3_mT4_T5_T6_T7_T8_P12ihipStream_tbENKUlT_T0_E_clISt17integral_constantIbLb0EES11_EEDaSW_SX_EUlSW_E_NS1_11comp_targetILNS1_3genE10ELNS1_11target_archE1200ELNS1_3gpuE4ELNS1_3repE0EEENS1_30default_config_static_selectorELNS0_4arch9wavefront6targetE0EEEvT1_.kd
    .uniform_work_group_size: 1
    .uses_dynamic_stack: false
    .vgpr_count:     0
    .vgpr_spill_count: 0
    .wavefront_size: 32
    .workgroup_processor_mode: 1
  - .args:
      - .offset:         0
        .size:           136
        .value_kind:     by_value
    .group_segment_fixed_size: 30720
    .kernarg_segment_align: 8
    .kernarg_segment_size: 136
    .language:       OpenCL C
    .language_version:
      - 2
      - 0
    .max_flat_workgroup_size: 256
    .name:           _ZN7rocprim17ROCPRIM_400000_NS6detail17trampoline_kernelINS0_14default_configENS1_29reduce_by_key_config_selectorIxxN6thrust23THRUST_200600_302600_NS4plusIxEEEEZZNS1_33reduce_by_key_impl_wrapped_configILNS1_25lookback_scan_determinismE0ES3_S9_NS6_6detail15normal_iteratorINS6_10device_ptrIxEEEESG_SG_SG_PmS8_22is_equal_div_10_reduceIxEEE10hipError_tPvRmT2_T3_mT4_T5_T6_T7_T8_P12ihipStream_tbENKUlT_T0_E_clISt17integral_constantIbLb0EES11_EEDaSW_SX_EUlSW_E_NS1_11comp_targetILNS1_3genE9ELNS1_11target_archE1100ELNS1_3gpuE3ELNS1_3repE0EEENS1_30default_config_static_selectorELNS0_4arch9wavefront6targetE0EEEvT1_
    .private_segment_fixed_size: 0
    .sgpr_count:     50
    .sgpr_spill_count: 0
    .symbol:         _ZN7rocprim17ROCPRIM_400000_NS6detail17trampoline_kernelINS0_14default_configENS1_29reduce_by_key_config_selectorIxxN6thrust23THRUST_200600_302600_NS4plusIxEEEEZZNS1_33reduce_by_key_impl_wrapped_configILNS1_25lookback_scan_determinismE0ES3_S9_NS6_6detail15normal_iteratorINS6_10device_ptrIxEEEESG_SG_SG_PmS8_22is_equal_div_10_reduceIxEEE10hipError_tPvRmT2_T3_mT4_T5_T6_T7_T8_P12ihipStream_tbENKUlT_T0_E_clISt17integral_constantIbLb0EES11_EEDaSW_SX_EUlSW_E_NS1_11comp_targetILNS1_3genE9ELNS1_11target_archE1100ELNS1_3gpuE3ELNS1_3repE0EEENS1_30default_config_static_selectorELNS0_4arch9wavefront6targetE0EEEvT1_.kd
    .uniform_work_group_size: 1
    .uses_dynamic_stack: false
    .vgpr_count:     120
    .vgpr_spill_count: 0
    .wavefront_size: 32
    .workgroup_processor_mode: 1
  - .args:
      - .offset:         0
        .size:           136
        .value_kind:     by_value
    .group_segment_fixed_size: 0
    .kernarg_segment_align: 8
    .kernarg_segment_size: 136
    .language:       OpenCL C
    .language_version:
      - 2
      - 0
    .max_flat_workgroup_size: 256
    .name:           _ZN7rocprim17ROCPRIM_400000_NS6detail17trampoline_kernelINS0_14default_configENS1_29reduce_by_key_config_selectorIxxN6thrust23THRUST_200600_302600_NS4plusIxEEEEZZNS1_33reduce_by_key_impl_wrapped_configILNS1_25lookback_scan_determinismE0ES3_S9_NS6_6detail15normal_iteratorINS6_10device_ptrIxEEEESG_SG_SG_PmS8_22is_equal_div_10_reduceIxEEE10hipError_tPvRmT2_T3_mT4_T5_T6_T7_T8_P12ihipStream_tbENKUlT_T0_E_clISt17integral_constantIbLb0EES11_EEDaSW_SX_EUlSW_E_NS1_11comp_targetILNS1_3genE8ELNS1_11target_archE1030ELNS1_3gpuE2ELNS1_3repE0EEENS1_30default_config_static_selectorELNS0_4arch9wavefront6targetE0EEEvT1_
    .private_segment_fixed_size: 0
    .sgpr_count:     0
    .sgpr_spill_count: 0
    .symbol:         _ZN7rocprim17ROCPRIM_400000_NS6detail17trampoline_kernelINS0_14default_configENS1_29reduce_by_key_config_selectorIxxN6thrust23THRUST_200600_302600_NS4plusIxEEEEZZNS1_33reduce_by_key_impl_wrapped_configILNS1_25lookback_scan_determinismE0ES3_S9_NS6_6detail15normal_iteratorINS6_10device_ptrIxEEEESG_SG_SG_PmS8_22is_equal_div_10_reduceIxEEE10hipError_tPvRmT2_T3_mT4_T5_T6_T7_T8_P12ihipStream_tbENKUlT_T0_E_clISt17integral_constantIbLb0EES11_EEDaSW_SX_EUlSW_E_NS1_11comp_targetILNS1_3genE8ELNS1_11target_archE1030ELNS1_3gpuE2ELNS1_3repE0EEENS1_30default_config_static_selectorELNS0_4arch9wavefront6targetE0EEEvT1_.kd
    .uniform_work_group_size: 1
    .uses_dynamic_stack: false
    .vgpr_count:     0
    .vgpr_spill_count: 0
    .wavefront_size: 32
    .workgroup_processor_mode: 1
  - .args:
      - .offset:         0
        .size:           136
        .value_kind:     by_value
    .group_segment_fixed_size: 0
    .kernarg_segment_align: 8
    .kernarg_segment_size: 136
    .language:       OpenCL C
    .language_version:
      - 2
      - 0
    .max_flat_workgroup_size: 256
    .name:           _ZN7rocprim17ROCPRIM_400000_NS6detail17trampoline_kernelINS0_14default_configENS1_29reduce_by_key_config_selectorIxxN6thrust23THRUST_200600_302600_NS4plusIxEEEEZZNS1_33reduce_by_key_impl_wrapped_configILNS1_25lookback_scan_determinismE0ES3_S9_NS6_6detail15normal_iteratorINS6_10device_ptrIxEEEESG_SG_SG_PmS8_22is_equal_div_10_reduceIxEEE10hipError_tPvRmT2_T3_mT4_T5_T6_T7_T8_P12ihipStream_tbENKUlT_T0_E_clISt17integral_constantIbLb1EES11_EEDaSW_SX_EUlSW_E_NS1_11comp_targetILNS1_3genE0ELNS1_11target_archE4294967295ELNS1_3gpuE0ELNS1_3repE0EEENS1_30default_config_static_selectorELNS0_4arch9wavefront6targetE0EEEvT1_
    .private_segment_fixed_size: 0
    .sgpr_count:     0
    .sgpr_spill_count: 0
    .symbol:         _ZN7rocprim17ROCPRIM_400000_NS6detail17trampoline_kernelINS0_14default_configENS1_29reduce_by_key_config_selectorIxxN6thrust23THRUST_200600_302600_NS4plusIxEEEEZZNS1_33reduce_by_key_impl_wrapped_configILNS1_25lookback_scan_determinismE0ES3_S9_NS6_6detail15normal_iteratorINS6_10device_ptrIxEEEESG_SG_SG_PmS8_22is_equal_div_10_reduceIxEEE10hipError_tPvRmT2_T3_mT4_T5_T6_T7_T8_P12ihipStream_tbENKUlT_T0_E_clISt17integral_constantIbLb1EES11_EEDaSW_SX_EUlSW_E_NS1_11comp_targetILNS1_3genE0ELNS1_11target_archE4294967295ELNS1_3gpuE0ELNS1_3repE0EEENS1_30default_config_static_selectorELNS0_4arch9wavefront6targetE0EEEvT1_.kd
    .uniform_work_group_size: 1
    .uses_dynamic_stack: false
    .vgpr_count:     0
    .vgpr_spill_count: 0
    .wavefront_size: 32
    .workgroup_processor_mode: 1
  - .args:
      - .offset:         0
        .size:           136
        .value_kind:     by_value
    .group_segment_fixed_size: 0
    .kernarg_segment_align: 8
    .kernarg_segment_size: 136
    .language:       OpenCL C
    .language_version:
      - 2
      - 0
    .max_flat_workgroup_size: 256
    .name:           _ZN7rocprim17ROCPRIM_400000_NS6detail17trampoline_kernelINS0_14default_configENS1_29reduce_by_key_config_selectorIxxN6thrust23THRUST_200600_302600_NS4plusIxEEEEZZNS1_33reduce_by_key_impl_wrapped_configILNS1_25lookback_scan_determinismE0ES3_S9_NS6_6detail15normal_iteratorINS6_10device_ptrIxEEEESG_SG_SG_PmS8_22is_equal_div_10_reduceIxEEE10hipError_tPvRmT2_T3_mT4_T5_T6_T7_T8_P12ihipStream_tbENKUlT_T0_E_clISt17integral_constantIbLb1EES11_EEDaSW_SX_EUlSW_E_NS1_11comp_targetILNS1_3genE5ELNS1_11target_archE942ELNS1_3gpuE9ELNS1_3repE0EEENS1_30default_config_static_selectorELNS0_4arch9wavefront6targetE0EEEvT1_
    .private_segment_fixed_size: 0
    .sgpr_count:     0
    .sgpr_spill_count: 0
    .symbol:         _ZN7rocprim17ROCPRIM_400000_NS6detail17trampoline_kernelINS0_14default_configENS1_29reduce_by_key_config_selectorIxxN6thrust23THRUST_200600_302600_NS4plusIxEEEEZZNS1_33reduce_by_key_impl_wrapped_configILNS1_25lookback_scan_determinismE0ES3_S9_NS6_6detail15normal_iteratorINS6_10device_ptrIxEEEESG_SG_SG_PmS8_22is_equal_div_10_reduceIxEEE10hipError_tPvRmT2_T3_mT4_T5_T6_T7_T8_P12ihipStream_tbENKUlT_T0_E_clISt17integral_constantIbLb1EES11_EEDaSW_SX_EUlSW_E_NS1_11comp_targetILNS1_3genE5ELNS1_11target_archE942ELNS1_3gpuE9ELNS1_3repE0EEENS1_30default_config_static_selectorELNS0_4arch9wavefront6targetE0EEEvT1_.kd
    .uniform_work_group_size: 1
    .uses_dynamic_stack: false
    .vgpr_count:     0
    .vgpr_spill_count: 0
    .wavefront_size: 32
    .workgroup_processor_mode: 1
  - .args:
      - .offset:         0
        .size:           136
        .value_kind:     by_value
    .group_segment_fixed_size: 0
    .kernarg_segment_align: 8
    .kernarg_segment_size: 136
    .language:       OpenCL C
    .language_version:
      - 2
      - 0
    .max_flat_workgroup_size: 256
    .name:           _ZN7rocprim17ROCPRIM_400000_NS6detail17trampoline_kernelINS0_14default_configENS1_29reduce_by_key_config_selectorIxxN6thrust23THRUST_200600_302600_NS4plusIxEEEEZZNS1_33reduce_by_key_impl_wrapped_configILNS1_25lookback_scan_determinismE0ES3_S9_NS6_6detail15normal_iteratorINS6_10device_ptrIxEEEESG_SG_SG_PmS8_22is_equal_div_10_reduceIxEEE10hipError_tPvRmT2_T3_mT4_T5_T6_T7_T8_P12ihipStream_tbENKUlT_T0_E_clISt17integral_constantIbLb1EES11_EEDaSW_SX_EUlSW_E_NS1_11comp_targetILNS1_3genE4ELNS1_11target_archE910ELNS1_3gpuE8ELNS1_3repE0EEENS1_30default_config_static_selectorELNS0_4arch9wavefront6targetE0EEEvT1_
    .private_segment_fixed_size: 0
    .sgpr_count:     0
    .sgpr_spill_count: 0
    .symbol:         _ZN7rocprim17ROCPRIM_400000_NS6detail17trampoline_kernelINS0_14default_configENS1_29reduce_by_key_config_selectorIxxN6thrust23THRUST_200600_302600_NS4plusIxEEEEZZNS1_33reduce_by_key_impl_wrapped_configILNS1_25lookback_scan_determinismE0ES3_S9_NS6_6detail15normal_iteratorINS6_10device_ptrIxEEEESG_SG_SG_PmS8_22is_equal_div_10_reduceIxEEE10hipError_tPvRmT2_T3_mT4_T5_T6_T7_T8_P12ihipStream_tbENKUlT_T0_E_clISt17integral_constantIbLb1EES11_EEDaSW_SX_EUlSW_E_NS1_11comp_targetILNS1_3genE4ELNS1_11target_archE910ELNS1_3gpuE8ELNS1_3repE0EEENS1_30default_config_static_selectorELNS0_4arch9wavefront6targetE0EEEvT1_.kd
    .uniform_work_group_size: 1
    .uses_dynamic_stack: false
    .vgpr_count:     0
    .vgpr_spill_count: 0
    .wavefront_size: 32
    .workgroup_processor_mode: 1
  - .args:
      - .offset:         0
        .size:           136
        .value_kind:     by_value
    .group_segment_fixed_size: 0
    .kernarg_segment_align: 8
    .kernarg_segment_size: 136
    .language:       OpenCL C
    .language_version:
      - 2
      - 0
    .max_flat_workgroup_size: 256
    .name:           _ZN7rocprim17ROCPRIM_400000_NS6detail17trampoline_kernelINS0_14default_configENS1_29reduce_by_key_config_selectorIxxN6thrust23THRUST_200600_302600_NS4plusIxEEEEZZNS1_33reduce_by_key_impl_wrapped_configILNS1_25lookback_scan_determinismE0ES3_S9_NS6_6detail15normal_iteratorINS6_10device_ptrIxEEEESG_SG_SG_PmS8_22is_equal_div_10_reduceIxEEE10hipError_tPvRmT2_T3_mT4_T5_T6_T7_T8_P12ihipStream_tbENKUlT_T0_E_clISt17integral_constantIbLb1EES11_EEDaSW_SX_EUlSW_E_NS1_11comp_targetILNS1_3genE3ELNS1_11target_archE908ELNS1_3gpuE7ELNS1_3repE0EEENS1_30default_config_static_selectorELNS0_4arch9wavefront6targetE0EEEvT1_
    .private_segment_fixed_size: 0
    .sgpr_count:     0
    .sgpr_spill_count: 0
    .symbol:         _ZN7rocprim17ROCPRIM_400000_NS6detail17trampoline_kernelINS0_14default_configENS1_29reduce_by_key_config_selectorIxxN6thrust23THRUST_200600_302600_NS4plusIxEEEEZZNS1_33reduce_by_key_impl_wrapped_configILNS1_25lookback_scan_determinismE0ES3_S9_NS6_6detail15normal_iteratorINS6_10device_ptrIxEEEESG_SG_SG_PmS8_22is_equal_div_10_reduceIxEEE10hipError_tPvRmT2_T3_mT4_T5_T6_T7_T8_P12ihipStream_tbENKUlT_T0_E_clISt17integral_constantIbLb1EES11_EEDaSW_SX_EUlSW_E_NS1_11comp_targetILNS1_3genE3ELNS1_11target_archE908ELNS1_3gpuE7ELNS1_3repE0EEENS1_30default_config_static_selectorELNS0_4arch9wavefront6targetE0EEEvT1_.kd
    .uniform_work_group_size: 1
    .uses_dynamic_stack: false
    .vgpr_count:     0
    .vgpr_spill_count: 0
    .wavefront_size: 32
    .workgroup_processor_mode: 1
  - .args:
      - .offset:         0
        .size:           136
        .value_kind:     by_value
    .group_segment_fixed_size: 0
    .kernarg_segment_align: 8
    .kernarg_segment_size: 136
    .language:       OpenCL C
    .language_version:
      - 2
      - 0
    .max_flat_workgroup_size: 256
    .name:           _ZN7rocprim17ROCPRIM_400000_NS6detail17trampoline_kernelINS0_14default_configENS1_29reduce_by_key_config_selectorIxxN6thrust23THRUST_200600_302600_NS4plusIxEEEEZZNS1_33reduce_by_key_impl_wrapped_configILNS1_25lookback_scan_determinismE0ES3_S9_NS6_6detail15normal_iteratorINS6_10device_ptrIxEEEESG_SG_SG_PmS8_22is_equal_div_10_reduceIxEEE10hipError_tPvRmT2_T3_mT4_T5_T6_T7_T8_P12ihipStream_tbENKUlT_T0_E_clISt17integral_constantIbLb1EES11_EEDaSW_SX_EUlSW_E_NS1_11comp_targetILNS1_3genE2ELNS1_11target_archE906ELNS1_3gpuE6ELNS1_3repE0EEENS1_30default_config_static_selectorELNS0_4arch9wavefront6targetE0EEEvT1_
    .private_segment_fixed_size: 0
    .sgpr_count:     0
    .sgpr_spill_count: 0
    .symbol:         _ZN7rocprim17ROCPRIM_400000_NS6detail17trampoline_kernelINS0_14default_configENS1_29reduce_by_key_config_selectorIxxN6thrust23THRUST_200600_302600_NS4plusIxEEEEZZNS1_33reduce_by_key_impl_wrapped_configILNS1_25lookback_scan_determinismE0ES3_S9_NS6_6detail15normal_iteratorINS6_10device_ptrIxEEEESG_SG_SG_PmS8_22is_equal_div_10_reduceIxEEE10hipError_tPvRmT2_T3_mT4_T5_T6_T7_T8_P12ihipStream_tbENKUlT_T0_E_clISt17integral_constantIbLb1EES11_EEDaSW_SX_EUlSW_E_NS1_11comp_targetILNS1_3genE2ELNS1_11target_archE906ELNS1_3gpuE6ELNS1_3repE0EEENS1_30default_config_static_selectorELNS0_4arch9wavefront6targetE0EEEvT1_.kd
    .uniform_work_group_size: 1
    .uses_dynamic_stack: false
    .vgpr_count:     0
    .vgpr_spill_count: 0
    .wavefront_size: 32
    .workgroup_processor_mode: 1
  - .args:
      - .offset:         0
        .size:           136
        .value_kind:     by_value
    .group_segment_fixed_size: 0
    .kernarg_segment_align: 8
    .kernarg_segment_size: 136
    .language:       OpenCL C
    .language_version:
      - 2
      - 0
    .max_flat_workgroup_size: 256
    .name:           _ZN7rocprim17ROCPRIM_400000_NS6detail17trampoline_kernelINS0_14default_configENS1_29reduce_by_key_config_selectorIxxN6thrust23THRUST_200600_302600_NS4plusIxEEEEZZNS1_33reduce_by_key_impl_wrapped_configILNS1_25lookback_scan_determinismE0ES3_S9_NS6_6detail15normal_iteratorINS6_10device_ptrIxEEEESG_SG_SG_PmS8_22is_equal_div_10_reduceIxEEE10hipError_tPvRmT2_T3_mT4_T5_T6_T7_T8_P12ihipStream_tbENKUlT_T0_E_clISt17integral_constantIbLb1EES11_EEDaSW_SX_EUlSW_E_NS1_11comp_targetILNS1_3genE10ELNS1_11target_archE1201ELNS1_3gpuE5ELNS1_3repE0EEENS1_30default_config_static_selectorELNS0_4arch9wavefront6targetE0EEEvT1_
    .private_segment_fixed_size: 0
    .sgpr_count:     0
    .sgpr_spill_count: 0
    .symbol:         _ZN7rocprim17ROCPRIM_400000_NS6detail17trampoline_kernelINS0_14default_configENS1_29reduce_by_key_config_selectorIxxN6thrust23THRUST_200600_302600_NS4plusIxEEEEZZNS1_33reduce_by_key_impl_wrapped_configILNS1_25lookback_scan_determinismE0ES3_S9_NS6_6detail15normal_iteratorINS6_10device_ptrIxEEEESG_SG_SG_PmS8_22is_equal_div_10_reduceIxEEE10hipError_tPvRmT2_T3_mT4_T5_T6_T7_T8_P12ihipStream_tbENKUlT_T0_E_clISt17integral_constantIbLb1EES11_EEDaSW_SX_EUlSW_E_NS1_11comp_targetILNS1_3genE10ELNS1_11target_archE1201ELNS1_3gpuE5ELNS1_3repE0EEENS1_30default_config_static_selectorELNS0_4arch9wavefront6targetE0EEEvT1_.kd
    .uniform_work_group_size: 1
    .uses_dynamic_stack: false
    .vgpr_count:     0
    .vgpr_spill_count: 0
    .wavefront_size: 32
    .workgroup_processor_mode: 1
  - .args:
      - .offset:         0
        .size:           136
        .value_kind:     by_value
    .group_segment_fixed_size: 0
    .kernarg_segment_align: 8
    .kernarg_segment_size: 136
    .language:       OpenCL C
    .language_version:
      - 2
      - 0
    .max_flat_workgroup_size: 256
    .name:           _ZN7rocprim17ROCPRIM_400000_NS6detail17trampoline_kernelINS0_14default_configENS1_29reduce_by_key_config_selectorIxxN6thrust23THRUST_200600_302600_NS4plusIxEEEEZZNS1_33reduce_by_key_impl_wrapped_configILNS1_25lookback_scan_determinismE0ES3_S9_NS6_6detail15normal_iteratorINS6_10device_ptrIxEEEESG_SG_SG_PmS8_22is_equal_div_10_reduceIxEEE10hipError_tPvRmT2_T3_mT4_T5_T6_T7_T8_P12ihipStream_tbENKUlT_T0_E_clISt17integral_constantIbLb1EES11_EEDaSW_SX_EUlSW_E_NS1_11comp_targetILNS1_3genE10ELNS1_11target_archE1200ELNS1_3gpuE4ELNS1_3repE0EEENS1_30default_config_static_selectorELNS0_4arch9wavefront6targetE0EEEvT1_
    .private_segment_fixed_size: 0
    .sgpr_count:     0
    .sgpr_spill_count: 0
    .symbol:         _ZN7rocprim17ROCPRIM_400000_NS6detail17trampoline_kernelINS0_14default_configENS1_29reduce_by_key_config_selectorIxxN6thrust23THRUST_200600_302600_NS4plusIxEEEEZZNS1_33reduce_by_key_impl_wrapped_configILNS1_25lookback_scan_determinismE0ES3_S9_NS6_6detail15normal_iteratorINS6_10device_ptrIxEEEESG_SG_SG_PmS8_22is_equal_div_10_reduceIxEEE10hipError_tPvRmT2_T3_mT4_T5_T6_T7_T8_P12ihipStream_tbENKUlT_T0_E_clISt17integral_constantIbLb1EES11_EEDaSW_SX_EUlSW_E_NS1_11comp_targetILNS1_3genE10ELNS1_11target_archE1200ELNS1_3gpuE4ELNS1_3repE0EEENS1_30default_config_static_selectorELNS0_4arch9wavefront6targetE0EEEvT1_.kd
    .uniform_work_group_size: 1
    .uses_dynamic_stack: false
    .vgpr_count:     0
    .vgpr_spill_count: 0
    .wavefront_size: 32
    .workgroup_processor_mode: 1
  - .args:
      - .offset:         0
        .size:           136
        .value_kind:     by_value
    .group_segment_fixed_size: 30720
    .kernarg_segment_align: 8
    .kernarg_segment_size: 136
    .language:       OpenCL C
    .language_version:
      - 2
      - 0
    .max_flat_workgroup_size: 256
    .name:           _ZN7rocprim17ROCPRIM_400000_NS6detail17trampoline_kernelINS0_14default_configENS1_29reduce_by_key_config_selectorIxxN6thrust23THRUST_200600_302600_NS4plusIxEEEEZZNS1_33reduce_by_key_impl_wrapped_configILNS1_25lookback_scan_determinismE0ES3_S9_NS6_6detail15normal_iteratorINS6_10device_ptrIxEEEESG_SG_SG_PmS8_22is_equal_div_10_reduceIxEEE10hipError_tPvRmT2_T3_mT4_T5_T6_T7_T8_P12ihipStream_tbENKUlT_T0_E_clISt17integral_constantIbLb1EES11_EEDaSW_SX_EUlSW_E_NS1_11comp_targetILNS1_3genE9ELNS1_11target_archE1100ELNS1_3gpuE3ELNS1_3repE0EEENS1_30default_config_static_selectorELNS0_4arch9wavefront6targetE0EEEvT1_
    .private_segment_fixed_size: 0
    .sgpr_count:     54
    .sgpr_spill_count: 0
    .symbol:         _ZN7rocprim17ROCPRIM_400000_NS6detail17trampoline_kernelINS0_14default_configENS1_29reduce_by_key_config_selectorIxxN6thrust23THRUST_200600_302600_NS4plusIxEEEEZZNS1_33reduce_by_key_impl_wrapped_configILNS1_25lookback_scan_determinismE0ES3_S9_NS6_6detail15normal_iteratorINS6_10device_ptrIxEEEESG_SG_SG_PmS8_22is_equal_div_10_reduceIxEEE10hipError_tPvRmT2_T3_mT4_T5_T6_T7_T8_P12ihipStream_tbENKUlT_T0_E_clISt17integral_constantIbLb1EES11_EEDaSW_SX_EUlSW_E_NS1_11comp_targetILNS1_3genE9ELNS1_11target_archE1100ELNS1_3gpuE3ELNS1_3repE0EEENS1_30default_config_static_selectorELNS0_4arch9wavefront6targetE0EEEvT1_.kd
    .uniform_work_group_size: 1
    .uses_dynamic_stack: false
    .vgpr_count:     120
    .vgpr_spill_count: 0
    .wavefront_size: 32
    .workgroup_processor_mode: 1
  - .args:
      - .offset:         0
        .size:           136
        .value_kind:     by_value
    .group_segment_fixed_size: 0
    .kernarg_segment_align: 8
    .kernarg_segment_size: 136
    .language:       OpenCL C
    .language_version:
      - 2
      - 0
    .max_flat_workgroup_size: 256
    .name:           _ZN7rocprim17ROCPRIM_400000_NS6detail17trampoline_kernelINS0_14default_configENS1_29reduce_by_key_config_selectorIxxN6thrust23THRUST_200600_302600_NS4plusIxEEEEZZNS1_33reduce_by_key_impl_wrapped_configILNS1_25lookback_scan_determinismE0ES3_S9_NS6_6detail15normal_iteratorINS6_10device_ptrIxEEEESG_SG_SG_PmS8_22is_equal_div_10_reduceIxEEE10hipError_tPvRmT2_T3_mT4_T5_T6_T7_T8_P12ihipStream_tbENKUlT_T0_E_clISt17integral_constantIbLb1EES11_EEDaSW_SX_EUlSW_E_NS1_11comp_targetILNS1_3genE8ELNS1_11target_archE1030ELNS1_3gpuE2ELNS1_3repE0EEENS1_30default_config_static_selectorELNS0_4arch9wavefront6targetE0EEEvT1_
    .private_segment_fixed_size: 0
    .sgpr_count:     0
    .sgpr_spill_count: 0
    .symbol:         _ZN7rocprim17ROCPRIM_400000_NS6detail17trampoline_kernelINS0_14default_configENS1_29reduce_by_key_config_selectorIxxN6thrust23THRUST_200600_302600_NS4plusIxEEEEZZNS1_33reduce_by_key_impl_wrapped_configILNS1_25lookback_scan_determinismE0ES3_S9_NS6_6detail15normal_iteratorINS6_10device_ptrIxEEEESG_SG_SG_PmS8_22is_equal_div_10_reduceIxEEE10hipError_tPvRmT2_T3_mT4_T5_T6_T7_T8_P12ihipStream_tbENKUlT_T0_E_clISt17integral_constantIbLb1EES11_EEDaSW_SX_EUlSW_E_NS1_11comp_targetILNS1_3genE8ELNS1_11target_archE1030ELNS1_3gpuE2ELNS1_3repE0EEENS1_30default_config_static_selectorELNS0_4arch9wavefront6targetE0EEEvT1_.kd
    .uniform_work_group_size: 1
    .uses_dynamic_stack: false
    .vgpr_count:     0
    .vgpr_spill_count: 0
    .wavefront_size: 32
    .workgroup_processor_mode: 1
  - .args:
      - .offset:         0
        .size:           136
        .value_kind:     by_value
    .group_segment_fixed_size: 0
    .kernarg_segment_align: 8
    .kernarg_segment_size: 136
    .language:       OpenCL C
    .language_version:
      - 2
      - 0
    .max_flat_workgroup_size: 256
    .name:           _ZN7rocprim17ROCPRIM_400000_NS6detail17trampoline_kernelINS0_14default_configENS1_29reduce_by_key_config_selectorIxxN6thrust23THRUST_200600_302600_NS4plusIxEEEEZZNS1_33reduce_by_key_impl_wrapped_configILNS1_25lookback_scan_determinismE0ES3_S9_NS6_6detail15normal_iteratorINS6_10device_ptrIxEEEESG_SG_SG_PmS8_22is_equal_div_10_reduceIxEEE10hipError_tPvRmT2_T3_mT4_T5_T6_T7_T8_P12ihipStream_tbENKUlT_T0_E_clISt17integral_constantIbLb1EES10_IbLb0EEEEDaSW_SX_EUlSW_E_NS1_11comp_targetILNS1_3genE0ELNS1_11target_archE4294967295ELNS1_3gpuE0ELNS1_3repE0EEENS1_30default_config_static_selectorELNS0_4arch9wavefront6targetE0EEEvT1_
    .private_segment_fixed_size: 0
    .sgpr_count:     0
    .sgpr_spill_count: 0
    .symbol:         _ZN7rocprim17ROCPRIM_400000_NS6detail17trampoline_kernelINS0_14default_configENS1_29reduce_by_key_config_selectorIxxN6thrust23THRUST_200600_302600_NS4plusIxEEEEZZNS1_33reduce_by_key_impl_wrapped_configILNS1_25lookback_scan_determinismE0ES3_S9_NS6_6detail15normal_iteratorINS6_10device_ptrIxEEEESG_SG_SG_PmS8_22is_equal_div_10_reduceIxEEE10hipError_tPvRmT2_T3_mT4_T5_T6_T7_T8_P12ihipStream_tbENKUlT_T0_E_clISt17integral_constantIbLb1EES10_IbLb0EEEEDaSW_SX_EUlSW_E_NS1_11comp_targetILNS1_3genE0ELNS1_11target_archE4294967295ELNS1_3gpuE0ELNS1_3repE0EEENS1_30default_config_static_selectorELNS0_4arch9wavefront6targetE0EEEvT1_.kd
    .uniform_work_group_size: 1
    .uses_dynamic_stack: false
    .vgpr_count:     0
    .vgpr_spill_count: 0
    .wavefront_size: 32
    .workgroup_processor_mode: 1
  - .args:
      - .offset:         0
        .size:           136
        .value_kind:     by_value
    .group_segment_fixed_size: 0
    .kernarg_segment_align: 8
    .kernarg_segment_size: 136
    .language:       OpenCL C
    .language_version:
      - 2
      - 0
    .max_flat_workgroup_size: 256
    .name:           _ZN7rocprim17ROCPRIM_400000_NS6detail17trampoline_kernelINS0_14default_configENS1_29reduce_by_key_config_selectorIxxN6thrust23THRUST_200600_302600_NS4plusIxEEEEZZNS1_33reduce_by_key_impl_wrapped_configILNS1_25lookback_scan_determinismE0ES3_S9_NS6_6detail15normal_iteratorINS6_10device_ptrIxEEEESG_SG_SG_PmS8_22is_equal_div_10_reduceIxEEE10hipError_tPvRmT2_T3_mT4_T5_T6_T7_T8_P12ihipStream_tbENKUlT_T0_E_clISt17integral_constantIbLb1EES10_IbLb0EEEEDaSW_SX_EUlSW_E_NS1_11comp_targetILNS1_3genE5ELNS1_11target_archE942ELNS1_3gpuE9ELNS1_3repE0EEENS1_30default_config_static_selectorELNS0_4arch9wavefront6targetE0EEEvT1_
    .private_segment_fixed_size: 0
    .sgpr_count:     0
    .sgpr_spill_count: 0
    .symbol:         _ZN7rocprim17ROCPRIM_400000_NS6detail17trampoline_kernelINS0_14default_configENS1_29reduce_by_key_config_selectorIxxN6thrust23THRUST_200600_302600_NS4plusIxEEEEZZNS1_33reduce_by_key_impl_wrapped_configILNS1_25lookback_scan_determinismE0ES3_S9_NS6_6detail15normal_iteratorINS6_10device_ptrIxEEEESG_SG_SG_PmS8_22is_equal_div_10_reduceIxEEE10hipError_tPvRmT2_T3_mT4_T5_T6_T7_T8_P12ihipStream_tbENKUlT_T0_E_clISt17integral_constantIbLb1EES10_IbLb0EEEEDaSW_SX_EUlSW_E_NS1_11comp_targetILNS1_3genE5ELNS1_11target_archE942ELNS1_3gpuE9ELNS1_3repE0EEENS1_30default_config_static_selectorELNS0_4arch9wavefront6targetE0EEEvT1_.kd
    .uniform_work_group_size: 1
    .uses_dynamic_stack: false
    .vgpr_count:     0
    .vgpr_spill_count: 0
    .wavefront_size: 32
    .workgroup_processor_mode: 1
  - .args:
      - .offset:         0
        .size:           136
        .value_kind:     by_value
    .group_segment_fixed_size: 0
    .kernarg_segment_align: 8
    .kernarg_segment_size: 136
    .language:       OpenCL C
    .language_version:
      - 2
      - 0
    .max_flat_workgroup_size: 256
    .name:           _ZN7rocprim17ROCPRIM_400000_NS6detail17trampoline_kernelINS0_14default_configENS1_29reduce_by_key_config_selectorIxxN6thrust23THRUST_200600_302600_NS4plusIxEEEEZZNS1_33reduce_by_key_impl_wrapped_configILNS1_25lookback_scan_determinismE0ES3_S9_NS6_6detail15normal_iteratorINS6_10device_ptrIxEEEESG_SG_SG_PmS8_22is_equal_div_10_reduceIxEEE10hipError_tPvRmT2_T3_mT4_T5_T6_T7_T8_P12ihipStream_tbENKUlT_T0_E_clISt17integral_constantIbLb1EES10_IbLb0EEEEDaSW_SX_EUlSW_E_NS1_11comp_targetILNS1_3genE4ELNS1_11target_archE910ELNS1_3gpuE8ELNS1_3repE0EEENS1_30default_config_static_selectorELNS0_4arch9wavefront6targetE0EEEvT1_
    .private_segment_fixed_size: 0
    .sgpr_count:     0
    .sgpr_spill_count: 0
    .symbol:         _ZN7rocprim17ROCPRIM_400000_NS6detail17trampoline_kernelINS0_14default_configENS1_29reduce_by_key_config_selectorIxxN6thrust23THRUST_200600_302600_NS4plusIxEEEEZZNS1_33reduce_by_key_impl_wrapped_configILNS1_25lookback_scan_determinismE0ES3_S9_NS6_6detail15normal_iteratorINS6_10device_ptrIxEEEESG_SG_SG_PmS8_22is_equal_div_10_reduceIxEEE10hipError_tPvRmT2_T3_mT4_T5_T6_T7_T8_P12ihipStream_tbENKUlT_T0_E_clISt17integral_constantIbLb1EES10_IbLb0EEEEDaSW_SX_EUlSW_E_NS1_11comp_targetILNS1_3genE4ELNS1_11target_archE910ELNS1_3gpuE8ELNS1_3repE0EEENS1_30default_config_static_selectorELNS0_4arch9wavefront6targetE0EEEvT1_.kd
    .uniform_work_group_size: 1
    .uses_dynamic_stack: false
    .vgpr_count:     0
    .vgpr_spill_count: 0
    .wavefront_size: 32
    .workgroup_processor_mode: 1
  - .args:
      - .offset:         0
        .size:           136
        .value_kind:     by_value
    .group_segment_fixed_size: 0
    .kernarg_segment_align: 8
    .kernarg_segment_size: 136
    .language:       OpenCL C
    .language_version:
      - 2
      - 0
    .max_flat_workgroup_size: 256
    .name:           _ZN7rocprim17ROCPRIM_400000_NS6detail17trampoline_kernelINS0_14default_configENS1_29reduce_by_key_config_selectorIxxN6thrust23THRUST_200600_302600_NS4plusIxEEEEZZNS1_33reduce_by_key_impl_wrapped_configILNS1_25lookback_scan_determinismE0ES3_S9_NS6_6detail15normal_iteratorINS6_10device_ptrIxEEEESG_SG_SG_PmS8_22is_equal_div_10_reduceIxEEE10hipError_tPvRmT2_T3_mT4_T5_T6_T7_T8_P12ihipStream_tbENKUlT_T0_E_clISt17integral_constantIbLb1EES10_IbLb0EEEEDaSW_SX_EUlSW_E_NS1_11comp_targetILNS1_3genE3ELNS1_11target_archE908ELNS1_3gpuE7ELNS1_3repE0EEENS1_30default_config_static_selectorELNS0_4arch9wavefront6targetE0EEEvT1_
    .private_segment_fixed_size: 0
    .sgpr_count:     0
    .sgpr_spill_count: 0
    .symbol:         _ZN7rocprim17ROCPRIM_400000_NS6detail17trampoline_kernelINS0_14default_configENS1_29reduce_by_key_config_selectorIxxN6thrust23THRUST_200600_302600_NS4plusIxEEEEZZNS1_33reduce_by_key_impl_wrapped_configILNS1_25lookback_scan_determinismE0ES3_S9_NS6_6detail15normal_iteratorINS6_10device_ptrIxEEEESG_SG_SG_PmS8_22is_equal_div_10_reduceIxEEE10hipError_tPvRmT2_T3_mT4_T5_T6_T7_T8_P12ihipStream_tbENKUlT_T0_E_clISt17integral_constantIbLb1EES10_IbLb0EEEEDaSW_SX_EUlSW_E_NS1_11comp_targetILNS1_3genE3ELNS1_11target_archE908ELNS1_3gpuE7ELNS1_3repE0EEENS1_30default_config_static_selectorELNS0_4arch9wavefront6targetE0EEEvT1_.kd
    .uniform_work_group_size: 1
    .uses_dynamic_stack: false
    .vgpr_count:     0
    .vgpr_spill_count: 0
    .wavefront_size: 32
    .workgroup_processor_mode: 1
  - .args:
      - .offset:         0
        .size:           136
        .value_kind:     by_value
    .group_segment_fixed_size: 0
    .kernarg_segment_align: 8
    .kernarg_segment_size: 136
    .language:       OpenCL C
    .language_version:
      - 2
      - 0
    .max_flat_workgroup_size: 256
    .name:           _ZN7rocprim17ROCPRIM_400000_NS6detail17trampoline_kernelINS0_14default_configENS1_29reduce_by_key_config_selectorIxxN6thrust23THRUST_200600_302600_NS4plusIxEEEEZZNS1_33reduce_by_key_impl_wrapped_configILNS1_25lookback_scan_determinismE0ES3_S9_NS6_6detail15normal_iteratorINS6_10device_ptrIxEEEESG_SG_SG_PmS8_22is_equal_div_10_reduceIxEEE10hipError_tPvRmT2_T3_mT4_T5_T6_T7_T8_P12ihipStream_tbENKUlT_T0_E_clISt17integral_constantIbLb1EES10_IbLb0EEEEDaSW_SX_EUlSW_E_NS1_11comp_targetILNS1_3genE2ELNS1_11target_archE906ELNS1_3gpuE6ELNS1_3repE0EEENS1_30default_config_static_selectorELNS0_4arch9wavefront6targetE0EEEvT1_
    .private_segment_fixed_size: 0
    .sgpr_count:     0
    .sgpr_spill_count: 0
    .symbol:         _ZN7rocprim17ROCPRIM_400000_NS6detail17trampoline_kernelINS0_14default_configENS1_29reduce_by_key_config_selectorIxxN6thrust23THRUST_200600_302600_NS4plusIxEEEEZZNS1_33reduce_by_key_impl_wrapped_configILNS1_25lookback_scan_determinismE0ES3_S9_NS6_6detail15normal_iteratorINS6_10device_ptrIxEEEESG_SG_SG_PmS8_22is_equal_div_10_reduceIxEEE10hipError_tPvRmT2_T3_mT4_T5_T6_T7_T8_P12ihipStream_tbENKUlT_T0_E_clISt17integral_constantIbLb1EES10_IbLb0EEEEDaSW_SX_EUlSW_E_NS1_11comp_targetILNS1_3genE2ELNS1_11target_archE906ELNS1_3gpuE6ELNS1_3repE0EEENS1_30default_config_static_selectorELNS0_4arch9wavefront6targetE0EEEvT1_.kd
    .uniform_work_group_size: 1
    .uses_dynamic_stack: false
    .vgpr_count:     0
    .vgpr_spill_count: 0
    .wavefront_size: 32
    .workgroup_processor_mode: 1
  - .args:
      - .offset:         0
        .size:           136
        .value_kind:     by_value
    .group_segment_fixed_size: 0
    .kernarg_segment_align: 8
    .kernarg_segment_size: 136
    .language:       OpenCL C
    .language_version:
      - 2
      - 0
    .max_flat_workgroup_size: 256
    .name:           _ZN7rocprim17ROCPRIM_400000_NS6detail17trampoline_kernelINS0_14default_configENS1_29reduce_by_key_config_selectorIxxN6thrust23THRUST_200600_302600_NS4plusIxEEEEZZNS1_33reduce_by_key_impl_wrapped_configILNS1_25lookback_scan_determinismE0ES3_S9_NS6_6detail15normal_iteratorINS6_10device_ptrIxEEEESG_SG_SG_PmS8_22is_equal_div_10_reduceIxEEE10hipError_tPvRmT2_T3_mT4_T5_T6_T7_T8_P12ihipStream_tbENKUlT_T0_E_clISt17integral_constantIbLb1EES10_IbLb0EEEEDaSW_SX_EUlSW_E_NS1_11comp_targetILNS1_3genE10ELNS1_11target_archE1201ELNS1_3gpuE5ELNS1_3repE0EEENS1_30default_config_static_selectorELNS0_4arch9wavefront6targetE0EEEvT1_
    .private_segment_fixed_size: 0
    .sgpr_count:     0
    .sgpr_spill_count: 0
    .symbol:         _ZN7rocprim17ROCPRIM_400000_NS6detail17trampoline_kernelINS0_14default_configENS1_29reduce_by_key_config_selectorIxxN6thrust23THRUST_200600_302600_NS4plusIxEEEEZZNS1_33reduce_by_key_impl_wrapped_configILNS1_25lookback_scan_determinismE0ES3_S9_NS6_6detail15normal_iteratorINS6_10device_ptrIxEEEESG_SG_SG_PmS8_22is_equal_div_10_reduceIxEEE10hipError_tPvRmT2_T3_mT4_T5_T6_T7_T8_P12ihipStream_tbENKUlT_T0_E_clISt17integral_constantIbLb1EES10_IbLb0EEEEDaSW_SX_EUlSW_E_NS1_11comp_targetILNS1_3genE10ELNS1_11target_archE1201ELNS1_3gpuE5ELNS1_3repE0EEENS1_30default_config_static_selectorELNS0_4arch9wavefront6targetE0EEEvT1_.kd
    .uniform_work_group_size: 1
    .uses_dynamic_stack: false
    .vgpr_count:     0
    .vgpr_spill_count: 0
    .wavefront_size: 32
    .workgroup_processor_mode: 1
  - .args:
      - .offset:         0
        .size:           136
        .value_kind:     by_value
    .group_segment_fixed_size: 0
    .kernarg_segment_align: 8
    .kernarg_segment_size: 136
    .language:       OpenCL C
    .language_version:
      - 2
      - 0
    .max_flat_workgroup_size: 256
    .name:           _ZN7rocprim17ROCPRIM_400000_NS6detail17trampoline_kernelINS0_14default_configENS1_29reduce_by_key_config_selectorIxxN6thrust23THRUST_200600_302600_NS4plusIxEEEEZZNS1_33reduce_by_key_impl_wrapped_configILNS1_25lookback_scan_determinismE0ES3_S9_NS6_6detail15normal_iteratorINS6_10device_ptrIxEEEESG_SG_SG_PmS8_22is_equal_div_10_reduceIxEEE10hipError_tPvRmT2_T3_mT4_T5_T6_T7_T8_P12ihipStream_tbENKUlT_T0_E_clISt17integral_constantIbLb1EES10_IbLb0EEEEDaSW_SX_EUlSW_E_NS1_11comp_targetILNS1_3genE10ELNS1_11target_archE1200ELNS1_3gpuE4ELNS1_3repE0EEENS1_30default_config_static_selectorELNS0_4arch9wavefront6targetE0EEEvT1_
    .private_segment_fixed_size: 0
    .sgpr_count:     0
    .sgpr_spill_count: 0
    .symbol:         _ZN7rocprim17ROCPRIM_400000_NS6detail17trampoline_kernelINS0_14default_configENS1_29reduce_by_key_config_selectorIxxN6thrust23THRUST_200600_302600_NS4plusIxEEEEZZNS1_33reduce_by_key_impl_wrapped_configILNS1_25lookback_scan_determinismE0ES3_S9_NS6_6detail15normal_iteratorINS6_10device_ptrIxEEEESG_SG_SG_PmS8_22is_equal_div_10_reduceIxEEE10hipError_tPvRmT2_T3_mT4_T5_T6_T7_T8_P12ihipStream_tbENKUlT_T0_E_clISt17integral_constantIbLb1EES10_IbLb0EEEEDaSW_SX_EUlSW_E_NS1_11comp_targetILNS1_3genE10ELNS1_11target_archE1200ELNS1_3gpuE4ELNS1_3repE0EEENS1_30default_config_static_selectorELNS0_4arch9wavefront6targetE0EEEvT1_.kd
    .uniform_work_group_size: 1
    .uses_dynamic_stack: false
    .vgpr_count:     0
    .vgpr_spill_count: 0
    .wavefront_size: 32
    .workgroup_processor_mode: 1
  - .args:
      - .offset:         0
        .size:           136
        .value_kind:     by_value
    .group_segment_fixed_size: 30720
    .kernarg_segment_align: 8
    .kernarg_segment_size: 136
    .language:       OpenCL C
    .language_version:
      - 2
      - 0
    .max_flat_workgroup_size: 256
    .name:           _ZN7rocprim17ROCPRIM_400000_NS6detail17trampoline_kernelINS0_14default_configENS1_29reduce_by_key_config_selectorIxxN6thrust23THRUST_200600_302600_NS4plusIxEEEEZZNS1_33reduce_by_key_impl_wrapped_configILNS1_25lookback_scan_determinismE0ES3_S9_NS6_6detail15normal_iteratorINS6_10device_ptrIxEEEESG_SG_SG_PmS8_22is_equal_div_10_reduceIxEEE10hipError_tPvRmT2_T3_mT4_T5_T6_T7_T8_P12ihipStream_tbENKUlT_T0_E_clISt17integral_constantIbLb1EES10_IbLb0EEEEDaSW_SX_EUlSW_E_NS1_11comp_targetILNS1_3genE9ELNS1_11target_archE1100ELNS1_3gpuE3ELNS1_3repE0EEENS1_30default_config_static_selectorELNS0_4arch9wavefront6targetE0EEEvT1_
    .private_segment_fixed_size: 0
    .sgpr_count:     50
    .sgpr_spill_count: 0
    .symbol:         _ZN7rocprim17ROCPRIM_400000_NS6detail17trampoline_kernelINS0_14default_configENS1_29reduce_by_key_config_selectorIxxN6thrust23THRUST_200600_302600_NS4plusIxEEEEZZNS1_33reduce_by_key_impl_wrapped_configILNS1_25lookback_scan_determinismE0ES3_S9_NS6_6detail15normal_iteratorINS6_10device_ptrIxEEEESG_SG_SG_PmS8_22is_equal_div_10_reduceIxEEE10hipError_tPvRmT2_T3_mT4_T5_T6_T7_T8_P12ihipStream_tbENKUlT_T0_E_clISt17integral_constantIbLb1EES10_IbLb0EEEEDaSW_SX_EUlSW_E_NS1_11comp_targetILNS1_3genE9ELNS1_11target_archE1100ELNS1_3gpuE3ELNS1_3repE0EEENS1_30default_config_static_selectorELNS0_4arch9wavefront6targetE0EEEvT1_.kd
    .uniform_work_group_size: 1
    .uses_dynamic_stack: false
    .vgpr_count:     120
    .vgpr_spill_count: 0
    .wavefront_size: 32
    .workgroup_processor_mode: 1
  - .args:
      - .offset:         0
        .size:           136
        .value_kind:     by_value
    .group_segment_fixed_size: 0
    .kernarg_segment_align: 8
    .kernarg_segment_size: 136
    .language:       OpenCL C
    .language_version:
      - 2
      - 0
    .max_flat_workgroup_size: 256
    .name:           _ZN7rocprim17ROCPRIM_400000_NS6detail17trampoline_kernelINS0_14default_configENS1_29reduce_by_key_config_selectorIxxN6thrust23THRUST_200600_302600_NS4plusIxEEEEZZNS1_33reduce_by_key_impl_wrapped_configILNS1_25lookback_scan_determinismE0ES3_S9_NS6_6detail15normal_iteratorINS6_10device_ptrIxEEEESG_SG_SG_PmS8_22is_equal_div_10_reduceIxEEE10hipError_tPvRmT2_T3_mT4_T5_T6_T7_T8_P12ihipStream_tbENKUlT_T0_E_clISt17integral_constantIbLb1EES10_IbLb0EEEEDaSW_SX_EUlSW_E_NS1_11comp_targetILNS1_3genE8ELNS1_11target_archE1030ELNS1_3gpuE2ELNS1_3repE0EEENS1_30default_config_static_selectorELNS0_4arch9wavefront6targetE0EEEvT1_
    .private_segment_fixed_size: 0
    .sgpr_count:     0
    .sgpr_spill_count: 0
    .symbol:         _ZN7rocprim17ROCPRIM_400000_NS6detail17trampoline_kernelINS0_14default_configENS1_29reduce_by_key_config_selectorIxxN6thrust23THRUST_200600_302600_NS4plusIxEEEEZZNS1_33reduce_by_key_impl_wrapped_configILNS1_25lookback_scan_determinismE0ES3_S9_NS6_6detail15normal_iteratorINS6_10device_ptrIxEEEESG_SG_SG_PmS8_22is_equal_div_10_reduceIxEEE10hipError_tPvRmT2_T3_mT4_T5_T6_T7_T8_P12ihipStream_tbENKUlT_T0_E_clISt17integral_constantIbLb1EES10_IbLb0EEEEDaSW_SX_EUlSW_E_NS1_11comp_targetILNS1_3genE8ELNS1_11target_archE1030ELNS1_3gpuE2ELNS1_3repE0EEENS1_30default_config_static_selectorELNS0_4arch9wavefront6targetE0EEEvT1_.kd
    .uniform_work_group_size: 1
    .uses_dynamic_stack: false
    .vgpr_count:     0
    .vgpr_spill_count: 0
    .wavefront_size: 32
    .workgroup_processor_mode: 1
  - .args:
      - .offset:         0
        .size:           136
        .value_kind:     by_value
    .group_segment_fixed_size: 0
    .kernarg_segment_align: 8
    .kernarg_segment_size: 136
    .language:       OpenCL C
    .language_version:
      - 2
      - 0
    .max_flat_workgroup_size: 256
    .name:           _ZN7rocprim17ROCPRIM_400000_NS6detail17trampoline_kernelINS0_14default_configENS1_29reduce_by_key_config_selectorIxxN6thrust23THRUST_200600_302600_NS4plusIxEEEEZZNS1_33reduce_by_key_impl_wrapped_configILNS1_25lookback_scan_determinismE0ES3_S9_NS6_6detail15normal_iteratorINS6_10device_ptrIxEEEESG_SG_SG_PmS8_22is_equal_div_10_reduceIxEEE10hipError_tPvRmT2_T3_mT4_T5_T6_T7_T8_P12ihipStream_tbENKUlT_T0_E_clISt17integral_constantIbLb0EES10_IbLb1EEEEDaSW_SX_EUlSW_E_NS1_11comp_targetILNS1_3genE0ELNS1_11target_archE4294967295ELNS1_3gpuE0ELNS1_3repE0EEENS1_30default_config_static_selectorELNS0_4arch9wavefront6targetE0EEEvT1_
    .private_segment_fixed_size: 0
    .sgpr_count:     0
    .sgpr_spill_count: 0
    .symbol:         _ZN7rocprim17ROCPRIM_400000_NS6detail17trampoline_kernelINS0_14default_configENS1_29reduce_by_key_config_selectorIxxN6thrust23THRUST_200600_302600_NS4plusIxEEEEZZNS1_33reduce_by_key_impl_wrapped_configILNS1_25lookback_scan_determinismE0ES3_S9_NS6_6detail15normal_iteratorINS6_10device_ptrIxEEEESG_SG_SG_PmS8_22is_equal_div_10_reduceIxEEE10hipError_tPvRmT2_T3_mT4_T5_T6_T7_T8_P12ihipStream_tbENKUlT_T0_E_clISt17integral_constantIbLb0EES10_IbLb1EEEEDaSW_SX_EUlSW_E_NS1_11comp_targetILNS1_3genE0ELNS1_11target_archE4294967295ELNS1_3gpuE0ELNS1_3repE0EEENS1_30default_config_static_selectorELNS0_4arch9wavefront6targetE0EEEvT1_.kd
    .uniform_work_group_size: 1
    .uses_dynamic_stack: false
    .vgpr_count:     0
    .vgpr_spill_count: 0
    .wavefront_size: 32
    .workgroup_processor_mode: 1
  - .args:
      - .offset:         0
        .size:           136
        .value_kind:     by_value
    .group_segment_fixed_size: 0
    .kernarg_segment_align: 8
    .kernarg_segment_size: 136
    .language:       OpenCL C
    .language_version:
      - 2
      - 0
    .max_flat_workgroup_size: 256
    .name:           _ZN7rocprim17ROCPRIM_400000_NS6detail17trampoline_kernelINS0_14default_configENS1_29reduce_by_key_config_selectorIxxN6thrust23THRUST_200600_302600_NS4plusIxEEEEZZNS1_33reduce_by_key_impl_wrapped_configILNS1_25lookback_scan_determinismE0ES3_S9_NS6_6detail15normal_iteratorINS6_10device_ptrIxEEEESG_SG_SG_PmS8_22is_equal_div_10_reduceIxEEE10hipError_tPvRmT2_T3_mT4_T5_T6_T7_T8_P12ihipStream_tbENKUlT_T0_E_clISt17integral_constantIbLb0EES10_IbLb1EEEEDaSW_SX_EUlSW_E_NS1_11comp_targetILNS1_3genE5ELNS1_11target_archE942ELNS1_3gpuE9ELNS1_3repE0EEENS1_30default_config_static_selectorELNS0_4arch9wavefront6targetE0EEEvT1_
    .private_segment_fixed_size: 0
    .sgpr_count:     0
    .sgpr_spill_count: 0
    .symbol:         _ZN7rocprim17ROCPRIM_400000_NS6detail17trampoline_kernelINS0_14default_configENS1_29reduce_by_key_config_selectorIxxN6thrust23THRUST_200600_302600_NS4plusIxEEEEZZNS1_33reduce_by_key_impl_wrapped_configILNS1_25lookback_scan_determinismE0ES3_S9_NS6_6detail15normal_iteratorINS6_10device_ptrIxEEEESG_SG_SG_PmS8_22is_equal_div_10_reduceIxEEE10hipError_tPvRmT2_T3_mT4_T5_T6_T7_T8_P12ihipStream_tbENKUlT_T0_E_clISt17integral_constantIbLb0EES10_IbLb1EEEEDaSW_SX_EUlSW_E_NS1_11comp_targetILNS1_3genE5ELNS1_11target_archE942ELNS1_3gpuE9ELNS1_3repE0EEENS1_30default_config_static_selectorELNS0_4arch9wavefront6targetE0EEEvT1_.kd
    .uniform_work_group_size: 1
    .uses_dynamic_stack: false
    .vgpr_count:     0
    .vgpr_spill_count: 0
    .wavefront_size: 32
    .workgroup_processor_mode: 1
  - .args:
      - .offset:         0
        .size:           136
        .value_kind:     by_value
    .group_segment_fixed_size: 0
    .kernarg_segment_align: 8
    .kernarg_segment_size: 136
    .language:       OpenCL C
    .language_version:
      - 2
      - 0
    .max_flat_workgroup_size: 256
    .name:           _ZN7rocprim17ROCPRIM_400000_NS6detail17trampoline_kernelINS0_14default_configENS1_29reduce_by_key_config_selectorIxxN6thrust23THRUST_200600_302600_NS4plusIxEEEEZZNS1_33reduce_by_key_impl_wrapped_configILNS1_25lookback_scan_determinismE0ES3_S9_NS6_6detail15normal_iteratorINS6_10device_ptrIxEEEESG_SG_SG_PmS8_22is_equal_div_10_reduceIxEEE10hipError_tPvRmT2_T3_mT4_T5_T6_T7_T8_P12ihipStream_tbENKUlT_T0_E_clISt17integral_constantIbLb0EES10_IbLb1EEEEDaSW_SX_EUlSW_E_NS1_11comp_targetILNS1_3genE4ELNS1_11target_archE910ELNS1_3gpuE8ELNS1_3repE0EEENS1_30default_config_static_selectorELNS0_4arch9wavefront6targetE0EEEvT1_
    .private_segment_fixed_size: 0
    .sgpr_count:     0
    .sgpr_spill_count: 0
    .symbol:         _ZN7rocprim17ROCPRIM_400000_NS6detail17trampoline_kernelINS0_14default_configENS1_29reduce_by_key_config_selectorIxxN6thrust23THRUST_200600_302600_NS4plusIxEEEEZZNS1_33reduce_by_key_impl_wrapped_configILNS1_25lookback_scan_determinismE0ES3_S9_NS6_6detail15normal_iteratorINS6_10device_ptrIxEEEESG_SG_SG_PmS8_22is_equal_div_10_reduceIxEEE10hipError_tPvRmT2_T3_mT4_T5_T6_T7_T8_P12ihipStream_tbENKUlT_T0_E_clISt17integral_constantIbLb0EES10_IbLb1EEEEDaSW_SX_EUlSW_E_NS1_11comp_targetILNS1_3genE4ELNS1_11target_archE910ELNS1_3gpuE8ELNS1_3repE0EEENS1_30default_config_static_selectorELNS0_4arch9wavefront6targetE0EEEvT1_.kd
    .uniform_work_group_size: 1
    .uses_dynamic_stack: false
    .vgpr_count:     0
    .vgpr_spill_count: 0
    .wavefront_size: 32
    .workgroup_processor_mode: 1
  - .args:
      - .offset:         0
        .size:           136
        .value_kind:     by_value
    .group_segment_fixed_size: 0
    .kernarg_segment_align: 8
    .kernarg_segment_size: 136
    .language:       OpenCL C
    .language_version:
      - 2
      - 0
    .max_flat_workgroup_size: 256
    .name:           _ZN7rocprim17ROCPRIM_400000_NS6detail17trampoline_kernelINS0_14default_configENS1_29reduce_by_key_config_selectorIxxN6thrust23THRUST_200600_302600_NS4plusIxEEEEZZNS1_33reduce_by_key_impl_wrapped_configILNS1_25lookback_scan_determinismE0ES3_S9_NS6_6detail15normal_iteratorINS6_10device_ptrIxEEEESG_SG_SG_PmS8_22is_equal_div_10_reduceIxEEE10hipError_tPvRmT2_T3_mT4_T5_T6_T7_T8_P12ihipStream_tbENKUlT_T0_E_clISt17integral_constantIbLb0EES10_IbLb1EEEEDaSW_SX_EUlSW_E_NS1_11comp_targetILNS1_3genE3ELNS1_11target_archE908ELNS1_3gpuE7ELNS1_3repE0EEENS1_30default_config_static_selectorELNS0_4arch9wavefront6targetE0EEEvT1_
    .private_segment_fixed_size: 0
    .sgpr_count:     0
    .sgpr_spill_count: 0
    .symbol:         _ZN7rocprim17ROCPRIM_400000_NS6detail17trampoline_kernelINS0_14default_configENS1_29reduce_by_key_config_selectorIxxN6thrust23THRUST_200600_302600_NS4plusIxEEEEZZNS1_33reduce_by_key_impl_wrapped_configILNS1_25lookback_scan_determinismE0ES3_S9_NS6_6detail15normal_iteratorINS6_10device_ptrIxEEEESG_SG_SG_PmS8_22is_equal_div_10_reduceIxEEE10hipError_tPvRmT2_T3_mT4_T5_T6_T7_T8_P12ihipStream_tbENKUlT_T0_E_clISt17integral_constantIbLb0EES10_IbLb1EEEEDaSW_SX_EUlSW_E_NS1_11comp_targetILNS1_3genE3ELNS1_11target_archE908ELNS1_3gpuE7ELNS1_3repE0EEENS1_30default_config_static_selectorELNS0_4arch9wavefront6targetE0EEEvT1_.kd
    .uniform_work_group_size: 1
    .uses_dynamic_stack: false
    .vgpr_count:     0
    .vgpr_spill_count: 0
    .wavefront_size: 32
    .workgroup_processor_mode: 1
  - .args:
      - .offset:         0
        .size:           136
        .value_kind:     by_value
    .group_segment_fixed_size: 0
    .kernarg_segment_align: 8
    .kernarg_segment_size: 136
    .language:       OpenCL C
    .language_version:
      - 2
      - 0
    .max_flat_workgroup_size: 256
    .name:           _ZN7rocprim17ROCPRIM_400000_NS6detail17trampoline_kernelINS0_14default_configENS1_29reduce_by_key_config_selectorIxxN6thrust23THRUST_200600_302600_NS4plusIxEEEEZZNS1_33reduce_by_key_impl_wrapped_configILNS1_25lookback_scan_determinismE0ES3_S9_NS6_6detail15normal_iteratorINS6_10device_ptrIxEEEESG_SG_SG_PmS8_22is_equal_div_10_reduceIxEEE10hipError_tPvRmT2_T3_mT4_T5_T6_T7_T8_P12ihipStream_tbENKUlT_T0_E_clISt17integral_constantIbLb0EES10_IbLb1EEEEDaSW_SX_EUlSW_E_NS1_11comp_targetILNS1_3genE2ELNS1_11target_archE906ELNS1_3gpuE6ELNS1_3repE0EEENS1_30default_config_static_selectorELNS0_4arch9wavefront6targetE0EEEvT1_
    .private_segment_fixed_size: 0
    .sgpr_count:     0
    .sgpr_spill_count: 0
    .symbol:         _ZN7rocprim17ROCPRIM_400000_NS6detail17trampoline_kernelINS0_14default_configENS1_29reduce_by_key_config_selectorIxxN6thrust23THRUST_200600_302600_NS4plusIxEEEEZZNS1_33reduce_by_key_impl_wrapped_configILNS1_25lookback_scan_determinismE0ES3_S9_NS6_6detail15normal_iteratorINS6_10device_ptrIxEEEESG_SG_SG_PmS8_22is_equal_div_10_reduceIxEEE10hipError_tPvRmT2_T3_mT4_T5_T6_T7_T8_P12ihipStream_tbENKUlT_T0_E_clISt17integral_constantIbLb0EES10_IbLb1EEEEDaSW_SX_EUlSW_E_NS1_11comp_targetILNS1_3genE2ELNS1_11target_archE906ELNS1_3gpuE6ELNS1_3repE0EEENS1_30default_config_static_selectorELNS0_4arch9wavefront6targetE0EEEvT1_.kd
    .uniform_work_group_size: 1
    .uses_dynamic_stack: false
    .vgpr_count:     0
    .vgpr_spill_count: 0
    .wavefront_size: 32
    .workgroup_processor_mode: 1
  - .args:
      - .offset:         0
        .size:           136
        .value_kind:     by_value
    .group_segment_fixed_size: 0
    .kernarg_segment_align: 8
    .kernarg_segment_size: 136
    .language:       OpenCL C
    .language_version:
      - 2
      - 0
    .max_flat_workgroup_size: 256
    .name:           _ZN7rocprim17ROCPRIM_400000_NS6detail17trampoline_kernelINS0_14default_configENS1_29reduce_by_key_config_selectorIxxN6thrust23THRUST_200600_302600_NS4plusIxEEEEZZNS1_33reduce_by_key_impl_wrapped_configILNS1_25lookback_scan_determinismE0ES3_S9_NS6_6detail15normal_iteratorINS6_10device_ptrIxEEEESG_SG_SG_PmS8_22is_equal_div_10_reduceIxEEE10hipError_tPvRmT2_T3_mT4_T5_T6_T7_T8_P12ihipStream_tbENKUlT_T0_E_clISt17integral_constantIbLb0EES10_IbLb1EEEEDaSW_SX_EUlSW_E_NS1_11comp_targetILNS1_3genE10ELNS1_11target_archE1201ELNS1_3gpuE5ELNS1_3repE0EEENS1_30default_config_static_selectorELNS0_4arch9wavefront6targetE0EEEvT1_
    .private_segment_fixed_size: 0
    .sgpr_count:     0
    .sgpr_spill_count: 0
    .symbol:         _ZN7rocprim17ROCPRIM_400000_NS6detail17trampoline_kernelINS0_14default_configENS1_29reduce_by_key_config_selectorIxxN6thrust23THRUST_200600_302600_NS4plusIxEEEEZZNS1_33reduce_by_key_impl_wrapped_configILNS1_25lookback_scan_determinismE0ES3_S9_NS6_6detail15normal_iteratorINS6_10device_ptrIxEEEESG_SG_SG_PmS8_22is_equal_div_10_reduceIxEEE10hipError_tPvRmT2_T3_mT4_T5_T6_T7_T8_P12ihipStream_tbENKUlT_T0_E_clISt17integral_constantIbLb0EES10_IbLb1EEEEDaSW_SX_EUlSW_E_NS1_11comp_targetILNS1_3genE10ELNS1_11target_archE1201ELNS1_3gpuE5ELNS1_3repE0EEENS1_30default_config_static_selectorELNS0_4arch9wavefront6targetE0EEEvT1_.kd
    .uniform_work_group_size: 1
    .uses_dynamic_stack: false
    .vgpr_count:     0
    .vgpr_spill_count: 0
    .wavefront_size: 32
    .workgroup_processor_mode: 1
  - .args:
      - .offset:         0
        .size:           136
        .value_kind:     by_value
    .group_segment_fixed_size: 0
    .kernarg_segment_align: 8
    .kernarg_segment_size: 136
    .language:       OpenCL C
    .language_version:
      - 2
      - 0
    .max_flat_workgroup_size: 256
    .name:           _ZN7rocprim17ROCPRIM_400000_NS6detail17trampoline_kernelINS0_14default_configENS1_29reduce_by_key_config_selectorIxxN6thrust23THRUST_200600_302600_NS4plusIxEEEEZZNS1_33reduce_by_key_impl_wrapped_configILNS1_25lookback_scan_determinismE0ES3_S9_NS6_6detail15normal_iteratorINS6_10device_ptrIxEEEESG_SG_SG_PmS8_22is_equal_div_10_reduceIxEEE10hipError_tPvRmT2_T3_mT4_T5_T6_T7_T8_P12ihipStream_tbENKUlT_T0_E_clISt17integral_constantIbLb0EES10_IbLb1EEEEDaSW_SX_EUlSW_E_NS1_11comp_targetILNS1_3genE10ELNS1_11target_archE1200ELNS1_3gpuE4ELNS1_3repE0EEENS1_30default_config_static_selectorELNS0_4arch9wavefront6targetE0EEEvT1_
    .private_segment_fixed_size: 0
    .sgpr_count:     0
    .sgpr_spill_count: 0
    .symbol:         _ZN7rocprim17ROCPRIM_400000_NS6detail17trampoline_kernelINS0_14default_configENS1_29reduce_by_key_config_selectorIxxN6thrust23THRUST_200600_302600_NS4plusIxEEEEZZNS1_33reduce_by_key_impl_wrapped_configILNS1_25lookback_scan_determinismE0ES3_S9_NS6_6detail15normal_iteratorINS6_10device_ptrIxEEEESG_SG_SG_PmS8_22is_equal_div_10_reduceIxEEE10hipError_tPvRmT2_T3_mT4_T5_T6_T7_T8_P12ihipStream_tbENKUlT_T0_E_clISt17integral_constantIbLb0EES10_IbLb1EEEEDaSW_SX_EUlSW_E_NS1_11comp_targetILNS1_3genE10ELNS1_11target_archE1200ELNS1_3gpuE4ELNS1_3repE0EEENS1_30default_config_static_selectorELNS0_4arch9wavefront6targetE0EEEvT1_.kd
    .uniform_work_group_size: 1
    .uses_dynamic_stack: false
    .vgpr_count:     0
    .vgpr_spill_count: 0
    .wavefront_size: 32
    .workgroup_processor_mode: 1
  - .args:
      - .offset:         0
        .size:           136
        .value_kind:     by_value
    .group_segment_fixed_size: 30720
    .kernarg_segment_align: 8
    .kernarg_segment_size: 136
    .language:       OpenCL C
    .language_version:
      - 2
      - 0
    .max_flat_workgroup_size: 256
    .name:           _ZN7rocprim17ROCPRIM_400000_NS6detail17trampoline_kernelINS0_14default_configENS1_29reduce_by_key_config_selectorIxxN6thrust23THRUST_200600_302600_NS4plusIxEEEEZZNS1_33reduce_by_key_impl_wrapped_configILNS1_25lookback_scan_determinismE0ES3_S9_NS6_6detail15normal_iteratorINS6_10device_ptrIxEEEESG_SG_SG_PmS8_22is_equal_div_10_reduceIxEEE10hipError_tPvRmT2_T3_mT4_T5_T6_T7_T8_P12ihipStream_tbENKUlT_T0_E_clISt17integral_constantIbLb0EES10_IbLb1EEEEDaSW_SX_EUlSW_E_NS1_11comp_targetILNS1_3genE9ELNS1_11target_archE1100ELNS1_3gpuE3ELNS1_3repE0EEENS1_30default_config_static_selectorELNS0_4arch9wavefront6targetE0EEEvT1_
    .private_segment_fixed_size: 0
    .sgpr_count:     54
    .sgpr_spill_count: 0
    .symbol:         _ZN7rocprim17ROCPRIM_400000_NS6detail17trampoline_kernelINS0_14default_configENS1_29reduce_by_key_config_selectorIxxN6thrust23THRUST_200600_302600_NS4plusIxEEEEZZNS1_33reduce_by_key_impl_wrapped_configILNS1_25lookback_scan_determinismE0ES3_S9_NS6_6detail15normal_iteratorINS6_10device_ptrIxEEEESG_SG_SG_PmS8_22is_equal_div_10_reduceIxEEE10hipError_tPvRmT2_T3_mT4_T5_T6_T7_T8_P12ihipStream_tbENKUlT_T0_E_clISt17integral_constantIbLb0EES10_IbLb1EEEEDaSW_SX_EUlSW_E_NS1_11comp_targetILNS1_3genE9ELNS1_11target_archE1100ELNS1_3gpuE3ELNS1_3repE0EEENS1_30default_config_static_selectorELNS0_4arch9wavefront6targetE0EEEvT1_.kd
    .uniform_work_group_size: 1
    .uses_dynamic_stack: false
    .vgpr_count:     120
    .vgpr_spill_count: 0
    .wavefront_size: 32
    .workgroup_processor_mode: 1
  - .args:
      - .offset:         0
        .size:           136
        .value_kind:     by_value
    .group_segment_fixed_size: 0
    .kernarg_segment_align: 8
    .kernarg_segment_size: 136
    .language:       OpenCL C
    .language_version:
      - 2
      - 0
    .max_flat_workgroup_size: 256
    .name:           _ZN7rocprim17ROCPRIM_400000_NS6detail17trampoline_kernelINS0_14default_configENS1_29reduce_by_key_config_selectorIxxN6thrust23THRUST_200600_302600_NS4plusIxEEEEZZNS1_33reduce_by_key_impl_wrapped_configILNS1_25lookback_scan_determinismE0ES3_S9_NS6_6detail15normal_iteratorINS6_10device_ptrIxEEEESG_SG_SG_PmS8_22is_equal_div_10_reduceIxEEE10hipError_tPvRmT2_T3_mT4_T5_T6_T7_T8_P12ihipStream_tbENKUlT_T0_E_clISt17integral_constantIbLb0EES10_IbLb1EEEEDaSW_SX_EUlSW_E_NS1_11comp_targetILNS1_3genE8ELNS1_11target_archE1030ELNS1_3gpuE2ELNS1_3repE0EEENS1_30default_config_static_selectorELNS0_4arch9wavefront6targetE0EEEvT1_
    .private_segment_fixed_size: 0
    .sgpr_count:     0
    .sgpr_spill_count: 0
    .symbol:         _ZN7rocprim17ROCPRIM_400000_NS6detail17trampoline_kernelINS0_14default_configENS1_29reduce_by_key_config_selectorIxxN6thrust23THRUST_200600_302600_NS4plusIxEEEEZZNS1_33reduce_by_key_impl_wrapped_configILNS1_25lookback_scan_determinismE0ES3_S9_NS6_6detail15normal_iteratorINS6_10device_ptrIxEEEESG_SG_SG_PmS8_22is_equal_div_10_reduceIxEEE10hipError_tPvRmT2_T3_mT4_T5_T6_T7_T8_P12ihipStream_tbENKUlT_T0_E_clISt17integral_constantIbLb0EES10_IbLb1EEEEDaSW_SX_EUlSW_E_NS1_11comp_targetILNS1_3genE8ELNS1_11target_archE1030ELNS1_3gpuE2ELNS1_3repE0EEENS1_30default_config_static_selectorELNS0_4arch9wavefront6targetE0EEEvT1_.kd
    .uniform_work_group_size: 1
    .uses_dynamic_stack: false
    .vgpr_count:     0
    .vgpr_spill_count: 0
    .wavefront_size: 32
    .workgroup_processor_mode: 1
  - .args:
      - .address_space:  global
        .offset:         0
        .size:           8
        .value_kind:     global_buffer
      - .offset:         8
        .size:           4
        .value_kind:     by_value
      - .offset:         12
        .size:           1
        .value_kind:     by_value
      - .offset:         16
        .size:           4
        .value_kind:     by_value
      - .address_space:  global
        .offset:         24
        .size:           8
        .value_kind:     global_buffer
      - .address_space:  global
        .offset:         32
        .size:           8
        .value_kind:     global_buffer
      - .offset:         40
        .size:           1
        .value_kind:     by_value
      - .offset:         48
        .size:           4
        .value_kind:     hidden_block_count_x
      - .offset:         52
        .size:           4
        .value_kind:     hidden_block_count_y
      - .offset:         56
        .size:           4
        .value_kind:     hidden_block_count_z
      - .offset:         60
        .size:           2
        .value_kind:     hidden_group_size_x
      - .offset:         62
        .size:           2
        .value_kind:     hidden_group_size_y
      - .offset:         64
        .size:           2
        .value_kind:     hidden_group_size_z
      - .offset:         66
        .size:           2
        .value_kind:     hidden_remainder_x
      - .offset:         68
        .size:           2
        .value_kind:     hidden_remainder_y
      - .offset:         70
        .size:           2
        .value_kind:     hidden_remainder_z
      - .offset:         88
        .size:           8
        .value_kind:     hidden_global_offset_x
      - .offset:         96
        .size:           8
        .value_kind:     hidden_global_offset_y
      - .offset:         104
        .size:           8
        .value_kind:     hidden_global_offset_z
      - .offset:         112
        .size:           2
        .value_kind:     hidden_grid_dims
    .group_segment_fixed_size: 0
    .kernarg_segment_align: 8
    .kernarg_segment_size: 304
    .language:       OpenCL C
    .language_version:
      - 2
      - 0
    .max_flat_workgroup_size: 256
    .name:           _ZN7rocprim17ROCPRIM_400000_NS6detail25reduce_by_key_init_kernelINS1_19lookback_scan_stateINS0_5tupleIJjiEEELb0ELb1EEEiNS1_16block_id_wrapperIjLb0EEEEEvT_jbjPmPT0_T1_
    .private_segment_fixed_size: 0
    .sgpr_count:     18
    .sgpr_spill_count: 0
    .symbol:         _ZN7rocprim17ROCPRIM_400000_NS6detail25reduce_by_key_init_kernelINS1_19lookback_scan_stateINS0_5tupleIJjiEEELb0ELb1EEEiNS1_16block_id_wrapperIjLb0EEEEEvT_jbjPmPT0_T1_.kd
    .uniform_work_group_size: 1
    .uses_dynamic_stack: false
    .vgpr_count:     9
    .vgpr_spill_count: 0
    .wavefront_size: 32
    .workgroup_processor_mode: 1
  - .args:
      - .offset:         0
        .size:           120
        .value_kind:     by_value
    .group_segment_fixed_size: 0
    .kernarg_segment_align: 8
    .kernarg_segment_size: 120
    .language:       OpenCL C
    .language_version:
      - 2
      - 0
    .max_flat_workgroup_size: 256
    .name:           _ZN7rocprim17ROCPRIM_400000_NS6detail17trampoline_kernelINS0_14default_configENS1_29reduce_by_key_config_selectorIiiN6thrust23THRUST_200600_302600_NS4plusIiEEEEZZNS1_33reduce_by_key_impl_wrapped_configILNS1_25lookback_scan_determinismE0ES3_S9_NS6_6detail15normal_iteratorINS6_10device_ptrIiEEEESG_SG_SG_PmS8_NS6_8equal_toIiEEEE10hipError_tPvRmT2_T3_mT4_T5_T6_T7_T8_P12ihipStream_tbENKUlT_T0_E_clISt17integral_constantIbLb0EES11_EEDaSW_SX_EUlSW_E_NS1_11comp_targetILNS1_3genE0ELNS1_11target_archE4294967295ELNS1_3gpuE0ELNS1_3repE0EEENS1_30default_config_static_selectorELNS0_4arch9wavefront6targetE0EEEvT1_
    .private_segment_fixed_size: 0
    .sgpr_count:     0
    .sgpr_spill_count: 0
    .symbol:         _ZN7rocprim17ROCPRIM_400000_NS6detail17trampoline_kernelINS0_14default_configENS1_29reduce_by_key_config_selectorIiiN6thrust23THRUST_200600_302600_NS4plusIiEEEEZZNS1_33reduce_by_key_impl_wrapped_configILNS1_25lookback_scan_determinismE0ES3_S9_NS6_6detail15normal_iteratorINS6_10device_ptrIiEEEESG_SG_SG_PmS8_NS6_8equal_toIiEEEE10hipError_tPvRmT2_T3_mT4_T5_T6_T7_T8_P12ihipStream_tbENKUlT_T0_E_clISt17integral_constantIbLb0EES11_EEDaSW_SX_EUlSW_E_NS1_11comp_targetILNS1_3genE0ELNS1_11target_archE4294967295ELNS1_3gpuE0ELNS1_3repE0EEENS1_30default_config_static_selectorELNS0_4arch9wavefront6targetE0EEEvT1_.kd
    .uniform_work_group_size: 1
    .uses_dynamic_stack: false
    .vgpr_count:     0
    .vgpr_spill_count: 0
    .wavefront_size: 32
    .workgroup_processor_mode: 1
  - .args:
      - .offset:         0
        .size:           120
        .value_kind:     by_value
    .group_segment_fixed_size: 0
    .kernarg_segment_align: 8
    .kernarg_segment_size: 120
    .language:       OpenCL C
    .language_version:
      - 2
      - 0
    .max_flat_workgroup_size: 256
    .name:           _ZN7rocprim17ROCPRIM_400000_NS6detail17trampoline_kernelINS0_14default_configENS1_29reduce_by_key_config_selectorIiiN6thrust23THRUST_200600_302600_NS4plusIiEEEEZZNS1_33reduce_by_key_impl_wrapped_configILNS1_25lookback_scan_determinismE0ES3_S9_NS6_6detail15normal_iteratorINS6_10device_ptrIiEEEESG_SG_SG_PmS8_NS6_8equal_toIiEEEE10hipError_tPvRmT2_T3_mT4_T5_T6_T7_T8_P12ihipStream_tbENKUlT_T0_E_clISt17integral_constantIbLb0EES11_EEDaSW_SX_EUlSW_E_NS1_11comp_targetILNS1_3genE5ELNS1_11target_archE942ELNS1_3gpuE9ELNS1_3repE0EEENS1_30default_config_static_selectorELNS0_4arch9wavefront6targetE0EEEvT1_
    .private_segment_fixed_size: 0
    .sgpr_count:     0
    .sgpr_spill_count: 0
    .symbol:         _ZN7rocprim17ROCPRIM_400000_NS6detail17trampoline_kernelINS0_14default_configENS1_29reduce_by_key_config_selectorIiiN6thrust23THRUST_200600_302600_NS4plusIiEEEEZZNS1_33reduce_by_key_impl_wrapped_configILNS1_25lookback_scan_determinismE0ES3_S9_NS6_6detail15normal_iteratorINS6_10device_ptrIiEEEESG_SG_SG_PmS8_NS6_8equal_toIiEEEE10hipError_tPvRmT2_T3_mT4_T5_T6_T7_T8_P12ihipStream_tbENKUlT_T0_E_clISt17integral_constantIbLb0EES11_EEDaSW_SX_EUlSW_E_NS1_11comp_targetILNS1_3genE5ELNS1_11target_archE942ELNS1_3gpuE9ELNS1_3repE0EEENS1_30default_config_static_selectorELNS0_4arch9wavefront6targetE0EEEvT1_.kd
    .uniform_work_group_size: 1
    .uses_dynamic_stack: false
    .vgpr_count:     0
    .vgpr_spill_count: 0
    .wavefront_size: 32
    .workgroup_processor_mode: 1
  - .args:
      - .offset:         0
        .size:           120
        .value_kind:     by_value
    .group_segment_fixed_size: 0
    .kernarg_segment_align: 8
    .kernarg_segment_size: 120
    .language:       OpenCL C
    .language_version:
      - 2
      - 0
    .max_flat_workgroup_size: 256
    .name:           _ZN7rocprim17ROCPRIM_400000_NS6detail17trampoline_kernelINS0_14default_configENS1_29reduce_by_key_config_selectorIiiN6thrust23THRUST_200600_302600_NS4plusIiEEEEZZNS1_33reduce_by_key_impl_wrapped_configILNS1_25lookback_scan_determinismE0ES3_S9_NS6_6detail15normal_iteratorINS6_10device_ptrIiEEEESG_SG_SG_PmS8_NS6_8equal_toIiEEEE10hipError_tPvRmT2_T3_mT4_T5_T6_T7_T8_P12ihipStream_tbENKUlT_T0_E_clISt17integral_constantIbLb0EES11_EEDaSW_SX_EUlSW_E_NS1_11comp_targetILNS1_3genE4ELNS1_11target_archE910ELNS1_3gpuE8ELNS1_3repE0EEENS1_30default_config_static_selectorELNS0_4arch9wavefront6targetE0EEEvT1_
    .private_segment_fixed_size: 0
    .sgpr_count:     0
    .sgpr_spill_count: 0
    .symbol:         _ZN7rocprim17ROCPRIM_400000_NS6detail17trampoline_kernelINS0_14default_configENS1_29reduce_by_key_config_selectorIiiN6thrust23THRUST_200600_302600_NS4plusIiEEEEZZNS1_33reduce_by_key_impl_wrapped_configILNS1_25lookback_scan_determinismE0ES3_S9_NS6_6detail15normal_iteratorINS6_10device_ptrIiEEEESG_SG_SG_PmS8_NS6_8equal_toIiEEEE10hipError_tPvRmT2_T3_mT4_T5_T6_T7_T8_P12ihipStream_tbENKUlT_T0_E_clISt17integral_constantIbLb0EES11_EEDaSW_SX_EUlSW_E_NS1_11comp_targetILNS1_3genE4ELNS1_11target_archE910ELNS1_3gpuE8ELNS1_3repE0EEENS1_30default_config_static_selectorELNS0_4arch9wavefront6targetE0EEEvT1_.kd
    .uniform_work_group_size: 1
    .uses_dynamic_stack: false
    .vgpr_count:     0
    .vgpr_spill_count: 0
    .wavefront_size: 32
    .workgroup_processor_mode: 1
  - .args:
      - .offset:         0
        .size:           120
        .value_kind:     by_value
    .group_segment_fixed_size: 0
    .kernarg_segment_align: 8
    .kernarg_segment_size: 120
    .language:       OpenCL C
    .language_version:
      - 2
      - 0
    .max_flat_workgroup_size: 256
    .name:           _ZN7rocprim17ROCPRIM_400000_NS6detail17trampoline_kernelINS0_14default_configENS1_29reduce_by_key_config_selectorIiiN6thrust23THRUST_200600_302600_NS4plusIiEEEEZZNS1_33reduce_by_key_impl_wrapped_configILNS1_25lookback_scan_determinismE0ES3_S9_NS6_6detail15normal_iteratorINS6_10device_ptrIiEEEESG_SG_SG_PmS8_NS6_8equal_toIiEEEE10hipError_tPvRmT2_T3_mT4_T5_T6_T7_T8_P12ihipStream_tbENKUlT_T0_E_clISt17integral_constantIbLb0EES11_EEDaSW_SX_EUlSW_E_NS1_11comp_targetILNS1_3genE3ELNS1_11target_archE908ELNS1_3gpuE7ELNS1_3repE0EEENS1_30default_config_static_selectorELNS0_4arch9wavefront6targetE0EEEvT1_
    .private_segment_fixed_size: 0
    .sgpr_count:     0
    .sgpr_spill_count: 0
    .symbol:         _ZN7rocprim17ROCPRIM_400000_NS6detail17trampoline_kernelINS0_14default_configENS1_29reduce_by_key_config_selectorIiiN6thrust23THRUST_200600_302600_NS4plusIiEEEEZZNS1_33reduce_by_key_impl_wrapped_configILNS1_25lookback_scan_determinismE0ES3_S9_NS6_6detail15normal_iteratorINS6_10device_ptrIiEEEESG_SG_SG_PmS8_NS6_8equal_toIiEEEE10hipError_tPvRmT2_T3_mT4_T5_T6_T7_T8_P12ihipStream_tbENKUlT_T0_E_clISt17integral_constantIbLb0EES11_EEDaSW_SX_EUlSW_E_NS1_11comp_targetILNS1_3genE3ELNS1_11target_archE908ELNS1_3gpuE7ELNS1_3repE0EEENS1_30default_config_static_selectorELNS0_4arch9wavefront6targetE0EEEvT1_.kd
    .uniform_work_group_size: 1
    .uses_dynamic_stack: false
    .vgpr_count:     0
    .vgpr_spill_count: 0
    .wavefront_size: 32
    .workgroup_processor_mode: 1
  - .args:
      - .offset:         0
        .size:           120
        .value_kind:     by_value
    .group_segment_fixed_size: 0
    .kernarg_segment_align: 8
    .kernarg_segment_size: 120
    .language:       OpenCL C
    .language_version:
      - 2
      - 0
    .max_flat_workgroup_size: 256
    .name:           _ZN7rocprim17ROCPRIM_400000_NS6detail17trampoline_kernelINS0_14default_configENS1_29reduce_by_key_config_selectorIiiN6thrust23THRUST_200600_302600_NS4plusIiEEEEZZNS1_33reduce_by_key_impl_wrapped_configILNS1_25lookback_scan_determinismE0ES3_S9_NS6_6detail15normal_iteratorINS6_10device_ptrIiEEEESG_SG_SG_PmS8_NS6_8equal_toIiEEEE10hipError_tPvRmT2_T3_mT4_T5_T6_T7_T8_P12ihipStream_tbENKUlT_T0_E_clISt17integral_constantIbLb0EES11_EEDaSW_SX_EUlSW_E_NS1_11comp_targetILNS1_3genE2ELNS1_11target_archE906ELNS1_3gpuE6ELNS1_3repE0EEENS1_30default_config_static_selectorELNS0_4arch9wavefront6targetE0EEEvT1_
    .private_segment_fixed_size: 0
    .sgpr_count:     0
    .sgpr_spill_count: 0
    .symbol:         _ZN7rocprim17ROCPRIM_400000_NS6detail17trampoline_kernelINS0_14default_configENS1_29reduce_by_key_config_selectorIiiN6thrust23THRUST_200600_302600_NS4plusIiEEEEZZNS1_33reduce_by_key_impl_wrapped_configILNS1_25lookback_scan_determinismE0ES3_S9_NS6_6detail15normal_iteratorINS6_10device_ptrIiEEEESG_SG_SG_PmS8_NS6_8equal_toIiEEEE10hipError_tPvRmT2_T3_mT4_T5_T6_T7_T8_P12ihipStream_tbENKUlT_T0_E_clISt17integral_constantIbLb0EES11_EEDaSW_SX_EUlSW_E_NS1_11comp_targetILNS1_3genE2ELNS1_11target_archE906ELNS1_3gpuE6ELNS1_3repE0EEENS1_30default_config_static_selectorELNS0_4arch9wavefront6targetE0EEEvT1_.kd
    .uniform_work_group_size: 1
    .uses_dynamic_stack: false
    .vgpr_count:     0
    .vgpr_spill_count: 0
    .wavefront_size: 32
    .workgroup_processor_mode: 1
  - .args:
      - .offset:         0
        .size:           120
        .value_kind:     by_value
    .group_segment_fixed_size: 0
    .kernarg_segment_align: 8
    .kernarg_segment_size: 120
    .language:       OpenCL C
    .language_version:
      - 2
      - 0
    .max_flat_workgroup_size: 256
    .name:           _ZN7rocprim17ROCPRIM_400000_NS6detail17trampoline_kernelINS0_14default_configENS1_29reduce_by_key_config_selectorIiiN6thrust23THRUST_200600_302600_NS4plusIiEEEEZZNS1_33reduce_by_key_impl_wrapped_configILNS1_25lookback_scan_determinismE0ES3_S9_NS6_6detail15normal_iteratorINS6_10device_ptrIiEEEESG_SG_SG_PmS8_NS6_8equal_toIiEEEE10hipError_tPvRmT2_T3_mT4_T5_T6_T7_T8_P12ihipStream_tbENKUlT_T0_E_clISt17integral_constantIbLb0EES11_EEDaSW_SX_EUlSW_E_NS1_11comp_targetILNS1_3genE10ELNS1_11target_archE1201ELNS1_3gpuE5ELNS1_3repE0EEENS1_30default_config_static_selectorELNS0_4arch9wavefront6targetE0EEEvT1_
    .private_segment_fixed_size: 0
    .sgpr_count:     0
    .sgpr_spill_count: 0
    .symbol:         _ZN7rocprim17ROCPRIM_400000_NS6detail17trampoline_kernelINS0_14default_configENS1_29reduce_by_key_config_selectorIiiN6thrust23THRUST_200600_302600_NS4plusIiEEEEZZNS1_33reduce_by_key_impl_wrapped_configILNS1_25lookback_scan_determinismE0ES3_S9_NS6_6detail15normal_iteratorINS6_10device_ptrIiEEEESG_SG_SG_PmS8_NS6_8equal_toIiEEEE10hipError_tPvRmT2_T3_mT4_T5_T6_T7_T8_P12ihipStream_tbENKUlT_T0_E_clISt17integral_constantIbLb0EES11_EEDaSW_SX_EUlSW_E_NS1_11comp_targetILNS1_3genE10ELNS1_11target_archE1201ELNS1_3gpuE5ELNS1_3repE0EEENS1_30default_config_static_selectorELNS0_4arch9wavefront6targetE0EEEvT1_.kd
    .uniform_work_group_size: 1
    .uses_dynamic_stack: false
    .vgpr_count:     0
    .vgpr_spill_count: 0
    .wavefront_size: 32
    .workgroup_processor_mode: 1
  - .args:
      - .offset:         0
        .size:           120
        .value_kind:     by_value
    .group_segment_fixed_size: 0
    .kernarg_segment_align: 8
    .kernarg_segment_size: 120
    .language:       OpenCL C
    .language_version:
      - 2
      - 0
    .max_flat_workgroup_size: 256
    .name:           _ZN7rocprim17ROCPRIM_400000_NS6detail17trampoline_kernelINS0_14default_configENS1_29reduce_by_key_config_selectorIiiN6thrust23THRUST_200600_302600_NS4plusIiEEEEZZNS1_33reduce_by_key_impl_wrapped_configILNS1_25lookback_scan_determinismE0ES3_S9_NS6_6detail15normal_iteratorINS6_10device_ptrIiEEEESG_SG_SG_PmS8_NS6_8equal_toIiEEEE10hipError_tPvRmT2_T3_mT4_T5_T6_T7_T8_P12ihipStream_tbENKUlT_T0_E_clISt17integral_constantIbLb0EES11_EEDaSW_SX_EUlSW_E_NS1_11comp_targetILNS1_3genE10ELNS1_11target_archE1200ELNS1_3gpuE4ELNS1_3repE0EEENS1_30default_config_static_selectorELNS0_4arch9wavefront6targetE0EEEvT1_
    .private_segment_fixed_size: 0
    .sgpr_count:     0
    .sgpr_spill_count: 0
    .symbol:         _ZN7rocprim17ROCPRIM_400000_NS6detail17trampoline_kernelINS0_14default_configENS1_29reduce_by_key_config_selectorIiiN6thrust23THRUST_200600_302600_NS4plusIiEEEEZZNS1_33reduce_by_key_impl_wrapped_configILNS1_25lookback_scan_determinismE0ES3_S9_NS6_6detail15normal_iteratorINS6_10device_ptrIiEEEESG_SG_SG_PmS8_NS6_8equal_toIiEEEE10hipError_tPvRmT2_T3_mT4_T5_T6_T7_T8_P12ihipStream_tbENKUlT_T0_E_clISt17integral_constantIbLb0EES11_EEDaSW_SX_EUlSW_E_NS1_11comp_targetILNS1_3genE10ELNS1_11target_archE1200ELNS1_3gpuE4ELNS1_3repE0EEENS1_30default_config_static_selectorELNS0_4arch9wavefront6targetE0EEEvT1_.kd
    .uniform_work_group_size: 1
    .uses_dynamic_stack: false
    .vgpr_count:     0
    .vgpr_spill_count: 0
    .wavefront_size: 32
    .workgroup_processor_mode: 1
  - .args:
      - .offset:         0
        .size:           120
        .value_kind:     by_value
    .group_segment_fixed_size: 15360
    .kernarg_segment_align: 8
    .kernarg_segment_size: 120
    .language:       OpenCL C
    .language_version:
      - 2
      - 0
    .max_flat_workgroup_size: 256
    .name:           _ZN7rocprim17ROCPRIM_400000_NS6detail17trampoline_kernelINS0_14default_configENS1_29reduce_by_key_config_selectorIiiN6thrust23THRUST_200600_302600_NS4plusIiEEEEZZNS1_33reduce_by_key_impl_wrapped_configILNS1_25lookback_scan_determinismE0ES3_S9_NS6_6detail15normal_iteratorINS6_10device_ptrIiEEEESG_SG_SG_PmS8_NS6_8equal_toIiEEEE10hipError_tPvRmT2_T3_mT4_T5_T6_T7_T8_P12ihipStream_tbENKUlT_T0_E_clISt17integral_constantIbLb0EES11_EEDaSW_SX_EUlSW_E_NS1_11comp_targetILNS1_3genE9ELNS1_11target_archE1100ELNS1_3gpuE3ELNS1_3repE0EEENS1_30default_config_static_selectorELNS0_4arch9wavefront6targetE0EEEvT1_
    .private_segment_fixed_size: 0
    .sgpr_count:     48
    .sgpr_spill_count: 0
    .symbol:         _ZN7rocprim17ROCPRIM_400000_NS6detail17trampoline_kernelINS0_14default_configENS1_29reduce_by_key_config_selectorIiiN6thrust23THRUST_200600_302600_NS4plusIiEEEEZZNS1_33reduce_by_key_impl_wrapped_configILNS1_25lookback_scan_determinismE0ES3_S9_NS6_6detail15normal_iteratorINS6_10device_ptrIiEEEESG_SG_SG_PmS8_NS6_8equal_toIiEEEE10hipError_tPvRmT2_T3_mT4_T5_T6_T7_T8_P12ihipStream_tbENKUlT_T0_E_clISt17integral_constantIbLb0EES11_EEDaSW_SX_EUlSW_E_NS1_11comp_targetILNS1_3genE9ELNS1_11target_archE1100ELNS1_3gpuE3ELNS1_3repE0EEENS1_30default_config_static_selectorELNS0_4arch9wavefront6targetE0EEEvT1_.kd
    .uniform_work_group_size: 1
    .uses_dynamic_stack: false
    .vgpr_count:     87
    .vgpr_spill_count: 0
    .wavefront_size: 32
    .workgroup_processor_mode: 1
  - .args:
      - .offset:         0
        .size:           120
        .value_kind:     by_value
    .group_segment_fixed_size: 0
    .kernarg_segment_align: 8
    .kernarg_segment_size: 120
    .language:       OpenCL C
    .language_version:
      - 2
      - 0
    .max_flat_workgroup_size: 256
    .name:           _ZN7rocprim17ROCPRIM_400000_NS6detail17trampoline_kernelINS0_14default_configENS1_29reduce_by_key_config_selectorIiiN6thrust23THRUST_200600_302600_NS4plusIiEEEEZZNS1_33reduce_by_key_impl_wrapped_configILNS1_25lookback_scan_determinismE0ES3_S9_NS6_6detail15normal_iteratorINS6_10device_ptrIiEEEESG_SG_SG_PmS8_NS6_8equal_toIiEEEE10hipError_tPvRmT2_T3_mT4_T5_T6_T7_T8_P12ihipStream_tbENKUlT_T0_E_clISt17integral_constantIbLb0EES11_EEDaSW_SX_EUlSW_E_NS1_11comp_targetILNS1_3genE8ELNS1_11target_archE1030ELNS1_3gpuE2ELNS1_3repE0EEENS1_30default_config_static_selectorELNS0_4arch9wavefront6targetE0EEEvT1_
    .private_segment_fixed_size: 0
    .sgpr_count:     0
    .sgpr_spill_count: 0
    .symbol:         _ZN7rocprim17ROCPRIM_400000_NS6detail17trampoline_kernelINS0_14default_configENS1_29reduce_by_key_config_selectorIiiN6thrust23THRUST_200600_302600_NS4plusIiEEEEZZNS1_33reduce_by_key_impl_wrapped_configILNS1_25lookback_scan_determinismE0ES3_S9_NS6_6detail15normal_iteratorINS6_10device_ptrIiEEEESG_SG_SG_PmS8_NS6_8equal_toIiEEEE10hipError_tPvRmT2_T3_mT4_T5_T6_T7_T8_P12ihipStream_tbENKUlT_T0_E_clISt17integral_constantIbLb0EES11_EEDaSW_SX_EUlSW_E_NS1_11comp_targetILNS1_3genE8ELNS1_11target_archE1030ELNS1_3gpuE2ELNS1_3repE0EEENS1_30default_config_static_selectorELNS0_4arch9wavefront6targetE0EEEvT1_.kd
    .uniform_work_group_size: 1
    .uses_dynamic_stack: false
    .vgpr_count:     0
    .vgpr_spill_count: 0
    .wavefront_size: 32
    .workgroup_processor_mode: 1
  - .args:
      - .address_space:  global
        .offset:         0
        .size:           8
        .value_kind:     global_buffer
      - .offset:         8
        .size:           4
        .value_kind:     by_value
      - .offset:         12
        .size:           1
        .value_kind:     by_value
      - .offset:         16
        .size:           4
        .value_kind:     by_value
      - .address_space:  global
        .offset:         24
        .size:           8
        .value_kind:     global_buffer
      - .address_space:  global
        .offset:         32
        .size:           8
        .value_kind:     global_buffer
      - .address_space:  global
        .offset:         40
        .size:           8
        .value_kind:     global_buffer
      - .offset:         48
        .size:           4
        .value_kind:     hidden_block_count_x
      - .offset:         52
        .size:           4
        .value_kind:     hidden_block_count_y
      - .offset:         56
        .size:           4
        .value_kind:     hidden_block_count_z
      - .offset:         60
        .size:           2
        .value_kind:     hidden_group_size_x
      - .offset:         62
        .size:           2
        .value_kind:     hidden_group_size_y
      - .offset:         64
        .size:           2
        .value_kind:     hidden_group_size_z
      - .offset:         66
        .size:           2
        .value_kind:     hidden_remainder_x
      - .offset:         68
        .size:           2
        .value_kind:     hidden_remainder_y
      - .offset:         70
        .size:           2
        .value_kind:     hidden_remainder_z
      - .offset:         88
        .size:           8
        .value_kind:     hidden_global_offset_x
      - .offset:         96
        .size:           8
        .value_kind:     hidden_global_offset_y
      - .offset:         104
        .size:           8
        .value_kind:     hidden_global_offset_z
      - .offset:         112
        .size:           2
        .value_kind:     hidden_grid_dims
    .group_segment_fixed_size: 0
    .kernarg_segment_align: 8
    .kernarg_segment_size: 304
    .language:       OpenCL C
    .language_version:
      - 2
      - 0
    .max_flat_workgroup_size: 256
    .name:           _ZN7rocprim17ROCPRIM_400000_NS6detail25reduce_by_key_init_kernelINS1_19lookback_scan_stateINS0_5tupleIJjiEEELb1ELb1EEEiNS1_16block_id_wrapperIjLb1EEEEEvT_jbjPmPT0_T1_
    .private_segment_fixed_size: 0
    .sgpr_count:     18
    .sgpr_spill_count: 0
    .symbol:         _ZN7rocprim17ROCPRIM_400000_NS6detail25reduce_by_key_init_kernelINS1_19lookback_scan_stateINS0_5tupleIJjiEEELb1ELb1EEEiNS1_16block_id_wrapperIjLb1EEEEEvT_jbjPmPT0_T1_.kd
    .uniform_work_group_size: 1
    .uses_dynamic_stack: false
    .vgpr_count:     9
    .vgpr_spill_count: 0
    .wavefront_size: 32
    .workgroup_processor_mode: 1
  - .args:
      - .offset:         0
        .size:           120
        .value_kind:     by_value
    .group_segment_fixed_size: 0
    .kernarg_segment_align: 8
    .kernarg_segment_size: 120
    .language:       OpenCL C
    .language_version:
      - 2
      - 0
    .max_flat_workgroup_size: 256
    .name:           _ZN7rocprim17ROCPRIM_400000_NS6detail17trampoline_kernelINS0_14default_configENS1_29reduce_by_key_config_selectorIiiN6thrust23THRUST_200600_302600_NS4plusIiEEEEZZNS1_33reduce_by_key_impl_wrapped_configILNS1_25lookback_scan_determinismE0ES3_S9_NS6_6detail15normal_iteratorINS6_10device_ptrIiEEEESG_SG_SG_PmS8_NS6_8equal_toIiEEEE10hipError_tPvRmT2_T3_mT4_T5_T6_T7_T8_P12ihipStream_tbENKUlT_T0_E_clISt17integral_constantIbLb1EES11_EEDaSW_SX_EUlSW_E_NS1_11comp_targetILNS1_3genE0ELNS1_11target_archE4294967295ELNS1_3gpuE0ELNS1_3repE0EEENS1_30default_config_static_selectorELNS0_4arch9wavefront6targetE0EEEvT1_
    .private_segment_fixed_size: 0
    .sgpr_count:     0
    .sgpr_spill_count: 0
    .symbol:         _ZN7rocprim17ROCPRIM_400000_NS6detail17trampoline_kernelINS0_14default_configENS1_29reduce_by_key_config_selectorIiiN6thrust23THRUST_200600_302600_NS4plusIiEEEEZZNS1_33reduce_by_key_impl_wrapped_configILNS1_25lookback_scan_determinismE0ES3_S9_NS6_6detail15normal_iteratorINS6_10device_ptrIiEEEESG_SG_SG_PmS8_NS6_8equal_toIiEEEE10hipError_tPvRmT2_T3_mT4_T5_T6_T7_T8_P12ihipStream_tbENKUlT_T0_E_clISt17integral_constantIbLb1EES11_EEDaSW_SX_EUlSW_E_NS1_11comp_targetILNS1_3genE0ELNS1_11target_archE4294967295ELNS1_3gpuE0ELNS1_3repE0EEENS1_30default_config_static_selectorELNS0_4arch9wavefront6targetE0EEEvT1_.kd
    .uniform_work_group_size: 1
    .uses_dynamic_stack: false
    .vgpr_count:     0
    .vgpr_spill_count: 0
    .wavefront_size: 32
    .workgroup_processor_mode: 1
  - .args:
      - .offset:         0
        .size:           120
        .value_kind:     by_value
    .group_segment_fixed_size: 0
    .kernarg_segment_align: 8
    .kernarg_segment_size: 120
    .language:       OpenCL C
    .language_version:
      - 2
      - 0
    .max_flat_workgroup_size: 256
    .name:           _ZN7rocprim17ROCPRIM_400000_NS6detail17trampoline_kernelINS0_14default_configENS1_29reduce_by_key_config_selectorIiiN6thrust23THRUST_200600_302600_NS4plusIiEEEEZZNS1_33reduce_by_key_impl_wrapped_configILNS1_25lookback_scan_determinismE0ES3_S9_NS6_6detail15normal_iteratorINS6_10device_ptrIiEEEESG_SG_SG_PmS8_NS6_8equal_toIiEEEE10hipError_tPvRmT2_T3_mT4_T5_T6_T7_T8_P12ihipStream_tbENKUlT_T0_E_clISt17integral_constantIbLb1EES11_EEDaSW_SX_EUlSW_E_NS1_11comp_targetILNS1_3genE5ELNS1_11target_archE942ELNS1_3gpuE9ELNS1_3repE0EEENS1_30default_config_static_selectorELNS0_4arch9wavefront6targetE0EEEvT1_
    .private_segment_fixed_size: 0
    .sgpr_count:     0
    .sgpr_spill_count: 0
    .symbol:         _ZN7rocprim17ROCPRIM_400000_NS6detail17trampoline_kernelINS0_14default_configENS1_29reduce_by_key_config_selectorIiiN6thrust23THRUST_200600_302600_NS4plusIiEEEEZZNS1_33reduce_by_key_impl_wrapped_configILNS1_25lookback_scan_determinismE0ES3_S9_NS6_6detail15normal_iteratorINS6_10device_ptrIiEEEESG_SG_SG_PmS8_NS6_8equal_toIiEEEE10hipError_tPvRmT2_T3_mT4_T5_T6_T7_T8_P12ihipStream_tbENKUlT_T0_E_clISt17integral_constantIbLb1EES11_EEDaSW_SX_EUlSW_E_NS1_11comp_targetILNS1_3genE5ELNS1_11target_archE942ELNS1_3gpuE9ELNS1_3repE0EEENS1_30default_config_static_selectorELNS0_4arch9wavefront6targetE0EEEvT1_.kd
    .uniform_work_group_size: 1
    .uses_dynamic_stack: false
    .vgpr_count:     0
    .vgpr_spill_count: 0
    .wavefront_size: 32
    .workgroup_processor_mode: 1
  - .args:
      - .offset:         0
        .size:           120
        .value_kind:     by_value
    .group_segment_fixed_size: 0
    .kernarg_segment_align: 8
    .kernarg_segment_size: 120
    .language:       OpenCL C
    .language_version:
      - 2
      - 0
    .max_flat_workgroup_size: 256
    .name:           _ZN7rocprim17ROCPRIM_400000_NS6detail17trampoline_kernelINS0_14default_configENS1_29reduce_by_key_config_selectorIiiN6thrust23THRUST_200600_302600_NS4plusIiEEEEZZNS1_33reduce_by_key_impl_wrapped_configILNS1_25lookback_scan_determinismE0ES3_S9_NS6_6detail15normal_iteratorINS6_10device_ptrIiEEEESG_SG_SG_PmS8_NS6_8equal_toIiEEEE10hipError_tPvRmT2_T3_mT4_T5_T6_T7_T8_P12ihipStream_tbENKUlT_T0_E_clISt17integral_constantIbLb1EES11_EEDaSW_SX_EUlSW_E_NS1_11comp_targetILNS1_3genE4ELNS1_11target_archE910ELNS1_3gpuE8ELNS1_3repE0EEENS1_30default_config_static_selectorELNS0_4arch9wavefront6targetE0EEEvT1_
    .private_segment_fixed_size: 0
    .sgpr_count:     0
    .sgpr_spill_count: 0
    .symbol:         _ZN7rocprim17ROCPRIM_400000_NS6detail17trampoline_kernelINS0_14default_configENS1_29reduce_by_key_config_selectorIiiN6thrust23THRUST_200600_302600_NS4plusIiEEEEZZNS1_33reduce_by_key_impl_wrapped_configILNS1_25lookback_scan_determinismE0ES3_S9_NS6_6detail15normal_iteratorINS6_10device_ptrIiEEEESG_SG_SG_PmS8_NS6_8equal_toIiEEEE10hipError_tPvRmT2_T3_mT4_T5_T6_T7_T8_P12ihipStream_tbENKUlT_T0_E_clISt17integral_constantIbLb1EES11_EEDaSW_SX_EUlSW_E_NS1_11comp_targetILNS1_3genE4ELNS1_11target_archE910ELNS1_3gpuE8ELNS1_3repE0EEENS1_30default_config_static_selectorELNS0_4arch9wavefront6targetE0EEEvT1_.kd
    .uniform_work_group_size: 1
    .uses_dynamic_stack: false
    .vgpr_count:     0
    .vgpr_spill_count: 0
    .wavefront_size: 32
    .workgroup_processor_mode: 1
  - .args:
      - .offset:         0
        .size:           120
        .value_kind:     by_value
    .group_segment_fixed_size: 0
    .kernarg_segment_align: 8
    .kernarg_segment_size: 120
    .language:       OpenCL C
    .language_version:
      - 2
      - 0
    .max_flat_workgroup_size: 256
    .name:           _ZN7rocprim17ROCPRIM_400000_NS6detail17trampoline_kernelINS0_14default_configENS1_29reduce_by_key_config_selectorIiiN6thrust23THRUST_200600_302600_NS4plusIiEEEEZZNS1_33reduce_by_key_impl_wrapped_configILNS1_25lookback_scan_determinismE0ES3_S9_NS6_6detail15normal_iteratorINS6_10device_ptrIiEEEESG_SG_SG_PmS8_NS6_8equal_toIiEEEE10hipError_tPvRmT2_T3_mT4_T5_T6_T7_T8_P12ihipStream_tbENKUlT_T0_E_clISt17integral_constantIbLb1EES11_EEDaSW_SX_EUlSW_E_NS1_11comp_targetILNS1_3genE3ELNS1_11target_archE908ELNS1_3gpuE7ELNS1_3repE0EEENS1_30default_config_static_selectorELNS0_4arch9wavefront6targetE0EEEvT1_
    .private_segment_fixed_size: 0
    .sgpr_count:     0
    .sgpr_spill_count: 0
    .symbol:         _ZN7rocprim17ROCPRIM_400000_NS6detail17trampoline_kernelINS0_14default_configENS1_29reduce_by_key_config_selectorIiiN6thrust23THRUST_200600_302600_NS4plusIiEEEEZZNS1_33reduce_by_key_impl_wrapped_configILNS1_25lookback_scan_determinismE0ES3_S9_NS6_6detail15normal_iteratorINS6_10device_ptrIiEEEESG_SG_SG_PmS8_NS6_8equal_toIiEEEE10hipError_tPvRmT2_T3_mT4_T5_T6_T7_T8_P12ihipStream_tbENKUlT_T0_E_clISt17integral_constantIbLb1EES11_EEDaSW_SX_EUlSW_E_NS1_11comp_targetILNS1_3genE3ELNS1_11target_archE908ELNS1_3gpuE7ELNS1_3repE0EEENS1_30default_config_static_selectorELNS0_4arch9wavefront6targetE0EEEvT1_.kd
    .uniform_work_group_size: 1
    .uses_dynamic_stack: false
    .vgpr_count:     0
    .vgpr_spill_count: 0
    .wavefront_size: 32
    .workgroup_processor_mode: 1
  - .args:
      - .offset:         0
        .size:           120
        .value_kind:     by_value
    .group_segment_fixed_size: 0
    .kernarg_segment_align: 8
    .kernarg_segment_size: 120
    .language:       OpenCL C
    .language_version:
      - 2
      - 0
    .max_flat_workgroup_size: 256
    .name:           _ZN7rocprim17ROCPRIM_400000_NS6detail17trampoline_kernelINS0_14default_configENS1_29reduce_by_key_config_selectorIiiN6thrust23THRUST_200600_302600_NS4plusIiEEEEZZNS1_33reduce_by_key_impl_wrapped_configILNS1_25lookback_scan_determinismE0ES3_S9_NS6_6detail15normal_iteratorINS6_10device_ptrIiEEEESG_SG_SG_PmS8_NS6_8equal_toIiEEEE10hipError_tPvRmT2_T3_mT4_T5_T6_T7_T8_P12ihipStream_tbENKUlT_T0_E_clISt17integral_constantIbLb1EES11_EEDaSW_SX_EUlSW_E_NS1_11comp_targetILNS1_3genE2ELNS1_11target_archE906ELNS1_3gpuE6ELNS1_3repE0EEENS1_30default_config_static_selectorELNS0_4arch9wavefront6targetE0EEEvT1_
    .private_segment_fixed_size: 0
    .sgpr_count:     0
    .sgpr_spill_count: 0
    .symbol:         _ZN7rocprim17ROCPRIM_400000_NS6detail17trampoline_kernelINS0_14default_configENS1_29reduce_by_key_config_selectorIiiN6thrust23THRUST_200600_302600_NS4plusIiEEEEZZNS1_33reduce_by_key_impl_wrapped_configILNS1_25lookback_scan_determinismE0ES3_S9_NS6_6detail15normal_iteratorINS6_10device_ptrIiEEEESG_SG_SG_PmS8_NS6_8equal_toIiEEEE10hipError_tPvRmT2_T3_mT4_T5_T6_T7_T8_P12ihipStream_tbENKUlT_T0_E_clISt17integral_constantIbLb1EES11_EEDaSW_SX_EUlSW_E_NS1_11comp_targetILNS1_3genE2ELNS1_11target_archE906ELNS1_3gpuE6ELNS1_3repE0EEENS1_30default_config_static_selectorELNS0_4arch9wavefront6targetE0EEEvT1_.kd
    .uniform_work_group_size: 1
    .uses_dynamic_stack: false
    .vgpr_count:     0
    .vgpr_spill_count: 0
    .wavefront_size: 32
    .workgroup_processor_mode: 1
  - .args:
      - .offset:         0
        .size:           120
        .value_kind:     by_value
    .group_segment_fixed_size: 0
    .kernarg_segment_align: 8
    .kernarg_segment_size: 120
    .language:       OpenCL C
    .language_version:
      - 2
      - 0
    .max_flat_workgroup_size: 256
    .name:           _ZN7rocprim17ROCPRIM_400000_NS6detail17trampoline_kernelINS0_14default_configENS1_29reduce_by_key_config_selectorIiiN6thrust23THRUST_200600_302600_NS4plusIiEEEEZZNS1_33reduce_by_key_impl_wrapped_configILNS1_25lookback_scan_determinismE0ES3_S9_NS6_6detail15normal_iteratorINS6_10device_ptrIiEEEESG_SG_SG_PmS8_NS6_8equal_toIiEEEE10hipError_tPvRmT2_T3_mT4_T5_T6_T7_T8_P12ihipStream_tbENKUlT_T0_E_clISt17integral_constantIbLb1EES11_EEDaSW_SX_EUlSW_E_NS1_11comp_targetILNS1_3genE10ELNS1_11target_archE1201ELNS1_3gpuE5ELNS1_3repE0EEENS1_30default_config_static_selectorELNS0_4arch9wavefront6targetE0EEEvT1_
    .private_segment_fixed_size: 0
    .sgpr_count:     0
    .sgpr_spill_count: 0
    .symbol:         _ZN7rocprim17ROCPRIM_400000_NS6detail17trampoline_kernelINS0_14default_configENS1_29reduce_by_key_config_selectorIiiN6thrust23THRUST_200600_302600_NS4plusIiEEEEZZNS1_33reduce_by_key_impl_wrapped_configILNS1_25lookback_scan_determinismE0ES3_S9_NS6_6detail15normal_iteratorINS6_10device_ptrIiEEEESG_SG_SG_PmS8_NS6_8equal_toIiEEEE10hipError_tPvRmT2_T3_mT4_T5_T6_T7_T8_P12ihipStream_tbENKUlT_T0_E_clISt17integral_constantIbLb1EES11_EEDaSW_SX_EUlSW_E_NS1_11comp_targetILNS1_3genE10ELNS1_11target_archE1201ELNS1_3gpuE5ELNS1_3repE0EEENS1_30default_config_static_selectorELNS0_4arch9wavefront6targetE0EEEvT1_.kd
    .uniform_work_group_size: 1
    .uses_dynamic_stack: false
    .vgpr_count:     0
    .vgpr_spill_count: 0
    .wavefront_size: 32
    .workgroup_processor_mode: 1
  - .args:
      - .offset:         0
        .size:           120
        .value_kind:     by_value
    .group_segment_fixed_size: 0
    .kernarg_segment_align: 8
    .kernarg_segment_size: 120
    .language:       OpenCL C
    .language_version:
      - 2
      - 0
    .max_flat_workgroup_size: 256
    .name:           _ZN7rocprim17ROCPRIM_400000_NS6detail17trampoline_kernelINS0_14default_configENS1_29reduce_by_key_config_selectorIiiN6thrust23THRUST_200600_302600_NS4plusIiEEEEZZNS1_33reduce_by_key_impl_wrapped_configILNS1_25lookback_scan_determinismE0ES3_S9_NS6_6detail15normal_iteratorINS6_10device_ptrIiEEEESG_SG_SG_PmS8_NS6_8equal_toIiEEEE10hipError_tPvRmT2_T3_mT4_T5_T6_T7_T8_P12ihipStream_tbENKUlT_T0_E_clISt17integral_constantIbLb1EES11_EEDaSW_SX_EUlSW_E_NS1_11comp_targetILNS1_3genE10ELNS1_11target_archE1200ELNS1_3gpuE4ELNS1_3repE0EEENS1_30default_config_static_selectorELNS0_4arch9wavefront6targetE0EEEvT1_
    .private_segment_fixed_size: 0
    .sgpr_count:     0
    .sgpr_spill_count: 0
    .symbol:         _ZN7rocprim17ROCPRIM_400000_NS6detail17trampoline_kernelINS0_14default_configENS1_29reduce_by_key_config_selectorIiiN6thrust23THRUST_200600_302600_NS4plusIiEEEEZZNS1_33reduce_by_key_impl_wrapped_configILNS1_25lookback_scan_determinismE0ES3_S9_NS6_6detail15normal_iteratorINS6_10device_ptrIiEEEESG_SG_SG_PmS8_NS6_8equal_toIiEEEE10hipError_tPvRmT2_T3_mT4_T5_T6_T7_T8_P12ihipStream_tbENKUlT_T0_E_clISt17integral_constantIbLb1EES11_EEDaSW_SX_EUlSW_E_NS1_11comp_targetILNS1_3genE10ELNS1_11target_archE1200ELNS1_3gpuE4ELNS1_3repE0EEENS1_30default_config_static_selectorELNS0_4arch9wavefront6targetE0EEEvT1_.kd
    .uniform_work_group_size: 1
    .uses_dynamic_stack: false
    .vgpr_count:     0
    .vgpr_spill_count: 0
    .wavefront_size: 32
    .workgroup_processor_mode: 1
  - .args:
      - .offset:         0
        .size:           120
        .value_kind:     by_value
    .group_segment_fixed_size: 15360
    .kernarg_segment_align: 8
    .kernarg_segment_size: 120
    .language:       OpenCL C
    .language_version:
      - 2
      - 0
    .max_flat_workgroup_size: 256
    .name:           _ZN7rocprim17ROCPRIM_400000_NS6detail17trampoline_kernelINS0_14default_configENS1_29reduce_by_key_config_selectorIiiN6thrust23THRUST_200600_302600_NS4plusIiEEEEZZNS1_33reduce_by_key_impl_wrapped_configILNS1_25lookback_scan_determinismE0ES3_S9_NS6_6detail15normal_iteratorINS6_10device_ptrIiEEEESG_SG_SG_PmS8_NS6_8equal_toIiEEEE10hipError_tPvRmT2_T3_mT4_T5_T6_T7_T8_P12ihipStream_tbENKUlT_T0_E_clISt17integral_constantIbLb1EES11_EEDaSW_SX_EUlSW_E_NS1_11comp_targetILNS1_3genE9ELNS1_11target_archE1100ELNS1_3gpuE3ELNS1_3repE0EEENS1_30default_config_static_selectorELNS0_4arch9wavefront6targetE0EEEvT1_
    .private_segment_fixed_size: 0
    .sgpr_count:     51
    .sgpr_spill_count: 0
    .symbol:         _ZN7rocprim17ROCPRIM_400000_NS6detail17trampoline_kernelINS0_14default_configENS1_29reduce_by_key_config_selectorIiiN6thrust23THRUST_200600_302600_NS4plusIiEEEEZZNS1_33reduce_by_key_impl_wrapped_configILNS1_25lookback_scan_determinismE0ES3_S9_NS6_6detail15normal_iteratorINS6_10device_ptrIiEEEESG_SG_SG_PmS8_NS6_8equal_toIiEEEE10hipError_tPvRmT2_T3_mT4_T5_T6_T7_T8_P12ihipStream_tbENKUlT_T0_E_clISt17integral_constantIbLb1EES11_EEDaSW_SX_EUlSW_E_NS1_11comp_targetILNS1_3genE9ELNS1_11target_archE1100ELNS1_3gpuE3ELNS1_3repE0EEENS1_30default_config_static_selectorELNS0_4arch9wavefront6targetE0EEEvT1_.kd
    .uniform_work_group_size: 1
    .uses_dynamic_stack: false
    .vgpr_count:     87
    .vgpr_spill_count: 0
    .wavefront_size: 32
    .workgroup_processor_mode: 1
  - .args:
      - .offset:         0
        .size:           120
        .value_kind:     by_value
    .group_segment_fixed_size: 0
    .kernarg_segment_align: 8
    .kernarg_segment_size: 120
    .language:       OpenCL C
    .language_version:
      - 2
      - 0
    .max_flat_workgroup_size: 256
    .name:           _ZN7rocprim17ROCPRIM_400000_NS6detail17trampoline_kernelINS0_14default_configENS1_29reduce_by_key_config_selectorIiiN6thrust23THRUST_200600_302600_NS4plusIiEEEEZZNS1_33reduce_by_key_impl_wrapped_configILNS1_25lookback_scan_determinismE0ES3_S9_NS6_6detail15normal_iteratorINS6_10device_ptrIiEEEESG_SG_SG_PmS8_NS6_8equal_toIiEEEE10hipError_tPvRmT2_T3_mT4_T5_T6_T7_T8_P12ihipStream_tbENKUlT_T0_E_clISt17integral_constantIbLb1EES11_EEDaSW_SX_EUlSW_E_NS1_11comp_targetILNS1_3genE8ELNS1_11target_archE1030ELNS1_3gpuE2ELNS1_3repE0EEENS1_30default_config_static_selectorELNS0_4arch9wavefront6targetE0EEEvT1_
    .private_segment_fixed_size: 0
    .sgpr_count:     0
    .sgpr_spill_count: 0
    .symbol:         _ZN7rocprim17ROCPRIM_400000_NS6detail17trampoline_kernelINS0_14default_configENS1_29reduce_by_key_config_selectorIiiN6thrust23THRUST_200600_302600_NS4plusIiEEEEZZNS1_33reduce_by_key_impl_wrapped_configILNS1_25lookback_scan_determinismE0ES3_S9_NS6_6detail15normal_iteratorINS6_10device_ptrIiEEEESG_SG_SG_PmS8_NS6_8equal_toIiEEEE10hipError_tPvRmT2_T3_mT4_T5_T6_T7_T8_P12ihipStream_tbENKUlT_T0_E_clISt17integral_constantIbLb1EES11_EEDaSW_SX_EUlSW_E_NS1_11comp_targetILNS1_3genE8ELNS1_11target_archE1030ELNS1_3gpuE2ELNS1_3repE0EEENS1_30default_config_static_selectorELNS0_4arch9wavefront6targetE0EEEvT1_.kd
    .uniform_work_group_size: 1
    .uses_dynamic_stack: false
    .vgpr_count:     0
    .vgpr_spill_count: 0
    .wavefront_size: 32
    .workgroup_processor_mode: 1
  - .args:
      - .address_space:  global
        .offset:         0
        .size:           8
        .value_kind:     global_buffer
      - .offset:         8
        .size:           4
        .value_kind:     by_value
      - .offset:         12
        .size:           1
        .value_kind:     by_value
      - .offset:         16
        .size:           4
        .value_kind:     by_value
      - .address_space:  global
        .offset:         24
        .size:           8
        .value_kind:     global_buffer
      - .address_space:  global
        .offset:         32
        .size:           8
        .value_kind:     global_buffer
      - .offset:         40
        .size:           1
        .value_kind:     by_value
      - .offset:         48
        .size:           4
        .value_kind:     hidden_block_count_x
      - .offset:         52
        .size:           4
        .value_kind:     hidden_block_count_y
      - .offset:         56
        .size:           4
        .value_kind:     hidden_block_count_z
      - .offset:         60
        .size:           2
        .value_kind:     hidden_group_size_x
      - .offset:         62
        .size:           2
        .value_kind:     hidden_group_size_y
      - .offset:         64
        .size:           2
        .value_kind:     hidden_group_size_z
      - .offset:         66
        .size:           2
        .value_kind:     hidden_remainder_x
      - .offset:         68
        .size:           2
        .value_kind:     hidden_remainder_y
      - .offset:         70
        .size:           2
        .value_kind:     hidden_remainder_z
      - .offset:         88
        .size:           8
        .value_kind:     hidden_global_offset_x
      - .offset:         96
        .size:           8
        .value_kind:     hidden_global_offset_y
      - .offset:         104
        .size:           8
        .value_kind:     hidden_global_offset_z
      - .offset:         112
        .size:           2
        .value_kind:     hidden_grid_dims
    .group_segment_fixed_size: 0
    .kernarg_segment_align: 8
    .kernarg_segment_size: 304
    .language:       OpenCL C
    .language_version:
      - 2
      - 0
    .max_flat_workgroup_size: 256
    .name:           _ZN7rocprim17ROCPRIM_400000_NS6detail25reduce_by_key_init_kernelINS1_19lookback_scan_stateINS0_5tupleIJjiEEELb1ELb1EEEiNS1_16block_id_wrapperIjLb0EEEEEvT_jbjPmPT0_T1_
    .private_segment_fixed_size: 0
    .sgpr_count:     18
    .sgpr_spill_count: 0
    .symbol:         _ZN7rocprim17ROCPRIM_400000_NS6detail25reduce_by_key_init_kernelINS1_19lookback_scan_stateINS0_5tupleIJjiEEELb1ELb1EEEiNS1_16block_id_wrapperIjLb0EEEEEvT_jbjPmPT0_T1_.kd
    .uniform_work_group_size: 1
    .uses_dynamic_stack: false
    .vgpr_count:     9
    .vgpr_spill_count: 0
    .wavefront_size: 32
    .workgroup_processor_mode: 1
  - .args:
      - .offset:         0
        .size:           120
        .value_kind:     by_value
    .group_segment_fixed_size: 0
    .kernarg_segment_align: 8
    .kernarg_segment_size: 120
    .language:       OpenCL C
    .language_version:
      - 2
      - 0
    .max_flat_workgroup_size: 256
    .name:           _ZN7rocprim17ROCPRIM_400000_NS6detail17trampoline_kernelINS0_14default_configENS1_29reduce_by_key_config_selectorIiiN6thrust23THRUST_200600_302600_NS4plusIiEEEEZZNS1_33reduce_by_key_impl_wrapped_configILNS1_25lookback_scan_determinismE0ES3_S9_NS6_6detail15normal_iteratorINS6_10device_ptrIiEEEESG_SG_SG_PmS8_NS6_8equal_toIiEEEE10hipError_tPvRmT2_T3_mT4_T5_T6_T7_T8_P12ihipStream_tbENKUlT_T0_E_clISt17integral_constantIbLb1EES10_IbLb0EEEEDaSW_SX_EUlSW_E_NS1_11comp_targetILNS1_3genE0ELNS1_11target_archE4294967295ELNS1_3gpuE0ELNS1_3repE0EEENS1_30default_config_static_selectorELNS0_4arch9wavefront6targetE0EEEvT1_
    .private_segment_fixed_size: 0
    .sgpr_count:     0
    .sgpr_spill_count: 0
    .symbol:         _ZN7rocprim17ROCPRIM_400000_NS6detail17trampoline_kernelINS0_14default_configENS1_29reduce_by_key_config_selectorIiiN6thrust23THRUST_200600_302600_NS4plusIiEEEEZZNS1_33reduce_by_key_impl_wrapped_configILNS1_25lookback_scan_determinismE0ES3_S9_NS6_6detail15normal_iteratorINS6_10device_ptrIiEEEESG_SG_SG_PmS8_NS6_8equal_toIiEEEE10hipError_tPvRmT2_T3_mT4_T5_T6_T7_T8_P12ihipStream_tbENKUlT_T0_E_clISt17integral_constantIbLb1EES10_IbLb0EEEEDaSW_SX_EUlSW_E_NS1_11comp_targetILNS1_3genE0ELNS1_11target_archE4294967295ELNS1_3gpuE0ELNS1_3repE0EEENS1_30default_config_static_selectorELNS0_4arch9wavefront6targetE0EEEvT1_.kd
    .uniform_work_group_size: 1
    .uses_dynamic_stack: false
    .vgpr_count:     0
    .vgpr_spill_count: 0
    .wavefront_size: 32
    .workgroup_processor_mode: 1
  - .args:
      - .offset:         0
        .size:           120
        .value_kind:     by_value
    .group_segment_fixed_size: 0
    .kernarg_segment_align: 8
    .kernarg_segment_size: 120
    .language:       OpenCL C
    .language_version:
      - 2
      - 0
    .max_flat_workgroup_size: 256
    .name:           _ZN7rocprim17ROCPRIM_400000_NS6detail17trampoline_kernelINS0_14default_configENS1_29reduce_by_key_config_selectorIiiN6thrust23THRUST_200600_302600_NS4plusIiEEEEZZNS1_33reduce_by_key_impl_wrapped_configILNS1_25lookback_scan_determinismE0ES3_S9_NS6_6detail15normal_iteratorINS6_10device_ptrIiEEEESG_SG_SG_PmS8_NS6_8equal_toIiEEEE10hipError_tPvRmT2_T3_mT4_T5_T6_T7_T8_P12ihipStream_tbENKUlT_T0_E_clISt17integral_constantIbLb1EES10_IbLb0EEEEDaSW_SX_EUlSW_E_NS1_11comp_targetILNS1_3genE5ELNS1_11target_archE942ELNS1_3gpuE9ELNS1_3repE0EEENS1_30default_config_static_selectorELNS0_4arch9wavefront6targetE0EEEvT1_
    .private_segment_fixed_size: 0
    .sgpr_count:     0
    .sgpr_spill_count: 0
    .symbol:         _ZN7rocprim17ROCPRIM_400000_NS6detail17trampoline_kernelINS0_14default_configENS1_29reduce_by_key_config_selectorIiiN6thrust23THRUST_200600_302600_NS4plusIiEEEEZZNS1_33reduce_by_key_impl_wrapped_configILNS1_25lookback_scan_determinismE0ES3_S9_NS6_6detail15normal_iteratorINS6_10device_ptrIiEEEESG_SG_SG_PmS8_NS6_8equal_toIiEEEE10hipError_tPvRmT2_T3_mT4_T5_T6_T7_T8_P12ihipStream_tbENKUlT_T0_E_clISt17integral_constantIbLb1EES10_IbLb0EEEEDaSW_SX_EUlSW_E_NS1_11comp_targetILNS1_3genE5ELNS1_11target_archE942ELNS1_3gpuE9ELNS1_3repE0EEENS1_30default_config_static_selectorELNS0_4arch9wavefront6targetE0EEEvT1_.kd
    .uniform_work_group_size: 1
    .uses_dynamic_stack: false
    .vgpr_count:     0
    .vgpr_spill_count: 0
    .wavefront_size: 32
    .workgroup_processor_mode: 1
  - .args:
      - .offset:         0
        .size:           120
        .value_kind:     by_value
    .group_segment_fixed_size: 0
    .kernarg_segment_align: 8
    .kernarg_segment_size: 120
    .language:       OpenCL C
    .language_version:
      - 2
      - 0
    .max_flat_workgroup_size: 256
    .name:           _ZN7rocprim17ROCPRIM_400000_NS6detail17trampoline_kernelINS0_14default_configENS1_29reduce_by_key_config_selectorIiiN6thrust23THRUST_200600_302600_NS4plusIiEEEEZZNS1_33reduce_by_key_impl_wrapped_configILNS1_25lookback_scan_determinismE0ES3_S9_NS6_6detail15normal_iteratorINS6_10device_ptrIiEEEESG_SG_SG_PmS8_NS6_8equal_toIiEEEE10hipError_tPvRmT2_T3_mT4_T5_T6_T7_T8_P12ihipStream_tbENKUlT_T0_E_clISt17integral_constantIbLb1EES10_IbLb0EEEEDaSW_SX_EUlSW_E_NS1_11comp_targetILNS1_3genE4ELNS1_11target_archE910ELNS1_3gpuE8ELNS1_3repE0EEENS1_30default_config_static_selectorELNS0_4arch9wavefront6targetE0EEEvT1_
    .private_segment_fixed_size: 0
    .sgpr_count:     0
    .sgpr_spill_count: 0
    .symbol:         _ZN7rocprim17ROCPRIM_400000_NS6detail17trampoline_kernelINS0_14default_configENS1_29reduce_by_key_config_selectorIiiN6thrust23THRUST_200600_302600_NS4plusIiEEEEZZNS1_33reduce_by_key_impl_wrapped_configILNS1_25lookback_scan_determinismE0ES3_S9_NS6_6detail15normal_iteratorINS6_10device_ptrIiEEEESG_SG_SG_PmS8_NS6_8equal_toIiEEEE10hipError_tPvRmT2_T3_mT4_T5_T6_T7_T8_P12ihipStream_tbENKUlT_T0_E_clISt17integral_constantIbLb1EES10_IbLb0EEEEDaSW_SX_EUlSW_E_NS1_11comp_targetILNS1_3genE4ELNS1_11target_archE910ELNS1_3gpuE8ELNS1_3repE0EEENS1_30default_config_static_selectorELNS0_4arch9wavefront6targetE0EEEvT1_.kd
    .uniform_work_group_size: 1
    .uses_dynamic_stack: false
    .vgpr_count:     0
    .vgpr_spill_count: 0
    .wavefront_size: 32
    .workgroup_processor_mode: 1
  - .args:
      - .offset:         0
        .size:           120
        .value_kind:     by_value
    .group_segment_fixed_size: 0
    .kernarg_segment_align: 8
    .kernarg_segment_size: 120
    .language:       OpenCL C
    .language_version:
      - 2
      - 0
    .max_flat_workgroup_size: 256
    .name:           _ZN7rocprim17ROCPRIM_400000_NS6detail17trampoline_kernelINS0_14default_configENS1_29reduce_by_key_config_selectorIiiN6thrust23THRUST_200600_302600_NS4plusIiEEEEZZNS1_33reduce_by_key_impl_wrapped_configILNS1_25lookback_scan_determinismE0ES3_S9_NS6_6detail15normal_iteratorINS6_10device_ptrIiEEEESG_SG_SG_PmS8_NS6_8equal_toIiEEEE10hipError_tPvRmT2_T3_mT4_T5_T6_T7_T8_P12ihipStream_tbENKUlT_T0_E_clISt17integral_constantIbLb1EES10_IbLb0EEEEDaSW_SX_EUlSW_E_NS1_11comp_targetILNS1_3genE3ELNS1_11target_archE908ELNS1_3gpuE7ELNS1_3repE0EEENS1_30default_config_static_selectorELNS0_4arch9wavefront6targetE0EEEvT1_
    .private_segment_fixed_size: 0
    .sgpr_count:     0
    .sgpr_spill_count: 0
    .symbol:         _ZN7rocprim17ROCPRIM_400000_NS6detail17trampoline_kernelINS0_14default_configENS1_29reduce_by_key_config_selectorIiiN6thrust23THRUST_200600_302600_NS4plusIiEEEEZZNS1_33reduce_by_key_impl_wrapped_configILNS1_25lookback_scan_determinismE0ES3_S9_NS6_6detail15normal_iteratorINS6_10device_ptrIiEEEESG_SG_SG_PmS8_NS6_8equal_toIiEEEE10hipError_tPvRmT2_T3_mT4_T5_T6_T7_T8_P12ihipStream_tbENKUlT_T0_E_clISt17integral_constantIbLb1EES10_IbLb0EEEEDaSW_SX_EUlSW_E_NS1_11comp_targetILNS1_3genE3ELNS1_11target_archE908ELNS1_3gpuE7ELNS1_3repE0EEENS1_30default_config_static_selectorELNS0_4arch9wavefront6targetE0EEEvT1_.kd
    .uniform_work_group_size: 1
    .uses_dynamic_stack: false
    .vgpr_count:     0
    .vgpr_spill_count: 0
    .wavefront_size: 32
    .workgroup_processor_mode: 1
  - .args:
      - .offset:         0
        .size:           120
        .value_kind:     by_value
    .group_segment_fixed_size: 0
    .kernarg_segment_align: 8
    .kernarg_segment_size: 120
    .language:       OpenCL C
    .language_version:
      - 2
      - 0
    .max_flat_workgroup_size: 256
    .name:           _ZN7rocprim17ROCPRIM_400000_NS6detail17trampoline_kernelINS0_14default_configENS1_29reduce_by_key_config_selectorIiiN6thrust23THRUST_200600_302600_NS4plusIiEEEEZZNS1_33reduce_by_key_impl_wrapped_configILNS1_25lookback_scan_determinismE0ES3_S9_NS6_6detail15normal_iteratorINS6_10device_ptrIiEEEESG_SG_SG_PmS8_NS6_8equal_toIiEEEE10hipError_tPvRmT2_T3_mT4_T5_T6_T7_T8_P12ihipStream_tbENKUlT_T0_E_clISt17integral_constantIbLb1EES10_IbLb0EEEEDaSW_SX_EUlSW_E_NS1_11comp_targetILNS1_3genE2ELNS1_11target_archE906ELNS1_3gpuE6ELNS1_3repE0EEENS1_30default_config_static_selectorELNS0_4arch9wavefront6targetE0EEEvT1_
    .private_segment_fixed_size: 0
    .sgpr_count:     0
    .sgpr_spill_count: 0
    .symbol:         _ZN7rocprim17ROCPRIM_400000_NS6detail17trampoline_kernelINS0_14default_configENS1_29reduce_by_key_config_selectorIiiN6thrust23THRUST_200600_302600_NS4plusIiEEEEZZNS1_33reduce_by_key_impl_wrapped_configILNS1_25lookback_scan_determinismE0ES3_S9_NS6_6detail15normal_iteratorINS6_10device_ptrIiEEEESG_SG_SG_PmS8_NS6_8equal_toIiEEEE10hipError_tPvRmT2_T3_mT4_T5_T6_T7_T8_P12ihipStream_tbENKUlT_T0_E_clISt17integral_constantIbLb1EES10_IbLb0EEEEDaSW_SX_EUlSW_E_NS1_11comp_targetILNS1_3genE2ELNS1_11target_archE906ELNS1_3gpuE6ELNS1_3repE0EEENS1_30default_config_static_selectorELNS0_4arch9wavefront6targetE0EEEvT1_.kd
    .uniform_work_group_size: 1
    .uses_dynamic_stack: false
    .vgpr_count:     0
    .vgpr_spill_count: 0
    .wavefront_size: 32
    .workgroup_processor_mode: 1
  - .args:
      - .offset:         0
        .size:           120
        .value_kind:     by_value
    .group_segment_fixed_size: 0
    .kernarg_segment_align: 8
    .kernarg_segment_size: 120
    .language:       OpenCL C
    .language_version:
      - 2
      - 0
    .max_flat_workgroup_size: 256
    .name:           _ZN7rocprim17ROCPRIM_400000_NS6detail17trampoline_kernelINS0_14default_configENS1_29reduce_by_key_config_selectorIiiN6thrust23THRUST_200600_302600_NS4plusIiEEEEZZNS1_33reduce_by_key_impl_wrapped_configILNS1_25lookback_scan_determinismE0ES3_S9_NS6_6detail15normal_iteratorINS6_10device_ptrIiEEEESG_SG_SG_PmS8_NS6_8equal_toIiEEEE10hipError_tPvRmT2_T3_mT4_T5_T6_T7_T8_P12ihipStream_tbENKUlT_T0_E_clISt17integral_constantIbLb1EES10_IbLb0EEEEDaSW_SX_EUlSW_E_NS1_11comp_targetILNS1_3genE10ELNS1_11target_archE1201ELNS1_3gpuE5ELNS1_3repE0EEENS1_30default_config_static_selectorELNS0_4arch9wavefront6targetE0EEEvT1_
    .private_segment_fixed_size: 0
    .sgpr_count:     0
    .sgpr_spill_count: 0
    .symbol:         _ZN7rocprim17ROCPRIM_400000_NS6detail17trampoline_kernelINS0_14default_configENS1_29reduce_by_key_config_selectorIiiN6thrust23THRUST_200600_302600_NS4plusIiEEEEZZNS1_33reduce_by_key_impl_wrapped_configILNS1_25lookback_scan_determinismE0ES3_S9_NS6_6detail15normal_iteratorINS6_10device_ptrIiEEEESG_SG_SG_PmS8_NS6_8equal_toIiEEEE10hipError_tPvRmT2_T3_mT4_T5_T6_T7_T8_P12ihipStream_tbENKUlT_T0_E_clISt17integral_constantIbLb1EES10_IbLb0EEEEDaSW_SX_EUlSW_E_NS1_11comp_targetILNS1_3genE10ELNS1_11target_archE1201ELNS1_3gpuE5ELNS1_3repE0EEENS1_30default_config_static_selectorELNS0_4arch9wavefront6targetE0EEEvT1_.kd
    .uniform_work_group_size: 1
    .uses_dynamic_stack: false
    .vgpr_count:     0
    .vgpr_spill_count: 0
    .wavefront_size: 32
    .workgroup_processor_mode: 1
  - .args:
      - .offset:         0
        .size:           120
        .value_kind:     by_value
    .group_segment_fixed_size: 0
    .kernarg_segment_align: 8
    .kernarg_segment_size: 120
    .language:       OpenCL C
    .language_version:
      - 2
      - 0
    .max_flat_workgroup_size: 256
    .name:           _ZN7rocprim17ROCPRIM_400000_NS6detail17trampoline_kernelINS0_14default_configENS1_29reduce_by_key_config_selectorIiiN6thrust23THRUST_200600_302600_NS4plusIiEEEEZZNS1_33reduce_by_key_impl_wrapped_configILNS1_25lookback_scan_determinismE0ES3_S9_NS6_6detail15normal_iteratorINS6_10device_ptrIiEEEESG_SG_SG_PmS8_NS6_8equal_toIiEEEE10hipError_tPvRmT2_T3_mT4_T5_T6_T7_T8_P12ihipStream_tbENKUlT_T0_E_clISt17integral_constantIbLb1EES10_IbLb0EEEEDaSW_SX_EUlSW_E_NS1_11comp_targetILNS1_3genE10ELNS1_11target_archE1200ELNS1_3gpuE4ELNS1_3repE0EEENS1_30default_config_static_selectorELNS0_4arch9wavefront6targetE0EEEvT1_
    .private_segment_fixed_size: 0
    .sgpr_count:     0
    .sgpr_spill_count: 0
    .symbol:         _ZN7rocprim17ROCPRIM_400000_NS6detail17trampoline_kernelINS0_14default_configENS1_29reduce_by_key_config_selectorIiiN6thrust23THRUST_200600_302600_NS4plusIiEEEEZZNS1_33reduce_by_key_impl_wrapped_configILNS1_25lookback_scan_determinismE0ES3_S9_NS6_6detail15normal_iteratorINS6_10device_ptrIiEEEESG_SG_SG_PmS8_NS6_8equal_toIiEEEE10hipError_tPvRmT2_T3_mT4_T5_T6_T7_T8_P12ihipStream_tbENKUlT_T0_E_clISt17integral_constantIbLb1EES10_IbLb0EEEEDaSW_SX_EUlSW_E_NS1_11comp_targetILNS1_3genE10ELNS1_11target_archE1200ELNS1_3gpuE4ELNS1_3repE0EEENS1_30default_config_static_selectorELNS0_4arch9wavefront6targetE0EEEvT1_.kd
    .uniform_work_group_size: 1
    .uses_dynamic_stack: false
    .vgpr_count:     0
    .vgpr_spill_count: 0
    .wavefront_size: 32
    .workgroup_processor_mode: 1
  - .args:
      - .offset:         0
        .size:           120
        .value_kind:     by_value
    .group_segment_fixed_size: 15360
    .kernarg_segment_align: 8
    .kernarg_segment_size: 120
    .language:       OpenCL C
    .language_version:
      - 2
      - 0
    .max_flat_workgroup_size: 256
    .name:           _ZN7rocprim17ROCPRIM_400000_NS6detail17trampoline_kernelINS0_14default_configENS1_29reduce_by_key_config_selectorIiiN6thrust23THRUST_200600_302600_NS4plusIiEEEEZZNS1_33reduce_by_key_impl_wrapped_configILNS1_25lookback_scan_determinismE0ES3_S9_NS6_6detail15normal_iteratorINS6_10device_ptrIiEEEESG_SG_SG_PmS8_NS6_8equal_toIiEEEE10hipError_tPvRmT2_T3_mT4_T5_T6_T7_T8_P12ihipStream_tbENKUlT_T0_E_clISt17integral_constantIbLb1EES10_IbLb0EEEEDaSW_SX_EUlSW_E_NS1_11comp_targetILNS1_3genE9ELNS1_11target_archE1100ELNS1_3gpuE3ELNS1_3repE0EEENS1_30default_config_static_selectorELNS0_4arch9wavefront6targetE0EEEvT1_
    .private_segment_fixed_size: 0
    .sgpr_count:     50
    .sgpr_spill_count: 0
    .symbol:         _ZN7rocprim17ROCPRIM_400000_NS6detail17trampoline_kernelINS0_14default_configENS1_29reduce_by_key_config_selectorIiiN6thrust23THRUST_200600_302600_NS4plusIiEEEEZZNS1_33reduce_by_key_impl_wrapped_configILNS1_25lookback_scan_determinismE0ES3_S9_NS6_6detail15normal_iteratorINS6_10device_ptrIiEEEESG_SG_SG_PmS8_NS6_8equal_toIiEEEE10hipError_tPvRmT2_T3_mT4_T5_T6_T7_T8_P12ihipStream_tbENKUlT_T0_E_clISt17integral_constantIbLb1EES10_IbLb0EEEEDaSW_SX_EUlSW_E_NS1_11comp_targetILNS1_3genE9ELNS1_11target_archE1100ELNS1_3gpuE3ELNS1_3repE0EEENS1_30default_config_static_selectorELNS0_4arch9wavefront6targetE0EEEvT1_.kd
    .uniform_work_group_size: 1
    .uses_dynamic_stack: false
    .vgpr_count:     87
    .vgpr_spill_count: 0
    .wavefront_size: 32
    .workgroup_processor_mode: 1
  - .args:
      - .offset:         0
        .size:           120
        .value_kind:     by_value
    .group_segment_fixed_size: 0
    .kernarg_segment_align: 8
    .kernarg_segment_size: 120
    .language:       OpenCL C
    .language_version:
      - 2
      - 0
    .max_flat_workgroup_size: 256
    .name:           _ZN7rocprim17ROCPRIM_400000_NS6detail17trampoline_kernelINS0_14default_configENS1_29reduce_by_key_config_selectorIiiN6thrust23THRUST_200600_302600_NS4plusIiEEEEZZNS1_33reduce_by_key_impl_wrapped_configILNS1_25lookback_scan_determinismE0ES3_S9_NS6_6detail15normal_iteratorINS6_10device_ptrIiEEEESG_SG_SG_PmS8_NS6_8equal_toIiEEEE10hipError_tPvRmT2_T3_mT4_T5_T6_T7_T8_P12ihipStream_tbENKUlT_T0_E_clISt17integral_constantIbLb1EES10_IbLb0EEEEDaSW_SX_EUlSW_E_NS1_11comp_targetILNS1_3genE8ELNS1_11target_archE1030ELNS1_3gpuE2ELNS1_3repE0EEENS1_30default_config_static_selectorELNS0_4arch9wavefront6targetE0EEEvT1_
    .private_segment_fixed_size: 0
    .sgpr_count:     0
    .sgpr_spill_count: 0
    .symbol:         _ZN7rocprim17ROCPRIM_400000_NS6detail17trampoline_kernelINS0_14default_configENS1_29reduce_by_key_config_selectorIiiN6thrust23THRUST_200600_302600_NS4plusIiEEEEZZNS1_33reduce_by_key_impl_wrapped_configILNS1_25lookback_scan_determinismE0ES3_S9_NS6_6detail15normal_iteratorINS6_10device_ptrIiEEEESG_SG_SG_PmS8_NS6_8equal_toIiEEEE10hipError_tPvRmT2_T3_mT4_T5_T6_T7_T8_P12ihipStream_tbENKUlT_T0_E_clISt17integral_constantIbLb1EES10_IbLb0EEEEDaSW_SX_EUlSW_E_NS1_11comp_targetILNS1_3genE8ELNS1_11target_archE1030ELNS1_3gpuE2ELNS1_3repE0EEENS1_30default_config_static_selectorELNS0_4arch9wavefront6targetE0EEEvT1_.kd
    .uniform_work_group_size: 1
    .uses_dynamic_stack: false
    .vgpr_count:     0
    .vgpr_spill_count: 0
    .wavefront_size: 32
    .workgroup_processor_mode: 1
  - .args:
      - .address_space:  global
        .offset:         0
        .size:           8
        .value_kind:     global_buffer
      - .offset:         8
        .size:           4
        .value_kind:     by_value
      - .offset:         12
        .size:           1
        .value_kind:     by_value
      - .offset:         16
        .size:           4
        .value_kind:     by_value
      - .address_space:  global
        .offset:         24
        .size:           8
        .value_kind:     global_buffer
      - .address_space:  global
        .offset:         32
        .size:           8
        .value_kind:     global_buffer
      - .address_space:  global
        .offset:         40
        .size:           8
        .value_kind:     global_buffer
      - .offset:         48
        .size:           4
        .value_kind:     hidden_block_count_x
      - .offset:         52
        .size:           4
        .value_kind:     hidden_block_count_y
      - .offset:         56
        .size:           4
        .value_kind:     hidden_block_count_z
      - .offset:         60
        .size:           2
        .value_kind:     hidden_group_size_x
      - .offset:         62
        .size:           2
        .value_kind:     hidden_group_size_y
      - .offset:         64
        .size:           2
        .value_kind:     hidden_group_size_z
      - .offset:         66
        .size:           2
        .value_kind:     hidden_remainder_x
      - .offset:         68
        .size:           2
        .value_kind:     hidden_remainder_y
      - .offset:         70
        .size:           2
        .value_kind:     hidden_remainder_z
      - .offset:         88
        .size:           8
        .value_kind:     hidden_global_offset_x
      - .offset:         96
        .size:           8
        .value_kind:     hidden_global_offset_y
      - .offset:         104
        .size:           8
        .value_kind:     hidden_global_offset_z
      - .offset:         112
        .size:           2
        .value_kind:     hidden_grid_dims
    .group_segment_fixed_size: 0
    .kernarg_segment_align: 8
    .kernarg_segment_size: 304
    .language:       OpenCL C
    .language_version:
      - 2
      - 0
    .max_flat_workgroup_size: 256
    .name:           _ZN7rocprim17ROCPRIM_400000_NS6detail25reduce_by_key_init_kernelINS1_19lookback_scan_stateINS0_5tupleIJjiEEELb0ELb1EEEiNS1_16block_id_wrapperIjLb1EEEEEvT_jbjPmPT0_T1_
    .private_segment_fixed_size: 0
    .sgpr_count:     18
    .sgpr_spill_count: 0
    .symbol:         _ZN7rocprim17ROCPRIM_400000_NS6detail25reduce_by_key_init_kernelINS1_19lookback_scan_stateINS0_5tupleIJjiEEELb0ELb1EEEiNS1_16block_id_wrapperIjLb1EEEEEvT_jbjPmPT0_T1_.kd
    .uniform_work_group_size: 1
    .uses_dynamic_stack: false
    .vgpr_count:     9
    .vgpr_spill_count: 0
    .wavefront_size: 32
    .workgroup_processor_mode: 1
  - .args:
      - .offset:         0
        .size:           120
        .value_kind:     by_value
    .group_segment_fixed_size: 0
    .kernarg_segment_align: 8
    .kernarg_segment_size: 120
    .language:       OpenCL C
    .language_version:
      - 2
      - 0
    .max_flat_workgroup_size: 256
    .name:           _ZN7rocprim17ROCPRIM_400000_NS6detail17trampoline_kernelINS0_14default_configENS1_29reduce_by_key_config_selectorIiiN6thrust23THRUST_200600_302600_NS4plusIiEEEEZZNS1_33reduce_by_key_impl_wrapped_configILNS1_25lookback_scan_determinismE0ES3_S9_NS6_6detail15normal_iteratorINS6_10device_ptrIiEEEESG_SG_SG_PmS8_NS6_8equal_toIiEEEE10hipError_tPvRmT2_T3_mT4_T5_T6_T7_T8_P12ihipStream_tbENKUlT_T0_E_clISt17integral_constantIbLb0EES10_IbLb1EEEEDaSW_SX_EUlSW_E_NS1_11comp_targetILNS1_3genE0ELNS1_11target_archE4294967295ELNS1_3gpuE0ELNS1_3repE0EEENS1_30default_config_static_selectorELNS0_4arch9wavefront6targetE0EEEvT1_
    .private_segment_fixed_size: 0
    .sgpr_count:     0
    .sgpr_spill_count: 0
    .symbol:         _ZN7rocprim17ROCPRIM_400000_NS6detail17trampoline_kernelINS0_14default_configENS1_29reduce_by_key_config_selectorIiiN6thrust23THRUST_200600_302600_NS4plusIiEEEEZZNS1_33reduce_by_key_impl_wrapped_configILNS1_25lookback_scan_determinismE0ES3_S9_NS6_6detail15normal_iteratorINS6_10device_ptrIiEEEESG_SG_SG_PmS8_NS6_8equal_toIiEEEE10hipError_tPvRmT2_T3_mT4_T5_T6_T7_T8_P12ihipStream_tbENKUlT_T0_E_clISt17integral_constantIbLb0EES10_IbLb1EEEEDaSW_SX_EUlSW_E_NS1_11comp_targetILNS1_3genE0ELNS1_11target_archE4294967295ELNS1_3gpuE0ELNS1_3repE0EEENS1_30default_config_static_selectorELNS0_4arch9wavefront6targetE0EEEvT1_.kd
    .uniform_work_group_size: 1
    .uses_dynamic_stack: false
    .vgpr_count:     0
    .vgpr_spill_count: 0
    .wavefront_size: 32
    .workgroup_processor_mode: 1
  - .args:
      - .offset:         0
        .size:           120
        .value_kind:     by_value
    .group_segment_fixed_size: 0
    .kernarg_segment_align: 8
    .kernarg_segment_size: 120
    .language:       OpenCL C
    .language_version:
      - 2
      - 0
    .max_flat_workgroup_size: 256
    .name:           _ZN7rocprim17ROCPRIM_400000_NS6detail17trampoline_kernelINS0_14default_configENS1_29reduce_by_key_config_selectorIiiN6thrust23THRUST_200600_302600_NS4plusIiEEEEZZNS1_33reduce_by_key_impl_wrapped_configILNS1_25lookback_scan_determinismE0ES3_S9_NS6_6detail15normal_iteratorINS6_10device_ptrIiEEEESG_SG_SG_PmS8_NS6_8equal_toIiEEEE10hipError_tPvRmT2_T3_mT4_T5_T6_T7_T8_P12ihipStream_tbENKUlT_T0_E_clISt17integral_constantIbLb0EES10_IbLb1EEEEDaSW_SX_EUlSW_E_NS1_11comp_targetILNS1_3genE5ELNS1_11target_archE942ELNS1_3gpuE9ELNS1_3repE0EEENS1_30default_config_static_selectorELNS0_4arch9wavefront6targetE0EEEvT1_
    .private_segment_fixed_size: 0
    .sgpr_count:     0
    .sgpr_spill_count: 0
    .symbol:         _ZN7rocprim17ROCPRIM_400000_NS6detail17trampoline_kernelINS0_14default_configENS1_29reduce_by_key_config_selectorIiiN6thrust23THRUST_200600_302600_NS4plusIiEEEEZZNS1_33reduce_by_key_impl_wrapped_configILNS1_25lookback_scan_determinismE0ES3_S9_NS6_6detail15normal_iteratorINS6_10device_ptrIiEEEESG_SG_SG_PmS8_NS6_8equal_toIiEEEE10hipError_tPvRmT2_T3_mT4_T5_T6_T7_T8_P12ihipStream_tbENKUlT_T0_E_clISt17integral_constantIbLb0EES10_IbLb1EEEEDaSW_SX_EUlSW_E_NS1_11comp_targetILNS1_3genE5ELNS1_11target_archE942ELNS1_3gpuE9ELNS1_3repE0EEENS1_30default_config_static_selectorELNS0_4arch9wavefront6targetE0EEEvT1_.kd
    .uniform_work_group_size: 1
    .uses_dynamic_stack: false
    .vgpr_count:     0
    .vgpr_spill_count: 0
    .wavefront_size: 32
    .workgroup_processor_mode: 1
  - .args:
      - .offset:         0
        .size:           120
        .value_kind:     by_value
    .group_segment_fixed_size: 0
    .kernarg_segment_align: 8
    .kernarg_segment_size: 120
    .language:       OpenCL C
    .language_version:
      - 2
      - 0
    .max_flat_workgroup_size: 256
    .name:           _ZN7rocprim17ROCPRIM_400000_NS6detail17trampoline_kernelINS0_14default_configENS1_29reduce_by_key_config_selectorIiiN6thrust23THRUST_200600_302600_NS4plusIiEEEEZZNS1_33reduce_by_key_impl_wrapped_configILNS1_25lookback_scan_determinismE0ES3_S9_NS6_6detail15normal_iteratorINS6_10device_ptrIiEEEESG_SG_SG_PmS8_NS6_8equal_toIiEEEE10hipError_tPvRmT2_T3_mT4_T5_T6_T7_T8_P12ihipStream_tbENKUlT_T0_E_clISt17integral_constantIbLb0EES10_IbLb1EEEEDaSW_SX_EUlSW_E_NS1_11comp_targetILNS1_3genE4ELNS1_11target_archE910ELNS1_3gpuE8ELNS1_3repE0EEENS1_30default_config_static_selectorELNS0_4arch9wavefront6targetE0EEEvT1_
    .private_segment_fixed_size: 0
    .sgpr_count:     0
    .sgpr_spill_count: 0
    .symbol:         _ZN7rocprim17ROCPRIM_400000_NS6detail17trampoline_kernelINS0_14default_configENS1_29reduce_by_key_config_selectorIiiN6thrust23THRUST_200600_302600_NS4plusIiEEEEZZNS1_33reduce_by_key_impl_wrapped_configILNS1_25lookback_scan_determinismE0ES3_S9_NS6_6detail15normal_iteratorINS6_10device_ptrIiEEEESG_SG_SG_PmS8_NS6_8equal_toIiEEEE10hipError_tPvRmT2_T3_mT4_T5_T6_T7_T8_P12ihipStream_tbENKUlT_T0_E_clISt17integral_constantIbLb0EES10_IbLb1EEEEDaSW_SX_EUlSW_E_NS1_11comp_targetILNS1_3genE4ELNS1_11target_archE910ELNS1_3gpuE8ELNS1_3repE0EEENS1_30default_config_static_selectorELNS0_4arch9wavefront6targetE0EEEvT1_.kd
    .uniform_work_group_size: 1
    .uses_dynamic_stack: false
    .vgpr_count:     0
    .vgpr_spill_count: 0
    .wavefront_size: 32
    .workgroup_processor_mode: 1
  - .args:
      - .offset:         0
        .size:           120
        .value_kind:     by_value
    .group_segment_fixed_size: 0
    .kernarg_segment_align: 8
    .kernarg_segment_size: 120
    .language:       OpenCL C
    .language_version:
      - 2
      - 0
    .max_flat_workgroup_size: 256
    .name:           _ZN7rocprim17ROCPRIM_400000_NS6detail17trampoline_kernelINS0_14default_configENS1_29reduce_by_key_config_selectorIiiN6thrust23THRUST_200600_302600_NS4plusIiEEEEZZNS1_33reduce_by_key_impl_wrapped_configILNS1_25lookback_scan_determinismE0ES3_S9_NS6_6detail15normal_iteratorINS6_10device_ptrIiEEEESG_SG_SG_PmS8_NS6_8equal_toIiEEEE10hipError_tPvRmT2_T3_mT4_T5_T6_T7_T8_P12ihipStream_tbENKUlT_T0_E_clISt17integral_constantIbLb0EES10_IbLb1EEEEDaSW_SX_EUlSW_E_NS1_11comp_targetILNS1_3genE3ELNS1_11target_archE908ELNS1_3gpuE7ELNS1_3repE0EEENS1_30default_config_static_selectorELNS0_4arch9wavefront6targetE0EEEvT1_
    .private_segment_fixed_size: 0
    .sgpr_count:     0
    .sgpr_spill_count: 0
    .symbol:         _ZN7rocprim17ROCPRIM_400000_NS6detail17trampoline_kernelINS0_14default_configENS1_29reduce_by_key_config_selectorIiiN6thrust23THRUST_200600_302600_NS4plusIiEEEEZZNS1_33reduce_by_key_impl_wrapped_configILNS1_25lookback_scan_determinismE0ES3_S9_NS6_6detail15normal_iteratorINS6_10device_ptrIiEEEESG_SG_SG_PmS8_NS6_8equal_toIiEEEE10hipError_tPvRmT2_T3_mT4_T5_T6_T7_T8_P12ihipStream_tbENKUlT_T0_E_clISt17integral_constantIbLb0EES10_IbLb1EEEEDaSW_SX_EUlSW_E_NS1_11comp_targetILNS1_3genE3ELNS1_11target_archE908ELNS1_3gpuE7ELNS1_3repE0EEENS1_30default_config_static_selectorELNS0_4arch9wavefront6targetE0EEEvT1_.kd
    .uniform_work_group_size: 1
    .uses_dynamic_stack: false
    .vgpr_count:     0
    .vgpr_spill_count: 0
    .wavefront_size: 32
    .workgroup_processor_mode: 1
  - .args:
      - .offset:         0
        .size:           120
        .value_kind:     by_value
    .group_segment_fixed_size: 0
    .kernarg_segment_align: 8
    .kernarg_segment_size: 120
    .language:       OpenCL C
    .language_version:
      - 2
      - 0
    .max_flat_workgroup_size: 256
    .name:           _ZN7rocprim17ROCPRIM_400000_NS6detail17trampoline_kernelINS0_14default_configENS1_29reduce_by_key_config_selectorIiiN6thrust23THRUST_200600_302600_NS4plusIiEEEEZZNS1_33reduce_by_key_impl_wrapped_configILNS1_25lookback_scan_determinismE0ES3_S9_NS6_6detail15normal_iteratorINS6_10device_ptrIiEEEESG_SG_SG_PmS8_NS6_8equal_toIiEEEE10hipError_tPvRmT2_T3_mT4_T5_T6_T7_T8_P12ihipStream_tbENKUlT_T0_E_clISt17integral_constantIbLb0EES10_IbLb1EEEEDaSW_SX_EUlSW_E_NS1_11comp_targetILNS1_3genE2ELNS1_11target_archE906ELNS1_3gpuE6ELNS1_3repE0EEENS1_30default_config_static_selectorELNS0_4arch9wavefront6targetE0EEEvT1_
    .private_segment_fixed_size: 0
    .sgpr_count:     0
    .sgpr_spill_count: 0
    .symbol:         _ZN7rocprim17ROCPRIM_400000_NS6detail17trampoline_kernelINS0_14default_configENS1_29reduce_by_key_config_selectorIiiN6thrust23THRUST_200600_302600_NS4plusIiEEEEZZNS1_33reduce_by_key_impl_wrapped_configILNS1_25lookback_scan_determinismE0ES3_S9_NS6_6detail15normal_iteratorINS6_10device_ptrIiEEEESG_SG_SG_PmS8_NS6_8equal_toIiEEEE10hipError_tPvRmT2_T3_mT4_T5_T6_T7_T8_P12ihipStream_tbENKUlT_T0_E_clISt17integral_constantIbLb0EES10_IbLb1EEEEDaSW_SX_EUlSW_E_NS1_11comp_targetILNS1_3genE2ELNS1_11target_archE906ELNS1_3gpuE6ELNS1_3repE0EEENS1_30default_config_static_selectorELNS0_4arch9wavefront6targetE0EEEvT1_.kd
    .uniform_work_group_size: 1
    .uses_dynamic_stack: false
    .vgpr_count:     0
    .vgpr_spill_count: 0
    .wavefront_size: 32
    .workgroup_processor_mode: 1
  - .args:
      - .offset:         0
        .size:           120
        .value_kind:     by_value
    .group_segment_fixed_size: 0
    .kernarg_segment_align: 8
    .kernarg_segment_size: 120
    .language:       OpenCL C
    .language_version:
      - 2
      - 0
    .max_flat_workgroup_size: 256
    .name:           _ZN7rocprim17ROCPRIM_400000_NS6detail17trampoline_kernelINS0_14default_configENS1_29reduce_by_key_config_selectorIiiN6thrust23THRUST_200600_302600_NS4plusIiEEEEZZNS1_33reduce_by_key_impl_wrapped_configILNS1_25lookback_scan_determinismE0ES3_S9_NS6_6detail15normal_iteratorINS6_10device_ptrIiEEEESG_SG_SG_PmS8_NS6_8equal_toIiEEEE10hipError_tPvRmT2_T3_mT4_T5_T6_T7_T8_P12ihipStream_tbENKUlT_T0_E_clISt17integral_constantIbLb0EES10_IbLb1EEEEDaSW_SX_EUlSW_E_NS1_11comp_targetILNS1_3genE10ELNS1_11target_archE1201ELNS1_3gpuE5ELNS1_3repE0EEENS1_30default_config_static_selectorELNS0_4arch9wavefront6targetE0EEEvT1_
    .private_segment_fixed_size: 0
    .sgpr_count:     0
    .sgpr_spill_count: 0
    .symbol:         _ZN7rocprim17ROCPRIM_400000_NS6detail17trampoline_kernelINS0_14default_configENS1_29reduce_by_key_config_selectorIiiN6thrust23THRUST_200600_302600_NS4plusIiEEEEZZNS1_33reduce_by_key_impl_wrapped_configILNS1_25lookback_scan_determinismE0ES3_S9_NS6_6detail15normal_iteratorINS6_10device_ptrIiEEEESG_SG_SG_PmS8_NS6_8equal_toIiEEEE10hipError_tPvRmT2_T3_mT4_T5_T6_T7_T8_P12ihipStream_tbENKUlT_T0_E_clISt17integral_constantIbLb0EES10_IbLb1EEEEDaSW_SX_EUlSW_E_NS1_11comp_targetILNS1_3genE10ELNS1_11target_archE1201ELNS1_3gpuE5ELNS1_3repE0EEENS1_30default_config_static_selectorELNS0_4arch9wavefront6targetE0EEEvT1_.kd
    .uniform_work_group_size: 1
    .uses_dynamic_stack: false
    .vgpr_count:     0
    .vgpr_spill_count: 0
    .wavefront_size: 32
    .workgroup_processor_mode: 1
  - .args:
      - .offset:         0
        .size:           120
        .value_kind:     by_value
    .group_segment_fixed_size: 0
    .kernarg_segment_align: 8
    .kernarg_segment_size: 120
    .language:       OpenCL C
    .language_version:
      - 2
      - 0
    .max_flat_workgroup_size: 256
    .name:           _ZN7rocprim17ROCPRIM_400000_NS6detail17trampoline_kernelINS0_14default_configENS1_29reduce_by_key_config_selectorIiiN6thrust23THRUST_200600_302600_NS4plusIiEEEEZZNS1_33reduce_by_key_impl_wrapped_configILNS1_25lookback_scan_determinismE0ES3_S9_NS6_6detail15normal_iteratorINS6_10device_ptrIiEEEESG_SG_SG_PmS8_NS6_8equal_toIiEEEE10hipError_tPvRmT2_T3_mT4_T5_T6_T7_T8_P12ihipStream_tbENKUlT_T0_E_clISt17integral_constantIbLb0EES10_IbLb1EEEEDaSW_SX_EUlSW_E_NS1_11comp_targetILNS1_3genE10ELNS1_11target_archE1200ELNS1_3gpuE4ELNS1_3repE0EEENS1_30default_config_static_selectorELNS0_4arch9wavefront6targetE0EEEvT1_
    .private_segment_fixed_size: 0
    .sgpr_count:     0
    .sgpr_spill_count: 0
    .symbol:         _ZN7rocprim17ROCPRIM_400000_NS6detail17trampoline_kernelINS0_14default_configENS1_29reduce_by_key_config_selectorIiiN6thrust23THRUST_200600_302600_NS4plusIiEEEEZZNS1_33reduce_by_key_impl_wrapped_configILNS1_25lookback_scan_determinismE0ES3_S9_NS6_6detail15normal_iteratorINS6_10device_ptrIiEEEESG_SG_SG_PmS8_NS6_8equal_toIiEEEE10hipError_tPvRmT2_T3_mT4_T5_T6_T7_T8_P12ihipStream_tbENKUlT_T0_E_clISt17integral_constantIbLb0EES10_IbLb1EEEEDaSW_SX_EUlSW_E_NS1_11comp_targetILNS1_3genE10ELNS1_11target_archE1200ELNS1_3gpuE4ELNS1_3repE0EEENS1_30default_config_static_selectorELNS0_4arch9wavefront6targetE0EEEvT1_.kd
    .uniform_work_group_size: 1
    .uses_dynamic_stack: false
    .vgpr_count:     0
    .vgpr_spill_count: 0
    .wavefront_size: 32
    .workgroup_processor_mode: 1
  - .args:
      - .offset:         0
        .size:           120
        .value_kind:     by_value
    .group_segment_fixed_size: 15360
    .kernarg_segment_align: 8
    .kernarg_segment_size: 120
    .language:       OpenCL C
    .language_version:
      - 2
      - 0
    .max_flat_workgroup_size: 256
    .name:           _ZN7rocprim17ROCPRIM_400000_NS6detail17trampoline_kernelINS0_14default_configENS1_29reduce_by_key_config_selectorIiiN6thrust23THRUST_200600_302600_NS4plusIiEEEEZZNS1_33reduce_by_key_impl_wrapped_configILNS1_25lookback_scan_determinismE0ES3_S9_NS6_6detail15normal_iteratorINS6_10device_ptrIiEEEESG_SG_SG_PmS8_NS6_8equal_toIiEEEE10hipError_tPvRmT2_T3_mT4_T5_T6_T7_T8_P12ihipStream_tbENKUlT_T0_E_clISt17integral_constantIbLb0EES10_IbLb1EEEEDaSW_SX_EUlSW_E_NS1_11comp_targetILNS1_3genE9ELNS1_11target_archE1100ELNS1_3gpuE3ELNS1_3repE0EEENS1_30default_config_static_selectorELNS0_4arch9wavefront6targetE0EEEvT1_
    .private_segment_fixed_size: 0
    .sgpr_count:     46
    .sgpr_spill_count: 0
    .symbol:         _ZN7rocprim17ROCPRIM_400000_NS6detail17trampoline_kernelINS0_14default_configENS1_29reduce_by_key_config_selectorIiiN6thrust23THRUST_200600_302600_NS4plusIiEEEEZZNS1_33reduce_by_key_impl_wrapped_configILNS1_25lookback_scan_determinismE0ES3_S9_NS6_6detail15normal_iteratorINS6_10device_ptrIiEEEESG_SG_SG_PmS8_NS6_8equal_toIiEEEE10hipError_tPvRmT2_T3_mT4_T5_T6_T7_T8_P12ihipStream_tbENKUlT_T0_E_clISt17integral_constantIbLb0EES10_IbLb1EEEEDaSW_SX_EUlSW_E_NS1_11comp_targetILNS1_3genE9ELNS1_11target_archE1100ELNS1_3gpuE3ELNS1_3repE0EEENS1_30default_config_static_selectorELNS0_4arch9wavefront6targetE0EEEvT1_.kd
    .uniform_work_group_size: 1
    .uses_dynamic_stack: false
    .vgpr_count:     86
    .vgpr_spill_count: 0
    .wavefront_size: 32
    .workgroup_processor_mode: 1
  - .args:
      - .offset:         0
        .size:           120
        .value_kind:     by_value
    .group_segment_fixed_size: 0
    .kernarg_segment_align: 8
    .kernarg_segment_size: 120
    .language:       OpenCL C
    .language_version:
      - 2
      - 0
    .max_flat_workgroup_size: 256
    .name:           _ZN7rocprim17ROCPRIM_400000_NS6detail17trampoline_kernelINS0_14default_configENS1_29reduce_by_key_config_selectorIiiN6thrust23THRUST_200600_302600_NS4plusIiEEEEZZNS1_33reduce_by_key_impl_wrapped_configILNS1_25lookback_scan_determinismE0ES3_S9_NS6_6detail15normal_iteratorINS6_10device_ptrIiEEEESG_SG_SG_PmS8_NS6_8equal_toIiEEEE10hipError_tPvRmT2_T3_mT4_T5_T6_T7_T8_P12ihipStream_tbENKUlT_T0_E_clISt17integral_constantIbLb0EES10_IbLb1EEEEDaSW_SX_EUlSW_E_NS1_11comp_targetILNS1_3genE8ELNS1_11target_archE1030ELNS1_3gpuE2ELNS1_3repE0EEENS1_30default_config_static_selectorELNS0_4arch9wavefront6targetE0EEEvT1_
    .private_segment_fixed_size: 0
    .sgpr_count:     0
    .sgpr_spill_count: 0
    .symbol:         _ZN7rocprim17ROCPRIM_400000_NS6detail17trampoline_kernelINS0_14default_configENS1_29reduce_by_key_config_selectorIiiN6thrust23THRUST_200600_302600_NS4plusIiEEEEZZNS1_33reduce_by_key_impl_wrapped_configILNS1_25lookback_scan_determinismE0ES3_S9_NS6_6detail15normal_iteratorINS6_10device_ptrIiEEEESG_SG_SG_PmS8_NS6_8equal_toIiEEEE10hipError_tPvRmT2_T3_mT4_T5_T6_T7_T8_P12ihipStream_tbENKUlT_T0_E_clISt17integral_constantIbLb0EES10_IbLb1EEEEDaSW_SX_EUlSW_E_NS1_11comp_targetILNS1_3genE8ELNS1_11target_archE1030ELNS1_3gpuE2ELNS1_3repE0EEENS1_30default_config_static_selectorELNS0_4arch9wavefront6targetE0EEEvT1_.kd
    .uniform_work_group_size: 1
    .uses_dynamic_stack: false
    .vgpr_count:     0
    .vgpr_spill_count: 0
    .wavefront_size: 32
    .workgroup_processor_mode: 1
  - .args:
      - .offset:         0
        .size:           120
        .value_kind:     by_value
    .group_segment_fixed_size: 0
    .kernarg_segment_align: 8
    .kernarg_segment_size: 120
    .language:       OpenCL C
    .language_version:
      - 2
      - 0
    .max_flat_workgroup_size: 256
    .name:           _ZN7rocprim17ROCPRIM_400000_NS6detail17trampoline_kernelINS0_14default_configENS1_29reduce_by_key_config_selectorIiiN6thrust23THRUST_200600_302600_NS4plusIiEEEEZZNS1_33reduce_by_key_impl_wrapped_configILNS1_25lookback_scan_determinismE0ES3_S9_NS6_6detail15normal_iteratorINS6_10device_ptrIiEEEESG_SG_SG_PmS8_22is_equal_div_10_reduceIiEEE10hipError_tPvRmT2_T3_mT4_T5_T6_T7_T8_P12ihipStream_tbENKUlT_T0_E_clISt17integral_constantIbLb0EES11_EEDaSW_SX_EUlSW_E_NS1_11comp_targetILNS1_3genE0ELNS1_11target_archE4294967295ELNS1_3gpuE0ELNS1_3repE0EEENS1_30default_config_static_selectorELNS0_4arch9wavefront6targetE0EEEvT1_
    .private_segment_fixed_size: 0
    .sgpr_count:     0
    .sgpr_spill_count: 0
    .symbol:         _ZN7rocprim17ROCPRIM_400000_NS6detail17trampoline_kernelINS0_14default_configENS1_29reduce_by_key_config_selectorIiiN6thrust23THRUST_200600_302600_NS4plusIiEEEEZZNS1_33reduce_by_key_impl_wrapped_configILNS1_25lookback_scan_determinismE0ES3_S9_NS6_6detail15normal_iteratorINS6_10device_ptrIiEEEESG_SG_SG_PmS8_22is_equal_div_10_reduceIiEEE10hipError_tPvRmT2_T3_mT4_T5_T6_T7_T8_P12ihipStream_tbENKUlT_T0_E_clISt17integral_constantIbLb0EES11_EEDaSW_SX_EUlSW_E_NS1_11comp_targetILNS1_3genE0ELNS1_11target_archE4294967295ELNS1_3gpuE0ELNS1_3repE0EEENS1_30default_config_static_selectorELNS0_4arch9wavefront6targetE0EEEvT1_.kd
    .uniform_work_group_size: 1
    .uses_dynamic_stack: false
    .vgpr_count:     0
    .vgpr_spill_count: 0
    .wavefront_size: 32
    .workgroup_processor_mode: 1
  - .args:
      - .offset:         0
        .size:           120
        .value_kind:     by_value
    .group_segment_fixed_size: 0
    .kernarg_segment_align: 8
    .kernarg_segment_size: 120
    .language:       OpenCL C
    .language_version:
      - 2
      - 0
    .max_flat_workgroup_size: 256
    .name:           _ZN7rocprim17ROCPRIM_400000_NS6detail17trampoline_kernelINS0_14default_configENS1_29reduce_by_key_config_selectorIiiN6thrust23THRUST_200600_302600_NS4plusIiEEEEZZNS1_33reduce_by_key_impl_wrapped_configILNS1_25lookback_scan_determinismE0ES3_S9_NS6_6detail15normal_iteratorINS6_10device_ptrIiEEEESG_SG_SG_PmS8_22is_equal_div_10_reduceIiEEE10hipError_tPvRmT2_T3_mT4_T5_T6_T7_T8_P12ihipStream_tbENKUlT_T0_E_clISt17integral_constantIbLb0EES11_EEDaSW_SX_EUlSW_E_NS1_11comp_targetILNS1_3genE5ELNS1_11target_archE942ELNS1_3gpuE9ELNS1_3repE0EEENS1_30default_config_static_selectorELNS0_4arch9wavefront6targetE0EEEvT1_
    .private_segment_fixed_size: 0
    .sgpr_count:     0
    .sgpr_spill_count: 0
    .symbol:         _ZN7rocprim17ROCPRIM_400000_NS6detail17trampoline_kernelINS0_14default_configENS1_29reduce_by_key_config_selectorIiiN6thrust23THRUST_200600_302600_NS4plusIiEEEEZZNS1_33reduce_by_key_impl_wrapped_configILNS1_25lookback_scan_determinismE0ES3_S9_NS6_6detail15normal_iteratorINS6_10device_ptrIiEEEESG_SG_SG_PmS8_22is_equal_div_10_reduceIiEEE10hipError_tPvRmT2_T3_mT4_T5_T6_T7_T8_P12ihipStream_tbENKUlT_T0_E_clISt17integral_constantIbLb0EES11_EEDaSW_SX_EUlSW_E_NS1_11comp_targetILNS1_3genE5ELNS1_11target_archE942ELNS1_3gpuE9ELNS1_3repE0EEENS1_30default_config_static_selectorELNS0_4arch9wavefront6targetE0EEEvT1_.kd
    .uniform_work_group_size: 1
    .uses_dynamic_stack: false
    .vgpr_count:     0
    .vgpr_spill_count: 0
    .wavefront_size: 32
    .workgroup_processor_mode: 1
  - .args:
      - .offset:         0
        .size:           120
        .value_kind:     by_value
    .group_segment_fixed_size: 0
    .kernarg_segment_align: 8
    .kernarg_segment_size: 120
    .language:       OpenCL C
    .language_version:
      - 2
      - 0
    .max_flat_workgroup_size: 256
    .name:           _ZN7rocprim17ROCPRIM_400000_NS6detail17trampoline_kernelINS0_14default_configENS1_29reduce_by_key_config_selectorIiiN6thrust23THRUST_200600_302600_NS4plusIiEEEEZZNS1_33reduce_by_key_impl_wrapped_configILNS1_25lookback_scan_determinismE0ES3_S9_NS6_6detail15normal_iteratorINS6_10device_ptrIiEEEESG_SG_SG_PmS8_22is_equal_div_10_reduceIiEEE10hipError_tPvRmT2_T3_mT4_T5_T6_T7_T8_P12ihipStream_tbENKUlT_T0_E_clISt17integral_constantIbLb0EES11_EEDaSW_SX_EUlSW_E_NS1_11comp_targetILNS1_3genE4ELNS1_11target_archE910ELNS1_3gpuE8ELNS1_3repE0EEENS1_30default_config_static_selectorELNS0_4arch9wavefront6targetE0EEEvT1_
    .private_segment_fixed_size: 0
    .sgpr_count:     0
    .sgpr_spill_count: 0
    .symbol:         _ZN7rocprim17ROCPRIM_400000_NS6detail17trampoline_kernelINS0_14default_configENS1_29reduce_by_key_config_selectorIiiN6thrust23THRUST_200600_302600_NS4plusIiEEEEZZNS1_33reduce_by_key_impl_wrapped_configILNS1_25lookback_scan_determinismE0ES3_S9_NS6_6detail15normal_iteratorINS6_10device_ptrIiEEEESG_SG_SG_PmS8_22is_equal_div_10_reduceIiEEE10hipError_tPvRmT2_T3_mT4_T5_T6_T7_T8_P12ihipStream_tbENKUlT_T0_E_clISt17integral_constantIbLb0EES11_EEDaSW_SX_EUlSW_E_NS1_11comp_targetILNS1_3genE4ELNS1_11target_archE910ELNS1_3gpuE8ELNS1_3repE0EEENS1_30default_config_static_selectorELNS0_4arch9wavefront6targetE0EEEvT1_.kd
    .uniform_work_group_size: 1
    .uses_dynamic_stack: false
    .vgpr_count:     0
    .vgpr_spill_count: 0
    .wavefront_size: 32
    .workgroup_processor_mode: 1
  - .args:
      - .offset:         0
        .size:           120
        .value_kind:     by_value
    .group_segment_fixed_size: 0
    .kernarg_segment_align: 8
    .kernarg_segment_size: 120
    .language:       OpenCL C
    .language_version:
      - 2
      - 0
    .max_flat_workgroup_size: 256
    .name:           _ZN7rocprim17ROCPRIM_400000_NS6detail17trampoline_kernelINS0_14default_configENS1_29reduce_by_key_config_selectorIiiN6thrust23THRUST_200600_302600_NS4plusIiEEEEZZNS1_33reduce_by_key_impl_wrapped_configILNS1_25lookback_scan_determinismE0ES3_S9_NS6_6detail15normal_iteratorINS6_10device_ptrIiEEEESG_SG_SG_PmS8_22is_equal_div_10_reduceIiEEE10hipError_tPvRmT2_T3_mT4_T5_T6_T7_T8_P12ihipStream_tbENKUlT_T0_E_clISt17integral_constantIbLb0EES11_EEDaSW_SX_EUlSW_E_NS1_11comp_targetILNS1_3genE3ELNS1_11target_archE908ELNS1_3gpuE7ELNS1_3repE0EEENS1_30default_config_static_selectorELNS0_4arch9wavefront6targetE0EEEvT1_
    .private_segment_fixed_size: 0
    .sgpr_count:     0
    .sgpr_spill_count: 0
    .symbol:         _ZN7rocprim17ROCPRIM_400000_NS6detail17trampoline_kernelINS0_14default_configENS1_29reduce_by_key_config_selectorIiiN6thrust23THRUST_200600_302600_NS4plusIiEEEEZZNS1_33reduce_by_key_impl_wrapped_configILNS1_25lookback_scan_determinismE0ES3_S9_NS6_6detail15normal_iteratorINS6_10device_ptrIiEEEESG_SG_SG_PmS8_22is_equal_div_10_reduceIiEEE10hipError_tPvRmT2_T3_mT4_T5_T6_T7_T8_P12ihipStream_tbENKUlT_T0_E_clISt17integral_constantIbLb0EES11_EEDaSW_SX_EUlSW_E_NS1_11comp_targetILNS1_3genE3ELNS1_11target_archE908ELNS1_3gpuE7ELNS1_3repE0EEENS1_30default_config_static_selectorELNS0_4arch9wavefront6targetE0EEEvT1_.kd
    .uniform_work_group_size: 1
    .uses_dynamic_stack: false
    .vgpr_count:     0
    .vgpr_spill_count: 0
    .wavefront_size: 32
    .workgroup_processor_mode: 1
  - .args:
      - .offset:         0
        .size:           120
        .value_kind:     by_value
    .group_segment_fixed_size: 0
    .kernarg_segment_align: 8
    .kernarg_segment_size: 120
    .language:       OpenCL C
    .language_version:
      - 2
      - 0
    .max_flat_workgroup_size: 256
    .name:           _ZN7rocprim17ROCPRIM_400000_NS6detail17trampoline_kernelINS0_14default_configENS1_29reduce_by_key_config_selectorIiiN6thrust23THRUST_200600_302600_NS4plusIiEEEEZZNS1_33reduce_by_key_impl_wrapped_configILNS1_25lookback_scan_determinismE0ES3_S9_NS6_6detail15normal_iteratorINS6_10device_ptrIiEEEESG_SG_SG_PmS8_22is_equal_div_10_reduceIiEEE10hipError_tPvRmT2_T3_mT4_T5_T6_T7_T8_P12ihipStream_tbENKUlT_T0_E_clISt17integral_constantIbLb0EES11_EEDaSW_SX_EUlSW_E_NS1_11comp_targetILNS1_3genE2ELNS1_11target_archE906ELNS1_3gpuE6ELNS1_3repE0EEENS1_30default_config_static_selectorELNS0_4arch9wavefront6targetE0EEEvT1_
    .private_segment_fixed_size: 0
    .sgpr_count:     0
    .sgpr_spill_count: 0
    .symbol:         _ZN7rocprim17ROCPRIM_400000_NS6detail17trampoline_kernelINS0_14default_configENS1_29reduce_by_key_config_selectorIiiN6thrust23THRUST_200600_302600_NS4plusIiEEEEZZNS1_33reduce_by_key_impl_wrapped_configILNS1_25lookback_scan_determinismE0ES3_S9_NS6_6detail15normal_iteratorINS6_10device_ptrIiEEEESG_SG_SG_PmS8_22is_equal_div_10_reduceIiEEE10hipError_tPvRmT2_T3_mT4_T5_T6_T7_T8_P12ihipStream_tbENKUlT_T0_E_clISt17integral_constantIbLb0EES11_EEDaSW_SX_EUlSW_E_NS1_11comp_targetILNS1_3genE2ELNS1_11target_archE906ELNS1_3gpuE6ELNS1_3repE0EEENS1_30default_config_static_selectorELNS0_4arch9wavefront6targetE0EEEvT1_.kd
    .uniform_work_group_size: 1
    .uses_dynamic_stack: false
    .vgpr_count:     0
    .vgpr_spill_count: 0
    .wavefront_size: 32
    .workgroup_processor_mode: 1
  - .args:
      - .offset:         0
        .size:           120
        .value_kind:     by_value
    .group_segment_fixed_size: 0
    .kernarg_segment_align: 8
    .kernarg_segment_size: 120
    .language:       OpenCL C
    .language_version:
      - 2
      - 0
    .max_flat_workgroup_size: 256
    .name:           _ZN7rocprim17ROCPRIM_400000_NS6detail17trampoline_kernelINS0_14default_configENS1_29reduce_by_key_config_selectorIiiN6thrust23THRUST_200600_302600_NS4plusIiEEEEZZNS1_33reduce_by_key_impl_wrapped_configILNS1_25lookback_scan_determinismE0ES3_S9_NS6_6detail15normal_iteratorINS6_10device_ptrIiEEEESG_SG_SG_PmS8_22is_equal_div_10_reduceIiEEE10hipError_tPvRmT2_T3_mT4_T5_T6_T7_T8_P12ihipStream_tbENKUlT_T0_E_clISt17integral_constantIbLb0EES11_EEDaSW_SX_EUlSW_E_NS1_11comp_targetILNS1_3genE10ELNS1_11target_archE1201ELNS1_3gpuE5ELNS1_3repE0EEENS1_30default_config_static_selectorELNS0_4arch9wavefront6targetE0EEEvT1_
    .private_segment_fixed_size: 0
    .sgpr_count:     0
    .sgpr_spill_count: 0
    .symbol:         _ZN7rocprim17ROCPRIM_400000_NS6detail17trampoline_kernelINS0_14default_configENS1_29reduce_by_key_config_selectorIiiN6thrust23THRUST_200600_302600_NS4plusIiEEEEZZNS1_33reduce_by_key_impl_wrapped_configILNS1_25lookback_scan_determinismE0ES3_S9_NS6_6detail15normal_iteratorINS6_10device_ptrIiEEEESG_SG_SG_PmS8_22is_equal_div_10_reduceIiEEE10hipError_tPvRmT2_T3_mT4_T5_T6_T7_T8_P12ihipStream_tbENKUlT_T0_E_clISt17integral_constantIbLb0EES11_EEDaSW_SX_EUlSW_E_NS1_11comp_targetILNS1_3genE10ELNS1_11target_archE1201ELNS1_3gpuE5ELNS1_3repE0EEENS1_30default_config_static_selectorELNS0_4arch9wavefront6targetE0EEEvT1_.kd
    .uniform_work_group_size: 1
    .uses_dynamic_stack: false
    .vgpr_count:     0
    .vgpr_spill_count: 0
    .wavefront_size: 32
    .workgroup_processor_mode: 1
  - .args:
      - .offset:         0
        .size:           120
        .value_kind:     by_value
    .group_segment_fixed_size: 0
    .kernarg_segment_align: 8
    .kernarg_segment_size: 120
    .language:       OpenCL C
    .language_version:
      - 2
      - 0
    .max_flat_workgroup_size: 256
    .name:           _ZN7rocprim17ROCPRIM_400000_NS6detail17trampoline_kernelINS0_14default_configENS1_29reduce_by_key_config_selectorIiiN6thrust23THRUST_200600_302600_NS4plusIiEEEEZZNS1_33reduce_by_key_impl_wrapped_configILNS1_25lookback_scan_determinismE0ES3_S9_NS6_6detail15normal_iteratorINS6_10device_ptrIiEEEESG_SG_SG_PmS8_22is_equal_div_10_reduceIiEEE10hipError_tPvRmT2_T3_mT4_T5_T6_T7_T8_P12ihipStream_tbENKUlT_T0_E_clISt17integral_constantIbLb0EES11_EEDaSW_SX_EUlSW_E_NS1_11comp_targetILNS1_3genE10ELNS1_11target_archE1200ELNS1_3gpuE4ELNS1_3repE0EEENS1_30default_config_static_selectorELNS0_4arch9wavefront6targetE0EEEvT1_
    .private_segment_fixed_size: 0
    .sgpr_count:     0
    .sgpr_spill_count: 0
    .symbol:         _ZN7rocprim17ROCPRIM_400000_NS6detail17trampoline_kernelINS0_14default_configENS1_29reduce_by_key_config_selectorIiiN6thrust23THRUST_200600_302600_NS4plusIiEEEEZZNS1_33reduce_by_key_impl_wrapped_configILNS1_25lookback_scan_determinismE0ES3_S9_NS6_6detail15normal_iteratorINS6_10device_ptrIiEEEESG_SG_SG_PmS8_22is_equal_div_10_reduceIiEEE10hipError_tPvRmT2_T3_mT4_T5_T6_T7_T8_P12ihipStream_tbENKUlT_T0_E_clISt17integral_constantIbLb0EES11_EEDaSW_SX_EUlSW_E_NS1_11comp_targetILNS1_3genE10ELNS1_11target_archE1200ELNS1_3gpuE4ELNS1_3repE0EEENS1_30default_config_static_selectorELNS0_4arch9wavefront6targetE0EEEvT1_.kd
    .uniform_work_group_size: 1
    .uses_dynamic_stack: false
    .vgpr_count:     0
    .vgpr_spill_count: 0
    .wavefront_size: 32
    .workgroup_processor_mode: 1
  - .args:
      - .offset:         0
        .size:           120
        .value_kind:     by_value
    .group_segment_fixed_size: 15360
    .kernarg_segment_align: 8
    .kernarg_segment_size: 120
    .language:       OpenCL C
    .language_version:
      - 2
      - 0
    .max_flat_workgroup_size: 256
    .name:           _ZN7rocprim17ROCPRIM_400000_NS6detail17trampoline_kernelINS0_14default_configENS1_29reduce_by_key_config_selectorIiiN6thrust23THRUST_200600_302600_NS4plusIiEEEEZZNS1_33reduce_by_key_impl_wrapped_configILNS1_25lookback_scan_determinismE0ES3_S9_NS6_6detail15normal_iteratorINS6_10device_ptrIiEEEESG_SG_SG_PmS8_22is_equal_div_10_reduceIiEEE10hipError_tPvRmT2_T3_mT4_T5_T6_T7_T8_P12ihipStream_tbENKUlT_T0_E_clISt17integral_constantIbLb0EES11_EEDaSW_SX_EUlSW_E_NS1_11comp_targetILNS1_3genE9ELNS1_11target_archE1100ELNS1_3gpuE3ELNS1_3repE0EEENS1_30default_config_static_selectorELNS0_4arch9wavefront6targetE0EEEvT1_
    .private_segment_fixed_size: 0
    .sgpr_count:     46
    .sgpr_spill_count: 0
    .symbol:         _ZN7rocprim17ROCPRIM_400000_NS6detail17trampoline_kernelINS0_14default_configENS1_29reduce_by_key_config_selectorIiiN6thrust23THRUST_200600_302600_NS4plusIiEEEEZZNS1_33reduce_by_key_impl_wrapped_configILNS1_25lookback_scan_determinismE0ES3_S9_NS6_6detail15normal_iteratorINS6_10device_ptrIiEEEESG_SG_SG_PmS8_22is_equal_div_10_reduceIiEEE10hipError_tPvRmT2_T3_mT4_T5_T6_T7_T8_P12ihipStream_tbENKUlT_T0_E_clISt17integral_constantIbLb0EES11_EEDaSW_SX_EUlSW_E_NS1_11comp_targetILNS1_3genE9ELNS1_11target_archE1100ELNS1_3gpuE3ELNS1_3repE0EEENS1_30default_config_static_selectorELNS0_4arch9wavefront6targetE0EEEvT1_.kd
    .uniform_work_group_size: 1
    .uses_dynamic_stack: false
    .vgpr_count:     86
    .vgpr_spill_count: 0
    .wavefront_size: 32
    .workgroup_processor_mode: 1
  - .args:
      - .offset:         0
        .size:           120
        .value_kind:     by_value
    .group_segment_fixed_size: 0
    .kernarg_segment_align: 8
    .kernarg_segment_size: 120
    .language:       OpenCL C
    .language_version:
      - 2
      - 0
    .max_flat_workgroup_size: 256
    .name:           _ZN7rocprim17ROCPRIM_400000_NS6detail17trampoline_kernelINS0_14default_configENS1_29reduce_by_key_config_selectorIiiN6thrust23THRUST_200600_302600_NS4plusIiEEEEZZNS1_33reduce_by_key_impl_wrapped_configILNS1_25lookback_scan_determinismE0ES3_S9_NS6_6detail15normal_iteratorINS6_10device_ptrIiEEEESG_SG_SG_PmS8_22is_equal_div_10_reduceIiEEE10hipError_tPvRmT2_T3_mT4_T5_T6_T7_T8_P12ihipStream_tbENKUlT_T0_E_clISt17integral_constantIbLb0EES11_EEDaSW_SX_EUlSW_E_NS1_11comp_targetILNS1_3genE8ELNS1_11target_archE1030ELNS1_3gpuE2ELNS1_3repE0EEENS1_30default_config_static_selectorELNS0_4arch9wavefront6targetE0EEEvT1_
    .private_segment_fixed_size: 0
    .sgpr_count:     0
    .sgpr_spill_count: 0
    .symbol:         _ZN7rocprim17ROCPRIM_400000_NS6detail17trampoline_kernelINS0_14default_configENS1_29reduce_by_key_config_selectorIiiN6thrust23THRUST_200600_302600_NS4plusIiEEEEZZNS1_33reduce_by_key_impl_wrapped_configILNS1_25lookback_scan_determinismE0ES3_S9_NS6_6detail15normal_iteratorINS6_10device_ptrIiEEEESG_SG_SG_PmS8_22is_equal_div_10_reduceIiEEE10hipError_tPvRmT2_T3_mT4_T5_T6_T7_T8_P12ihipStream_tbENKUlT_T0_E_clISt17integral_constantIbLb0EES11_EEDaSW_SX_EUlSW_E_NS1_11comp_targetILNS1_3genE8ELNS1_11target_archE1030ELNS1_3gpuE2ELNS1_3repE0EEENS1_30default_config_static_selectorELNS0_4arch9wavefront6targetE0EEEvT1_.kd
    .uniform_work_group_size: 1
    .uses_dynamic_stack: false
    .vgpr_count:     0
    .vgpr_spill_count: 0
    .wavefront_size: 32
    .workgroup_processor_mode: 1
  - .args:
      - .offset:         0
        .size:           120
        .value_kind:     by_value
    .group_segment_fixed_size: 0
    .kernarg_segment_align: 8
    .kernarg_segment_size: 120
    .language:       OpenCL C
    .language_version:
      - 2
      - 0
    .max_flat_workgroup_size: 256
    .name:           _ZN7rocprim17ROCPRIM_400000_NS6detail17trampoline_kernelINS0_14default_configENS1_29reduce_by_key_config_selectorIiiN6thrust23THRUST_200600_302600_NS4plusIiEEEEZZNS1_33reduce_by_key_impl_wrapped_configILNS1_25lookback_scan_determinismE0ES3_S9_NS6_6detail15normal_iteratorINS6_10device_ptrIiEEEESG_SG_SG_PmS8_22is_equal_div_10_reduceIiEEE10hipError_tPvRmT2_T3_mT4_T5_T6_T7_T8_P12ihipStream_tbENKUlT_T0_E_clISt17integral_constantIbLb1EES11_EEDaSW_SX_EUlSW_E_NS1_11comp_targetILNS1_3genE0ELNS1_11target_archE4294967295ELNS1_3gpuE0ELNS1_3repE0EEENS1_30default_config_static_selectorELNS0_4arch9wavefront6targetE0EEEvT1_
    .private_segment_fixed_size: 0
    .sgpr_count:     0
    .sgpr_spill_count: 0
    .symbol:         _ZN7rocprim17ROCPRIM_400000_NS6detail17trampoline_kernelINS0_14default_configENS1_29reduce_by_key_config_selectorIiiN6thrust23THRUST_200600_302600_NS4plusIiEEEEZZNS1_33reduce_by_key_impl_wrapped_configILNS1_25lookback_scan_determinismE0ES3_S9_NS6_6detail15normal_iteratorINS6_10device_ptrIiEEEESG_SG_SG_PmS8_22is_equal_div_10_reduceIiEEE10hipError_tPvRmT2_T3_mT4_T5_T6_T7_T8_P12ihipStream_tbENKUlT_T0_E_clISt17integral_constantIbLb1EES11_EEDaSW_SX_EUlSW_E_NS1_11comp_targetILNS1_3genE0ELNS1_11target_archE4294967295ELNS1_3gpuE0ELNS1_3repE0EEENS1_30default_config_static_selectorELNS0_4arch9wavefront6targetE0EEEvT1_.kd
    .uniform_work_group_size: 1
    .uses_dynamic_stack: false
    .vgpr_count:     0
    .vgpr_spill_count: 0
    .wavefront_size: 32
    .workgroup_processor_mode: 1
  - .args:
      - .offset:         0
        .size:           120
        .value_kind:     by_value
    .group_segment_fixed_size: 0
    .kernarg_segment_align: 8
    .kernarg_segment_size: 120
    .language:       OpenCL C
    .language_version:
      - 2
      - 0
    .max_flat_workgroup_size: 256
    .name:           _ZN7rocprim17ROCPRIM_400000_NS6detail17trampoline_kernelINS0_14default_configENS1_29reduce_by_key_config_selectorIiiN6thrust23THRUST_200600_302600_NS4plusIiEEEEZZNS1_33reduce_by_key_impl_wrapped_configILNS1_25lookback_scan_determinismE0ES3_S9_NS6_6detail15normal_iteratorINS6_10device_ptrIiEEEESG_SG_SG_PmS8_22is_equal_div_10_reduceIiEEE10hipError_tPvRmT2_T3_mT4_T5_T6_T7_T8_P12ihipStream_tbENKUlT_T0_E_clISt17integral_constantIbLb1EES11_EEDaSW_SX_EUlSW_E_NS1_11comp_targetILNS1_3genE5ELNS1_11target_archE942ELNS1_3gpuE9ELNS1_3repE0EEENS1_30default_config_static_selectorELNS0_4arch9wavefront6targetE0EEEvT1_
    .private_segment_fixed_size: 0
    .sgpr_count:     0
    .sgpr_spill_count: 0
    .symbol:         _ZN7rocprim17ROCPRIM_400000_NS6detail17trampoline_kernelINS0_14default_configENS1_29reduce_by_key_config_selectorIiiN6thrust23THRUST_200600_302600_NS4plusIiEEEEZZNS1_33reduce_by_key_impl_wrapped_configILNS1_25lookback_scan_determinismE0ES3_S9_NS6_6detail15normal_iteratorINS6_10device_ptrIiEEEESG_SG_SG_PmS8_22is_equal_div_10_reduceIiEEE10hipError_tPvRmT2_T3_mT4_T5_T6_T7_T8_P12ihipStream_tbENKUlT_T0_E_clISt17integral_constantIbLb1EES11_EEDaSW_SX_EUlSW_E_NS1_11comp_targetILNS1_3genE5ELNS1_11target_archE942ELNS1_3gpuE9ELNS1_3repE0EEENS1_30default_config_static_selectorELNS0_4arch9wavefront6targetE0EEEvT1_.kd
    .uniform_work_group_size: 1
    .uses_dynamic_stack: false
    .vgpr_count:     0
    .vgpr_spill_count: 0
    .wavefront_size: 32
    .workgroup_processor_mode: 1
  - .args:
      - .offset:         0
        .size:           120
        .value_kind:     by_value
    .group_segment_fixed_size: 0
    .kernarg_segment_align: 8
    .kernarg_segment_size: 120
    .language:       OpenCL C
    .language_version:
      - 2
      - 0
    .max_flat_workgroup_size: 256
    .name:           _ZN7rocprim17ROCPRIM_400000_NS6detail17trampoline_kernelINS0_14default_configENS1_29reduce_by_key_config_selectorIiiN6thrust23THRUST_200600_302600_NS4plusIiEEEEZZNS1_33reduce_by_key_impl_wrapped_configILNS1_25lookback_scan_determinismE0ES3_S9_NS6_6detail15normal_iteratorINS6_10device_ptrIiEEEESG_SG_SG_PmS8_22is_equal_div_10_reduceIiEEE10hipError_tPvRmT2_T3_mT4_T5_T6_T7_T8_P12ihipStream_tbENKUlT_T0_E_clISt17integral_constantIbLb1EES11_EEDaSW_SX_EUlSW_E_NS1_11comp_targetILNS1_3genE4ELNS1_11target_archE910ELNS1_3gpuE8ELNS1_3repE0EEENS1_30default_config_static_selectorELNS0_4arch9wavefront6targetE0EEEvT1_
    .private_segment_fixed_size: 0
    .sgpr_count:     0
    .sgpr_spill_count: 0
    .symbol:         _ZN7rocprim17ROCPRIM_400000_NS6detail17trampoline_kernelINS0_14default_configENS1_29reduce_by_key_config_selectorIiiN6thrust23THRUST_200600_302600_NS4plusIiEEEEZZNS1_33reduce_by_key_impl_wrapped_configILNS1_25lookback_scan_determinismE0ES3_S9_NS6_6detail15normal_iteratorINS6_10device_ptrIiEEEESG_SG_SG_PmS8_22is_equal_div_10_reduceIiEEE10hipError_tPvRmT2_T3_mT4_T5_T6_T7_T8_P12ihipStream_tbENKUlT_T0_E_clISt17integral_constantIbLb1EES11_EEDaSW_SX_EUlSW_E_NS1_11comp_targetILNS1_3genE4ELNS1_11target_archE910ELNS1_3gpuE8ELNS1_3repE0EEENS1_30default_config_static_selectorELNS0_4arch9wavefront6targetE0EEEvT1_.kd
    .uniform_work_group_size: 1
    .uses_dynamic_stack: false
    .vgpr_count:     0
    .vgpr_spill_count: 0
    .wavefront_size: 32
    .workgroup_processor_mode: 1
  - .args:
      - .offset:         0
        .size:           120
        .value_kind:     by_value
    .group_segment_fixed_size: 0
    .kernarg_segment_align: 8
    .kernarg_segment_size: 120
    .language:       OpenCL C
    .language_version:
      - 2
      - 0
    .max_flat_workgroup_size: 256
    .name:           _ZN7rocprim17ROCPRIM_400000_NS6detail17trampoline_kernelINS0_14default_configENS1_29reduce_by_key_config_selectorIiiN6thrust23THRUST_200600_302600_NS4plusIiEEEEZZNS1_33reduce_by_key_impl_wrapped_configILNS1_25lookback_scan_determinismE0ES3_S9_NS6_6detail15normal_iteratorINS6_10device_ptrIiEEEESG_SG_SG_PmS8_22is_equal_div_10_reduceIiEEE10hipError_tPvRmT2_T3_mT4_T5_T6_T7_T8_P12ihipStream_tbENKUlT_T0_E_clISt17integral_constantIbLb1EES11_EEDaSW_SX_EUlSW_E_NS1_11comp_targetILNS1_3genE3ELNS1_11target_archE908ELNS1_3gpuE7ELNS1_3repE0EEENS1_30default_config_static_selectorELNS0_4arch9wavefront6targetE0EEEvT1_
    .private_segment_fixed_size: 0
    .sgpr_count:     0
    .sgpr_spill_count: 0
    .symbol:         _ZN7rocprim17ROCPRIM_400000_NS6detail17trampoline_kernelINS0_14default_configENS1_29reduce_by_key_config_selectorIiiN6thrust23THRUST_200600_302600_NS4plusIiEEEEZZNS1_33reduce_by_key_impl_wrapped_configILNS1_25lookback_scan_determinismE0ES3_S9_NS6_6detail15normal_iteratorINS6_10device_ptrIiEEEESG_SG_SG_PmS8_22is_equal_div_10_reduceIiEEE10hipError_tPvRmT2_T3_mT4_T5_T6_T7_T8_P12ihipStream_tbENKUlT_T0_E_clISt17integral_constantIbLb1EES11_EEDaSW_SX_EUlSW_E_NS1_11comp_targetILNS1_3genE3ELNS1_11target_archE908ELNS1_3gpuE7ELNS1_3repE0EEENS1_30default_config_static_selectorELNS0_4arch9wavefront6targetE0EEEvT1_.kd
    .uniform_work_group_size: 1
    .uses_dynamic_stack: false
    .vgpr_count:     0
    .vgpr_spill_count: 0
    .wavefront_size: 32
    .workgroup_processor_mode: 1
  - .args:
      - .offset:         0
        .size:           120
        .value_kind:     by_value
    .group_segment_fixed_size: 0
    .kernarg_segment_align: 8
    .kernarg_segment_size: 120
    .language:       OpenCL C
    .language_version:
      - 2
      - 0
    .max_flat_workgroup_size: 256
    .name:           _ZN7rocprim17ROCPRIM_400000_NS6detail17trampoline_kernelINS0_14default_configENS1_29reduce_by_key_config_selectorIiiN6thrust23THRUST_200600_302600_NS4plusIiEEEEZZNS1_33reduce_by_key_impl_wrapped_configILNS1_25lookback_scan_determinismE0ES3_S9_NS6_6detail15normal_iteratorINS6_10device_ptrIiEEEESG_SG_SG_PmS8_22is_equal_div_10_reduceIiEEE10hipError_tPvRmT2_T3_mT4_T5_T6_T7_T8_P12ihipStream_tbENKUlT_T0_E_clISt17integral_constantIbLb1EES11_EEDaSW_SX_EUlSW_E_NS1_11comp_targetILNS1_3genE2ELNS1_11target_archE906ELNS1_3gpuE6ELNS1_3repE0EEENS1_30default_config_static_selectorELNS0_4arch9wavefront6targetE0EEEvT1_
    .private_segment_fixed_size: 0
    .sgpr_count:     0
    .sgpr_spill_count: 0
    .symbol:         _ZN7rocprim17ROCPRIM_400000_NS6detail17trampoline_kernelINS0_14default_configENS1_29reduce_by_key_config_selectorIiiN6thrust23THRUST_200600_302600_NS4plusIiEEEEZZNS1_33reduce_by_key_impl_wrapped_configILNS1_25lookback_scan_determinismE0ES3_S9_NS6_6detail15normal_iteratorINS6_10device_ptrIiEEEESG_SG_SG_PmS8_22is_equal_div_10_reduceIiEEE10hipError_tPvRmT2_T3_mT4_T5_T6_T7_T8_P12ihipStream_tbENKUlT_T0_E_clISt17integral_constantIbLb1EES11_EEDaSW_SX_EUlSW_E_NS1_11comp_targetILNS1_3genE2ELNS1_11target_archE906ELNS1_3gpuE6ELNS1_3repE0EEENS1_30default_config_static_selectorELNS0_4arch9wavefront6targetE0EEEvT1_.kd
    .uniform_work_group_size: 1
    .uses_dynamic_stack: false
    .vgpr_count:     0
    .vgpr_spill_count: 0
    .wavefront_size: 32
    .workgroup_processor_mode: 1
  - .args:
      - .offset:         0
        .size:           120
        .value_kind:     by_value
    .group_segment_fixed_size: 0
    .kernarg_segment_align: 8
    .kernarg_segment_size: 120
    .language:       OpenCL C
    .language_version:
      - 2
      - 0
    .max_flat_workgroup_size: 256
    .name:           _ZN7rocprim17ROCPRIM_400000_NS6detail17trampoline_kernelINS0_14default_configENS1_29reduce_by_key_config_selectorIiiN6thrust23THRUST_200600_302600_NS4plusIiEEEEZZNS1_33reduce_by_key_impl_wrapped_configILNS1_25lookback_scan_determinismE0ES3_S9_NS6_6detail15normal_iteratorINS6_10device_ptrIiEEEESG_SG_SG_PmS8_22is_equal_div_10_reduceIiEEE10hipError_tPvRmT2_T3_mT4_T5_T6_T7_T8_P12ihipStream_tbENKUlT_T0_E_clISt17integral_constantIbLb1EES11_EEDaSW_SX_EUlSW_E_NS1_11comp_targetILNS1_3genE10ELNS1_11target_archE1201ELNS1_3gpuE5ELNS1_3repE0EEENS1_30default_config_static_selectorELNS0_4arch9wavefront6targetE0EEEvT1_
    .private_segment_fixed_size: 0
    .sgpr_count:     0
    .sgpr_spill_count: 0
    .symbol:         _ZN7rocprim17ROCPRIM_400000_NS6detail17trampoline_kernelINS0_14default_configENS1_29reduce_by_key_config_selectorIiiN6thrust23THRUST_200600_302600_NS4plusIiEEEEZZNS1_33reduce_by_key_impl_wrapped_configILNS1_25lookback_scan_determinismE0ES3_S9_NS6_6detail15normal_iteratorINS6_10device_ptrIiEEEESG_SG_SG_PmS8_22is_equal_div_10_reduceIiEEE10hipError_tPvRmT2_T3_mT4_T5_T6_T7_T8_P12ihipStream_tbENKUlT_T0_E_clISt17integral_constantIbLb1EES11_EEDaSW_SX_EUlSW_E_NS1_11comp_targetILNS1_3genE10ELNS1_11target_archE1201ELNS1_3gpuE5ELNS1_3repE0EEENS1_30default_config_static_selectorELNS0_4arch9wavefront6targetE0EEEvT1_.kd
    .uniform_work_group_size: 1
    .uses_dynamic_stack: false
    .vgpr_count:     0
    .vgpr_spill_count: 0
    .wavefront_size: 32
    .workgroup_processor_mode: 1
  - .args:
      - .offset:         0
        .size:           120
        .value_kind:     by_value
    .group_segment_fixed_size: 0
    .kernarg_segment_align: 8
    .kernarg_segment_size: 120
    .language:       OpenCL C
    .language_version:
      - 2
      - 0
    .max_flat_workgroup_size: 256
    .name:           _ZN7rocprim17ROCPRIM_400000_NS6detail17trampoline_kernelINS0_14default_configENS1_29reduce_by_key_config_selectorIiiN6thrust23THRUST_200600_302600_NS4plusIiEEEEZZNS1_33reduce_by_key_impl_wrapped_configILNS1_25lookback_scan_determinismE0ES3_S9_NS6_6detail15normal_iteratorINS6_10device_ptrIiEEEESG_SG_SG_PmS8_22is_equal_div_10_reduceIiEEE10hipError_tPvRmT2_T3_mT4_T5_T6_T7_T8_P12ihipStream_tbENKUlT_T0_E_clISt17integral_constantIbLb1EES11_EEDaSW_SX_EUlSW_E_NS1_11comp_targetILNS1_3genE10ELNS1_11target_archE1200ELNS1_3gpuE4ELNS1_3repE0EEENS1_30default_config_static_selectorELNS0_4arch9wavefront6targetE0EEEvT1_
    .private_segment_fixed_size: 0
    .sgpr_count:     0
    .sgpr_spill_count: 0
    .symbol:         _ZN7rocprim17ROCPRIM_400000_NS6detail17trampoline_kernelINS0_14default_configENS1_29reduce_by_key_config_selectorIiiN6thrust23THRUST_200600_302600_NS4plusIiEEEEZZNS1_33reduce_by_key_impl_wrapped_configILNS1_25lookback_scan_determinismE0ES3_S9_NS6_6detail15normal_iteratorINS6_10device_ptrIiEEEESG_SG_SG_PmS8_22is_equal_div_10_reduceIiEEE10hipError_tPvRmT2_T3_mT4_T5_T6_T7_T8_P12ihipStream_tbENKUlT_T0_E_clISt17integral_constantIbLb1EES11_EEDaSW_SX_EUlSW_E_NS1_11comp_targetILNS1_3genE10ELNS1_11target_archE1200ELNS1_3gpuE4ELNS1_3repE0EEENS1_30default_config_static_selectorELNS0_4arch9wavefront6targetE0EEEvT1_.kd
    .uniform_work_group_size: 1
    .uses_dynamic_stack: false
    .vgpr_count:     0
    .vgpr_spill_count: 0
    .wavefront_size: 32
    .workgroup_processor_mode: 1
  - .args:
      - .offset:         0
        .size:           120
        .value_kind:     by_value
    .group_segment_fixed_size: 15360
    .kernarg_segment_align: 8
    .kernarg_segment_size: 120
    .language:       OpenCL C
    .language_version:
      - 2
      - 0
    .max_flat_workgroup_size: 256
    .name:           _ZN7rocprim17ROCPRIM_400000_NS6detail17trampoline_kernelINS0_14default_configENS1_29reduce_by_key_config_selectorIiiN6thrust23THRUST_200600_302600_NS4plusIiEEEEZZNS1_33reduce_by_key_impl_wrapped_configILNS1_25lookback_scan_determinismE0ES3_S9_NS6_6detail15normal_iteratorINS6_10device_ptrIiEEEESG_SG_SG_PmS8_22is_equal_div_10_reduceIiEEE10hipError_tPvRmT2_T3_mT4_T5_T6_T7_T8_P12ihipStream_tbENKUlT_T0_E_clISt17integral_constantIbLb1EES11_EEDaSW_SX_EUlSW_E_NS1_11comp_targetILNS1_3genE9ELNS1_11target_archE1100ELNS1_3gpuE3ELNS1_3repE0EEENS1_30default_config_static_selectorELNS0_4arch9wavefront6targetE0EEEvT1_
    .private_segment_fixed_size: 0
    .sgpr_count:     46
    .sgpr_spill_count: 0
    .symbol:         _ZN7rocprim17ROCPRIM_400000_NS6detail17trampoline_kernelINS0_14default_configENS1_29reduce_by_key_config_selectorIiiN6thrust23THRUST_200600_302600_NS4plusIiEEEEZZNS1_33reduce_by_key_impl_wrapped_configILNS1_25lookback_scan_determinismE0ES3_S9_NS6_6detail15normal_iteratorINS6_10device_ptrIiEEEESG_SG_SG_PmS8_22is_equal_div_10_reduceIiEEE10hipError_tPvRmT2_T3_mT4_T5_T6_T7_T8_P12ihipStream_tbENKUlT_T0_E_clISt17integral_constantIbLb1EES11_EEDaSW_SX_EUlSW_E_NS1_11comp_targetILNS1_3genE9ELNS1_11target_archE1100ELNS1_3gpuE3ELNS1_3repE0EEENS1_30default_config_static_selectorELNS0_4arch9wavefront6targetE0EEEvT1_.kd
    .uniform_work_group_size: 1
    .uses_dynamic_stack: false
    .vgpr_count:     87
    .vgpr_spill_count: 0
    .wavefront_size: 32
    .workgroup_processor_mode: 1
  - .args:
      - .offset:         0
        .size:           120
        .value_kind:     by_value
    .group_segment_fixed_size: 0
    .kernarg_segment_align: 8
    .kernarg_segment_size: 120
    .language:       OpenCL C
    .language_version:
      - 2
      - 0
    .max_flat_workgroup_size: 256
    .name:           _ZN7rocprim17ROCPRIM_400000_NS6detail17trampoline_kernelINS0_14default_configENS1_29reduce_by_key_config_selectorIiiN6thrust23THRUST_200600_302600_NS4plusIiEEEEZZNS1_33reduce_by_key_impl_wrapped_configILNS1_25lookback_scan_determinismE0ES3_S9_NS6_6detail15normal_iteratorINS6_10device_ptrIiEEEESG_SG_SG_PmS8_22is_equal_div_10_reduceIiEEE10hipError_tPvRmT2_T3_mT4_T5_T6_T7_T8_P12ihipStream_tbENKUlT_T0_E_clISt17integral_constantIbLb1EES11_EEDaSW_SX_EUlSW_E_NS1_11comp_targetILNS1_3genE8ELNS1_11target_archE1030ELNS1_3gpuE2ELNS1_3repE0EEENS1_30default_config_static_selectorELNS0_4arch9wavefront6targetE0EEEvT1_
    .private_segment_fixed_size: 0
    .sgpr_count:     0
    .sgpr_spill_count: 0
    .symbol:         _ZN7rocprim17ROCPRIM_400000_NS6detail17trampoline_kernelINS0_14default_configENS1_29reduce_by_key_config_selectorIiiN6thrust23THRUST_200600_302600_NS4plusIiEEEEZZNS1_33reduce_by_key_impl_wrapped_configILNS1_25lookback_scan_determinismE0ES3_S9_NS6_6detail15normal_iteratorINS6_10device_ptrIiEEEESG_SG_SG_PmS8_22is_equal_div_10_reduceIiEEE10hipError_tPvRmT2_T3_mT4_T5_T6_T7_T8_P12ihipStream_tbENKUlT_T0_E_clISt17integral_constantIbLb1EES11_EEDaSW_SX_EUlSW_E_NS1_11comp_targetILNS1_3genE8ELNS1_11target_archE1030ELNS1_3gpuE2ELNS1_3repE0EEENS1_30default_config_static_selectorELNS0_4arch9wavefront6targetE0EEEvT1_.kd
    .uniform_work_group_size: 1
    .uses_dynamic_stack: false
    .vgpr_count:     0
    .vgpr_spill_count: 0
    .wavefront_size: 32
    .workgroup_processor_mode: 1
  - .args:
      - .offset:         0
        .size:           120
        .value_kind:     by_value
    .group_segment_fixed_size: 0
    .kernarg_segment_align: 8
    .kernarg_segment_size: 120
    .language:       OpenCL C
    .language_version:
      - 2
      - 0
    .max_flat_workgroup_size: 256
    .name:           _ZN7rocprim17ROCPRIM_400000_NS6detail17trampoline_kernelINS0_14default_configENS1_29reduce_by_key_config_selectorIiiN6thrust23THRUST_200600_302600_NS4plusIiEEEEZZNS1_33reduce_by_key_impl_wrapped_configILNS1_25lookback_scan_determinismE0ES3_S9_NS6_6detail15normal_iteratorINS6_10device_ptrIiEEEESG_SG_SG_PmS8_22is_equal_div_10_reduceIiEEE10hipError_tPvRmT2_T3_mT4_T5_T6_T7_T8_P12ihipStream_tbENKUlT_T0_E_clISt17integral_constantIbLb1EES10_IbLb0EEEEDaSW_SX_EUlSW_E_NS1_11comp_targetILNS1_3genE0ELNS1_11target_archE4294967295ELNS1_3gpuE0ELNS1_3repE0EEENS1_30default_config_static_selectorELNS0_4arch9wavefront6targetE0EEEvT1_
    .private_segment_fixed_size: 0
    .sgpr_count:     0
    .sgpr_spill_count: 0
    .symbol:         _ZN7rocprim17ROCPRIM_400000_NS6detail17trampoline_kernelINS0_14default_configENS1_29reduce_by_key_config_selectorIiiN6thrust23THRUST_200600_302600_NS4plusIiEEEEZZNS1_33reduce_by_key_impl_wrapped_configILNS1_25lookback_scan_determinismE0ES3_S9_NS6_6detail15normal_iteratorINS6_10device_ptrIiEEEESG_SG_SG_PmS8_22is_equal_div_10_reduceIiEEE10hipError_tPvRmT2_T3_mT4_T5_T6_T7_T8_P12ihipStream_tbENKUlT_T0_E_clISt17integral_constantIbLb1EES10_IbLb0EEEEDaSW_SX_EUlSW_E_NS1_11comp_targetILNS1_3genE0ELNS1_11target_archE4294967295ELNS1_3gpuE0ELNS1_3repE0EEENS1_30default_config_static_selectorELNS0_4arch9wavefront6targetE0EEEvT1_.kd
    .uniform_work_group_size: 1
    .uses_dynamic_stack: false
    .vgpr_count:     0
    .vgpr_spill_count: 0
    .wavefront_size: 32
    .workgroup_processor_mode: 1
  - .args:
      - .offset:         0
        .size:           120
        .value_kind:     by_value
    .group_segment_fixed_size: 0
    .kernarg_segment_align: 8
    .kernarg_segment_size: 120
    .language:       OpenCL C
    .language_version:
      - 2
      - 0
    .max_flat_workgroup_size: 256
    .name:           _ZN7rocprim17ROCPRIM_400000_NS6detail17trampoline_kernelINS0_14default_configENS1_29reduce_by_key_config_selectorIiiN6thrust23THRUST_200600_302600_NS4plusIiEEEEZZNS1_33reduce_by_key_impl_wrapped_configILNS1_25lookback_scan_determinismE0ES3_S9_NS6_6detail15normal_iteratorINS6_10device_ptrIiEEEESG_SG_SG_PmS8_22is_equal_div_10_reduceIiEEE10hipError_tPvRmT2_T3_mT4_T5_T6_T7_T8_P12ihipStream_tbENKUlT_T0_E_clISt17integral_constantIbLb1EES10_IbLb0EEEEDaSW_SX_EUlSW_E_NS1_11comp_targetILNS1_3genE5ELNS1_11target_archE942ELNS1_3gpuE9ELNS1_3repE0EEENS1_30default_config_static_selectorELNS0_4arch9wavefront6targetE0EEEvT1_
    .private_segment_fixed_size: 0
    .sgpr_count:     0
    .sgpr_spill_count: 0
    .symbol:         _ZN7rocprim17ROCPRIM_400000_NS6detail17trampoline_kernelINS0_14default_configENS1_29reduce_by_key_config_selectorIiiN6thrust23THRUST_200600_302600_NS4plusIiEEEEZZNS1_33reduce_by_key_impl_wrapped_configILNS1_25lookback_scan_determinismE0ES3_S9_NS6_6detail15normal_iteratorINS6_10device_ptrIiEEEESG_SG_SG_PmS8_22is_equal_div_10_reduceIiEEE10hipError_tPvRmT2_T3_mT4_T5_T6_T7_T8_P12ihipStream_tbENKUlT_T0_E_clISt17integral_constantIbLb1EES10_IbLb0EEEEDaSW_SX_EUlSW_E_NS1_11comp_targetILNS1_3genE5ELNS1_11target_archE942ELNS1_3gpuE9ELNS1_3repE0EEENS1_30default_config_static_selectorELNS0_4arch9wavefront6targetE0EEEvT1_.kd
    .uniform_work_group_size: 1
    .uses_dynamic_stack: false
    .vgpr_count:     0
    .vgpr_spill_count: 0
    .wavefront_size: 32
    .workgroup_processor_mode: 1
  - .args:
      - .offset:         0
        .size:           120
        .value_kind:     by_value
    .group_segment_fixed_size: 0
    .kernarg_segment_align: 8
    .kernarg_segment_size: 120
    .language:       OpenCL C
    .language_version:
      - 2
      - 0
    .max_flat_workgroup_size: 256
    .name:           _ZN7rocprim17ROCPRIM_400000_NS6detail17trampoline_kernelINS0_14default_configENS1_29reduce_by_key_config_selectorIiiN6thrust23THRUST_200600_302600_NS4plusIiEEEEZZNS1_33reduce_by_key_impl_wrapped_configILNS1_25lookback_scan_determinismE0ES3_S9_NS6_6detail15normal_iteratorINS6_10device_ptrIiEEEESG_SG_SG_PmS8_22is_equal_div_10_reduceIiEEE10hipError_tPvRmT2_T3_mT4_T5_T6_T7_T8_P12ihipStream_tbENKUlT_T0_E_clISt17integral_constantIbLb1EES10_IbLb0EEEEDaSW_SX_EUlSW_E_NS1_11comp_targetILNS1_3genE4ELNS1_11target_archE910ELNS1_3gpuE8ELNS1_3repE0EEENS1_30default_config_static_selectorELNS0_4arch9wavefront6targetE0EEEvT1_
    .private_segment_fixed_size: 0
    .sgpr_count:     0
    .sgpr_spill_count: 0
    .symbol:         _ZN7rocprim17ROCPRIM_400000_NS6detail17trampoline_kernelINS0_14default_configENS1_29reduce_by_key_config_selectorIiiN6thrust23THRUST_200600_302600_NS4plusIiEEEEZZNS1_33reduce_by_key_impl_wrapped_configILNS1_25lookback_scan_determinismE0ES3_S9_NS6_6detail15normal_iteratorINS6_10device_ptrIiEEEESG_SG_SG_PmS8_22is_equal_div_10_reduceIiEEE10hipError_tPvRmT2_T3_mT4_T5_T6_T7_T8_P12ihipStream_tbENKUlT_T0_E_clISt17integral_constantIbLb1EES10_IbLb0EEEEDaSW_SX_EUlSW_E_NS1_11comp_targetILNS1_3genE4ELNS1_11target_archE910ELNS1_3gpuE8ELNS1_3repE0EEENS1_30default_config_static_selectorELNS0_4arch9wavefront6targetE0EEEvT1_.kd
    .uniform_work_group_size: 1
    .uses_dynamic_stack: false
    .vgpr_count:     0
    .vgpr_spill_count: 0
    .wavefront_size: 32
    .workgroup_processor_mode: 1
  - .args:
      - .offset:         0
        .size:           120
        .value_kind:     by_value
    .group_segment_fixed_size: 0
    .kernarg_segment_align: 8
    .kernarg_segment_size: 120
    .language:       OpenCL C
    .language_version:
      - 2
      - 0
    .max_flat_workgroup_size: 256
    .name:           _ZN7rocprim17ROCPRIM_400000_NS6detail17trampoline_kernelINS0_14default_configENS1_29reduce_by_key_config_selectorIiiN6thrust23THRUST_200600_302600_NS4plusIiEEEEZZNS1_33reduce_by_key_impl_wrapped_configILNS1_25lookback_scan_determinismE0ES3_S9_NS6_6detail15normal_iteratorINS6_10device_ptrIiEEEESG_SG_SG_PmS8_22is_equal_div_10_reduceIiEEE10hipError_tPvRmT2_T3_mT4_T5_T6_T7_T8_P12ihipStream_tbENKUlT_T0_E_clISt17integral_constantIbLb1EES10_IbLb0EEEEDaSW_SX_EUlSW_E_NS1_11comp_targetILNS1_3genE3ELNS1_11target_archE908ELNS1_3gpuE7ELNS1_3repE0EEENS1_30default_config_static_selectorELNS0_4arch9wavefront6targetE0EEEvT1_
    .private_segment_fixed_size: 0
    .sgpr_count:     0
    .sgpr_spill_count: 0
    .symbol:         _ZN7rocprim17ROCPRIM_400000_NS6detail17trampoline_kernelINS0_14default_configENS1_29reduce_by_key_config_selectorIiiN6thrust23THRUST_200600_302600_NS4plusIiEEEEZZNS1_33reduce_by_key_impl_wrapped_configILNS1_25lookback_scan_determinismE0ES3_S9_NS6_6detail15normal_iteratorINS6_10device_ptrIiEEEESG_SG_SG_PmS8_22is_equal_div_10_reduceIiEEE10hipError_tPvRmT2_T3_mT4_T5_T6_T7_T8_P12ihipStream_tbENKUlT_T0_E_clISt17integral_constantIbLb1EES10_IbLb0EEEEDaSW_SX_EUlSW_E_NS1_11comp_targetILNS1_3genE3ELNS1_11target_archE908ELNS1_3gpuE7ELNS1_3repE0EEENS1_30default_config_static_selectorELNS0_4arch9wavefront6targetE0EEEvT1_.kd
    .uniform_work_group_size: 1
    .uses_dynamic_stack: false
    .vgpr_count:     0
    .vgpr_spill_count: 0
    .wavefront_size: 32
    .workgroup_processor_mode: 1
  - .args:
      - .offset:         0
        .size:           120
        .value_kind:     by_value
    .group_segment_fixed_size: 0
    .kernarg_segment_align: 8
    .kernarg_segment_size: 120
    .language:       OpenCL C
    .language_version:
      - 2
      - 0
    .max_flat_workgroup_size: 256
    .name:           _ZN7rocprim17ROCPRIM_400000_NS6detail17trampoline_kernelINS0_14default_configENS1_29reduce_by_key_config_selectorIiiN6thrust23THRUST_200600_302600_NS4plusIiEEEEZZNS1_33reduce_by_key_impl_wrapped_configILNS1_25lookback_scan_determinismE0ES3_S9_NS6_6detail15normal_iteratorINS6_10device_ptrIiEEEESG_SG_SG_PmS8_22is_equal_div_10_reduceIiEEE10hipError_tPvRmT2_T3_mT4_T5_T6_T7_T8_P12ihipStream_tbENKUlT_T0_E_clISt17integral_constantIbLb1EES10_IbLb0EEEEDaSW_SX_EUlSW_E_NS1_11comp_targetILNS1_3genE2ELNS1_11target_archE906ELNS1_3gpuE6ELNS1_3repE0EEENS1_30default_config_static_selectorELNS0_4arch9wavefront6targetE0EEEvT1_
    .private_segment_fixed_size: 0
    .sgpr_count:     0
    .sgpr_spill_count: 0
    .symbol:         _ZN7rocprim17ROCPRIM_400000_NS6detail17trampoline_kernelINS0_14default_configENS1_29reduce_by_key_config_selectorIiiN6thrust23THRUST_200600_302600_NS4plusIiEEEEZZNS1_33reduce_by_key_impl_wrapped_configILNS1_25lookback_scan_determinismE0ES3_S9_NS6_6detail15normal_iteratorINS6_10device_ptrIiEEEESG_SG_SG_PmS8_22is_equal_div_10_reduceIiEEE10hipError_tPvRmT2_T3_mT4_T5_T6_T7_T8_P12ihipStream_tbENKUlT_T0_E_clISt17integral_constantIbLb1EES10_IbLb0EEEEDaSW_SX_EUlSW_E_NS1_11comp_targetILNS1_3genE2ELNS1_11target_archE906ELNS1_3gpuE6ELNS1_3repE0EEENS1_30default_config_static_selectorELNS0_4arch9wavefront6targetE0EEEvT1_.kd
    .uniform_work_group_size: 1
    .uses_dynamic_stack: false
    .vgpr_count:     0
    .vgpr_spill_count: 0
    .wavefront_size: 32
    .workgroup_processor_mode: 1
  - .args:
      - .offset:         0
        .size:           120
        .value_kind:     by_value
    .group_segment_fixed_size: 0
    .kernarg_segment_align: 8
    .kernarg_segment_size: 120
    .language:       OpenCL C
    .language_version:
      - 2
      - 0
    .max_flat_workgroup_size: 256
    .name:           _ZN7rocprim17ROCPRIM_400000_NS6detail17trampoline_kernelINS0_14default_configENS1_29reduce_by_key_config_selectorIiiN6thrust23THRUST_200600_302600_NS4plusIiEEEEZZNS1_33reduce_by_key_impl_wrapped_configILNS1_25lookback_scan_determinismE0ES3_S9_NS6_6detail15normal_iteratorINS6_10device_ptrIiEEEESG_SG_SG_PmS8_22is_equal_div_10_reduceIiEEE10hipError_tPvRmT2_T3_mT4_T5_T6_T7_T8_P12ihipStream_tbENKUlT_T0_E_clISt17integral_constantIbLb1EES10_IbLb0EEEEDaSW_SX_EUlSW_E_NS1_11comp_targetILNS1_3genE10ELNS1_11target_archE1201ELNS1_3gpuE5ELNS1_3repE0EEENS1_30default_config_static_selectorELNS0_4arch9wavefront6targetE0EEEvT1_
    .private_segment_fixed_size: 0
    .sgpr_count:     0
    .sgpr_spill_count: 0
    .symbol:         _ZN7rocprim17ROCPRIM_400000_NS6detail17trampoline_kernelINS0_14default_configENS1_29reduce_by_key_config_selectorIiiN6thrust23THRUST_200600_302600_NS4plusIiEEEEZZNS1_33reduce_by_key_impl_wrapped_configILNS1_25lookback_scan_determinismE0ES3_S9_NS6_6detail15normal_iteratorINS6_10device_ptrIiEEEESG_SG_SG_PmS8_22is_equal_div_10_reduceIiEEE10hipError_tPvRmT2_T3_mT4_T5_T6_T7_T8_P12ihipStream_tbENKUlT_T0_E_clISt17integral_constantIbLb1EES10_IbLb0EEEEDaSW_SX_EUlSW_E_NS1_11comp_targetILNS1_3genE10ELNS1_11target_archE1201ELNS1_3gpuE5ELNS1_3repE0EEENS1_30default_config_static_selectorELNS0_4arch9wavefront6targetE0EEEvT1_.kd
    .uniform_work_group_size: 1
    .uses_dynamic_stack: false
    .vgpr_count:     0
    .vgpr_spill_count: 0
    .wavefront_size: 32
    .workgroup_processor_mode: 1
  - .args:
      - .offset:         0
        .size:           120
        .value_kind:     by_value
    .group_segment_fixed_size: 0
    .kernarg_segment_align: 8
    .kernarg_segment_size: 120
    .language:       OpenCL C
    .language_version:
      - 2
      - 0
    .max_flat_workgroup_size: 256
    .name:           _ZN7rocprim17ROCPRIM_400000_NS6detail17trampoline_kernelINS0_14default_configENS1_29reduce_by_key_config_selectorIiiN6thrust23THRUST_200600_302600_NS4plusIiEEEEZZNS1_33reduce_by_key_impl_wrapped_configILNS1_25lookback_scan_determinismE0ES3_S9_NS6_6detail15normal_iteratorINS6_10device_ptrIiEEEESG_SG_SG_PmS8_22is_equal_div_10_reduceIiEEE10hipError_tPvRmT2_T3_mT4_T5_T6_T7_T8_P12ihipStream_tbENKUlT_T0_E_clISt17integral_constantIbLb1EES10_IbLb0EEEEDaSW_SX_EUlSW_E_NS1_11comp_targetILNS1_3genE10ELNS1_11target_archE1200ELNS1_3gpuE4ELNS1_3repE0EEENS1_30default_config_static_selectorELNS0_4arch9wavefront6targetE0EEEvT1_
    .private_segment_fixed_size: 0
    .sgpr_count:     0
    .sgpr_spill_count: 0
    .symbol:         _ZN7rocprim17ROCPRIM_400000_NS6detail17trampoline_kernelINS0_14default_configENS1_29reduce_by_key_config_selectorIiiN6thrust23THRUST_200600_302600_NS4plusIiEEEEZZNS1_33reduce_by_key_impl_wrapped_configILNS1_25lookback_scan_determinismE0ES3_S9_NS6_6detail15normal_iteratorINS6_10device_ptrIiEEEESG_SG_SG_PmS8_22is_equal_div_10_reduceIiEEE10hipError_tPvRmT2_T3_mT4_T5_T6_T7_T8_P12ihipStream_tbENKUlT_T0_E_clISt17integral_constantIbLb1EES10_IbLb0EEEEDaSW_SX_EUlSW_E_NS1_11comp_targetILNS1_3genE10ELNS1_11target_archE1200ELNS1_3gpuE4ELNS1_3repE0EEENS1_30default_config_static_selectorELNS0_4arch9wavefront6targetE0EEEvT1_.kd
    .uniform_work_group_size: 1
    .uses_dynamic_stack: false
    .vgpr_count:     0
    .vgpr_spill_count: 0
    .wavefront_size: 32
    .workgroup_processor_mode: 1
  - .args:
      - .offset:         0
        .size:           120
        .value_kind:     by_value
    .group_segment_fixed_size: 15360
    .kernarg_segment_align: 8
    .kernarg_segment_size: 120
    .language:       OpenCL C
    .language_version:
      - 2
      - 0
    .max_flat_workgroup_size: 256
    .name:           _ZN7rocprim17ROCPRIM_400000_NS6detail17trampoline_kernelINS0_14default_configENS1_29reduce_by_key_config_selectorIiiN6thrust23THRUST_200600_302600_NS4plusIiEEEEZZNS1_33reduce_by_key_impl_wrapped_configILNS1_25lookback_scan_determinismE0ES3_S9_NS6_6detail15normal_iteratorINS6_10device_ptrIiEEEESG_SG_SG_PmS8_22is_equal_div_10_reduceIiEEE10hipError_tPvRmT2_T3_mT4_T5_T6_T7_T8_P12ihipStream_tbENKUlT_T0_E_clISt17integral_constantIbLb1EES10_IbLb0EEEEDaSW_SX_EUlSW_E_NS1_11comp_targetILNS1_3genE9ELNS1_11target_archE1100ELNS1_3gpuE3ELNS1_3repE0EEENS1_30default_config_static_selectorELNS0_4arch9wavefront6targetE0EEEvT1_
    .private_segment_fixed_size: 0
    .sgpr_count:     46
    .sgpr_spill_count: 0
    .symbol:         _ZN7rocprim17ROCPRIM_400000_NS6detail17trampoline_kernelINS0_14default_configENS1_29reduce_by_key_config_selectorIiiN6thrust23THRUST_200600_302600_NS4plusIiEEEEZZNS1_33reduce_by_key_impl_wrapped_configILNS1_25lookback_scan_determinismE0ES3_S9_NS6_6detail15normal_iteratorINS6_10device_ptrIiEEEESG_SG_SG_PmS8_22is_equal_div_10_reduceIiEEE10hipError_tPvRmT2_T3_mT4_T5_T6_T7_T8_P12ihipStream_tbENKUlT_T0_E_clISt17integral_constantIbLb1EES10_IbLb0EEEEDaSW_SX_EUlSW_E_NS1_11comp_targetILNS1_3genE9ELNS1_11target_archE1100ELNS1_3gpuE3ELNS1_3repE0EEENS1_30default_config_static_selectorELNS0_4arch9wavefront6targetE0EEEvT1_.kd
    .uniform_work_group_size: 1
    .uses_dynamic_stack: false
    .vgpr_count:     87
    .vgpr_spill_count: 0
    .wavefront_size: 32
    .workgroup_processor_mode: 1
  - .args:
      - .offset:         0
        .size:           120
        .value_kind:     by_value
    .group_segment_fixed_size: 0
    .kernarg_segment_align: 8
    .kernarg_segment_size: 120
    .language:       OpenCL C
    .language_version:
      - 2
      - 0
    .max_flat_workgroup_size: 256
    .name:           _ZN7rocprim17ROCPRIM_400000_NS6detail17trampoline_kernelINS0_14default_configENS1_29reduce_by_key_config_selectorIiiN6thrust23THRUST_200600_302600_NS4plusIiEEEEZZNS1_33reduce_by_key_impl_wrapped_configILNS1_25lookback_scan_determinismE0ES3_S9_NS6_6detail15normal_iteratorINS6_10device_ptrIiEEEESG_SG_SG_PmS8_22is_equal_div_10_reduceIiEEE10hipError_tPvRmT2_T3_mT4_T5_T6_T7_T8_P12ihipStream_tbENKUlT_T0_E_clISt17integral_constantIbLb1EES10_IbLb0EEEEDaSW_SX_EUlSW_E_NS1_11comp_targetILNS1_3genE8ELNS1_11target_archE1030ELNS1_3gpuE2ELNS1_3repE0EEENS1_30default_config_static_selectorELNS0_4arch9wavefront6targetE0EEEvT1_
    .private_segment_fixed_size: 0
    .sgpr_count:     0
    .sgpr_spill_count: 0
    .symbol:         _ZN7rocprim17ROCPRIM_400000_NS6detail17trampoline_kernelINS0_14default_configENS1_29reduce_by_key_config_selectorIiiN6thrust23THRUST_200600_302600_NS4plusIiEEEEZZNS1_33reduce_by_key_impl_wrapped_configILNS1_25lookback_scan_determinismE0ES3_S9_NS6_6detail15normal_iteratorINS6_10device_ptrIiEEEESG_SG_SG_PmS8_22is_equal_div_10_reduceIiEEE10hipError_tPvRmT2_T3_mT4_T5_T6_T7_T8_P12ihipStream_tbENKUlT_T0_E_clISt17integral_constantIbLb1EES10_IbLb0EEEEDaSW_SX_EUlSW_E_NS1_11comp_targetILNS1_3genE8ELNS1_11target_archE1030ELNS1_3gpuE2ELNS1_3repE0EEENS1_30default_config_static_selectorELNS0_4arch9wavefront6targetE0EEEvT1_.kd
    .uniform_work_group_size: 1
    .uses_dynamic_stack: false
    .vgpr_count:     0
    .vgpr_spill_count: 0
    .wavefront_size: 32
    .workgroup_processor_mode: 1
  - .args:
      - .offset:         0
        .size:           120
        .value_kind:     by_value
    .group_segment_fixed_size: 0
    .kernarg_segment_align: 8
    .kernarg_segment_size: 120
    .language:       OpenCL C
    .language_version:
      - 2
      - 0
    .max_flat_workgroup_size: 256
    .name:           _ZN7rocprim17ROCPRIM_400000_NS6detail17trampoline_kernelINS0_14default_configENS1_29reduce_by_key_config_selectorIiiN6thrust23THRUST_200600_302600_NS4plusIiEEEEZZNS1_33reduce_by_key_impl_wrapped_configILNS1_25lookback_scan_determinismE0ES3_S9_NS6_6detail15normal_iteratorINS6_10device_ptrIiEEEESG_SG_SG_PmS8_22is_equal_div_10_reduceIiEEE10hipError_tPvRmT2_T3_mT4_T5_T6_T7_T8_P12ihipStream_tbENKUlT_T0_E_clISt17integral_constantIbLb0EES10_IbLb1EEEEDaSW_SX_EUlSW_E_NS1_11comp_targetILNS1_3genE0ELNS1_11target_archE4294967295ELNS1_3gpuE0ELNS1_3repE0EEENS1_30default_config_static_selectorELNS0_4arch9wavefront6targetE0EEEvT1_
    .private_segment_fixed_size: 0
    .sgpr_count:     0
    .sgpr_spill_count: 0
    .symbol:         _ZN7rocprim17ROCPRIM_400000_NS6detail17trampoline_kernelINS0_14default_configENS1_29reduce_by_key_config_selectorIiiN6thrust23THRUST_200600_302600_NS4plusIiEEEEZZNS1_33reduce_by_key_impl_wrapped_configILNS1_25lookback_scan_determinismE0ES3_S9_NS6_6detail15normal_iteratorINS6_10device_ptrIiEEEESG_SG_SG_PmS8_22is_equal_div_10_reduceIiEEE10hipError_tPvRmT2_T3_mT4_T5_T6_T7_T8_P12ihipStream_tbENKUlT_T0_E_clISt17integral_constantIbLb0EES10_IbLb1EEEEDaSW_SX_EUlSW_E_NS1_11comp_targetILNS1_3genE0ELNS1_11target_archE4294967295ELNS1_3gpuE0ELNS1_3repE0EEENS1_30default_config_static_selectorELNS0_4arch9wavefront6targetE0EEEvT1_.kd
    .uniform_work_group_size: 1
    .uses_dynamic_stack: false
    .vgpr_count:     0
    .vgpr_spill_count: 0
    .wavefront_size: 32
    .workgroup_processor_mode: 1
  - .args:
      - .offset:         0
        .size:           120
        .value_kind:     by_value
    .group_segment_fixed_size: 0
    .kernarg_segment_align: 8
    .kernarg_segment_size: 120
    .language:       OpenCL C
    .language_version:
      - 2
      - 0
    .max_flat_workgroup_size: 256
    .name:           _ZN7rocprim17ROCPRIM_400000_NS6detail17trampoline_kernelINS0_14default_configENS1_29reduce_by_key_config_selectorIiiN6thrust23THRUST_200600_302600_NS4plusIiEEEEZZNS1_33reduce_by_key_impl_wrapped_configILNS1_25lookback_scan_determinismE0ES3_S9_NS6_6detail15normal_iteratorINS6_10device_ptrIiEEEESG_SG_SG_PmS8_22is_equal_div_10_reduceIiEEE10hipError_tPvRmT2_T3_mT4_T5_T6_T7_T8_P12ihipStream_tbENKUlT_T0_E_clISt17integral_constantIbLb0EES10_IbLb1EEEEDaSW_SX_EUlSW_E_NS1_11comp_targetILNS1_3genE5ELNS1_11target_archE942ELNS1_3gpuE9ELNS1_3repE0EEENS1_30default_config_static_selectorELNS0_4arch9wavefront6targetE0EEEvT1_
    .private_segment_fixed_size: 0
    .sgpr_count:     0
    .sgpr_spill_count: 0
    .symbol:         _ZN7rocprim17ROCPRIM_400000_NS6detail17trampoline_kernelINS0_14default_configENS1_29reduce_by_key_config_selectorIiiN6thrust23THRUST_200600_302600_NS4plusIiEEEEZZNS1_33reduce_by_key_impl_wrapped_configILNS1_25lookback_scan_determinismE0ES3_S9_NS6_6detail15normal_iteratorINS6_10device_ptrIiEEEESG_SG_SG_PmS8_22is_equal_div_10_reduceIiEEE10hipError_tPvRmT2_T3_mT4_T5_T6_T7_T8_P12ihipStream_tbENKUlT_T0_E_clISt17integral_constantIbLb0EES10_IbLb1EEEEDaSW_SX_EUlSW_E_NS1_11comp_targetILNS1_3genE5ELNS1_11target_archE942ELNS1_3gpuE9ELNS1_3repE0EEENS1_30default_config_static_selectorELNS0_4arch9wavefront6targetE0EEEvT1_.kd
    .uniform_work_group_size: 1
    .uses_dynamic_stack: false
    .vgpr_count:     0
    .vgpr_spill_count: 0
    .wavefront_size: 32
    .workgroup_processor_mode: 1
  - .args:
      - .offset:         0
        .size:           120
        .value_kind:     by_value
    .group_segment_fixed_size: 0
    .kernarg_segment_align: 8
    .kernarg_segment_size: 120
    .language:       OpenCL C
    .language_version:
      - 2
      - 0
    .max_flat_workgroup_size: 256
    .name:           _ZN7rocprim17ROCPRIM_400000_NS6detail17trampoline_kernelINS0_14default_configENS1_29reduce_by_key_config_selectorIiiN6thrust23THRUST_200600_302600_NS4plusIiEEEEZZNS1_33reduce_by_key_impl_wrapped_configILNS1_25lookback_scan_determinismE0ES3_S9_NS6_6detail15normal_iteratorINS6_10device_ptrIiEEEESG_SG_SG_PmS8_22is_equal_div_10_reduceIiEEE10hipError_tPvRmT2_T3_mT4_T5_T6_T7_T8_P12ihipStream_tbENKUlT_T0_E_clISt17integral_constantIbLb0EES10_IbLb1EEEEDaSW_SX_EUlSW_E_NS1_11comp_targetILNS1_3genE4ELNS1_11target_archE910ELNS1_3gpuE8ELNS1_3repE0EEENS1_30default_config_static_selectorELNS0_4arch9wavefront6targetE0EEEvT1_
    .private_segment_fixed_size: 0
    .sgpr_count:     0
    .sgpr_spill_count: 0
    .symbol:         _ZN7rocprim17ROCPRIM_400000_NS6detail17trampoline_kernelINS0_14default_configENS1_29reduce_by_key_config_selectorIiiN6thrust23THRUST_200600_302600_NS4plusIiEEEEZZNS1_33reduce_by_key_impl_wrapped_configILNS1_25lookback_scan_determinismE0ES3_S9_NS6_6detail15normal_iteratorINS6_10device_ptrIiEEEESG_SG_SG_PmS8_22is_equal_div_10_reduceIiEEE10hipError_tPvRmT2_T3_mT4_T5_T6_T7_T8_P12ihipStream_tbENKUlT_T0_E_clISt17integral_constantIbLb0EES10_IbLb1EEEEDaSW_SX_EUlSW_E_NS1_11comp_targetILNS1_3genE4ELNS1_11target_archE910ELNS1_3gpuE8ELNS1_3repE0EEENS1_30default_config_static_selectorELNS0_4arch9wavefront6targetE0EEEvT1_.kd
    .uniform_work_group_size: 1
    .uses_dynamic_stack: false
    .vgpr_count:     0
    .vgpr_spill_count: 0
    .wavefront_size: 32
    .workgroup_processor_mode: 1
  - .args:
      - .offset:         0
        .size:           120
        .value_kind:     by_value
    .group_segment_fixed_size: 0
    .kernarg_segment_align: 8
    .kernarg_segment_size: 120
    .language:       OpenCL C
    .language_version:
      - 2
      - 0
    .max_flat_workgroup_size: 256
    .name:           _ZN7rocprim17ROCPRIM_400000_NS6detail17trampoline_kernelINS0_14default_configENS1_29reduce_by_key_config_selectorIiiN6thrust23THRUST_200600_302600_NS4plusIiEEEEZZNS1_33reduce_by_key_impl_wrapped_configILNS1_25lookback_scan_determinismE0ES3_S9_NS6_6detail15normal_iteratorINS6_10device_ptrIiEEEESG_SG_SG_PmS8_22is_equal_div_10_reduceIiEEE10hipError_tPvRmT2_T3_mT4_T5_T6_T7_T8_P12ihipStream_tbENKUlT_T0_E_clISt17integral_constantIbLb0EES10_IbLb1EEEEDaSW_SX_EUlSW_E_NS1_11comp_targetILNS1_3genE3ELNS1_11target_archE908ELNS1_3gpuE7ELNS1_3repE0EEENS1_30default_config_static_selectorELNS0_4arch9wavefront6targetE0EEEvT1_
    .private_segment_fixed_size: 0
    .sgpr_count:     0
    .sgpr_spill_count: 0
    .symbol:         _ZN7rocprim17ROCPRIM_400000_NS6detail17trampoline_kernelINS0_14default_configENS1_29reduce_by_key_config_selectorIiiN6thrust23THRUST_200600_302600_NS4plusIiEEEEZZNS1_33reduce_by_key_impl_wrapped_configILNS1_25lookback_scan_determinismE0ES3_S9_NS6_6detail15normal_iteratorINS6_10device_ptrIiEEEESG_SG_SG_PmS8_22is_equal_div_10_reduceIiEEE10hipError_tPvRmT2_T3_mT4_T5_T6_T7_T8_P12ihipStream_tbENKUlT_T0_E_clISt17integral_constantIbLb0EES10_IbLb1EEEEDaSW_SX_EUlSW_E_NS1_11comp_targetILNS1_3genE3ELNS1_11target_archE908ELNS1_3gpuE7ELNS1_3repE0EEENS1_30default_config_static_selectorELNS0_4arch9wavefront6targetE0EEEvT1_.kd
    .uniform_work_group_size: 1
    .uses_dynamic_stack: false
    .vgpr_count:     0
    .vgpr_spill_count: 0
    .wavefront_size: 32
    .workgroup_processor_mode: 1
  - .args:
      - .offset:         0
        .size:           120
        .value_kind:     by_value
    .group_segment_fixed_size: 0
    .kernarg_segment_align: 8
    .kernarg_segment_size: 120
    .language:       OpenCL C
    .language_version:
      - 2
      - 0
    .max_flat_workgroup_size: 256
    .name:           _ZN7rocprim17ROCPRIM_400000_NS6detail17trampoline_kernelINS0_14default_configENS1_29reduce_by_key_config_selectorIiiN6thrust23THRUST_200600_302600_NS4plusIiEEEEZZNS1_33reduce_by_key_impl_wrapped_configILNS1_25lookback_scan_determinismE0ES3_S9_NS6_6detail15normal_iteratorINS6_10device_ptrIiEEEESG_SG_SG_PmS8_22is_equal_div_10_reduceIiEEE10hipError_tPvRmT2_T3_mT4_T5_T6_T7_T8_P12ihipStream_tbENKUlT_T0_E_clISt17integral_constantIbLb0EES10_IbLb1EEEEDaSW_SX_EUlSW_E_NS1_11comp_targetILNS1_3genE2ELNS1_11target_archE906ELNS1_3gpuE6ELNS1_3repE0EEENS1_30default_config_static_selectorELNS0_4arch9wavefront6targetE0EEEvT1_
    .private_segment_fixed_size: 0
    .sgpr_count:     0
    .sgpr_spill_count: 0
    .symbol:         _ZN7rocprim17ROCPRIM_400000_NS6detail17trampoline_kernelINS0_14default_configENS1_29reduce_by_key_config_selectorIiiN6thrust23THRUST_200600_302600_NS4plusIiEEEEZZNS1_33reduce_by_key_impl_wrapped_configILNS1_25lookback_scan_determinismE0ES3_S9_NS6_6detail15normal_iteratorINS6_10device_ptrIiEEEESG_SG_SG_PmS8_22is_equal_div_10_reduceIiEEE10hipError_tPvRmT2_T3_mT4_T5_T6_T7_T8_P12ihipStream_tbENKUlT_T0_E_clISt17integral_constantIbLb0EES10_IbLb1EEEEDaSW_SX_EUlSW_E_NS1_11comp_targetILNS1_3genE2ELNS1_11target_archE906ELNS1_3gpuE6ELNS1_3repE0EEENS1_30default_config_static_selectorELNS0_4arch9wavefront6targetE0EEEvT1_.kd
    .uniform_work_group_size: 1
    .uses_dynamic_stack: false
    .vgpr_count:     0
    .vgpr_spill_count: 0
    .wavefront_size: 32
    .workgroup_processor_mode: 1
  - .args:
      - .offset:         0
        .size:           120
        .value_kind:     by_value
    .group_segment_fixed_size: 0
    .kernarg_segment_align: 8
    .kernarg_segment_size: 120
    .language:       OpenCL C
    .language_version:
      - 2
      - 0
    .max_flat_workgroup_size: 256
    .name:           _ZN7rocprim17ROCPRIM_400000_NS6detail17trampoline_kernelINS0_14default_configENS1_29reduce_by_key_config_selectorIiiN6thrust23THRUST_200600_302600_NS4plusIiEEEEZZNS1_33reduce_by_key_impl_wrapped_configILNS1_25lookback_scan_determinismE0ES3_S9_NS6_6detail15normal_iteratorINS6_10device_ptrIiEEEESG_SG_SG_PmS8_22is_equal_div_10_reduceIiEEE10hipError_tPvRmT2_T3_mT4_T5_T6_T7_T8_P12ihipStream_tbENKUlT_T0_E_clISt17integral_constantIbLb0EES10_IbLb1EEEEDaSW_SX_EUlSW_E_NS1_11comp_targetILNS1_3genE10ELNS1_11target_archE1201ELNS1_3gpuE5ELNS1_3repE0EEENS1_30default_config_static_selectorELNS0_4arch9wavefront6targetE0EEEvT1_
    .private_segment_fixed_size: 0
    .sgpr_count:     0
    .sgpr_spill_count: 0
    .symbol:         _ZN7rocprim17ROCPRIM_400000_NS6detail17trampoline_kernelINS0_14default_configENS1_29reduce_by_key_config_selectorIiiN6thrust23THRUST_200600_302600_NS4plusIiEEEEZZNS1_33reduce_by_key_impl_wrapped_configILNS1_25lookback_scan_determinismE0ES3_S9_NS6_6detail15normal_iteratorINS6_10device_ptrIiEEEESG_SG_SG_PmS8_22is_equal_div_10_reduceIiEEE10hipError_tPvRmT2_T3_mT4_T5_T6_T7_T8_P12ihipStream_tbENKUlT_T0_E_clISt17integral_constantIbLb0EES10_IbLb1EEEEDaSW_SX_EUlSW_E_NS1_11comp_targetILNS1_3genE10ELNS1_11target_archE1201ELNS1_3gpuE5ELNS1_3repE0EEENS1_30default_config_static_selectorELNS0_4arch9wavefront6targetE0EEEvT1_.kd
    .uniform_work_group_size: 1
    .uses_dynamic_stack: false
    .vgpr_count:     0
    .vgpr_spill_count: 0
    .wavefront_size: 32
    .workgroup_processor_mode: 1
  - .args:
      - .offset:         0
        .size:           120
        .value_kind:     by_value
    .group_segment_fixed_size: 0
    .kernarg_segment_align: 8
    .kernarg_segment_size: 120
    .language:       OpenCL C
    .language_version:
      - 2
      - 0
    .max_flat_workgroup_size: 256
    .name:           _ZN7rocprim17ROCPRIM_400000_NS6detail17trampoline_kernelINS0_14default_configENS1_29reduce_by_key_config_selectorIiiN6thrust23THRUST_200600_302600_NS4plusIiEEEEZZNS1_33reduce_by_key_impl_wrapped_configILNS1_25lookback_scan_determinismE0ES3_S9_NS6_6detail15normal_iteratorINS6_10device_ptrIiEEEESG_SG_SG_PmS8_22is_equal_div_10_reduceIiEEE10hipError_tPvRmT2_T3_mT4_T5_T6_T7_T8_P12ihipStream_tbENKUlT_T0_E_clISt17integral_constantIbLb0EES10_IbLb1EEEEDaSW_SX_EUlSW_E_NS1_11comp_targetILNS1_3genE10ELNS1_11target_archE1200ELNS1_3gpuE4ELNS1_3repE0EEENS1_30default_config_static_selectorELNS0_4arch9wavefront6targetE0EEEvT1_
    .private_segment_fixed_size: 0
    .sgpr_count:     0
    .sgpr_spill_count: 0
    .symbol:         _ZN7rocprim17ROCPRIM_400000_NS6detail17trampoline_kernelINS0_14default_configENS1_29reduce_by_key_config_selectorIiiN6thrust23THRUST_200600_302600_NS4plusIiEEEEZZNS1_33reduce_by_key_impl_wrapped_configILNS1_25lookback_scan_determinismE0ES3_S9_NS6_6detail15normal_iteratorINS6_10device_ptrIiEEEESG_SG_SG_PmS8_22is_equal_div_10_reduceIiEEE10hipError_tPvRmT2_T3_mT4_T5_T6_T7_T8_P12ihipStream_tbENKUlT_T0_E_clISt17integral_constantIbLb0EES10_IbLb1EEEEDaSW_SX_EUlSW_E_NS1_11comp_targetILNS1_3genE10ELNS1_11target_archE1200ELNS1_3gpuE4ELNS1_3repE0EEENS1_30default_config_static_selectorELNS0_4arch9wavefront6targetE0EEEvT1_.kd
    .uniform_work_group_size: 1
    .uses_dynamic_stack: false
    .vgpr_count:     0
    .vgpr_spill_count: 0
    .wavefront_size: 32
    .workgroup_processor_mode: 1
  - .args:
      - .offset:         0
        .size:           120
        .value_kind:     by_value
    .group_segment_fixed_size: 15360
    .kernarg_segment_align: 8
    .kernarg_segment_size: 120
    .language:       OpenCL C
    .language_version:
      - 2
      - 0
    .max_flat_workgroup_size: 256
    .name:           _ZN7rocprim17ROCPRIM_400000_NS6detail17trampoline_kernelINS0_14default_configENS1_29reduce_by_key_config_selectorIiiN6thrust23THRUST_200600_302600_NS4plusIiEEEEZZNS1_33reduce_by_key_impl_wrapped_configILNS1_25lookback_scan_determinismE0ES3_S9_NS6_6detail15normal_iteratorINS6_10device_ptrIiEEEESG_SG_SG_PmS8_22is_equal_div_10_reduceIiEEE10hipError_tPvRmT2_T3_mT4_T5_T6_T7_T8_P12ihipStream_tbENKUlT_T0_E_clISt17integral_constantIbLb0EES10_IbLb1EEEEDaSW_SX_EUlSW_E_NS1_11comp_targetILNS1_3genE9ELNS1_11target_archE1100ELNS1_3gpuE3ELNS1_3repE0EEENS1_30default_config_static_selectorELNS0_4arch9wavefront6targetE0EEEvT1_
    .private_segment_fixed_size: 0
    .sgpr_count:     46
    .sgpr_spill_count: 0
    .symbol:         _ZN7rocprim17ROCPRIM_400000_NS6detail17trampoline_kernelINS0_14default_configENS1_29reduce_by_key_config_selectorIiiN6thrust23THRUST_200600_302600_NS4plusIiEEEEZZNS1_33reduce_by_key_impl_wrapped_configILNS1_25lookback_scan_determinismE0ES3_S9_NS6_6detail15normal_iteratorINS6_10device_ptrIiEEEESG_SG_SG_PmS8_22is_equal_div_10_reduceIiEEE10hipError_tPvRmT2_T3_mT4_T5_T6_T7_T8_P12ihipStream_tbENKUlT_T0_E_clISt17integral_constantIbLb0EES10_IbLb1EEEEDaSW_SX_EUlSW_E_NS1_11comp_targetILNS1_3genE9ELNS1_11target_archE1100ELNS1_3gpuE3ELNS1_3repE0EEENS1_30default_config_static_selectorELNS0_4arch9wavefront6targetE0EEEvT1_.kd
    .uniform_work_group_size: 1
    .uses_dynamic_stack: false
    .vgpr_count:     86
    .vgpr_spill_count: 0
    .wavefront_size: 32
    .workgroup_processor_mode: 1
  - .args:
      - .offset:         0
        .size:           120
        .value_kind:     by_value
    .group_segment_fixed_size: 0
    .kernarg_segment_align: 8
    .kernarg_segment_size: 120
    .language:       OpenCL C
    .language_version:
      - 2
      - 0
    .max_flat_workgroup_size: 256
    .name:           _ZN7rocprim17ROCPRIM_400000_NS6detail17trampoline_kernelINS0_14default_configENS1_29reduce_by_key_config_selectorIiiN6thrust23THRUST_200600_302600_NS4plusIiEEEEZZNS1_33reduce_by_key_impl_wrapped_configILNS1_25lookback_scan_determinismE0ES3_S9_NS6_6detail15normal_iteratorINS6_10device_ptrIiEEEESG_SG_SG_PmS8_22is_equal_div_10_reduceIiEEE10hipError_tPvRmT2_T3_mT4_T5_T6_T7_T8_P12ihipStream_tbENKUlT_T0_E_clISt17integral_constantIbLb0EES10_IbLb1EEEEDaSW_SX_EUlSW_E_NS1_11comp_targetILNS1_3genE8ELNS1_11target_archE1030ELNS1_3gpuE2ELNS1_3repE0EEENS1_30default_config_static_selectorELNS0_4arch9wavefront6targetE0EEEvT1_
    .private_segment_fixed_size: 0
    .sgpr_count:     0
    .sgpr_spill_count: 0
    .symbol:         _ZN7rocprim17ROCPRIM_400000_NS6detail17trampoline_kernelINS0_14default_configENS1_29reduce_by_key_config_selectorIiiN6thrust23THRUST_200600_302600_NS4plusIiEEEEZZNS1_33reduce_by_key_impl_wrapped_configILNS1_25lookback_scan_determinismE0ES3_S9_NS6_6detail15normal_iteratorINS6_10device_ptrIiEEEESG_SG_SG_PmS8_22is_equal_div_10_reduceIiEEE10hipError_tPvRmT2_T3_mT4_T5_T6_T7_T8_P12ihipStream_tbENKUlT_T0_E_clISt17integral_constantIbLb0EES10_IbLb1EEEEDaSW_SX_EUlSW_E_NS1_11comp_targetILNS1_3genE8ELNS1_11target_archE1030ELNS1_3gpuE2ELNS1_3repE0EEENS1_30default_config_static_selectorELNS0_4arch9wavefront6targetE0EEEvT1_.kd
    .uniform_work_group_size: 1
    .uses_dynamic_stack: false
    .vgpr_count:     0
    .vgpr_spill_count: 0
    .wavefront_size: 32
    .workgroup_processor_mode: 1
  - .args:
      - .offset:         0
        .size:           16
        .value_kind:     by_value
      - .offset:         16
        .size:           8
        .value_kind:     by_value
      - .offset:         24
        .size:           8
        .value_kind:     by_value
    .group_segment_fixed_size: 0
    .kernarg_segment_align: 8
    .kernarg_segment_size: 32
    .language:       OpenCL C
    .language_version:
      - 2
      - 0
    .max_flat_workgroup_size: 256
    .name:           _ZN6thrust23THRUST_200600_302600_NS11hip_rocprim14__parallel_for6kernelILj256ENS1_20__uninitialized_fill7functorINS0_10device_ptrIsEEsEEmLj1EEEvT0_T1_SA_
    .private_segment_fixed_size: 0
    .sgpr_count:     18
    .sgpr_spill_count: 0
    .symbol:         _ZN6thrust23THRUST_200600_302600_NS11hip_rocprim14__parallel_for6kernelILj256ENS1_20__uninitialized_fill7functorINS0_10device_ptrIsEEsEEmLj1EEEvT0_T1_SA_.kd
    .uniform_work_group_size: 1
    .uses_dynamic_stack: false
    .vgpr_count:     3
    .vgpr_spill_count: 0
    .wavefront_size: 32
    .workgroup_processor_mode: 1
  - .args:
      - .address_space:  global
        .offset:         0
        .size:           8
        .value_kind:     global_buffer
      - .offset:         8
        .size:           4
        .value_kind:     by_value
      - .offset:         12
        .size:           1
        .value_kind:     by_value
      - .offset:         16
        .size:           4
        .value_kind:     by_value
      - .address_space:  global
        .offset:         24
        .size:           8
        .value_kind:     global_buffer
      - .address_space:  global
        .offset:         32
        .size:           8
        .value_kind:     global_buffer
      - .offset:         40
        .size:           1
        .value_kind:     by_value
      - .offset:         48
        .size:           4
        .value_kind:     hidden_block_count_x
      - .offset:         52
        .size:           4
        .value_kind:     hidden_block_count_y
      - .offset:         56
        .size:           4
        .value_kind:     hidden_block_count_z
      - .offset:         60
        .size:           2
        .value_kind:     hidden_group_size_x
      - .offset:         62
        .size:           2
        .value_kind:     hidden_group_size_y
      - .offset:         64
        .size:           2
        .value_kind:     hidden_group_size_z
      - .offset:         66
        .size:           2
        .value_kind:     hidden_remainder_x
      - .offset:         68
        .size:           2
        .value_kind:     hidden_remainder_y
      - .offset:         70
        .size:           2
        .value_kind:     hidden_remainder_z
      - .offset:         88
        .size:           8
        .value_kind:     hidden_global_offset_x
      - .offset:         96
        .size:           8
        .value_kind:     hidden_global_offset_y
      - .offset:         104
        .size:           8
        .value_kind:     hidden_global_offset_z
      - .offset:         112
        .size:           2
        .value_kind:     hidden_grid_dims
    .group_segment_fixed_size: 0
    .kernarg_segment_align: 8
    .kernarg_segment_size: 304
    .language:       OpenCL C
    .language_version:
      - 2
      - 0
    .max_flat_workgroup_size: 256
    .name:           _ZN7rocprim17ROCPRIM_400000_NS6detail25reduce_by_key_init_kernelINS1_19lookback_scan_stateINS0_5tupleIJjsEEELb0ELb1EEEsNS1_16block_id_wrapperIjLb0EEEEEvT_jbjPmPT0_T1_
    .private_segment_fixed_size: 0
    .sgpr_count:     18
    .sgpr_spill_count: 0
    .symbol:         _ZN7rocprim17ROCPRIM_400000_NS6detail25reduce_by_key_init_kernelINS1_19lookback_scan_stateINS0_5tupleIJjsEEELb0ELb1EEEsNS1_16block_id_wrapperIjLb0EEEEEvT_jbjPmPT0_T1_.kd
    .uniform_work_group_size: 1
    .uses_dynamic_stack: false
    .vgpr_count:     9
    .vgpr_spill_count: 0
    .wavefront_size: 32
    .workgroup_processor_mode: 1
  - .args:
      - .offset:         0
        .size:           120
        .value_kind:     by_value
    .group_segment_fixed_size: 0
    .kernarg_segment_align: 8
    .kernarg_segment_size: 120
    .language:       OpenCL C
    .language_version:
      - 2
      - 0
    .max_flat_workgroup_size: 256
    .name:           _ZN7rocprim17ROCPRIM_400000_NS6detail17trampoline_kernelINS0_14default_configENS1_29reduce_by_key_config_selectorIssN6thrust23THRUST_200600_302600_NS4plusIsEEEEZZNS1_33reduce_by_key_impl_wrapped_configILNS1_25lookback_scan_determinismE0ES3_S9_NS6_6detail15normal_iteratorINS6_10device_ptrIsEEEESG_SG_SG_PmS8_NS6_8equal_toIsEEEE10hipError_tPvRmT2_T3_mT4_T5_T6_T7_T8_P12ihipStream_tbENKUlT_T0_E_clISt17integral_constantIbLb0EES11_EEDaSW_SX_EUlSW_E_NS1_11comp_targetILNS1_3genE0ELNS1_11target_archE4294967295ELNS1_3gpuE0ELNS1_3repE0EEENS1_30default_config_static_selectorELNS0_4arch9wavefront6targetE0EEEvT1_
    .private_segment_fixed_size: 0
    .sgpr_count:     0
    .sgpr_spill_count: 0
    .symbol:         _ZN7rocprim17ROCPRIM_400000_NS6detail17trampoline_kernelINS0_14default_configENS1_29reduce_by_key_config_selectorIssN6thrust23THRUST_200600_302600_NS4plusIsEEEEZZNS1_33reduce_by_key_impl_wrapped_configILNS1_25lookback_scan_determinismE0ES3_S9_NS6_6detail15normal_iteratorINS6_10device_ptrIsEEEESG_SG_SG_PmS8_NS6_8equal_toIsEEEE10hipError_tPvRmT2_T3_mT4_T5_T6_T7_T8_P12ihipStream_tbENKUlT_T0_E_clISt17integral_constantIbLb0EES11_EEDaSW_SX_EUlSW_E_NS1_11comp_targetILNS1_3genE0ELNS1_11target_archE4294967295ELNS1_3gpuE0ELNS1_3repE0EEENS1_30default_config_static_selectorELNS0_4arch9wavefront6targetE0EEEvT1_.kd
    .uniform_work_group_size: 1
    .uses_dynamic_stack: false
    .vgpr_count:     0
    .vgpr_spill_count: 0
    .wavefront_size: 32
    .workgroup_processor_mode: 1
  - .args:
      - .offset:         0
        .size:           120
        .value_kind:     by_value
    .group_segment_fixed_size: 0
    .kernarg_segment_align: 8
    .kernarg_segment_size: 120
    .language:       OpenCL C
    .language_version:
      - 2
      - 0
    .max_flat_workgroup_size: 256
    .name:           _ZN7rocprim17ROCPRIM_400000_NS6detail17trampoline_kernelINS0_14default_configENS1_29reduce_by_key_config_selectorIssN6thrust23THRUST_200600_302600_NS4plusIsEEEEZZNS1_33reduce_by_key_impl_wrapped_configILNS1_25lookback_scan_determinismE0ES3_S9_NS6_6detail15normal_iteratorINS6_10device_ptrIsEEEESG_SG_SG_PmS8_NS6_8equal_toIsEEEE10hipError_tPvRmT2_T3_mT4_T5_T6_T7_T8_P12ihipStream_tbENKUlT_T0_E_clISt17integral_constantIbLb0EES11_EEDaSW_SX_EUlSW_E_NS1_11comp_targetILNS1_3genE5ELNS1_11target_archE942ELNS1_3gpuE9ELNS1_3repE0EEENS1_30default_config_static_selectorELNS0_4arch9wavefront6targetE0EEEvT1_
    .private_segment_fixed_size: 0
    .sgpr_count:     0
    .sgpr_spill_count: 0
    .symbol:         _ZN7rocprim17ROCPRIM_400000_NS6detail17trampoline_kernelINS0_14default_configENS1_29reduce_by_key_config_selectorIssN6thrust23THRUST_200600_302600_NS4plusIsEEEEZZNS1_33reduce_by_key_impl_wrapped_configILNS1_25lookback_scan_determinismE0ES3_S9_NS6_6detail15normal_iteratorINS6_10device_ptrIsEEEESG_SG_SG_PmS8_NS6_8equal_toIsEEEE10hipError_tPvRmT2_T3_mT4_T5_T6_T7_T8_P12ihipStream_tbENKUlT_T0_E_clISt17integral_constantIbLb0EES11_EEDaSW_SX_EUlSW_E_NS1_11comp_targetILNS1_3genE5ELNS1_11target_archE942ELNS1_3gpuE9ELNS1_3repE0EEENS1_30default_config_static_selectorELNS0_4arch9wavefront6targetE0EEEvT1_.kd
    .uniform_work_group_size: 1
    .uses_dynamic_stack: false
    .vgpr_count:     0
    .vgpr_spill_count: 0
    .wavefront_size: 32
    .workgroup_processor_mode: 1
  - .args:
      - .offset:         0
        .size:           120
        .value_kind:     by_value
    .group_segment_fixed_size: 0
    .kernarg_segment_align: 8
    .kernarg_segment_size: 120
    .language:       OpenCL C
    .language_version:
      - 2
      - 0
    .max_flat_workgroup_size: 256
    .name:           _ZN7rocprim17ROCPRIM_400000_NS6detail17trampoline_kernelINS0_14default_configENS1_29reduce_by_key_config_selectorIssN6thrust23THRUST_200600_302600_NS4plusIsEEEEZZNS1_33reduce_by_key_impl_wrapped_configILNS1_25lookback_scan_determinismE0ES3_S9_NS6_6detail15normal_iteratorINS6_10device_ptrIsEEEESG_SG_SG_PmS8_NS6_8equal_toIsEEEE10hipError_tPvRmT2_T3_mT4_T5_T6_T7_T8_P12ihipStream_tbENKUlT_T0_E_clISt17integral_constantIbLb0EES11_EEDaSW_SX_EUlSW_E_NS1_11comp_targetILNS1_3genE4ELNS1_11target_archE910ELNS1_3gpuE8ELNS1_3repE0EEENS1_30default_config_static_selectorELNS0_4arch9wavefront6targetE0EEEvT1_
    .private_segment_fixed_size: 0
    .sgpr_count:     0
    .sgpr_spill_count: 0
    .symbol:         _ZN7rocprim17ROCPRIM_400000_NS6detail17trampoline_kernelINS0_14default_configENS1_29reduce_by_key_config_selectorIssN6thrust23THRUST_200600_302600_NS4plusIsEEEEZZNS1_33reduce_by_key_impl_wrapped_configILNS1_25lookback_scan_determinismE0ES3_S9_NS6_6detail15normal_iteratorINS6_10device_ptrIsEEEESG_SG_SG_PmS8_NS6_8equal_toIsEEEE10hipError_tPvRmT2_T3_mT4_T5_T6_T7_T8_P12ihipStream_tbENKUlT_T0_E_clISt17integral_constantIbLb0EES11_EEDaSW_SX_EUlSW_E_NS1_11comp_targetILNS1_3genE4ELNS1_11target_archE910ELNS1_3gpuE8ELNS1_3repE0EEENS1_30default_config_static_selectorELNS0_4arch9wavefront6targetE0EEEvT1_.kd
    .uniform_work_group_size: 1
    .uses_dynamic_stack: false
    .vgpr_count:     0
    .vgpr_spill_count: 0
    .wavefront_size: 32
    .workgroup_processor_mode: 1
  - .args:
      - .offset:         0
        .size:           120
        .value_kind:     by_value
    .group_segment_fixed_size: 0
    .kernarg_segment_align: 8
    .kernarg_segment_size: 120
    .language:       OpenCL C
    .language_version:
      - 2
      - 0
    .max_flat_workgroup_size: 256
    .name:           _ZN7rocprim17ROCPRIM_400000_NS6detail17trampoline_kernelINS0_14default_configENS1_29reduce_by_key_config_selectorIssN6thrust23THRUST_200600_302600_NS4plusIsEEEEZZNS1_33reduce_by_key_impl_wrapped_configILNS1_25lookback_scan_determinismE0ES3_S9_NS6_6detail15normal_iteratorINS6_10device_ptrIsEEEESG_SG_SG_PmS8_NS6_8equal_toIsEEEE10hipError_tPvRmT2_T3_mT4_T5_T6_T7_T8_P12ihipStream_tbENKUlT_T0_E_clISt17integral_constantIbLb0EES11_EEDaSW_SX_EUlSW_E_NS1_11comp_targetILNS1_3genE3ELNS1_11target_archE908ELNS1_3gpuE7ELNS1_3repE0EEENS1_30default_config_static_selectorELNS0_4arch9wavefront6targetE0EEEvT1_
    .private_segment_fixed_size: 0
    .sgpr_count:     0
    .sgpr_spill_count: 0
    .symbol:         _ZN7rocprim17ROCPRIM_400000_NS6detail17trampoline_kernelINS0_14default_configENS1_29reduce_by_key_config_selectorIssN6thrust23THRUST_200600_302600_NS4plusIsEEEEZZNS1_33reduce_by_key_impl_wrapped_configILNS1_25lookback_scan_determinismE0ES3_S9_NS6_6detail15normal_iteratorINS6_10device_ptrIsEEEESG_SG_SG_PmS8_NS6_8equal_toIsEEEE10hipError_tPvRmT2_T3_mT4_T5_T6_T7_T8_P12ihipStream_tbENKUlT_T0_E_clISt17integral_constantIbLb0EES11_EEDaSW_SX_EUlSW_E_NS1_11comp_targetILNS1_3genE3ELNS1_11target_archE908ELNS1_3gpuE7ELNS1_3repE0EEENS1_30default_config_static_selectorELNS0_4arch9wavefront6targetE0EEEvT1_.kd
    .uniform_work_group_size: 1
    .uses_dynamic_stack: false
    .vgpr_count:     0
    .vgpr_spill_count: 0
    .wavefront_size: 32
    .workgroup_processor_mode: 1
  - .args:
      - .offset:         0
        .size:           120
        .value_kind:     by_value
    .group_segment_fixed_size: 0
    .kernarg_segment_align: 8
    .kernarg_segment_size: 120
    .language:       OpenCL C
    .language_version:
      - 2
      - 0
    .max_flat_workgroup_size: 256
    .name:           _ZN7rocprim17ROCPRIM_400000_NS6detail17trampoline_kernelINS0_14default_configENS1_29reduce_by_key_config_selectorIssN6thrust23THRUST_200600_302600_NS4plusIsEEEEZZNS1_33reduce_by_key_impl_wrapped_configILNS1_25lookback_scan_determinismE0ES3_S9_NS6_6detail15normal_iteratorINS6_10device_ptrIsEEEESG_SG_SG_PmS8_NS6_8equal_toIsEEEE10hipError_tPvRmT2_T3_mT4_T5_T6_T7_T8_P12ihipStream_tbENKUlT_T0_E_clISt17integral_constantIbLb0EES11_EEDaSW_SX_EUlSW_E_NS1_11comp_targetILNS1_3genE2ELNS1_11target_archE906ELNS1_3gpuE6ELNS1_3repE0EEENS1_30default_config_static_selectorELNS0_4arch9wavefront6targetE0EEEvT1_
    .private_segment_fixed_size: 0
    .sgpr_count:     0
    .sgpr_spill_count: 0
    .symbol:         _ZN7rocprim17ROCPRIM_400000_NS6detail17trampoline_kernelINS0_14default_configENS1_29reduce_by_key_config_selectorIssN6thrust23THRUST_200600_302600_NS4plusIsEEEEZZNS1_33reduce_by_key_impl_wrapped_configILNS1_25lookback_scan_determinismE0ES3_S9_NS6_6detail15normal_iteratorINS6_10device_ptrIsEEEESG_SG_SG_PmS8_NS6_8equal_toIsEEEE10hipError_tPvRmT2_T3_mT4_T5_T6_T7_T8_P12ihipStream_tbENKUlT_T0_E_clISt17integral_constantIbLb0EES11_EEDaSW_SX_EUlSW_E_NS1_11comp_targetILNS1_3genE2ELNS1_11target_archE906ELNS1_3gpuE6ELNS1_3repE0EEENS1_30default_config_static_selectorELNS0_4arch9wavefront6targetE0EEEvT1_.kd
    .uniform_work_group_size: 1
    .uses_dynamic_stack: false
    .vgpr_count:     0
    .vgpr_spill_count: 0
    .wavefront_size: 32
    .workgroup_processor_mode: 1
  - .args:
      - .offset:         0
        .size:           120
        .value_kind:     by_value
    .group_segment_fixed_size: 0
    .kernarg_segment_align: 8
    .kernarg_segment_size: 120
    .language:       OpenCL C
    .language_version:
      - 2
      - 0
    .max_flat_workgroup_size: 256
    .name:           _ZN7rocprim17ROCPRIM_400000_NS6detail17trampoline_kernelINS0_14default_configENS1_29reduce_by_key_config_selectorIssN6thrust23THRUST_200600_302600_NS4plusIsEEEEZZNS1_33reduce_by_key_impl_wrapped_configILNS1_25lookback_scan_determinismE0ES3_S9_NS6_6detail15normal_iteratorINS6_10device_ptrIsEEEESG_SG_SG_PmS8_NS6_8equal_toIsEEEE10hipError_tPvRmT2_T3_mT4_T5_T6_T7_T8_P12ihipStream_tbENKUlT_T0_E_clISt17integral_constantIbLb0EES11_EEDaSW_SX_EUlSW_E_NS1_11comp_targetILNS1_3genE10ELNS1_11target_archE1201ELNS1_3gpuE5ELNS1_3repE0EEENS1_30default_config_static_selectorELNS0_4arch9wavefront6targetE0EEEvT1_
    .private_segment_fixed_size: 0
    .sgpr_count:     0
    .sgpr_spill_count: 0
    .symbol:         _ZN7rocprim17ROCPRIM_400000_NS6detail17trampoline_kernelINS0_14default_configENS1_29reduce_by_key_config_selectorIssN6thrust23THRUST_200600_302600_NS4plusIsEEEEZZNS1_33reduce_by_key_impl_wrapped_configILNS1_25lookback_scan_determinismE0ES3_S9_NS6_6detail15normal_iteratorINS6_10device_ptrIsEEEESG_SG_SG_PmS8_NS6_8equal_toIsEEEE10hipError_tPvRmT2_T3_mT4_T5_T6_T7_T8_P12ihipStream_tbENKUlT_T0_E_clISt17integral_constantIbLb0EES11_EEDaSW_SX_EUlSW_E_NS1_11comp_targetILNS1_3genE10ELNS1_11target_archE1201ELNS1_3gpuE5ELNS1_3repE0EEENS1_30default_config_static_selectorELNS0_4arch9wavefront6targetE0EEEvT1_.kd
    .uniform_work_group_size: 1
    .uses_dynamic_stack: false
    .vgpr_count:     0
    .vgpr_spill_count: 0
    .wavefront_size: 32
    .workgroup_processor_mode: 1
  - .args:
      - .offset:         0
        .size:           120
        .value_kind:     by_value
    .group_segment_fixed_size: 0
    .kernarg_segment_align: 8
    .kernarg_segment_size: 120
    .language:       OpenCL C
    .language_version:
      - 2
      - 0
    .max_flat_workgroup_size: 256
    .name:           _ZN7rocprim17ROCPRIM_400000_NS6detail17trampoline_kernelINS0_14default_configENS1_29reduce_by_key_config_selectorIssN6thrust23THRUST_200600_302600_NS4plusIsEEEEZZNS1_33reduce_by_key_impl_wrapped_configILNS1_25lookback_scan_determinismE0ES3_S9_NS6_6detail15normal_iteratorINS6_10device_ptrIsEEEESG_SG_SG_PmS8_NS6_8equal_toIsEEEE10hipError_tPvRmT2_T3_mT4_T5_T6_T7_T8_P12ihipStream_tbENKUlT_T0_E_clISt17integral_constantIbLb0EES11_EEDaSW_SX_EUlSW_E_NS1_11comp_targetILNS1_3genE10ELNS1_11target_archE1200ELNS1_3gpuE4ELNS1_3repE0EEENS1_30default_config_static_selectorELNS0_4arch9wavefront6targetE0EEEvT1_
    .private_segment_fixed_size: 0
    .sgpr_count:     0
    .sgpr_spill_count: 0
    .symbol:         _ZN7rocprim17ROCPRIM_400000_NS6detail17trampoline_kernelINS0_14default_configENS1_29reduce_by_key_config_selectorIssN6thrust23THRUST_200600_302600_NS4plusIsEEEEZZNS1_33reduce_by_key_impl_wrapped_configILNS1_25lookback_scan_determinismE0ES3_S9_NS6_6detail15normal_iteratorINS6_10device_ptrIsEEEESG_SG_SG_PmS8_NS6_8equal_toIsEEEE10hipError_tPvRmT2_T3_mT4_T5_T6_T7_T8_P12ihipStream_tbENKUlT_T0_E_clISt17integral_constantIbLb0EES11_EEDaSW_SX_EUlSW_E_NS1_11comp_targetILNS1_3genE10ELNS1_11target_archE1200ELNS1_3gpuE4ELNS1_3repE0EEENS1_30default_config_static_selectorELNS0_4arch9wavefront6targetE0EEEvT1_.kd
    .uniform_work_group_size: 1
    .uses_dynamic_stack: false
    .vgpr_count:     0
    .vgpr_spill_count: 0
    .wavefront_size: 32
    .workgroup_processor_mode: 1
  - .args:
      - .offset:         0
        .size:           120
        .value_kind:     by_value
    .group_segment_fixed_size: 7680
    .kernarg_segment_align: 8
    .kernarg_segment_size: 120
    .language:       OpenCL C
    .language_version:
      - 2
      - 0
    .max_flat_workgroup_size: 256
    .name:           _ZN7rocprim17ROCPRIM_400000_NS6detail17trampoline_kernelINS0_14default_configENS1_29reduce_by_key_config_selectorIssN6thrust23THRUST_200600_302600_NS4plusIsEEEEZZNS1_33reduce_by_key_impl_wrapped_configILNS1_25lookback_scan_determinismE0ES3_S9_NS6_6detail15normal_iteratorINS6_10device_ptrIsEEEESG_SG_SG_PmS8_NS6_8equal_toIsEEEE10hipError_tPvRmT2_T3_mT4_T5_T6_T7_T8_P12ihipStream_tbENKUlT_T0_E_clISt17integral_constantIbLb0EES11_EEDaSW_SX_EUlSW_E_NS1_11comp_targetILNS1_3genE9ELNS1_11target_archE1100ELNS1_3gpuE3ELNS1_3repE0EEENS1_30default_config_static_selectorELNS0_4arch9wavefront6targetE0EEEvT1_
    .private_segment_fixed_size: 0
    .sgpr_count:     46
    .sgpr_spill_count: 0
    .symbol:         _ZN7rocprim17ROCPRIM_400000_NS6detail17trampoline_kernelINS0_14default_configENS1_29reduce_by_key_config_selectorIssN6thrust23THRUST_200600_302600_NS4plusIsEEEEZZNS1_33reduce_by_key_impl_wrapped_configILNS1_25lookback_scan_determinismE0ES3_S9_NS6_6detail15normal_iteratorINS6_10device_ptrIsEEEESG_SG_SG_PmS8_NS6_8equal_toIsEEEE10hipError_tPvRmT2_T3_mT4_T5_T6_T7_T8_P12ihipStream_tbENKUlT_T0_E_clISt17integral_constantIbLb0EES11_EEDaSW_SX_EUlSW_E_NS1_11comp_targetILNS1_3genE9ELNS1_11target_archE1100ELNS1_3gpuE3ELNS1_3repE0EEENS1_30default_config_static_selectorELNS0_4arch9wavefront6targetE0EEEvT1_.kd
    .uniform_work_group_size: 1
    .uses_dynamic_stack: false
    .vgpr_count:     102
    .vgpr_spill_count: 0
    .wavefront_size: 32
    .workgroup_processor_mode: 1
  - .args:
      - .offset:         0
        .size:           120
        .value_kind:     by_value
    .group_segment_fixed_size: 0
    .kernarg_segment_align: 8
    .kernarg_segment_size: 120
    .language:       OpenCL C
    .language_version:
      - 2
      - 0
    .max_flat_workgroup_size: 256
    .name:           _ZN7rocprim17ROCPRIM_400000_NS6detail17trampoline_kernelINS0_14default_configENS1_29reduce_by_key_config_selectorIssN6thrust23THRUST_200600_302600_NS4plusIsEEEEZZNS1_33reduce_by_key_impl_wrapped_configILNS1_25lookback_scan_determinismE0ES3_S9_NS6_6detail15normal_iteratorINS6_10device_ptrIsEEEESG_SG_SG_PmS8_NS6_8equal_toIsEEEE10hipError_tPvRmT2_T3_mT4_T5_T6_T7_T8_P12ihipStream_tbENKUlT_T0_E_clISt17integral_constantIbLb0EES11_EEDaSW_SX_EUlSW_E_NS1_11comp_targetILNS1_3genE8ELNS1_11target_archE1030ELNS1_3gpuE2ELNS1_3repE0EEENS1_30default_config_static_selectorELNS0_4arch9wavefront6targetE0EEEvT1_
    .private_segment_fixed_size: 0
    .sgpr_count:     0
    .sgpr_spill_count: 0
    .symbol:         _ZN7rocprim17ROCPRIM_400000_NS6detail17trampoline_kernelINS0_14default_configENS1_29reduce_by_key_config_selectorIssN6thrust23THRUST_200600_302600_NS4plusIsEEEEZZNS1_33reduce_by_key_impl_wrapped_configILNS1_25lookback_scan_determinismE0ES3_S9_NS6_6detail15normal_iteratorINS6_10device_ptrIsEEEESG_SG_SG_PmS8_NS6_8equal_toIsEEEE10hipError_tPvRmT2_T3_mT4_T5_T6_T7_T8_P12ihipStream_tbENKUlT_T0_E_clISt17integral_constantIbLb0EES11_EEDaSW_SX_EUlSW_E_NS1_11comp_targetILNS1_3genE8ELNS1_11target_archE1030ELNS1_3gpuE2ELNS1_3repE0EEENS1_30default_config_static_selectorELNS0_4arch9wavefront6targetE0EEEvT1_.kd
    .uniform_work_group_size: 1
    .uses_dynamic_stack: false
    .vgpr_count:     0
    .vgpr_spill_count: 0
    .wavefront_size: 32
    .workgroup_processor_mode: 1
  - .args:
      - .address_space:  global
        .offset:         0
        .size:           8
        .value_kind:     global_buffer
      - .offset:         8
        .size:           4
        .value_kind:     by_value
      - .offset:         12
        .size:           1
        .value_kind:     by_value
      - .offset:         16
        .size:           4
        .value_kind:     by_value
      - .address_space:  global
        .offset:         24
        .size:           8
        .value_kind:     global_buffer
      - .address_space:  global
        .offset:         32
        .size:           8
        .value_kind:     global_buffer
      - .address_space:  global
        .offset:         40
        .size:           8
        .value_kind:     global_buffer
      - .offset:         48
        .size:           4
        .value_kind:     hidden_block_count_x
      - .offset:         52
        .size:           4
        .value_kind:     hidden_block_count_y
      - .offset:         56
        .size:           4
        .value_kind:     hidden_block_count_z
      - .offset:         60
        .size:           2
        .value_kind:     hidden_group_size_x
      - .offset:         62
        .size:           2
        .value_kind:     hidden_group_size_y
      - .offset:         64
        .size:           2
        .value_kind:     hidden_group_size_z
      - .offset:         66
        .size:           2
        .value_kind:     hidden_remainder_x
      - .offset:         68
        .size:           2
        .value_kind:     hidden_remainder_y
      - .offset:         70
        .size:           2
        .value_kind:     hidden_remainder_z
      - .offset:         88
        .size:           8
        .value_kind:     hidden_global_offset_x
      - .offset:         96
        .size:           8
        .value_kind:     hidden_global_offset_y
      - .offset:         104
        .size:           8
        .value_kind:     hidden_global_offset_z
      - .offset:         112
        .size:           2
        .value_kind:     hidden_grid_dims
    .group_segment_fixed_size: 0
    .kernarg_segment_align: 8
    .kernarg_segment_size: 304
    .language:       OpenCL C
    .language_version:
      - 2
      - 0
    .max_flat_workgroup_size: 256
    .name:           _ZN7rocprim17ROCPRIM_400000_NS6detail25reduce_by_key_init_kernelINS1_19lookback_scan_stateINS0_5tupleIJjsEEELb1ELb1EEEsNS1_16block_id_wrapperIjLb1EEEEEvT_jbjPmPT0_T1_
    .private_segment_fixed_size: 0
    .sgpr_count:     18
    .sgpr_spill_count: 0
    .symbol:         _ZN7rocprim17ROCPRIM_400000_NS6detail25reduce_by_key_init_kernelINS1_19lookback_scan_stateINS0_5tupleIJjsEEELb1ELb1EEEsNS1_16block_id_wrapperIjLb1EEEEEvT_jbjPmPT0_T1_.kd
    .uniform_work_group_size: 1
    .uses_dynamic_stack: false
    .vgpr_count:     9
    .vgpr_spill_count: 0
    .wavefront_size: 32
    .workgroup_processor_mode: 1
  - .args:
      - .offset:         0
        .size:           120
        .value_kind:     by_value
    .group_segment_fixed_size: 0
    .kernarg_segment_align: 8
    .kernarg_segment_size: 120
    .language:       OpenCL C
    .language_version:
      - 2
      - 0
    .max_flat_workgroup_size: 256
    .name:           _ZN7rocprim17ROCPRIM_400000_NS6detail17trampoline_kernelINS0_14default_configENS1_29reduce_by_key_config_selectorIssN6thrust23THRUST_200600_302600_NS4plusIsEEEEZZNS1_33reduce_by_key_impl_wrapped_configILNS1_25lookback_scan_determinismE0ES3_S9_NS6_6detail15normal_iteratorINS6_10device_ptrIsEEEESG_SG_SG_PmS8_NS6_8equal_toIsEEEE10hipError_tPvRmT2_T3_mT4_T5_T6_T7_T8_P12ihipStream_tbENKUlT_T0_E_clISt17integral_constantIbLb1EES11_EEDaSW_SX_EUlSW_E_NS1_11comp_targetILNS1_3genE0ELNS1_11target_archE4294967295ELNS1_3gpuE0ELNS1_3repE0EEENS1_30default_config_static_selectorELNS0_4arch9wavefront6targetE0EEEvT1_
    .private_segment_fixed_size: 0
    .sgpr_count:     0
    .sgpr_spill_count: 0
    .symbol:         _ZN7rocprim17ROCPRIM_400000_NS6detail17trampoline_kernelINS0_14default_configENS1_29reduce_by_key_config_selectorIssN6thrust23THRUST_200600_302600_NS4plusIsEEEEZZNS1_33reduce_by_key_impl_wrapped_configILNS1_25lookback_scan_determinismE0ES3_S9_NS6_6detail15normal_iteratorINS6_10device_ptrIsEEEESG_SG_SG_PmS8_NS6_8equal_toIsEEEE10hipError_tPvRmT2_T3_mT4_T5_T6_T7_T8_P12ihipStream_tbENKUlT_T0_E_clISt17integral_constantIbLb1EES11_EEDaSW_SX_EUlSW_E_NS1_11comp_targetILNS1_3genE0ELNS1_11target_archE4294967295ELNS1_3gpuE0ELNS1_3repE0EEENS1_30default_config_static_selectorELNS0_4arch9wavefront6targetE0EEEvT1_.kd
    .uniform_work_group_size: 1
    .uses_dynamic_stack: false
    .vgpr_count:     0
    .vgpr_spill_count: 0
    .wavefront_size: 32
    .workgroup_processor_mode: 1
  - .args:
      - .offset:         0
        .size:           120
        .value_kind:     by_value
    .group_segment_fixed_size: 0
    .kernarg_segment_align: 8
    .kernarg_segment_size: 120
    .language:       OpenCL C
    .language_version:
      - 2
      - 0
    .max_flat_workgroup_size: 256
    .name:           _ZN7rocprim17ROCPRIM_400000_NS6detail17trampoline_kernelINS0_14default_configENS1_29reduce_by_key_config_selectorIssN6thrust23THRUST_200600_302600_NS4plusIsEEEEZZNS1_33reduce_by_key_impl_wrapped_configILNS1_25lookback_scan_determinismE0ES3_S9_NS6_6detail15normal_iteratorINS6_10device_ptrIsEEEESG_SG_SG_PmS8_NS6_8equal_toIsEEEE10hipError_tPvRmT2_T3_mT4_T5_T6_T7_T8_P12ihipStream_tbENKUlT_T0_E_clISt17integral_constantIbLb1EES11_EEDaSW_SX_EUlSW_E_NS1_11comp_targetILNS1_3genE5ELNS1_11target_archE942ELNS1_3gpuE9ELNS1_3repE0EEENS1_30default_config_static_selectorELNS0_4arch9wavefront6targetE0EEEvT1_
    .private_segment_fixed_size: 0
    .sgpr_count:     0
    .sgpr_spill_count: 0
    .symbol:         _ZN7rocprim17ROCPRIM_400000_NS6detail17trampoline_kernelINS0_14default_configENS1_29reduce_by_key_config_selectorIssN6thrust23THRUST_200600_302600_NS4plusIsEEEEZZNS1_33reduce_by_key_impl_wrapped_configILNS1_25lookback_scan_determinismE0ES3_S9_NS6_6detail15normal_iteratorINS6_10device_ptrIsEEEESG_SG_SG_PmS8_NS6_8equal_toIsEEEE10hipError_tPvRmT2_T3_mT4_T5_T6_T7_T8_P12ihipStream_tbENKUlT_T0_E_clISt17integral_constantIbLb1EES11_EEDaSW_SX_EUlSW_E_NS1_11comp_targetILNS1_3genE5ELNS1_11target_archE942ELNS1_3gpuE9ELNS1_3repE0EEENS1_30default_config_static_selectorELNS0_4arch9wavefront6targetE0EEEvT1_.kd
    .uniform_work_group_size: 1
    .uses_dynamic_stack: false
    .vgpr_count:     0
    .vgpr_spill_count: 0
    .wavefront_size: 32
    .workgroup_processor_mode: 1
  - .args:
      - .offset:         0
        .size:           120
        .value_kind:     by_value
    .group_segment_fixed_size: 0
    .kernarg_segment_align: 8
    .kernarg_segment_size: 120
    .language:       OpenCL C
    .language_version:
      - 2
      - 0
    .max_flat_workgroup_size: 256
    .name:           _ZN7rocprim17ROCPRIM_400000_NS6detail17trampoline_kernelINS0_14default_configENS1_29reduce_by_key_config_selectorIssN6thrust23THRUST_200600_302600_NS4plusIsEEEEZZNS1_33reduce_by_key_impl_wrapped_configILNS1_25lookback_scan_determinismE0ES3_S9_NS6_6detail15normal_iteratorINS6_10device_ptrIsEEEESG_SG_SG_PmS8_NS6_8equal_toIsEEEE10hipError_tPvRmT2_T3_mT4_T5_T6_T7_T8_P12ihipStream_tbENKUlT_T0_E_clISt17integral_constantIbLb1EES11_EEDaSW_SX_EUlSW_E_NS1_11comp_targetILNS1_3genE4ELNS1_11target_archE910ELNS1_3gpuE8ELNS1_3repE0EEENS1_30default_config_static_selectorELNS0_4arch9wavefront6targetE0EEEvT1_
    .private_segment_fixed_size: 0
    .sgpr_count:     0
    .sgpr_spill_count: 0
    .symbol:         _ZN7rocprim17ROCPRIM_400000_NS6detail17trampoline_kernelINS0_14default_configENS1_29reduce_by_key_config_selectorIssN6thrust23THRUST_200600_302600_NS4plusIsEEEEZZNS1_33reduce_by_key_impl_wrapped_configILNS1_25lookback_scan_determinismE0ES3_S9_NS6_6detail15normal_iteratorINS6_10device_ptrIsEEEESG_SG_SG_PmS8_NS6_8equal_toIsEEEE10hipError_tPvRmT2_T3_mT4_T5_T6_T7_T8_P12ihipStream_tbENKUlT_T0_E_clISt17integral_constantIbLb1EES11_EEDaSW_SX_EUlSW_E_NS1_11comp_targetILNS1_3genE4ELNS1_11target_archE910ELNS1_3gpuE8ELNS1_3repE0EEENS1_30default_config_static_selectorELNS0_4arch9wavefront6targetE0EEEvT1_.kd
    .uniform_work_group_size: 1
    .uses_dynamic_stack: false
    .vgpr_count:     0
    .vgpr_spill_count: 0
    .wavefront_size: 32
    .workgroup_processor_mode: 1
  - .args:
      - .offset:         0
        .size:           120
        .value_kind:     by_value
    .group_segment_fixed_size: 0
    .kernarg_segment_align: 8
    .kernarg_segment_size: 120
    .language:       OpenCL C
    .language_version:
      - 2
      - 0
    .max_flat_workgroup_size: 256
    .name:           _ZN7rocprim17ROCPRIM_400000_NS6detail17trampoline_kernelINS0_14default_configENS1_29reduce_by_key_config_selectorIssN6thrust23THRUST_200600_302600_NS4plusIsEEEEZZNS1_33reduce_by_key_impl_wrapped_configILNS1_25lookback_scan_determinismE0ES3_S9_NS6_6detail15normal_iteratorINS6_10device_ptrIsEEEESG_SG_SG_PmS8_NS6_8equal_toIsEEEE10hipError_tPvRmT2_T3_mT4_T5_T6_T7_T8_P12ihipStream_tbENKUlT_T0_E_clISt17integral_constantIbLb1EES11_EEDaSW_SX_EUlSW_E_NS1_11comp_targetILNS1_3genE3ELNS1_11target_archE908ELNS1_3gpuE7ELNS1_3repE0EEENS1_30default_config_static_selectorELNS0_4arch9wavefront6targetE0EEEvT1_
    .private_segment_fixed_size: 0
    .sgpr_count:     0
    .sgpr_spill_count: 0
    .symbol:         _ZN7rocprim17ROCPRIM_400000_NS6detail17trampoline_kernelINS0_14default_configENS1_29reduce_by_key_config_selectorIssN6thrust23THRUST_200600_302600_NS4plusIsEEEEZZNS1_33reduce_by_key_impl_wrapped_configILNS1_25lookback_scan_determinismE0ES3_S9_NS6_6detail15normal_iteratorINS6_10device_ptrIsEEEESG_SG_SG_PmS8_NS6_8equal_toIsEEEE10hipError_tPvRmT2_T3_mT4_T5_T6_T7_T8_P12ihipStream_tbENKUlT_T0_E_clISt17integral_constantIbLb1EES11_EEDaSW_SX_EUlSW_E_NS1_11comp_targetILNS1_3genE3ELNS1_11target_archE908ELNS1_3gpuE7ELNS1_3repE0EEENS1_30default_config_static_selectorELNS0_4arch9wavefront6targetE0EEEvT1_.kd
    .uniform_work_group_size: 1
    .uses_dynamic_stack: false
    .vgpr_count:     0
    .vgpr_spill_count: 0
    .wavefront_size: 32
    .workgroup_processor_mode: 1
  - .args:
      - .offset:         0
        .size:           120
        .value_kind:     by_value
    .group_segment_fixed_size: 0
    .kernarg_segment_align: 8
    .kernarg_segment_size: 120
    .language:       OpenCL C
    .language_version:
      - 2
      - 0
    .max_flat_workgroup_size: 256
    .name:           _ZN7rocprim17ROCPRIM_400000_NS6detail17trampoline_kernelINS0_14default_configENS1_29reduce_by_key_config_selectorIssN6thrust23THRUST_200600_302600_NS4plusIsEEEEZZNS1_33reduce_by_key_impl_wrapped_configILNS1_25lookback_scan_determinismE0ES3_S9_NS6_6detail15normal_iteratorINS6_10device_ptrIsEEEESG_SG_SG_PmS8_NS6_8equal_toIsEEEE10hipError_tPvRmT2_T3_mT4_T5_T6_T7_T8_P12ihipStream_tbENKUlT_T0_E_clISt17integral_constantIbLb1EES11_EEDaSW_SX_EUlSW_E_NS1_11comp_targetILNS1_3genE2ELNS1_11target_archE906ELNS1_3gpuE6ELNS1_3repE0EEENS1_30default_config_static_selectorELNS0_4arch9wavefront6targetE0EEEvT1_
    .private_segment_fixed_size: 0
    .sgpr_count:     0
    .sgpr_spill_count: 0
    .symbol:         _ZN7rocprim17ROCPRIM_400000_NS6detail17trampoline_kernelINS0_14default_configENS1_29reduce_by_key_config_selectorIssN6thrust23THRUST_200600_302600_NS4plusIsEEEEZZNS1_33reduce_by_key_impl_wrapped_configILNS1_25lookback_scan_determinismE0ES3_S9_NS6_6detail15normal_iteratorINS6_10device_ptrIsEEEESG_SG_SG_PmS8_NS6_8equal_toIsEEEE10hipError_tPvRmT2_T3_mT4_T5_T6_T7_T8_P12ihipStream_tbENKUlT_T0_E_clISt17integral_constantIbLb1EES11_EEDaSW_SX_EUlSW_E_NS1_11comp_targetILNS1_3genE2ELNS1_11target_archE906ELNS1_3gpuE6ELNS1_3repE0EEENS1_30default_config_static_selectorELNS0_4arch9wavefront6targetE0EEEvT1_.kd
    .uniform_work_group_size: 1
    .uses_dynamic_stack: false
    .vgpr_count:     0
    .vgpr_spill_count: 0
    .wavefront_size: 32
    .workgroup_processor_mode: 1
  - .args:
      - .offset:         0
        .size:           120
        .value_kind:     by_value
    .group_segment_fixed_size: 0
    .kernarg_segment_align: 8
    .kernarg_segment_size: 120
    .language:       OpenCL C
    .language_version:
      - 2
      - 0
    .max_flat_workgroup_size: 256
    .name:           _ZN7rocprim17ROCPRIM_400000_NS6detail17trampoline_kernelINS0_14default_configENS1_29reduce_by_key_config_selectorIssN6thrust23THRUST_200600_302600_NS4plusIsEEEEZZNS1_33reduce_by_key_impl_wrapped_configILNS1_25lookback_scan_determinismE0ES3_S9_NS6_6detail15normal_iteratorINS6_10device_ptrIsEEEESG_SG_SG_PmS8_NS6_8equal_toIsEEEE10hipError_tPvRmT2_T3_mT4_T5_T6_T7_T8_P12ihipStream_tbENKUlT_T0_E_clISt17integral_constantIbLb1EES11_EEDaSW_SX_EUlSW_E_NS1_11comp_targetILNS1_3genE10ELNS1_11target_archE1201ELNS1_3gpuE5ELNS1_3repE0EEENS1_30default_config_static_selectorELNS0_4arch9wavefront6targetE0EEEvT1_
    .private_segment_fixed_size: 0
    .sgpr_count:     0
    .sgpr_spill_count: 0
    .symbol:         _ZN7rocprim17ROCPRIM_400000_NS6detail17trampoline_kernelINS0_14default_configENS1_29reduce_by_key_config_selectorIssN6thrust23THRUST_200600_302600_NS4plusIsEEEEZZNS1_33reduce_by_key_impl_wrapped_configILNS1_25lookback_scan_determinismE0ES3_S9_NS6_6detail15normal_iteratorINS6_10device_ptrIsEEEESG_SG_SG_PmS8_NS6_8equal_toIsEEEE10hipError_tPvRmT2_T3_mT4_T5_T6_T7_T8_P12ihipStream_tbENKUlT_T0_E_clISt17integral_constantIbLb1EES11_EEDaSW_SX_EUlSW_E_NS1_11comp_targetILNS1_3genE10ELNS1_11target_archE1201ELNS1_3gpuE5ELNS1_3repE0EEENS1_30default_config_static_selectorELNS0_4arch9wavefront6targetE0EEEvT1_.kd
    .uniform_work_group_size: 1
    .uses_dynamic_stack: false
    .vgpr_count:     0
    .vgpr_spill_count: 0
    .wavefront_size: 32
    .workgroup_processor_mode: 1
  - .args:
      - .offset:         0
        .size:           120
        .value_kind:     by_value
    .group_segment_fixed_size: 0
    .kernarg_segment_align: 8
    .kernarg_segment_size: 120
    .language:       OpenCL C
    .language_version:
      - 2
      - 0
    .max_flat_workgroup_size: 256
    .name:           _ZN7rocprim17ROCPRIM_400000_NS6detail17trampoline_kernelINS0_14default_configENS1_29reduce_by_key_config_selectorIssN6thrust23THRUST_200600_302600_NS4plusIsEEEEZZNS1_33reduce_by_key_impl_wrapped_configILNS1_25lookback_scan_determinismE0ES3_S9_NS6_6detail15normal_iteratorINS6_10device_ptrIsEEEESG_SG_SG_PmS8_NS6_8equal_toIsEEEE10hipError_tPvRmT2_T3_mT4_T5_T6_T7_T8_P12ihipStream_tbENKUlT_T0_E_clISt17integral_constantIbLb1EES11_EEDaSW_SX_EUlSW_E_NS1_11comp_targetILNS1_3genE10ELNS1_11target_archE1200ELNS1_3gpuE4ELNS1_3repE0EEENS1_30default_config_static_selectorELNS0_4arch9wavefront6targetE0EEEvT1_
    .private_segment_fixed_size: 0
    .sgpr_count:     0
    .sgpr_spill_count: 0
    .symbol:         _ZN7rocprim17ROCPRIM_400000_NS6detail17trampoline_kernelINS0_14default_configENS1_29reduce_by_key_config_selectorIssN6thrust23THRUST_200600_302600_NS4plusIsEEEEZZNS1_33reduce_by_key_impl_wrapped_configILNS1_25lookback_scan_determinismE0ES3_S9_NS6_6detail15normal_iteratorINS6_10device_ptrIsEEEESG_SG_SG_PmS8_NS6_8equal_toIsEEEE10hipError_tPvRmT2_T3_mT4_T5_T6_T7_T8_P12ihipStream_tbENKUlT_T0_E_clISt17integral_constantIbLb1EES11_EEDaSW_SX_EUlSW_E_NS1_11comp_targetILNS1_3genE10ELNS1_11target_archE1200ELNS1_3gpuE4ELNS1_3repE0EEENS1_30default_config_static_selectorELNS0_4arch9wavefront6targetE0EEEvT1_.kd
    .uniform_work_group_size: 1
    .uses_dynamic_stack: false
    .vgpr_count:     0
    .vgpr_spill_count: 0
    .wavefront_size: 32
    .workgroup_processor_mode: 1
  - .args:
      - .offset:         0
        .size:           120
        .value_kind:     by_value
    .group_segment_fixed_size: 7680
    .kernarg_segment_align: 8
    .kernarg_segment_size: 120
    .language:       OpenCL C
    .language_version:
      - 2
      - 0
    .max_flat_workgroup_size: 256
    .name:           _ZN7rocprim17ROCPRIM_400000_NS6detail17trampoline_kernelINS0_14default_configENS1_29reduce_by_key_config_selectorIssN6thrust23THRUST_200600_302600_NS4plusIsEEEEZZNS1_33reduce_by_key_impl_wrapped_configILNS1_25lookback_scan_determinismE0ES3_S9_NS6_6detail15normal_iteratorINS6_10device_ptrIsEEEESG_SG_SG_PmS8_NS6_8equal_toIsEEEE10hipError_tPvRmT2_T3_mT4_T5_T6_T7_T8_P12ihipStream_tbENKUlT_T0_E_clISt17integral_constantIbLb1EES11_EEDaSW_SX_EUlSW_E_NS1_11comp_targetILNS1_3genE9ELNS1_11target_archE1100ELNS1_3gpuE3ELNS1_3repE0EEENS1_30default_config_static_selectorELNS0_4arch9wavefront6targetE0EEEvT1_
    .private_segment_fixed_size: 0
    .sgpr_count:     48
    .sgpr_spill_count: 0
    .symbol:         _ZN7rocprim17ROCPRIM_400000_NS6detail17trampoline_kernelINS0_14default_configENS1_29reduce_by_key_config_selectorIssN6thrust23THRUST_200600_302600_NS4plusIsEEEEZZNS1_33reduce_by_key_impl_wrapped_configILNS1_25lookback_scan_determinismE0ES3_S9_NS6_6detail15normal_iteratorINS6_10device_ptrIsEEEESG_SG_SG_PmS8_NS6_8equal_toIsEEEE10hipError_tPvRmT2_T3_mT4_T5_T6_T7_T8_P12ihipStream_tbENKUlT_T0_E_clISt17integral_constantIbLb1EES11_EEDaSW_SX_EUlSW_E_NS1_11comp_targetILNS1_3genE9ELNS1_11target_archE1100ELNS1_3gpuE3ELNS1_3repE0EEENS1_30default_config_static_selectorELNS0_4arch9wavefront6targetE0EEEvT1_.kd
    .uniform_work_group_size: 1
    .uses_dynamic_stack: false
    .vgpr_count:     102
    .vgpr_spill_count: 0
    .wavefront_size: 32
    .workgroup_processor_mode: 1
  - .args:
      - .offset:         0
        .size:           120
        .value_kind:     by_value
    .group_segment_fixed_size: 0
    .kernarg_segment_align: 8
    .kernarg_segment_size: 120
    .language:       OpenCL C
    .language_version:
      - 2
      - 0
    .max_flat_workgroup_size: 256
    .name:           _ZN7rocprim17ROCPRIM_400000_NS6detail17trampoline_kernelINS0_14default_configENS1_29reduce_by_key_config_selectorIssN6thrust23THRUST_200600_302600_NS4plusIsEEEEZZNS1_33reduce_by_key_impl_wrapped_configILNS1_25lookback_scan_determinismE0ES3_S9_NS6_6detail15normal_iteratorINS6_10device_ptrIsEEEESG_SG_SG_PmS8_NS6_8equal_toIsEEEE10hipError_tPvRmT2_T3_mT4_T5_T6_T7_T8_P12ihipStream_tbENKUlT_T0_E_clISt17integral_constantIbLb1EES11_EEDaSW_SX_EUlSW_E_NS1_11comp_targetILNS1_3genE8ELNS1_11target_archE1030ELNS1_3gpuE2ELNS1_3repE0EEENS1_30default_config_static_selectorELNS0_4arch9wavefront6targetE0EEEvT1_
    .private_segment_fixed_size: 0
    .sgpr_count:     0
    .sgpr_spill_count: 0
    .symbol:         _ZN7rocprim17ROCPRIM_400000_NS6detail17trampoline_kernelINS0_14default_configENS1_29reduce_by_key_config_selectorIssN6thrust23THRUST_200600_302600_NS4plusIsEEEEZZNS1_33reduce_by_key_impl_wrapped_configILNS1_25lookback_scan_determinismE0ES3_S9_NS6_6detail15normal_iteratorINS6_10device_ptrIsEEEESG_SG_SG_PmS8_NS6_8equal_toIsEEEE10hipError_tPvRmT2_T3_mT4_T5_T6_T7_T8_P12ihipStream_tbENKUlT_T0_E_clISt17integral_constantIbLb1EES11_EEDaSW_SX_EUlSW_E_NS1_11comp_targetILNS1_3genE8ELNS1_11target_archE1030ELNS1_3gpuE2ELNS1_3repE0EEENS1_30default_config_static_selectorELNS0_4arch9wavefront6targetE0EEEvT1_.kd
    .uniform_work_group_size: 1
    .uses_dynamic_stack: false
    .vgpr_count:     0
    .vgpr_spill_count: 0
    .wavefront_size: 32
    .workgroup_processor_mode: 1
  - .args:
      - .address_space:  global
        .offset:         0
        .size:           8
        .value_kind:     global_buffer
      - .offset:         8
        .size:           4
        .value_kind:     by_value
      - .offset:         12
        .size:           1
        .value_kind:     by_value
      - .offset:         16
        .size:           4
        .value_kind:     by_value
      - .address_space:  global
        .offset:         24
        .size:           8
        .value_kind:     global_buffer
      - .address_space:  global
        .offset:         32
        .size:           8
        .value_kind:     global_buffer
      - .offset:         40
        .size:           1
        .value_kind:     by_value
      - .offset:         48
        .size:           4
        .value_kind:     hidden_block_count_x
      - .offset:         52
        .size:           4
        .value_kind:     hidden_block_count_y
      - .offset:         56
        .size:           4
        .value_kind:     hidden_block_count_z
      - .offset:         60
        .size:           2
        .value_kind:     hidden_group_size_x
      - .offset:         62
        .size:           2
        .value_kind:     hidden_group_size_y
      - .offset:         64
        .size:           2
        .value_kind:     hidden_group_size_z
      - .offset:         66
        .size:           2
        .value_kind:     hidden_remainder_x
      - .offset:         68
        .size:           2
        .value_kind:     hidden_remainder_y
      - .offset:         70
        .size:           2
        .value_kind:     hidden_remainder_z
      - .offset:         88
        .size:           8
        .value_kind:     hidden_global_offset_x
      - .offset:         96
        .size:           8
        .value_kind:     hidden_global_offset_y
      - .offset:         104
        .size:           8
        .value_kind:     hidden_global_offset_z
      - .offset:         112
        .size:           2
        .value_kind:     hidden_grid_dims
    .group_segment_fixed_size: 0
    .kernarg_segment_align: 8
    .kernarg_segment_size: 304
    .language:       OpenCL C
    .language_version:
      - 2
      - 0
    .max_flat_workgroup_size: 256
    .name:           _ZN7rocprim17ROCPRIM_400000_NS6detail25reduce_by_key_init_kernelINS1_19lookback_scan_stateINS0_5tupleIJjsEEELb1ELb1EEEsNS1_16block_id_wrapperIjLb0EEEEEvT_jbjPmPT0_T1_
    .private_segment_fixed_size: 0
    .sgpr_count:     18
    .sgpr_spill_count: 0
    .symbol:         _ZN7rocprim17ROCPRIM_400000_NS6detail25reduce_by_key_init_kernelINS1_19lookback_scan_stateINS0_5tupleIJjsEEELb1ELb1EEEsNS1_16block_id_wrapperIjLb0EEEEEvT_jbjPmPT0_T1_.kd
    .uniform_work_group_size: 1
    .uses_dynamic_stack: false
    .vgpr_count:     9
    .vgpr_spill_count: 0
    .wavefront_size: 32
    .workgroup_processor_mode: 1
  - .args:
      - .offset:         0
        .size:           120
        .value_kind:     by_value
    .group_segment_fixed_size: 0
    .kernarg_segment_align: 8
    .kernarg_segment_size: 120
    .language:       OpenCL C
    .language_version:
      - 2
      - 0
    .max_flat_workgroup_size: 256
    .name:           _ZN7rocprim17ROCPRIM_400000_NS6detail17trampoline_kernelINS0_14default_configENS1_29reduce_by_key_config_selectorIssN6thrust23THRUST_200600_302600_NS4plusIsEEEEZZNS1_33reduce_by_key_impl_wrapped_configILNS1_25lookback_scan_determinismE0ES3_S9_NS6_6detail15normal_iteratorINS6_10device_ptrIsEEEESG_SG_SG_PmS8_NS6_8equal_toIsEEEE10hipError_tPvRmT2_T3_mT4_T5_T6_T7_T8_P12ihipStream_tbENKUlT_T0_E_clISt17integral_constantIbLb1EES10_IbLb0EEEEDaSW_SX_EUlSW_E_NS1_11comp_targetILNS1_3genE0ELNS1_11target_archE4294967295ELNS1_3gpuE0ELNS1_3repE0EEENS1_30default_config_static_selectorELNS0_4arch9wavefront6targetE0EEEvT1_
    .private_segment_fixed_size: 0
    .sgpr_count:     0
    .sgpr_spill_count: 0
    .symbol:         _ZN7rocprim17ROCPRIM_400000_NS6detail17trampoline_kernelINS0_14default_configENS1_29reduce_by_key_config_selectorIssN6thrust23THRUST_200600_302600_NS4plusIsEEEEZZNS1_33reduce_by_key_impl_wrapped_configILNS1_25lookback_scan_determinismE0ES3_S9_NS6_6detail15normal_iteratorINS6_10device_ptrIsEEEESG_SG_SG_PmS8_NS6_8equal_toIsEEEE10hipError_tPvRmT2_T3_mT4_T5_T6_T7_T8_P12ihipStream_tbENKUlT_T0_E_clISt17integral_constantIbLb1EES10_IbLb0EEEEDaSW_SX_EUlSW_E_NS1_11comp_targetILNS1_3genE0ELNS1_11target_archE4294967295ELNS1_3gpuE0ELNS1_3repE0EEENS1_30default_config_static_selectorELNS0_4arch9wavefront6targetE0EEEvT1_.kd
    .uniform_work_group_size: 1
    .uses_dynamic_stack: false
    .vgpr_count:     0
    .vgpr_spill_count: 0
    .wavefront_size: 32
    .workgroup_processor_mode: 1
  - .args:
      - .offset:         0
        .size:           120
        .value_kind:     by_value
    .group_segment_fixed_size: 0
    .kernarg_segment_align: 8
    .kernarg_segment_size: 120
    .language:       OpenCL C
    .language_version:
      - 2
      - 0
    .max_flat_workgroup_size: 256
    .name:           _ZN7rocprim17ROCPRIM_400000_NS6detail17trampoline_kernelINS0_14default_configENS1_29reduce_by_key_config_selectorIssN6thrust23THRUST_200600_302600_NS4plusIsEEEEZZNS1_33reduce_by_key_impl_wrapped_configILNS1_25lookback_scan_determinismE0ES3_S9_NS6_6detail15normal_iteratorINS6_10device_ptrIsEEEESG_SG_SG_PmS8_NS6_8equal_toIsEEEE10hipError_tPvRmT2_T3_mT4_T5_T6_T7_T8_P12ihipStream_tbENKUlT_T0_E_clISt17integral_constantIbLb1EES10_IbLb0EEEEDaSW_SX_EUlSW_E_NS1_11comp_targetILNS1_3genE5ELNS1_11target_archE942ELNS1_3gpuE9ELNS1_3repE0EEENS1_30default_config_static_selectorELNS0_4arch9wavefront6targetE0EEEvT1_
    .private_segment_fixed_size: 0
    .sgpr_count:     0
    .sgpr_spill_count: 0
    .symbol:         _ZN7rocprim17ROCPRIM_400000_NS6detail17trampoline_kernelINS0_14default_configENS1_29reduce_by_key_config_selectorIssN6thrust23THRUST_200600_302600_NS4plusIsEEEEZZNS1_33reduce_by_key_impl_wrapped_configILNS1_25lookback_scan_determinismE0ES3_S9_NS6_6detail15normal_iteratorINS6_10device_ptrIsEEEESG_SG_SG_PmS8_NS6_8equal_toIsEEEE10hipError_tPvRmT2_T3_mT4_T5_T6_T7_T8_P12ihipStream_tbENKUlT_T0_E_clISt17integral_constantIbLb1EES10_IbLb0EEEEDaSW_SX_EUlSW_E_NS1_11comp_targetILNS1_3genE5ELNS1_11target_archE942ELNS1_3gpuE9ELNS1_3repE0EEENS1_30default_config_static_selectorELNS0_4arch9wavefront6targetE0EEEvT1_.kd
    .uniform_work_group_size: 1
    .uses_dynamic_stack: false
    .vgpr_count:     0
    .vgpr_spill_count: 0
    .wavefront_size: 32
    .workgroup_processor_mode: 1
  - .args:
      - .offset:         0
        .size:           120
        .value_kind:     by_value
    .group_segment_fixed_size: 0
    .kernarg_segment_align: 8
    .kernarg_segment_size: 120
    .language:       OpenCL C
    .language_version:
      - 2
      - 0
    .max_flat_workgroup_size: 256
    .name:           _ZN7rocprim17ROCPRIM_400000_NS6detail17trampoline_kernelINS0_14default_configENS1_29reduce_by_key_config_selectorIssN6thrust23THRUST_200600_302600_NS4plusIsEEEEZZNS1_33reduce_by_key_impl_wrapped_configILNS1_25lookback_scan_determinismE0ES3_S9_NS6_6detail15normal_iteratorINS6_10device_ptrIsEEEESG_SG_SG_PmS8_NS6_8equal_toIsEEEE10hipError_tPvRmT2_T3_mT4_T5_T6_T7_T8_P12ihipStream_tbENKUlT_T0_E_clISt17integral_constantIbLb1EES10_IbLb0EEEEDaSW_SX_EUlSW_E_NS1_11comp_targetILNS1_3genE4ELNS1_11target_archE910ELNS1_3gpuE8ELNS1_3repE0EEENS1_30default_config_static_selectorELNS0_4arch9wavefront6targetE0EEEvT1_
    .private_segment_fixed_size: 0
    .sgpr_count:     0
    .sgpr_spill_count: 0
    .symbol:         _ZN7rocprim17ROCPRIM_400000_NS6detail17trampoline_kernelINS0_14default_configENS1_29reduce_by_key_config_selectorIssN6thrust23THRUST_200600_302600_NS4plusIsEEEEZZNS1_33reduce_by_key_impl_wrapped_configILNS1_25lookback_scan_determinismE0ES3_S9_NS6_6detail15normal_iteratorINS6_10device_ptrIsEEEESG_SG_SG_PmS8_NS6_8equal_toIsEEEE10hipError_tPvRmT2_T3_mT4_T5_T6_T7_T8_P12ihipStream_tbENKUlT_T0_E_clISt17integral_constantIbLb1EES10_IbLb0EEEEDaSW_SX_EUlSW_E_NS1_11comp_targetILNS1_3genE4ELNS1_11target_archE910ELNS1_3gpuE8ELNS1_3repE0EEENS1_30default_config_static_selectorELNS0_4arch9wavefront6targetE0EEEvT1_.kd
    .uniform_work_group_size: 1
    .uses_dynamic_stack: false
    .vgpr_count:     0
    .vgpr_spill_count: 0
    .wavefront_size: 32
    .workgroup_processor_mode: 1
  - .args:
      - .offset:         0
        .size:           120
        .value_kind:     by_value
    .group_segment_fixed_size: 0
    .kernarg_segment_align: 8
    .kernarg_segment_size: 120
    .language:       OpenCL C
    .language_version:
      - 2
      - 0
    .max_flat_workgroup_size: 256
    .name:           _ZN7rocprim17ROCPRIM_400000_NS6detail17trampoline_kernelINS0_14default_configENS1_29reduce_by_key_config_selectorIssN6thrust23THRUST_200600_302600_NS4plusIsEEEEZZNS1_33reduce_by_key_impl_wrapped_configILNS1_25lookback_scan_determinismE0ES3_S9_NS6_6detail15normal_iteratorINS6_10device_ptrIsEEEESG_SG_SG_PmS8_NS6_8equal_toIsEEEE10hipError_tPvRmT2_T3_mT4_T5_T6_T7_T8_P12ihipStream_tbENKUlT_T0_E_clISt17integral_constantIbLb1EES10_IbLb0EEEEDaSW_SX_EUlSW_E_NS1_11comp_targetILNS1_3genE3ELNS1_11target_archE908ELNS1_3gpuE7ELNS1_3repE0EEENS1_30default_config_static_selectorELNS0_4arch9wavefront6targetE0EEEvT1_
    .private_segment_fixed_size: 0
    .sgpr_count:     0
    .sgpr_spill_count: 0
    .symbol:         _ZN7rocprim17ROCPRIM_400000_NS6detail17trampoline_kernelINS0_14default_configENS1_29reduce_by_key_config_selectorIssN6thrust23THRUST_200600_302600_NS4plusIsEEEEZZNS1_33reduce_by_key_impl_wrapped_configILNS1_25lookback_scan_determinismE0ES3_S9_NS6_6detail15normal_iteratorINS6_10device_ptrIsEEEESG_SG_SG_PmS8_NS6_8equal_toIsEEEE10hipError_tPvRmT2_T3_mT4_T5_T6_T7_T8_P12ihipStream_tbENKUlT_T0_E_clISt17integral_constantIbLb1EES10_IbLb0EEEEDaSW_SX_EUlSW_E_NS1_11comp_targetILNS1_3genE3ELNS1_11target_archE908ELNS1_3gpuE7ELNS1_3repE0EEENS1_30default_config_static_selectorELNS0_4arch9wavefront6targetE0EEEvT1_.kd
    .uniform_work_group_size: 1
    .uses_dynamic_stack: false
    .vgpr_count:     0
    .vgpr_spill_count: 0
    .wavefront_size: 32
    .workgroup_processor_mode: 1
  - .args:
      - .offset:         0
        .size:           120
        .value_kind:     by_value
    .group_segment_fixed_size: 0
    .kernarg_segment_align: 8
    .kernarg_segment_size: 120
    .language:       OpenCL C
    .language_version:
      - 2
      - 0
    .max_flat_workgroup_size: 256
    .name:           _ZN7rocprim17ROCPRIM_400000_NS6detail17trampoline_kernelINS0_14default_configENS1_29reduce_by_key_config_selectorIssN6thrust23THRUST_200600_302600_NS4plusIsEEEEZZNS1_33reduce_by_key_impl_wrapped_configILNS1_25lookback_scan_determinismE0ES3_S9_NS6_6detail15normal_iteratorINS6_10device_ptrIsEEEESG_SG_SG_PmS8_NS6_8equal_toIsEEEE10hipError_tPvRmT2_T3_mT4_T5_T6_T7_T8_P12ihipStream_tbENKUlT_T0_E_clISt17integral_constantIbLb1EES10_IbLb0EEEEDaSW_SX_EUlSW_E_NS1_11comp_targetILNS1_3genE2ELNS1_11target_archE906ELNS1_3gpuE6ELNS1_3repE0EEENS1_30default_config_static_selectorELNS0_4arch9wavefront6targetE0EEEvT1_
    .private_segment_fixed_size: 0
    .sgpr_count:     0
    .sgpr_spill_count: 0
    .symbol:         _ZN7rocprim17ROCPRIM_400000_NS6detail17trampoline_kernelINS0_14default_configENS1_29reduce_by_key_config_selectorIssN6thrust23THRUST_200600_302600_NS4plusIsEEEEZZNS1_33reduce_by_key_impl_wrapped_configILNS1_25lookback_scan_determinismE0ES3_S9_NS6_6detail15normal_iteratorINS6_10device_ptrIsEEEESG_SG_SG_PmS8_NS6_8equal_toIsEEEE10hipError_tPvRmT2_T3_mT4_T5_T6_T7_T8_P12ihipStream_tbENKUlT_T0_E_clISt17integral_constantIbLb1EES10_IbLb0EEEEDaSW_SX_EUlSW_E_NS1_11comp_targetILNS1_3genE2ELNS1_11target_archE906ELNS1_3gpuE6ELNS1_3repE0EEENS1_30default_config_static_selectorELNS0_4arch9wavefront6targetE0EEEvT1_.kd
    .uniform_work_group_size: 1
    .uses_dynamic_stack: false
    .vgpr_count:     0
    .vgpr_spill_count: 0
    .wavefront_size: 32
    .workgroup_processor_mode: 1
  - .args:
      - .offset:         0
        .size:           120
        .value_kind:     by_value
    .group_segment_fixed_size: 0
    .kernarg_segment_align: 8
    .kernarg_segment_size: 120
    .language:       OpenCL C
    .language_version:
      - 2
      - 0
    .max_flat_workgroup_size: 256
    .name:           _ZN7rocprim17ROCPRIM_400000_NS6detail17trampoline_kernelINS0_14default_configENS1_29reduce_by_key_config_selectorIssN6thrust23THRUST_200600_302600_NS4plusIsEEEEZZNS1_33reduce_by_key_impl_wrapped_configILNS1_25lookback_scan_determinismE0ES3_S9_NS6_6detail15normal_iteratorINS6_10device_ptrIsEEEESG_SG_SG_PmS8_NS6_8equal_toIsEEEE10hipError_tPvRmT2_T3_mT4_T5_T6_T7_T8_P12ihipStream_tbENKUlT_T0_E_clISt17integral_constantIbLb1EES10_IbLb0EEEEDaSW_SX_EUlSW_E_NS1_11comp_targetILNS1_3genE10ELNS1_11target_archE1201ELNS1_3gpuE5ELNS1_3repE0EEENS1_30default_config_static_selectorELNS0_4arch9wavefront6targetE0EEEvT1_
    .private_segment_fixed_size: 0
    .sgpr_count:     0
    .sgpr_spill_count: 0
    .symbol:         _ZN7rocprim17ROCPRIM_400000_NS6detail17trampoline_kernelINS0_14default_configENS1_29reduce_by_key_config_selectorIssN6thrust23THRUST_200600_302600_NS4plusIsEEEEZZNS1_33reduce_by_key_impl_wrapped_configILNS1_25lookback_scan_determinismE0ES3_S9_NS6_6detail15normal_iteratorINS6_10device_ptrIsEEEESG_SG_SG_PmS8_NS6_8equal_toIsEEEE10hipError_tPvRmT2_T3_mT4_T5_T6_T7_T8_P12ihipStream_tbENKUlT_T0_E_clISt17integral_constantIbLb1EES10_IbLb0EEEEDaSW_SX_EUlSW_E_NS1_11comp_targetILNS1_3genE10ELNS1_11target_archE1201ELNS1_3gpuE5ELNS1_3repE0EEENS1_30default_config_static_selectorELNS0_4arch9wavefront6targetE0EEEvT1_.kd
    .uniform_work_group_size: 1
    .uses_dynamic_stack: false
    .vgpr_count:     0
    .vgpr_spill_count: 0
    .wavefront_size: 32
    .workgroup_processor_mode: 1
  - .args:
      - .offset:         0
        .size:           120
        .value_kind:     by_value
    .group_segment_fixed_size: 0
    .kernarg_segment_align: 8
    .kernarg_segment_size: 120
    .language:       OpenCL C
    .language_version:
      - 2
      - 0
    .max_flat_workgroup_size: 256
    .name:           _ZN7rocprim17ROCPRIM_400000_NS6detail17trampoline_kernelINS0_14default_configENS1_29reduce_by_key_config_selectorIssN6thrust23THRUST_200600_302600_NS4plusIsEEEEZZNS1_33reduce_by_key_impl_wrapped_configILNS1_25lookback_scan_determinismE0ES3_S9_NS6_6detail15normal_iteratorINS6_10device_ptrIsEEEESG_SG_SG_PmS8_NS6_8equal_toIsEEEE10hipError_tPvRmT2_T3_mT4_T5_T6_T7_T8_P12ihipStream_tbENKUlT_T0_E_clISt17integral_constantIbLb1EES10_IbLb0EEEEDaSW_SX_EUlSW_E_NS1_11comp_targetILNS1_3genE10ELNS1_11target_archE1200ELNS1_3gpuE4ELNS1_3repE0EEENS1_30default_config_static_selectorELNS0_4arch9wavefront6targetE0EEEvT1_
    .private_segment_fixed_size: 0
    .sgpr_count:     0
    .sgpr_spill_count: 0
    .symbol:         _ZN7rocprim17ROCPRIM_400000_NS6detail17trampoline_kernelINS0_14default_configENS1_29reduce_by_key_config_selectorIssN6thrust23THRUST_200600_302600_NS4plusIsEEEEZZNS1_33reduce_by_key_impl_wrapped_configILNS1_25lookback_scan_determinismE0ES3_S9_NS6_6detail15normal_iteratorINS6_10device_ptrIsEEEESG_SG_SG_PmS8_NS6_8equal_toIsEEEE10hipError_tPvRmT2_T3_mT4_T5_T6_T7_T8_P12ihipStream_tbENKUlT_T0_E_clISt17integral_constantIbLb1EES10_IbLb0EEEEDaSW_SX_EUlSW_E_NS1_11comp_targetILNS1_3genE10ELNS1_11target_archE1200ELNS1_3gpuE4ELNS1_3repE0EEENS1_30default_config_static_selectorELNS0_4arch9wavefront6targetE0EEEvT1_.kd
    .uniform_work_group_size: 1
    .uses_dynamic_stack: false
    .vgpr_count:     0
    .vgpr_spill_count: 0
    .wavefront_size: 32
    .workgroup_processor_mode: 1
  - .args:
      - .offset:         0
        .size:           120
        .value_kind:     by_value
    .group_segment_fixed_size: 7680
    .kernarg_segment_align: 8
    .kernarg_segment_size: 120
    .language:       OpenCL C
    .language_version:
      - 2
      - 0
    .max_flat_workgroup_size: 256
    .name:           _ZN7rocprim17ROCPRIM_400000_NS6detail17trampoline_kernelINS0_14default_configENS1_29reduce_by_key_config_selectorIssN6thrust23THRUST_200600_302600_NS4plusIsEEEEZZNS1_33reduce_by_key_impl_wrapped_configILNS1_25lookback_scan_determinismE0ES3_S9_NS6_6detail15normal_iteratorINS6_10device_ptrIsEEEESG_SG_SG_PmS8_NS6_8equal_toIsEEEE10hipError_tPvRmT2_T3_mT4_T5_T6_T7_T8_P12ihipStream_tbENKUlT_T0_E_clISt17integral_constantIbLb1EES10_IbLb0EEEEDaSW_SX_EUlSW_E_NS1_11comp_targetILNS1_3genE9ELNS1_11target_archE1100ELNS1_3gpuE3ELNS1_3repE0EEENS1_30default_config_static_selectorELNS0_4arch9wavefront6targetE0EEEvT1_
    .private_segment_fixed_size: 0
    .sgpr_count:     48
    .sgpr_spill_count: 0
    .symbol:         _ZN7rocprim17ROCPRIM_400000_NS6detail17trampoline_kernelINS0_14default_configENS1_29reduce_by_key_config_selectorIssN6thrust23THRUST_200600_302600_NS4plusIsEEEEZZNS1_33reduce_by_key_impl_wrapped_configILNS1_25lookback_scan_determinismE0ES3_S9_NS6_6detail15normal_iteratorINS6_10device_ptrIsEEEESG_SG_SG_PmS8_NS6_8equal_toIsEEEE10hipError_tPvRmT2_T3_mT4_T5_T6_T7_T8_P12ihipStream_tbENKUlT_T0_E_clISt17integral_constantIbLb1EES10_IbLb0EEEEDaSW_SX_EUlSW_E_NS1_11comp_targetILNS1_3genE9ELNS1_11target_archE1100ELNS1_3gpuE3ELNS1_3repE0EEENS1_30default_config_static_selectorELNS0_4arch9wavefront6targetE0EEEvT1_.kd
    .uniform_work_group_size: 1
    .uses_dynamic_stack: false
    .vgpr_count:     102
    .vgpr_spill_count: 0
    .wavefront_size: 32
    .workgroup_processor_mode: 1
  - .args:
      - .offset:         0
        .size:           120
        .value_kind:     by_value
    .group_segment_fixed_size: 0
    .kernarg_segment_align: 8
    .kernarg_segment_size: 120
    .language:       OpenCL C
    .language_version:
      - 2
      - 0
    .max_flat_workgroup_size: 256
    .name:           _ZN7rocprim17ROCPRIM_400000_NS6detail17trampoline_kernelINS0_14default_configENS1_29reduce_by_key_config_selectorIssN6thrust23THRUST_200600_302600_NS4plusIsEEEEZZNS1_33reduce_by_key_impl_wrapped_configILNS1_25lookback_scan_determinismE0ES3_S9_NS6_6detail15normal_iteratorINS6_10device_ptrIsEEEESG_SG_SG_PmS8_NS6_8equal_toIsEEEE10hipError_tPvRmT2_T3_mT4_T5_T6_T7_T8_P12ihipStream_tbENKUlT_T0_E_clISt17integral_constantIbLb1EES10_IbLb0EEEEDaSW_SX_EUlSW_E_NS1_11comp_targetILNS1_3genE8ELNS1_11target_archE1030ELNS1_3gpuE2ELNS1_3repE0EEENS1_30default_config_static_selectorELNS0_4arch9wavefront6targetE0EEEvT1_
    .private_segment_fixed_size: 0
    .sgpr_count:     0
    .sgpr_spill_count: 0
    .symbol:         _ZN7rocprim17ROCPRIM_400000_NS6detail17trampoline_kernelINS0_14default_configENS1_29reduce_by_key_config_selectorIssN6thrust23THRUST_200600_302600_NS4plusIsEEEEZZNS1_33reduce_by_key_impl_wrapped_configILNS1_25lookback_scan_determinismE0ES3_S9_NS6_6detail15normal_iteratorINS6_10device_ptrIsEEEESG_SG_SG_PmS8_NS6_8equal_toIsEEEE10hipError_tPvRmT2_T3_mT4_T5_T6_T7_T8_P12ihipStream_tbENKUlT_T0_E_clISt17integral_constantIbLb1EES10_IbLb0EEEEDaSW_SX_EUlSW_E_NS1_11comp_targetILNS1_3genE8ELNS1_11target_archE1030ELNS1_3gpuE2ELNS1_3repE0EEENS1_30default_config_static_selectorELNS0_4arch9wavefront6targetE0EEEvT1_.kd
    .uniform_work_group_size: 1
    .uses_dynamic_stack: false
    .vgpr_count:     0
    .vgpr_spill_count: 0
    .wavefront_size: 32
    .workgroup_processor_mode: 1
  - .args:
      - .address_space:  global
        .offset:         0
        .size:           8
        .value_kind:     global_buffer
      - .offset:         8
        .size:           4
        .value_kind:     by_value
      - .offset:         12
        .size:           1
        .value_kind:     by_value
      - .offset:         16
        .size:           4
        .value_kind:     by_value
      - .address_space:  global
        .offset:         24
        .size:           8
        .value_kind:     global_buffer
      - .address_space:  global
        .offset:         32
        .size:           8
        .value_kind:     global_buffer
      - .address_space:  global
        .offset:         40
        .size:           8
        .value_kind:     global_buffer
      - .offset:         48
        .size:           4
        .value_kind:     hidden_block_count_x
      - .offset:         52
        .size:           4
        .value_kind:     hidden_block_count_y
      - .offset:         56
        .size:           4
        .value_kind:     hidden_block_count_z
      - .offset:         60
        .size:           2
        .value_kind:     hidden_group_size_x
      - .offset:         62
        .size:           2
        .value_kind:     hidden_group_size_y
      - .offset:         64
        .size:           2
        .value_kind:     hidden_group_size_z
      - .offset:         66
        .size:           2
        .value_kind:     hidden_remainder_x
      - .offset:         68
        .size:           2
        .value_kind:     hidden_remainder_y
      - .offset:         70
        .size:           2
        .value_kind:     hidden_remainder_z
      - .offset:         88
        .size:           8
        .value_kind:     hidden_global_offset_x
      - .offset:         96
        .size:           8
        .value_kind:     hidden_global_offset_y
      - .offset:         104
        .size:           8
        .value_kind:     hidden_global_offset_z
      - .offset:         112
        .size:           2
        .value_kind:     hidden_grid_dims
    .group_segment_fixed_size: 0
    .kernarg_segment_align: 8
    .kernarg_segment_size: 304
    .language:       OpenCL C
    .language_version:
      - 2
      - 0
    .max_flat_workgroup_size: 256
    .name:           _ZN7rocprim17ROCPRIM_400000_NS6detail25reduce_by_key_init_kernelINS1_19lookback_scan_stateINS0_5tupleIJjsEEELb0ELb1EEEsNS1_16block_id_wrapperIjLb1EEEEEvT_jbjPmPT0_T1_
    .private_segment_fixed_size: 0
    .sgpr_count:     18
    .sgpr_spill_count: 0
    .symbol:         _ZN7rocprim17ROCPRIM_400000_NS6detail25reduce_by_key_init_kernelINS1_19lookback_scan_stateINS0_5tupleIJjsEEELb0ELb1EEEsNS1_16block_id_wrapperIjLb1EEEEEvT_jbjPmPT0_T1_.kd
    .uniform_work_group_size: 1
    .uses_dynamic_stack: false
    .vgpr_count:     9
    .vgpr_spill_count: 0
    .wavefront_size: 32
    .workgroup_processor_mode: 1
  - .args:
      - .offset:         0
        .size:           120
        .value_kind:     by_value
    .group_segment_fixed_size: 0
    .kernarg_segment_align: 8
    .kernarg_segment_size: 120
    .language:       OpenCL C
    .language_version:
      - 2
      - 0
    .max_flat_workgroup_size: 256
    .name:           _ZN7rocprim17ROCPRIM_400000_NS6detail17trampoline_kernelINS0_14default_configENS1_29reduce_by_key_config_selectorIssN6thrust23THRUST_200600_302600_NS4plusIsEEEEZZNS1_33reduce_by_key_impl_wrapped_configILNS1_25lookback_scan_determinismE0ES3_S9_NS6_6detail15normal_iteratorINS6_10device_ptrIsEEEESG_SG_SG_PmS8_NS6_8equal_toIsEEEE10hipError_tPvRmT2_T3_mT4_T5_T6_T7_T8_P12ihipStream_tbENKUlT_T0_E_clISt17integral_constantIbLb0EES10_IbLb1EEEEDaSW_SX_EUlSW_E_NS1_11comp_targetILNS1_3genE0ELNS1_11target_archE4294967295ELNS1_3gpuE0ELNS1_3repE0EEENS1_30default_config_static_selectorELNS0_4arch9wavefront6targetE0EEEvT1_
    .private_segment_fixed_size: 0
    .sgpr_count:     0
    .sgpr_spill_count: 0
    .symbol:         _ZN7rocprim17ROCPRIM_400000_NS6detail17trampoline_kernelINS0_14default_configENS1_29reduce_by_key_config_selectorIssN6thrust23THRUST_200600_302600_NS4plusIsEEEEZZNS1_33reduce_by_key_impl_wrapped_configILNS1_25lookback_scan_determinismE0ES3_S9_NS6_6detail15normal_iteratorINS6_10device_ptrIsEEEESG_SG_SG_PmS8_NS6_8equal_toIsEEEE10hipError_tPvRmT2_T3_mT4_T5_T6_T7_T8_P12ihipStream_tbENKUlT_T0_E_clISt17integral_constantIbLb0EES10_IbLb1EEEEDaSW_SX_EUlSW_E_NS1_11comp_targetILNS1_3genE0ELNS1_11target_archE4294967295ELNS1_3gpuE0ELNS1_3repE0EEENS1_30default_config_static_selectorELNS0_4arch9wavefront6targetE0EEEvT1_.kd
    .uniform_work_group_size: 1
    .uses_dynamic_stack: false
    .vgpr_count:     0
    .vgpr_spill_count: 0
    .wavefront_size: 32
    .workgroup_processor_mode: 1
  - .args:
      - .offset:         0
        .size:           120
        .value_kind:     by_value
    .group_segment_fixed_size: 0
    .kernarg_segment_align: 8
    .kernarg_segment_size: 120
    .language:       OpenCL C
    .language_version:
      - 2
      - 0
    .max_flat_workgroup_size: 256
    .name:           _ZN7rocprim17ROCPRIM_400000_NS6detail17trampoline_kernelINS0_14default_configENS1_29reduce_by_key_config_selectorIssN6thrust23THRUST_200600_302600_NS4plusIsEEEEZZNS1_33reduce_by_key_impl_wrapped_configILNS1_25lookback_scan_determinismE0ES3_S9_NS6_6detail15normal_iteratorINS6_10device_ptrIsEEEESG_SG_SG_PmS8_NS6_8equal_toIsEEEE10hipError_tPvRmT2_T3_mT4_T5_T6_T7_T8_P12ihipStream_tbENKUlT_T0_E_clISt17integral_constantIbLb0EES10_IbLb1EEEEDaSW_SX_EUlSW_E_NS1_11comp_targetILNS1_3genE5ELNS1_11target_archE942ELNS1_3gpuE9ELNS1_3repE0EEENS1_30default_config_static_selectorELNS0_4arch9wavefront6targetE0EEEvT1_
    .private_segment_fixed_size: 0
    .sgpr_count:     0
    .sgpr_spill_count: 0
    .symbol:         _ZN7rocprim17ROCPRIM_400000_NS6detail17trampoline_kernelINS0_14default_configENS1_29reduce_by_key_config_selectorIssN6thrust23THRUST_200600_302600_NS4plusIsEEEEZZNS1_33reduce_by_key_impl_wrapped_configILNS1_25lookback_scan_determinismE0ES3_S9_NS6_6detail15normal_iteratorINS6_10device_ptrIsEEEESG_SG_SG_PmS8_NS6_8equal_toIsEEEE10hipError_tPvRmT2_T3_mT4_T5_T6_T7_T8_P12ihipStream_tbENKUlT_T0_E_clISt17integral_constantIbLb0EES10_IbLb1EEEEDaSW_SX_EUlSW_E_NS1_11comp_targetILNS1_3genE5ELNS1_11target_archE942ELNS1_3gpuE9ELNS1_3repE0EEENS1_30default_config_static_selectorELNS0_4arch9wavefront6targetE0EEEvT1_.kd
    .uniform_work_group_size: 1
    .uses_dynamic_stack: false
    .vgpr_count:     0
    .vgpr_spill_count: 0
    .wavefront_size: 32
    .workgroup_processor_mode: 1
  - .args:
      - .offset:         0
        .size:           120
        .value_kind:     by_value
    .group_segment_fixed_size: 0
    .kernarg_segment_align: 8
    .kernarg_segment_size: 120
    .language:       OpenCL C
    .language_version:
      - 2
      - 0
    .max_flat_workgroup_size: 256
    .name:           _ZN7rocprim17ROCPRIM_400000_NS6detail17trampoline_kernelINS0_14default_configENS1_29reduce_by_key_config_selectorIssN6thrust23THRUST_200600_302600_NS4plusIsEEEEZZNS1_33reduce_by_key_impl_wrapped_configILNS1_25lookback_scan_determinismE0ES3_S9_NS6_6detail15normal_iteratorINS6_10device_ptrIsEEEESG_SG_SG_PmS8_NS6_8equal_toIsEEEE10hipError_tPvRmT2_T3_mT4_T5_T6_T7_T8_P12ihipStream_tbENKUlT_T0_E_clISt17integral_constantIbLb0EES10_IbLb1EEEEDaSW_SX_EUlSW_E_NS1_11comp_targetILNS1_3genE4ELNS1_11target_archE910ELNS1_3gpuE8ELNS1_3repE0EEENS1_30default_config_static_selectorELNS0_4arch9wavefront6targetE0EEEvT1_
    .private_segment_fixed_size: 0
    .sgpr_count:     0
    .sgpr_spill_count: 0
    .symbol:         _ZN7rocprim17ROCPRIM_400000_NS6detail17trampoline_kernelINS0_14default_configENS1_29reduce_by_key_config_selectorIssN6thrust23THRUST_200600_302600_NS4plusIsEEEEZZNS1_33reduce_by_key_impl_wrapped_configILNS1_25lookback_scan_determinismE0ES3_S9_NS6_6detail15normal_iteratorINS6_10device_ptrIsEEEESG_SG_SG_PmS8_NS6_8equal_toIsEEEE10hipError_tPvRmT2_T3_mT4_T5_T6_T7_T8_P12ihipStream_tbENKUlT_T0_E_clISt17integral_constantIbLb0EES10_IbLb1EEEEDaSW_SX_EUlSW_E_NS1_11comp_targetILNS1_3genE4ELNS1_11target_archE910ELNS1_3gpuE8ELNS1_3repE0EEENS1_30default_config_static_selectorELNS0_4arch9wavefront6targetE0EEEvT1_.kd
    .uniform_work_group_size: 1
    .uses_dynamic_stack: false
    .vgpr_count:     0
    .vgpr_spill_count: 0
    .wavefront_size: 32
    .workgroup_processor_mode: 1
  - .args:
      - .offset:         0
        .size:           120
        .value_kind:     by_value
    .group_segment_fixed_size: 0
    .kernarg_segment_align: 8
    .kernarg_segment_size: 120
    .language:       OpenCL C
    .language_version:
      - 2
      - 0
    .max_flat_workgroup_size: 256
    .name:           _ZN7rocprim17ROCPRIM_400000_NS6detail17trampoline_kernelINS0_14default_configENS1_29reduce_by_key_config_selectorIssN6thrust23THRUST_200600_302600_NS4plusIsEEEEZZNS1_33reduce_by_key_impl_wrapped_configILNS1_25lookback_scan_determinismE0ES3_S9_NS6_6detail15normal_iteratorINS6_10device_ptrIsEEEESG_SG_SG_PmS8_NS6_8equal_toIsEEEE10hipError_tPvRmT2_T3_mT4_T5_T6_T7_T8_P12ihipStream_tbENKUlT_T0_E_clISt17integral_constantIbLb0EES10_IbLb1EEEEDaSW_SX_EUlSW_E_NS1_11comp_targetILNS1_3genE3ELNS1_11target_archE908ELNS1_3gpuE7ELNS1_3repE0EEENS1_30default_config_static_selectorELNS0_4arch9wavefront6targetE0EEEvT1_
    .private_segment_fixed_size: 0
    .sgpr_count:     0
    .sgpr_spill_count: 0
    .symbol:         _ZN7rocprim17ROCPRIM_400000_NS6detail17trampoline_kernelINS0_14default_configENS1_29reduce_by_key_config_selectorIssN6thrust23THRUST_200600_302600_NS4plusIsEEEEZZNS1_33reduce_by_key_impl_wrapped_configILNS1_25lookback_scan_determinismE0ES3_S9_NS6_6detail15normal_iteratorINS6_10device_ptrIsEEEESG_SG_SG_PmS8_NS6_8equal_toIsEEEE10hipError_tPvRmT2_T3_mT4_T5_T6_T7_T8_P12ihipStream_tbENKUlT_T0_E_clISt17integral_constantIbLb0EES10_IbLb1EEEEDaSW_SX_EUlSW_E_NS1_11comp_targetILNS1_3genE3ELNS1_11target_archE908ELNS1_3gpuE7ELNS1_3repE0EEENS1_30default_config_static_selectorELNS0_4arch9wavefront6targetE0EEEvT1_.kd
    .uniform_work_group_size: 1
    .uses_dynamic_stack: false
    .vgpr_count:     0
    .vgpr_spill_count: 0
    .wavefront_size: 32
    .workgroup_processor_mode: 1
  - .args:
      - .offset:         0
        .size:           120
        .value_kind:     by_value
    .group_segment_fixed_size: 0
    .kernarg_segment_align: 8
    .kernarg_segment_size: 120
    .language:       OpenCL C
    .language_version:
      - 2
      - 0
    .max_flat_workgroup_size: 256
    .name:           _ZN7rocprim17ROCPRIM_400000_NS6detail17trampoline_kernelINS0_14default_configENS1_29reduce_by_key_config_selectorIssN6thrust23THRUST_200600_302600_NS4plusIsEEEEZZNS1_33reduce_by_key_impl_wrapped_configILNS1_25lookback_scan_determinismE0ES3_S9_NS6_6detail15normal_iteratorINS6_10device_ptrIsEEEESG_SG_SG_PmS8_NS6_8equal_toIsEEEE10hipError_tPvRmT2_T3_mT4_T5_T6_T7_T8_P12ihipStream_tbENKUlT_T0_E_clISt17integral_constantIbLb0EES10_IbLb1EEEEDaSW_SX_EUlSW_E_NS1_11comp_targetILNS1_3genE2ELNS1_11target_archE906ELNS1_3gpuE6ELNS1_3repE0EEENS1_30default_config_static_selectorELNS0_4arch9wavefront6targetE0EEEvT1_
    .private_segment_fixed_size: 0
    .sgpr_count:     0
    .sgpr_spill_count: 0
    .symbol:         _ZN7rocprim17ROCPRIM_400000_NS6detail17trampoline_kernelINS0_14default_configENS1_29reduce_by_key_config_selectorIssN6thrust23THRUST_200600_302600_NS4plusIsEEEEZZNS1_33reduce_by_key_impl_wrapped_configILNS1_25lookback_scan_determinismE0ES3_S9_NS6_6detail15normal_iteratorINS6_10device_ptrIsEEEESG_SG_SG_PmS8_NS6_8equal_toIsEEEE10hipError_tPvRmT2_T3_mT4_T5_T6_T7_T8_P12ihipStream_tbENKUlT_T0_E_clISt17integral_constantIbLb0EES10_IbLb1EEEEDaSW_SX_EUlSW_E_NS1_11comp_targetILNS1_3genE2ELNS1_11target_archE906ELNS1_3gpuE6ELNS1_3repE0EEENS1_30default_config_static_selectorELNS0_4arch9wavefront6targetE0EEEvT1_.kd
    .uniform_work_group_size: 1
    .uses_dynamic_stack: false
    .vgpr_count:     0
    .vgpr_spill_count: 0
    .wavefront_size: 32
    .workgroup_processor_mode: 1
  - .args:
      - .offset:         0
        .size:           120
        .value_kind:     by_value
    .group_segment_fixed_size: 0
    .kernarg_segment_align: 8
    .kernarg_segment_size: 120
    .language:       OpenCL C
    .language_version:
      - 2
      - 0
    .max_flat_workgroup_size: 256
    .name:           _ZN7rocprim17ROCPRIM_400000_NS6detail17trampoline_kernelINS0_14default_configENS1_29reduce_by_key_config_selectorIssN6thrust23THRUST_200600_302600_NS4plusIsEEEEZZNS1_33reduce_by_key_impl_wrapped_configILNS1_25lookback_scan_determinismE0ES3_S9_NS6_6detail15normal_iteratorINS6_10device_ptrIsEEEESG_SG_SG_PmS8_NS6_8equal_toIsEEEE10hipError_tPvRmT2_T3_mT4_T5_T6_T7_T8_P12ihipStream_tbENKUlT_T0_E_clISt17integral_constantIbLb0EES10_IbLb1EEEEDaSW_SX_EUlSW_E_NS1_11comp_targetILNS1_3genE10ELNS1_11target_archE1201ELNS1_3gpuE5ELNS1_3repE0EEENS1_30default_config_static_selectorELNS0_4arch9wavefront6targetE0EEEvT1_
    .private_segment_fixed_size: 0
    .sgpr_count:     0
    .sgpr_spill_count: 0
    .symbol:         _ZN7rocprim17ROCPRIM_400000_NS6detail17trampoline_kernelINS0_14default_configENS1_29reduce_by_key_config_selectorIssN6thrust23THRUST_200600_302600_NS4plusIsEEEEZZNS1_33reduce_by_key_impl_wrapped_configILNS1_25lookback_scan_determinismE0ES3_S9_NS6_6detail15normal_iteratorINS6_10device_ptrIsEEEESG_SG_SG_PmS8_NS6_8equal_toIsEEEE10hipError_tPvRmT2_T3_mT4_T5_T6_T7_T8_P12ihipStream_tbENKUlT_T0_E_clISt17integral_constantIbLb0EES10_IbLb1EEEEDaSW_SX_EUlSW_E_NS1_11comp_targetILNS1_3genE10ELNS1_11target_archE1201ELNS1_3gpuE5ELNS1_3repE0EEENS1_30default_config_static_selectorELNS0_4arch9wavefront6targetE0EEEvT1_.kd
    .uniform_work_group_size: 1
    .uses_dynamic_stack: false
    .vgpr_count:     0
    .vgpr_spill_count: 0
    .wavefront_size: 32
    .workgroup_processor_mode: 1
  - .args:
      - .offset:         0
        .size:           120
        .value_kind:     by_value
    .group_segment_fixed_size: 0
    .kernarg_segment_align: 8
    .kernarg_segment_size: 120
    .language:       OpenCL C
    .language_version:
      - 2
      - 0
    .max_flat_workgroup_size: 256
    .name:           _ZN7rocprim17ROCPRIM_400000_NS6detail17trampoline_kernelINS0_14default_configENS1_29reduce_by_key_config_selectorIssN6thrust23THRUST_200600_302600_NS4plusIsEEEEZZNS1_33reduce_by_key_impl_wrapped_configILNS1_25lookback_scan_determinismE0ES3_S9_NS6_6detail15normal_iteratorINS6_10device_ptrIsEEEESG_SG_SG_PmS8_NS6_8equal_toIsEEEE10hipError_tPvRmT2_T3_mT4_T5_T6_T7_T8_P12ihipStream_tbENKUlT_T0_E_clISt17integral_constantIbLb0EES10_IbLb1EEEEDaSW_SX_EUlSW_E_NS1_11comp_targetILNS1_3genE10ELNS1_11target_archE1200ELNS1_3gpuE4ELNS1_3repE0EEENS1_30default_config_static_selectorELNS0_4arch9wavefront6targetE0EEEvT1_
    .private_segment_fixed_size: 0
    .sgpr_count:     0
    .sgpr_spill_count: 0
    .symbol:         _ZN7rocprim17ROCPRIM_400000_NS6detail17trampoline_kernelINS0_14default_configENS1_29reduce_by_key_config_selectorIssN6thrust23THRUST_200600_302600_NS4plusIsEEEEZZNS1_33reduce_by_key_impl_wrapped_configILNS1_25lookback_scan_determinismE0ES3_S9_NS6_6detail15normal_iteratorINS6_10device_ptrIsEEEESG_SG_SG_PmS8_NS6_8equal_toIsEEEE10hipError_tPvRmT2_T3_mT4_T5_T6_T7_T8_P12ihipStream_tbENKUlT_T0_E_clISt17integral_constantIbLb0EES10_IbLb1EEEEDaSW_SX_EUlSW_E_NS1_11comp_targetILNS1_3genE10ELNS1_11target_archE1200ELNS1_3gpuE4ELNS1_3repE0EEENS1_30default_config_static_selectorELNS0_4arch9wavefront6targetE0EEEvT1_.kd
    .uniform_work_group_size: 1
    .uses_dynamic_stack: false
    .vgpr_count:     0
    .vgpr_spill_count: 0
    .wavefront_size: 32
    .workgroup_processor_mode: 1
  - .args:
      - .offset:         0
        .size:           120
        .value_kind:     by_value
    .group_segment_fixed_size: 7680
    .kernarg_segment_align: 8
    .kernarg_segment_size: 120
    .language:       OpenCL C
    .language_version:
      - 2
      - 0
    .max_flat_workgroup_size: 256
    .name:           _ZN7rocprim17ROCPRIM_400000_NS6detail17trampoline_kernelINS0_14default_configENS1_29reduce_by_key_config_selectorIssN6thrust23THRUST_200600_302600_NS4plusIsEEEEZZNS1_33reduce_by_key_impl_wrapped_configILNS1_25lookback_scan_determinismE0ES3_S9_NS6_6detail15normal_iteratorINS6_10device_ptrIsEEEESG_SG_SG_PmS8_NS6_8equal_toIsEEEE10hipError_tPvRmT2_T3_mT4_T5_T6_T7_T8_P12ihipStream_tbENKUlT_T0_E_clISt17integral_constantIbLb0EES10_IbLb1EEEEDaSW_SX_EUlSW_E_NS1_11comp_targetILNS1_3genE9ELNS1_11target_archE1100ELNS1_3gpuE3ELNS1_3repE0EEENS1_30default_config_static_selectorELNS0_4arch9wavefront6targetE0EEEvT1_
    .private_segment_fixed_size: 0
    .sgpr_count:     47
    .sgpr_spill_count: 0
    .symbol:         _ZN7rocprim17ROCPRIM_400000_NS6detail17trampoline_kernelINS0_14default_configENS1_29reduce_by_key_config_selectorIssN6thrust23THRUST_200600_302600_NS4plusIsEEEEZZNS1_33reduce_by_key_impl_wrapped_configILNS1_25lookback_scan_determinismE0ES3_S9_NS6_6detail15normal_iteratorINS6_10device_ptrIsEEEESG_SG_SG_PmS8_NS6_8equal_toIsEEEE10hipError_tPvRmT2_T3_mT4_T5_T6_T7_T8_P12ihipStream_tbENKUlT_T0_E_clISt17integral_constantIbLb0EES10_IbLb1EEEEDaSW_SX_EUlSW_E_NS1_11comp_targetILNS1_3genE9ELNS1_11target_archE1100ELNS1_3gpuE3ELNS1_3repE0EEENS1_30default_config_static_selectorELNS0_4arch9wavefront6targetE0EEEvT1_.kd
    .uniform_work_group_size: 1
    .uses_dynamic_stack: false
    .vgpr_count:     102
    .vgpr_spill_count: 0
    .wavefront_size: 32
    .workgroup_processor_mode: 1
  - .args:
      - .offset:         0
        .size:           120
        .value_kind:     by_value
    .group_segment_fixed_size: 0
    .kernarg_segment_align: 8
    .kernarg_segment_size: 120
    .language:       OpenCL C
    .language_version:
      - 2
      - 0
    .max_flat_workgroup_size: 256
    .name:           _ZN7rocprim17ROCPRIM_400000_NS6detail17trampoline_kernelINS0_14default_configENS1_29reduce_by_key_config_selectorIssN6thrust23THRUST_200600_302600_NS4plusIsEEEEZZNS1_33reduce_by_key_impl_wrapped_configILNS1_25lookback_scan_determinismE0ES3_S9_NS6_6detail15normal_iteratorINS6_10device_ptrIsEEEESG_SG_SG_PmS8_NS6_8equal_toIsEEEE10hipError_tPvRmT2_T3_mT4_T5_T6_T7_T8_P12ihipStream_tbENKUlT_T0_E_clISt17integral_constantIbLb0EES10_IbLb1EEEEDaSW_SX_EUlSW_E_NS1_11comp_targetILNS1_3genE8ELNS1_11target_archE1030ELNS1_3gpuE2ELNS1_3repE0EEENS1_30default_config_static_selectorELNS0_4arch9wavefront6targetE0EEEvT1_
    .private_segment_fixed_size: 0
    .sgpr_count:     0
    .sgpr_spill_count: 0
    .symbol:         _ZN7rocprim17ROCPRIM_400000_NS6detail17trampoline_kernelINS0_14default_configENS1_29reduce_by_key_config_selectorIssN6thrust23THRUST_200600_302600_NS4plusIsEEEEZZNS1_33reduce_by_key_impl_wrapped_configILNS1_25lookback_scan_determinismE0ES3_S9_NS6_6detail15normal_iteratorINS6_10device_ptrIsEEEESG_SG_SG_PmS8_NS6_8equal_toIsEEEE10hipError_tPvRmT2_T3_mT4_T5_T6_T7_T8_P12ihipStream_tbENKUlT_T0_E_clISt17integral_constantIbLb0EES10_IbLb1EEEEDaSW_SX_EUlSW_E_NS1_11comp_targetILNS1_3genE8ELNS1_11target_archE1030ELNS1_3gpuE2ELNS1_3repE0EEENS1_30default_config_static_selectorELNS0_4arch9wavefront6targetE0EEEvT1_.kd
    .uniform_work_group_size: 1
    .uses_dynamic_stack: false
    .vgpr_count:     0
    .vgpr_spill_count: 0
    .wavefront_size: 32
    .workgroup_processor_mode: 1
  - .args:
      - .offset:         0
        .size:           120
        .value_kind:     by_value
    .group_segment_fixed_size: 0
    .kernarg_segment_align: 8
    .kernarg_segment_size: 120
    .language:       OpenCL C
    .language_version:
      - 2
      - 0
    .max_flat_workgroup_size: 256
    .name:           _ZN7rocprim17ROCPRIM_400000_NS6detail17trampoline_kernelINS0_14default_configENS1_29reduce_by_key_config_selectorIssN6thrust23THRUST_200600_302600_NS4plusIsEEEEZZNS1_33reduce_by_key_impl_wrapped_configILNS1_25lookback_scan_determinismE0ES3_S9_NS6_6detail15normal_iteratorINS6_10device_ptrIsEEEESG_SG_SG_PmS8_22is_equal_div_10_reduceIsEEE10hipError_tPvRmT2_T3_mT4_T5_T6_T7_T8_P12ihipStream_tbENKUlT_T0_E_clISt17integral_constantIbLb0EES11_EEDaSW_SX_EUlSW_E_NS1_11comp_targetILNS1_3genE0ELNS1_11target_archE4294967295ELNS1_3gpuE0ELNS1_3repE0EEENS1_30default_config_static_selectorELNS0_4arch9wavefront6targetE0EEEvT1_
    .private_segment_fixed_size: 0
    .sgpr_count:     0
    .sgpr_spill_count: 0
    .symbol:         _ZN7rocprim17ROCPRIM_400000_NS6detail17trampoline_kernelINS0_14default_configENS1_29reduce_by_key_config_selectorIssN6thrust23THRUST_200600_302600_NS4plusIsEEEEZZNS1_33reduce_by_key_impl_wrapped_configILNS1_25lookback_scan_determinismE0ES3_S9_NS6_6detail15normal_iteratorINS6_10device_ptrIsEEEESG_SG_SG_PmS8_22is_equal_div_10_reduceIsEEE10hipError_tPvRmT2_T3_mT4_T5_T6_T7_T8_P12ihipStream_tbENKUlT_T0_E_clISt17integral_constantIbLb0EES11_EEDaSW_SX_EUlSW_E_NS1_11comp_targetILNS1_3genE0ELNS1_11target_archE4294967295ELNS1_3gpuE0ELNS1_3repE0EEENS1_30default_config_static_selectorELNS0_4arch9wavefront6targetE0EEEvT1_.kd
    .uniform_work_group_size: 1
    .uses_dynamic_stack: false
    .vgpr_count:     0
    .vgpr_spill_count: 0
    .wavefront_size: 32
    .workgroup_processor_mode: 1
  - .args:
      - .offset:         0
        .size:           120
        .value_kind:     by_value
    .group_segment_fixed_size: 0
    .kernarg_segment_align: 8
    .kernarg_segment_size: 120
    .language:       OpenCL C
    .language_version:
      - 2
      - 0
    .max_flat_workgroup_size: 256
    .name:           _ZN7rocprim17ROCPRIM_400000_NS6detail17trampoline_kernelINS0_14default_configENS1_29reduce_by_key_config_selectorIssN6thrust23THRUST_200600_302600_NS4plusIsEEEEZZNS1_33reduce_by_key_impl_wrapped_configILNS1_25lookback_scan_determinismE0ES3_S9_NS6_6detail15normal_iteratorINS6_10device_ptrIsEEEESG_SG_SG_PmS8_22is_equal_div_10_reduceIsEEE10hipError_tPvRmT2_T3_mT4_T5_T6_T7_T8_P12ihipStream_tbENKUlT_T0_E_clISt17integral_constantIbLb0EES11_EEDaSW_SX_EUlSW_E_NS1_11comp_targetILNS1_3genE5ELNS1_11target_archE942ELNS1_3gpuE9ELNS1_3repE0EEENS1_30default_config_static_selectorELNS0_4arch9wavefront6targetE0EEEvT1_
    .private_segment_fixed_size: 0
    .sgpr_count:     0
    .sgpr_spill_count: 0
    .symbol:         _ZN7rocprim17ROCPRIM_400000_NS6detail17trampoline_kernelINS0_14default_configENS1_29reduce_by_key_config_selectorIssN6thrust23THRUST_200600_302600_NS4plusIsEEEEZZNS1_33reduce_by_key_impl_wrapped_configILNS1_25lookback_scan_determinismE0ES3_S9_NS6_6detail15normal_iteratorINS6_10device_ptrIsEEEESG_SG_SG_PmS8_22is_equal_div_10_reduceIsEEE10hipError_tPvRmT2_T3_mT4_T5_T6_T7_T8_P12ihipStream_tbENKUlT_T0_E_clISt17integral_constantIbLb0EES11_EEDaSW_SX_EUlSW_E_NS1_11comp_targetILNS1_3genE5ELNS1_11target_archE942ELNS1_3gpuE9ELNS1_3repE0EEENS1_30default_config_static_selectorELNS0_4arch9wavefront6targetE0EEEvT1_.kd
    .uniform_work_group_size: 1
    .uses_dynamic_stack: false
    .vgpr_count:     0
    .vgpr_spill_count: 0
    .wavefront_size: 32
    .workgroup_processor_mode: 1
  - .args:
      - .offset:         0
        .size:           120
        .value_kind:     by_value
    .group_segment_fixed_size: 0
    .kernarg_segment_align: 8
    .kernarg_segment_size: 120
    .language:       OpenCL C
    .language_version:
      - 2
      - 0
    .max_flat_workgroup_size: 256
    .name:           _ZN7rocprim17ROCPRIM_400000_NS6detail17trampoline_kernelINS0_14default_configENS1_29reduce_by_key_config_selectorIssN6thrust23THRUST_200600_302600_NS4plusIsEEEEZZNS1_33reduce_by_key_impl_wrapped_configILNS1_25lookback_scan_determinismE0ES3_S9_NS6_6detail15normal_iteratorINS6_10device_ptrIsEEEESG_SG_SG_PmS8_22is_equal_div_10_reduceIsEEE10hipError_tPvRmT2_T3_mT4_T5_T6_T7_T8_P12ihipStream_tbENKUlT_T0_E_clISt17integral_constantIbLb0EES11_EEDaSW_SX_EUlSW_E_NS1_11comp_targetILNS1_3genE4ELNS1_11target_archE910ELNS1_3gpuE8ELNS1_3repE0EEENS1_30default_config_static_selectorELNS0_4arch9wavefront6targetE0EEEvT1_
    .private_segment_fixed_size: 0
    .sgpr_count:     0
    .sgpr_spill_count: 0
    .symbol:         _ZN7rocprim17ROCPRIM_400000_NS6detail17trampoline_kernelINS0_14default_configENS1_29reduce_by_key_config_selectorIssN6thrust23THRUST_200600_302600_NS4plusIsEEEEZZNS1_33reduce_by_key_impl_wrapped_configILNS1_25lookback_scan_determinismE0ES3_S9_NS6_6detail15normal_iteratorINS6_10device_ptrIsEEEESG_SG_SG_PmS8_22is_equal_div_10_reduceIsEEE10hipError_tPvRmT2_T3_mT4_T5_T6_T7_T8_P12ihipStream_tbENKUlT_T0_E_clISt17integral_constantIbLb0EES11_EEDaSW_SX_EUlSW_E_NS1_11comp_targetILNS1_3genE4ELNS1_11target_archE910ELNS1_3gpuE8ELNS1_3repE0EEENS1_30default_config_static_selectorELNS0_4arch9wavefront6targetE0EEEvT1_.kd
    .uniform_work_group_size: 1
    .uses_dynamic_stack: false
    .vgpr_count:     0
    .vgpr_spill_count: 0
    .wavefront_size: 32
    .workgroup_processor_mode: 1
  - .args:
      - .offset:         0
        .size:           120
        .value_kind:     by_value
    .group_segment_fixed_size: 0
    .kernarg_segment_align: 8
    .kernarg_segment_size: 120
    .language:       OpenCL C
    .language_version:
      - 2
      - 0
    .max_flat_workgroup_size: 256
    .name:           _ZN7rocprim17ROCPRIM_400000_NS6detail17trampoline_kernelINS0_14default_configENS1_29reduce_by_key_config_selectorIssN6thrust23THRUST_200600_302600_NS4plusIsEEEEZZNS1_33reduce_by_key_impl_wrapped_configILNS1_25lookback_scan_determinismE0ES3_S9_NS6_6detail15normal_iteratorINS6_10device_ptrIsEEEESG_SG_SG_PmS8_22is_equal_div_10_reduceIsEEE10hipError_tPvRmT2_T3_mT4_T5_T6_T7_T8_P12ihipStream_tbENKUlT_T0_E_clISt17integral_constantIbLb0EES11_EEDaSW_SX_EUlSW_E_NS1_11comp_targetILNS1_3genE3ELNS1_11target_archE908ELNS1_3gpuE7ELNS1_3repE0EEENS1_30default_config_static_selectorELNS0_4arch9wavefront6targetE0EEEvT1_
    .private_segment_fixed_size: 0
    .sgpr_count:     0
    .sgpr_spill_count: 0
    .symbol:         _ZN7rocprim17ROCPRIM_400000_NS6detail17trampoline_kernelINS0_14default_configENS1_29reduce_by_key_config_selectorIssN6thrust23THRUST_200600_302600_NS4plusIsEEEEZZNS1_33reduce_by_key_impl_wrapped_configILNS1_25lookback_scan_determinismE0ES3_S9_NS6_6detail15normal_iteratorINS6_10device_ptrIsEEEESG_SG_SG_PmS8_22is_equal_div_10_reduceIsEEE10hipError_tPvRmT2_T3_mT4_T5_T6_T7_T8_P12ihipStream_tbENKUlT_T0_E_clISt17integral_constantIbLb0EES11_EEDaSW_SX_EUlSW_E_NS1_11comp_targetILNS1_3genE3ELNS1_11target_archE908ELNS1_3gpuE7ELNS1_3repE0EEENS1_30default_config_static_selectorELNS0_4arch9wavefront6targetE0EEEvT1_.kd
    .uniform_work_group_size: 1
    .uses_dynamic_stack: false
    .vgpr_count:     0
    .vgpr_spill_count: 0
    .wavefront_size: 32
    .workgroup_processor_mode: 1
  - .args:
      - .offset:         0
        .size:           120
        .value_kind:     by_value
    .group_segment_fixed_size: 0
    .kernarg_segment_align: 8
    .kernarg_segment_size: 120
    .language:       OpenCL C
    .language_version:
      - 2
      - 0
    .max_flat_workgroup_size: 256
    .name:           _ZN7rocprim17ROCPRIM_400000_NS6detail17trampoline_kernelINS0_14default_configENS1_29reduce_by_key_config_selectorIssN6thrust23THRUST_200600_302600_NS4plusIsEEEEZZNS1_33reduce_by_key_impl_wrapped_configILNS1_25lookback_scan_determinismE0ES3_S9_NS6_6detail15normal_iteratorINS6_10device_ptrIsEEEESG_SG_SG_PmS8_22is_equal_div_10_reduceIsEEE10hipError_tPvRmT2_T3_mT4_T5_T6_T7_T8_P12ihipStream_tbENKUlT_T0_E_clISt17integral_constantIbLb0EES11_EEDaSW_SX_EUlSW_E_NS1_11comp_targetILNS1_3genE2ELNS1_11target_archE906ELNS1_3gpuE6ELNS1_3repE0EEENS1_30default_config_static_selectorELNS0_4arch9wavefront6targetE0EEEvT1_
    .private_segment_fixed_size: 0
    .sgpr_count:     0
    .sgpr_spill_count: 0
    .symbol:         _ZN7rocprim17ROCPRIM_400000_NS6detail17trampoline_kernelINS0_14default_configENS1_29reduce_by_key_config_selectorIssN6thrust23THRUST_200600_302600_NS4plusIsEEEEZZNS1_33reduce_by_key_impl_wrapped_configILNS1_25lookback_scan_determinismE0ES3_S9_NS6_6detail15normal_iteratorINS6_10device_ptrIsEEEESG_SG_SG_PmS8_22is_equal_div_10_reduceIsEEE10hipError_tPvRmT2_T3_mT4_T5_T6_T7_T8_P12ihipStream_tbENKUlT_T0_E_clISt17integral_constantIbLb0EES11_EEDaSW_SX_EUlSW_E_NS1_11comp_targetILNS1_3genE2ELNS1_11target_archE906ELNS1_3gpuE6ELNS1_3repE0EEENS1_30default_config_static_selectorELNS0_4arch9wavefront6targetE0EEEvT1_.kd
    .uniform_work_group_size: 1
    .uses_dynamic_stack: false
    .vgpr_count:     0
    .vgpr_spill_count: 0
    .wavefront_size: 32
    .workgroup_processor_mode: 1
  - .args:
      - .offset:         0
        .size:           120
        .value_kind:     by_value
    .group_segment_fixed_size: 0
    .kernarg_segment_align: 8
    .kernarg_segment_size: 120
    .language:       OpenCL C
    .language_version:
      - 2
      - 0
    .max_flat_workgroup_size: 256
    .name:           _ZN7rocprim17ROCPRIM_400000_NS6detail17trampoline_kernelINS0_14default_configENS1_29reduce_by_key_config_selectorIssN6thrust23THRUST_200600_302600_NS4plusIsEEEEZZNS1_33reduce_by_key_impl_wrapped_configILNS1_25lookback_scan_determinismE0ES3_S9_NS6_6detail15normal_iteratorINS6_10device_ptrIsEEEESG_SG_SG_PmS8_22is_equal_div_10_reduceIsEEE10hipError_tPvRmT2_T3_mT4_T5_T6_T7_T8_P12ihipStream_tbENKUlT_T0_E_clISt17integral_constantIbLb0EES11_EEDaSW_SX_EUlSW_E_NS1_11comp_targetILNS1_3genE10ELNS1_11target_archE1201ELNS1_3gpuE5ELNS1_3repE0EEENS1_30default_config_static_selectorELNS0_4arch9wavefront6targetE0EEEvT1_
    .private_segment_fixed_size: 0
    .sgpr_count:     0
    .sgpr_spill_count: 0
    .symbol:         _ZN7rocprim17ROCPRIM_400000_NS6detail17trampoline_kernelINS0_14default_configENS1_29reduce_by_key_config_selectorIssN6thrust23THRUST_200600_302600_NS4plusIsEEEEZZNS1_33reduce_by_key_impl_wrapped_configILNS1_25lookback_scan_determinismE0ES3_S9_NS6_6detail15normal_iteratorINS6_10device_ptrIsEEEESG_SG_SG_PmS8_22is_equal_div_10_reduceIsEEE10hipError_tPvRmT2_T3_mT4_T5_T6_T7_T8_P12ihipStream_tbENKUlT_T0_E_clISt17integral_constantIbLb0EES11_EEDaSW_SX_EUlSW_E_NS1_11comp_targetILNS1_3genE10ELNS1_11target_archE1201ELNS1_3gpuE5ELNS1_3repE0EEENS1_30default_config_static_selectorELNS0_4arch9wavefront6targetE0EEEvT1_.kd
    .uniform_work_group_size: 1
    .uses_dynamic_stack: false
    .vgpr_count:     0
    .vgpr_spill_count: 0
    .wavefront_size: 32
    .workgroup_processor_mode: 1
  - .args:
      - .offset:         0
        .size:           120
        .value_kind:     by_value
    .group_segment_fixed_size: 0
    .kernarg_segment_align: 8
    .kernarg_segment_size: 120
    .language:       OpenCL C
    .language_version:
      - 2
      - 0
    .max_flat_workgroup_size: 256
    .name:           _ZN7rocprim17ROCPRIM_400000_NS6detail17trampoline_kernelINS0_14default_configENS1_29reduce_by_key_config_selectorIssN6thrust23THRUST_200600_302600_NS4plusIsEEEEZZNS1_33reduce_by_key_impl_wrapped_configILNS1_25lookback_scan_determinismE0ES3_S9_NS6_6detail15normal_iteratorINS6_10device_ptrIsEEEESG_SG_SG_PmS8_22is_equal_div_10_reduceIsEEE10hipError_tPvRmT2_T3_mT4_T5_T6_T7_T8_P12ihipStream_tbENKUlT_T0_E_clISt17integral_constantIbLb0EES11_EEDaSW_SX_EUlSW_E_NS1_11comp_targetILNS1_3genE10ELNS1_11target_archE1200ELNS1_3gpuE4ELNS1_3repE0EEENS1_30default_config_static_selectorELNS0_4arch9wavefront6targetE0EEEvT1_
    .private_segment_fixed_size: 0
    .sgpr_count:     0
    .sgpr_spill_count: 0
    .symbol:         _ZN7rocprim17ROCPRIM_400000_NS6detail17trampoline_kernelINS0_14default_configENS1_29reduce_by_key_config_selectorIssN6thrust23THRUST_200600_302600_NS4plusIsEEEEZZNS1_33reduce_by_key_impl_wrapped_configILNS1_25lookback_scan_determinismE0ES3_S9_NS6_6detail15normal_iteratorINS6_10device_ptrIsEEEESG_SG_SG_PmS8_22is_equal_div_10_reduceIsEEE10hipError_tPvRmT2_T3_mT4_T5_T6_T7_T8_P12ihipStream_tbENKUlT_T0_E_clISt17integral_constantIbLb0EES11_EEDaSW_SX_EUlSW_E_NS1_11comp_targetILNS1_3genE10ELNS1_11target_archE1200ELNS1_3gpuE4ELNS1_3repE0EEENS1_30default_config_static_selectorELNS0_4arch9wavefront6targetE0EEEvT1_.kd
    .uniform_work_group_size: 1
    .uses_dynamic_stack: false
    .vgpr_count:     0
    .vgpr_spill_count: 0
    .wavefront_size: 32
    .workgroup_processor_mode: 1
  - .args:
      - .offset:         0
        .size:           120
        .value_kind:     by_value
    .group_segment_fixed_size: 7680
    .kernarg_segment_align: 8
    .kernarg_segment_size: 120
    .language:       OpenCL C
    .language_version:
      - 2
      - 0
    .max_flat_workgroup_size: 256
    .name:           _ZN7rocprim17ROCPRIM_400000_NS6detail17trampoline_kernelINS0_14default_configENS1_29reduce_by_key_config_selectorIssN6thrust23THRUST_200600_302600_NS4plusIsEEEEZZNS1_33reduce_by_key_impl_wrapped_configILNS1_25lookback_scan_determinismE0ES3_S9_NS6_6detail15normal_iteratorINS6_10device_ptrIsEEEESG_SG_SG_PmS8_22is_equal_div_10_reduceIsEEE10hipError_tPvRmT2_T3_mT4_T5_T6_T7_T8_P12ihipStream_tbENKUlT_T0_E_clISt17integral_constantIbLb0EES11_EEDaSW_SX_EUlSW_E_NS1_11comp_targetILNS1_3genE9ELNS1_11target_archE1100ELNS1_3gpuE3ELNS1_3repE0EEENS1_30default_config_static_selectorELNS0_4arch9wavefront6targetE0EEEvT1_
    .private_segment_fixed_size: 0
    .sgpr_count:     46
    .sgpr_spill_count: 0
    .symbol:         _ZN7rocprim17ROCPRIM_400000_NS6detail17trampoline_kernelINS0_14default_configENS1_29reduce_by_key_config_selectorIssN6thrust23THRUST_200600_302600_NS4plusIsEEEEZZNS1_33reduce_by_key_impl_wrapped_configILNS1_25lookback_scan_determinismE0ES3_S9_NS6_6detail15normal_iteratorINS6_10device_ptrIsEEEESG_SG_SG_PmS8_22is_equal_div_10_reduceIsEEE10hipError_tPvRmT2_T3_mT4_T5_T6_T7_T8_P12ihipStream_tbENKUlT_T0_E_clISt17integral_constantIbLb0EES11_EEDaSW_SX_EUlSW_E_NS1_11comp_targetILNS1_3genE9ELNS1_11target_archE1100ELNS1_3gpuE3ELNS1_3repE0EEENS1_30default_config_static_selectorELNS0_4arch9wavefront6targetE0EEEvT1_.kd
    .uniform_work_group_size: 1
    .uses_dynamic_stack: false
    .vgpr_count:     102
    .vgpr_spill_count: 0
    .wavefront_size: 32
    .workgroup_processor_mode: 1
  - .args:
      - .offset:         0
        .size:           120
        .value_kind:     by_value
    .group_segment_fixed_size: 0
    .kernarg_segment_align: 8
    .kernarg_segment_size: 120
    .language:       OpenCL C
    .language_version:
      - 2
      - 0
    .max_flat_workgroup_size: 256
    .name:           _ZN7rocprim17ROCPRIM_400000_NS6detail17trampoline_kernelINS0_14default_configENS1_29reduce_by_key_config_selectorIssN6thrust23THRUST_200600_302600_NS4plusIsEEEEZZNS1_33reduce_by_key_impl_wrapped_configILNS1_25lookback_scan_determinismE0ES3_S9_NS6_6detail15normal_iteratorINS6_10device_ptrIsEEEESG_SG_SG_PmS8_22is_equal_div_10_reduceIsEEE10hipError_tPvRmT2_T3_mT4_T5_T6_T7_T8_P12ihipStream_tbENKUlT_T0_E_clISt17integral_constantIbLb0EES11_EEDaSW_SX_EUlSW_E_NS1_11comp_targetILNS1_3genE8ELNS1_11target_archE1030ELNS1_3gpuE2ELNS1_3repE0EEENS1_30default_config_static_selectorELNS0_4arch9wavefront6targetE0EEEvT1_
    .private_segment_fixed_size: 0
    .sgpr_count:     0
    .sgpr_spill_count: 0
    .symbol:         _ZN7rocprim17ROCPRIM_400000_NS6detail17trampoline_kernelINS0_14default_configENS1_29reduce_by_key_config_selectorIssN6thrust23THRUST_200600_302600_NS4plusIsEEEEZZNS1_33reduce_by_key_impl_wrapped_configILNS1_25lookback_scan_determinismE0ES3_S9_NS6_6detail15normal_iteratorINS6_10device_ptrIsEEEESG_SG_SG_PmS8_22is_equal_div_10_reduceIsEEE10hipError_tPvRmT2_T3_mT4_T5_T6_T7_T8_P12ihipStream_tbENKUlT_T0_E_clISt17integral_constantIbLb0EES11_EEDaSW_SX_EUlSW_E_NS1_11comp_targetILNS1_3genE8ELNS1_11target_archE1030ELNS1_3gpuE2ELNS1_3repE0EEENS1_30default_config_static_selectorELNS0_4arch9wavefront6targetE0EEEvT1_.kd
    .uniform_work_group_size: 1
    .uses_dynamic_stack: false
    .vgpr_count:     0
    .vgpr_spill_count: 0
    .wavefront_size: 32
    .workgroup_processor_mode: 1
  - .args:
      - .offset:         0
        .size:           120
        .value_kind:     by_value
    .group_segment_fixed_size: 0
    .kernarg_segment_align: 8
    .kernarg_segment_size: 120
    .language:       OpenCL C
    .language_version:
      - 2
      - 0
    .max_flat_workgroup_size: 256
    .name:           _ZN7rocprim17ROCPRIM_400000_NS6detail17trampoline_kernelINS0_14default_configENS1_29reduce_by_key_config_selectorIssN6thrust23THRUST_200600_302600_NS4plusIsEEEEZZNS1_33reduce_by_key_impl_wrapped_configILNS1_25lookback_scan_determinismE0ES3_S9_NS6_6detail15normal_iteratorINS6_10device_ptrIsEEEESG_SG_SG_PmS8_22is_equal_div_10_reduceIsEEE10hipError_tPvRmT2_T3_mT4_T5_T6_T7_T8_P12ihipStream_tbENKUlT_T0_E_clISt17integral_constantIbLb1EES11_EEDaSW_SX_EUlSW_E_NS1_11comp_targetILNS1_3genE0ELNS1_11target_archE4294967295ELNS1_3gpuE0ELNS1_3repE0EEENS1_30default_config_static_selectorELNS0_4arch9wavefront6targetE0EEEvT1_
    .private_segment_fixed_size: 0
    .sgpr_count:     0
    .sgpr_spill_count: 0
    .symbol:         _ZN7rocprim17ROCPRIM_400000_NS6detail17trampoline_kernelINS0_14default_configENS1_29reduce_by_key_config_selectorIssN6thrust23THRUST_200600_302600_NS4plusIsEEEEZZNS1_33reduce_by_key_impl_wrapped_configILNS1_25lookback_scan_determinismE0ES3_S9_NS6_6detail15normal_iteratorINS6_10device_ptrIsEEEESG_SG_SG_PmS8_22is_equal_div_10_reduceIsEEE10hipError_tPvRmT2_T3_mT4_T5_T6_T7_T8_P12ihipStream_tbENKUlT_T0_E_clISt17integral_constantIbLb1EES11_EEDaSW_SX_EUlSW_E_NS1_11comp_targetILNS1_3genE0ELNS1_11target_archE4294967295ELNS1_3gpuE0ELNS1_3repE0EEENS1_30default_config_static_selectorELNS0_4arch9wavefront6targetE0EEEvT1_.kd
    .uniform_work_group_size: 1
    .uses_dynamic_stack: false
    .vgpr_count:     0
    .vgpr_spill_count: 0
    .wavefront_size: 32
    .workgroup_processor_mode: 1
  - .args:
      - .offset:         0
        .size:           120
        .value_kind:     by_value
    .group_segment_fixed_size: 0
    .kernarg_segment_align: 8
    .kernarg_segment_size: 120
    .language:       OpenCL C
    .language_version:
      - 2
      - 0
    .max_flat_workgroup_size: 256
    .name:           _ZN7rocprim17ROCPRIM_400000_NS6detail17trampoline_kernelINS0_14default_configENS1_29reduce_by_key_config_selectorIssN6thrust23THRUST_200600_302600_NS4plusIsEEEEZZNS1_33reduce_by_key_impl_wrapped_configILNS1_25lookback_scan_determinismE0ES3_S9_NS6_6detail15normal_iteratorINS6_10device_ptrIsEEEESG_SG_SG_PmS8_22is_equal_div_10_reduceIsEEE10hipError_tPvRmT2_T3_mT4_T5_T6_T7_T8_P12ihipStream_tbENKUlT_T0_E_clISt17integral_constantIbLb1EES11_EEDaSW_SX_EUlSW_E_NS1_11comp_targetILNS1_3genE5ELNS1_11target_archE942ELNS1_3gpuE9ELNS1_3repE0EEENS1_30default_config_static_selectorELNS0_4arch9wavefront6targetE0EEEvT1_
    .private_segment_fixed_size: 0
    .sgpr_count:     0
    .sgpr_spill_count: 0
    .symbol:         _ZN7rocprim17ROCPRIM_400000_NS6detail17trampoline_kernelINS0_14default_configENS1_29reduce_by_key_config_selectorIssN6thrust23THRUST_200600_302600_NS4plusIsEEEEZZNS1_33reduce_by_key_impl_wrapped_configILNS1_25lookback_scan_determinismE0ES3_S9_NS6_6detail15normal_iteratorINS6_10device_ptrIsEEEESG_SG_SG_PmS8_22is_equal_div_10_reduceIsEEE10hipError_tPvRmT2_T3_mT4_T5_T6_T7_T8_P12ihipStream_tbENKUlT_T0_E_clISt17integral_constantIbLb1EES11_EEDaSW_SX_EUlSW_E_NS1_11comp_targetILNS1_3genE5ELNS1_11target_archE942ELNS1_3gpuE9ELNS1_3repE0EEENS1_30default_config_static_selectorELNS0_4arch9wavefront6targetE0EEEvT1_.kd
    .uniform_work_group_size: 1
    .uses_dynamic_stack: false
    .vgpr_count:     0
    .vgpr_spill_count: 0
    .wavefront_size: 32
    .workgroup_processor_mode: 1
  - .args:
      - .offset:         0
        .size:           120
        .value_kind:     by_value
    .group_segment_fixed_size: 0
    .kernarg_segment_align: 8
    .kernarg_segment_size: 120
    .language:       OpenCL C
    .language_version:
      - 2
      - 0
    .max_flat_workgroup_size: 256
    .name:           _ZN7rocprim17ROCPRIM_400000_NS6detail17trampoline_kernelINS0_14default_configENS1_29reduce_by_key_config_selectorIssN6thrust23THRUST_200600_302600_NS4plusIsEEEEZZNS1_33reduce_by_key_impl_wrapped_configILNS1_25lookback_scan_determinismE0ES3_S9_NS6_6detail15normal_iteratorINS6_10device_ptrIsEEEESG_SG_SG_PmS8_22is_equal_div_10_reduceIsEEE10hipError_tPvRmT2_T3_mT4_T5_T6_T7_T8_P12ihipStream_tbENKUlT_T0_E_clISt17integral_constantIbLb1EES11_EEDaSW_SX_EUlSW_E_NS1_11comp_targetILNS1_3genE4ELNS1_11target_archE910ELNS1_3gpuE8ELNS1_3repE0EEENS1_30default_config_static_selectorELNS0_4arch9wavefront6targetE0EEEvT1_
    .private_segment_fixed_size: 0
    .sgpr_count:     0
    .sgpr_spill_count: 0
    .symbol:         _ZN7rocprim17ROCPRIM_400000_NS6detail17trampoline_kernelINS0_14default_configENS1_29reduce_by_key_config_selectorIssN6thrust23THRUST_200600_302600_NS4plusIsEEEEZZNS1_33reduce_by_key_impl_wrapped_configILNS1_25lookback_scan_determinismE0ES3_S9_NS6_6detail15normal_iteratorINS6_10device_ptrIsEEEESG_SG_SG_PmS8_22is_equal_div_10_reduceIsEEE10hipError_tPvRmT2_T3_mT4_T5_T6_T7_T8_P12ihipStream_tbENKUlT_T0_E_clISt17integral_constantIbLb1EES11_EEDaSW_SX_EUlSW_E_NS1_11comp_targetILNS1_3genE4ELNS1_11target_archE910ELNS1_3gpuE8ELNS1_3repE0EEENS1_30default_config_static_selectorELNS0_4arch9wavefront6targetE0EEEvT1_.kd
    .uniform_work_group_size: 1
    .uses_dynamic_stack: false
    .vgpr_count:     0
    .vgpr_spill_count: 0
    .wavefront_size: 32
    .workgroup_processor_mode: 1
  - .args:
      - .offset:         0
        .size:           120
        .value_kind:     by_value
    .group_segment_fixed_size: 0
    .kernarg_segment_align: 8
    .kernarg_segment_size: 120
    .language:       OpenCL C
    .language_version:
      - 2
      - 0
    .max_flat_workgroup_size: 256
    .name:           _ZN7rocprim17ROCPRIM_400000_NS6detail17trampoline_kernelINS0_14default_configENS1_29reduce_by_key_config_selectorIssN6thrust23THRUST_200600_302600_NS4plusIsEEEEZZNS1_33reduce_by_key_impl_wrapped_configILNS1_25lookback_scan_determinismE0ES3_S9_NS6_6detail15normal_iteratorINS6_10device_ptrIsEEEESG_SG_SG_PmS8_22is_equal_div_10_reduceIsEEE10hipError_tPvRmT2_T3_mT4_T5_T6_T7_T8_P12ihipStream_tbENKUlT_T0_E_clISt17integral_constantIbLb1EES11_EEDaSW_SX_EUlSW_E_NS1_11comp_targetILNS1_3genE3ELNS1_11target_archE908ELNS1_3gpuE7ELNS1_3repE0EEENS1_30default_config_static_selectorELNS0_4arch9wavefront6targetE0EEEvT1_
    .private_segment_fixed_size: 0
    .sgpr_count:     0
    .sgpr_spill_count: 0
    .symbol:         _ZN7rocprim17ROCPRIM_400000_NS6detail17trampoline_kernelINS0_14default_configENS1_29reduce_by_key_config_selectorIssN6thrust23THRUST_200600_302600_NS4plusIsEEEEZZNS1_33reduce_by_key_impl_wrapped_configILNS1_25lookback_scan_determinismE0ES3_S9_NS6_6detail15normal_iteratorINS6_10device_ptrIsEEEESG_SG_SG_PmS8_22is_equal_div_10_reduceIsEEE10hipError_tPvRmT2_T3_mT4_T5_T6_T7_T8_P12ihipStream_tbENKUlT_T0_E_clISt17integral_constantIbLb1EES11_EEDaSW_SX_EUlSW_E_NS1_11comp_targetILNS1_3genE3ELNS1_11target_archE908ELNS1_3gpuE7ELNS1_3repE0EEENS1_30default_config_static_selectorELNS0_4arch9wavefront6targetE0EEEvT1_.kd
    .uniform_work_group_size: 1
    .uses_dynamic_stack: false
    .vgpr_count:     0
    .vgpr_spill_count: 0
    .wavefront_size: 32
    .workgroup_processor_mode: 1
  - .args:
      - .offset:         0
        .size:           120
        .value_kind:     by_value
    .group_segment_fixed_size: 0
    .kernarg_segment_align: 8
    .kernarg_segment_size: 120
    .language:       OpenCL C
    .language_version:
      - 2
      - 0
    .max_flat_workgroup_size: 256
    .name:           _ZN7rocprim17ROCPRIM_400000_NS6detail17trampoline_kernelINS0_14default_configENS1_29reduce_by_key_config_selectorIssN6thrust23THRUST_200600_302600_NS4plusIsEEEEZZNS1_33reduce_by_key_impl_wrapped_configILNS1_25lookback_scan_determinismE0ES3_S9_NS6_6detail15normal_iteratorINS6_10device_ptrIsEEEESG_SG_SG_PmS8_22is_equal_div_10_reduceIsEEE10hipError_tPvRmT2_T3_mT4_T5_T6_T7_T8_P12ihipStream_tbENKUlT_T0_E_clISt17integral_constantIbLb1EES11_EEDaSW_SX_EUlSW_E_NS1_11comp_targetILNS1_3genE2ELNS1_11target_archE906ELNS1_3gpuE6ELNS1_3repE0EEENS1_30default_config_static_selectorELNS0_4arch9wavefront6targetE0EEEvT1_
    .private_segment_fixed_size: 0
    .sgpr_count:     0
    .sgpr_spill_count: 0
    .symbol:         _ZN7rocprim17ROCPRIM_400000_NS6detail17trampoline_kernelINS0_14default_configENS1_29reduce_by_key_config_selectorIssN6thrust23THRUST_200600_302600_NS4plusIsEEEEZZNS1_33reduce_by_key_impl_wrapped_configILNS1_25lookback_scan_determinismE0ES3_S9_NS6_6detail15normal_iteratorINS6_10device_ptrIsEEEESG_SG_SG_PmS8_22is_equal_div_10_reduceIsEEE10hipError_tPvRmT2_T3_mT4_T5_T6_T7_T8_P12ihipStream_tbENKUlT_T0_E_clISt17integral_constantIbLb1EES11_EEDaSW_SX_EUlSW_E_NS1_11comp_targetILNS1_3genE2ELNS1_11target_archE906ELNS1_3gpuE6ELNS1_3repE0EEENS1_30default_config_static_selectorELNS0_4arch9wavefront6targetE0EEEvT1_.kd
    .uniform_work_group_size: 1
    .uses_dynamic_stack: false
    .vgpr_count:     0
    .vgpr_spill_count: 0
    .wavefront_size: 32
    .workgroup_processor_mode: 1
  - .args:
      - .offset:         0
        .size:           120
        .value_kind:     by_value
    .group_segment_fixed_size: 0
    .kernarg_segment_align: 8
    .kernarg_segment_size: 120
    .language:       OpenCL C
    .language_version:
      - 2
      - 0
    .max_flat_workgroup_size: 256
    .name:           _ZN7rocprim17ROCPRIM_400000_NS6detail17trampoline_kernelINS0_14default_configENS1_29reduce_by_key_config_selectorIssN6thrust23THRUST_200600_302600_NS4plusIsEEEEZZNS1_33reduce_by_key_impl_wrapped_configILNS1_25lookback_scan_determinismE0ES3_S9_NS6_6detail15normal_iteratorINS6_10device_ptrIsEEEESG_SG_SG_PmS8_22is_equal_div_10_reduceIsEEE10hipError_tPvRmT2_T3_mT4_T5_T6_T7_T8_P12ihipStream_tbENKUlT_T0_E_clISt17integral_constantIbLb1EES11_EEDaSW_SX_EUlSW_E_NS1_11comp_targetILNS1_3genE10ELNS1_11target_archE1201ELNS1_3gpuE5ELNS1_3repE0EEENS1_30default_config_static_selectorELNS0_4arch9wavefront6targetE0EEEvT1_
    .private_segment_fixed_size: 0
    .sgpr_count:     0
    .sgpr_spill_count: 0
    .symbol:         _ZN7rocprim17ROCPRIM_400000_NS6detail17trampoline_kernelINS0_14default_configENS1_29reduce_by_key_config_selectorIssN6thrust23THRUST_200600_302600_NS4plusIsEEEEZZNS1_33reduce_by_key_impl_wrapped_configILNS1_25lookback_scan_determinismE0ES3_S9_NS6_6detail15normal_iteratorINS6_10device_ptrIsEEEESG_SG_SG_PmS8_22is_equal_div_10_reduceIsEEE10hipError_tPvRmT2_T3_mT4_T5_T6_T7_T8_P12ihipStream_tbENKUlT_T0_E_clISt17integral_constantIbLb1EES11_EEDaSW_SX_EUlSW_E_NS1_11comp_targetILNS1_3genE10ELNS1_11target_archE1201ELNS1_3gpuE5ELNS1_3repE0EEENS1_30default_config_static_selectorELNS0_4arch9wavefront6targetE0EEEvT1_.kd
    .uniform_work_group_size: 1
    .uses_dynamic_stack: false
    .vgpr_count:     0
    .vgpr_spill_count: 0
    .wavefront_size: 32
    .workgroup_processor_mode: 1
  - .args:
      - .offset:         0
        .size:           120
        .value_kind:     by_value
    .group_segment_fixed_size: 0
    .kernarg_segment_align: 8
    .kernarg_segment_size: 120
    .language:       OpenCL C
    .language_version:
      - 2
      - 0
    .max_flat_workgroup_size: 256
    .name:           _ZN7rocprim17ROCPRIM_400000_NS6detail17trampoline_kernelINS0_14default_configENS1_29reduce_by_key_config_selectorIssN6thrust23THRUST_200600_302600_NS4plusIsEEEEZZNS1_33reduce_by_key_impl_wrapped_configILNS1_25lookback_scan_determinismE0ES3_S9_NS6_6detail15normal_iteratorINS6_10device_ptrIsEEEESG_SG_SG_PmS8_22is_equal_div_10_reduceIsEEE10hipError_tPvRmT2_T3_mT4_T5_T6_T7_T8_P12ihipStream_tbENKUlT_T0_E_clISt17integral_constantIbLb1EES11_EEDaSW_SX_EUlSW_E_NS1_11comp_targetILNS1_3genE10ELNS1_11target_archE1200ELNS1_3gpuE4ELNS1_3repE0EEENS1_30default_config_static_selectorELNS0_4arch9wavefront6targetE0EEEvT1_
    .private_segment_fixed_size: 0
    .sgpr_count:     0
    .sgpr_spill_count: 0
    .symbol:         _ZN7rocprim17ROCPRIM_400000_NS6detail17trampoline_kernelINS0_14default_configENS1_29reduce_by_key_config_selectorIssN6thrust23THRUST_200600_302600_NS4plusIsEEEEZZNS1_33reduce_by_key_impl_wrapped_configILNS1_25lookback_scan_determinismE0ES3_S9_NS6_6detail15normal_iteratorINS6_10device_ptrIsEEEESG_SG_SG_PmS8_22is_equal_div_10_reduceIsEEE10hipError_tPvRmT2_T3_mT4_T5_T6_T7_T8_P12ihipStream_tbENKUlT_T0_E_clISt17integral_constantIbLb1EES11_EEDaSW_SX_EUlSW_E_NS1_11comp_targetILNS1_3genE10ELNS1_11target_archE1200ELNS1_3gpuE4ELNS1_3repE0EEENS1_30default_config_static_selectorELNS0_4arch9wavefront6targetE0EEEvT1_.kd
    .uniform_work_group_size: 1
    .uses_dynamic_stack: false
    .vgpr_count:     0
    .vgpr_spill_count: 0
    .wavefront_size: 32
    .workgroup_processor_mode: 1
  - .args:
      - .offset:         0
        .size:           120
        .value_kind:     by_value
    .group_segment_fixed_size: 7680
    .kernarg_segment_align: 8
    .kernarg_segment_size: 120
    .language:       OpenCL C
    .language_version:
      - 2
      - 0
    .max_flat_workgroup_size: 256
    .name:           _ZN7rocprim17ROCPRIM_400000_NS6detail17trampoline_kernelINS0_14default_configENS1_29reduce_by_key_config_selectorIssN6thrust23THRUST_200600_302600_NS4plusIsEEEEZZNS1_33reduce_by_key_impl_wrapped_configILNS1_25lookback_scan_determinismE0ES3_S9_NS6_6detail15normal_iteratorINS6_10device_ptrIsEEEESG_SG_SG_PmS8_22is_equal_div_10_reduceIsEEE10hipError_tPvRmT2_T3_mT4_T5_T6_T7_T8_P12ihipStream_tbENKUlT_T0_E_clISt17integral_constantIbLb1EES11_EEDaSW_SX_EUlSW_E_NS1_11comp_targetILNS1_3genE9ELNS1_11target_archE1100ELNS1_3gpuE3ELNS1_3repE0EEENS1_30default_config_static_selectorELNS0_4arch9wavefront6targetE0EEEvT1_
    .private_segment_fixed_size: 0
    .sgpr_count:     46
    .sgpr_spill_count: 0
    .symbol:         _ZN7rocprim17ROCPRIM_400000_NS6detail17trampoline_kernelINS0_14default_configENS1_29reduce_by_key_config_selectorIssN6thrust23THRUST_200600_302600_NS4plusIsEEEEZZNS1_33reduce_by_key_impl_wrapped_configILNS1_25lookback_scan_determinismE0ES3_S9_NS6_6detail15normal_iteratorINS6_10device_ptrIsEEEESG_SG_SG_PmS8_22is_equal_div_10_reduceIsEEE10hipError_tPvRmT2_T3_mT4_T5_T6_T7_T8_P12ihipStream_tbENKUlT_T0_E_clISt17integral_constantIbLb1EES11_EEDaSW_SX_EUlSW_E_NS1_11comp_targetILNS1_3genE9ELNS1_11target_archE1100ELNS1_3gpuE3ELNS1_3repE0EEENS1_30default_config_static_selectorELNS0_4arch9wavefront6targetE0EEEvT1_.kd
    .uniform_work_group_size: 1
    .uses_dynamic_stack: false
    .vgpr_count:     102
    .vgpr_spill_count: 0
    .wavefront_size: 32
    .workgroup_processor_mode: 1
  - .args:
      - .offset:         0
        .size:           120
        .value_kind:     by_value
    .group_segment_fixed_size: 0
    .kernarg_segment_align: 8
    .kernarg_segment_size: 120
    .language:       OpenCL C
    .language_version:
      - 2
      - 0
    .max_flat_workgroup_size: 256
    .name:           _ZN7rocprim17ROCPRIM_400000_NS6detail17trampoline_kernelINS0_14default_configENS1_29reduce_by_key_config_selectorIssN6thrust23THRUST_200600_302600_NS4plusIsEEEEZZNS1_33reduce_by_key_impl_wrapped_configILNS1_25lookback_scan_determinismE0ES3_S9_NS6_6detail15normal_iteratorINS6_10device_ptrIsEEEESG_SG_SG_PmS8_22is_equal_div_10_reduceIsEEE10hipError_tPvRmT2_T3_mT4_T5_T6_T7_T8_P12ihipStream_tbENKUlT_T0_E_clISt17integral_constantIbLb1EES11_EEDaSW_SX_EUlSW_E_NS1_11comp_targetILNS1_3genE8ELNS1_11target_archE1030ELNS1_3gpuE2ELNS1_3repE0EEENS1_30default_config_static_selectorELNS0_4arch9wavefront6targetE0EEEvT1_
    .private_segment_fixed_size: 0
    .sgpr_count:     0
    .sgpr_spill_count: 0
    .symbol:         _ZN7rocprim17ROCPRIM_400000_NS6detail17trampoline_kernelINS0_14default_configENS1_29reduce_by_key_config_selectorIssN6thrust23THRUST_200600_302600_NS4plusIsEEEEZZNS1_33reduce_by_key_impl_wrapped_configILNS1_25lookback_scan_determinismE0ES3_S9_NS6_6detail15normal_iteratorINS6_10device_ptrIsEEEESG_SG_SG_PmS8_22is_equal_div_10_reduceIsEEE10hipError_tPvRmT2_T3_mT4_T5_T6_T7_T8_P12ihipStream_tbENKUlT_T0_E_clISt17integral_constantIbLb1EES11_EEDaSW_SX_EUlSW_E_NS1_11comp_targetILNS1_3genE8ELNS1_11target_archE1030ELNS1_3gpuE2ELNS1_3repE0EEENS1_30default_config_static_selectorELNS0_4arch9wavefront6targetE0EEEvT1_.kd
    .uniform_work_group_size: 1
    .uses_dynamic_stack: false
    .vgpr_count:     0
    .vgpr_spill_count: 0
    .wavefront_size: 32
    .workgroup_processor_mode: 1
  - .args:
      - .offset:         0
        .size:           120
        .value_kind:     by_value
    .group_segment_fixed_size: 0
    .kernarg_segment_align: 8
    .kernarg_segment_size: 120
    .language:       OpenCL C
    .language_version:
      - 2
      - 0
    .max_flat_workgroup_size: 256
    .name:           _ZN7rocprim17ROCPRIM_400000_NS6detail17trampoline_kernelINS0_14default_configENS1_29reduce_by_key_config_selectorIssN6thrust23THRUST_200600_302600_NS4plusIsEEEEZZNS1_33reduce_by_key_impl_wrapped_configILNS1_25lookback_scan_determinismE0ES3_S9_NS6_6detail15normal_iteratorINS6_10device_ptrIsEEEESG_SG_SG_PmS8_22is_equal_div_10_reduceIsEEE10hipError_tPvRmT2_T3_mT4_T5_T6_T7_T8_P12ihipStream_tbENKUlT_T0_E_clISt17integral_constantIbLb1EES10_IbLb0EEEEDaSW_SX_EUlSW_E_NS1_11comp_targetILNS1_3genE0ELNS1_11target_archE4294967295ELNS1_3gpuE0ELNS1_3repE0EEENS1_30default_config_static_selectorELNS0_4arch9wavefront6targetE0EEEvT1_
    .private_segment_fixed_size: 0
    .sgpr_count:     0
    .sgpr_spill_count: 0
    .symbol:         _ZN7rocprim17ROCPRIM_400000_NS6detail17trampoline_kernelINS0_14default_configENS1_29reduce_by_key_config_selectorIssN6thrust23THRUST_200600_302600_NS4plusIsEEEEZZNS1_33reduce_by_key_impl_wrapped_configILNS1_25lookback_scan_determinismE0ES3_S9_NS6_6detail15normal_iteratorINS6_10device_ptrIsEEEESG_SG_SG_PmS8_22is_equal_div_10_reduceIsEEE10hipError_tPvRmT2_T3_mT4_T5_T6_T7_T8_P12ihipStream_tbENKUlT_T0_E_clISt17integral_constantIbLb1EES10_IbLb0EEEEDaSW_SX_EUlSW_E_NS1_11comp_targetILNS1_3genE0ELNS1_11target_archE4294967295ELNS1_3gpuE0ELNS1_3repE0EEENS1_30default_config_static_selectorELNS0_4arch9wavefront6targetE0EEEvT1_.kd
    .uniform_work_group_size: 1
    .uses_dynamic_stack: false
    .vgpr_count:     0
    .vgpr_spill_count: 0
    .wavefront_size: 32
    .workgroup_processor_mode: 1
  - .args:
      - .offset:         0
        .size:           120
        .value_kind:     by_value
    .group_segment_fixed_size: 0
    .kernarg_segment_align: 8
    .kernarg_segment_size: 120
    .language:       OpenCL C
    .language_version:
      - 2
      - 0
    .max_flat_workgroup_size: 256
    .name:           _ZN7rocprim17ROCPRIM_400000_NS6detail17trampoline_kernelINS0_14default_configENS1_29reduce_by_key_config_selectorIssN6thrust23THRUST_200600_302600_NS4plusIsEEEEZZNS1_33reduce_by_key_impl_wrapped_configILNS1_25lookback_scan_determinismE0ES3_S9_NS6_6detail15normal_iteratorINS6_10device_ptrIsEEEESG_SG_SG_PmS8_22is_equal_div_10_reduceIsEEE10hipError_tPvRmT2_T3_mT4_T5_T6_T7_T8_P12ihipStream_tbENKUlT_T0_E_clISt17integral_constantIbLb1EES10_IbLb0EEEEDaSW_SX_EUlSW_E_NS1_11comp_targetILNS1_3genE5ELNS1_11target_archE942ELNS1_3gpuE9ELNS1_3repE0EEENS1_30default_config_static_selectorELNS0_4arch9wavefront6targetE0EEEvT1_
    .private_segment_fixed_size: 0
    .sgpr_count:     0
    .sgpr_spill_count: 0
    .symbol:         _ZN7rocprim17ROCPRIM_400000_NS6detail17trampoline_kernelINS0_14default_configENS1_29reduce_by_key_config_selectorIssN6thrust23THRUST_200600_302600_NS4plusIsEEEEZZNS1_33reduce_by_key_impl_wrapped_configILNS1_25lookback_scan_determinismE0ES3_S9_NS6_6detail15normal_iteratorINS6_10device_ptrIsEEEESG_SG_SG_PmS8_22is_equal_div_10_reduceIsEEE10hipError_tPvRmT2_T3_mT4_T5_T6_T7_T8_P12ihipStream_tbENKUlT_T0_E_clISt17integral_constantIbLb1EES10_IbLb0EEEEDaSW_SX_EUlSW_E_NS1_11comp_targetILNS1_3genE5ELNS1_11target_archE942ELNS1_3gpuE9ELNS1_3repE0EEENS1_30default_config_static_selectorELNS0_4arch9wavefront6targetE0EEEvT1_.kd
    .uniform_work_group_size: 1
    .uses_dynamic_stack: false
    .vgpr_count:     0
    .vgpr_spill_count: 0
    .wavefront_size: 32
    .workgroup_processor_mode: 1
  - .args:
      - .offset:         0
        .size:           120
        .value_kind:     by_value
    .group_segment_fixed_size: 0
    .kernarg_segment_align: 8
    .kernarg_segment_size: 120
    .language:       OpenCL C
    .language_version:
      - 2
      - 0
    .max_flat_workgroup_size: 256
    .name:           _ZN7rocprim17ROCPRIM_400000_NS6detail17trampoline_kernelINS0_14default_configENS1_29reduce_by_key_config_selectorIssN6thrust23THRUST_200600_302600_NS4plusIsEEEEZZNS1_33reduce_by_key_impl_wrapped_configILNS1_25lookback_scan_determinismE0ES3_S9_NS6_6detail15normal_iteratorINS6_10device_ptrIsEEEESG_SG_SG_PmS8_22is_equal_div_10_reduceIsEEE10hipError_tPvRmT2_T3_mT4_T5_T6_T7_T8_P12ihipStream_tbENKUlT_T0_E_clISt17integral_constantIbLb1EES10_IbLb0EEEEDaSW_SX_EUlSW_E_NS1_11comp_targetILNS1_3genE4ELNS1_11target_archE910ELNS1_3gpuE8ELNS1_3repE0EEENS1_30default_config_static_selectorELNS0_4arch9wavefront6targetE0EEEvT1_
    .private_segment_fixed_size: 0
    .sgpr_count:     0
    .sgpr_spill_count: 0
    .symbol:         _ZN7rocprim17ROCPRIM_400000_NS6detail17trampoline_kernelINS0_14default_configENS1_29reduce_by_key_config_selectorIssN6thrust23THRUST_200600_302600_NS4plusIsEEEEZZNS1_33reduce_by_key_impl_wrapped_configILNS1_25lookback_scan_determinismE0ES3_S9_NS6_6detail15normal_iteratorINS6_10device_ptrIsEEEESG_SG_SG_PmS8_22is_equal_div_10_reduceIsEEE10hipError_tPvRmT2_T3_mT4_T5_T6_T7_T8_P12ihipStream_tbENKUlT_T0_E_clISt17integral_constantIbLb1EES10_IbLb0EEEEDaSW_SX_EUlSW_E_NS1_11comp_targetILNS1_3genE4ELNS1_11target_archE910ELNS1_3gpuE8ELNS1_3repE0EEENS1_30default_config_static_selectorELNS0_4arch9wavefront6targetE0EEEvT1_.kd
    .uniform_work_group_size: 1
    .uses_dynamic_stack: false
    .vgpr_count:     0
    .vgpr_spill_count: 0
    .wavefront_size: 32
    .workgroup_processor_mode: 1
  - .args:
      - .offset:         0
        .size:           120
        .value_kind:     by_value
    .group_segment_fixed_size: 0
    .kernarg_segment_align: 8
    .kernarg_segment_size: 120
    .language:       OpenCL C
    .language_version:
      - 2
      - 0
    .max_flat_workgroup_size: 256
    .name:           _ZN7rocprim17ROCPRIM_400000_NS6detail17trampoline_kernelINS0_14default_configENS1_29reduce_by_key_config_selectorIssN6thrust23THRUST_200600_302600_NS4plusIsEEEEZZNS1_33reduce_by_key_impl_wrapped_configILNS1_25lookback_scan_determinismE0ES3_S9_NS6_6detail15normal_iteratorINS6_10device_ptrIsEEEESG_SG_SG_PmS8_22is_equal_div_10_reduceIsEEE10hipError_tPvRmT2_T3_mT4_T5_T6_T7_T8_P12ihipStream_tbENKUlT_T0_E_clISt17integral_constantIbLb1EES10_IbLb0EEEEDaSW_SX_EUlSW_E_NS1_11comp_targetILNS1_3genE3ELNS1_11target_archE908ELNS1_3gpuE7ELNS1_3repE0EEENS1_30default_config_static_selectorELNS0_4arch9wavefront6targetE0EEEvT1_
    .private_segment_fixed_size: 0
    .sgpr_count:     0
    .sgpr_spill_count: 0
    .symbol:         _ZN7rocprim17ROCPRIM_400000_NS6detail17trampoline_kernelINS0_14default_configENS1_29reduce_by_key_config_selectorIssN6thrust23THRUST_200600_302600_NS4plusIsEEEEZZNS1_33reduce_by_key_impl_wrapped_configILNS1_25lookback_scan_determinismE0ES3_S9_NS6_6detail15normal_iteratorINS6_10device_ptrIsEEEESG_SG_SG_PmS8_22is_equal_div_10_reduceIsEEE10hipError_tPvRmT2_T3_mT4_T5_T6_T7_T8_P12ihipStream_tbENKUlT_T0_E_clISt17integral_constantIbLb1EES10_IbLb0EEEEDaSW_SX_EUlSW_E_NS1_11comp_targetILNS1_3genE3ELNS1_11target_archE908ELNS1_3gpuE7ELNS1_3repE0EEENS1_30default_config_static_selectorELNS0_4arch9wavefront6targetE0EEEvT1_.kd
    .uniform_work_group_size: 1
    .uses_dynamic_stack: false
    .vgpr_count:     0
    .vgpr_spill_count: 0
    .wavefront_size: 32
    .workgroup_processor_mode: 1
  - .args:
      - .offset:         0
        .size:           120
        .value_kind:     by_value
    .group_segment_fixed_size: 0
    .kernarg_segment_align: 8
    .kernarg_segment_size: 120
    .language:       OpenCL C
    .language_version:
      - 2
      - 0
    .max_flat_workgroup_size: 256
    .name:           _ZN7rocprim17ROCPRIM_400000_NS6detail17trampoline_kernelINS0_14default_configENS1_29reduce_by_key_config_selectorIssN6thrust23THRUST_200600_302600_NS4plusIsEEEEZZNS1_33reduce_by_key_impl_wrapped_configILNS1_25lookback_scan_determinismE0ES3_S9_NS6_6detail15normal_iteratorINS6_10device_ptrIsEEEESG_SG_SG_PmS8_22is_equal_div_10_reduceIsEEE10hipError_tPvRmT2_T3_mT4_T5_T6_T7_T8_P12ihipStream_tbENKUlT_T0_E_clISt17integral_constantIbLb1EES10_IbLb0EEEEDaSW_SX_EUlSW_E_NS1_11comp_targetILNS1_3genE2ELNS1_11target_archE906ELNS1_3gpuE6ELNS1_3repE0EEENS1_30default_config_static_selectorELNS0_4arch9wavefront6targetE0EEEvT1_
    .private_segment_fixed_size: 0
    .sgpr_count:     0
    .sgpr_spill_count: 0
    .symbol:         _ZN7rocprim17ROCPRIM_400000_NS6detail17trampoline_kernelINS0_14default_configENS1_29reduce_by_key_config_selectorIssN6thrust23THRUST_200600_302600_NS4plusIsEEEEZZNS1_33reduce_by_key_impl_wrapped_configILNS1_25lookback_scan_determinismE0ES3_S9_NS6_6detail15normal_iteratorINS6_10device_ptrIsEEEESG_SG_SG_PmS8_22is_equal_div_10_reduceIsEEE10hipError_tPvRmT2_T3_mT4_T5_T6_T7_T8_P12ihipStream_tbENKUlT_T0_E_clISt17integral_constantIbLb1EES10_IbLb0EEEEDaSW_SX_EUlSW_E_NS1_11comp_targetILNS1_3genE2ELNS1_11target_archE906ELNS1_3gpuE6ELNS1_3repE0EEENS1_30default_config_static_selectorELNS0_4arch9wavefront6targetE0EEEvT1_.kd
    .uniform_work_group_size: 1
    .uses_dynamic_stack: false
    .vgpr_count:     0
    .vgpr_spill_count: 0
    .wavefront_size: 32
    .workgroup_processor_mode: 1
  - .args:
      - .offset:         0
        .size:           120
        .value_kind:     by_value
    .group_segment_fixed_size: 0
    .kernarg_segment_align: 8
    .kernarg_segment_size: 120
    .language:       OpenCL C
    .language_version:
      - 2
      - 0
    .max_flat_workgroup_size: 256
    .name:           _ZN7rocprim17ROCPRIM_400000_NS6detail17trampoline_kernelINS0_14default_configENS1_29reduce_by_key_config_selectorIssN6thrust23THRUST_200600_302600_NS4plusIsEEEEZZNS1_33reduce_by_key_impl_wrapped_configILNS1_25lookback_scan_determinismE0ES3_S9_NS6_6detail15normal_iteratorINS6_10device_ptrIsEEEESG_SG_SG_PmS8_22is_equal_div_10_reduceIsEEE10hipError_tPvRmT2_T3_mT4_T5_T6_T7_T8_P12ihipStream_tbENKUlT_T0_E_clISt17integral_constantIbLb1EES10_IbLb0EEEEDaSW_SX_EUlSW_E_NS1_11comp_targetILNS1_3genE10ELNS1_11target_archE1201ELNS1_3gpuE5ELNS1_3repE0EEENS1_30default_config_static_selectorELNS0_4arch9wavefront6targetE0EEEvT1_
    .private_segment_fixed_size: 0
    .sgpr_count:     0
    .sgpr_spill_count: 0
    .symbol:         _ZN7rocprim17ROCPRIM_400000_NS6detail17trampoline_kernelINS0_14default_configENS1_29reduce_by_key_config_selectorIssN6thrust23THRUST_200600_302600_NS4plusIsEEEEZZNS1_33reduce_by_key_impl_wrapped_configILNS1_25lookback_scan_determinismE0ES3_S9_NS6_6detail15normal_iteratorINS6_10device_ptrIsEEEESG_SG_SG_PmS8_22is_equal_div_10_reduceIsEEE10hipError_tPvRmT2_T3_mT4_T5_T6_T7_T8_P12ihipStream_tbENKUlT_T0_E_clISt17integral_constantIbLb1EES10_IbLb0EEEEDaSW_SX_EUlSW_E_NS1_11comp_targetILNS1_3genE10ELNS1_11target_archE1201ELNS1_3gpuE5ELNS1_3repE0EEENS1_30default_config_static_selectorELNS0_4arch9wavefront6targetE0EEEvT1_.kd
    .uniform_work_group_size: 1
    .uses_dynamic_stack: false
    .vgpr_count:     0
    .vgpr_spill_count: 0
    .wavefront_size: 32
    .workgroup_processor_mode: 1
  - .args:
      - .offset:         0
        .size:           120
        .value_kind:     by_value
    .group_segment_fixed_size: 0
    .kernarg_segment_align: 8
    .kernarg_segment_size: 120
    .language:       OpenCL C
    .language_version:
      - 2
      - 0
    .max_flat_workgroup_size: 256
    .name:           _ZN7rocprim17ROCPRIM_400000_NS6detail17trampoline_kernelINS0_14default_configENS1_29reduce_by_key_config_selectorIssN6thrust23THRUST_200600_302600_NS4plusIsEEEEZZNS1_33reduce_by_key_impl_wrapped_configILNS1_25lookback_scan_determinismE0ES3_S9_NS6_6detail15normal_iteratorINS6_10device_ptrIsEEEESG_SG_SG_PmS8_22is_equal_div_10_reduceIsEEE10hipError_tPvRmT2_T3_mT4_T5_T6_T7_T8_P12ihipStream_tbENKUlT_T0_E_clISt17integral_constantIbLb1EES10_IbLb0EEEEDaSW_SX_EUlSW_E_NS1_11comp_targetILNS1_3genE10ELNS1_11target_archE1200ELNS1_3gpuE4ELNS1_3repE0EEENS1_30default_config_static_selectorELNS0_4arch9wavefront6targetE0EEEvT1_
    .private_segment_fixed_size: 0
    .sgpr_count:     0
    .sgpr_spill_count: 0
    .symbol:         _ZN7rocprim17ROCPRIM_400000_NS6detail17trampoline_kernelINS0_14default_configENS1_29reduce_by_key_config_selectorIssN6thrust23THRUST_200600_302600_NS4plusIsEEEEZZNS1_33reduce_by_key_impl_wrapped_configILNS1_25lookback_scan_determinismE0ES3_S9_NS6_6detail15normal_iteratorINS6_10device_ptrIsEEEESG_SG_SG_PmS8_22is_equal_div_10_reduceIsEEE10hipError_tPvRmT2_T3_mT4_T5_T6_T7_T8_P12ihipStream_tbENKUlT_T0_E_clISt17integral_constantIbLb1EES10_IbLb0EEEEDaSW_SX_EUlSW_E_NS1_11comp_targetILNS1_3genE10ELNS1_11target_archE1200ELNS1_3gpuE4ELNS1_3repE0EEENS1_30default_config_static_selectorELNS0_4arch9wavefront6targetE0EEEvT1_.kd
    .uniform_work_group_size: 1
    .uses_dynamic_stack: false
    .vgpr_count:     0
    .vgpr_spill_count: 0
    .wavefront_size: 32
    .workgroup_processor_mode: 1
  - .args:
      - .offset:         0
        .size:           120
        .value_kind:     by_value
    .group_segment_fixed_size: 7680
    .kernarg_segment_align: 8
    .kernarg_segment_size: 120
    .language:       OpenCL C
    .language_version:
      - 2
      - 0
    .max_flat_workgroup_size: 256
    .name:           _ZN7rocprim17ROCPRIM_400000_NS6detail17trampoline_kernelINS0_14default_configENS1_29reduce_by_key_config_selectorIssN6thrust23THRUST_200600_302600_NS4plusIsEEEEZZNS1_33reduce_by_key_impl_wrapped_configILNS1_25lookback_scan_determinismE0ES3_S9_NS6_6detail15normal_iteratorINS6_10device_ptrIsEEEESG_SG_SG_PmS8_22is_equal_div_10_reduceIsEEE10hipError_tPvRmT2_T3_mT4_T5_T6_T7_T8_P12ihipStream_tbENKUlT_T0_E_clISt17integral_constantIbLb1EES10_IbLb0EEEEDaSW_SX_EUlSW_E_NS1_11comp_targetILNS1_3genE9ELNS1_11target_archE1100ELNS1_3gpuE3ELNS1_3repE0EEENS1_30default_config_static_selectorELNS0_4arch9wavefront6targetE0EEEvT1_
    .private_segment_fixed_size: 0
    .sgpr_count:     46
    .sgpr_spill_count: 0
    .symbol:         _ZN7rocprim17ROCPRIM_400000_NS6detail17trampoline_kernelINS0_14default_configENS1_29reduce_by_key_config_selectorIssN6thrust23THRUST_200600_302600_NS4plusIsEEEEZZNS1_33reduce_by_key_impl_wrapped_configILNS1_25lookback_scan_determinismE0ES3_S9_NS6_6detail15normal_iteratorINS6_10device_ptrIsEEEESG_SG_SG_PmS8_22is_equal_div_10_reduceIsEEE10hipError_tPvRmT2_T3_mT4_T5_T6_T7_T8_P12ihipStream_tbENKUlT_T0_E_clISt17integral_constantIbLb1EES10_IbLb0EEEEDaSW_SX_EUlSW_E_NS1_11comp_targetILNS1_3genE9ELNS1_11target_archE1100ELNS1_3gpuE3ELNS1_3repE0EEENS1_30default_config_static_selectorELNS0_4arch9wavefront6targetE0EEEvT1_.kd
    .uniform_work_group_size: 1
    .uses_dynamic_stack: false
    .vgpr_count:     102
    .vgpr_spill_count: 0
    .wavefront_size: 32
    .workgroup_processor_mode: 1
  - .args:
      - .offset:         0
        .size:           120
        .value_kind:     by_value
    .group_segment_fixed_size: 0
    .kernarg_segment_align: 8
    .kernarg_segment_size: 120
    .language:       OpenCL C
    .language_version:
      - 2
      - 0
    .max_flat_workgroup_size: 256
    .name:           _ZN7rocprim17ROCPRIM_400000_NS6detail17trampoline_kernelINS0_14default_configENS1_29reduce_by_key_config_selectorIssN6thrust23THRUST_200600_302600_NS4plusIsEEEEZZNS1_33reduce_by_key_impl_wrapped_configILNS1_25lookback_scan_determinismE0ES3_S9_NS6_6detail15normal_iteratorINS6_10device_ptrIsEEEESG_SG_SG_PmS8_22is_equal_div_10_reduceIsEEE10hipError_tPvRmT2_T3_mT4_T5_T6_T7_T8_P12ihipStream_tbENKUlT_T0_E_clISt17integral_constantIbLb1EES10_IbLb0EEEEDaSW_SX_EUlSW_E_NS1_11comp_targetILNS1_3genE8ELNS1_11target_archE1030ELNS1_3gpuE2ELNS1_3repE0EEENS1_30default_config_static_selectorELNS0_4arch9wavefront6targetE0EEEvT1_
    .private_segment_fixed_size: 0
    .sgpr_count:     0
    .sgpr_spill_count: 0
    .symbol:         _ZN7rocprim17ROCPRIM_400000_NS6detail17trampoline_kernelINS0_14default_configENS1_29reduce_by_key_config_selectorIssN6thrust23THRUST_200600_302600_NS4plusIsEEEEZZNS1_33reduce_by_key_impl_wrapped_configILNS1_25lookback_scan_determinismE0ES3_S9_NS6_6detail15normal_iteratorINS6_10device_ptrIsEEEESG_SG_SG_PmS8_22is_equal_div_10_reduceIsEEE10hipError_tPvRmT2_T3_mT4_T5_T6_T7_T8_P12ihipStream_tbENKUlT_T0_E_clISt17integral_constantIbLb1EES10_IbLb0EEEEDaSW_SX_EUlSW_E_NS1_11comp_targetILNS1_3genE8ELNS1_11target_archE1030ELNS1_3gpuE2ELNS1_3repE0EEENS1_30default_config_static_selectorELNS0_4arch9wavefront6targetE0EEEvT1_.kd
    .uniform_work_group_size: 1
    .uses_dynamic_stack: false
    .vgpr_count:     0
    .vgpr_spill_count: 0
    .wavefront_size: 32
    .workgroup_processor_mode: 1
  - .args:
      - .offset:         0
        .size:           120
        .value_kind:     by_value
    .group_segment_fixed_size: 0
    .kernarg_segment_align: 8
    .kernarg_segment_size: 120
    .language:       OpenCL C
    .language_version:
      - 2
      - 0
    .max_flat_workgroup_size: 256
    .name:           _ZN7rocprim17ROCPRIM_400000_NS6detail17trampoline_kernelINS0_14default_configENS1_29reduce_by_key_config_selectorIssN6thrust23THRUST_200600_302600_NS4plusIsEEEEZZNS1_33reduce_by_key_impl_wrapped_configILNS1_25lookback_scan_determinismE0ES3_S9_NS6_6detail15normal_iteratorINS6_10device_ptrIsEEEESG_SG_SG_PmS8_22is_equal_div_10_reduceIsEEE10hipError_tPvRmT2_T3_mT4_T5_T6_T7_T8_P12ihipStream_tbENKUlT_T0_E_clISt17integral_constantIbLb0EES10_IbLb1EEEEDaSW_SX_EUlSW_E_NS1_11comp_targetILNS1_3genE0ELNS1_11target_archE4294967295ELNS1_3gpuE0ELNS1_3repE0EEENS1_30default_config_static_selectorELNS0_4arch9wavefront6targetE0EEEvT1_
    .private_segment_fixed_size: 0
    .sgpr_count:     0
    .sgpr_spill_count: 0
    .symbol:         _ZN7rocprim17ROCPRIM_400000_NS6detail17trampoline_kernelINS0_14default_configENS1_29reduce_by_key_config_selectorIssN6thrust23THRUST_200600_302600_NS4plusIsEEEEZZNS1_33reduce_by_key_impl_wrapped_configILNS1_25lookback_scan_determinismE0ES3_S9_NS6_6detail15normal_iteratorINS6_10device_ptrIsEEEESG_SG_SG_PmS8_22is_equal_div_10_reduceIsEEE10hipError_tPvRmT2_T3_mT4_T5_T6_T7_T8_P12ihipStream_tbENKUlT_T0_E_clISt17integral_constantIbLb0EES10_IbLb1EEEEDaSW_SX_EUlSW_E_NS1_11comp_targetILNS1_3genE0ELNS1_11target_archE4294967295ELNS1_3gpuE0ELNS1_3repE0EEENS1_30default_config_static_selectorELNS0_4arch9wavefront6targetE0EEEvT1_.kd
    .uniform_work_group_size: 1
    .uses_dynamic_stack: false
    .vgpr_count:     0
    .vgpr_spill_count: 0
    .wavefront_size: 32
    .workgroup_processor_mode: 1
  - .args:
      - .offset:         0
        .size:           120
        .value_kind:     by_value
    .group_segment_fixed_size: 0
    .kernarg_segment_align: 8
    .kernarg_segment_size: 120
    .language:       OpenCL C
    .language_version:
      - 2
      - 0
    .max_flat_workgroup_size: 256
    .name:           _ZN7rocprim17ROCPRIM_400000_NS6detail17trampoline_kernelINS0_14default_configENS1_29reduce_by_key_config_selectorIssN6thrust23THRUST_200600_302600_NS4plusIsEEEEZZNS1_33reduce_by_key_impl_wrapped_configILNS1_25lookback_scan_determinismE0ES3_S9_NS6_6detail15normal_iteratorINS6_10device_ptrIsEEEESG_SG_SG_PmS8_22is_equal_div_10_reduceIsEEE10hipError_tPvRmT2_T3_mT4_T5_T6_T7_T8_P12ihipStream_tbENKUlT_T0_E_clISt17integral_constantIbLb0EES10_IbLb1EEEEDaSW_SX_EUlSW_E_NS1_11comp_targetILNS1_3genE5ELNS1_11target_archE942ELNS1_3gpuE9ELNS1_3repE0EEENS1_30default_config_static_selectorELNS0_4arch9wavefront6targetE0EEEvT1_
    .private_segment_fixed_size: 0
    .sgpr_count:     0
    .sgpr_spill_count: 0
    .symbol:         _ZN7rocprim17ROCPRIM_400000_NS6detail17trampoline_kernelINS0_14default_configENS1_29reduce_by_key_config_selectorIssN6thrust23THRUST_200600_302600_NS4plusIsEEEEZZNS1_33reduce_by_key_impl_wrapped_configILNS1_25lookback_scan_determinismE0ES3_S9_NS6_6detail15normal_iteratorINS6_10device_ptrIsEEEESG_SG_SG_PmS8_22is_equal_div_10_reduceIsEEE10hipError_tPvRmT2_T3_mT4_T5_T6_T7_T8_P12ihipStream_tbENKUlT_T0_E_clISt17integral_constantIbLb0EES10_IbLb1EEEEDaSW_SX_EUlSW_E_NS1_11comp_targetILNS1_3genE5ELNS1_11target_archE942ELNS1_3gpuE9ELNS1_3repE0EEENS1_30default_config_static_selectorELNS0_4arch9wavefront6targetE0EEEvT1_.kd
    .uniform_work_group_size: 1
    .uses_dynamic_stack: false
    .vgpr_count:     0
    .vgpr_spill_count: 0
    .wavefront_size: 32
    .workgroup_processor_mode: 1
  - .args:
      - .offset:         0
        .size:           120
        .value_kind:     by_value
    .group_segment_fixed_size: 0
    .kernarg_segment_align: 8
    .kernarg_segment_size: 120
    .language:       OpenCL C
    .language_version:
      - 2
      - 0
    .max_flat_workgroup_size: 256
    .name:           _ZN7rocprim17ROCPRIM_400000_NS6detail17trampoline_kernelINS0_14default_configENS1_29reduce_by_key_config_selectorIssN6thrust23THRUST_200600_302600_NS4plusIsEEEEZZNS1_33reduce_by_key_impl_wrapped_configILNS1_25lookback_scan_determinismE0ES3_S9_NS6_6detail15normal_iteratorINS6_10device_ptrIsEEEESG_SG_SG_PmS8_22is_equal_div_10_reduceIsEEE10hipError_tPvRmT2_T3_mT4_T5_T6_T7_T8_P12ihipStream_tbENKUlT_T0_E_clISt17integral_constantIbLb0EES10_IbLb1EEEEDaSW_SX_EUlSW_E_NS1_11comp_targetILNS1_3genE4ELNS1_11target_archE910ELNS1_3gpuE8ELNS1_3repE0EEENS1_30default_config_static_selectorELNS0_4arch9wavefront6targetE0EEEvT1_
    .private_segment_fixed_size: 0
    .sgpr_count:     0
    .sgpr_spill_count: 0
    .symbol:         _ZN7rocprim17ROCPRIM_400000_NS6detail17trampoline_kernelINS0_14default_configENS1_29reduce_by_key_config_selectorIssN6thrust23THRUST_200600_302600_NS4plusIsEEEEZZNS1_33reduce_by_key_impl_wrapped_configILNS1_25lookback_scan_determinismE0ES3_S9_NS6_6detail15normal_iteratorINS6_10device_ptrIsEEEESG_SG_SG_PmS8_22is_equal_div_10_reduceIsEEE10hipError_tPvRmT2_T3_mT4_T5_T6_T7_T8_P12ihipStream_tbENKUlT_T0_E_clISt17integral_constantIbLb0EES10_IbLb1EEEEDaSW_SX_EUlSW_E_NS1_11comp_targetILNS1_3genE4ELNS1_11target_archE910ELNS1_3gpuE8ELNS1_3repE0EEENS1_30default_config_static_selectorELNS0_4arch9wavefront6targetE0EEEvT1_.kd
    .uniform_work_group_size: 1
    .uses_dynamic_stack: false
    .vgpr_count:     0
    .vgpr_spill_count: 0
    .wavefront_size: 32
    .workgroup_processor_mode: 1
  - .args:
      - .offset:         0
        .size:           120
        .value_kind:     by_value
    .group_segment_fixed_size: 0
    .kernarg_segment_align: 8
    .kernarg_segment_size: 120
    .language:       OpenCL C
    .language_version:
      - 2
      - 0
    .max_flat_workgroup_size: 256
    .name:           _ZN7rocprim17ROCPRIM_400000_NS6detail17trampoline_kernelINS0_14default_configENS1_29reduce_by_key_config_selectorIssN6thrust23THRUST_200600_302600_NS4plusIsEEEEZZNS1_33reduce_by_key_impl_wrapped_configILNS1_25lookback_scan_determinismE0ES3_S9_NS6_6detail15normal_iteratorINS6_10device_ptrIsEEEESG_SG_SG_PmS8_22is_equal_div_10_reduceIsEEE10hipError_tPvRmT2_T3_mT4_T5_T6_T7_T8_P12ihipStream_tbENKUlT_T0_E_clISt17integral_constantIbLb0EES10_IbLb1EEEEDaSW_SX_EUlSW_E_NS1_11comp_targetILNS1_3genE3ELNS1_11target_archE908ELNS1_3gpuE7ELNS1_3repE0EEENS1_30default_config_static_selectorELNS0_4arch9wavefront6targetE0EEEvT1_
    .private_segment_fixed_size: 0
    .sgpr_count:     0
    .sgpr_spill_count: 0
    .symbol:         _ZN7rocprim17ROCPRIM_400000_NS6detail17trampoline_kernelINS0_14default_configENS1_29reduce_by_key_config_selectorIssN6thrust23THRUST_200600_302600_NS4plusIsEEEEZZNS1_33reduce_by_key_impl_wrapped_configILNS1_25lookback_scan_determinismE0ES3_S9_NS6_6detail15normal_iteratorINS6_10device_ptrIsEEEESG_SG_SG_PmS8_22is_equal_div_10_reduceIsEEE10hipError_tPvRmT2_T3_mT4_T5_T6_T7_T8_P12ihipStream_tbENKUlT_T0_E_clISt17integral_constantIbLb0EES10_IbLb1EEEEDaSW_SX_EUlSW_E_NS1_11comp_targetILNS1_3genE3ELNS1_11target_archE908ELNS1_3gpuE7ELNS1_3repE0EEENS1_30default_config_static_selectorELNS0_4arch9wavefront6targetE0EEEvT1_.kd
    .uniform_work_group_size: 1
    .uses_dynamic_stack: false
    .vgpr_count:     0
    .vgpr_spill_count: 0
    .wavefront_size: 32
    .workgroup_processor_mode: 1
  - .args:
      - .offset:         0
        .size:           120
        .value_kind:     by_value
    .group_segment_fixed_size: 0
    .kernarg_segment_align: 8
    .kernarg_segment_size: 120
    .language:       OpenCL C
    .language_version:
      - 2
      - 0
    .max_flat_workgroup_size: 256
    .name:           _ZN7rocprim17ROCPRIM_400000_NS6detail17trampoline_kernelINS0_14default_configENS1_29reduce_by_key_config_selectorIssN6thrust23THRUST_200600_302600_NS4plusIsEEEEZZNS1_33reduce_by_key_impl_wrapped_configILNS1_25lookback_scan_determinismE0ES3_S9_NS6_6detail15normal_iteratorINS6_10device_ptrIsEEEESG_SG_SG_PmS8_22is_equal_div_10_reduceIsEEE10hipError_tPvRmT2_T3_mT4_T5_T6_T7_T8_P12ihipStream_tbENKUlT_T0_E_clISt17integral_constantIbLb0EES10_IbLb1EEEEDaSW_SX_EUlSW_E_NS1_11comp_targetILNS1_3genE2ELNS1_11target_archE906ELNS1_3gpuE6ELNS1_3repE0EEENS1_30default_config_static_selectorELNS0_4arch9wavefront6targetE0EEEvT1_
    .private_segment_fixed_size: 0
    .sgpr_count:     0
    .sgpr_spill_count: 0
    .symbol:         _ZN7rocprim17ROCPRIM_400000_NS6detail17trampoline_kernelINS0_14default_configENS1_29reduce_by_key_config_selectorIssN6thrust23THRUST_200600_302600_NS4plusIsEEEEZZNS1_33reduce_by_key_impl_wrapped_configILNS1_25lookback_scan_determinismE0ES3_S9_NS6_6detail15normal_iteratorINS6_10device_ptrIsEEEESG_SG_SG_PmS8_22is_equal_div_10_reduceIsEEE10hipError_tPvRmT2_T3_mT4_T5_T6_T7_T8_P12ihipStream_tbENKUlT_T0_E_clISt17integral_constantIbLb0EES10_IbLb1EEEEDaSW_SX_EUlSW_E_NS1_11comp_targetILNS1_3genE2ELNS1_11target_archE906ELNS1_3gpuE6ELNS1_3repE0EEENS1_30default_config_static_selectorELNS0_4arch9wavefront6targetE0EEEvT1_.kd
    .uniform_work_group_size: 1
    .uses_dynamic_stack: false
    .vgpr_count:     0
    .vgpr_spill_count: 0
    .wavefront_size: 32
    .workgroup_processor_mode: 1
  - .args:
      - .offset:         0
        .size:           120
        .value_kind:     by_value
    .group_segment_fixed_size: 0
    .kernarg_segment_align: 8
    .kernarg_segment_size: 120
    .language:       OpenCL C
    .language_version:
      - 2
      - 0
    .max_flat_workgroup_size: 256
    .name:           _ZN7rocprim17ROCPRIM_400000_NS6detail17trampoline_kernelINS0_14default_configENS1_29reduce_by_key_config_selectorIssN6thrust23THRUST_200600_302600_NS4plusIsEEEEZZNS1_33reduce_by_key_impl_wrapped_configILNS1_25lookback_scan_determinismE0ES3_S9_NS6_6detail15normal_iteratorINS6_10device_ptrIsEEEESG_SG_SG_PmS8_22is_equal_div_10_reduceIsEEE10hipError_tPvRmT2_T3_mT4_T5_T6_T7_T8_P12ihipStream_tbENKUlT_T0_E_clISt17integral_constantIbLb0EES10_IbLb1EEEEDaSW_SX_EUlSW_E_NS1_11comp_targetILNS1_3genE10ELNS1_11target_archE1201ELNS1_3gpuE5ELNS1_3repE0EEENS1_30default_config_static_selectorELNS0_4arch9wavefront6targetE0EEEvT1_
    .private_segment_fixed_size: 0
    .sgpr_count:     0
    .sgpr_spill_count: 0
    .symbol:         _ZN7rocprim17ROCPRIM_400000_NS6detail17trampoline_kernelINS0_14default_configENS1_29reduce_by_key_config_selectorIssN6thrust23THRUST_200600_302600_NS4plusIsEEEEZZNS1_33reduce_by_key_impl_wrapped_configILNS1_25lookback_scan_determinismE0ES3_S9_NS6_6detail15normal_iteratorINS6_10device_ptrIsEEEESG_SG_SG_PmS8_22is_equal_div_10_reduceIsEEE10hipError_tPvRmT2_T3_mT4_T5_T6_T7_T8_P12ihipStream_tbENKUlT_T0_E_clISt17integral_constantIbLb0EES10_IbLb1EEEEDaSW_SX_EUlSW_E_NS1_11comp_targetILNS1_3genE10ELNS1_11target_archE1201ELNS1_3gpuE5ELNS1_3repE0EEENS1_30default_config_static_selectorELNS0_4arch9wavefront6targetE0EEEvT1_.kd
    .uniform_work_group_size: 1
    .uses_dynamic_stack: false
    .vgpr_count:     0
    .vgpr_spill_count: 0
    .wavefront_size: 32
    .workgroup_processor_mode: 1
  - .args:
      - .offset:         0
        .size:           120
        .value_kind:     by_value
    .group_segment_fixed_size: 0
    .kernarg_segment_align: 8
    .kernarg_segment_size: 120
    .language:       OpenCL C
    .language_version:
      - 2
      - 0
    .max_flat_workgroup_size: 256
    .name:           _ZN7rocprim17ROCPRIM_400000_NS6detail17trampoline_kernelINS0_14default_configENS1_29reduce_by_key_config_selectorIssN6thrust23THRUST_200600_302600_NS4plusIsEEEEZZNS1_33reduce_by_key_impl_wrapped_configILNS1_25lookback_scan_determinismE0ES3_S9_NS6_6detail15normal_iteratorINS6_10device_ptrIsEEEESG_SG_SG_PmS8_22is_equal_div_10_reduceIsEEE10hipError_tPvRmT2_T3_mT4_T5_T6_T7_T8_P12ihipStream_tbENKUlT_T0_E_clISt17integral_constantIbLb0EES10_IbLb1EEEEDaSW_SX_EUlSW_E_NS1_11comp_targetILNS1_3genE10ELNS1_11target_archE1200ELNS1_3gpuE4ELNS1_3repE0EEENS1_30default_config_static_selectorELNS0_4arch9wavefront6targetE0EEEvT1_
    .private_segment_fixed_size: 0
    .sgpr_count:     0
    .sgpr_spill_count: 0
    .symbol:         _ZN7rocprim17ROCPRIM_400000_NS6detail17trampoline_kernelINS0_14default_configENS1_29reduce_by_key_config_selectorIssN6thrust23THRUST_200600_302600_NS4plusIsEEEEZZNS1_33reduce_by_key_impl_wrapped_configILNS1_25lookback_scan_determinismE0ES3_S9_NS6_6detail15normal_iteratorINS6_10device_ptrIsEEEESG_SG_SG_PmS8_22is_equal_div_10_reduceIsEEE10hipError_tPvRmT2_T3_mT4_T5_T6_T7_T8_P12ihipStream_tbENKUlT_T0_E_clISt17integral_constantIbLb0EES10_IbLb1EEEEDaSW_SX_EUlSW_E_NS1_11comp_targetILNS1_3genE10ELNS1_11target_archE1200ELNS1_3gpuE4ELNS1_3repE0EEENS1_30default_config_static_selectorELNS0_4arch9wavefront6targetE0EEEvT1_.kd
    .uniform_work_group_size: 1
    .uses_dynamic_stack: false
    .vgpr_count:     0
    .vgpr_spill_count: 0
    .wavefront_size: 32
    .workgroup_processor_mode: 1
  - .args:
      - .offset:         0
        .size:           120
        .value_kind:     by_value
    .group_segment_fixed_size: 7680
    .kernarg_segment_align: 8
    .kernarg_segment_size: 120
    .language:       OpenCL C
    .language_version:
      - 2
      - 0
    .max_flat_workgroup_size: 256
    .name:           _ZN7rocprim17ROCPRIM_400000_NS6detail17trampoline_kernelINS0_14default_configENS1_29reduce_by_key_config_selectorIssN6thrust23THRUST_200600_302600_NS4plusIsEEEEZZNS1_33reduce_by_key_impl_wrapped_configILNS1_25lookback_scan_determinismE0ES3_S9_NS6_6detail15normal_iteratorINS6_10device_ptrIsEEEESG_SG_SG_PmS8_22is_equal_div_10_reduceIsEEE10hipError_tPvRmT2_T3_mT4_T5_T6_T7_T8_P12ihipStream_tbENKUlT_T0_E_clISt17integral_constantIbLb0EES10_IbLb1EEEEDaSW_SX_EUlSW_E_NS1_11comp_targetILNS1_3genE9ELNS1_11target_archE1100ELNS1_3gpuE3ELNS1_3repE0EEENS1_30default_config_static_selectorELNS0_4arch9wavefront6targetE0EEEvT1_
    .private_segment_fixed_size: 0
    .sgpr_count:     46
    .sgpr_spill_count: 0
    .symbol:         _ZN7rocprim17ROCPRIM_400000_NS6detail17trampoline_kernelINS0_14default_configENS1_29reduce_by_key_config_selectorIssN6thrust23THRUST_200600_302600_NS4plusIsEEEEZZNS1_33reduce_by_key_impl_wrapped_configILNS1_25lookback_scan_determinismE0ES3_S9_NS6_6detail15normal_iteratorINS6_10device_ptrIsEEEESG_SG_SG_PmS8_22is_equal_div_10_reduceIsEEE10hipError_tPvRmT2_T3_mT4_T5_T6_T7_T8_P12ihipStream_tbENKUlT_T0_E_clISt17integral_constantIbLb0EES10_IbLb1EEEEDaSW_SX_EUlSW_E_NS1_11comp_targetILNS1_3genE9ELNS1_11target_archE1100ELNS1_3gpuE3ELNS1_3repE0EEENS1_30default_config_static_selectorELNS0_4arch9wavefront6targetE0EEEvT1_.kd
    .uniform_work_group_size: 1
    .uses_dynamic_stack: false
    .vgpr_count:     102
    .vgpr_spill_count: 0
    .wavefront_size: 32
    .workgroup_processor_mode: 1
  - .args:
      - .offset:         0
        .size:           120
        .value_kind:     by_value
    .group_segment_fixed_size: 0
    .kernarg_segment_align: 8
    .kernarg_segment_size: 120
    .language:       OpenCL C
    .language_version:
      - 2
      - 0
    .max_flat_workgroup_size: 256
    .name:           _ZN7rocprim17ROCPRIM_400000_NS6detail17trampoline_kernelINS0_14default_configENS1_29reduce_by_key_config_selectorIssN6thrust23THRUST_200600_302600_NS4plusIsEEEEZZNS1_33reduce_by_key_impl_wrapped_configILNS1_25lookback_scan_determinismE0ES3_S9_NS6_6detail15normal_iteratorINS6_10device_ptrIsEEEESG_SG_SG_PmS8_22is_equal_div_10_reduceIsEEE10hipError_tPvRmT2_T3_mT4_T5_T6_T7_T8_P12ihipStream_tbENKUlT_T0_E_clISt17integral_constantIbLb0EES10_IbLb1EEEEDaSW_SX_EUlSW_E_NS1_11comp_targetILNS1_3genE8ELNS1_11target_archE1030ELNS1_3gpuE2ELNS1_3repE0EEENS1_30default_config_static_selectorELNS0_4arch9wavefront6targetE0EEEvT1_
    .private_segment_fixed_size: 0
    .sgpr_count:     0
    .sgpr_spill_count: 0
    .symbol:         _ZN7rocprim17ROCPRIM_400000_NS6detail17trampoline_kernelINS0_14default_configENS1_29reduce_by_key_config_selectorIssN6thrust23THRUST_200600_302600_NS4plusIsEEEEZZNS1_33reduce_by_key_impl_wrapped_configILNS1_25lookback_scan_determinismE0ES3_S9_NS6_6detail15normal_iteratorINS6_10device_ptrIsEEEESG_SG_SG_PmS8_22is_equal_div_10_reduceIsEEE10hipError_tPvRmT2_T3_mT4_T5_T6_T7_T8_P12ihipStream_tbENKUlT_T0_E_clISt17integral_constantIbLb0EES10_IbLb1EEEEDaSW_SX_EUlSW_E_NS1_11comp_targetILNS1_3genE8ELNS1_11target_archE1030ELNS1_3gpuE2ELNS1_3repE0EEENS1_30default_config_static_selectorELNS0_4arch9wavefront6targetE0EEEvT1_.kd
    .uniform_work_group_size: 1
    .uses_dynamic_stack: false
    .vgpr_count:     0
    .vgpr_spill_count: 0
    .wavefront_size: 32
    .workgroup_processor_mode: 1
  - .args:
      - .offset:         0
        .size:           120
        .value_kind:     by_value
    .group_segment_fixed_size: 0
    .kernarg_segment_align: 8
    .kernarg_segment_size: 120
    .language:       OpenCL C
    .language_version:
      - 2
      - 0
    .max_flat_workgroup_size: 256
    .name:           _ZN7rocprim17ROCPRIM_400000_NS6detail17trampoline_kernelINS0_14default_configENS1_29reduce_by_key_config_selectorIyjN6thrust23THRUST_200600_302600_NS4plusIjEEEEZZNS1_33reduce_by_key_impl_wrapped_configILNS1_25lookback_scan_determinismE0ES3_S9_NS6_6detail15normal_iteratorINS6_10device_ptrIyEEEENSD_INSE_IjEEEESG_SI_PmS8_NS6_8equal_toIyEEEE10hipError_tPvRmT2_T3_mT4_T5_T6_T7_T8_P12ihipStream_tbENKUlT_T0_E_clISt17integral_constantIbLb0EES13_EEDaSY_SZ_EUlSY_E_NS1_11comp_targetILNS1_3genE0ELNS1_11target_archE4294967295ELNS1_3gpuE0ELNS1_3repE0EEENS1_30default_config_static_selectorELNS0_4arch9wavefront6targetE0EEEvT1_
    .private_segment_fixed_size: 0
    .sgpr_count:     0
    .sgpr_spill_count: 0
    .symbol:         _ZN7rocprim17ROCPRIM_400000_NS6detail17trampoline_kernelINS0_14default_configENS1_29reduce_by_key_config_selectorIyjN6thrust23THRUST_200600_302600_NS4plusIjEEEEZZNS1_33reduce_by_key_impl_wrapped_configILNS1_25lookback_scan_determinismE0ES3_S9_NS6_6detail15normal_iteratorINS6_10device_ptrIyEEEENSD_INSE_IjEEEESG_SI_PmS8_NS6_8equal_toIyEEEE10hipError_tPvRmT2_T3_mT4_T5_T6_T7_T8_P12ihipStream_tbENKUlT_T0_E_clISt17integral_constantIbLb0EES13_EEDaSY_SZ_EUlSY_E_NS1_11comp_targetILNS1_3genE0ELNS1_11target_archE4294967295ELNS1_3gpuE0ELNS1_3repE0EEENS1_30default_config_static_selectorELNS0_4arch9wavefront6targetE0EEEvT1_.kd
    .uniform_work_group_size: 1
    .uses_dynamic_stack: false
    .vgpr_count:     0
    .vgpr_spill_count: 0
    .wavefront_size: 32
    .workgroup_processor_mode: 1
  - .args:
      - .offset:         0
        .size:           120
        .value_kind:     by_value
    .group_segment_fixed_size: 0
    .kernarg_segment_align: 8
    .kernarg_segment_size: 120
    .language:       OpenCL C
    .language_version:
      - 2
      - 0
    .max_flat_workgroup_size: 256
    .name:           _ZN7rocprim17ROCPRIM_400000_NS6detail17trampoline_kernelINS0_14default_configENS1_29reduce_by_key_config_selectorIyjN6thrust23THRUST_200600_302600_NS4plusIjEEEEZZNS1_33reduce_by_key_impl_wrapped_configILNS1_25lookback_scan_determinismE0ES3_S9_NS6_6detail15normal_iteratorINS6_10device_ptrIyEEEENSD_INSE_IjEEEESG_SI_PmS8_NS6_8equal_toIyEEEE10hipError_tPvRmT2_T3_mT4_T5_T6_T7_T8_P12ihipStream_tbENKUlT_T0_E_clISt17integral_constantIbLb0EES13_EEDaSY_SZ_EUlSY_E_NS1_11comp_targetILNS1_3genE5ELNS1_11target_archE942ELNS1_3gpuE9ELNS1_3repE0EEENS1_30default_config_static_selectorELNS0_4arch9wavefront6targetE0EEEvT1_
    .private_segment_fixed_size: 0
    .sgpr_count:     0
    .sgpr_spill_count: 0
    .symbol:         _ZN7rocprim17ROCPRIM_400000_NS6detail17trampoline_kernelINS0_14default_configENS1_29reduce_by_key_config_selectorIyjN6thrust23THRUST_200600_302600_NS4plusIjEEEEZZNS1_33reduce_by_key_impl_wrapped_configILNS1_25lookback_scan_determinismE0ES3_S9_NS6_6detail15normal_iteratorINS6_10device_ptrIyEEEENSD_INSE_IjEEEESG_SI_PmS8_NS6_8equal_toIyEEEE10hipError_tPvRmT2_T3_mT4_T5_T6_T7_T8_P12ihipStream_tbENKUlT_T0_E_clISt17integral_constantIbLb0EES13_EEDaSY_SZ_EUlSY_E_NS1_11comp_targetILNS1_3genE5ELNS1_11target_archE942ELNS1_3gpuE9ELNS1_3repE0EEENS1_30default_config_static_selectorELNS0_4arch9wavefront6targetE0EEEvT1_.kd
    .uniform_work_group_size: 1
    .uses_dynamic_stack: false
    .vgpr_count:     0
    .vgpr_spill_count: 0
    .wavefront_size: 32
    .workgroup_processor_mode: 1
  - .args:
      - .offset:         0
        .size:           120
        .value_kind:     by_value
    .group_segment_fixed_size: 0
    .kernarg_segment_align: 8
    .kernarg_segment_size: 120
    .language:       OpenCL C
    .language_version:
      - 2
      - 0
    .max_flat_workgroup_size: 256
    .name:           _ZN7rocprim17ROCPRIM_400000_NS6detail17trampoline_kernelINS0_14default_configENS1_29reduce_by_key_config_selectorIyjN6thrust23THRUST_200600_302600_NS4plusIjEEEEZZNS1_33reduce_by_key_impl_wrapped_configILNS1_25lookback_scan_determinismE0ES3_S9_NS6_6detail15normal_iteratorINS6_10device_ptrIyEEEENSD_INSE_IjEEEESG_SI_PmS8_NS6_8equal_toIyEEEE10hipError_tPvRmT2_T3_mT4_T5_T6_T7_T8_P12ihipStream_tbENKUlT_T0_E_clISt17integral_constantIbLb0EES13_EEDaSY_SZ_EUlSY_E_NS1_11comp_targetILNS1_3genE4ELNS1_11target_archE910ELNS1_3gpuE8ELNS1_3repE0EEENS1_30default_config_static_selectorELNS0_4arch9wavefront6targetE0EEEvT1_
    .private_segment_fixed_size: 0
    .sgpr_count:     0
    .sgpr_spill_count: 0
    .symbol:         _ZN7rocprim17ROCPRIM_400000_NS6detail17trampoline_kernelINS0_14default_configENS1_29reduce_by_key_config_selectorIyjN6thrust23THRUST_200600_302600_NS4plusIjEEEEZZNS1_33reduce_by_key_impl_wrapped_configILNS1_25lookback_scan_determinismE0ES3_S9_NS6_6detail15normal_iteratorINS6_10device_ptrIyEEEENSD_INSE_IjEEEESG_SI_PmS8_NS6_8equal_toIyEEEE10hipError_tPvRmT2_T3_mT4_T5_T6_T7_T8_P12ihipStream_tbENKUlT_T0_E_clISt17integral_constantIbLb0EES13_EEDaSY_SZ_EUlSY_E_NS1_11comp_targetILNS1_3genE4ELNS1_11target_archE910ELNS1_3gpuE8ELNS1_3repE0EEENS1_30default_config_static_selectorELNS0_4arch9wavefront6targetE0EEEvT1_.kd
    .uniform_work_group_size: 1
    .uses_dynamic_stack: false
    .vgpr_count:     0
    .vgpr_spill_count: 0
    .wavefront_size: 32
    .workgroup_processor_mode: 1
  - .args:
      - .offset:         0
        .size:           120
        .value_kind:     by_value
    .group_segment_fixed_size: 0
    .kernarg_segment_align: 8
    .kernarg_segment_size: 120
    .language:       OpenCL C
    .language_version:
      - 2
      - 0
    .max_flat_workgroup_size: 256
    .name:           _ZN7rocprim17ROCPRIM_400000_NS6detail17trampoline_kernelINS0_14default_configENS1_29reduce_by_key_config_selectorIyjN6thrust23THRUST_200600_302600_NS4plusIjEEEEZZNS1_33reduce_by_key_impl_wrapped_configILNS1_25lookback_scan_determinismE0ES3_S9_NS6_6detail15normal_iteratorINS6_10device_ptrIyEEEENSD_INSE_IjEEEESG_SI_PmS8_NS6_8equal_toIyEEEE10hipError_tPvRmT2_T3_mT4_T5_T6_T7_T8_P12ihipStream_tbENKUlT_T0_E_clISt17integral_constantIbLb0EES13_EEDaSY_SZ_EUlSY_E_NS1_11comp_targetILNS1_3genE3ELNS1_11target_archE908ELNS1_3gpuE7ELNS1_3repE0EEENS1_30default_config_static_selectorELNS0_4arch9wavefront6targetE0EEEvT1_
    .private_segment_fixed_size: 0
    .sgpr_count:     0
    .sgpr_spill_count: 0
    .symbol:         _ZN7rocprim17ROCPRIM_400000_NS6detail17trampoline_kernelINS0_14default_configENS1_29reduce_by_key_config_selectorIyjN6thrust23THRUST_200600_302600_NS4plusIjEEEEZZNS1_33reduce_by_key_impl_wrapped_configILNS1_25lookback_scan_determinismE0ES3_S9_NS6_6detail15normal_iteratorINS6_10device_ptrIyEEEENSD_INSE_IjEEEESG_SI_PmS8_NS6_8equal_toIyEEEE10hipError_tPvRmT2_T3_mT4_T5_T6_T7_T8_P12ihipStream_tbENKUlT_T0_E_clISt17integral_constantIbLb0EES13_EEDaSY_SZ_EUlSY_E_NS1_11comp_targetILNS1_3genE3ELNS1_11target_archE908ELNS1_3gpuE7ELNS1_3repE0EEENS1_30default_config_static_selectorELNS0_4arch9wavefront6targetE0EEEvT1_.kd
    .uniform_work_group_size: 1
    .uses_dynamic_stack: false
    .vgpr_count:     0
    .vgpr_spill_count: 0
    .wavefront_size: 32
    .workgroup_processor_mode: 1
  - .args:
      - .offset:         0
        .size:           120
        .value_kind:     by_value
    .group_segment_fixed_size: 0
    .kernarg_segment_align: 8
    .kernarg_segment_size: 120
    .language:       OpenCL C
    .language_version:
      - 2
      - 0
    .max_flat_workgroup_size: 256
    .name:           _ZN7rocprim17ROCPRIM_400000_NS6detail17trampoline_kernelINS0_14default_configENS1_29reduce_by_key_config_selectorIyjN6thrust23THRUST_200600_302600_NS4plusIjEEEEZZNS1_33reduce_by_key_impl_wrapped_configILNS1_25lookback_scan_determinismE0ES3_S9_NS6_6detail15normal_iteratorINS6_10device_ptrIyEEEENSD_INSE_IjEEEESG_SI_PmS8_NS6_8equal_toIyEEEE10hipError_tPvRmT2_T3_mT4_T5_T6_T7_T8_P12ihipStream_tbENKUlT_T0_E_clISt17integral_constantIbLb0EES13_EEDaSY_SZ_EUlSY_E_NS1_11comp_targetILNS1_3genE2ELNS1_11target_archE906ELNS1_3gpuE6ELNS1_3repE0EEENS1_30default_config_static_selectorELNS0_4arch9wavefront6targetE0EEEvT1_
    .private_segment_fixed_size: 0
    .sgpr_count:     0
    .sgpr_spill_count: 0
    .symbol:         _ZN7rocprim17ROCPRIM_400000_NS6detail17trampoline_kernelINS0_14default_configENS1_29reduce_by_key_config_selectorIyjN6thrust23THRUST_200600_302600_NS4plusIjEEEEZZNS1_33reduce_by_key_impl_wrapped_configILNS1_25lookback_scan_determinismE0ES3_S9_NS6_6detail15normal_iteratorINS6_10device_ptrIyEEEENSD_INSE_IjEEEESG_SI_PmS8_NS6_8equal_toIyEEEE10hipError_tPvRmT2_T3_mT4_T5_T6_T7_T8_P12ihipStream_tbENKUlT_T0_E_clISt17integral_constantIbLb0EES13_EEDaSY_SZ_EUlSY_E_NS1_11comp_targetILNS1_3genE2ELNS1_11target_archE906ELNS1_3gpuE6ELNS1_3repE0EEENS1_30default_config_static_selectorELNS0_4arch9wavefront6targetE0EEEvT1_.kd
    .uniform_work_group_size: 1
    .uses_dynamic_stack: false
    .vgpr_count:     0
    .vgpr_spill_count: 0
    .wavefront_size: 32
    .workgroup_processor_mode: 1
  - .args:
      - .offset:         0
        .size:           120
        .value_kind:     by_value
    .group_segment_fixed_size: 0
    .kernarg_segment_align: 8
    .kernarg_segment_size: 120
    .language:       OpenCL C
    .language_version:
      - 2
      - 0
    .max_flat_workgroup_size: 256
    .name:           _ZN7rocprim17ROCPRIM_400000_NS6detail17trampoline_kernelINS0_14default_configENS1_29reduce_by_key_config_selectorIyjN6thrust23THRUST_200600_302600_NS4plusIjEEEEZZNS1_33reduce_by_key_impl_wrapped_configILNS1_25lookback_scan_determinismE0ES3_S9_NS6_6detail15normal_iteratorINS6_10device_ptrIyEEEENSD_INSE_IjEEEESG_SI_PmS8_NS6_8equal_toIyEEEE10hipError_tPvRmT2_T3_mT4_T5_T6_T7_T8_P12ihipStream_tbENKUlT_T0_E_clISt17integral_constantIbLb0EES13_EEDaSY_SZ_EUlSY_E_NS1_11comp_targetILNS1_3genE10ELNS1_11target_archE1201ELNS1_3gpuE5ELNS1_3repE0EEENS1_30default_config_static_selectorELNS0_4arch9wavefront6targetE0EEEvT1_
    .private_segment_fixed_size: 0
    .sgpr_count:     0
    .sgpr_spill_count: 0
    .symbol:         _ZN7rocprim17ROCPRIM_400000_NS6detail17trampoline_kernelINS0_14default_configENS1_29reduce_by_key_config_selectorIyjN6thrust23THRUST_200600_302600_NS4plusIjEEEEZZNS1_33reduce_by_key_impl_wrapped_configILNS1_25lookback_scan_determinismE0ES3_S9_NS6_6detail15normal_iteratorINS6_10device_ptrIyEEEENSD_INSE_IjEEEESG_SI_PmS8_NS6_8equal_toIyEEEE10hipError_tPvRmT2_T3_mT4_T5_T6_T7_T8_P12ihipStream_tbENKUlT_T0_E_clISt17integral_constantIbLb0EES13_EEDaSY_SZ_EUlSY_E_NS1_11comp_targetILNS1_3genE10ELNS1_11target_archE1201ELNS1_3gpuE5ELNS1_3repE0EEENS1_30default_config_static_selectorELNS0_4arch9wavefront6targetE0EEEvT1_.kd
    .uniform_work_group_size: 1
    .uses_dynamic_stack: false
    .vgpr_count:     0
    .vgpr_spill_count: 0
    .wavefront_size: 32
    .workgroup_processor_mode: 1
  - .args:
      - .offset:         0
        .size:           120
        .value_kind:     by_value
    .group_segment_fixed_size: 0
    .kernarg_segment_align: 8
    .kernarg_segment_size: 120
    .language:       OpenCL C
    .language_version:
      - 2
      - 0
    .max_flat_workgroup_size: 256
    .name:           _ZN7rocprim17ROCPRIM_400000_NS6detail17trampoline_kernelINS0_14default_configENS1_29reduce_by_key_config_selectorIyjN6thrust23THRUST_200600_302600_NS4plusIjEEEEZZNS1_33reduce_by_key_impl_wrapped_configILNS1_25lookback_scan_determinismE0ES3_S9_NS6_6detail15normal_iteratorINS6_10device_ptrIyEEEENSD_INSE_IjEEEESG_SI_PmS8_NS6_8equal_toIyEEEE10hipError_tPvRmT2_T3_mT4_T5_T6_T7_T8_P12ihipStream_tbENKUlT_T0_E_clISt17integral_constantIbLb0EES13_EEDaSY_SZ_EUlSY_E_NS1_11comp_targetILNS1_3genE10ELNS1_11target_archE1200ELNS1_3gpuE4ELNS1_3repE0EEENS1_30default_config_static_selectorELNS0_4arch9wavefront6targetE0EEEvT1_
    .private_segment_fixed_size: 0
    .sgpr_count:     0
    .sgpr_spill_count: 0
    .symbol:         _ZN7rocprim17ROCPRIM_400000_NS6detail17trampoline_kernelINS0_14default_configENS1_29reduce_by_key_config_selectorIyjN6thrust23THRUST_200600_302600_NS4plusIjEEEEZZNS1_33reduce_by_key_impl_wrapped_configILNS1_25lookback_scan_determinismE0ES3_S9_NS6_6detail15normal_iteratorINS6_10device_ptrIyEEEENSD_INSE_IjEEEESG_SI_PmS8_NS6_8equal_toIyEEEE10hipError_tPvRmT2_T3_mT4_T5_T6_T7_T8_P12ihipStream_tbENKUlT_T0_E_clISt17integral_constantIbLb0EES13_EEDaSY_SZ_EUlSY_E_NS1_11comp_targetILNS1_3genE10ELNS1_11target_archE1200ELNS1_3gpuE4ELNS1_3repE0EEENS1_30default_config_static_selectorELNS0_4arch9wavefront6targetE0EEEvT1_.kd
    .uniform_work_group_size: 1
    .uses_dynamic_stack: false
    .vgpr_count:     0
    .vgpr_spill_count: 0
    .wavefront_size: 32
    .workgroup_processor_mode: 1
  - .args:
      - .offset:         0
        .size:           120
        .value_kind:     by_value
    .group_segment_fixed_size: 30720
    .kernarg_segment_align: 8
    .kernarg_segment_size: 120
    .language:       OpenCL C
    .language_version:
      - 2
      - 0
    .max_flat_workgroup_size: 256
    .name:           _ZN7rocprim17ROCPRIM_400000_NS6detail17trampoline_kernelINS0_14default_configENS1_29reduce_by_key_config_selectorIyjN6thrust23THRUST_200600_302600_NS4plusIjEEEEZZNS1_33reduce_by_key_impl_wrapped_configILNS1_25lookback_scan_determinismE0ES3_S9_NS6_6detail15normal_iteratorINS6_10device_ptrIyEEEENSD_INSE_IjEEEESG_SI_PmS8_NS6_8equal_toIyEEEE10hipError_tPvRmT2_T3_mT4_T5_T6_T7_T8_P12ihipStream_tbENKUlT_T0_E_clISt17integral_constantIbLb0EES13_EEDaSY_SZ_EUlSY_E_NS1_11comp_targetILNS1_3genE9ELNS1_11target_archE1100ELNS1_3gpuE3ELNS1_3repE0EEENS1_30default_config_static_selectorELNS0_4arch9wavefront6targetE0EEEvT1_
    .private_segment_fixed_size: 0
    .sgpr_count:     48
    .sgpr_spill_count: 0
    .symbol:         _ZN7rocprim17ROCPRIM_400000_NS6detail17trampoline_kernelINS0_14default_configENS1_29reduce_by_key_config_selectorIyjN6thrust23THRUST_200600_302600_NS4plusIjEEEEZZNS1_33reduce_by_key_impl_wrapped_configILNS1_25lookback_scan_determinismE0ES3_S9_NS6_6detail15normal_iteratorINS6_10device_ptrIyEEEENSD_INSE_IjEEEESG_SI_PmS8_NS6_8equal_toIyEEEE10hipError_tPvRmT2_T3_mT4_T5_T6_T7_T8_P12ihipStream_tbENKUlT_T0_E_clISt17integral_constantIbLb0EES13_EEDaSY_SZ_EUlSY_E_NS1_11comp_targetILNS1_3genE9ELNS1_11target_archE1100ELNS1_3gpuE3ELNS1_3repE0EEENS1_30default_config_static_selectorELNS0_4arch9wavefront6targetE0EEEvT1_.kd
    .uniform_work_group_size: 1
    .uses_dynamic_stack: false
    .vgpr_count:     100
    .vgpr_spill_count: 0
    .wavefront_size: 32
    .workgroup_processor_mode: 1
  - .args:
      - .offset:         0
        .size:           120
        .value_kind:     by_value
    .group_segment_fixed_size: 0
    .kernarg_segment_align: 8
    .kernarg_segment_size: 120
    .language:       OpenCL C
    .language_version:
      - 2
      - 0
    .max_flat_workgroup_size: 256
    .name:           _ZN7rocprim17ROCPRIM_400000_NS6detail17trampoline_kernelINS0_14default_configENS1_29reduce_by_key_config_selectorIyjN6thrust23THRUST_200600_302600_NS4plusIjEEEEZZNS1_33reduce_by_key_impl_wrapped_configILNS1_25lookback_scan_determinismE0ES3_S9_NS6_6detail15normal_iteratorINS6_10device_ptrIyEEEENSD_INSE_IjEEEESG_SI_PmS8_NS6_8equal_toIyEEEE10hipError_tPvRmT2_T3_mT4_T5_T6_T7_T8_P12ihipStream_tbENKUlT_T0_E_clISt17integral_constantIbLb0EES13_EEDaSY_SZ_EUlSY_E_NS1_11comp_targetILNS1_3genE8ELNS1_11target_archE1030ELNS1_3gpuE2ELNS1_3repE0EEENS1_30default_config_static_selectorELNS0_4arch9wavefront6targetE0EEEvT1_
    .private_segment_fixed_size: 0
    .sgpr_count:     0
    .sgpr_spill_count: 0
    .symbol:         _ZN7rocprim17ROCPRIM_400000_NS6detail17trampoline_kernelINS0_14default_configENS1_29reduce_by_key_config_selectorIyjN6thrust23THRUST_200600_302600_NS4plusIjEEEEZZNS1_33reduce_by_key_impl_wrapped_configILNS1_25lookback_scan_determinismE0ES3_S9_NS6_6detail15normal_iteratorINS6_10device_ptrIyEEEENSD_INSE_IjEEEESG_SI_PmS8_NS6_8equal_toIyEEEE10hipError_tPvRmT2_T3_mT4_T5_T6_T7_T8_P12ihipStream_tbENKUlT_T0_E_clISt17integral_constantIbLb0EES13_EEDaSY_SZ_EUlSY_E_NS1_11comp_targetILNS1_3genE8ELNS1_11target_archE1030ELNS1_3gpuE2ELNS1_3repE0EEENS1_30default_config_static_selectorELNS0_4arch9wavefront6targetE0EEEvT1_.kd
    .uniform_work_group_size: 1
    .uses_dynamic_stack: false
    .vgpr_count:     0
    .vgpr_spill_count: 0
    .wavefront_size: 32
    .workgroup_processor_mode: 1
  - .args:
      - .offset:         0
        .size:           120
        .value_kind:     by_value
    .group_segment_fixed_size: 0
    .kernarg_segment_align: 8
    .kernarg_segment_size: 120
    .language:       OpenCL C
    .language_version:
      - 2
      - 0
    .max_flat_workgroup_size: 256
    .name:           _ZN7rocprim17ROCPRIM_400000_NS6detail17trampoline_kernelINS0_14default_configENS1_29reduce_by_key_config_selectorIyjN6thrust23THRUST_200600_302600_NS4plusIjEEEEZZNS1_33reduce_by_key_impl_wrapped_configILNS1_25lookback_scan_determinismE0ES3_S9_NS6_6detail15normal_iteratorINS6_10device_ptrIyEEEENSD_INSE_IjEEEESG_SI_PmS8_NS6_8equal_toIyEEEE10hipError_tPvRmT2_T3_mT4_T5_T6_T7_T8_P12ihipStream_tbENKUlT_T0_E_clISt17integral_constantIbLb1EES13_EEDaSY_SZ_EUlSY_E_NS1_11comp_targetILNS1_3genE0ELNS1_11target_archE4294967295ELNS1_3gpuE0ELNS1_3repE0EEENS1_30default_config_static_selectorELNS0_4arch9wavefront6targetE0EEEvT1_
    .private_segment_fixed_size: 0
    .sgpr_count:     0
    .sgpr_spill_count: 0
    .symbol:         _ZN7rocprim17ROCPRIM_400000_NS6detail17trampoline_kernelINS0_14default_configENS1_29reduce_by_key_config_selectorIyjN6thrust23THRUST_200600_302600_NS4plusIjEEEEZZNS1_33reduce_by_key_impl_wrapped_configILNS1_25lookback_scan_determinismE0ES3_S9_NS6_6detail15normal_iteratorINS6_10device_ptrIyEEEENSD_INSE_IjEEEESG_SI_PmS8_NS6_8equal_toIyEEEE10hipError_tPvRmT2_T3_mT4_T5_T6_T7_T8_P12ihipStream_tbENKUlT_T0_E_clISt17integral_constantIbLb1EES13_EEDaSY_SZ_EUlSY_E_NS1_11comp_targetILNS1_3genE0ELNS1_11target_archE4294967295ELNS1_3gpuE0ELNS1_3repE0EEENS1_30default_config_static_selectorELNS0_4arch9wavefront6targetE0EEEvT1_.kd
    .uniform_work_group_size: 1
    .uses_dynamic_stack: false
    .vgpr_count:     0
    .vgpr_spill_count: 0
    .wavefront_size: 32
    .workgroup_processor_mode: 1
  - .args:
      - .offset:         0
        .size:           120
        .value_kind:     by_value
    .group_segment_fixed_size: 0
    .kernarg_segment_align: 8
    .kernarg_segment_size: 120
    .language:       OpenCL C
    .language_version:
      - 2
      - 0
    .max_flat_workgroup_size: 256
    .name:           _ZN7rocprim17ROCPRIM_400000_NS6detail17trampoline_kernelINS0_14default_configENS1_29reduce_by_key_config_selectorIyjN6thrust23THRUST_200600_302600_NS4plusIjEEEEZZNS1_33reduce_by_key_impl_wrapped_configILNS1_25lookback_scan_determinismE0ES3_S9_NS6_6detail15normal_iteratorINS6_10device_ptrIyEEEENSD_INSE_IjEEEESG_SI_PmS8_NS6_8equal_toIyEEEE10hipError_tPvRmT2_T3_mT4_T5_T6_T7_T8_P12ihipStream_tbENKUlT_T0_E_clISt17integral_constantIbLb1EES13_EEDaSY_SZ_EUlSY_E_NS1_11comp_targetILNS1_3genE5ELNS1_11target_archE942ELNS1_3gpuE9ELNS1_3repE0EEENS1_30default_config_static_selectorELNS0_4arch9wavefront6targetE0EEEvT1_
    .private_segment_fixed_size: 0
    .sgpr_count:     0
    .sgpr_spill_count: 0
    .symbol:         _ZN7rocprim17ROCPRIM_400000_NS6detail17trampoline_kernelINS0_14default_configENS1_29reduce_by_key_config_selectorIyjN6thrust23THRUST_200600_302600_NS4plusIjEEEEZZNS1_33reduce_by_key_impl_wrapped_configILNS1_25lookback_scan_determinismE0ES3_S9_NS6_6detail15normal_iteratorINS6_10device_ptrIyEEEENSD_INSE_IjEEEESG_SI_PmS8_NS6_8equal_toIyEEEE10hipError_tPvRmT2_T3_mT4_T5_T6_T7_T8_P12ihipStream_tbENKUlT_T0_E_clISt17integral_constantIbLb1EES13_EEDaSY_SZ_EUlSY_E_NS1_11comp_targetILNS1_3genE5ELNS1_11target_archE942ELNS1_3gpuE9ELNS1_3repE0EEENS1_30default_config_static_selectorELNS0_4arch9wavefront6targetE0EEEvT1_.kd
    .uniform_work_group_size: 1
    .uses_dynamic_stack: false
    .vgpr_count:     0
    .vgpr_spill_count: 0
    .wavefront_size: 32
    .workgroup_processor_mode: 1
  - .args:
      - .offset:         0
        .size:           120
        .value_kind:     by_value
    .group_segment_fixed_size: 0
    .kernarg_segment_align: 8
    .kernarg_segment_size: 120
    .language:       OpenCL C
    .language_version:
      - 2
      - 0
    .max_flat_workgroup_size: 256
    .name:           _ZN7rocprim17ROCPRIM_400000_NS6detail17trampoline_kernelINS0_14default_configENS1_29reduce_by_key_config_selectorIyjN6thrust23THRUST_200600_302600_NS4plusIjEEEEZZNS1_33reduce_by_key_impl_wrapped_configILNS1_25lookback_scan_determinismE0ES3_S9_NS6_6detail15normal_iteratorINS6_10device_ptrIyEEEENSD_INSE_IjEEEESG_SI_PmS8_NS6_8equal_toIyEEEE10hipError_tPvRmT2_T3_mT4_T5_T6_T7_T8_P12ihipStream_tbENKUlT_T0_E_clISt17integral_constantIbLb1EES13_EEDaSY_SZ_EUlSY_E_NS1_11comp_targetILNS1_3genE4ELNS1_11target_archE910ELNS1_3gpuE8ELNS1_3repE0EEENS1_30default_config_static_selectorELNS0_4arch9wavefront6targetE0EEEvT1_
    .private_segment_fixed_size: 0
    .sgpr_count:     0
    .sgpr_spill_count: 0
    .symbol:         _ZN7rocprim17ROCPRIM_400000_NS6detail17trampoline_kernelINS0_14default_configENS1_29reduce_by_key_config_selectorIyjN6thrust23THRUST_200600_302600_NS4plusIjEEEEZZNS1_33reduce_by_key_impl_wrapped_configILNS1_25lookback_scan_determinismE0ES3_S9_NS6_6detail15normal_iteratorINS6_10device_ptrIyEEEENSD_INSE_IjEEEESG_SI_PmS8_NS6_8equal_toIyEEEE10hipError_tPvRmT2_T3_mT4_T5_T6_T7_T8_P12ihipStream_tbENKUlT_T0_E_clISt17integral_constantIbLb1EES13_EEDaSY_SZ_EUlSY_E_NS1_11comp_targetILNS1_3genE4ELNS1_11target_archE910ELNS1_3gpuE8ELNS1_3repE0EEENS1_30default_config_static_selectorELNS0_4arch9wavefront6targetE0EEEvT1_.kd
    .uniform_work_group_size: 1
    .uses_dynamic_stack: false
    .vgpr_count:     0
    .vgpr_spill_count: 0
    .wavefront_size: 32
    .workgroup_processor_mode: 1
  - .args:
      - .offset:         0
        .size:           120
        .value_kind:     by_value
    .group_segment_fixed_size: 0
    .kernarg_segment_align: 8
    .kernarg_segment_size: 120
    .language:       OpenCL C
    .language_version:
      - 2
      - 0
    .max_flat_workgroup_size: 256
    .name:           _ZN7rocprim17ROCPRIM_400000_NS6detail17trampoline_kernelINS0_14default_configENS1_29reduce_by_key_config_selectorIyjN6thrust23THRUST_200600_302600_NS4plusIjEEEEZZNS1_33reduce_by_key_impl_wrapped_configILNS1_25lookback_scan_determinismE0ES3_S9_NS6_6detail15normal_iteratorINS6_10device_ptrIyEEEENSD_INSE_IjEEEESG_SI_PmS8_NS6_8equal_toIyEEEE10hipError_tPvRmT2_T3_mT4_T5_T6_T7_T8_P12ihipStream_tbENKUlT_T0_E_clISt17integral_constantIbLb1EES13_EEDaSY_SZ_EUlSY_E_NS1_11comp_targetILNS1_3genE3ELNS1_11target_archE908ELNS1_3gpuE7ELNS1_3repE0EEENS1_30default_config_static_selectorELNS0_4arch9wavefront6targetE0EEEvT1_
    .private_segment_fixed_size: 0
    .sgpr_count:     0
    .sgpr_spill_count: 0
    .symbol:         _ZN7rocprim17ROCPRIM_400000_NS6detail17trampoline_kernelINS0_14default_configENS1_29reduce_by_key_config_selectorIyjN6thrust23THRUST_200600_302600_NS4plusIjEEEEZZNS1_33reduce_by_key_impl_wrapped_configILNS1_25lookback_scan_determinismE0ES3_S9_NS6_6detail15normal_iteratorINS6_10device_ptrIyEEEENSD_INSE_IjEEEESG_SI_PmS8_NS6_8equal_toIyEEEE10hipError_tPvRmT2_T3_mT4_T5_T6_T7_T8_P12ihipStream_tbENKUlT_T0_E_clISt17integral_constantIbLb1EES13_EEDaSY_SZ_EUlSY_E_NS1_11comp_targetILNS1_3genE3ELNS1_11target_archE908ELNS1_3gpuE7ELNS1_3repE0EEENS1_30default_config_static_selectorELNS0_4arch9wavefront6targetE0EEEvT1_.kd
    .uniform_work_group_size: 1
    .uses_dynamic_stack: false
    .vgpr_count:     0
    .vgpr_spill_count: 0
    .wavefront_size: 32
    .workgroup_processor_mode: 1
  - .args:
      - .offset:         0
        .size:           120
        .value_kind:     by_value
    .group_segment_fixed_size: 0
    .kernarg_segment_align: 8
    .kernarg_segment_size: 120
    .language:       OpenCL C
    .language_version:
      - 2
      - 0
    .max_flat_workgroup_size: 256
    .name:           _ZN7rocprim17ROCPRIM_400000_NS6detail17trampoline_kernelINS0_14default_configENS1_29reduce_by_key_config_selectorIyjN6thrust23THRUST_200600_302600_NS4plusIjEEEEZZNS1_33reduce_by_key_impl_wrapped_configILNS1_25lookback_scan_determinismE0ES3_S9_NS6_6detail15normal_iteratorINS6_10device_ptrIyEEEENSD_INSE_IjEEEESG_SI_PmS8_NS6_8equal_toIyEEEE10hipError_tPvRmT2_T3_mT4_T5_T6_T7_T8_P12ihipStream_tbENKUlT_T0_E_clISt17integral_constantIbLb1EES13_EEDaSY_SZ_EUlSY_E_NS1_11comp_targetILNS1_3genE2ELNS1_11target_archE906ELNS1_3gpuE6ELNS1_3repE0EEENS1_30default_config_static_selectorELNS0_4arch9wavefront6targetE0EEEvT1_
    .private_segment_fixed_size: 0
    .sgpr_count:     0
    .sgpr_spill_count: 0
    .symbol:         _ZN7rocprim17ROCPRIM_400000_NS6detail17trampoline_kernelINS0_14default_configENS1_29reduce_by_key_config_selectorIyjN6thrust23THRUST_200600_302600_NS4plusIjEEEEZZNS1_33reduce_by_key_impl_wrapped_configILNS1_25lookback_scan_determinismE0ES3_S9_NS6_6detail15normal_iteratorINS6_10device_ptrIyEEEENSD_INSE_IjEEEESG_SI_PmS8_NS6_8equal_toIyEEEE10hipError_tPvRmT2_T3_mT4_T5_T6_T7_T8_P12ihipStream_tbENKUlT_T0_E_clISt17integral_constantIbLb1EES13_EEDaSY_SZ_EUlSY_E_NS1_11comp_targetILNS1_3genE2ELNS1_11target_archE906ELNS1_3gpuE6ELNS1_3repE0EEENS1_30default_config_static_selectorELNS0_4arch9wavefront6targetE0EEEvT1_.kd
    .uniform_work_group_size: 1
    .uses_dynamic_stack: false
    .vgpr_count:     0
    .vgpr_spill_count: 0
    .wavefront_size: 32
    .workgroup_processor_mode: 1
  - .args:
      - .offset:         0
        .size:           120
        .value_kind:     by_value
    .group_segment_fixed_size: 0
    .kernarg_segment_align: 8
    .kernarg_segment_size: 120
    .language:       OpenCL C
    .language_version:
      - 2
      - 0
    .max_flat_workgroup_size: 256
    .name:           _ZN7rocprim17ROCPRIM_400000_NS6detail17trampoline_kernelINS0_14default_configENS1_29reduce_by_key_config_selectorIyjN6thrust23THRUST_200600_302600_NS4plusIjEEEEZZNS1_33reduce_by_key_impl_wrapped_configILNS1_25lookback_scan_determinismE0ES3_S9_NS6_6detail15normal_iteratorINS6_10device_ptrIyEEEENSD_INSE_IjEEEESG_SI_PmS8_NS6_8equal_toIyEEEE10hipError_tPvRmT2_T3_mT4_T5_T6_T7_T8_P12ihipStream_tbENKUlT_T0_E_clISt17integral_constantIbLb1EES13_EEDaSY_SZ_EUlSY_E_NS1_11comp_targetILNS1_3genE10ELNS1_11target_archE1201ELNS1_3gpuE5ELNS1_3repE0EEENS1_30default_config_static_selectorELNS0_4arch9wavefront6targetE0EEEvT1_
    .private_segment_fixed_size: 0
    .sgpr_count:     0
    .sgpr_spill_count: 0
    .symbol:         _ZN7rocprim17ROCPRIM_400000_NS6detail17trampoline_kernelINS0_14default_configENS1_29reduce_by_key_config_selectorIyjN6thrust23THRUST_200600_302600_NS4plusIjEEEEZZNS1_33reduce_by_key_impl_wrapped_configILNS1_25lookback_scan_determinismE0ES3_S9_NS6_6detail15normal_iteratorINS6_10device_ptrIyEEEENSD_INSE_IjEEEESG_SI_PmS8_NS6_8equal_toIyEEEE10hipError_tPvRmT2_T3_mT4_T5_T6_T7_T8_P12ihipStream_tbENKUlT_T0_E_clISt17integral_constantIbLb1EES13_EEDaSY_SZ_EUlSY_E_NS1_11comp_targetILNS1_3genE10ELNS1_11target_archE1201ELNS1_3gpuE5ELNS1_3repE0EEENS1_30default_config_static_selectorELNS0_4arch9wavefront6targetE0EEEvT1_.kd
    .uniform_work_group_size: 1
    .uses_dynamic_stack: false
    .vgpr_count:     0
    .vgpr_spill_count: 0
    .wavefront_size: 32
    .workgroup_processor_mode: 1
  - .args:
      - .offset:         0
        .size:           120
        .value_kind:     by_value
    .group_segment_fixed_size: 0
    .kernarg_segment_align: 8
    .kernarg_segment_size: 120
    .language:       OpenCL C
    .language_version:
      - 2
      - 0
    .max_flat_workgroup_size: 256
    .name:           _ZN7rocprim17ROCPRIM_400000_NS6detail17trampoline_kernelINS0_14default_configENS1_29reduce_by_key_config_selectorIyjN6thrust23THRUST_200600_302600_NS4plusIjEEEEZZNS1_33reduce_by_key_impl_wrapped_configILNS1_25lookback_scan_determinismE0ES3_S9_NS6_6detail15normal_iteratorINS6_10device_ptrIyEEEENSD_INSE_IjEEEESG_SI_PmS8_NS6_8equal_toIyEEEE10hipError_tPvRmT2_T3_mT4_T5_T6_T7_T8_P12ihipStream_tbENKUlT_T0_E_clISt17integral_constantIbLb1EES13_EEDaSY_SZ_EUlSY_E_NS1_11comp_targetILNS1_3genE10ELNS1_11target_archE1200ELNS1_3gpuE4ELNS1_3repE0EEENS1_30default_config_static_selectorELNS0_4arch9wavefront6targetE0EEEvT1_
    .private_segment_fixed_size: 0
    .sgpr_count:     0
    .sgpr_spill_count: 0
    .symbol:         _ZN7rocprim17ROCPRIM_400000_NS6detail17trampoline_kernelINS0_14default_configENS1_29reduce_by_key_config_selectorIyjN6thrust23THRUST_200600_302600_NS4plusIjEEEEZZNS1_33reduce_by_key_impl_wrapped_configILNS1_25lookback_scan_determinismE0ES3_S9_NS6_6detail15normal_iteratorINS6_10device_ptrIyEEEENSD_INSE_IjEEEESG_SI_PmS8_NS6_8equal_toIyEEEE10hipError_tPvRmT2_T3_mT4_T5_T6_T7_T8_P12ihipStream_tbENKUlT_T0_E_clISt17integral_constantIbLb1EES13_EEDaSY_SZ_EUlSY_E_NS1_11comp_targetILNS1_3genE10ELNS1_11target_archE1200ELNS1_3gpuE4ELNS1_3repE0EEENS1_30default_config_static_selectorELNS0_4arch9wavefront6targetE0EEEvT1_.kd
    .uniform_work_group_size: 1
    .uses_dynamic_stack: false
    .vgpr_count:     0
    .vgpr_spill_count: 0
    .wavefront_size: 32
    .workgroup_processor_mode: 1
  - .args:
      - .offset:         0
        .size:           120
        .value_kind:     by_value
    .group_segment_fixed_size: 30720
    .kernarg_segment_align: 8
    .kernarg_segment_size: 120
    .language:       OpenCL C
    .language_version:
      - 2
      - 0
    .max_flat_workgroup_size: 256
    .name:           _ZN7rocprim17ROCPRIM_400000_NS6detail17trampoline_kernelINS0_14default_configENS1_29reduce_by_key_config_selectorIyjN6thrust23THRUST_200600_302600_NS4plusIjEEEEZZNS1_33reduce_by_key_impl_wrapped_configILNS1_25lookback_scan_determinismE0ES3_S9_NS6_6detail15normal_iteratorINS6_10device_ptrIyEEEENSD_INSE_IjEEEESG_SI_PmS8_NS6_8equal_toIyEEEE10hipError_tPvRmT2_T3_mT4_T5_T6_T7_T8_P12ihipStream_tbENKUlT_T0_E_clISt17integral_constantIbLb1EES13_EEDaSY_SZ_EUlSY_E_NS1_11comp_targetILNS1_3genE9ELNS1_11target_archE1100ELNS1_3gpuE3ELNS1_3repE0EEENS1_30default_config_static_selectorELNS0_4arch9wavefront6targetE0EEEvT1_
    .private_segment_fixed_size: 0
    .sgpr_count:     51
    .sgpr_spill_count: 0
    .symbol:         _ZN7rocprim17ROCPRIM_400000_NS6detail17trampoline_kernelINS0_14default_configENS1_29reduce_by_key_config_selectorIyjN6thrust23THRUST_200600_302600_NS4plusIjEEEEZZNS1_33reduce_by_key_impl_wrapped_configILNS1_25lookback_scan_determinismE0ES3_S9_NS6_6detail15normal_iteratorINS6_10device_ptrIyEEEENSD_INSE_IjEEEESG_SI_PmS8_NS6_8equal_toIyEEEE10hipError_tPvRmT2_T3_mT4_T5_T6_T7_T8_P12ihipStream_tbENKUlT_T0_E_clISt17integral_constantIbLb1EES13_EEDaSY_SZ_EUlSY_E_NS1_11comp_targetILNS1_3genE9ELNS1_11target_archE1100ELNS1_3gpuE3ELNS1_3repE0EEENS1_30default_config_static_selectorELNS0_4arch9wavefront6targetE0EEEvT1_.kd
    .uniform_work_group_size: 1
    .uses_dynamic_stack: false
    .vgpr_count:     100
    .vgpr_spill_count: 0
    .wavefront_size: 32
    .workgroup_processor_mode: 1
  - .args:
      - .offset:         0
        .size:           120
        .value_kind:     by_value
    .group_segment_fixed_size: 0
    .kernarg_segment_align: 8
    .kernarg_segment_size: 120
    .language:       OpenCL C
    .language_version:
      - 2
      - 0
    .max_flat_workgroup_size: 256
    .name:           _ZN7rocprim17ROCPRIM_400000_NS6detail17trampoline_kernelINS0_14default_configENS1_29reduce_by_key_config_selectorIyjN6thrust23THRUST_200600_302600_NS4plusIjEEEEZZNS1_33reduce_by_key_impl_wrapped_configILNS1_25lookback_scan_determinismE0ES3_S9_NS6_6detail15normal_iteratorINS6_10device_ptrIyEEEENSD_INSE_IjEEEESG_SI_PmS8_NS6_8equal_toIyEEEE10hipError_tPvRmT2_T3_mT4_T5_T6_T7_T8_P12ihipStream_tbENKUlT_T0_E_clISt17integral_constantIbLb1EES13_EEDaSY_SZ_EUlSY_E_NS1_11comp_targetILNS1_3genE8ELNS1_11target_archE1030ELNS1_3gpuE2ELNS1_3repE0EEENS1_30default_config_static_selectorELNS0_4arch9wavefront6targetE0EEEvT1_
    .private_segment_fixed_size: 0
    .sgpr_count:     0
    .sgpr_spill_count: 0
    .symbol:         _ZN7rocprim17ROCPRIM_400000_NS6detail17trampoline_kernelINS0_14default_configENS1_29reduce_by_key_config_selectorIyjN6thrust23THRUST_200600_302600_NS4plusIjEEEEZZNS1_33reduce_by_key_impl_wrapped_configILNS1_25lookback_scan_determinismE0ES3_S9_NS6_6detail15normal_iteratorINS6_10device_ptrIyEEEENSD_INSE_IjEEEESG_SI_PmS8_NS6_8equal_toIyEEEE10hipError_tPvRmT2_T3_mT4_T5_T6_T7_T8_P12ihipStream_tbENKUlT_T0_E_clISt17integral_constantIbLb1EES13_EEDaSY_SZ_EUlSY_E_NS1_11comp_targetILNS1_3genE8ELNS1_11target_archE1030ELNS1_3gpuE2ELNS1_3repE0EEENS1_30default_config_static_selectorELNS0_4arch9wavefront6targetE0EEEvT1_.kd
    .uniform_work_group_size: 1
    .uses_dynamic_stack: false
    .vgpr_count:     0
    .vgpr_spill_count: 0
    .wavefront_size: 32
    .workgroup_processor_mode: 1
  - .args:
      - .offset:         0
        .size:           120
        .value_kind:     by_value
    .group_segment_fixed_size: 0
    .kernarg_segment_align: 8
    .kernarg_segment_size: 120
    .language:       OpenCL C
    .language_version:
      - 2
      - 0
    .max_flat_workgroup_size: 256
    .name:           _ZN7rocprim17ROCPRIM_400000_NS6detail17trampoline_kernelINS0_14default_configENS1_29reduce_by_key_config_selectorIyjN6thrust23THRUST_200600_302600_NS4plusIjEEEEZZNS1_33reduce_by_key_impl_wrapped_configILNS1_25lookback_scan_determinismE0ES3_S9_NS6_6detail15normal_iteratorINS6_10device_ptrIyEEEENSD_INSE_IjEEEESG_SI_PmS8_NS6_8equal_toIyEEEE10hipError_tPvRmT2_T3_mT4_T5_T6_T7_T8_P12ihipStream_tbENKUlT_T0_E_clISt17integral_constantIbLb1EES12_IbLb0EEEEDaSY_SZ_EUlSY_E_NS1_11comp_targetILNS1_3genE0ELNS1_11target_archE4294967295ELNS1_3gpuE0ELNS1_3repE0EEENS1_30default_config_static_selectorELNS0_4arch9wavefront6targetE0EEEvT1_
    .private_segment_fixed_size: 0
    .sgpr_count:     0
    .sgpr_spill_count: 0
    .symbol:         _ZN7rocprim17ROCPRIM_400000_NS6detail17trampoline_kernelINS0_14default_configENS1_29reduce_by_key_config_selectorIyjN6thrust23THRUST_200600_302600_NS4plusIjEEEEZZNS1_33reduce_by_key_impl_wrapped_configILNS1_25lookback_scan_determinismE0ES3_S9_NS6_6detail15normal_iteratorINS6_10device_ptrIyEEEENSD_INSE_IjEEEESG_SI_PmS8_NS6_8equal_toIyEEEE10hipError_tPvRmT2_T3_mT4_T5_T6_T7_T8_P12ihipStream_tbENKUlT_T0_E_clISt17integral_constantIbLb1EES12_IbLb0EEEEDaSY_SZ_EUlSY_E_NS1_11comp_targetILNS1_3genE0ELNS1_11target_archE4294967295ELNS1_3gpuE0ELNS1_3repE0EEENS1_30default_config_static_selectorELNS0_4arch9wavefront6targetE0EEEvT1_.kd
    .uniform_work_group_size: 1
    .uses_dynamic_stack: false
    .vgpr_count:     0
    .vgpr_spill_count: 0
    .wavefront_size: 32
    .workgroup_processor_mode: 1
  - .args:
      - .offset:         0
        .size:           120
        .value_kind:     by_value
    .group_segment_fixed_size: 0
    .kernarg_segment_align: 8
    .kernarg_segment_size: 120
    .language:       OpenCL C
    .language_version:
      - 2
      - 0
    .max_flat_workgroup_size: 256
    .name:           _ZN7rocprim17ROCPRIM_400000_NS6detail17trampoline_kernelINS0_14default_configENS1_29reduce_by_key_config_selectorIyjN6thrust23THRUST_200600_302600_NS4plusIjEEEEZZNS1_33reduce_by_key_impl_wrapped_configILNS1_25lookback_scan_determinismE0ES3_S9_NS6_6detail15normal_iteratorINS6_10device_ptrIyEEEENSD_INSE_IjEEEESG_SI_PmS8_NS6_8equal_toIyEEEE10hipError_tPvRmT2_T3_mT4_T5_T6_T7_T8_P12ihipStream_tbENKUlT_T0_E_clISt17integral_constantIbLb1EES12_IbLb0EEEEDaSY_SZ_EUlSY_E_NS1_11comp_targetILNS1_3genE5ELNS1_11target_archE942ELNS1_3gpuE9ELNS1_3repE0EEENS1_30default_config_static_selectorELNS0_4arch9wavefront6targetE0EEEvT1_
    .private_segment_fixed_size: 0
    .sgpr_count:     0
    .sgpr_spill_count: 0
    .symbol:         _ZN7rocprim17ROCPRIM_400000_NS6detail17trampoline_kernelINS0_14default_configENS1_29reduce_by_key_config_selectorIyjN6thrust23THRUST_200600_302600_NS4plusIjEEEEZZNS1_33reduce_by_key_impl_wrapped_configILNS1_25lookback_scan_determinismE0ES3_S9_NS6_6detail15normal_iteratorINS6_10device_ptrIyEEEENSD_INSE_IjEEEESG_SI_PmS8_NS6_8equal_toIyEEEE10hipError_tPvRmT2_T3_mT4_T5_T6_T7_T8_P12ihipStream_tbENKUlT_T0_E_clISt17integral_constantIbLb1EES12_IbLb0EEEEDaSY_SZ_EUlSY_E_NS1_11comp_targetILNS1_3genE5ELNS1_11target_archE942ELNS1_3gpuE9ELNS1_3repE0EEENS1_30default_config_static_selectorELNS0_4arch9wavefront6targetE0EEEvT1_.kd
    .uniform_work_group_size: 1
    .uses_dynamic_stack: false
    .vgpr_count:     0
    .vgpr_spill_count: 0
    .wavefront_size: 32
    .workgroup_processor_mode: 1
  - .args:
      - .offset:         0
        .size:           120
        .value_kind:     by_value
    .group_segment_fixed_size: 0
    .kernarg_segment_align: 8
    .kernarg_segment_size: 120
    .language:       OpenCL C
    .language_version:
      - 2
      - 0
    .max_flat_workgroup_size: 256
    .name:           _ZN7rocprim17ROCPRIM_400000_NS6detail17trampoline_kernelINS0_14default_configENS1_29reduce_by_key_config_selectorIyjN6thrust23THRUST_200600_302600_NS4plusIjEEEEZZNS1_33reduce_by_key_impl_wrapped_configILNS1_25lookback_scan_determinismE0ES3_S9_NS6_6detail15normal_iteratorINS6_10device_ptrIyEEEENSD_INSE_IjEEEESG_SI_PmS8_NS6_8equal_toIyEEEE10hipError_tPvRmT2_T3_mT4_T5_T6_T7_T8_P12ihipStream_tbENKUlT_T0_E_clISt17integral_constantIbLb1EES12_IbLb0EEEEDaSY_SZ_EUlSY_E_NS1_11comp_targetILNS1_3genE4ELNS1_11target_archE910ELNS1_3gpuE8ELNS1_3repE0EEENS1_30default_config_static_selectorELNS0_4arch9wavefront6targetE0EEEvT1_
    .private_segment_fixed_size: 0
    .sgpr_count:     0
    .sgpr_spill_count: 0
    .symbol:         _ZN7rocprim17ROCPRIM_400000_NS6detail17trampoline_kernelINS0_14default_configENS1_29reduce_by_key_config_selectorIyjN6thrust23THRUST_200600_302600_NS4plusIjEEEEZZNS1_33reduce_by_key_impl_wrapped_configILNS1_25lookback_scan_determinismE0ES3_S9_NS6_6detail15normal_iteratorINS6_10device_ptrIyEEEENSD_INSE_IjEEEESG_SI_PmS8_NS6_8equal_toIyEEEE10hipError_tPvRmT2_T3_mT4_T5_T6_T7_T8_P12ihipStream_tbENKUlT_T0_E_clISt17integral_constantIbLb1EES12_IbLb0EEEEDaSY_SZ_EUlSY_E_NS1_11comp_targetILNS1_3genE4ELNS1_11target_archE910ELNS1_3gpuE8ELNS1_3repE0EEENS1_30default_config_static_selectorELNS0_4arch9wavefront6targetE0EEEvT1_.kd
    .uniform_work_group_size: 1
    .uses_dynamic_stack: false
    .vgpr_count:     0
    .vgpr_spill_count: 0
    .wavefront_size: 32
    .workgroup_processor_mode: 1
  - .args:
      - .offset:         0
        .size:           120
        .value_kind:     by_value
    .group_segment_fixed_size: 0
    .kernarg_segment_align: 8
    .kernarg_segment_size: 120
    .language:       OpenCL C
    .language_version:
      - 2
      - 0
    .max_flat_workgroup_size: 256
    .name:           _ZN7rocprim17ROCPRIM_400000_NS6detail17trampoline_kernelINS0_14default_configENS1_29reduce_by_key_config_selectorIyjN6thrust23THRUST_200600_302600_NS4plusIjEEEEZZNS1_33reduce_by_key_impl_wrapped_configILNS1_25lookback_scan_determinismE0ES3_S9_NS6_6detail15normal_iteratorINS6_10device_ptrIyEEEENSD_INSE_IjEEEESG_SI_PmS8_NS6_8equal_toIyEEEE10hipError_tPvRmT2_T3_mT4_T5_T6_T7_T8_P12ihipStream_tbENKUlT_T0_E_clISt17integral_constantIbLb1EES12_IbLb0EEEEDaSY_SZ_EUlSY_E_NS1_11comp_targetILNS1_3genE3ELNS1_11target_archE908ELNS1_3gpuE7ELNS1_3repE0EEENS1_30default_config_static_selectorELNS0_4arch9wavefront6targetE0EEEvT1_
    .private_segment_fixed_size: 0
    .sgpr_count:     0
    .sgpr_spill_count: 0
    .symbol:         _ZN7rocprim17ROCPRIM_400000_NS6detail17trampoline_kernelINS0_14default_configENS1_29reduce_by_key_config_selectorIyjN6thrust23THRUST_200600_302600_NS4plusIjEEEEZZNS1_33reduce_by_key_impl_wrapped_configILNS1_25lookback_scan_determinismE0ES3_S9_NS6_6detail15normal_iteratorINS6_10device_ptrIyEEEENSD_INSE_IjEEEESG_SI_PmS8_NS6_8equal_toIyEEEE10hipError_tPvRmT2_T3_mT4_T5_T6_T7_T8_P12ihipStream_tbENKUlT_T0_E_clISt17integral_constantIbLb1EES12_IbLb0EEEEDaSY_SZ_EUlSY_E_NS1_11comp_targetILNS1_3genE3ELNS1_11target_archE908ELNS1_3gpuE7ELNS1_3repE0EEENS1_30default_config_static_selectorELNS0_4arch9wavefront6targetE0EEEvT1_.kd
    .uniform_work_group_size: 1
    .uses_dynamic_stack: false
    .vgpr_count:     0
    .vgpr_spill_count: 0
    .wavefront_size: 32
    .workgroup_processor_mode: 1
  - .args:
      - .offset:         0
        .size:           120
        .value_kind:     by_value
    .group_segment_fixed_size: 0
    .kernarg_segment_align: 8
    .kernarg_segment_size: 120
    .language:       OpenCL C
    .language_version:
      - 2
      - 0
    .max_flat_workgroup_size: 256
    .name:           _ZN7rocprim17ROCPRIM_400000_NS6detail17trampoline_kernelINS0_14default_configENS1_29reduce_by_key_config_selectorIyjN6thrust23THRUST_200600_302600_NS4plusIjEEEEZZNS1_33reduce_by_key_impl_wrapped_configILNS1_25lookback_scan_determinismE0ES3_S9_NS6_6detail15normal_iteratorINS6_10device_ptrIyEEEENSD_INSE_IjEEEESG_SI_PmS8_NS6_8equal_toIyEEEE10hipError_tPvRmT2_T3_mT4_T5_T6_T7_T8_P12ihipStream_tbENKUlT_T0_E_clISt17integral_constantIbLb1EES12_IbLb0EEEEDaSY_SZ_EUlSY_E_NS1_11comp_targetILNS1_3genE2ELNS1_11target_archE906ELNS1_3gpuE6ELNS1_3repE0EEENS1_30default_config_static_selectorELNS0_4arch9wavefront6targetE0EEEvT1_
    .private_segment_fixed_size: 0
    .sgpr_count:     0
    .sgpr_spill_count: 0
    .symbol:         _ZN7rocprim17ROCPRIM_400000_NS6detail17trampoline_kernelINS0_14default_configENS1_29reduce_by_key_config_selectorIyjN6thrust23THRUST_200600_302600_NS4plusIjEEEEZZNS1_33reduce_by_key_impl_wrapped_configILNS1_25lookback_scan_determinismE0ES3_S9_NS6_6detail15normal_iteratorINS6_10device_ptrIyEEEENSD_INSE_IjEEEESG_SI_PmS8_NS6_8equal_toIyEEEE10hipError_tPvRmT2_T3_mT4_T5_T6_T7_T8_P12ihipStream_tbENKUlT_T0_E_clISt17integral_constantIbLb1EES12_IbLb0EEEEDaSY_SZ_EUlSY_E_NS1_11comp_targetILNS1_3genE2ELNS1_11target_archE906ELNS1_3gpuE6ELNS1_3repE0EEENS1_30default_config_static_selectorELNS0_4arch9wavefront6targetE0EEEvT1_.kd
    .uniform_work_group_size: 1
    .uses_dynamic_stack: false
    .vgpr_count:     0
    .vgpr_spill_count: 0
    .wavefront_size: 32
    .workgroup_processor_mode: 1
  - .args:
      - .offset:         0
        .size:           120
        .value_kind:     by_value
    .group_segment_fixed_size: 0
    .kernarg_segment_align: 8
    .kernarg_segment_size: 120
    .language:       OpenCL C
    .language_version:
      - 2
      - 0
    .max_flat_workgroup_size: 256
    .name:           _ZN7rocprim17ROCPRIM_400000_NS6detail17trampoline_kernelINS0_14default_configENS1_29reduce_by_key_config_selectorIyjN6thrust23THRUST_200600_302600_NS4plusIjEEEEZZNS1_33reduce_by_key_impl_wrapped_configILNS1_25lookback_scan_determinismE0ES3_S9_NS6_6detail15normal_iteratorINS6_10device_ptrIyEEEENSD_INSE_IjEEEESG_SI_PmS8_NS6_8equal_toIyEEEE10hipError_tPvRmT2_T3_mT4_T5_T6_T7_T8_P12ihipStream_tbENKUlT_T0_E_clISt17integral_constantIbLb1EES12_IbLb0EEEEDaSY_SZ_EUlSY_E_NS1_11comp_targetILNS1_3genE10ELNS1_11target_archE1201ELNS1_3gpuE5ELNS1_3repE0EEENS1_30default_config_static_selectorELNS0_4arch9wavefront6targetE0EEEvT1_
    .private_segment_fixed_size: 0
    .sgpr_count:     0
    .sgpr_spill_count: 0
    .symbol:         _ZN7rocprim17ROCPRIM_400000_NS6detail17trampoline_kernelINS0_14default_configENS1_29reduce_by_key_config_selectorIyjN6thrust23THRUST_200600_302600_NS4plusIjEEEEZZNS1_33reduce_by_key_impl_wrapped_configILNS1_25lookback_scan_determinismE0ES3_S9_NS6_6detail15normal_iteratorINS6_10device_ptrIyEEEENSD_INSE_IjEEEESG_SI_PmS8_NS6_8equal_toIyEEEE10hipError_tPvRmT2_T3_mT4_T5_T6_T7_T8_P12ihipStream_tbENKUlT_T0_E_clISt17integral_constantIbLb1EES12_IbLb0EEEEDaSY_SZ_EUlSY_E_NS1_11comp_targetILNS1_3genE10ELNS1_11target_archE1201ELNS1_3gpuE5ELNS1_3repE0EEENS1_30default_config_static_selectorELNS0_4arch9wavefront6targetE0EEEvT1_.kd
    .uniform_work_group_size: 1
    .uses_dynamic_stack: false
    .vgpr_count:     0
    .vgpr_spill_count: 0
    .wavefront_size: 32
    .workgroup_processor_mode: 1
  - .args:
      - .offset:         0
        .size:           120
        .value_kind:     by_value
    .group_segment_fixed_size: 0
    .kernarg_segment_align: 8
    .kernarg_segment_size: 120
    .language:       OpenCL C
    .language_version:
      - 2
      - 0
    .max_flat_workgroup_size: 256
    .name:           _ZN7rocprim17ROCPRIM_400000_NS6detail17trampoline_kernelINS0_14default_configENS1_29reduce_by_key_config_selectorIyjN6thrust23THRUST_200600_302600_NS4plusIjEEEEZZNS1_33reduce_by_key_impl_wrapped_configILNS1_25lookback_scan_determinismE0ES3_S9_NS6_6detail15normal_iteratorINS6_10device_ptrIyEEEENSD_INSE_IjEEEESG_SI_PmS8_NS6_8equal_toIyEEEE10hipError_tPvRmT2_T3_mT4_T5_T6_T7_T8_P12ihipStream_tbENKUlT_T0_E_clISt17integral_constantIbLb1EES12_IbLb0EEEEDaSY_SZ_EUlSY_E_NS1_11comp_targetILNS1_3genE10ELNS1_11target_archE1200ELNS1_3gpuE4ELNS1_3repE0EEENS1_30default_config_static_selectorELNS0_4arch9wavefront6targetE0EEEvT1_
    .private_segment_fixed_size: 0
    .sgpr_count:     0
    .sgpr_spill_count: 0
    .symbol:         _ZN7rocprim17ROCPRIM_400000_NS6detail17trampoline_kernelINS0_14default_configENS1_29reduce_by_key_config_selectorIyjN6thrust23THRUST_200600_302600_NS4plusIjEEEEZZNS1_33reduce_by_key_impl_wrapped_configILNS1_25lookback_scan_determinismE0ES3_S9_NS6_6detail15normal_iteratorINS6_10device_ptrIyEEEENSD_INSE_IjEEEESG_SI_PmS8_NS6_8equal_toIyEEEE10hipError_tPvRmT2_T3_mT4_T5_T6_T7_T8_P12ihipStream_tbENKUlT_T0_E_clISt17integral_constantIbLb1EES12_IbLb0EEEEDaSY_SZ_EUlSY_E_NS1_11comp_targetILNS1_3genE10ELNS1_11target_archE1200ELNS1_3gpuE4ELNS1_3repE0EEENS1_30default_config_static_selectorELNS0_4arch9wavefront6targetE0EEEvT1_.kd
    .uniform_work_group_size: 1
    .uses_dynamic_stack: false
    .vgpr_count:     0
    .vgpr_spill_count: 0
    .wavefront_size: 32
    .workgroup_processor_mode: 1
  - .args:
      - .offset:         0
        .size:           120
        .value_kind:     by_value
    .group_segment_fixed_size: 30720
    .kernarg_segment_align: 8
    .kernarg_segment_size: 120
    .language:       OpenCL C
    .language_version:
      - 2
      - 0
    .max_flat_workgroup_size: 256
    .name:           _ZN7rocprim17ROCPRIM_400000_NS6detail17trampoline_kernelINS0_14default_configENS1_29reduce_by_key_config_selectorIyjN6thrust23THRUST_200600_302600_NS4plusIjEEEEZZNS1_33reduce_by_key_impl_wrapped_configILNS1_25lookback_scan_determinismE0ES3_S9_NS6_6detail15normal_iteratorINS6_10device_ptrIyEEEENSD_INSE_IjEEEESG_SI_PmS8_NS6_8equal_toIyEEEE10hipError_tPvRmT2_T3_mT4_T5_T6_T7_T8_P12ihipStream_tbENKUlT_T0_E_clISt17integral_constantIbLb1EES12_IbLb0EEEEDaSY_SZ_EUlSY_E_NS1_11comp_targetILNS1_3genE9ELNS1_11target_archE1100ELNS1_3gpuE3ELNS1_3repE0EEENS1_30default_config_static_selectorELNS0_4arch9wavefront6targetE0EEEvT1_
    .private_segment_fixed_size: 0
    .sgpr_count:     50
    .sgpr_spill_count: 0
    .symbol:         _ZN7rocprim17ROCPRIM_400000_NS6detail17trampoline_kernelINS0_14default_configENS1_29reduce_by_key_config_selectorIyjN6thrust23THRUST_200600_302600_NS4plusIjEEEEZZNS1_33reduce_by_key_impl_wrapped_configILNS1_25lookback_scan_determinismE0ES3_S9_NS6_6detail15normal_iteratorINS6_10device_ptrIyEEEENSD_INSE_IjEEEESG_SI_PmS8_NS6_8equal_toIyEEEE10hipError_tPvRmT2_T3_mT4_T5_T6_T7_T8_P12ihipStream_tbENKUlT_T0_E_clISt17integral_constantIbLb1EES12_IbLb0EEEEDaSY_SZ_EUlSY_E_NS1_11comp_targetILNS1_3genE9ELNS1_11target_archE1100ELNS1_3gpuE3ELNS1_3repE0EEENS1_30default_config_static_selectorELNS0_4arch9wavefront6targetE0EEEvT1_.kd
    .uniform_work_group_size: 1
    .uses_dynamic_stack: false
    .vgpr_count:     100
    .vgpr_spill_count: 0
    .wavefront_size: 32
    .workgroup_processor_mode: 1
  - .args:
      - .offset:         0
        .size:           120
        .value_kind:     by_value
    .group_segment_fixed_size: 0
    .kernarg_segment_align: 8
    .kernarg_segment_size: 120
    .language:       OpenCL C
    .language_version:
      - 2
      - 0
    .max_flat_workgroup_size: 256
    .name:           _ZN7rocprim17ROCPRIM_400000_NS6detail17trampoline_kernelINS0_14default_configENS1_29reduce_by_key_config_selectorIyjN6thrust23THRUST_200600_302600_NS4plusIjEEEEZZNS1_33reduce_by_key_impl_wrapped_configILNS1_25lookback_scan_determinismE0ES3_S9_NS6_6detail15normal_iteratorINS6_10device_ptrIyEEEENSD_INSE_IjEEEESG_SI_PmS8_NS6_8equal_toIyEEEE10hipError_tPvRmT2_T3_mT4_T5_T6_T7_T8_P12ihipStream_tbENKUlT_T0_E_clISt17integral_constantIbLb1EES12_IbLb0EEEEDaSY_SZ_EUlSY_E_NS1_11comp_targetILNS1_3genE8ELNS1_11target_archE1030ELNS1_3gpuE2ELNS1_3repE0EEENS1_30default_config_static_selectorELNS0_4arch9wavefront6targetE0EEEvT1_
    .private_segment_fixed_size: 0
    .sgpr_count:     0
    .sgpr_spill_count: 0
    .symbol:         _ZN7rocprim17ROCPRIM_400000_NS6detail17trampoline_kernelINS0_14default_configENS1_29reduce_by_key_config_selectorIyjN6thrust23THRUST_200600_302600_NS4plusIjEEEEZZNS1_33reduce_by_key_impl_wrapped_configILNS1_25lookback_scan_determinismE0ES3_S9_NS6_6detail15normal_iteratorINS6_10device_ptrIyEEEENSD_INSE_IjEEEESG_SI_PmS8_NS6_8equal_toIyEEEE10hipError_tPvRmT2_T3_mT4_T5_T6_T7_T8_P12ihipStream_tbENKUlT_T0_E_clISt17integral_constantIbLb1EES12_IbLb0EEEEDaSY_SZ_EUlSY_E_NS1_11comp_targetILNS1_3genE8ELNS1_11target_archE1030ELNS1_3gpuE2ELNS1_3repE0EEENS1_30default_config_static_selectorELNS0_4arch9wavefront6targetE0EEEvT1_.kd
    .uniform_work_group_size: 1
    .uses_dynamic_stack: false
    .vgpr_count:     0
    .vgpr_spill_count: 0
    .wavefront_size: 32
    .workgroup_processor_mode: 1
  - .args:
      - .offset:         0
        .size:           120
        .value_kind:     by_value
    .group_segment_fixed_size: 0
    .kernarg_segment_align: 8
    .kernarg_segment_size: 120
    .language:       OpenCL C
    .language_version:
      - 2
      - 0
    .max_flat_workgroup_size: 256
    .name:           _ZN7rocprim17ROCPRIM_400000_NS6detail17trampoline_kernelINS0_14default_configENS1_29reduce_by_key_config_selectorIyjN6thrust23THRUST_200600_302600_NS4plusIjEEEEZZNS1_33reduce_by_key_impl_wrapped_configILNS1_25lookback_scan_determinismE0ES3_S9_NS6_6detail15normal_iteratorINS6_10device_ptrIyEEEENSD_INSE_IjEEEESG_SI_PmS8_NS6_8equal_toIyEEEE10hipError_tPvRmT2_T3_mT4_T5_T6_T7_T8_P12ihipStream_tbENKUlT_T0_E_clISt17integral_constantIbLb0EES12_IbLb1EEEEDaSY_SZ_EUlSY_E_NS1_11comp_targetILNS1_3genE0ELNS1_11target_archE4294967295ELNS1_3gpuE0ELNS1_3repE0EEENS1_30default_config_static_selectorELNS0_4arch9wavefront6targetE0EEEvT1_
    .private_segment_fixed_size: 0
    .sgpr_count:     0
    .sgpr_spill_count: 0
    .symbol:         _ZN7rocprim17ROCPRIM_400000_NS6detail17trampoline_kernelINS0_14default_configENS1_29reduce_by_key_config_selectorIyjN6thrust23THRUST_200600_302600_NS4plusIjEEEEZZNS1_33reduce_by_key_impl_wrapped_configILNS1_25lookback_scan_determinismE0ES3_S9_NS6_6detail15normal_iteratorINS6_10device_ptrIyEEEENSD_INSE_IjEEEESG_SI_PmS8_NS6_8equal_toIyEEEE10hipError_tPvRmT2_T3_mT4_T5_T6_T7_T8_P12ihipStream_tbENKUlT_T0_E_clISt17integral_constantIbLb0EES12_IbLb1EEEEDaSY_SZ_EUlSY_E_NS1_11comp_targetILNS1_3genE0ELNS1_11target_archE4294967295ELNS1_3gpuE0ELNS1_3repE0EEENS1_30default_config_static_selectorELNS0_4arch9wavefront6targetE0EEEvT1_.kd
    .uniform_work_group_size: 1
    .uses_dynamic_stack: false
    .vgpr_count:     0
    .vgpr_spill_count: 0
    .wavefront_size: 32
    .workgroup_processor_mode: 1
  - .args:
      - .offset:         0
        .size:           120
        .value_kind:     by_value
    .group_segment_fixed_size: 0
    .kernarg_segment_align: 8
    .kernarg_segment_size: 120
    .language:       OpenCL C
    .language_version:
      - 2
      - 0
    .max_flat_workgroup_size: 256
    .name:           _ZN7rocprim17ROCPRIM_400000_NS6detail17trampoline_kernelINS0_14default_configENS1_29reduce_by_key_config_selectorIyjN6thrust23THRUST_200600_302600_NS4plusIjEEEEZZNS1_33reduce_by_key_impl_wrapped_configILNS1_25lookback_scan_determinismE0ES3_S9_NS6_6detail15normal_iteratorINS6_10device_ptrIyEEEENSD_INSE_IjEEEESG_SI_PmS8_NS6_8equal_toIyEEEE10hipError_tPvRmT2_T3_mT4_T5_T6_T7_T8_P12ihipStream_tbENKUlT_T0_E_clISt17integral_constantIbLb0EES12_IbLb1EEEEDaSY_SZ_EUlSY_E_NS1_11comp_targetILNS1_3genE5ELNS1_11target_archE942ELNS1_3gpuE9ELNS1_3repE0EEENS1_30default_config_static_selectorELNS0_4arch9wavefront6targetE0EEEvT1_
    .private_segment_fixed_size: 0
    .sgpr_count:     0
    .sgpr_spill_count: 0
    .symbol:         _ZN7rocprim17ROCPRIM_400000_NS6detail17trampoline_kernelINS0_14default_configENS1_29reduce_by_key_config_selectorIyjN6thrust23THRUST_200600_302600_NS4plusIjEEEEZZNS1_33reduce_by_key_impl_wrapped_configILNS1_25lookback_scan_determinismE0ES3_S9_NS6_6detail15normal_iteratorINS6_10device_ptrIyEEEENSD_INSE_IjEEEESG_SI_PmS8_NS6_8equal_toIyEEEE10hipError_tPvRmT2_T3_mT4_T5_T6_T7_T8_P12ihipStream_tbENKUlT_T0_E_clISt17integral_constantIbLb0EES12_IbLb1EEEEDaSY_SZ_EUlSY_E_NS1_11comp_targetILNS1_3genE5ELNS1_11target_archE942ELNS1_3gpuE9ELNS1_3repE0EEENS1_30default_config_static_selectorELNS0_4arch9wavefront6targetE0EEEvT1_.kd
    .uniform_work_group_size: 1
    .uses_dynamic_stack: false
    .vgpr_count:     0
    .vgpr_spill_count: 0
    .wavefront_size: 32
    .workgroup_processor_mode: 1
  - .args:
      - .offset:         0
        .size:           120
        .value_kind:     by_value
    .group_segment_fixed_size: 0
    .kernarg_segment_align: 8
    .kernarg_segment_size: 120
    .language:       OpenCL C
    .language_version:
      - 2
      - 0
    .max_flat_workgroup_size: 256
    .name:           _ZN7rocprim17ROCPRIM_400000_NS6detail17trampoline_kernelINS0_14default_configENS1_29reduce_by_key_config_selectorIyjN6thrust23THRUST_200600_302600_NS4plusIjEEEEZZNS1_33reduce_by_key_impl_wrapped_configILNS1_25lookback_scan_determinismE0ES3_S9_NS6_6detail15normal_iteratorINS6_10device_ptrIyEEEENSD_INSE_IjEEEESG_SI_PmS8_NS6_8equal_toIyEEEE10hipError_tPvRmT2_T3_mT4_T5_T6_T7_T8_P12ihipStream_tbENKUlT_T0_E_clISt17integral_constantIbLb0EES12_IbLb1EEEEDaSY_SZ_EUlSY_E_NS1_11comp_targetILNS1_3genE4ELNS1_11target_archE910ELNS1_3gpuE8ELNS1_3repE0EEENS1_30default_config_static_selectorELNS0_4arch9wavefront6targetE0EEEvT1_
    .private_segment_fixed_size: 0
    .sgpr_count:     0
    .sgpr_spill_count: 0
    .symbol:         _ZN7rocprim17ROCPRIM_400000_NS6detail17trampoline_kernelINS0_14default_configENS1_29reduce_by_key_config_selectorIyjN6thrust23THRUST_200600_302600_NS4plusIjEEEEZZNS1_33reduce_by_key_impl_wrapped_configILNS1_25lookback_scan_determinismE0ES3_S9_NS6_6detail15normal_iteratorINS6_10device_ptrIyEEEENSD_INSE_IjEEEESG_SI_PmS8_NS6_8equal_toIyEEEE10hipError_tPvRmT2_T3_mT4_T5_T6_T7_T8_P12ihipStream_tbENKUlT_T0_E_clISt17integral_constantIbLb0EES12_IbLb1EEEEDaSY_SZ_EUlSY_E_NS1_11comp_targetILNS1_3genE4ELNS1_11target_archE910ELNS1_3gpuE8ELNS1_3repE0EEENS1_30default_config_static_selectorELNS0_4arch9wavefront6targetE0EEEvT1_.kd
    .uniform_work_group_size: 1
    .uses_dynamic_stack: false
    .vgpr_count:     0
    .vgpr_spill_count: 0
    .wavefront_size: 32
    .workgroup_processor_mode: 1
  - .args:
      - .offset:         0
        .size:           120
        .value_kind:     by_value
    .group_segment_fixed_size: 0
    .kernarg_segment_align: 8
    .kernarg_segment_size: 120
    .language:       OpenCL C
    .language_version:
      - 2
      - 0
    .max_flat_workgroup_size: 256
    .name:           _ZN7rocprim17ROCPRIM_400000_NS6detail17trampoline_kernelINS0_14default_configENS1_29reduce_by_key_config_selectorIyjN6thrust23THRUST_200600_302600_NS4plusIjEEEEZZNS1_33reduce_by_key_impl_wrapped_configILNS1_25lookback_scan_determinismE0ES3_S9_NS6_6detail15normal_iteratorINS6_10device_ptrIyEEEENSD_INSE_IjEEEESG_SI_PmS8_NS6_8equal_toIyEEEE10hipError_tPvRmT2_T3_mT4_T5_T6_T7_T8_P12ihipStream_tbENKUlT_T0_E_clISt17integral_constantIbLb0EES12_IbLb1EEEEDaSY_SZ_EUlSY_E_NS1_11comp_targetILNS1_3genE3ELNS1_11target_archE908ELNS1_3gpuE7ELNS1_3repE0EEENS1_30default_config_static_selectorELNS0_4arch9wavefront6targetE0EEEvT1_
    .private_segment_fixed_size: 0
    .sgpr_count:     0
    .sgpr_spill_count: 0
    .symbol:         _ZN7rocprim17ROCPRIM_400000_NS6detail17trampoline_kernelINS0_14default_configENS1_29reduce_by_key_config_selectorIyjN6thrust23THRUST_200600_302600_NS4plusIjEEEEZZNS1_33reduce_by_key_impl_wrapped_configILNS1_25lookback_scan_determinismE0ES3_S9_NS6_6detail15normal_iteratorINS6_10device_ptrIyEEEENSD_INSE_IjEEEESG_SI_PmS8_NS6_8equal_toIyEEEE10hipError_tPvRmT2_T3_mT4_T5_T6_T7_T8_P12ihipStream_tbENKUlT_T0_E_clISt17integral_constantIbLb0EES12_IbLb1EEEEDaSY_SZ_EUlSY_E_NS1_11comp_targetILNS1_3genE3ELNS1_11target_archE908ELNS1_3gpuE7ELNS1_3repE0EEENS1_30default_config_static_selectorELNS0_4arch9wavefront6targetE0EEEvT1_.kd
    .uniform_work_group_size: 1
    .uses_dynamic_stack: false
    .vgpr_count:     0
    .vgpr_spill_count: 0
    .wavefront_size: 32
    .workgroup_processor_mode: 1
  - .args:
      - .offset:         0
        .size:           120
        .value_kind:     by_value
    .group_segment_fixed_size: 0
    .kernarg_segment_align: 8
    .kernarg_segment_size: 120
    .language:       OpenCL C
    .language_version:
      - 2
      - 0
    .max_flat_workgroup_size: 256
    .name:           _ZN7rocprim17ROCPRIM_400000_NS6detail17trampoline_kernelINS0_14default_configENS1_29reduce_by_key_config_selectorIyjN6thrust23THRUST_200600_302600_NS4plusIjEEEEZZNS1_33reduce_by_key_impl_wrapped_configILNS1_25lookback_scan_determinismE0ES3_S9_NS6_6detail15normal_iteratorINS6_10device_ptrIyEEEENSD_INSE_IjEEEESG_SI_PmS8_NS6_8equal_toIyEEEE10hipError_tPvRmT2_T3_mT4_T5_T6_T7_T8_P12ihipStream_tbENKUlT_T0_E_clISt17integral_constantIbLb0EES12_IbLb1EEEEDaSY_SZ_EUlSY_E_NS1_11comp_targetILNS1_3genE2ELNS1_11target_archE906ELNS1_3gpuE6ELNS1_3repE0EEENS1_30default_config_static_selectorELNS0_4arch9wavefront6targetE0EEEvT1_
    .private_segment_fixed_size: 0
    .sgpr_count:     0
    .sgpr_spill_count: 0
    .symbol:         _ZN7rocprim17ROCPRIM_400000_NS6detail17trampoline_kernelINS0_14default_configENS1_29reduce_by_key_config_selectorIyjN6thrust23THRUST_200600_302600_NS4plusIjEEEEZZNS1_33reduce_by_key_impl_wrapped_configILNS1_25lookback_scan_determinismE0ES3_S9_NS6_6detail15normal_iteratorINS6_10device_ptrIyEEEENSD_INSE_IjEEEESG_SI_PmS8_NS6_8equal_toIyEEEE10hipError_tPvRmT2_T3_mT4_T5_T6_T7_T8_P12ihipStream_tbENKUlT_T0_E_clISt17integral_constantIbLb0EES12_IbLb1EEEEDaSY_SZ_EUlSY_E_NS1_11comp_targetILNS1_3genE2ELNS1_11target_archE906ELNS1_3gpuE6ELNS1_3repE0EEENS1_30default_config_static_selectorELNS0_4arch9wavefront6targetE0EEEvT1_.kd
    .uniform_work_group_size: 1
    .uses_dynamic_stack: false
    .vgpr_count:     0
    .vgpr_spill_count: 0
    .wavefront_size: 32
    .workgroup_processor_mode: 1
  - .args:
      - .offset:         0
        .size:           120
        .value_kind:     by_value
    .group_segment_fixed_size: 0
    .kernarg_segment_align: 8
    .kernarg_segment_size: 120
    .language:       OpenCL C
    .language_version:
      - 2
      - 0
    .max_flat_workgroup_size: 256
    .name:           _ZN7rocprim17ROCPRIM_400000_NS6detail17trampoline_kernelINS0_14default_configENS1_29reduce_by_key_config_selectorIyjN6thrust23THRUST_200600_302600_NS4plusIjEEEEZZNS1_33reduce_by_key_impl_wrapped_configILNS1_25lookback_scan_determinismE0ES3_S9_NS6_6detail15normal_iteratorINS6_10device_ptrIyEEEENSD_INSE_IjEEEESG_SI_PmS8_NS6_8equal_toIyEEEE10hipError_tPvRmT2_T3_mT4_T5_T6_T7_T8_P12ihipStream_tbENKUlT_T0_E_clISt17integral_constantIbLb0EES12_IbLb1EEEEDaSY_SZ_EUlSY_E_NS1_11comp_targetILNS1_3genE10ELNS1_11target_archE1201ELNS1_3gpuE5ELNS1_3repE0EEENS1_30default_config_static_selectorELNS0_4arch9wavefront6targetE0EEEvT1_
    .private_segment_fixed_size: 0
    .sgpr_count:     0
    .sgpr_spill_count: 0
    .symbol:         _ZN7rocprim17ROCPRIM_400000_NS6detail17trampoline_kernelINS0_14default_configENS1_29reduce_by_key_config_selectorIyjN6thrust23THRUST_200600_302600_NS4plusIjEEEEZZNS1_33reduce_by_key_impl_wrapped_configILNS1_25lookback_scan_determinismE0ES3_S9_NS6_6detail15normal_iteratorINS6_10device_ptrIyEEEENSD_INSE_IjEEEESG_SI_PmS8_NS6_8equal_toIyEEEE10hipError_tPvRmT2_T3_mT4_T5_T6_T7_T8_P12ihipStream_tbENKUlT_T0_E_clISt17integral_constantIbLb0EES12_IbLb1EEEEDaSY_SZ_EUlSY_E_NS1_11comp_targetILNS1_3genE10ELNS1_11target_archE1201ELNS1_3gpuE5ELNS1_3repE0EEENS1_30default_config_static_selectorELNS0_4arch9wavefront6targetE0EEEvT1_.kd
    .uniform_work_group_size: 1
    .uses_dynamic_stack: false
    .vgpr_count:     0
    .vgpr_spill_count: 0
    .wavefront_size: 32
    .workgroup_processor_mode: 1
  - .args:
      - .offset:         0
        .size:           120
        .value_kind:     by_value
    .group_segment_fixed_size: 0
    .kernarg_segment_align: 8
    .kernarg_segment_size: 120
    .language:       OpenCL C
    .language_version:
      - 2
      - 0
    .max_flat_workgroup_size: 256
    .name:           _ZN7rocprim17ROCPRIM_400000_NS6detail17trampoline_kernelINS0_14default_configENS1_29reduce_by_key_config_selectorIyjN6thrust23THRUST_200600_302600_NS4plusIjEEEEZZNS1_33reduce_by_key_impl_wrapped_configILNS1_25lookback_scan_determinismE0ES3_S9_NS6_6detail15normal_iteratorINS6_10device_ptrIyEEEENSD_INSE_IjEEEESG_SI_PmS8_NS6_8equal_toIyEEEE10hipError_tPvRmT2_T3_mT4_T5_T6_T7_T8_P12ihipStream_tbENKUlT_T0_E_clISt17integral_constantIbLb0EES12_IbLb1EEEEDaSY_SZ_EUlSY_E_NS1_11comp_targetILNS1_3genE10ELNS1_11target_archE1200ELNS1_3gpuE4ELNS1_3repE0EEENS1_30default_config_static_selectorELNS0_4arch9wavefront6targetE0EEEvT1_
    .private_segment_fixed_size: 0
    .sgpr_count:     0
    .sgpr_spill_count: 0
    .symbol:         _ZN7rocprim17ROCPRIM_400000_NS6detail17trampoline_kernelINS0_14default_configENS1_29reduce_by_key_config_selectorIyjN6thrust23THRUST_200600_302600_NS4plusIjEEEEZZNS1_33reduce_by_key_impl_wrapped_configILNS1_25lookback_scan_determinismE0ES3_S9_NS6_6detail15normal_iteratorINS6_10device_ptrIyEEEENSD_INSE_IjEEEESG_SI_PmS8_NS6_8equal_toIyEEEE10hipError_tPvRmT2_T3_mT4_T5_T6_T7_T8_P12ihipStream_tbENKUlT_T0_E_clISt17integral_constantIbLb0EES12_IbLb1EEEEDaSY_SZ_EUlSY_E_NS1_11comp_targetILNS1_3genE10ELNS1_11target_archE1200ELNS1_3gpuE4ELNS1_3repE0EEENS1_30default_config_static_selectorELNS0_4arch9wavefront6targetE0EEEvT1_.kd
    .uniform_work_group_size: 1
    .uses_dynamic_stack: false
    .vgpr_count:     0
    .vgpr_spill_count: 0
    .wavefront_size: 32
    .workgroup_processor_mode: 1
  - .args:
      - .offset:         0
        .size:           120
        .value_kind:     by_value
    .group_segment_fixed_size: 30720
    .kernarg_segment_align: 8
    .kernarg_segment_size: 120
    .language:       OpenCL C
    .language_version:
      - 2
      - 0
    .max_flat_workgroup_size: 256
    .name:           _ZN7rocprim17ROCPRIM_400000_NS6detail17trampoline_kernelINS0_14default_configENS1_29reduce_by_key_config_selectorIyjN6thrust23THRUST_200600_302600_NS4plusIjEEEEZZNS1_33reduce_by_key_impl_wrapped_configILNS1_25lookback_scan_determinismE0ES3_S9_NS6_6detail15normal_iteratorINS6_10device_ptrIyEEEENSD_INSE_IjEEEESG_SI_PmS8_NS6_8equal_toIyEEEE10hipError_tPvRmT2_T3_mT4_T5_T6_T7_T8_P12ihipStream_tbENKUlT_T0_E_clISt17integral_constantIbLb0EES12_IbLb1EEEEDaSY_SZ_EUlSY_E_NS1_11comp_targetILNS1_3genE9ELNS1_11target_archE1100ELNS1_3gpuE3ELNS1_3repE0EEENS1_30default_config_static_selectorELNS0_4arch9wavefront6targetE0EEEvT1_
    .private_segment_fixed_size: 0
    .sgpr_count:     47
    .sgpr_spill_count: 0
    .symbol:         _ZN7rocprim17ROCPRIM_400000_NS6detail17trampoline_kernelINS0_14default_configENS1_29reduce_by_key_config_selectorIyjN6thrust23THRUST_200600_302600_NS4plusIjEEEEZZNS1_33reduce_by_key_impl_wrapped_configILNS1_25lookback_scan_determinismE0ES3_S9_NS6_6detail15normal_iteratorINS6_10device_ptrIyEEEENSD_INSE_IjEEEESG_SI_PmS8_NS6_8equal_toIyEEEE10hipError_tPvRmT2_T3_mT4_T5_T6_T7_T8_P12ihipStream_tbENKUlT_T0_E_clISt17integral_constantIbLb0EES12_IbLb1EEEEDaSY_SZ_EUlSY_E_NS1_11comp_targetILNS1_3genE9ELNS1_11target_archE1100ELNS1_3gpuE3ELNS1_3repE0EEENS1_30default_config_static_selectorELNS0_4arch9wavefront6targetE0EEEvT1_.kd
    .uniform_work_group_size: 1
    .uses_dynamic_stack: false
    .vgpr_count:     100
    .vgpr_spill_count: 0
    .wavefront_size: 32
    .workgroup_processor_mode: 1
  - .args:
      - .offset:         0
        .size:           120
        .value_kind:     by_value
    .group_segment_fixed_size: 0
    .kernarg_segment_align: 8
    .kernarg_segment_size: 120
    .language:       OpenCL C
    .language_version:
      - 2
      - 0
    .max_flat_workgroup_size: 256
    .name:           _ZN7rocprim17ROCPRIM_400000_NS6detail17trampoline_kernelINS0_14default_configENS1_29reduce_by_key_config_selectorIyjN6thrust23THRUST_200600_302600_NS4plusIjEEEEZZNS1_33reduce_by_key_impl_wrapped_configILNS1_25lookback_scan_determinismE0ES3_S9_NS6_6detail15normal_iteratorINS6_10device_ptrIyEEEENSD_INSE_IjEEEESG_SI_PmS8_NS6_8equal_toIyEEEE10hipError_tPvRmT2_T3_mT4_T5_T6_T7_T8_P12ihipStream_tbENKUlT_T0_E_clISt17integral_constantIbLb0EES12_IbLb1EEEEDaSY_SZ_EUlSY_E_NS1_11comp_targetILNS1_3genE8ELNS1_11target_archE1030ELNS1_3gpuE2ELNS1_3repE0EEENS1_30default_config_static_selectorELNS0_4arch9wavefront6targetE0EEEvT1_
    .private_segment_fixed_size: 0
    .sgpr_count:     0
    .sgpr_spill_count: 0
    .symbol:         _ZN7rocprim17ROCPRIM_400000_NS6detail17trampoline_kernelINS0_14default_configENS1_29reduce_by_key_config_selectorIyjN6thrust23THRUST_200600_302600_NS4plusIjEEEEZZNS1_33reduce_by_key_impl_wrapped_configILNS1_25lookback_scan_determinismE0ES3_S9_NS6_6detail15normal_iteratorINS6_10device_ptrIyEEEENSD_INSE_IjEEEESG_SI_PmS8_NS6_8equal_toIyEEEE10hipError_tPvRmT2_T3_mT4_T5_T6_T7_T8_P12ihipStream_tbENKUlT_T0_E_clISt17integral_constantIbLb0EES12_IbLb1EEEEDaSY_SZ_EUlSY_E_NS1_11comp_targetILNS1_3genE8ELNS1_11target_archE1030ELNS1_3gpuE2ELNS1_3repE0EEENS1_30default_config_static_selectorELNS0_4arch9wavefront6targetE0EEEvT1_.kd
    .uniform_work_group_size: 1
    .uses_dynamic_stack: false
    .vgpr_count:     0
    .vgpr_spill_count: 0
    .wavefront_size: 32
    .workgroup_processor_mode: 1
  - .args:
      - .offset:         0
        .size:           120
        .value_kind:     by_value
    .group_segment_fixed_size: 0
    .kernarg_segment_align: 8
    .kernarg_segment_size: 120
    .language:       OpenCL C
    .language_version:
      - 2
      - 0
    .max_flat_workgroup_size: 256
    .name:           _ZN7rocprim17ROCPRIM_400000_NS6detail17trampoline_kernelINS0_14default_configENS1_29reduce_by_key_config_selectorItjN6thrust23THRUST_200600_302600_NS4plusIjEEEEZZNS1_33reduce_by_key_impl_wrapped_configILNS1_25lookback_scan_determinismE0ES3_S9_NS6_6detail15normal_iteratorINS6_10device_ptrItEEEENSD_INSE_IjEEEESG_SI_PmS8_NS6_8equal_toItEEEE10hipError_tPvRmT2_T3_mT4_T5_T6_T7_T8_P12ihipStream_tbENKUlT_T0_E_clISt17integral_constantIbLb0EES13_EEDaSY_SZ_EUlSY_E_NS1_11comp_targetILNS1_3genE0ELNS1_11target_archE4294967295ELNS1_3gpuE0ELNS1_3repE0EEENS1_30default_config_static_selectorELNS0_4arch9wavefront6targetE0EEEvT1_
    .private_segment_fixed_size: 0
    .sgpr_count:     0
    .sgpr_spill_count: 0
    .symbol:         _ZN7rocprim17ROCPRIM_400000_NS6detail17trampoline_kernelINS0_14default_configENS1_29reduce_by_key_config_selectorItjN6thrust23THRUST_200600_302600_NS4plusIjEEEEZZNS1_33reduce_by_key_impl_wrapped_configILNS1_25lookback_scan_determinismE0ES3_S9_NS6_6detail15normal_iteratorINS6_10device_ptrItEEEENSD_INSE_IjEEEESG_SI_PmS8_NS6_8equal_toItEEEE10hipError_tPvRmT2_T3_mT4_T5_T6_T7_T8_P12ihipStream_tbENKUlT_T0_E_clISt17integral_constantIbLb0EES13_EEDaSY_SZ_EUlSY_E_NS1_11comp_targetILNS1_3genE0ELNS1_11target_archE4294967295ELNS1_3gpuE0ELNS1_3repE0EEENS1_30default_config_static_selectorELNS0_4arch9wavefront6targetE0EEEvT1_.kd
    .uniform_work_group_size: 1
    .uses_dynamic_stack: false
    .vgpr_count:     0
    .vgpr_spill_count: 0
    .wavefront_size: 32
    .workgroup_processor_mode: 1
  - .args:
      - .offset:         0
        .size:           120
        .value_kind:     by_value
    .group_segment_fixed_size: 0
    .kernarg_segment_align: 8
    .kernarg_segment_size: 120
    .language:       OpenCL C
    .language_version:
      - 2
      - 0
    .max_flat_workgroup_size: 256
    .name:           _ZN7rocprim17ROCPRIM_400000_NS6detail17trampoline_kernelINS0_14default_configENS1_29reduce_by_key_config_selectorItjN6thrust23THRUST_200600_302600_NS4plusIjEEEEZZNS1_33reduce_by_key_impl_wrapped_configILNS1_25lookback_scan_determinismE0ES3_S9_NS6_6detail15normal_iteratorINS6_10device_ptrItEEEENSD_INSE_IjEEEESG_SI_PmS8_NS6_8equal_toItEEEE10hipError_tPvRmT2_T3_mT4_T5_T6_T7_T8_P12ihipStream_tbENKUlT_T0_E_clISt17integral_constantIbLb0EES13_EEDaSY_SZ_EUlSY_E_NS1_11comp_targetILNS1_3genE5ELNS1_11target_archE942ELNS1_3gpuE9ELNS1_3repE0EEENS1_30default_config_static_selectorELNS0_4arch9wavefront6targetE0EEEvT1_
    .private_segment_fixed_size: 0
    .sgpr_count:     0
    .sgpr_spill_count: 0
    .symbol:         _ZN7rocprim17ROCPRIM_400000_NS6detail17trampoline_kernelINS0_14default_configENS1_29reduce_by_key_config_selectorItjN6thrust23THRUST_200600_302600_NS4plusIjEEEEZZNS1_33reduce_by_key_impl_wrapped_configILNS1_25lookback_scan_determinismE0ES3_S9_NS6_6detail15normal_iteratorINS6_10device_ptrItEEEENSD_INSE_IjEEEESG_SI_PmS8_NS6_8equal_toItEEEE10hipError_tPvRmT2_T3_mT4_T5_T6_T7_T8_P12ihipStream_tbENKUlT_T0_E_clISt17integral_constantIbLb0EES13_EEDaSY_SZ_EUlSY_E_NS1_11comp_targetILNS1_3genE5ELNS1_11target_archE942ELNS1_3gpuE9ELNS1_3repE0EEENS1_30default_config_static_selectorELNS0_4arch9wavefront6targetE0EEEvT1_.kd
    .uniform_work_group_size: 1
    .uses_dynamic_stack: false
    .vgpr_count:     0
    .vgpr_spill_count: 0
    .wavefront_size: 32
    .workgroup_processor_mode: 1
  - .args:
      - .offset:         0
        .size:           120
        .value_kind:     by_value
    .group_segment_fixed_size: 0
    .kernarg_segment_align: 8
    .kernarg_segment_size: 120
    .language:       OpenCL C
    .language_version:
      - 2
      - 0
    .max_flat_workgroup_size: 256
    .name:           _ZN7rocprim17ROCPRIM_400000_NS6detail17trampoline_kernelINS0_14default_configENS1_29reduce_by_key_config_selectorItjN6thrust23THRUST_200600_302600_NS4plusIjEEEEZZNS1_33reduce_by_key_impl_wrapped_configILNS1_25lookback_scan_determinismE0ES3_S9_NS6_6detail15normal_iteratorINS6_10device_ptrItEEEENSD_INSE_IjEEEESG_SI_PmS8_NS6_8equal_toItEEEE10hipError_tPvRmT2_T3_mT4_T5_T6_T7_T8_P12ihipStream_tbENKUlT_T0_E_clISt17integral_constantIbLb0EES13_EEDaSY_SZ_EUlSY_E_NS1_11comp_targetILNS1_3genE4ELNS1_11target_archE910ELNS1_3gpuE8ELNS1_3repE0EEENS1_30default_config_static_selectorELNS0_4arch9wavefront6targetE0EEEvT1_
    .private_segment_fixed_size: 0
    .sgpr_count:     0
    .sgpr_spill_count: 0
    .symbol:         _ZN7rocprim17ROCPRIM_400000_NS6detail17trampoline_kernelINS0_14default_configENS1_29reduce_by_key_config_selectorItjN6thrust23THRUST_200600_302600_NS4plusIjEEEEZZNS1_33reduce_by_key_impl_wrapped_configILNS1_25lookback_scan_determinismE0ES3_S9_NS6_6detail15normal_iteratorINS6_10device_ptrItEEEENSD_INSE_IjEEEESG_SI_PmS8_NS6_8equal_toItEEEE10hipError_tPvRmT2_T3_mT4_T5_T6_T7_T8_P12ihipStream_tbENKUlT_T0_E_clISt17integral_constantIbLb0EES13_EEDaSY_SZ_EUlSY_E_NS1_11comp_targetILNS1_3genE4ELNS1_11target_archE910ELNS1_3gpuE8ELNS1_3repE0EEENS1_30default_config_static_selectorELNS0_4arch9wavefront6targetE0EEEvT1_.kd
    .uniform_work_group_size: 1
    .uses_dynamic_stack: false
    .vgpr_count:     0
    .vgpr_spill_count: 0
    .wavefront_size: 32
    .workgroup_processor_mode: 1
  - .args:
      - .offset:         0
        .size:           120
        .value_kind:     by_value
    .group_segment_fixed_size: 0
    .kernarg_segment_align: 8
    .kernarg_segment_size: 120
    .language:       OpenCL C
    .language_version:
      - 2
      - 0
    .max_flat_workgroup_size: 256
    .name:           _ZN7rocprim17ROCPRIM_400000_NS6detail17trampoline_kernelINS0_14default_configENS1_29reduce_by_key_config_selectorItjN6thrust23THRUST_200600_302600_NS4plusIjEEEEZZNS1_33reduce_by_key_impl_wrapped_configILNS1_25lookback_scan_determinismE0ES3_S9_NS6_6detail15normal_iteratorINS6_10device_ptrItEEEENSD_INSE_IjEEEESG_SI_PmS8_NS6_8equal_toItEEEE10hipError_tPvRmT2_T3_mT4_T5_T6_T7_T8_P12ihipStream_tbENKUlT_T0_E_clISt17integral_constantIbLb0EES13_EEDaSY_SZ_EUlSY_E_NS1_11comp_targetILNS1_3genE3ELNS1_11target_archE908ELNS1_3gpuE7ELNS1_3repE0EEENS1_30default_config_static_selectorELNS0_4arch9wavefront6targetE0EEEvT1_
    .private_segment_fixed_size: 0
    .sgpr_count:     0
    .sgpr_spill_count: 0
    .symbol:         _ZN7rocprim17ROCPRIM_400000_NS6detail17trampoline_kernelINS0_14default_configENS1_29reduce_by_key_config_selectorItjN6thrust23THRUST_200600_302600_NS4plusIjEEEEZZNS1_33reduce_by_key_impl_wrapped_configILNS1_25lookback_scan_determinismE0ES3_S9_NS6_6detail15normal_iteratorINS6_10device_ptrItEEEENSD_INSE_IjEEEESG_SI_PmS8_NS6_8equal_toItEEEE10hipError_tPvRmT2_T3_mT4_T5_T6_T7_T8_P12ihipStream_tbENKUlT_T0_E_clISt17integral_constantIbLb0EES13_EEDaSY_SZ_EUlSY_E_NS1_11comp_targetILNS1_3genE3ELNS1_11target_archE908ELNS1_3gpuE7ELNS1_3repE0EEENS1_30default_config_static_selectorELNS0_4arch9wavefront6targetE0EEEvT1_.kd
    .uniform_work_group_size: 1
    .uses_dynamic_stack: false
    .vgpr_count:     0
    .vgpr_spill_count: 0
    .wavefront_size: 32
    .workgroup_processor_mode: 1
  - .args:
      - .offset:         0
        .size:           120
        .value_kind:     by_value
    .group_segment_fixed_size: 0
    .kernarg_segment_align: 8
    .kernarg_segment_size: 120
    .language:       OpenCL C
    .language_version:
      - 2
      - 0
    .max_flat_workgroup_size: 256
    .name:           _ZN7rocprim17ROCPRIM_400000_NS6detail17trampoline_kernelINS0_14default_configENS1_29reduce_by_key_config_selectorItjN6thrust23THRUST_200600_302600_NS4plusIjEEEEZZNS1_33reduce_by_key_impl_wrapped_configILNS1_25lookback_scan_determinismE0ES3_S9_NS6_6detail15normal_iteratorINS6_10device_ptrItEEEENSD_INSE_IjEEEESG_SI_PmS8_NS6_8equal_toItEEEE10hipError_tPvRmT2_T3_mT4_T5_T6_T7_T8_P12ihipStream_tbENKUlT_T0_E_clISt17integral_constantIbLb0EES13_EEDaSY_SZ_EUlSY_E_NS1_11comp_targetILNS1_3genE2ELNS1_11target_archE906ELNS1_3gpuE6ELNS1_3repE0EEENS1_30default_config_static_selectorELNS0_4arch9wavefront6targetE0EEEvT1_
    .private_segment_fixed_size: 0
    .sgpr_count:     0
    .sgpr_spill_count: 0
    .symbol:         _ZN7rocprim17ROCPRIM_400000_NS6detail17trampoline_kernelINS0_14default_configENS1_29reduce_by_key_config_selectorItjN6thrust23THRUST_200600_302600_NS4plusIjEEEEZZNS1_33reduce_by_key_impl_wrapped_configILNS1_25lookback_scan_determinismE0ES3_S9_NS6_6detail15normal_iteratorINS6_10device_ptrItEEEENSD_INSE_IjEEEESG_SI_PmS8_NS6_8equal_toItEEEE10hipError_tPvRmT2_T3_mT4_T5_T6_T7_T8_P12ihipStream_tbENKUlT_T0_E_clISt17integral_constantIbLb0EES13_EEDaSY_SZ_EUlSY_E_NS1_11comp_targetILNS1_3genE2ELNS1_11target_archE906ELNS1_3gpuE6ELNS1_3repE0EEENS1_30default_config_static_selectorELNS0_4arch9wavefront6targetE0EEEvT1_.kd
    .uniform_work_group_size: 1
    .uses_dynamic_stack: false
    .vgpr_count:     0
    .vgpr_spill_count: 0
    .wavefront_size: 32
    .workgroup_processor_mode: 1
  - .args:
      - .offset:         0
        .size:           120
        .value_kind:     by_value
    .group_segment_fixed_size: 0
    .kernarg_segment_align: 8
    .kernarg_segment_size: 120
    .language:       OpenCL C
    .language_version:
      - 2
      - 0
    .max_flat_workgroup_size: 256
    .name:           _ZN7rocprim17ROCPRIM_400000_NS6detail17trampoline_kernelINS0_14default_configENS1_29reduce_by_key_config_selectorItjN6thrust23THRUST_200600_302600_NS4plusIjEEEEZZNS1_33reduce_by_key_impl_wrapped_configILNS1_25lookback_scan_determinismE0ES3_S9_NS6_6detail15normal_iteratorINS6_10device_ptrItEEEENSD_INSE_IjEEEESG_SI_PmS8_NS6_8equal_toItEEEE10hipError_tPvRmT2_T3_mT4_T5_T6_T7_T8_P12ihipStream_tbENKUlT_T0_E_clISt17integral_constantIbLb0EES13_EEDaSY_SZ_EUlSY_E_NS1_11comp_targetILNS1_3genE10ELNS1_11target_archE1201ELNS1_3gpuE5ELNS1_3repE0EEENS1_30default_config_static_selectorELNS0_4arch9wavefront6targetE0EEEvT1_
    .private_segment_fixed_size: 0
    .sgpr_count:     0
    .sgpr_spill_count: 0
    .symbol:         _ZN7rocprim17ROCPRIM_400000_NS6detail17trampoline_kernelINS0_14default_configENS1_29reduce_by_key_config_selectorItjN6thrust23THRUST_200600_302600_NS4plusIjEEEEZZNS1_33reduce_by_key_impl_wrapped_configILNS1_25lookback_scan_determinismE0ES3_S9_NS6_6detail15normal_iteratorINS6_10device_ptrItEEEENSD_INSE_IjEEEESG_SI_PmS8_NS6_8equal_toItEEEE10hipError_tPvRmT2_T3_mT4_T5_T6_T7_T8_P12ihipStream_tbENKUlT_T0_E_clISt17integral_constantIbLb0EES13_EEDaSY_SZ_EUlSY_E_NS1_11comp_targetILNS1_3genE10ELNS1_11target_archE1201ELNS1_3gpuE5ELNS1_3repE0EEENS1_30default_config_static_selectorELNS0_4arch9wavefront6targetE0EEEvT1_.kd
    .uniform_work_group_size: 1
    .uses_dynamic_stack: false
    .vgpr_count:     0
    .vgpr_spill_count: 0
    .wavefront_size: 32
    .workgroup_processor_mode: 1
  - .args:
      - .offset:         0
        .size:           120
        .value_kind:     by_value
    .group_segment_fixed_size: 0
    .kernarg_segment_align: 8
    .kernarg_segment_size: 120
    .language:       OpenCL C
    .language_version:
      - 2
      - 0
    .max_flat_workgroup_size: 256
    .name:           _ZN7rocprim17ROCPRIM_400000_NS6detail17trampoline_kernelINS0_14default_configENS1_29reduce_by_key_config_selectorItjN6thrust23THRUST_200600_302600_NS4plusIjEEEEZZNS1_33reduce_by_key_impl_wrapped_configILNS1_25lookback_scan_determinismE0ES3_S9_NS6_6detail15normal_iteratorINS6_10device_ptrItEEEENSD_INSE_IjEEEESG_SI_PmS8_NS6_8equal_toItEEEE10hipError_tPvRmT2_T3_mT4_T5_T6_T7_T8_P12ihipStream_tbENKUlT_T0_E_clISt17integral_constantIbLb0EES13_EEDaSY_SZ_EUlSY_E_NS1_11comp_targetILNS1_3genE10ELNS1_11target_archE1200ELNS1_3gpuE4ELNS1_3repE0EEENS1_30default_config_static_selectorELNS0_4arch9wavefront6targetE0EEEvT1_
    .private_segment_fixed_size: 0
    .sgpr_count:     0
    .sgpr_spill_count: 0
    .symbol:         _ZN7rocprim17ROCPRIM_400000_NS6detail17trampoline_kernelINS0_14default_configENS1_29reduce_by_key_config_selectorItjN6thrust23THRUST_200600_302600_NS4plusIjEEEEZZNS1_33reduce_by_key_impl_wrapped_configILNS1_25lookback_scan_determinismE0ES3_S9_NS6_6detail15normal_iteratorINS6_10device_ptrItEEEENSD_INSE_IjEEEESG_SI_PmS8_NS6_8equal_toItEEEE10hipError_tPvRmT2_T3_mT4_T5_T6_T7_T8_P12ihipStream_tbENKUlT_T0_E_clISt17integral_constantIbLb0EES13_EEDaSY_SZ_EUlSY_E_NS1_11comp_targetILNS1_3genE10ELNS1_11target_archE1200ELNS1_3gpuE4ELNS1_3repE0EEENS1_30default_config_static_selectorELNS0_4arch9wavefront6targetE0EEEvT1_.kd
    .uniform_work_group_size: 1
    .uses_dynamic_stack: false
    .vgpr_count:     0
    .vgpr_spill_count: 0
    .wavefront_size: 32
    .workgroup_processor_mode: 1
  - .args:
      - .offset:         0
        .size:           120
        .value_kind:     by_value
    .group_segment_fixed_size: 15360
    .kernarg_segment_align: 8
    .kernarg_segment_size: 120
    .language:       OpenCL C
    .language_version:
      - 2
      - 0
    .max_flat_workgroup_size: 256
    .name:           _ZN7rocprim17ROCPRIM_400000_NS6detail17trampoline_kernelINS0_14default_configENS1_29reduce_by_key_config_selectorItjN6thrust23THRUST_200600_302600_NS4plusIjEEEEZZNS1_33reduce_by_key_impl_wrapped_configILNS1_25lookback_scan_determinismE0ES3_S9_NS6_6detail15normal_iteratorINS6_10device_ptrItEEEENSD_INSE_IjEEEESG_SI_PmS8_NS6_8equal_toItEEEE10hipError_tPvRmT2_T3_mT4_T5_T6_T7_T8_P12ihipStream_tbENKUlT_T0_E_clISt17integral_constantIbLb0EES13_EEDaSY_SZ_EUlSY_E_NS1_11comp_targetILNS1_3genE9ELNS1_11target_archE1100ELNS1_3gpuE3ELNS1_3repE0EEENS1_30default_config_static_selectorELNS0_4arch9wavefront6targetE0EEEvT1_
    .private_segment_fixed_size: 0
    .sgpr_count:     46
    .sgpr_spill_count: 0
    .symbol:         _ZN7rocprim17ROCPRIM_400000_NS6detail17trampoline_kernelINS0_14default_configENS1_29reduce_by_key_config_selectorItjN6thrust23THRUST_200600_302600_NS4plusIjEEEEZZNS1_33reduce_by_key_impl_wrapped_configILNS1_25lookback_scan_determinismE0ES3_S9_NS6_6detail15normal_iteratorINS6_10device_ptrItEEEENSD_INSE_IjEEEESG_SI_PmS8_NS6_8equal_toItEEEE10hipError_tPvRmT2_T3_mT4_T5_T6_T7_T8_P12ihipStream_tbENKUlT_T0_E_clISt17integral_constantIbLb0EES13_EEDaSY_SZ_EUlSY_E_NS1_11comp_targetILNS1_3genE9ELNS1_11target_archE1100ELNS1_3gpuE3ELNS1_3repE0EEENS1_30default_config_static_selectorELNS0_4arch9wavefront6targetE0EEEvT1_.kd
    .uniform_work_group_size: 1
    .uses_dynamic_stack: false
    .vgpr_count:     100
    .vgpr_spill_count: 0
    .wavefront_size: 32
    .workgroup_processor_mode: 1
  - .args:
      - .offset:         0
        .size:           120
        .value_kind:     by_value
    .group_segment_fixed_size: 0
    .kernarg_segment_align: 8
    .kernarg_segment_size: 120
    .language:       OpenCL C
    .language_version:
      - 2
      - 0
    .max_flat_workgroup_size: 256
    .name:           _ZN7rocprim17ROCPRIM_400000_NS6detail17trampoline_kernelINS0_14default_configENS1_29reduce_by_key_config_selectorItjN6thrust23THRUST_200600_302600_NS4plusIjEEEEZZNS1_33reduce_by_key_impl_wrapped_configILNS1_25lookback_scan_determinismE0ES3_S9_NS6_6detail15normal_iteratorINS6_10device_ptrItEEEENSD_INSE_IjEEEESG_SI_PmS8_NS6_8equal_toItEEEE10hipError_tPvRmT2_T3_mT4_T5_T6_T7_T8_P12ihipStream_tbENKUlT_T0_E_clISt17integral_constantIbLb0EES13_EEDaSY_SZ_EUlSY_E_NS1_11comp_targetILNS1_3genE8ELNS1_11target_archE1030ELNS1_3gpuE2ELNS1_3repE0EEENS1_30default_config_static_selectorELNS0_4arch9wavefront6targetE0EEEvT1_
    .private_segment_fixed_size: 0
    .sgpr_count:     0
    .sgpr_spill_count: 0
    .symbol:         _ZN7rocprim17ROCPRIM_400000_NS6detail17trampoline_kernelINS0_14default_configENS1_29reduce_by_key_config_selectorItjN6thrust23THRUST_200600_302600_NS4plusIjEEEEZZNS1_33reduce_by_key_impl_wrapped_configILNS1_25lookback_scan_determinismE0ES3_S9_NS6_6detail15normal_iteratorINS6_10device_ptrItEEEENSD_INSE_IjEEEESG_SI_PmS8_NS6_8equal_toItEEEE10hipError_tPvRmT2_T3_mT4_T5_T6_T7_T8_P12ihipStream_tbENKUlT_T0_E_clISt17integral_constantIbLb0EES13_EEDaSY_SZ_EUlSY_E_NS1_11comp_targetILNS1_3genE8ELNS1_11target_archE1030ELNS1_3gpuE2ELNS1_3repE0EEENS1_30default_config_static_selectorELNS0_4arch9wavefront6targetE0EEEvT1_.kd
    .uniform_work_group_size: 1
    .uses_dynamic_stack: false
    .vgpr_count:     0
    .vgpr_spill_count: 0
    .wavefront_size: 32
    .workgroup_processor_mode: 1
  - .args:
      - .offset:         0
        .size:           120
        .value_kind:     by_value
    .group_segment_fixed_size: 0
    .kernarg_segment_align: 8
    .kernarg_segment_size: 120
    .language:       OpenCL C
    .language_version:
      - 2
      - 0
    .max_flat_workgroup_size: 256
    .name:           _ZN7rocprim17ROCPRIM_400000_NS6detail17trampoline_kernelINS0_14default_configENS1_29reduce_by_key_config_selectorItjN6thrust23THRUST_200600_302600_NS4plusIjEEEEZZNS1_33reduce_by_key_impl_wrapped_configILNS1_25lookback_scan_determinismE0ES3_S9_NS6_6detail15normal_iteratorINS6_10device_ptrItEEEENSD_INSE_IjEEEESG_SI_PmS8_NS6_8equal_toItEEEE10hipError_tPvRmT2_T3_mT4_T5_T6_T7_T8_P12ihipStream_tbENKUlT_T0_E_clISt17integral_constantIbLb1EES13_EEDaSY_SZ_EUlSY_E_NS1_11comp_targetILNS1_3genE0ELNS1_11target_archE4294967295ELNS1_3gpuE0ELNS1_3repE0EEENS1_30default_config_static_selectorELNS0_4arch9wavefront6targetE0EEEvT1_
    .private_segment_fixed_size: 0
    .sgpr_count:     0
    .sgpr_spill_count: 0
    .symbol:         _ZN7rocprim17ROCPRIM_400000_NS6detail17trampoline_kernelINS0_14default_configENS1_29reduce_by_key_config_selectorItjN6thrust23THRUST_200600_302600_NS4plusIjEEEEZZNS1_33reduce_by_key_impl_wrapped_configILNS1_25lookback_scan_determinismE0ES3_S9_NS6_6detail15normal_iteratorINS6_10device_ptrItEEEENSD_INSE_IjEEEESG_SI_PmS8_NS6_8equal_toItEEEE10hipError_tPvRmT2_T3_mT4_T5_T6_T7_T8_P12ihipStream_tbENKUlT_T0_E_clISt17integral_constantIbLb1EES13_EEDaSY_SZ_EUlSY_E_NS1_11comp_targetILNS1_3genE0ELNS1_11target_archE4294967295ELNS1_3gpuE0ELNS1_3repE0EEENS1_30default_config_static_selectorELNS0_4arch9wavefront6targetE0EEEvT1_.kd
    .uniform_work_group_size: 1
    .uses_dynamic_stack: false
    .vgpr_count:     0
    .vgpr_spill_count: 0
    .wavefront_size: 32
    .workgroup_processor_mode: 1
  - .args:
      - .offset:         0
        .size:           120
        .value_kind:     by_value
    .group_segment_fixed_size: 0
    .kernarg_segment_align: 8
    .kernarg_segment_size: 120
    .language:       OpenCL C
    .language_version:
      - 2
      - 0
    .max_flat_workgroup_size: 256
    .name:           _ZN7rocprim17ROCPRIM_400000_NS6detail17trampoline_kernelINS0_14default_configENS1_29reduce_by_key_config_selectorItjN6thrust23THRUST_200600_302600_NS4plusIjEEEEZZNS1_33reduce_by_key_impl_wrapped_configILNS1_25lookback_scan_determinismE0ES3_S9_NS6_6detail15normal_iteratorINS6_10device_ptrItEEEENSD_INSE_IjEEEESG_SI_PmS8_NS6_8equal_toItEEEE10hipError_tPvRmT2_T3_mT4_T5_T6_T7_T8_P12ihipStream_tbENKUlT_T0_E_clISt17integral_constantIbLb1EES13_EEDaSY_SZ_EUlSY_E_NS1_11comp_targetILNS1_3genE5ELNS1_11target_archE942ELNS1_3gpuE9ELNS1_3repE0EEENS1_30default_config_static_selectorELNS0_4arch9wavefront6targetE0EEEvT1_
    .private_segment_fixed_size: 0
    .sgpr_count:     0
    .sgpr_spill_count: 0
    .symbol:         _ZN7rocprim17ROCPRIM_400000_NS6detail17trampoline_kernelINS0_14default_configENS1_29reduce_by_key_config_selectorItjN6thrust23THRUST_200600_302600_NS4plusIjEEEEZZNS1_33reduce_by_key_impl_wrapped_configILNS1_25lookback_scan_determinismE0ES3_S9_NS6_6detail15normal_iteratorINS6_10device_ptrItEEEENSD_INSE_IjEEEESG_SI_PmS8_NS6_8equal_toItEEEE10hipError_tPvRmT2_T3_mT4_T5_T6_T7_T8_P12ihipStream_tbENKUlT_T0_E_clISt17integral_constantIbLb1EES13_EEDaSY_SZ_EUlSY_E_NS1_11comp_targetILNS1_3genE5ELNS1_11target_archE942ELNS1_3gpuE9ELNS1_3repE0EEENS1_30default_config_static_selectorELNS0_4arch9wavefront6targetE0EEEvT1_.kd
    .uniform_work_group_size: 1
    .uses_dynamic_stack: false
    .vgpr_count:     0
    .vgpr_spill_count: 0
    .wavefront_size: 32
    .workgroup_processor_mode: 1
  - .args:
      - .offset:         0
        .size:           120
        .value_kind:     by_value
    .group_segment_fixed_size: 0
    .kernarg_segment_align: 8
    .kernarg_segment_size: 120
    .language:       OpenCL C
    .language_version:
      - 2
      - 0
    .max_flat_workgroup_size: 256
    .name:           _ZN7rocprim17ROCPRIM_400000_NS6detail17trampoline_kernelINS0_14default_configENS1_29reduce_by_key_config_selectorItjN6thrust23THRUST_200600_302600_NS4plusIjEEEEZZNS1_33reduce_by_key_impl_wrapped_configILNS1_25lookback_scan_determinismE0ES3_S9_NS6_6detail15normal_iteratorINS6_10device_ptrItEEEENSD_INSE_IjEEEESG_SI_PmS8_NS6_8equal_toItEEEE10hipError_tPvRmT2_T3_mT4_T5_T6_T7_T8_P12ihipStream_tbENKUlT_T0_E_clISt17integral_constantIbLb1EES13_EEDaSY_SZ_EUlSY_E_NS1_11comp_targetILNS1_3genE4ELNS1_11target_archE910ELNS1_3gpuE8ELNS1_3repE0EEENS1_30default_config_static_selectorELNS0_4arch9wavefront6targetE0EEEvT1_
    .private_segment_fixed_size: 0
    .sgpr_count:     0
    .sgpr_spill_count: 0
    .symbol:         _ZN7rocprim17ROCPRIM_400000_NS6detail17trampoline_kernelINS0_14default_configENS1_29reduce_by_key_config_selectorItjN6thrust23THRUST_200600_302600_NS4plusIjEEEEZZNS1_33reduce_by_key_impl_wrapped_configILNS1_25lookback_scan_determinismE0ES3_S9_NS6_6detail15normal_iteratorINS6_10device_ptrItEEEENSD_INSE_IjEEEESG_SI_PmS8_NS6_8equal_toItEEEE10hipError_tPvRmT2_T3_mT4_T5_T6_T7_T8_P12ihipStream_tbENKUlT_T0_E_clISt17integral_constantIbLb1EES13_EEDaSY_SZ_EUlSY_E_NS1_11comp_targetILNS1_3genE4ELNS1_11target_archE910ELNS1_3gpuE8ELNS1_3repE0EEENS1_30default_config_static_selectorELNS0_4arch9wavefront6targetE0EEEvT1_.kd
    .uniform_work_group_size: 1
    .uses_dynamic_stack: false
    .vgpr_count:     0
    .vgpr_spill_count: 0
    .wavefront_size: 32
    .workgroup_processor_mode: 1
  - .args:
      - .offset:         0
        .size:           120
        .value_kind:     by_value
    .group_segment_fixed_size: 0
    .kernarg_segment_align: 8
    .kernarg_segment_size: 120
    .language:       OpenCL C
    .language_version:
      - 2
      - 0
    .max_flat_workgroup_size: 256
    .name:           _ZN7rocprim17ROCPRIM_400000_NS6detail17trampoline_kernelINS0_14default_configENS1_29reduce_by_key_config_selectorItjN6thrust23THRUST_200600_302600_NS4plusIjEEEEZZNS1_33reduce_by_key_impl_wrapped_configILNS1_25lookback_scan_determinismE0ES3_S9_NS6_6detail15normal_iteratorINS6_10device_ptrItEEEENSD_INSE_IjEEEESG_SI_PmS8_NS6_8equal_toItEEEE10hipError_tPvRmT2_T3_mT4_T5_T6_T7_T8_P12ihipStream_tbENKUlT_T0_E_clISt17integral_constantIbLb1EES13_EEDaSY_SZ_EUlSY_E_NS1_11comp_targetILNS1_3genE3ELNS1_11target_archE908ELNS1_3gpuE7ELNS1_3repE0EEENS1_30default_config_static_selectorELNS0_4arch9wavefront6targetE0EEEvT1_
    .private_segment_fixed_size: 0
    .sgpr_count:     0
    .sgpr_spill_count: 0
    .symbol:         _ZN7rocprim17ROCPRIM_400000_NS6detail17trampoline_kernelINS0_14default_configENS1_29reduce_by_key_config_selectorItjN6thrust23THRUST_200600_302600_NS4plusIjEEEEZZNS1_33reduce_by_key_impl_wrapped_configILNS1_25lookback_scan_determinismE0ES3_S9_NS6_6detail15normal_iteratorINS6_10device_ptrItEEEENSD_INSE_IjEEEESG_SI_PmS8_NS6_8equal_toItEEEE10hipError_tPvRmT2_T3_mT4_T5_T6_T7_T8_P12ihipStream_tbENKUlT_T0_E_clISt17integral_constantIbLb1EES13_EEDaSY_SZ_EUlSY_E_NS1_11comp_targetILNS1_3genE3ELNS1_11target_archE908ELNS1_3gpuE7ELNS1_3repE0EEENS1_30default_config_static_selectorELNS0_4arch9wavefront6targetE0EEEvT1_.kd
    .uniform_work_group_size: 1
    .uses_dynamic_stack: false
    .vgpr_count:     0
    .vgpr_spill_count: 0
    .wavefront_size: 32
    .workgroup_processor_mode: 1
  - .args:
      - .offset:         0
        .size:           120
        .value_kind:     by_value
    .group_segment_fixed_size: 0
    .kernarg_segment_align: 8
    .kernarg_segment_size: 120
    .language:       OpenCL C
    .language_version:
      - 2
      - 0
    .max_flat_workgroup_size: 256
    .name:           _ZN7rocprim17ROCPRIM_400000_NS6detail17trampoline_kernelINS0_14default_configENS1_29reduce_by_key_config_selectorItjN6thrust23THRUST_200600_302600_NS4plusIjEEEEZZNS1_33reduce_by_key_impl_wrapped_configILNS1_25lookback_scan_determinismE0ES3_S9_NS6_6detail15normal_iteratorINS6_10device_ptrItEEEENSD_INSE_IjEEEESG_SI_PmS8_NS6_8equal_toItEEEE10hipError_tPvRmT2_T3_mT4_T5_T6_T7_T8_P12ihipStream_tbENKUlT_T0_E_clISt17integral_constantIbLb1EES13_EEDaSY_SZ_EUlSY_E_NS1_11comp_targetILNS1_3genE2ELNS1_11target_archE906ELNS1_3gpuE6ELNS1_3repE0EEENS1_30default_config_static_selectorELNS0_4arch9wavefront6targetE0EEEvT1_
    .private_segment_fixed_size: 0
    .sgpr_count:     0
    .sgpr_spill_count: 0
    .symbol:         _ZN7rocprim17ROCPRIM_400000_NS6detail17trampoline_kernelINS0_14default_configENS1_29reduce_by_key_config_selectorItjN6thrust23THRUST_200600_302600_NS4plusIjEEEEZZNS1_33reduce_by_key_impl_wrapped_configILNS1_25lookback_scan_determinismE0ES3_S9_NS6_6detail15normal_iteratorINS6_10device_ptrItEEEENSD_INSE_IjEEEESG_SI_PmS8_NS6_8equal_toItEEEE10hipError_tPvRmT2_T3_mT4_T5_T6_T7_T8_P12ihipStream_tbENKUlT_T0_E_clISt17integral_constantIbLb1EES13_EEDaSY_SZ_EUlSY_E_NS1_11comp_targetILNS1_3genE2ELNS1_11target_archE906ELNS1_3gpuE6ELNS1_3repE0EEENS1_30default_config_static_selectorELNS0_4arch9wavefront6targetE0EEEvT1_.kd
    .uniform_work_group_size: 1
    .uses_dynamic_stack: false
    .vgpr_count:     0
    .vgpr_spill_count: 0
    .wavefront_size: 32
    .workgroup_processor_mode: 1
  - .args:
      - .offset:         0
        .size:           120
        .value_kind:     by_value
    .group_segment_fixed_size: 0
    .kernarg_segment_align: 8
    .kernarg_segment_size: 120
    .language:       OpenCL C
    .language_version:
      - 2
      - 0
    .max_flat_workgroup_size: 256
    .name:           _ZN7rocprim17ROCPRIM_400000_NS6detail17trampoline_kernelINS0_14default_configENS1_29reduce_by_key_config_selectorItjN6thrust23THRUST_200600_302600_NS4plusIjEEEEZZNS1_33reduce_by_key_impl_wrapped_configILNS1_25lookback_scan_determinismE0ES3_S9_NS6_6detail15normal_iteratorINS6_10device_ptrItEEEENSD_INSE_IjEEEESG_SI_PmS8_NS6_8equal_toItEEEE10hipError_tPvRmT2_T3_mT4_T5_T6_T7_T8_P12ihipStream_tbENKUlT_T0_E_clISt17integral_constantIbLb1EES13_EEDaSY_SZ_EUlSY_E_NS1_11comp_targetILNS1_3genE10ELNS1_11target_archE1201ELNS1_3gpuE5ELNS1_3repE0EEENS1_30default_config_static_selectorELNS0_4arch9wavefront6targetE0EEEvT1_
    .private_segment_fixed_size: 0
    .sgpr_count:     0
    .sgpr_spill_count: 0
    .symbol:         _ZN7rocprim17ROCPRIM_400000_NS6detail17trampoline_kernelINS0_14default_configENS1_29reduce_by_key_config_selectorItjN6thrust23THRUST_200600_302600_NS4plusIjEEEEZZNS1_33reduce_by_key_impl_wrapped_configILNS1_25lookback_scan_determinismE0ES3_S9_NS6_6detail15normal_iteratorINS6_10device_ptrItEEEENSD_INSE_IjEEEESG_SI_PmS8_NS6_8equal_toItEEEE10hipError_tPvRmT2_T3_mT4_T5_T6_T7_T8_P12ihipStream_tbENKUlT_T0_E_clISt17integral_constantIbLb1EES13_EEDaSY_SZ_EUlSY_E_NS1_11comp_targetILNS1_3genE10ELNS1_11target_archE1201ELNS1_3gpuE5ELNS1_3repE0EEENS1_30default_config_static_selectorELNS0_4arch9wavefront6targetE0EEEvT1_.kd
    .uniform_work_group_size: 1
    .uses_dynamic_stack: false
    .vgpr_count:     0
    .vgpr_spill_count: 0
    .wavefront_size: 32
    .workgroup_processor_mode: 1
  - .args:
      - .offset:         0
        .size:           120
        .value_kind:     by_value
    .group_segment_fixed_size: 0
    .kernarg_segment_align: 8
    .kernarg_segment_size: 120
    .language:       OpenCL C
    .language_version:
      - 2
      - 0
    .max_flat_workgroup_size: 256
    .name:           _ZN7rocprim17ROCPRIM_400000_NS6detail17trampoline_kernelINS0_14default_configENS1_29reduce_by_key_config_selectorItjN6thrust23THRUST_200600_302600_NS4plusIjEEEEZZNS1_33reduce_by_key_impl_wrapped_configILNS1_25lookback_scan_determinismE0ES3_S9_NS6_6detail15normal_iteratorINS6_10device_ptrItEEEENSD_INSE_IjEEEESG_SI_PmS8_NS6_8equal_toItEEEE10hipError_tPvRmT2_T3_mT4_T5_T6_T7_T8_P12ihipStream_tbENKUlT_T0_E_clISt17integral_constantIbLb1EES13_EEDaSY_SZ_EUlSY_E_NS1_11comp_targetILNS1_3genE10ELNS1_11target_archE1200ELNS1_3gpuE4ELNS1_3repE0EEENS1_30default_config_static_selectorELNS0_4arch9wavefront6targetE0EEEvT1_
    .private_segment_fixed_size: 0
    .sgpr_count:     0
    .sgpr_spill_count: 0
    .symbol:         _ZN7rocprim17ROCPRIM_400000_NS6detail17trampoline_kernelINS0_14default_configENS1_29reduce_by_key_config_selectorItjN6thrust23THRUST_200600_302600_NS4plusIjEEEEZZNS1_33reduce_by_key_impl_wrapped_configILNS1_25lookback_scan_determinismE0ES3_S9_NS6_6detail15normal_iteratorINS6_10device_ptrItEEEENSD_INSE_IjEEEESG_SI_PmS8_NS6_8equal_toItEEEE10hipError_tPvRmT2_T3_mT4_T5_T6_T7_T8_P12ihipStream_tbENKUlT_T0_E_clISt17integral_constantIbLb1EES13_EEDaSY_SZ_EUlSY_E_NS1_11comp_targetILNS1_3genE10ELNS1_11target_archE1200ELNS1_3gpuE4ELNS1_3repE0EEENS1_30default_config_static_selectorELNS0_4arch9wavefront6targetE0EEEvT1_.kd
    .uniform_work_group_size: 1
    .uses_dynamic_stack: false
    .vgpr_count:     0
    .vgpr_spill_count: 0
    .wavefront_size: 32
    .workgroup_processor_mode: 1
  - .args:
      - .offset:         0
        .size:           120
        .value_kind:     by_value
    .group_segment_fixed_size: 15360
    .kernarg_segment_align: 8
    .kernarg_segment_size: 120
    .language:       OpenCL C
    .language_version:
      - 2
      - 0
    .max_flat_workgroup_size: 256
    .name:           _ZN7rocprim17ROCPRIM_400000_NS6detail17trampoline_kernelINS0_14default_configENS1_29reduce_by_key_config_selectorItjN6thrust23THRUST_200600_302600_NS4plusIjEEEEZZNS1_33reduce_by_key_impl_wrapped_configILNS1_25lookback_scan_determinismE0ES3_S9_NS6_6detail15normal_iteratorINS6_10device_ptrItEEEENSD_INSE_IjEEEESG_SI_PmS8_NS6_8equal_toItEEEE10hipError_tPvRmT2_T3_mT4_T5_T6_T7_T8_P12ihipStream_tbENKUlT_T0_E_clISt17integral_constantIbLb1EES13_EEDaSY_SZ_EUlSY_E_NS1_11comp_targetILNS1_3genE9ELNS1_11target_archE1100ELNS1_3gpuE3ELNS1_3repE0EEENS1_30default_config_static_selectorELNS0_4arch9wavefront6targetE0EEEvT1_
    .private_segment_fixed_size: 0
    .sgpr_count:     48
    .sgpr_spill_count: 0
    .symbol:         _ZN7rocprim17ROCPRIM_400000_NS6detail17trampoline_kernelINS0_14default_configENS1_29reduce_by_key_config_selectorItjN6thrust23THRUST_200600_302600_NS4plusIjEEEEZZNS1_33reduce_by_key_impl_wrapped_configILNS1_25lookback_scan_determinismE0ES3_S9_NS6_6detail15normal_iteratorINS6_10device_ptrItEEEENSD_INSE_IjEEEESG_SI_PmS8_NS6_8equal_toItEEEE10hipError_tPvRmT2_T3_mT4_T5_T6_T7_T8_P12ihipStream_tbENKUlT_T0_E_clISt17integral_constantIbLb1EES13_EEDaSY_SZ_EUlSY_E_NS1_11comp_targetILNS1_3genE9ELNS1_11target_archE1100ELNS1_3gpuE3ELNS1_3repE0EEENS1_30default_config_static_selectorELNS0_4arch9wavefront6targetE0EEEvT1_.kd
    .uniform_work_group_size: 1
    .uses_dynamic_stack: false
    .vgpr_count:     100
    .vgpr_spill_count: 0
    .wavefront_size: 32
    .workgroup_processor_mode: 1
  - .args:
      - .offset:         0
        .size:           120
        .value_kind:     by_value
    .group_segment_fixed_size: 0
    .kernarg_segment_align: 8
    .kernarg_segment_size: 120
    .language:       OpenCL C
    .language_version:
      - 2
      - 0
    .max_flat_workgroup_size: 256
    .name:           _ZN7rocprim17ROCPRIM_400000_NS6detail17trampoline_kernelINS0_14default_configENS1_29reduce_by_key_config_selectorItjN6thrust23THRUST_200600_302600_NS4plusIjEEEEZZNS1_33reduce_by_key_impl_wrapped_configILNS1_25lookback_scan_determinismE0ES3_S9_NS6_6detail15normal_iteratorINS6_10device_ptrItEEEENSD_INSE_IjEEEESG_SI_PmS8_NS6_8equal_toItEEEE10hipError_tPvRmT2_T3_mT4_T5_T6_T7_T8_P12ihipStream_tbENKUlT_T0_E_clISt17integral_constantIbLb1EES13_EEDaSY_SZ_EUlSY_E_NS1_11comp_targetILNS1_3genE8ELNS1_11target_archE1030ELNS1_3gpuE2ELNS1_3repE0EEENS1_30default_config_static_selectorELNS0_4arch9wavefront6targetE0EEEvT1_
    .private_segment_fixed_size: 0
    .sgpr_count:     0
    .sgpr_spill_count: 0
    .symbol:         _ZN7rocprim17ROCPRIM_400000_NS6detail17trampoline_kernelINS0_14default_configENS1_29reduce_by_key_config_selectorItjN6thrust23THRUST_200600_302600_NS4plusIjEEEEZZNS1_33reduce_by_key_impl_wrapped_configILNS1_25lookback_scan_determinismE0ES3_S9_NS6_6detail15normal_iteratorINS6_10device_ptrItEEEENSD_INSE_IjEEEESG_SI_PmS8_NS6_8equal_toItEEEE10hipError_tPvRmT2_T3_mT4_T5_T6_T7_T8_P12ihipStream_tbENKUlT_T0_E_clISt17integral_constantIbLb1EES13_EEDaSY_SZ_EUlSY_E_NS1_11comp_targetILNS1_3genE8ELNS1_11target_archE1030ELNS1_3gpuE2ELNS1_3repE0EEENS1_30default_config_static_selectorELNS0_4arch9wavefront6targetE0EEEvT1_.kd
    .uniform_work_group_size: 1
    .uses_dynamic_stack: false
    .vgpr_count:     0
    .vgpr_spill_count: 0
    .wavefront_size: 32
    .workgroup_processor_mode: 1
  - .args:
      - .offset:         0
        .size:           120
        .value_kind:     by_value
    .group_segment_fixed_size: 0
    .kernarg_segment_align: 8
    .kernarg_segment_size: 120
    .language:       OpenCL C
    .language_version:
      - 2
      - 0
    .max_flat_workgroup_size: 256
    .name:           _ZN7rocprim17ROCPRIM_400000_NS6detail17trampoline_kernelINS0_14default_configENS1_29reduce_by_key_config_selectorItjN6thrust23THRUST_200600_302600_NS4plusIjEEEEZZNS1_33reduce_by_key_impl_wrapped_configILNS1_25lookback_scan_determinismE0ES3_S9_NS6_6detail15normal_iteratorINS6_10device_ptrItEEEENSD_INSE_IjEEEESG_SI_PmS8_NS6_8equal_toItEEEE10hipError_tPvRmT2_T3_mT4_T5_T6_T7_T8_P12ihipStream_tbENKUlT_T0_E_clISt17integral_constantIbLb1EES12_IbLb0EEEEDaSY_SZ_EUlSY_E_NS1_11comp_targetILNS1_3genE0ELNS1_11target_archE4294967295ELNS1_3gpuE0ELNS1_3repE0EEENS1_30default_config_static_selectorELNS0_4arch9wavefront6targetE0EEEvT1_
    .private_segment_fixed_size: 0
    .sgpr_count:     0
    .sgpr_spill_count: 0
    .symbol:         _ZN7rocprim17ROCPRIM_400000_NS6detail17trampoline_kernelINS0_14default_configENS1_29reduce_by_key_config_selectorItjN6thrust23THRUST_200600_302600_NS4plusIjEEEEZZNS1_33reduce_by_key_impl_wrapped_configILNS1_25lookback_scan_determinismE0ES3_S9_NS6_6detail15normal_iteratorINS6_10device_ptrItEEEENSD_INSE_IjEEEESG_SI_PmS8_NS6_8equal_toItEEEE10hipError_tPvRmT2_T3_mT4_T5_T6_T7_T8_P12ihipStream_tbENKUlT_T0_E_clISt17integral_constantIbLb1EES12_IbLb0EEEEDaSY_SZ_EUlSY_E_NS1_11comp_targetILNS1_3genE0ELNS1_11target_archE4294967295ELNS1_3gpuE0ELNS1_3repE0EEENS1_30default_config_static_selectorELNS0_4arch9wavefront6targetE0EEEvT1_.kd
    .uniform_work_group_size: 1
    .uses_dynamic_stack: false
    .vgpr_count:     0
    .vgpr_spill_count: 0
    .wavefront_size: 32
    .workgroup_processor_mode: 1
  - .args:
      - .offset:         0
        .size:           120
        .value_kind:     by_value
    .group_segment_fixed_size: 0
    .kernarg_segment_align: 8
    .kernarg_segment_size: 120
    .language:       OpenCL C
    .language_version:
      - 2
      - 0
    .max_flat_workgroup_size: 256
    .name:           _ZN7rocprim17ROCPRIM_400000_NS6detail17trampoline_kernelINS0_14default_configENS1_29reduce_by_key_config_selectorItjN6thrust23THRUST_200600_302600_NS4plusIjEEEEZZNS1_33reduce_by_key_impl_wrapped_configILNS1_25lookback_scan_determinismE0ES3_S9_NS6_6detail15normal_iteratorINS6_10device_ptrItEEEENSD_INSE_IjEEEESG_SI_PmS8_NS6_8equal_toItEEEE10hipError_tPvRmT2_T3_mT4_T5_T6_T7_T8_P12ihipStream_tbENKUlT_T0_E_clISt17integral_constantIbLb1EES12_IbLb0EEEEDaSY_SZ_EUlSY_E_NS1_11comp_targetILNS1_3genE5ELNS1_11target_archE942ELNS1_3gpuE9ELNS1_3repE0EEENS1_30default_config_static_selectorELNS0_4arch9wavefront6targetE0EEEvT1_
    .private_segment_fixed_size: 0
    .sgpr_count:     0
    .sgpr_spill_count: 0
    .symbol:         _ZN7rocprim17ROCPRIM_400000_NS6detail17trampoline_kernelINS0_14default_configENS1_29reduce_by_key_config_selectorItjN6thrust23THRUST_200600_302600_NS4plusIjEEEEZZNS1_33reduce_by_key_impl_wrapped_configILNS1_25lookback_scan_determinismE0ES3_S9_NS6_6detail15normal_iteratorINS6_10device_ptrItEEEENSD_INSE_IjEEEESG_SI_PmS8_NS6_8equal_toItEEEE10hipError_tPvRmT2_T3_mT4_T5_T6_T7_T8_P12ihipStream_tbENKUlT_T0_E_clISt17integral_constantIbLb1EES12_IbLb0EEEEDaSY_SZ_EUlSY_E_NS1_11comp_targetILNS1_3genE5ELNS1_11target_archE942ELNS1_3gpuE9ELNS1_3repE0EEENS1_30default_config_static_selectorELNS0_4arch9wavefront6targetE0EEEvT1_.kd
    .uniform_work_group_size: 1
    .uses_dynamic_stack: false
    .vgpr_count:     0
    .vgpr_spill_count: 0
    .wavefront_size: 32
    .workgroup_processor_mode: 1
  - .args:
      - .offset:         0
        .size:           120
        .value_kind:     by_value
    .group_segment_fixed_size: 0
    .kernarg_segment_align: 8
    .kernarg_segment_size: 120
    .language:       OpenCL C
    .language_version:
      - 2
      - 0
    .max_flat_workgroup_size: 256
    .name:           _ZN7rocprim17ROCPRIM_400000_NS6detail17trampoline_kernelINS0_14default_configENS1_29reduce_by_key_config_selectorItjN6thrust23THRUST_200600_302600_NS4plusIjEEEEZZNS1_33reduce_by_key_impl_wrapped_configILNS1_25lookback_scan_determinismE0ES3_S9_NS6_6detail15normal_iteratorINS6_10device_ptrItEEEENSD_INSE_IjEEEESG_SI_PmS8_NS6_8equal_toItEEEE10hipError_tPvRmT2_T3_mT4_T5_T6_T7_T8_P12ihipStream_tbENKUlT_T0_E_clISt17integral_constantIbLb1EES12_IbLb0EEEEDaSY_SZ_EUlSY_E_NS1_11comp_targetILNS1_3genE4ELNS1_11target_archE910ELNS1_3gpuE8ELNS1_3repE0EEENS1_30default_config_static_selectorELNS0_4arch9wavefront6targetE0EEEvT1_
    .private_segment_fixed_size: 0
    .sgpr_count:     0
    .sgpr_spill_count: 0
    .symbol:         _ZN7rocprim17ROCPRIM_400000_NS6detail17trampoline_kernelINS0_14default_configENS1_29reduce_by_key_config_selectorItjN6thrust23THRUST_200600_302600_NS4plusIjEEEEZZNS1_33reduce_by_key_impl_wrapped_configILNS1_25lookback_scan_determinismE0ES3_S9_NS6_6detail15normal_iteratorINS6_10device_ptrItEEEENSD_INSE_IjEEEESG_SI_PmS8_NS6_8equal_toItEEEE10hipError_tPvRmT2_T3_mT4_T5_T6_T7_T8_P12ihipStream_tbENKUlT_T0_E_clISt17integral_constantIbLb1EES12_IbLb0EEEEDaSY_SZ_EUlSY_E_NS1_11comp_targetILNS1_3genE4ELNS1_11target_archE910ELNS1_3gpuE8ELNS1_3repE0EEENS1_30default_config_static_selectorELNS0_4arch9wavefront6targetE0EEEvT1_.kd
    .uniform_work_group_size: 1
    .uses_dynamic_stack: false
    .vgpr_count:     0
    .vgpr_spill_count: 0
    .wavefront_size: 32
    .workgroup_processor_mode: 1
  - .args:
      - .offset:         0
        .size:           120
        .value_kind:     by_value
    .group_segment_fixed_size: 0
    .kernarg_segment_align: 8
    .kernarg_segment_size: 120
    .language:       OpenCL C
    .language_version:
      - 2
      - 0
    .max_flat_workgroup_size: 256
    .name:           _ZN7rocprim17ROCPRIM_400000_NS6detail17trampoline_kernelINS0_14default_configENS1_29reduce_by_key_config_selectorItjN6thrust23THRUST_200600_302600_NS4plusIjEEEEZZNS1_33reduce_by_key_impl_wrapped_configILNS1_25lookback_scan_determinismE0ES3_S9_NS6_6detail15normal_iteratorINS6_10device_ptrItEEEENSD_INSE_IjEEEESG_SI_PmS8_NS6_8equal_toItEEEE10hipError_tPvRmT2_T3_mT4_T5_T6_T7_T8_P12ihipStream_tbENKUlT_T0_E_clISt17integral_constantIbLb1EES12_IbLb0EEEEDaSY_SZ_EUlSY_E_NS1_11comp_targetILNS1_3genE3ELNS1_11target_archE908ELNS1_3gpuE7ELNS1_3repE0EEENS1_30default_config_static_selectorELNS0_4arch9wavefront6targetE0EEEvT1_
    .private_segment_fixed_size: 0
    .sgpr_count:     0
    .sgpr_spill_count: 0
    .symbol:         _ZN7rocprim17ROCPRIM_400000_NS6detail17trampoline_kernelINS0_14default_configENS1_29reduce_by_key_config_selectorItjN6thrust23THRUST_200600_302600_NS4plusIjEEEEZZNS1_33reduce_by_key_impl_wrapped_configILNS1_25lookback_scan_determinismE0ES3_S9_NS6_6detail15normal_iteratorINS6_10device_ptrItEEEENSD_INSE_IjEEEESG_SI_PmS8_NS6_8equal_toItEEEE10hipError_tPvRmT2_T3_mT4_T5_T6_T7_T8_P12ihipStream_tbENKUlT_T0_E_clISt17integral_constantIbLb1EES12_IbLb0EEEEDaSY_SZ_EUlSY_E_NS1_11comp_targetILNS1_3genE3ELNS1_11target_archE908ELNS1_3gpuE7ELNS1_3repE0EEENS1_30default_config_static_selectorELNS0_4arch9wavefront6targetE0EEEvT1_.kd
    .uniform_work_group_size: 1
    .uses_dynamic_stack: false
    .vgpr_count:     0
    .vgpr_spill_count: 0
    .wavefront_size: 32
    .workgroup_processor_mode: 1
  - .args:
      - .offset:         0
        .size:           120
        .value_kind:     by_value
    .group_segment_fixed_size: 0
    .kernarg_segment_align: 8
    .kernarg_segment_size: 120
    .language:       OpenCL C
    .language_version:
      - 2
      - 0
    .max_flat_workgroup_size: 256
    .name:           _ZN7rocprim17ROCPRIM_400000_NS6detail17trampoline_kernelINS0_14default_configENS1_29reduce_by_key_config_selectorItjN6thrust23THRUST_200600_302600_NS4plusIjEEEEZZNS1_33reduce_by_key_impl_wrapped_configILNS1_25lookback_scan_determinismE0ES3_S9_NS6_6detail15normal_iteratorINS6_10device_ptrItEEEENSD_INSE_IjEEEESG_SI_PmS8_NS6_8equal_toItEEEE10hipError_tPvRmT2_T3_mT4_T5_T6_T7_T8_P12ihipStream_tbENKUlT_T0_E_clISt17integral_constantIbLb1EES12_IbLb0EEEEDaSY_SZ_EUlSY_E_NS1_11comp_targetILNS1_3genE2ELNS1_11target_archE906ELNS1_3gpuE6ELNS1_3repE0EEENS1_30default_config_static_selectorELNS0_4arch9wavefront6targetE0EEEvT1_
    .private_segment_fixed_size: 0
    .sgpr_count:     0
    .sgpr_spill_count: 0
    .symbol:         _ZN7rocprim17ROCPRIM_400000_NS6detail17trampoline_kernelINS0_14default_configENS1_29reduce_by_key_config_selectorItjN6thrust23THRUST_200600_302600_NS4plusIjEEEEZZNS1_33reduce_by_key_impl_wrapped_configILNS1_25lookback_scan_determinismE0ES3_S9_NS6_6detail15normal_iteratorINS6_10device_ptrItEEEENSD_INSE_IjEEEESG_SI_PmS8_NS6_8equal_toItEEEE10hipError_tPvRmT2_T3_mT4_T5_T6_T7_T8_P12ihipStream_tbENKUlT_T0_E_clISt17integral_constantIbLb1EES12_IbLb0EEEEDaSY_SZ_EUlSY_E_NS1_11comp_targetILNS1_3genE2ELNS1_11target_archE906ELNS1_3gpuE6ELNS1_3repE0EEENS1_30default_config_static_selectorELNS0_4arch9wavefront6targetE0EEEvT1_.kd
    .uniform_work_group_size: 1
    .uses_dynamic_stack: false
    .vgpr_count:     0
    .vgpr_spill_count: 0
    .wavefront_size: 32
    .workgroup_processor_mode: 1
  - .args:
      - .offset:         0
        .size:           120
        .value_kind:     by_value
    .group_segment_fixed_size: 0
    .kernarg_segment_align: 8
    .kernarg_segment_size: 120
    .language:       OpenCL C
    .language_version:
      - 2
      - 0
    .max_flat_workgroup_size: 256
    .name:           _ZN7rocprim17ROCPRIM_400000_NS6detail17trampoline_kernelINS0_14default_configENS1_29reduce_by_key_config_selectorItjN6thrust23THRUST_200600_302600_NS4plusIjEEEEZZNS1_33reduce_by_key_impl_wrapped_configILNS1_25lookback_scan_determinismE0ES3_S9_NS6_6detail15normal_iteratorINS6_10device_ptrItEEEENSD_INSE_IjEEEESG_SI_PmS8_NS6_8equal_toItEEEE10hipError_tPvRmT2_T3_mT4_T5_T6_T7_T8_P12ihipStream_tbENKUlT_T0_E_clISt17integral_constantIbLb1EES12_IbLb0EEEEDaSY_SZ_EUlSY_E_NS1_11comp_targetILNS1_3genE10ELNS1_11target_archE1201ELNS1_3gpuE5ELNS1_3repE0EEENS1_30default_config_static_selectorELNS0_4arch9wavefront6targetE0EEEvT1_
    .private_segment_fixed_size: 0
    .sgpr_count:     0
    .sgpr_spill_count: 0
    .symbol:         _ZN7rocprim17ROCPRIM_400000_NS6detail17trampoline_kernelINS0_14default_configENS1_29reduce_by_key_config_selectorItjN6thrust23THRUST_200600_302600_NS4plusIjEEEEZZNS1_33reduce_by_key_impl_wrapped_configILNS1_25lookback_scan_determinismE0ES3_S9_NS6_6detail15normal_iteratorINS6_10device_ptrItEEEENSD_INSE_IjEEEESG_SI_PmS8_NS6_8equal_toItEEEE10hipError_tPvRmT2_T3_mT4_T5_T6_T7_T8_P12ihipStream_tbENKUlT_T0_E_clISt17integral_constantIbLb1EES12_IbLb0EEEEDaSY_SZ_EUlSY_E_NS1_11comp_targetILNS1_3genE10ELNS1_11target_archE1201ELNS1_3gpuE5ELNS1_3repE0EEENS1_30default_config_static_selectorELNS0_4arch9wavefront6targetE0EEEvT1_.kd
    .uniform_work_group_size: 1
    .uses_dynamic_stack: false
    .vgpr_count:     0
    .vgpr_spill_count: 0
    .wavefront_size: 32
    .workgroup_processor_mode: 1
  - .args:
      - .offset:         0
        .size:           120
        .value_kind:     by_value
    .group_segment_fixed_size: 0
    .kernarg_segment_align: 8
    .kernarg_segment_size: 120
    .language:       OpenCL C
    .language_version:
      - 2
      - 0
    .max_flat_workgroup_size: 256
    .name:           _ZN7rocprim17ROCPRIM_400000_NS6detail17trampoline_kernelINS0_14default_configENS1_29reduce_by_key_config_selectorItjN6thrust23THRUST_200600_302600_NS4plusIjEEEEZZNS1_33reduce_by_key_impl_wrapped_configILNS1_25lookback_scan_determinismE0ES3_S9_NS6_6detail15normal_iteratorINS6_10device_ptrItEEEENSD_INSE_IjEEEESG_SI_PmS8_NS6_8equal_toItEEEE10hipError_tPvRmT2_T3_mT4_T5_T6_T7_T8_P12ihipStream_tbENKUlT_T0_E_clISt17integral_constantIbLb1EES12_IbLb0EEEEDaSY_SZ_EUlSY_E_NS1_11comp_targetILNS1_3genE10ELNS1_11target_archE1200ELNS1_3gpuE4ELNS1_3repE0EEENS1_30default_config_static_selectorELNS0_4arch9wavefront6targetE0EEEvT1_
    .private_segment_fixed_size: 0
    .sgpr_count:     0
    .sgpr_spill_count: 0
    .symbol:         _ZN7rocprim17ROCPRIM_400000_NS6detail17trampoline_kernelINS0_14default_configENS1_29reduce_by_key_config_selectorItjN6thrust23THRUST_200600_302600_NS4plusIjEEEEZZNS1_33reduce_by_key_impl_wrapped_configILNS1_25lookback_scan_determinismE0ES3_S9_NS6_6detail15normal_iteratorINS6_10device_ptrItEEEENSD_INSE_IjEEEESG_SI_PmS8_NS6_8equal_toItEEEE10hipError_tPvRmT2_T3_mT4_T5_T6_T7_T8_P12ihipStream_tbENKUlT_T0_E_clISt17integral_constantIbLb1EES12_IbLb0EEEEDaSY_SZ_EUlSY_E_NS1_11comp_targetILNS1_3genE10ELNS1_11target_archE1200ELNS1_3gpuE4ELNS1_3repE0EEENS1_30default_config_static_selectorELNS0_4arch9wavefront6targetE0EEEvT1_.kd
    .uniform_work_group_size: 1
    .uses_dynamic_stack: false
    .vgpr_count:     0
    .vgpr_spill_count: 0
    .wavefront_size: 32
    .workgroup_processor_mode: 1
  - .args:
      - .offset:         0
        .size:           120
        .value_kind:     by_value
    .group_segment_fixed_size: 15360
    .kernarg_segment_align: 8
    .kernarg_segment_size: 120
    .language:       OpenCL C
    .language_version:
      - 2
      - 0
    .max_flat_workgroup_size: 256
    .name:           _ZN7rocprim17ROCPRIM_400000_NS6detail17trampoline_kernelINS0_14default_configENS1_29reduce_by_key_config_selectorItjN6thrust23THRUST_200600_302600_NS4plusIjEEEEZZNS1_33reduce_by_key_impl_wrapped_configILNS1_25lookback_scan_determinismE0ES3_S9_NS6_6detail15normal_iteratorINS6_10device_ptrItEEEENSD_INSE_IjEEEESG_SI_PmS8_NS6_8equal_toItEEEE10hipError_tPvRmT2_T3_mT4_T5_T6_T7_T8_P12ihipStream_tbENKUlT_T0_E_clISt17integral_constantIbLb1EES12_IbLb0EEEEDaSY_SZ_EUlSY_E_NS1_11comp_targetILNS1_3genE9ELNS1_11target_archE1100ELNS1_3gpuE3ELNS1_3repE0EEENS1_30default_config_static_selectorELNS0_4arch9wavefront6targetE0EEEvT1_
    .private_segment_fixed_size: 0
    .sgpr_count:     48
    .sgpr_spill_count: 0
    .symbol:         _ZN7rocprim17ROCPRIM_400000_NS6detail17trampoline_kernelINS0_14default_configENS1_29reduce_by_key_config_selectorItjN6thrust23THRUST_200600_302600_NS4plusIjEEEEZZNS1_33reduce_by_key_impl_wrapped_configILNS1_25lookback_scan_determinismE0ES3_S9_NS6_6detail15normal_iteratorINS6_10device_ptrItEEEENSD_INSE_IjEEEESG_SI_PmS8_NS6_8equal_toItEEEE10hipError_tPvRmT2_T3_mT4_T5_T6_T7_T8_P12ihipStream_tbENKUlT_T0_E_clISt17integral_constantIbLb1EES12_IbLb0EEEEDaSY_SZ_EUlSY_E_NS1_11comp_targetILNS1_3genE9ELNS1_11target_archE1100ELNS1_3gpuE3ELNS1_3repE0EEENS1_30default_config_static_selectorELNS0_4arch9wavefront6targetE0EEEvT1_.kd
    .uniform_work_group_size: 1
    .uses_dynamic_stack: false
    .vgpr_count:     100
    .vgpr_spill_count: 0
    .wavefront_size: 32
    .workgroup_processor_mode: 1
  - .args:
      - .offset:         0
        .size:           120
        .value_kind:     by_value
    .group_segment_fixed_size: 0
    .kernarg_segment_align: 8
    .kernarg_segment_size: 120
    .language:       OpenCL C
    .language_version:
      - 2
      - 0
    .max_flat_workgroup_size: 256
    .name:           _ZN7rocprim17ROCPRIM_400000_NS6detail17trampoline_kernelINS0_14default_configENS1_29reduce_by_key_config_selectorItjN6thrust23THRUST_200600_302600_NS4plusIjEEEEZZNS1_33reduce_by_key_impl_wrapped_configILNS1_25lookback_scan_determinismE0ES3_S9_NS6_6detail15normal_iteratorINS6_10device_ptrItEEEENSD_INSE_IjEEEESG_SI_PmS8_NS6_8equal_toItEEEE10hipError_tPvRmT2_T3_mT4_T5_T6_T7_T8_P12ihipStream_tbENKUlT_T0_E_clISt17integral_constantIbLb1EES12_IbLb0EEEEDaSY_SZ_EUlSY_E_NS1_11comp_targetILNS1_3genE8ELNS1_11target_archE1030ELNS1_3gpuE2ELNS1_3repE0EEENS1_30default_config_static_selectorELNS0_4arch9wavefront6targetE0EEEvT1_
    .private_segment_fixed_size: 0
    .sgpr_count:     0
    .sgpr_spill_count: 0
    .symbol:         _ZN7rocprim17ROCPRIM_400000_NS6detail17trampoline_kernelINS0_14default_configENS1_29reduce_by_key_config_selectorItjN6thrust23THRUST_200600_302600_NS4plusIjEEEEZZNS1_33reduce_by_key_impl_wrapped_configILNS1_25lookback_scan_determinismE0ES3_S9_NS6_6detail15normal_iteratorINS6_10device_ptrItEEEENSD_INSE_IjEEEESG_SI_PmS8_NS6_8equal_toItEEEE10hipError_tPvRmT2_T3_mT4_T5_T6_T7_T8_P12ihipStream_tbENKUlT_T0_E_clISt17integral_constantIbLb1EES12_IbLb0EEEEDaSY_SZ_EUlSY_E_NS1_11comp_targetILNS1_3genE8ELNS1_11target_archE1030ELNS1_3gpuE2ELNS1_3repE0EEENS1_30default_config_static_selectorELNS0_4arch9wavefront6targetE0EEEvT1_.kd
    .uniform_work_group_size: 1
    .uses_dynamic_stack: false
    .vgpr_count:     0
    .vgpr_spill_count: 0
    .wavefront_size: 32
    .workgroup_processor_mode: 1
  - .args:
      - .offset:         0
        .size:           120
        .value_kind:     by_value
    .group_segment_fixed_size: 0
    .kernarg_segment_align: 8
    .kernarg_segment_size: 120
    .language:       OpenCL C
    .language_version:
      - 2
      - 0
    .max_flat_workgroup_size: 256
    .name:           _ZN7rocprim17ROCPRIM_400000_NS6detail17trampoline_kernelINS0_14default_configENS1_29reduce_by_key_config_selectorItjN6thrust23THRUST_200600_302600_NS4plusIjEEEEZZNS1_33reduce_by_key_impl_wrapped_configILNS1_25lookback_scan_determinismE0ES3_S9_NS6_6detail15normal_iteratorINS6_10device_ptrItEEEENSD_INSE_IjEEEESG_SI_PmS8_NS6_8equal_toItEEEE10hipError_tPvRmT2_T3_mT4_T5_T6_T7_T8_P12ihipStream_tbENKUlT_T0_E_clISt17integral_constantIbLb0EES12_IbLb1EEEEDaSY_SZ_EUlSY_E_NS1_11comp_targetILNS1_3genE0ELNS1_11target_archE4294967295ELNS1_3gpuE0ELNS1_3repE0EEENS1_30default_config_static_selectorELNS0_4arch9wavefront6targetE0EEEvT1_
    .private_segment_fixed_size: 0
    .sgpr_count:     0
    .sgpr_spill_count: 0
    .symbol:         _ZN7rocprim17ROCPRIM_400000_NS6detail17trampoline_kernelINS0_14default_configENS1_29reduce_by_key_config_selectorItjN6thrust23THRUST_200600_302600_NS4plusIjEEEEZZNS1_33reduce_by_key_impl_wrapped_configILNS1_25lookback_scan_determinismE0ES3_S9_NS6_6detail15normal_iteratorINS6_10device_ptrItEEEENSD_INSE_IjEEEESG_SI_PmS8_NS6_8equal_toItEEEE10hipError_tPvRmT2_T3_mT4_T5_T6_T7_T8_P12ihipStream_tbENKUlT_T0_E_clISt17integral_constantIbLb0EES12_IbLb1EEEEDaSY_SZ_EUlSY_E_NS1_11comp_targetILNS1_3genE0ELNS1_11target_archE4294967295ELNS1_3gpuE0ELNS1_3repE0EEENS1_30default_config_static_selectorELNS0_4arch9wavefront6targetE0EEEvT1_.kd
    .uniform_work_group_size: 1
    .uses_dynamic_stack: false
    .vgpr_count:     0
    .vgpr_spill_count: 0
    .wavefront_size: 32
    .workgroup_processor_mode: 1
  - .args:
      - .offset:         0
        .size:           120
        .value_kind:     by_value
    .group_segment_fixed_size: 0
    .kernarg_segment_align: 8
    .kernarg_segment_size: 120
    .language:       OpenCL C
    .language_version:
      - 2
      - 0
    .max_flat_workgroup_size: 256
    .name:           _ZN7rocprim17ROCPRIM_400000_NS6detail17trampoline_kernelINS0_14default_configENS1_29reduce_by_key_config_selectorItjN6thrust23THRUST_200600_302600_NS4plusIjEEEEZZNS1_33reduce_by_key_impl_wrapped_configILNS1_25lookback_scan_determinismE0ES3_S9_NS6_6detail15normal_iteratorINS6_10device_ptrItEEEENSD_INSE_IjEEEESG_SI_PmS8_NS6_8equal_toItEEEE10hipError_tPvRmT2_T3_mT4_T5_T6_T7_T8_P12ihipStream_tbENKUlT_T0_E_clISt17integral_constantIbLb0EES12_IbLb1EEEEDaSY_SZ_EUlSY_E_NS1_11comp_targetILNS1_3genE5ELNS1_11target_archE942ELNS1_3gpuE9ELNS1_3repE0EEENS1_30default_config_static_selectorELNS0_4arch9wavefront6targetE0EEEvT1_
    .private_segment_fixed_size: 0
    .sgpr_count:     0
    .sgpr_spill_count: 0
    .symbol:         _ZN7rocprim17ROCPRIM_400000_NS6detail17trampoline_kernelINS0_14default_configENS1_29reduce_by_key_config_selectorItjN6thrust23THRUST_200600_302600_NS4plusIjEEEEZZNS1_33reduce_by_key_impl_wrapped_configILNS1_25lookback_scan_determinismE0ES3_S9_NS6_6detail15normal_iteratorINS6_10device_ptrItEEEENSD_INSE_IjEEEESG_SI_PmS8_NS6_8equal_toItEEEE10hipError_tPvRmT2_T3_mT4_T5_T6_T7_T8_P12ihipStream_tbENKUlT_T0_E_clISt17integral_constantIbLb0EES12_IbLb1EEEEDaSY_SZ_EUlSY_E_NS1_11comp_targetILNS1_3genE5ELNS1_11target_archE942ELNS1_3gpuE9ELNS1_3repE0EEENS1_30default_config_static_selectorELNS0_4arch9wavefront6targetE0EEEvT1_.kd
    .uniform_work_group_size: 1
    .uses_dynamic_stack: false
    .vgpr_count:     0
    .vgpr_spill_count: 0
    .wavefront_size: 32
    .workgroup_processor_mode: 1
  - .args:
      - .offset:         0
        .size:           120
        .value_kind:     by_value
    .group_segment_fixed_size: 0
    .kernarg_segment_align: 8
    .kernarg_segment_size: 120
    .language:       OpenCL C
    .language_version:
      - 2
      - 0
    .max_flat_workgroup_size: 256
    .name:           _ZN7rocprim17ROCPRIM_400000_NS6detail17trampoline_kernelINS0_14default_configENS1_29reduce_by_key_config_selectorItjN6thrust23THRUST_200600_302600_NS4plusIjEEEEZZNS1_33reduce_by_key_impl_wrapped_configILNS1_25lookback_scan_determinismE0ES3_S9_NS6_6detail15normal_iteratorINS6_10device_ptrItEEEENSD_INSE_IjEEEESG_SI_PmS8_NS6_8equal_toItEEEE10hipError_tPvRmT2_T3_mT4_T5_T6_T7_T8_P12ihipStream_tbENKUlT_T0_E_clISt17integral_constantIbLb0EES12_IbLb1EEEEDaSY_SZ_EUlSY_E_NS1_11comp_targetILNS1_3genE4ELNS1_11target_archE910ELNS1_3gpuE8ELNS1_3repE0EEENS1_30default_config_static_selectorELNS0_4arch9wavefront6targetE0EEEvT1_
    .private_segment_fixed_size: 0
    .sgpr_count:     0
    .sgpr_spill_count: 0
    .symbol:         _ZN7rocprim17ROCPRIM_400000_NS6detail17trampoline_kernelINS0_14default_configENS1_29reduce_by_key_config_selectorItjN6thrust23THRUST_200600_302600_NS4plusIjEEEEZZNS1_33reduce_by_key_impl_wrapped_configILNS1_25lookback_scan_determinismE0ES3_S9_NS6_6detail15normal_iteratorINS6_10device_ptrItEEEENSD_INSE_IjEEEESG_SI_PmS8_NS6_8equal_toItEEEE10hipError_tPvRmT2_T3_mT4_T5_T6_T7_T8_P12ihipStream_tbENKUlT_T0_E_clISt17integral_constantIbLb0EES12_IbLb1EEEEDaSY_SZ_EUlSY_E_NS1_11comp_targetILNS1_3genE4ELNS1_11target_archE910ELNS1_3gpuE8ELNS1_3repE0EEENS1_30default_config_static_selectorELNS0_4arch9wavefront6targetE0EEEvT1_.kd
    .uniform_work_group_size: 1
    .uses_dynamic_stack: false
    .vgpr_count:     0
    .vgpr_spill_count: 0
    .wavefront_size: 32
    .workgroup_processor_mode: 1
  - .args:
      - .offset:         0
        .size:           120
        .value_kind:     by_value
    .group_segment_fixed_size: 0
    .kernarg_segment_align: 8
    .kernarg_segment_size: 120
    .language:       OpenCL C
    .language_version:
      - 2
      - 0
    .max_flat_workgroup_size: 256
    .name:           _ZN7rocprim17ROCPRIM_400000_NS6detail17trampoline_kernelINS0_14default_configENS1_29reduce_by_key_config_selectorItjN6thrust23THRUST_200600_302600_NS4plusIjEEEEZZNS1_33reduce_by_key_impl_wrapped_configILNS1_25lookback_scan_determinismE0ES3_S9_NS6_6detail15normal_iteratorINS6_10device_ptrItEEEENSD_INSE_IjEEEESG_SI_PmS8_NS6_8equal_toItEEEE10hipError_tPvRmT2_T3_mT4_T5_T6_T7_T8_P12ihipStream_tbENKUlT_T0_E_clISt17integral_constantIbLb0EES12_IbLb1EEEEDaSY_SZ_EUlSY_E_NS1_11comp_targetILNS1_3genE3ELNS1_11target_archE908ELNS1_3gpuE7ELNS1_3repE0EEENS1_30default_config_static_selectorELNS0_4arch9wavefront6targetE0EEEvT1_
    .private_segment_fixed_size: 0
    .sgpr_count:     0
    .sgpr_spill_count: 0
    .symbol:         _ZN7rocprim17ROCPRIM_400000_NS6detail17trampoline_kernelINS0_14default_configENS1_29reduce_by_key_config_selectorItjN6thrust23THRUST_200600_302600_NS4plusIjEEEEZZNS1_33reduce_by_key_impl_wrapped_configILNS1_25lookback_scan_determinismE0ES3_S9_NS6_6detail15normal_iteratorINS6_10device_ptrItEEEENSD_INSE_IjEEEESG_SI_PmS8_NS6_8equal_toItEEEE10hipError_tPvRmT2_T3_mT4_T5_T6_T7_T8_P12ihipStream_tbENKUlT_T0_E_clISt17integral_constantIbLb0EES12_IbLb1EEEEDaSY_SZ_EUlSY_E_NS1_11comp_targetILNS1_3genE3ELNS1_11target_archE908ELNS1_3gpuE7ELNS1_3repE0EEENS1_30default_config_static_selectorELNS0_4arch9wavefront6targetE0EEEvT1_.kd
    .uniform_work_group_size: 1
    .uses_dynamic_stack: false
    .vgpr_count:     0
    .vgpr_spill_count: 0
    .wavefront_size: 32
    .workgroup_processor_mode: 1
  - .args:
      - .offset:         0
        .size:           120
        .value_kind:     by_value
    .group_segment_fixed_size: 0
    .kernarg_segment_align: 8
    .kernarg_segment_size: 120
    .language:       OpenCL C
    .language_version:
      - 2
      - 0
    .max_flat_workgroup_size: 256
    .name:           _ZN7rocprim17ROCPRIM_400000_NS6detail17trampoline_kernelINS0_14default_configENS1_29reduce_by_key_config_selectorItjN6thrust23THRUST_200600_302600_NS4plusIjEEEEZZNS1_33reduce_by_key_impl_wrapped_configILNS1_25lookback_scan_determinismE0ES3_S9_NS6_6detail15normal_iteratorINS6_10device_ptrItEEEENSD_INSE_IjEEEESG_SI_PmS8_NS6_8equal_toItEEEE10hipError_tPvRmT2_T3_mT4_T5_T6_T7_T8_P12ihipStream_tbENKUlT_T0_E_clISt17integral_constantIbLb0EES12_IbLb1EEEEDaSY_SZ_EUlSY_E_NS1_11comp_targetILNS1_3genE2ELNS1_11target_archE906ELNS1_3gpuE6ELNS1_3repE0EEENS1_30default_config_static_selectorELNS0_4arch9wavefront6targetE0EEEvT1_
    .private_segment_fixed_size: 0
    .sgpr_count:     0
    .sgpr_spill_count: 0
    .symbol:         _ZN7rocprim17ROCPRIM_400000_NS6detail17trampoline_kernelINS0_14default_configENS1_29reduce_by_key_config_selectorItjN6thrust23THRUST_200600_302600_NS4plusIjEEEEZZNS1_33reduce_by_key_impl_wrapped_configILNS1_25lookback_scan_determinismE0ES3_S9_NS6_6detail15normal_iteratorINS6_10device_ptrItEEEENSD_INSE_IjEEEESG_SI_PmS8_NS6_8equal_toItEEEE10hipError_tPvRmT2_T3_mT4_T5_T6_T7_T8_P12ihipStream_tbENKUlT_T0_E_clISt17integral_constantIbLb0EES12_IbLb1EEEEDaSY_SZ_EUlSY_E_NS1_11comp_targetILNS1_3genE2ELNS1_11target_archE906ELNS1_3gpuE6ELNS1_3repE0EEENS1_30default_config_static_selectorELNS0_4arch9wavefront6targetE0EEEvT1_.kd
    .uniform_work_group_size: 1
    .uses_dynamic_stack: false
    .vgpr_count:     0
    .vgpr_spill_count: 0
    .wavefront_size: 32
    .workgroup_processor_mode: 1
  - .args:
      - .offset:         0
        .size:           120
        .value_kind:     by_value
    .group_segment_fixed_size: 0
    .kernarg_segment_align: 8
    .kernarg_segment_size: 120
    .language:       OpenCL C
    .language_version:
      - 2
      - 0
    .max_flat_workgroup_size: 256
    .name:           _ZN7rocprim17ROCPRIM_400000_NS6detail17trampoline_kernelINS0_14default_configENS1_29reduce_by_key_config_selectorItjN6thrust23THRUST_200600_302600_NS4plusIjEEEEZZNS1_33reduce_by_key_impl_wrapped_configILNS1_25lookback_scan_determinismE0ES3_S9_NS6_6detail15normal_iteratorINS6_10device_ptrItEEEENSD_INSE_IjEEEESG_SI_PmS8_NS6_8equal_toItEEEE10hipError_tPvRmT2_T3_mT4_T5_T6_T7_T8_P12ihipStream_tbENKUlT_T0_E_clISt17integral_constantIbLb0EES12_IbLb1EEEEDaSY_SZ_EUlSY_E_NS1_11comp_targetILNS1_3genE10ELNS1_11target_archE1201ELNS1_3gpuE5ELNS1_3repE0EEENS1_30default_config_static_selectorELNS0_4arch9wavefront6targetE0EEEvT1_
    .private_segment_fixed_size: 0
    .sgpr_count:     0
    .sgpr_spill_count: 0
    .symbol:         _ZN7rocprim17ROCPRIM_400000_NS6detail17trampoline_kernelINS0_14default_configENS1_29reduce_by_key_config_selectorItjN6thrust23THRUST_200600_302600_NS4plusIjEEEEZZNS1_33reduce_by_key_impl_wrapped_configILNS1_25lookback_scan_determinismE0ES3_S9_NS6_6detail15normal_iteratorINS6_10device_ptrItEEEENSD_INSE_IjEEEESG_SI_PmS8_NS6_8equal_toItEEEE10hipError_tPvRmT2_T3_mT4_T5_T6_T7_T8_P12ihipStream_tbENKUlT_T0_E_clISt17integral_constantIbLb0EES12_IbLb1EEEEDaSY_SZ_EUlSY_E_NS1_11comp_targetILNS1_3genE10ELNS1_11target_archE1201ELNS1_3gpuE5ELNS1_3repE0EEENS1_30default_config_static_selectorELNS0_4arch9wavefront6targetE0EEEvT1_.kd
    .uniform_work_group_size: 1
    .uses_dynamic_stack: false
    .vgpr_count:     0
    .vgpr_spill_count: 0
    .wavefront_size: 32
    .workgroup_processor_mode: 1
  - .args:
      - .offset:         0
        .size:           120
        .value_kind:     by_value
    .group_segment_fixed_size: 0
    .kernarg_segment_align: 8
    .kernarg_segment_size: 120
    .language:       OpenCL C
    .language_version:
      - 2
      - 0
    .max_flat_workgroup_size: 256
    .name:           _ZN7rocprim17ROCPRIM_400000_NS6detail17trampoline_kernelINS0_14default_configENS1_29reduce_by_key_config_selectorItjN6thrust23THRUST_200600_302600_NS4plusIjEEEEZZNS1_33reduce_by_key_impl_wrapped_configILNS1_25lookback_scan_determinismE0ES3_S9_NS6_6detail15normal_iteratorINS6_10device_ptrItEEEENSD_INSE_IjEEEESG_SI_PmS8_NS6_8equal_toItEEEE10hipError_tPvRmT2_T3_mT4_T5_T6_T7_T8_P12ihipStream_tbENKUlT_T0_E_clISt17integral_constantIbLb0EES12_IbLb1EEEEDaSY_SZ_EUlSY_E_NS1_11comp_targetILNS1_3genE10ELNS1_11target_archE1200ELNS1_3gpuE4ELNS1_3repE0EEENS1_30default_config_static_selectorELNS0_4arch9wavefront6targetE0EEEvT1_
    .private_segment_fixed_size: 0
    .sgpr_count:     0
    .sgpr_spill_count: 0
    .symbol:         _ZN7rocprim17ROCPRIM_400000_NS6detail17trampoline_kernelINS0_14default_configENS1_29reduce_by_key_config_selectorItjN6thrust23THRUST_200600_302600_NS4plusIjEEEEZZNS1_33reduce_by_key_impl_wrapped_configILNS1_25lookback_scan_determinismE0ES3_S9_NS6_6detail15normal_iteratorINS6_10device_ptrItEEEENSD_INSE_IjEEEESG_SI_PmS8_NS6_8equal_toItEEEE10hipError_tPvRmT2_T3_mT4_T5_T6_T7_T8_P12ihipStream_tbENKUlT_T0_E_clISt17integral_constantIbLb0EES12_IbLb1EEEEDaSY_SZ_EUlSY_E_NS1_11comp_targetILNS1_3genE10ELNS1_11target_archE1200ELNS1_3gpuE4ELNS1_3repE0EEENS1_30default_config_static_selectorELNS0_4arch9wavefront6targetE0EEEvT1_.kd
    .uniform_work_group_size: 1
    .uses_dynamic_stack: false
    .vgpr_count:     0
    .vgpr_spill_count: 0
    .wavefront_size: 32
    .workgroup_processor_mode: 1
  - .args:
      - .offset:         0
        .size:           120
        .value_kind:     by_value
    .group_segment_fixed_size: 15360
    .kernarg_segment_align: 8
    .kernarg_segment_size: 120
    .language:       OpenCL C
    .language_version:
      - 2
      - 0
    .max_flat_workgroup_size: 256
    .name:           _ZN7rocprim17ROCPRIM_400000_NS6detail17trampoline_kernelINS0_14default_configENS1_29reduce_by_key_config_selectorItjN6thrust23THRUST_200600_302600_NS4plusIjEEEEZZNS1_33reduce_by_key_impl_wrapped_configILNS1_25lookback_scan_determinismE0ES3_S9_NS6_6detail15normal_iteratorINS6_10device_ptrItEEEENSD_INSE_IjEEEESG_SI_PmS8_NS6_8equal_toItEEEE10hipError_tPvRmT2_T3_mT4_T5_T6_T7_T8_P12ihipStream_tbENKUlT_T0_E_clISt17integral_constantIbLb0EES12_IbLb1EEEEDaSY_SZ_EUlSY_E_NS1_11comp_targetILNS1_3genE9ELNS1_11target_archE1100ELNS1_3gpuE3ELNS1_3repE0EEENS1_30default_config_static_selectorELNS0_4arch9wavefront6targetE0EEEvT1_
    .private_segment_fixed_size: 0
    .sgpr_count:     47
    .sgpr_spill_count: 0
    .symbol:         _ZN7rocprim17ROCPRIM_400000_NS6detail17trampoline_kernelINS0_14default_configENS1_29reduce_by_key_config_selectorItjN6thrust23THRUST_200600_302600_NS4plusIjEEEEZZNS1_33reduce_by_key_impl_wrapped_configILNS1_25lookback_scan_determinismE0ES3_S9_NS6_6detail15normal_iteratorINS6_10device_ptrItEEEENSD_INSE_IjEEEESG_SI_PmS8_NS6_8equal_toItEEEE10hipError_tPvRmT2_T3_mT4_T5_T6_T7_T8_P12ihipStream_tbENKUlT_T0_E_clISt17integral_constantIbLb0EES12_IbLb1EEEEDaSY_SZ_EUlSY_E_NS1_11comp_targetILNS1_3genE9ELNS1_11target_archE1100ELNS1_3gpuE3ELNS1_3repE0EEENS1_30default_config_static_selectorELNS0_4arch9wavefront6targetE0EEEvT1_.kd
    .uniform_work_group_size: 1
    .uses_dynamic_stack: false
    .vgpr_count:     100
    .vgpr_spill_count: 0
    .wavefront_size: 32
    .workgroup_processor_mode: 1
  - .args:
      - .offset:         0
        .size:           120
        .value_kind:     by_value
    .group_segment_fixed_size: 0
    .kernarg_segment_align: 8
    .kernarg_segment_size: 120
    .language:       OpenCL C
    .language_version:
      - 2
      - 0
    .max_flat_workgroup_size: 256
    .name:           _ZN7rocprim17ROCPRIM_400000_NS6detail17trampoline_kernelINS0_14default_configENS1_29reduce_by_key_config_selectorItjN6thrust23THRUST_200600_302600_NS4plusIjEEEEZZNS1_33reduce_by_key_impl_wrapped_configILNS1_25lookback_scan_determinismE0ES3_S9_NS6_6detail15normal_iteratorINS6_10device_ptrItEEEENSD_INSE_IjEEEESG_SI_PmS8_NS6_8equal_toItEEEE10hipError_tPvRmT2_T3_mT4_T5_T6_T7_T8_P12ihipStream_tbENKUlT_T0_E_clISt17integral_constantIbLb0EES12_IbLb1EEEEDaSY_SZ_EUlSY_E_NS1_11comp_targetILNS1_3genE8ELNS1_11target_archE1030ELNS1_3gpuE2ELNS1_3repE0EEENS1_30default_config_static_selectorELNS0_4arch9wavefront6targetE0EEEvT1_
    .private_segment_fixed_size: 0
    .sgpr_count:     0
    .sgpr_spill_count: 0
    .symbol:         _ZN7rocprim17ROCPRIM_400000_NS6detail17trampoline_kernelINS0_14default_configENS1_29reduce_by_key_config_selectorItjN6thrust23THRUST_200600_302600_NS4plusIjEEEEZZNS1_33reduce_by_key_impl_wrapped_configILNS1_25lookback_scan_determinismE0ES3_S9_NS6_6detail15normal_iteratorINS6_10device_ptrItEEEENSD_INSE_IjEEEESG_SI_PmS8_NS6_8equal_toItEEEE10hipError_tPvRmT2_T3_mT4_T5_T6_T7_T8_P12ihipStream_tbENKUlT_T0_E_clISt17integral_constantIbLb0EES12_IbLb1EEEEDaSY_SZ_EUlSY_E_NS1_11comp_targetILNS1_3genE8ELNS1_11target_archE1030ELNS1_3gpuE2ELNS1_3repE0EEENS1_30default_config_static_selectorELNS0_4arch9wavefront6targetE0EEEvT1_.kd
    .uniform_work_group_size: 1
    .uses_dynamic_stack: false
    .vgpr_count:     0
    .vgpr_spill_count: 0
    .wavefront_size: 32
    .workgroup_processor_mode: 1
  - .args:
      - .offset:         0
        .size:           120
        .value_kind:     by_value
    .group_segment_fixed_size: 0
    .kernarg_segment_align: 8
    .kernarg_segment_size: 120
    .language:       OpenCL C
    .language_version:
      - 2
      - 0
    .max_flat_workgroup_size: 256
    .name:           _ZN7rocprim17ROCPRIM_400000_NS6detail17trampoline_kernelINS0_14default_configENS1_29reduce_by_key_config_selectorIxjN6thrust23THRUST_200600_302600_NS4plusIjEEEEZZNS1_33reduce_by_key_impl_wrapped_configILNS1_25lookback_scan_determinismE0ES3_S9_NS6_6detail15normal_iteratorINS6_10device_ptrIxEEEENSD_INSE_IjEEEESG_SI_PmS8_NS6_8equal_toIxEEEE10hipError_tPvRmT2_T3_mT4_T5_T6_T7_T8_P12ihipStream_tbENKUlT_T0_E_clISt17integral_constantIbLb0EES13_EEDaSY_SZ_EUlSY_E_NS1_11comp_targetILNS1_3genE0ELNS1_11target_archE4294967295ELNS1_3gpuE0ELNS1_3repE0EEENS1_30default_config_static_selectorELNS0_4arch9wavefront6targetE0EEEvT1_
    .private_segment_fixed_size: 0
    .sgpr_count:     0
    .sgpr_spill_count: 0
    .symbol:         _ZN7rocprim17ROCPRIM_400000_NS6detail17trampoline_kernelINS0_14default_configENS1_29reduce_by_key_config_selectorIxjN6thrust23THRUST_200600_302600_NS4plusIjEEEEZZNS1_33reduce_by_key_impl_wrapped_configILNS1_25lookback_scan_determinismE0ES3_S9_NS6_6detail15normal_iteratorINS6_10device_ptrIxEEEENSD_INSE_IjEEEESG_SI_PmS8_NS6_8equal_toIxEEEE10hipError_tPvRmT2_T3_mT4_T5_T6_T7_T8_P12ihipStream_tbENKUlT_T0_E_clISt17integral_constantIbLb0EES13_EEDaSY_SZ_EUlSY_E_NS1_11comp_targetILNS1_3genE0ELNS1_11target_archE4294967295ELNS1_3gpuE0ELNS1_3repE0EEENS1_30default_config_static_selectorELNS0_4arch9wavefront6targetE0EEEvT1_.kd
    .uniform_work_group_size: 1
    .uses_dynamic_stack: false
    .vgpr_count:     0
    .vgpr_spill_count: 0
    .wavefront_size: 32
    .workgroup_processor_mode: 1
  - .args:
      - .offset:         0
        .size:           120
        .value_kind:     by_value
    .group_segment_fixed_size: 0
    .kernarg_segment_align: 8
    .kernarg_segment_size: 120
    .language:       OpenCL C
    .language_version:
      - 2
      - 0
    .max_flat_workgroup_size: 256
    .name:           _ZN7rocprim17ROCPRIM_400000_NS6detail17trampoline_kernelINS0_14default_configENS1_29reduce_by_key_config_selectorIxjN6thrust23THRUST_200600_302600_NS4plusIjEEEEZZNS1_33reduce_by_key_impl_wrapped_configILNS1_25lookback_scan_determinismE0ES3_S9_NS6_6detail15normal_iteratorINS6_10device_ptrIxEEEENSD_INSE_IjEEEESG_SI_PmS8_NS6_8equal_toIxEEEE10hipError_tPvRmT2_T3_mT4_T5_T6_T7_T8_P12ihipStream_tbENKUlT_T0_E_clISt17integral_constantIbLb0EES13_EEDaSY_SZ_EUlSY_E_NS1_11comp_targetILNS1_3genE5ELNS1_11target_archE942ELNS1_3gpuE9ELNS1_3repE0EEENS1_30default_config_static_selectorELNS0_4arch9wavefront6targetE0EEEvT1_
    .private_segment_fixed_size: 0
    .sgpr_count:     0
    .sgpr_spill_count: 0
    .symbol:         _ZN7rocprim17ROCPRIM_400000_NS6detail17trampoline_kernelINS0_14default_configENS1_29reduce_by_key_config_selectorIxjN6thrust23THRUST_200600_302600_NS4plusIjEEEEZZNS1_33reduce_by_key_impl_wrapped_configILNS1_25lookback_scan_determinismE0ES3_S9_NS6_6detail15normal_iteratorINS6_10device_ptrIxEEEENSD_INSE_IjEEEESG_SI_PmS8_NS6_8equal_toIxEEEE10hipError_tPvRmT2_T3_mT4_T5_T6_T7_T8_P12ihipStream_tbENKUlT_T0_E_clISt17integral_constantIbLb0EES13_EEDaSY_SZ_EUlSY_E_NS1_11comp_targetILNS1_3genE5ELNS1_11target_archE942ELNS1_3gpuE9ELNS1_3repE0EEENS1_30default_config_static_selectorELNS0_4arch9wavefront6targetE0EEEvT1_.kd
    .uniform_work_group_size: 1
    .uses_dynamic_stack: false
    .vgpr_count:     0
    .vgpr_spill_count: 0
    .wavefront_size: 32
    .workgroup_processor_mode: 1
  - .args:
      - .offset:         0
        .size:           120
        .value_kind:     by_value
    .group_segment_fixed_size: 0
    .kernarg_segment_align: 8
    .kernarg_segment_size: 120
    .language:       OpenCL C
    .language_version:
      - 2
      - 0
    .max_flat_workgroup_size: 256
    .name:           _ZN7rocprim17ROCPRIM_400000_NS6detail17trampoline_kernelINS0_14default_configENS1_29reduce_by_key_config_selectorIxjN6thrust23THRUST_200600_302600_NS4plusIjEEEEZZNS1_33reduce_by_key_impl_wrapped_configILNS1_25lookback_scan_determinismE0ES3_S9_NS6_6detail15normal_iteratorINS6_10device_ptrIxEEEENSD_INSE_IjEEEESG_SI_PmS8_NS6_8equal_toIxEEEE10hipError_tPvRmT2_T3_mT4_T5_T6_T7_T8_P12ihipStream_tbENKUlT_T0_E_clISt17integral_constantIbLb0EES13_EEDaSY_SZ_EUlSY_E_NS1_11comp_targetILNS1_3genE4ELNS1_11target_archE910ELNS1_3gpuE8ELNS1_3repE0EEENS1_30default_config_static_selectorELNS0_4arch9wavefront6targetE0EEEvT1_
    .private_segment_fixed_size: 0
    .sgpr_count:     0
    .sgpr_spill_count: 0
    .symbol:         _ZN7rocprim17ROCPRIM_400000_NS6detail17trampoline_kernelINS0_14default_configENS1_29reduce_by_key_config_selectorIxjN6thrust23THRUST_200600_302600_NS4plusIjEEEEZZNS1_33reduce_by_key_impl_wrapped_configILNS1_25lookback_scan_determinismE0ES3_S9_NS6_6detail15normal_iteratorINS6_10device_ptrIxEEEENSD_INSE_IjEEEESG_SI_PmS8_NS6_8equal_toIxEEEE10hipError_tPvRmT2_T3_mT4_T5_T6_T7_T8_P12ihipStream_tbENKUlT_T0_E_clISt17integral_constantIbLb0EES13_EEDaSY_SZ_EUlSY_E_NS1_11comp_targetILNS1_3genE4ELNS1_11target_archE910ELNS1_3gpuE8ELNS1_3repE0EEENS1_30default_config_static_selectorELNS0_4arch9wavefront6targetE0EEEvT1_.kd
    .uniform_work_group_size: 1
    .uses_dynamic_stack: false
    .vgpr_count:     0
    .vgpr_spill_count: 0
    .wavefront_size: 32
    .workgroup_processor_mode: 1
  - .args:
      - .offset:         0
        .size:           120
        .value_kind:     by_value
    .group_segment_fixed_size: 0
    .kernarg_segment_align: 8
    .kernarg_segment_size: 120
    .language:       OpenCL C
    .language_version:
      - 2
      - 0
    .max_flat_workgroup_size: 256
    .name:           _ZN7rocprim17ROCPRIM_400000_NS6detail17trampoline_kernelINS0_14default_configENS1_29reduce_by_key_config_selectorIxjN6thrust23THRUST_200600_302600_NS4plusIjEEEEZZNS1_33reduce_by_key_impl_wrapped_configILNS1_25lookback_scan_determinismE0ES3_S9_NS6_6detail15normal_iteratorINS6_10device_ptrIxEEEENSD_INSE_IjEEEESG_SI_PmS8_NS6_8equal_toIxEEEE10hipError_tPvRmT2_T3_mT4_T5_T6_T7_T8_P12ihipStream_tbENKUlT_T0_E_clISt17integral_constantIbLb0EES13_EEDaSY_SZ_EUlSY_E_NS1_11comp_targetILNS1_3genE3ELNS1_11target_archE908ELNS1_3gpuE7ELNS1_3repE0EEENS1_30default_config_static_selectorELNS0_4arch9wavefront6targetE0EEEvT1_
    .private_segment_fixed_size: 0
    .sgpr_count:     0
    .sgpr_spill_count: 0
    .symbol:         _ZN7rocprim17ROCPRIM_400000_NS6detail17trampoline_kernelINS0_14default_configENS1_29reduce_by_key_config_selectorIxjN6thrust23THRUST_200600_302600_NS4plusIjEEEEZZNS1_33reduce_by_key_impl_wrapped_configILNS1_25lookback_scan_determinismE0ES3_S9_NS6_6detail15normal_iteratorINS6_10device_ptrIxEEEENSD_INSE_IjEEEESG_SI_PmS8_NS6_8equal_toIxEEEE10hipError_tPvRmT2_T3_mT4_T5_T6_T7_T8_P12ihipStream_tbENKUlT_T0_E_clISt17integral_constantIbLb0EES13_EEDaSY_SZ_EUlSY_E_NS1_11comp_targetILNS1_3genE3ELNS1_11target_archE908ELNS1_3gpuE7ELNS1_3repE0EEENS1_30default_config_static_selectorELNS0_4arch9wavefront6targetE0EEEvT1_.kd
    .uniform_work_group_size: 1
    .uses_dynamic_stack: false
    .vgpr_count:     0
    .vgpr_spill_count: 0
    .wavefront_size: 32
    .workgroup_processor_mode: 1
  - .args:
      - .offset:         0
        .size:           120
        .value_kind:     by_value
    .group_segment_fixed_size: 0
    .kernarg_segment_align: 8
    .kernarg_segment_size: 120
    .language:       OpenCL C
    .language_version:
      - 2
      - 0
    .max_flat_workgroup_size: 256
    .name:           _ZN7rocprim17ROCPRIM_400000_NS6detail17trampoline_kernelINS0_14default_configENS1_29reduce_by_key_config_selectorIxjN6thrust23THRUST_200600_302600_NS4plusIjEEEEZZNS1_33reduce_by_key_impl_wrapped_configILNS1_25lookback_scan_determinismE0ES3_S9_NS6_6detail15normal_iteratorINS6_10device_ptrIxEEEENSD_INSE_IjEEEESG_SI_PmS8_NS6_8equal_toIxEEEE10hipError_tPvRmT2_T3_mT4_T5_T6_T7_T8_P12ihipStream_tbENKUlT_T0_E_clISt17integral_constantIbLb0EES13_EEDaSY_SZ_EUlSY_E_NS1_11comp_targetILNS1_3genE2ELNS1_11target_archE906ELNS1_3gpuE6ELNS1_3repE0EEENS1_30default_config_static_selectorELNS0_4arch9wavefront6targetE0EEEvT1_
    .private_segment_fixed_size: 0
    .sgpr_count:     0
    .sgpr_spill_count: 0
    .symbol:         _ZN7rocprim17ROCPRIM_400000_NS6detail17trampoline_kernelINS0_14default_configENS1_29reduce_by_key_config_selectorIxjN6thrust23THRUST_200600_302600_NS4plusIjEEEEZZNS1_33reduce_by_key_impl_wrapped_configILNS1_25lookback_scan_determinismE0ES3_S9_NS6_6detail15normal_iteratorINS6_10device_ptrIxEEEENSD_INSE_IjEEEESG_SI_PmS8_NS6_8equal_toIxEEEE10hipError_tPvRmT2_T3_mT4_T5_T6_T7_T8_P12ihipStream_tbENKUlT_T0_E_clISt17integral_constantIbLb0EES13_EEDaSY_SZ_EUlSY_E_NS1_11comp_targetILNS1_3genE2ELNS1_11target_archE906ELNS1_3gpuE6ELNS1_3repE0EEENS1_30default_config_static_selectorELNS0_4arch9wavefront6targetE0EEEvT1_.kd
    .uniform_work_group_size: 1
    .uses_dynamic_stack: false
    .vgpr_count:     0
    .vgpr_spill_count: 0
    .wavefront_size: 32
    .workgroup_processor_mode: 1
  - .args:
      - .offset:         0
        .size:           120
        .value_kind:     by_value
    .group_segment_fixed_size: 0
    .kernarg_segment_align: 8
    .kernarg_segment_size: 120
    .language:       OpenCL C
    .language_version:
      - 2
      - 0
    .max_flat_workgroup_size: 256
    .name:           _ZN7rocprim17ROCPRIM_400000_NS6detail17trampoline_kernelINS0_14default_configENS1_29reduce_by_key_config_selectorIxjN6thrust23THRUST_200600_302600_NS4plusIjEEEEZZNS1_33reduce_by_key_impl_wrapped_configILNS1_25lookback_scan_determinismE0ES3_S9_NS6_6detail15normal_iteratorINS6_10device_ptrIxEEEENSD_INSE_IjEEEESG_SI_PmS8_NS6_8equal_toIxEEEE10hipError_tPvRmT2_T3_mT4_T5_T6_T7_T8_P12ihipStream_tbENKUlT_T0_E_clISt17integral_constantIbLb0EES13_EEDaSY_SZ_EUlSY_E_NS1_11comp_targetILNS1_3genE10ELNS1_11target_archE1201ELNS1_3gpuE5ELNS1_3repE0EEENS1_30default_config_static_selectorELNS0_4arch9wavefront6targetE0EEEvT1_
    .private_segment_fixed_size: 0
    .sgpr_count:     0
    .sgpr_spill_count: 0
    .symbol:         _ZN7rocprim17ROCPRIM_400000_NS6detail17trampoline_kernelINS0_14default_configENS1_29reduce_by_key_config_selectorIxjN6thrust23THRUST_200600_302600_NS4plusIjEEEEZZNS1_33reduce_by_key_impl_wrapped_configILNS1_25lookback_scan_determinismE0ES3_S9_NS6_6detail15normal_iteratorINS6_10device_ptrIxEEEENSD_INSE_IjEEEESG_SI_PmS8_NS6_8equal_toIxEEEE10hipError_tPvRmT2_T3_mT4_T5_T6_T7_T8_P12ihipStream_tbENKUlT_T0_E_clISt17integral_constantIbLb0EES13_EEDaSY_SZ_EUlSY_E_NS1_11comp_targetILNS1_3genE10ELNS1_11target_archE1201ELNS1_3gpuE5ELNS1_3repE0EEENS1_30default_config_static_selectorELNS0_4arch9wavefront6targetE0EEEvT1_.kd
    .uniform_work_group_size: 1
    .uses_dynamic_stack: false
    .vgpr_count:     0
    .vgpr_spill_count: 0
    .wavefront_size: 32
    .workgroup_processor_mode: 1
  - .args:
      - .offset:         0
        .size:           120
        .value_kind:     by_value
    .group_segment_fixed_size: 0
    .kernarg_segment_align: 8
    .kernarg_segment_size: 120
    .language:       OpenCL C
    .language_version:
      - 2
      - 0
    .max_flat_workgroup_size: 256
    .name:           _ZN7rocprim17ROCPRIM_400000_NS6detail17trampoline_kernelINS0_14default_configENS1_29reduce_by_key_config_selectorIxjN6thrust23THRUST_200600_302600_NS4plusIjEEEEZZNS1_33reduce_by_key_impl_wrapped_configILNS1_25lookback_scan_determinismE0ES3_S9_NS6_6detail15normal_iteratorINS6_10device_ptrIxEEEENSD_INSE_IjEEEESG_SI_PmS8_NS6_8equal_toIxEEEE10hipError_tPvRmT2_T3_mT4_T5_T6_T7_T8_P12ihipStream_tbENKUlT_T0_E_clISt17integral_constantIbLb0EES13_EEDaSY_SZ_EUlSY_E_NS1_11comp_targetILNS1_3genE10ELNS1_11target_archE1200ELNS1_3gpuE4ELNS1_3repE0EEENS1_30default_config_static_selectorELNS0_4arch9wavefront6targetE0EEEvT1_
    .private_segment_fixed_size: 0
    .sgpr_count:     0
    .sgpr_spill_count: 0
    .symbol:         _ZN7rocprim17ROCPRIM_400000_NS6detail17trampoline_kernelINS0_14default_configENS1_29reduce_by_key_config_selectorIxjN6thrust23THRUST_200600_302600_NS4plusIjEEEEZZNS1_33reduce_by_key_impl_wrapped_configILNS1_25lookback_scan_determinismE0ES3_S9_NS6_6detail15normal_iteratorINS6_10device_ptrIxEEEENSD_INSE_IjEEEESG_SI_PmS8_NS6_8equal_toIxEEEE10hipError_tPvRmT2_T3_mT4_T5_T6_T7_T8_P12ihipStream_tbENKUlT_T0_E_clISt17integral_constantIbLb0EES13_EEDaSY_SZ_EUlSY_E_NS1_11comp_targetILNS1_3genE10ELNS1_11target_archE1200ELNS1_3gpuE4ELNS1_3repE0EEENS1_30default_config_static_selectorELNS0_4arch9wavefront6targetE0EEEvT1_.kd
    .uniform_work_group_size: 1
    .uses_dynamic_stack: false
    .vgpr_count:     0
    .vgpr_spill_count: 0
    .wavefront_size: 32
    .workgroup_processor_mode: 1
  - .args:
      - .offset:         0
        .size:           120
        .value_kind:     by_value
    .group_segment_fixed_size: 30720
    .kernarg_segment_align: 8
    .kernarg_segment_size: 120
    .language:       OpenCL C
    .language_version:
      - 2
      - 0
    .max_flat_workgroup_size: 256
    .name:           _ZN7rocprim17ROCPRIM_400000_NS6detail17trampoline_kernelINS0_14default_configENS1_29reduce_by_key_config_selectorIxjN6thrust23THRUST_200600_302600_NS4plusIjEEEEZZNS1_33reduce_by_key_impl_wrapped_configILNS1_25lookback_scan_determinismE0ES3_S9_NS6_6detail15normal_iteratorINS6_10device_ptrIxEEEENSD_INSE_IjEEEESG_SI_PmS8_NS6_8equal_toIxEEEE10hipError_tPvRmT2_T3_mT4_T5_T6_T7_T8_P12ihipStream_tbENKUlT_T0_E_clISt17integral_constantIbLb0EES13_EEDaSY_SZ_EUlSY_E_NS1_11comp_targetILNS1_3genE9ELNS1_11target_archE1100ELNS1_3gpuE3ELNS1_3repE0EEENS1_30default_config_static_selectorELNS0_4arch9wavefront6targetE0EEEvT1_
    .private_segment_fixed_size: 0
    .sgpr_count:     48
    .sgpr_spill_count: 0
    .symbol:         _ZN7rocprim17ROCPRIM_400000_NS6detail17trampoline_kernelINS0_14default_configENS1_29reduce_by_key_config_selectorIxjN6thrust23THRUST_200600_302600_NS4plusIjEEEEZZNS1_33reduce_by_key_impl_wrapped_configILNS1_25lookback_scan_determinismE0ES3_S9_NS6_6detail15normal_iteratorINS6_10device_ptrIxEEEENSD_INSE_IjEEEESG_SI_PmS8_NS6_8equal_toIxEEEE10hipError_tPvRmT2_T3_mT4_T5_T6_T7_T8_P12ihipStream_tbENKUlT_T0_E_clISt17integral_constantIbLb0EES13_EEDaSY_SZ_EUlSY_E_NS1_11comp_targetILNS1_3genE9ELNS1_11target_archE1100ELNS1_3gpuE3ELNS1_3repE0EEENS1_30default_config_static_selectorELNS0_4arch9wavefront6targetE0EEEvT1_.kd
    .uniform_work_group_size: 1
    .uses_dynamic_stack: false
    .vgpr_count:     100
    .vgpr_spill_count: 0
    .wavefront_size: 32
    .workgroup_processor_mode: 1
  - .args:
      - .offset:         0
        .size:           120
        .value_kind:     by_value
    .group_segment_fixed_size: 0
    .kernarg_segment_align: 8
    .kernarg_segment_size: 120
    .language:       OpenCL C
    .language_version:
      - 2
      - 0
    .max_flat_workgroup_size: 256
    .name:           _ZN7rocprim17ROCPRIM_400000_NS6detail17trampoline_kernelINS0_14default_configENS1_29reduce_by_key_config_selectorIxjN6thrust23THRUST_200600_302600_NS4plusIjEEEEZZNS1_33reduce_by_key_impl_wrapped_configILNS1_25lookback_scan_determinismE0ES3_S9_NS6_6detail15normal_iteratorINS6_10device_ptrIxEEEENSD_INSE_IjEEEESG_SI_PmS8_NS6_8equal_toIxEEEE10hipError_tPvRmT2_T3_mT4_T5_T6_T7_T8_P12ihipStream_tbENKUlT_T0_E_clISt17integral_constantIbLb0EES13_EEDaSY_SZ_EUlSY_E_NS1_11comp_targetILNS1_3genE8ELNS1_11target_archE1030ELNS1_3gpuE2ELNS1_3repE0EEENS1_30default_config_static_selectorELNS0_4arch9wavefront6targetE0EEEvT1_
    .private_segment_fixed_size: 0
    .sgpr_count:     0
    .sgpr_spill_count: 0
    .symbol:         _ZN7rocprim17ROCPRIM_400000_NS6detail17trampoline_kernelINS0_14default_configENS1_29reduce_by_key_config_selectorIxjN6thrust23THRUST_200600_302600_NS4plusIjEEEEZZNS1_33reduce_by_key_impl_wrapped_configILNS1_25lookback_scan_determinismE0ES3_S9_NS6_6detail15normal_iteratorINS6_10device_ptrIxEEEENSD_INSE_IjEEEESG_SI_PmS8_NS6_8equal_toIxEEEE10hipError_tPvRmT2_T3_mT4_T5_T6_T7_T8_P12ihipStream_tbENKUlT_T0_E_clISt17integral_constantIbLb0EES13_EEDaSY_SZ_EUlSY_E_NS1_11comp_targetILNS1_3genE8ELNS1_11target_archE1030ELNS1_3gpuE2ELNS1_3repE0EEENS1_30default_config_static_selectorELNS0_4arch9wavefront6targetE0EEEvT1_.kd
    .uniform_work_group_size: 1
    .uses_dynamic_stack: false
    .vgpr_count:     0
    .vgpr_spill_count: 0
    .wavefront_size: 32
    .workgroup_processor_mode: 1
  - .args:
      - .offset:         0
        .size:           120
        .value_kind:     by_value
    .group_segment_fixed_size: 0
    .kernarg_segment_align: 8
    .kernarg_segment_size: 120
    .language:       OpenCL C
    .language_version:
      - 2
      - 0
    .max_flat_workgroup_size: 256
    .name:           _ZN7rocprim17ROCPRIM_400000_NS6detail17trampoline_kernelINS0_14default_configENS1_29reduce_by_key_config_selectorIxjN6thrust23THRUST_200600_302600_NS4plusIjEEEEZZNS1_33reduce_by_key_impl_wrapped_configILNS1_25lookback_scan_determinismE0ES3_S9_NS6_6detail15normal_iteratorINS6_10device_ptrIxEEEENSD_INSE_IjEEEESG_SI_PmS8_NS6_8equal_toIxEEEE10hipError_tPvRmT2_T3_mT4_T5_T6_T7_T8_P12ihipStream_tbENKUlT_T0_E_clISt17integral_constantIbLb1EES13_EEDaSY_SZ_EUlSY_E_NS1_11comp_targetILNS1_3genE0ELNS1_11target_archE4294967295ELNS1_3gpuE0ELNS1_3repE0EEENS1_30default_config_static_selectorELNS0_4arch9wavefront6targetE0EEEvT1_
    .private_segment_fixed_size: 0
    .sgpr_count:     0
    .sgpr_spill_count: 0
    .symbol:         _ZN7rocprim17ROCPRIM_400000_NS6detail17trampoline_kernelINS0_14default_configENS1_29reduce_by_key_config_selectorIxjN6thrust23THRUST_200600_302600_NS4plusIjEEEEZZNS1_33reduce_by_key_impl_wrapped_configILNS1_25lookback_scan_determinismE0ES3_S9_NS6_6detail15normal_iteratorINS6_10device_ptrIxEEEENSD_INSE_IjEEEESG_SI_PmS8_NS6_8equal_toIxEEEE10hipError_tPvRmT2_T3_mT4_T5_T6_T7_T8_P12ihipStream_tbENKUlT_T0_E_clISt17integral_constantIbLb1EES13_EEDaSY_SZ_EUlSY_E_NS1_11comp_targetILNS1_3genE0ELNS1_11target_archE4294967295ELNS1_3gpuE0ELNS1_3repE0EEENS1_30default_config_static_selectorELNS0_4arch9wavefront6targetE0EEEvT1_.kd
    .uniform_work_group_size: 1
    .uses_dynamic_stack: false
    .vgpr_count:     0
    .vgpr_spill_count: 0
    .wavefront_size: 32
    .workgroup_processor_mode: 1
  - .args:
      - .offset:         0
        .size:           120
        .value_kind:     by_value
    .group_segment_fixed_size: 0
    .kernarg_segment_align: 8
    .kernarg_segment_size: 120
    .language:       OpenCL C
    .language_version:
      - 2
      - 0
    .max_flat_workgroup_size: 256
    .name:           _ZN7rocprim17ROCPRIM_400000_NS6detail17trampoline_kernelINS0_14default_configENS1_29reduce_by_key_config_selectorIxjN6thrust23THRUST_200600_302600_NS4plusIjEEEEZZNS1_33reduce_by_key_impl_wrapped_configILNS1_25lookback_scan_determinismE0ES3_S9_NS6_6detail15normal_iteratorINS6_10device_ptrIxEEEENSD_INSE_IjEEEESG_SI_PmS8_NS6_8equal_toIxEEEE10hipError_tPvRmT2_T3_mT4_T5_T6_T7_T8_P12ihipStream_tbENKUlT_T0_E_clISt17integral_constantIbLb1EES13_EEDaSY_SZ_EUlSY_E_NS1_11comp_targetILNS1_3genE5ELNS1_11target_archE942ELNS1_3gpuE9ELNS1_3repE0EEENS1_30default_config_static_selectorELNS0_4arch9wavefront6targetE0EEEvT1_
    .private_segment_fixed_size: 0
    .sgpr_count:     0
    .sgpr_spill_count: 0
    .symbol:         _ZN7rocprim17ROCPRIM_400000_NS6detail17trampoline_kernelINS0_14default_configENS1_29reduce_by_key_config_selectorIxjN6thrust23THRUST_200600_302600_NS4plusIjEEEEZZNS1_33reduce_by_key_impl_wrapped_configILNS1_25lookback_scan_determinismE0ES3_S9_NS6_6detail15normal_iteratorINS6_10device_ptrIxEEEENSD_INSE_IjEEEESG_SI_PmS8_NS6_8equal_toIxEEEE10hipError_tPvRmT2_T3_mT4_T5_T6_T7_T8_P12ihipStream_tbENKUlT_T0_E_clISt17integral_constantIbLb1EES13_EEDaSY_SZ_EUlSY_E_NS1_11comp_targetILNS1_3genE5ELNS1_11target_archE942ELNS1_3gpuE9ELNS1_3repE0EEENS1_30default_config_static_selectorELNS0_4arch9wavefront6targetE0EEEvT1_.kd
    .uniform_work_group_size: 1
    .uses_dynamic_stack: false
    .vgpr_count:     0
    .vgpr_spill_count: 0
    .wavefront_size: 32
    .workgroup_processor_mode: 1
  - .args:
      - .offset:         0
        .size:           120
        .value_kind:     by_value
    .group_segment_fixed_size: 0
    .kernarg_segment_align: 8
    .kernarg_segment_size: 120
    .language:       OpenCL C
    .language_version:
      - 2
      - 0
    .max_flat_workgroup_size: 256
    .name:           _ZN7rocprim17ROCPRIM_400000_NS6detail17trampoline_kernelINS0_14default_configENS1_29reduce_by_key_config_selectorIxjN6thrust23THRUST_200600_302600_NS4plusIjEEEEZZNS1_33reduce_by_key_impl_wrapped_configILNS1_25lookback_scan_determinismE0ES3_S9_NS6_6detail15normal_iteratorINS6_10device_ptrIxEEEENSD_INSE_IjEEEESG_SI_PmS8_NS6_8equal_toIxEEEE10hipError_tPvRmT2_T3_mT4_T5_T6_T7_T8_P12ihipStream_tbENKUlT_T0_E_clISt17integral_constantIbLb1EES13_EEDaSY_SZ_EUlSY_E_NS1_11comp_targetILNS1_3genE4ELNS1_11target_archE910ELNS1_3gpuE8ELNS1_3repE0EEENS1_30default_config_static_selectorELNS0_4arch9wavefront6targetE0EEEvT1_
    .private_segment_fixed_size: 0
    .sgpr_count:     0
    .sgpr_spill_count: 0
    .symbol:         _ZN7rocprim17ROCPRIM_400000_NS6detail17trampoline_kernelINS0_14default_configENS1_29reduce_by_key_config_selectorIxjN6thrust23THRUST_200600_302600_NS4plusIjEEEEZZNS1_33reduce_by_key_impl_wrapped_configILNS1_25lookback_scan_determinismE0ES3_S9_NS6_6detail15normal_iteratorINS6_10device_ptrIxEEEENSD_INSE_IjEEEESG_SI_PmS8_NS6_8equal_toIxEEEE10hipError_tPvRmT2_T3_mT4_T5_T6_T7_T8_P12ihipStream_tbENKUlT_T0_E_clISt17integral_constantIbLb1EES13_EEDaSY_SZ_EUlSY_E_NS1_11comp_targetILNS1_3genE4ELNS1_11target_archE910ELNS1_3gpuE8ELNS1_3repE0EEENS1_30default_config_static_selectorELNS0_4arch9wavefront6targetE0EEEvT1_.kd
    .uniform_work_group_size: 1
    .uses_dynamic_stack: false
    .vgpr_count:     0
    .vgpr_spill_count: 0
    .wavefront_size: 32
    .workgroup_processor_mode: 1
  - .args:
      - .offset:         0
        .size:           120
        .value_kind:     by_value
    .group_segment_fixed_size: 0
    .kernarg_segment_align: 8
    .kernarg_segment_size: 120
    .language:       OpenCL C
    .language_version:
      - 2
      - 0
    .max_flat_workgroup_size: 256
    .name:           _ZN7rocprim17ROCPRIM_400000_NS6detail17trampoline_kernelINS0_14default_configENS1_29reduce_by_key_config_selectorIxjN6thrust23THRUST_200600_302600_NS4plusIjEEEEZZNS1_33reduce_by_key_impl_wrapped_configILNS1_25lookback_scan_determinismE0ES3_S9_NS6_6detail15normal_iteratorINS6_10device_ptrIxEEEENSD_INSE_IjEEEESG_SI_PmS8_NS6_8equal_toIxEEEE10hipError_tPvRmT2_T3_mT4_T5_T6_T7_T8_P12ihipStream_tbENKUlT_T0_E_clISt17integral_constantIbLb1EES13_EEDaSY_SZ_EUlSY_E_NS1_11comp_targetILNS1_3genE3ELNS1_11target_archE908ELNS1_3gpuE7ELNS1_3repE0EEENS1_30default_config_static_selectorELNS0_4arch9wavefront6targetE0EEEvT1_
    .private_segment_fixed_size: 0
    .sgpr_count:     0
    .sgpr_spill_count: 0
    .symbol:         _ZN7rocprim17ROCPRIM_400000_NS6detail17trampoline_kernelINS0_14default_configENS1_29reduce_by_key_config_selectorIxjN6thrust23THRUST_200600_302600_NS4plusIjEEEEZZNS1_33reduce_by_key_impl_wrapped_configILNS1_25lookback_scan_determinismE0ES3_S9_NS6_6detail15normal_iteratorINS6_10device_ptrIxEEEENSD_INSE_IjEEEESG_SI_PmS8_NS6_8equal_toIxEEEE10hipError_tPvRmT2_T3_mT4_T5_T6_T7_T8_P12ihipStream_tbENKUlT_T0_E_clISt17integral_constantIbLb1EES13_EEDaSY_SZ_EUlSY_E_NS1_11comp_targetILNS1_3genE3ELNS1_11target_archE908ELNS1_3gpuE7ELNS1_3repE0EEENS1_30default_config_static_selectorELNS0_4arch9wavefront6targetE0EEEvT1_.kd
    .uniform_work_group_size: 1
    .uses_dynamic_stack: false
    .vgpr_count:     0
    .vgpr_spill_count: 0
    .wavefront_size: 32
    .workgroup_processor_mode: 1
  - .args:
      - .offset:         0
        .size:           120
        .value_kind:     by_value
    .group_segment_fixed_size: 0
    .kernarg_segment_align: 8
    .kernarg_segment_size: 120
    .language:       OpenCL C
    .language_version:
      - 2
      - 0
    .max_flat_workgroup_size: 256
    .name:           _ZN7rocprim17ROCPRIM_400000_NS6detail17trampoline_kernelINS0_14default_configENS1_29reduce_by_key_config_selectorIxjN6thrust23THRUST_200600_302600_NS4plusIjEEEEZZNS1_33reduce_by_key_impl_wrapped_configILNS1_25lookback_scan_determinismE0ES3_S9_NS6_6detail15normal_iteratorINS6_10device_ptrIxEEEENSD_INSE_IjEEEESG_SI_PmS8_NS6_8equal_toIxEEEE10hipError_tPvRmT2_T3_mT4_T5_T6_T7_T8_P12ihipStream_tbENKUlT_T0_E_clISt17integral_constantIbLb1EES13_EEDaSY_SZ_EUlSY_E_NS1_11comp_targetILNS1_3genE2ELNS1_11target_archE906ELNS1_3gpuE6ELNS1_3repE0EEENS1_30default_config_static_selectorELNS0_4arch9wavefront6targetE0EEEvT1_
    .private_segment_fixed_size: 0
    .sgpr_count:     0
    .sgpr_spill_count: 0
    .symbol:         _ZN7rocprim17ROCPRIM_400000_NS6detail17trampoline_kernelINS0_14default_configENS1_29reduce_by_key_config_selectorIxjN6thrust23THRUST_200600_302600_NS4plusIjEEEEZZNS1_33reduce_by_key_impl_wrapped_configILNS1_25lookback_scan_determinismE0ES3_S9_NS6_6detail15normal_iteratorINS6_10device_ptrIxEEEENSD_INSE_IjEEEESG_SI_PmS8_NS6_8equal_toIxEEEE10hipError_tPvRmT2_T3_mT4_T5_T6_T7_T8_P12ihipStream_tbENKUlT_T0_E_clISt17integral_constantIbLb1EES13_EEDaSY_SZ_EUlSY_E_NS1_11comp_targetILNS1_3genE2ELNS1_11target_archE906ELNS1_3gpuE6ELNS1_3repE0EEENS1_30default_config_static_selectorELNS0_4arch9wavefront6targetE0EEEvT1_.kd
    .uniform_work_group_size: 1
    .uses_dynamic_stack: false
    .vgpr_count:     0
    .vgpr_spill_count: 0
    .wavefront_size: 32
    .workgroup_processor_mode: 1
  - .args:
      - .offset:         0
        .size:           120
        .value_kind:     by_value
    .group_segment_fixed_size: 0
    .kernarg_segment_align: 8
    .kernarg_segment_size: 120
    .language:       OpenCL C
    .language_version:
      - 2
      - 0
    .max_flat_workgroup_size: 256
    .name:           _ZN7rocprim17ROCPRIM_400000_NS6detail17trampoline_kernelINS0_14default_configENS1_29reduce_by_key_config_selectorIxjN6thrust23THRUST_200600_302600_NS4plusIjEEEEZZNS1_33reduce_by_key_impl_wrapped_configILNS1_25lookback_scan_determinismE0ES3_S9_NS6_6detail15normal_iteratorINS6_10device_ptrIxEEEENSD_INSE_IjEEEESG_SI_PmS8_NS6_8equal_toIxEEEE10hipError_tPvRmT2_T3_mT4_T5_T6_T7_T8_P12ihipStream_tbENKUlT_T0_E_clISt17integral_constantIbLb1EES13_EEDaSY_SZ_EUlSY_E_NS1_11comp_targetILNS1_3genE10ELNS1_11target_archE1201ELNS1_3gpuE5ELNS1_3repE0EEENS1_30default_config_static_selectorELNS0_4arch9wavefront6targetE0EEEvT1_
    .private_segment_fixed_size: 0
    .sgpr_count:     0
    .sgpr_spill_count: 0
    .symbol:         _ZN7rocprim17ROCPRIM_400000_NS6detail17trampoline_kernelINS0_14default_configENS1_29reduce_by_key_config_selectorIxjN6thrust23THRUST_200600_302600_NS4plusIjEEEEZZNS1_33reduce_by_key_impl_wrapped_configILNS1_25lookback_scan_determinismE0ES3_S9_NS6_6detail15normal_iteratorINS6_10device_ptrIxEEEENSD_INSE_IjEEEESG_SI_PmS8_NS6_8equal_toIxEEEE10hipError_tPvRmT2_T3_mT4_T5_T6_T7_T8_P12ihipStream_tbENKUlT_T0_E_clISt17integral_constantIbLb1EES13_EEDaSY_SZ_EUlSY_E_NS1_11comp_targetILNS1_3genE10ELNS1_11target_archE1201ELNS1_3gpuE5ELNS1_3repE0EEENS1_30default_config_static_selectorELNS0_4arch9wavefront6targetE0EEEvT1_.kd
    .uniform_work_group_size: 1
    .uses_dynamic_stack: false
    .vgpr_count:     0
    .vgpr_spill_count: 0
    .wavefront_size: 32
    .workgroup_processor_mode: 1
  - .args:
      - .offset:         0
        .size:           120
        .value_kind:     by_value
    .group_segment_fixed_size: 0
    .kernarg_segment_align: 8
    .kernarg_segment_size: 120
    .language:       OpenCL C
    .language_version:
      - 2
      - 0
    .max_flat_workgroup_size: 256
    .name:           _ZN7rocprim17ROCPRIM_400000_NS6detail17trampoline_kernelINS0_14default_configENS1_29reduce_by_key_config_selectorIxjN6thrust23THRUST_200600_302600_NS4plusIjEEEEZZNS1_33reduce_by_key_impl_wrapped_configILNS1_25lookback_scan_determinismE0ES3_S9_NS6_6detail15normal_iteratorINS6_10device_ptrIxEEEENSD_INSE_IjEEEESG_SI_PmS8_NS6_8equal_toIxEEEE10hipError_tPvRmT2_T3_mT4_T5_T6_T7_T8_P12ihipStream_tbENKUlT_T0_E_clISt17integral_constantIbLb1EES13_EEDaSY_SZ_EUlSY_E_NS1_11comp_targetILNS1_3genE10ELNS1_11target_archE1200ELNS1_3gpuE4ELNS1_3repE0EEENS1_30default_config_static_selectorELNS0_4arch9wavefront6targetE0EEEvT1_
    .private_segment_fixed_size: 0
    .sgpr_count:     0
    .sgpr_spill_count: 0
    .symbol:         _ZN7rocprim17ROCPRIM_400000_NS6detail17trampoline_kernelINS0_14default_configENS1_29reduce_by_key_config_selectorIxjN6thrust23THRUST_200600_302600_NS4plusIjEEEEZZNS1_33reduce_by_key_impl_wrapped_configILNS1_25lookback_scan_determinismE0ES3_S9_NS6_6detail15normal_iteratorINS6_10device_ptrIxEEEENSD_INSE_IjEEEESG_SI_PmS8_NS6_8equal_toIxEEEE10hipError_tPvRmT2_T3_mT4_T5_T6_T7_T8_P12ihipStream_tbENKUlT_T0_E_clISt17integral_constantIbLb1EES13_EEDaSY_SZ_EUlSY_E_NS1_11comp_targetILNS1_3genE10ELNS1_11target_archE1200ELNS1_3gpuE4ELNS1_3repE0EEENS1_30default_config_static_selectorELNS0_4arch9wavefront6targetE0EEEvT1_.kd
    .uniform_work_group_size: 1
    .uses_dynamic_stack: false
    .vgpr_count:     0
    .vgpr_spill_count: 0
    .wavefront_size: 32
    .workgroup_processor_mode: 1
  - .args:
      - .offset:         0
        .size:           120
        .value_kind:     by_value
    .group_segment_fixed_size: 30720
    .kernarg_segment_align: 8
    .kernarg_segment_size: 120
    .language:       OpenCL C
    .language_version:
      - 2
      - 0
    .max_flat_workgroup_size: 256
    .name:           _ZN7rocprim17ROCPRIM_400000_NS6detail17trampoline_kernelINS0_14default_configENS1_29reduce_by_key_config_selectorIxjN6thrust23THRUST_200600_302600_NS4plusIjEEEEZZNS1_33reduce_by_key_impl_wrapped_configILNS1_25lookback_scan_determinismE0ES3_S9_NS6_6detail15normal_iteratorINS6_10device_ptrIxEEEENSD_INSE_IjEEEESG_SI_PmS8_NS6_8equal_toIxEEEE10hipError_tPvRmT2_T3_mT4_T5_T6_T7_T8_P12ihipStream_tbENKUlT_T0_E_clISt17integral_constantIbLb1EES13_EEDaSY_SZ_EUlSY_E_NS1_11comp_targetILNS1_3genE9ELNS1_11target_archE1100ELNS1_3gpuE3ELNS1_3repE0EEENS1_30default_config_static_selectorELNS0_4arch9wavefront6targetE0EEEvT1_
    .private_segment_fixed_size: 0
    .sgpr_count:     51
    .sgpr_spill_count: 0
    .symbol:         _ZN7rocprim17ROCPRIM_400000_NS6detail17trampoline_kernelINS0_14default_configENS1_29reduce_by_key_config_selectorIxjN6thrust23THRUST_200600_302600_NS4plusIjEEEEZZNS1_33reduce_by_key_impl_wrapped_configILNS1_25lookback_scan_determinismE0ES3_S9_NS6_6detail15normal_iteratorINS6_10device_ptrIxEEEENSD_INSE_IjEEEESG_SI_PmS8_NS6_8equal_toIxEEEE10hipError_tPvRmT2_T3_mT4_T5_T6_T7_T8_P12ihipStream_tbENKUlT_T0_E_clISt17integral_constantIbLb1EES13_EEDaSY_SZ_EUlSY_E_NS1_11comp_targetILNS1_3genE9ELNS1_11target_archE1100ELNS1_3gpuE3ELNS1_3repE0EEENS1_30default_config_static_selectorELNS0_4arch9wavefront6targetE0EEEvT1_.kd
    .uniform_work_group_size: 1
    .uses_dynamic_stack: false
    .vgpr_count:     100
    .vgpr_spill_count: 0
    .wavefront_size: 32
    .workgroup_processor_mode: 1
  - .args:
      - .offset:         0
        .size:           120
        .value_kind:     by_value
    .group_segment_fixed_size: 0
    .kernarg_segment_align: 8
    .kernarg_segment_size: 120
    .language:       OpenCL C
    .language_version:
      - 2
      - 0
    .max_flat_workgroup_size: 256
    .name:           _ZN7rocprim17ROCPRIM_400000_NS6detail17trampoline_kernelINS0_14default_configENS1_29reduce_by_key_config_selectorIxjN6thrust23THRUST_200600_302600_NS4plusIjEEEEZZNS1_33reduce_by_key_impl_wrapped_configILNS1_25lookback_scan_determinismE0ES3_S9_NS6_6detail15normal_iteratorINS6_10device_ptrIxEEEENSD_INSE_IjEEEESG_SI_PmS8_NS6_8equal_toIxEEEE10hipError_tPvRmT2_T3_mT4_T5_T6_T7_T8_P12ihipStream_tbENKUlT_T0_E_clISt17integral_constantIbLb1EES13_EEDaSY_SZ_EUlSY_E_NS1_11comp_targetILNS1_3genE8ELNS1_11target_archE1030ELNS1_3gpuE2ELNS1_3repE0EEENS1_30default_config_static_selectorELNS0_4arch9wavefront6targetE0EEEvT1_
    .private_segment_fixed_size: 0
    .sgpr_count:     0
    .sgpr_spill_count: 0
    .symbol:         _ZN7rocprim17ROCPRIM_400000_NS6detail17trampoline_kernelINS0_14default_configENS1_29reduce_by_key_config_selectorIxjN6thrust23THRUST_200600_302600_NS4plusIjEEEEZZNS1_33reduce_by_key_impl_wrapped_configILNS1_25lookback_scan_determinismE0ES3_S9_NS6_6detail15normal_iteratorINS6_10device_ptrIxEEEENSD_INSE_IjEEEESG_SI_PmS8_NS6_8equal_toIxEEEE10hipError_tPvRmT2_T3_mT4_T5_T6_T7_T8_P12ihipStream_tbENKUlT_T0_E_clISt17integral_constantIbLb1EES13_EEDaSY_SZ_EUlSY_E_NS1_11comp_targetILNS1_3genE8ELNS1_11target_archE1030ELNS1_3gpuE2ELNS1_3repE0EEENS1_30default_config_static_selectorELNS0_4arch9wavefront6targetE0EEEvT1_.kd
    .uniform_work_group_size: 1
    .uses_dynamic_stack: false
    .vgpr_count:     0
    .vgpr_spill_count: 0
    .wavefront_size: 32
    .workgroup_processor_mode: 1
  - .args:
      - .offset:         0
        .size:           120
        .value_kind:     by_value
    .group_segment_fixed_size: 0
    .kernarg_segment_align: 8
    .kernarg_segment_size: 120
    .language:       OpenCL C
    .language_version:
      - 2
      - 0
    .max_flat_workgroup_size: 256
    .name:           _ZN7rocprim17ROCPRIM_400000_NS6detail17trampoline_kernelINS0_14default_configENS1_29reduce_by_key_config_selectorIxjN6thrust23THRUST_200600_302600_NS4plusIjEEEEZZNS1_33reduce_by_key_impl_wrapped_configILNS1_25lookback_scan_determinismE0ES3_S9_NS6_6detail15normal_iteratorINS6_10device_ptrIxEEEENSD_INSE_IjEEEESG_SI_PmS8_NS6_8equal_toIxEEEE10hipError_tPvRmT2_T3_mT4_T5_T6_T7_T8_P12ihipStream_tbENKUlT_T0_E_clISt17integral_constantIbLb1EES12_IbLb0EEEEDaSY_SZ_EUlSY_E_NS1_11comp_targetILNS1_3genE0ELNS1_11target_archE4294967295ELNS1_3gpuE0ELNS1_3repE0EEENS1_30default_config_static_selectorELNS0_4arch9wavefront6targetE0EEEvT1_
    .private_segment_fixed_size: 0
    .sgpr_count:     0
    .sgpr_spill_count: 0
    .symbol:         _ZN7rocprim17ROCPRIM_400000_NS6detail17trampoline_kernelINS0_14default_configENS1_29reduce_by_key_config_selectorIxjN6thrust23THRUST_200600_302600_NS4plusIjEEEEZZNS1_33reduce_by_key_impl_wrapped_configILNS1_25lookback_scan_determinismE0ES3_S9_NS6_6detail15normal_iteratorINS6_10device_ptrIxEEEENSD_INSE_IjEEEESG_SI_PmS8_NS6_8equal_toIxEEEE10hipError_tPvRmT2_T3_mT4_T5_T6_T7_T8_P12ihipStream_tbENKUlT_T0_E_clISt17integral_constantIbLb1EES12_IbLb0EEEEDaSY_SZ_EUlSY_E_NS1_11comp_targetILNS1_3genE0ELNS1_11target_archE4294967295ELNS1_3gpuE0ELNS1_3repE0EEENS1_30default_config_static_selectorELNS0_4arch9wavefront6targetE0EEEvT1_.kd
    .uniform_work_group_size: 1
    .uses_dynamic_stack: false
    .vgpr_count:     0
    .vgpr_spill_count: 0
    .wavefront_size: 32
    .workgroup_processor_mode: 1
  - .args:
      - .offset:         0
        .size:           120
        .value_kind:     by_value
    .group_segment_fixed_size: 0
    .kernarg_segment_align: 8
    .kernarg_segment_size: 120
    .language:       OpenCL C
    .language_version:
      - 2
      - 0
    .max_flat_workgroup_size: 256
    .name:           _ZN7rocprim17ROCPRIM_400000_NS6detail17trampoline_kernelINS0_14default_configENS1_29reduce_by_key_config_selectorIxjN6thrust23THRUST_200600_302600_NS4plusIjEEEEZZNS1_33reduce_by_key_impl_wrapped_configILNS1_25lookback_scan_determinismE0ES3_S9_NS6_6detail15normal_iteratorINS6_10device_ptrIxEEEENSD_INSE_IjEEEESG_SI_PmS8_NS6_8equal_toIxEEEE10hipError_tPvRmT2_T3_mT4_T5_T6_T7_T8_P12ihipStream_tbENKUlT_T0_E_clISt17integral_constantIbLb1EES12_IbLb0EEEEDaSY_SZ_EUlSY_E_NS1_11comp_targetILNS1_3genE5ELNS1_11target_archE942ELNS1_3gpuE9ELNS1_3repE0EEENS1_30default_config_static_selectorELNS0_4arch9wavefront6targetE0EEEvT1_
    .private_segment_fixed_size: 0
    .sgpr_count:     0
    .sgpr_spill_count: 0
    .symbol:         _ZN7rocprim17ROCPRIM_400000_NS6detail17trampoline_kernelINS0_14default_configENS1_29reduce_by_key_config_selectorIxjN6thrust23THRUST_200600_302600_NS4plusIjEEEEZZNS1_33reduce_by_key_impl_wrapped_configILNS1_25lookback_scan_determinismE0ES3_S9_NS6_6detail15normal_iteratorINS6_10device_ptrIxEEEENSD_INSE_IjEEEESG_SI_PmS8_NS6_8equal_toIxEEEE10hipError_tPvRmT2_T3_mT4_T5_T6_T7_T8_P12ihipStream_tbENKUlT_T0_E_clISt17integral_constantIbLb1EES12_IbLb0EEEEDaSY_SZ_EUlSY_E_NS1_11comp_targetILNS1_3genE5ELNS1_11target_archE942ELNS1_3gpuE9ELNS1_3repE0EEENS1_30default_config_static_selectorELNS0_4arch9wavefront6targetE0EEEvT1_.kd
    .uniform_work_group_size: 1
    .uses_dynamic_stack: false
    .vgpr_count:     0
    .vgpr_spill_count: 0
    .wavefront_size: 32
    .workgroup_processor_mode: 1
  - .args:
      - .offset:         0
        .size:           120
        .value_kind:     by_value
    .group_segment_fixed_size: 0
    .kernarg_segment_align: 8
    .kernarg_segment_size: 120
    .language:       OpenCL C
    .language_version:
      - 2
      - 0
    .max_flat_workgroup_size: 256
    .name:           _ZN7rocprim17ROCPRIM_400000_NS6detail17trampoline_kernelINS0_14default_configENS1_29reduce_by_key_config_selectorIxjN6thrust23THRUST_200600_302600_NS4plusIjEEEEZZNS1_33reduce_by_key_impl_wrapped_configILNS1_25lookback_scan_determinismE0ES3_S9_NS6_6detail15normal_iteratorINS6_10device_ptrIxEEEENSD_INSE_IjEEEESG_SI_PmS8_NS6_8equal_toIxEEEE10hipError_tPvRmT2_T3_mT4_T5_T6_T7_T8_P12ihipStream_tbENKUlT_T0_E_clISt17integral_constantIbLb1EES12_IbLb0EEEEDaSY_SZ_EUlSY_E_NS1_11comp_targetILNS1_3genE4ELNS1_11target_archE910ELNS1_3gpuE8ELNS1_3repE0EEENS1_30default_config_static_selectorELNS0_4arch9wavefront6targetE0EEEvT1_
    .private_segment_fixed_size: 0
    .sgpr_count:     0
    .sgpr_spill_count: 0
    .symbol:         _ZN7rocprim17ROCPRIM_400000_NS6detail17trampoline_kernelINS0_14default_configENS1_29reduce_by_key_config_selectorIxjN6thrust23THRUST_200600_302600_NS4plusIjEEEEZZNS1_33reduce_by_key_impl_wrapped_configILNS1_25lookback_scan_determinismE0ES3_S9_NS6_6detail15normal_iteratorINS6_10device_ptrIxEEEENSD_INSE_IjEEEESG_SI_PmS8_NS6_8equal_toIxEEEE10hipError_tPvRmT2_T3_mT4_T5_T6_T7_T8_P12ihipStream_tbENKUlT_T0_E_clISt17integral_constantIbLb1EES12_IbLb0EEEEDaSY_SZ_EUlSY_E_NS1_11comp_targetILNS1_3genE4ELNS1_11target_archE910ELNS1_3gpuE8ELNS1_3repE0EEENS1_30default_config_static_selectorELNS0_4arch9wavefront6targetE0EEEvT1_.kd
    .uniform_work_group_size: 1
    .uses_dynamic_stack: false
    .vgpr_count:     0
    .vgpr_spill_count: 0
    .wavefront_size: 32
    .workgroup_processor_mode: 1
  - .args:
      - .offset:         0
        .size:           120
        .value_kind:     by_value
    .group_segment_fixed_size: 0
    .kernarg_segment_align: 8
    .kernarg_segment_size: 120
    .language:       OpenCL C
    .language_version:
      - 2
      - 0
    .max_flat_workgroup_size: 256
    .name:           _ZN7rocprim17ROCPRIM_400000_NS6detail17trampoline_kernelINS0_14default_configENS1_29reduce_by_key_config_selectorIxjN6thrust23THRUST_200600_302600_NS4plusIjEEEEZZNS1_33reduce_by_key_impl_wrapped_configILNS1_25lookback_scan_determinismE0ES3_S9_NS6_6detail15normal_iteratorINS6_10device_ptrIxEEEENSD_INSE_IjEEEESG_SI_PmS8_NS6_8equal_toIxEEEE10hipError_tPvRmT2_T3_mT4_T5_T6_T7_T8_P12ihipStream_tbENKUlT_T0_E_clISt17integral_constantIbLb1EES12_IbLb0EEEEDaSY_SZ_EUlSY_E_NS1_11comp_targetILNS1_3genE3ELNS1_11target_archE908ELNS1_3gpuE7ELNS1_3repE0EEENS1_30default_config_static_selectorELNS0_4arch9wavefront6targetE0EEEvT1_
    .private_segment_fixed_size: 0
    .sgpr_count:     0
    .sgpr_spill_count: 0
    .symbol:         _ZN7rocprim17ROCPRIM_400000_NS6detail17trampoline_kernelINS0_14default_configENS1_29reduce_by_key_config_selectorIxjN6thrust23THRUST_200600_302600_NS4plusIjEEEEZZNS1_33reduce_by_key_impl_wrapped_configILNS1_25lookback_scan_determinismE0ES3_S9_NS6_6detail15normal_iteratorINS6_10device_ptrIxEEEENSD_INSE_IjEEEESG_SI_PmS8_NS6_8equal_toIxEEEE10hipError_tPvRmT2_T3_mT4_T5_T6_T7_T8_P12ihipStream_tbENKUlT_T0_E_clISt17integral_constantIbLb1EES12_IbLb0EEEEDaSY_SZ_EUlSY_E_NS1_11comp_targetILNS1_3genE3ELNS1_11target_archE908ELNS1_3gpuE7ELNS1_3repE0EEENS1_30default_config_static_selectorELNS0_4arch9wavefront6targetE0EEEvT1_.kd
    .uniform_work_group_size: 1
    .uses_dynamic_stack: false
    .vgpr_count:     0
    .vgpr_spill_count: 0
    .wavefront_size: 32
    .workgroup_processor_mode: 1
  - .args:
      - .offset:         0
        .size:           120
        .value_kind:     by_value
    .group_segment_fixed_size: 0
    .kernarg_segment_align: 8
    .kernarg_segment_size: 120
    .language:       OpenCL C
    .language_version:
      - 2
      - 0
    .max_flat_workgroup_size: 256
    .name:           _ZN7rocprim17ROCPRIM_400000_NS6detail17trampoline_kernelINS0_14default_configENS1_29reduce_by_key_config_selectorIxjN6thrust23THRUST_200600_302600_NS4plusIjEEEEZZNS1_33reduce_by_key_impl_wrapped_configILNS1_25lookback_scan_determinismE0ES3_S9_NS6_6detail15normal_iteratorINS6_10device_ptrIxEEEENSD_INSE_IjEEEESG_SI_PmS8_NS6_8equal_toIxEEEE10hipError_tPvRmT2_T3_mT4_T5_T6_T7_T8_P12ihipStream_tbENKUlT_T0_E_clISt17integral_constantIbLb1EES12_IbLb0EEEEDaSY_SZ_EUlSY_E_NS1_11comp_targetILNS1_3genE2ELNS1_11target_archE906ELNS1_3gpuE6ELNS1_3repE0EEENS1_30default_config_static_selectorELNS0_4arch9wavefront6targetE0EEEvT1_
    .private_segment_fixed_size: 0
    .sgpr_count:     0
    .sgpr_spill_count: 0
    .symbol:         _ZN7rocprim17ROCPRIM_400000_NS6detail17trampoline_kernelINS0_14default_configENS1_29reduce_by_key_config_selectorIxjN6thrust23THRUST_200600_302600_NS4plusIjEEEEZZNS1_33reduce_by_key_impl_wrapped_configILNS1_25lookback_scan_determinismE0ES3_S9_NS6_6detail15normal_iteratorINS6_10device_ptrIxEEEENSD_INSE_IjEEEESG_SI_PmS8_NS6_8equal_toIxEEEE10hipError_tPvRmT2_T3_mT4_T5_T6_T7_T8_P12ihipStream_tbENKUlT_T0_E_clISt17integral_constantIbLb1EES12_IbLb0EEEEDaSY_SZ_EUlSY_E_NS1_11comp_targetILNS1_3genE2ELNS1_11target_archE906ELNS1_3gpuE6ELNS1_3repE0EEENS1_30default_config_static_selectorELNS0_4arch9wavefront6targetE0EEEvT1_.kd
    .uniform_work_group_size: 1
    .uses_dynamic_stack: false
    .vgpr_count:     0
    .vgpr_spill_count: 0
    .wavefront_size: 32
    .workgroup_processor_mode: 1
  - .args:
      - .offset:         0
        .size:           120
        .value_kind:     by_value
    .group_segment_fixed_size: 0
    .kernarg_segment_align: 8
    .kernarg_segment_size: 120
    .language:       OpenCL C
    .language_version:
      - 2
      - 0
    .max_flat_workgroup_size: 256
    .name:           _ZN7rocprim17ROCPRIM_400000_NS6detail17trampoline_kernelINS0_14default_configENS1_29reduce_by_key_config_selectorIxjN6thrust23THRUST_200600_302600_NS4plusIjEEEEZZNS1_33reduce_by_key_impl_wrapped_configILNS1_25lookback_scan_determinismE0ES3_S9_NS6_6detail15normal_iteratorINS6_10device_ptrIxEEEENSD_INSE_IjEEEESG_SI_PmS8_NS6_8equal_toIxEEEE10hipError_tPvRmT2_T3_mT4_T5_T6_T7_T8_P12ihipStream_tbENKUlT_T0_E_clISt17integral_constantIbLb1EES12_IbLb0EEEEDaSY_SZ_EUlSY_E_NS1_11comp_targetILNS1_3genE10ELNS1_11target_archE1201ELNS1_3gpuE5ELNS1_3repE0EEENS1_30default_config_static_selectorELNS0_4arch9wavefront6targetE0EEEvT1_
    .private_segment_fixed_size: 0
    .sgpr_count:     0
    .sgpr_spill_count: 0
    .symbol:         _ZN7rocprim17ROCPRIM_400000_NS6detail17trampoline_kernelINS0_14default_configENS1_29reduce_by_key_config_selectorIxjN6thrust23THRUST_200600_302600_NS4plusIjEEEEZZNS1_33reduce_by_key_impl_wrapped_configILNS1_25lookback_scan_determinismE0ES3_S9_NS6_6detail15normal_iteratorINS6_10device_ptrIxEEEENSD_INSE_IjEEEESG_SI_PmS8_NS6_8equal_toIxEEEE10hipError_tPvRmT2_T3_mT4_T5_T6_T7_T8_P12ihipStream_tbENKUlT_T0_E_clISt17integral_constantIbLb1EES12_IbLb0EEEEDaSY_SZ_EUlSY_E_NS1_11comp_targetILNS1_3genE10ELNS1_11target_archE1201ELNS1_3gpuE5ELNS1_3repE0EEENS1_30default_config_static_selectorELNS0_4arch9wavefront6targetE0EEEvT1_.kd
    .uniform_work_group_size: 1
    .uses_dynamic_stack: false
    .vgpr_count:     0
    .vgpr_spill_count: 0
    .wavefront_size: 32
    .workgroup_processor_mode: 1
  - .args:
      - .offset:         0
        .size:           120
        .value_kind:     by_value
    .group_segment_fixed_size: 0
    .kernarg_segment_align: 8
    .kernarg_segment_size: 120
    .language:       OpenCL C
    .language_version:
      - 2
      - 0
    .max_flat_workgroup_size: 256
    .name:           _ZN7rocprim17ROCPRIM_400000_NS6detail17trampoline_kernelINS0_14default_configENS1_29reduce_by_key_config_selectorIxjN6thrust23THRUST_200600_302600_NS4plusIjEEEEZZNS1_33reduce_by_key_impl_wrapped_configILNS1_25lookback_scan_determinismE0ES3_S9_NS6_6detail15normal_iteratorINS6_10device_ptrIxEEEENSD_INSE_IjEEEESG_SI_PmS8_NS6_8equal_toIxEEEE10hipError_tPvRmT2_T3_mT4_T5_T6_T7_T8_P12ihipStream_tbENKUlT_T0_E_clISt17integral_constantIbLb1EES12_IbLb0EEEEDaSY_SZ_EUlSY_E_NS1_11comp_targetILNS1_3genE10ELNS1_11target_archE1200ELNS1_3gpuE4ELNS1_3repE0EEENS1_30default_config_static_selectorELNS0_4arch9wavefront6targetE0EEEvT1_
    .private_segment_fixed_size: 0
    .sgpr_count:     0
    .sgpr_spill_count: 0
    .symbol:         _ZN7rocprim17ROCPRIM_400000_NS6detail17trampoline_kernelINS0_14default_configENS1_29reduce_by_key_config_selectorIxjN6thrust23THRUST_200600_302600_NS4plusIjEEEEZZNS1_33reduce_by_key_impl_wrapped_configILNS1_25lookback_scan_determinismE0ES3_S9_NS6_6detail15normal_iteratorINS6_10device_ptrIxEEEENSD_INSE_IjEEEESG_SI_PmS8_NS6_8equal_toIxEEEE10hipError_tPvRmT2_T3_mT4_T5_T6_T7_T8_P12ihipStream_tbENKUlT_T0_E_clISt17integral_constantIbLb1EES12_IbLb0EEEEDaSY_SZ_EUlSY_E_NS1_11comp_targetILNS1_3genE10ELNS1_11target_archE1200ELNS1_3gpuE4ELNS1_3repE0EEENS1_30default_config_static_selectorELNS0_4arch9wavefront6targetE0EEEvT1_.kd
    .uniform_work_group_size: 1
    .uses_dynamic_stack: false
    .vgpr_count:     0
    .vgpr_spill_count: 0
    .wavefront_size: 32
    .workgroup_processor_mode: 1
  - .args:
      - .offset:         0
        .size:           120
        .value_kind:     by_value
    .group_segment_fixed_size: 30720
    .kernarg_segment_align: 8
    .kernarg_segment_size: 120
    .language:       OpenCL C
    .language_version:
      - 2
      - 0
    .max_flat_workgroup_size: 256
    .name:           _ZN7rocprim17ROCPRIM_400000_NS6detail17trampoline_kernelINS0_14default_configENS1_29reduce_by_key_config_selectorIxjN6thrust23THRUST_200600_302600_NS4plusIjEEEEZZNS1_33reduce_by_key_impl_wrapped_configILNS1_25lookback_scan_determinismE0ES3_S9_NS6_6detail15normal_iteratorINS6_10device_ptrIxEEEENSD_INSE_IjEEEESG_SI_PmS8_NS6_8equal_toIxEEEE10hipError_tPvRmT2_T3_mT4_T5_T6_T7_T8_P12ihipStream_tbENKUlT_T0_E_clISt17integral_constantIbLb1EES12_IbLb0EEEEDaSY_SZ_EUlSY_E_NS1_11comp_targetILNS1_3genE9ELNS1_11target_archE1100ELNS1_3gpuE3ELNS1_3repE0EEENS1_30default_config_static_selectorELNS0_4arch9wavefront6targetE0EEEvT1_
    .private_segment_fixed_size: 0
    .sgpr_count:     50
    .sgpr_spill_count: 0
    .symbol:         _ZN7rocprim17ROCPRIM_400000_NS6detail17trampoline_kernelINS0_14default_configENS1_29reduce_by_key_config_selectorIxjN6thrust23THRUST_200600_302600_NS4plusIjEEEEZZNS1_33reduce_by_key_impl_wrapped_configILNS1_25lookback_scan_determinismE0ES3_S9_NS6_6detail15normal_iteratorINS6_10device_ptrIxEEEENSD_INSE_IjEEEESG_SI_PmS8_NS6_8equal_toIxEEEE10hipError_tPvRmT2_T3_mT4_T5_T6_T7_T8_P12ihipStream_tbENKUlT_T0_E_clISt17integral_constantIbLb1EES12_IbLb0EEEEDaSY_SZ_EUlSY_E_NS1_11comp_targetILNS1_3genE9ELNS1_11target_archE1100ELNS1_3gpuE3ELNS1_3repE0EEENS1_30default_config_static_selectorELNS0_4arch9wavefront6targetE0EEEvT1_.kd
    .uniform_work_group_size: 1
    .uses_dynamic_stack: false
    .vgpr_count:     100
    .vgpr_spill_count: 0
    .wavefront_size: 32
    .workgroup_processor_mode: 1
  - .args:
      - .offset:         0
        .size:           120
        .value_kind:     by_value
    .group_segment_fixed_size: 0
    .kernarg_segment_align: 8
    .kernarg_segment_size: 120
    .language:       OpenCL C
    .language_version:
      - 2
      - 0
    .max_flat_workgroup_size: 256
    .name:           _ZN7rocprim17ROCPRIM_400000_NS6detail17trampoline_kernelINS0_14default_configENS1_29reduce_by_key_config_selectorIxjN6thrust23THRUST_200600_302600_NS4plusIjEEEEZZNS1_33reduce_by_key_impl_wrapped_configILNS1_25lookback_scan_determinismE0ES3_S9_NS6_6detail15normal_iteratorINS6_10device_ptrIxEEEENSD_INSE_IjEEEESG_SI_PmS8_NS6_8equal_toIxEEEE10hipError_tPvRmT2_T3_mT4_T5_T6_T7_T8_P12ihipStream_tbENKUlT_T0_E_clISt17integral_constantIbLb1EES12_IbLb0EEEEDaSY_SZ_EUlSY_E_NS1_11comp_targetILNS1_3genE8ELNS1_11target_archE1030ELNS1_3gpuE2ELNS1_3repE0EEENS1_30default_config_static_selectorELNS0_4arch9wavefront6targetE0EEEvT1_
    .private_segment_fixed_size: 0
    .sgpr_count:     0
    .sgpr_spill_count: 0
    .symbol:         _ZN7rocprim17ROCPRIM_400000_NS6detail17trampoline_kernelINS0_14default_configENS1_29reduce_by_key_config_selectorIxjN6thrust23THRUST_200600_302600_NS4plusIjEEEEZZNS1_33reduce_by_key_impl_wrapped_configILNS1_25lookback_scan_determinismE0ES3_S9_NS6_6detail15normal_iteratorINS6_10device_ptrIxEEEENSD_INSE_IjEEEESG_SI_PmS8_NS6_8equal_toIxEEEE10hipError_tPvRmT2_T3_mT4_T5_T6_T7_T8_P12ihipStream_tbENKUlT_T0_E_clISt17integral_constantIbLb1EES12_IbLb0EEEEDaSY_SZ_EUlSY_E_NS1_11comp_targetILNS1_3genE8ELNS1_11target_archE1030ELNS1_3gpuE2ELNS1_3repE0EEENS1_30default_config_static_selectorELNS0_4arch9wavefront6targetE0EEEvT1_.kd
    .uniform_work_group_size: 1
    .uses_dynamic_stack: false
    .vgpr_count:     0
    .vgpr_spill_count: 0
    .wavefront_size: 32
    .workgroup_processor_mode: 1
  - .args:
      - .offset:         0
        .size:           120
        .value_kind:     by_value
    .group_segment_fixed_size: 0
    .kernarg_segment_align: 8
    .kernarg_segment_size: 120
    .language:       OpenCL C
    .language_version:
      - 2
      - 0
    .max_flat_workgroup_size: 256
    .name:           _ZN7rocprim17ROCPRIM_400000_NS6detail17trampoline_kernelINS0_14default_configENS1_29reduce_by_key_config_selectorIxjN6thrust23THRUST_200600_302600_NS4plusIjEEEEZZNS1_33reduce_by_key_impl_wrapped_configILNS1_25lookback_scan_determinismE0ES3_S9_NS6_6detail15normal_iteratorINS6_10device_ptrIxEEEENSD_INSE_IjEEEESG_SI_PmS8_NS6_8equal_toIxEEEE10hipError_tPvRmT2_T3_mT4_T5_T6_T7_T8_P12ihipStream_tbENKUlT_T0_E_clISt17integral_constantIbLb0EES12_IbLb1EEEEDaSY_SZ_EUlSY_E_NS1_11comp_targetILNS1_3genE0ELNS1_11target_archE4294967295ELNS1_3gpuE0ELNS1_3repE0EEENS1_30default_config_static_selectorELNS0_4arch9wavefront6targetE0EEEvT1_
    .private_segment_fixed_size: 0
    .sgpr_count:     0
    .sgpr_spill_count: 0
    .symbol:         _ZN7rocprim17ROCPRIM_400000_NS6detail17trampoline_kernelINS0_14default_configENS1_29reduce_by_key_config_selectorIxjN6thrust23THRUST_200600_302600_NS4plusIjEEEEZZNS1_33reduce_by_key_impl_wrapped_configILNS1_25lookback_scan_determinismE0ES3_S9_NS6_6detail15normal_iteratorINS6_10device_ptrIxEEEENSD_INSE_IjEEEESG_SI_PmS8_NS6_8equal_toIxEEEE10hipError_tPvRmT2_T3_mT4_T5_T6_T7_T8_P12ihipStream_tbENKUlT_T0_E_clISt17integral_constantIbLb0EES12_IbLb1EEEEDaSY_SZ_EUlSY_E_NS1_11comp_targetILNS1_3genE0ELNS1_11target_archE4294967295ELNS1_3gpuE0ELNS1_3repE0EEENS1_30default_config_static_selectorELNS0_4arch9wavefront6targetE0EEEvT1_.kd
    .uniform_work_group_size: 1
    .uses_dynamic_stack: false
    .vgpr_count:     0
    .vgpr_spill_count: 0
    .wavefront_size: 32
    .workgroup_processor_mode: 1
  - .args:
      - .offset:         0
        .size:           120
        .value_kind:     by_value
    .group_segment_fixed_size: 0
    .kernarg_segment_align: 8
    .kernarg_segment_size: 120
    .language:       OpenCL C
    .language_version:
      - 2
      - 0
    .max_flat_workgroup_size: 256
    .name:           _ZN7rocprim17ROCPRIM_400000_NS6detail17trampoline_kernelINS0_14default_configENS1_29reduce_by_key_config_selectorIxjN6thrust23THRUST_200600_302600_NS4plusIjEEEEZZNS1_33reduce_by_key_impl_wrapped_configILNS1_25lookback_scan_determinismE0ES3_S9_NS6_6detail15normal_iteratorINS6_10device_ptrIxEEEENSD_INSE_IjEEEESG_SI_PmS8_NS6_8equal_toIxEEEE10hipError_tPvRmT2_T3_mT4_T5_T6_T7_T8_P12ihipStream_tbENKUlT_T0_E_clISt17integral_constantIbLb0EES12_IbLb1EEEEDaSY_SZ_EUlSY_E_NS1_11comp_targetILNS1_3genE5ELNS1_11target_archE942ELNS1_3gpuE9ELNS1_3repE0EEENS1_30default_config_static_selectorELNS0_4arch9wavefront6targetE0EEEvT1_
    .private_segment_fixed_size: 0
    .sgpr_count:     0
    .sgpr_spill_count: 0
    .symbol:         _ZN7rocprim17ROCPRIM_400000_NS6detail17trampoline_kernelINS0_14default_configENS1_29reduce_by_key_config_selectorIxjN6thrust23THRUST_200600_302600_NS4plusIjEEEEZZNS1_33reduce_by_key_impl_wrapped_configILNS1_25lookback_scan_determinismE0ES3_S9_NS6_6detail15normal_iteratorINS6_10device_ptrIxEEEENSD_INSE_IjEEEESG_SI_PmS8_NS6_8equal_toIxEEEE10hipError_tPvRmT2_T3_mT4_T5_T6_T7_T8_P12ihipStream_tbENKUlT_T0_E_clISt17integral_constantIbLb0EES12_IbLb1EEEEDaSY_SZ_EUlSY_E_NS1_11comp_targetILNS1_3genE5ELNS1_11target_archE942ELNS1_3gpuE9ELNS1_3repE0EEENS1_30default_config_static_selectorELNS0_4arch9wavefront6targetE0EEEvT1_.kd
    .uniform_work_group_size: 1
    .uses_dynamic_stack: false
    .vgpr_count:     0
    .vgpr_spill_count: 0
    .wavefront_size: 32
    .workgroup_processor_mode: 1
  - .args:
      - .offset:         0
        .size:           120
        .value_kind:     by_value
    .group_segment_fixed_size: 0
    .kernarg_segment_align: 8
    .kernarg_segment_size: 120
    .language:       OpenCL C
    .language_version:
      - 2
      - 0
    .max_flat_workgroup_size: 256
    .name:           _ZN7rocprim17ROCPRIM_400000_NS6detail17trampoline_kernelINS0_14default_configENS1_29reduce_by_key_config_selectorIxjN6thrust23THRUST_200600_302600_NS4plusIjEEEEZZNS1_33reduce_by_key_impl_wrapped_configILNS1_25lookback_scan_determinismE0ES3_S9_NS6_6detail15normal_iteratorINS6_10device_ptrIxEEEENSD_INSE_IjEEEESG_SI_PmS8_NS6_8equal_toIxEEEE10hipError_tPvRmT2_T3_mT4_T5_T6_T7_T8_P12ihipStream_tbENKUlT_T0_E_clISt17integral_constantIbLb0EES12_IbLb1EEEEDaSY_SZ_EUlSY_E_NS1_11comp_targetILNS1_3genE4ELNS1_11target_archE910ELNS1_3gpuE8ELNS1_3repE0EEENS1_30default_config_static_selectorELNS0_4arch9wavefront6targetE0EEEvT1_
    .private_segment_fixed_size: 0
    .sgpr_count:     0
    .sgpr_spill_count: 0
    .symbol:         _ZN7rocprim17ROCPRIM_400000_NS6detail17trampoline_kernelINS0_14default_configENS1_29reduce_by_key_config_selectorIxjN6thrust23THRUST_200600_302600_NS4plusIjEEEEZZNS1_33reduce_by_key_impl_wrapped_configILNS1_25lookback_scan_determinismE0ES3_S9_NS6_6detail15normal_iteratorINS6_10device_ptrIxEEEENSD_INSE_IjEEEESG_SI_PmS8_NS6_8equal_toIxEEEE10hipError_tPvRmT2_T3_mT4_T5_T6_T7_T8_P12ihipStream_tbENKUlT_T0_E_clISt17integral_constantIbLb0EES12_IbLb1EEEEDaSY_SZ_EUlSY_E_NS1_11comp_targetILNS1_3genE4ELNS1_11target_archE910ELNS1_3gpuE8ELNS1_3repE0EEENS1_30default_config_static_selectorELNS0_4arch9wavefront6targetE0EEEvT1_.kd
    .uniform_work_group_size: 1
    .uses_dynamic_stack: false
    .vgpr_count:     0
    .vgpr_spill_count: 0
    .wavefront_size: 32
    .workgroup_processor_mode: 1
  - .args:
      - .offset:         0
        .size:           120
        .value_kind:     by_value
    .group_segment_fixed_size: 0
    .kernarg_segment_align: 8
    .kernarg_segment_size: 120
    .language:       OpenCL C
    .language_version:
      - 2
      - 0
    .max_flat_workgroup_size: 256
    .name:           _ZN7rocprim17ROCPRIM_400000_NS6detail17trampoline_kernelINS0_14default_configENS1_29reduce_by_key_config_selectorIxjN6thrust23THRUST_200600_302600_NS4plusIjEEEEZZNS1_33reduce_by_key_impl_wrapped_configILNS1_25lookback_scan_determinismE0ES3_S9_NS6_6detail15normal_iteratorINS6_10device_ptrIxEEEENSD_INSE_IjEEEESG_SI_PmS8_NS6_8equal_toIxEEEE10hipError_tPvRmT2_T3_mT4_T5_T6_T7_T8_P12ihipStream_tbENKUlT_T0_E_clISt17integral_constantIbLb0EES12_IbLb1EEEEDaSY_SZ_EUlSY_E_NS1_11comp_targetILNS1_3genE3ELNS1_11target_archE908ELNS1_3gpuE7ELNS1_3repE0EEENS1_30default_config_static_selectorELNS0_4arch9wavefront6targetE0EEEvT1_
    .private_segment_fixed_size: 0
    .sgpr_count:     0
    .sgpr_spill_count: 0
    .symbol:         _ZN7rocprim17ROCPRIM_400000_NS6detail17trampoline_kernelINS0_14default_configENS1_29reduce_by_key_config_selectorIxjN6thrust23THRUST_200600_302600_NS4plusIjEEEEZZNS1_33reduce_by_key_impl_wrapped_configILNS1_25lookback_scan_determinismE0ES3_S9_NS6_6detail15normal_iteratorINS6_10device_ptrIxEEEENSD_INSE_IjEEEESG_SI_PmS8_NS6_8equal_toIxEEEE10hipError_tPvRmT2_T3_mT4_T5_T6_T7_T8_P12ihipStream_tbENKUlT_T0_E_clISt17integral_constantIbLb0EES12_IbLb1EEEEDaSY_SZ_EUlSY_E_NS1_11comp_targetILNS1_3genE3ELNS1_11target_archE908ELNS1_3gpuE7ELNS1_3repE0EEENS1_30default_config_static_selectorELNS0_4arch9wavefront6targetE0EEEvT1_.kd
    .uniform_work_group_size: 1
    .uses_dynamic_stack: false
    .vgpr_count:     0
    .vgpr_spill_count: 0
    .wavefront_size: 32
    .workgroup_processor_mode: 1
  - .args:
      - .offset:         0
        .size:           120
        .value_kind:     by_value
    .group_segment_fixed_size: 0
    .kernarg_segment_align: 8
    .kernarg_segment_size: 120
    .language:       OpenCL C
    .language_version:
      - 2
      - 0
    .max_flat_workgroup_size: 256
    .name:           _ZN7rocprim17ROCPRIM_400000_NS6detail17trampoline_kernelINS0_14default_configENS1_29reduce_by_key_config_selectorIxjN6thrust23THRUST_200600_302600_NS4plusIjEEEEZZNS1_33reduce_by_key_impl_wrapped_configILNS1_25lookback_scan_determinismE0ES3_S9_NS6_6detail15normal_iteratorINS6_10device_ptrIxEEEENSD_INSE_IjEEEESG_SI_PmS8_NS6_8equal_toIxEEEE10hipError_tPvRmT2_T3_mT4_T5_T6_T7_T8_P12ihipStream_tbENKUlT_T0_E_clISt17integral_constantIbLb0EES12_IbLb1EEEEDaSY_SZ_EUlSY_E_NS1_11comp_targetILNS1_3genE2ELNS1_11target_archE906ELNS1_3gpuE6ELNS1_3repE0EEENS1_30default_config_static_selectorELNS0_4arch9wavefront6targetE0EEEvT1_
    .private_segment_fixed_size: 0
    .sgpr_count:     0
    .sgpr_spill_count: 0
    .symbol:         _ZN7rocprim17ROCPRIM_400000_NS6detail17trampoline_kernelINS0_14default_configENS1_29reduce_by_key_config_selectorIxjN6thrust23THRUST_200600_302600_NS4plusIjEEEEZZNS1_33reduce_by_key_impl_wrapped_configILNS1_25lookback_scan_determinismE0ES3_S9_NS6_6detail15normal_iteratorINS6_10device_ptrIxEEEENSD_INSE_IjEEEESG_SI_PmS8_NS6_8equal_toIxEEEE10hipError_tPvRmT2_T3_mT4_T5_T6_T7_T8_P12ihipStream_tbENKUlT_T0_E_clISt17integral_constantIbLb0EES12_IbLb1EEEEDaSY_SZ_EUlSY_E_NS1_11comp_targetILNS1_3genE2ELNS1_11target_archE906ELNS1_3gpuE6ELNS1_3repE0EEENS1_30default_config_static_selectorELNS0_4arch9wavefront6targetE0EEEvT1_.kd
    .uniform_work_group_size: 1
    .uses_dynamic_stack: false
    .vgpr_count:     0
    .vgpr_spill_count: 0
    .wavefront_size: 32
    .workgroup_processor_mode: 1
  - .args:
      - .offset:         0
        .size:           120
        .value_kind:     by_value
    .group_segment_fixed_size: 0
    .kernarg_segment_align: 8
    .kernarg_segment_size: 120
    .language:       OpenCL C
    .language_version:
      - 2
      - 0
    .max_flat_workgroup_size: 256
    .name:           _ZN7rocprim17ROCPRIM_400000_NS6detail17trampoline_kernelINS0_14default_configENS1_29reduce_by_key_config_selectorIxjN6thrust23THRUST_200600_302600_NS4plusIjEEEEZZNS1_33reduce_by_key_impl_wrapped_configILNS1_25lookback_scan_determinismE0ES3_S9_NS6_6detail15normal_iteratorINS6_10device_ptrIxEEEENSD_INSE_IjEEEESG_SI_PmS8_NS6_8equal_toIxEEEE10hipError_tPvRmT2_T3_mT4_T5_T6_T7_T8_P12ihipStream_tbENKUlT_T0_E_clISt17integral_constantIbLb0EES12_IbLb1EEEEDaSY_SZ_EUlSY_E_NS1_11comp_targetILNS1_3genE10ELNS1_11target_archE1201ELNS1_3gpuE5ELNS1_3repE0EEENS1_30default_config_static_selectorELNS0_4arch9wavefront6targetE0EEEvT1_
    .private_segment_fixed_size: 0
    .sgpr_count:     0
    .sgpr_spill_count: 0
    .symbol:         _ZN7rocprim17ROCPRIM_400000_NS6detail17trampoline_kernelINS0_14default_configENS1_29reduce_by_key_config_selectorIxjN6thrust23THRUST_200600_302600_NS4plusIjEEEEZZNS1_33reduce_by_key_impl_wrapped_configILNS1_25lookback_scan_determinismE0ES3_S9_NS6_6detail15normal_iteratorINS6_10device_ptrIxEEEENSD_INSE_IjEEEESG_SI_PmS8_NS6_8equal_toIxEEEE10hipError_tPvRmT2_T3_mT4_T5_T6_T7_T8_P12ihipStream_tbENKUlT_T0_E_clISt17integral_constantIbLb0EES12_IbLb1EEEEDaSY_SZ_EUlSY_E_NS1_11comp_targetILNS1_3genE10ELNS1_11target_archE1201ELNS1_3gpuE5ELNS1_3repE0EEENS1_30default_config_static_selectorELNS0_4arch9wavefront6targetE0EEEvT1_.kd
    .uniform_work_group_size: 1
    .uses_dynamic_stack: false
    .vgpr_count:     0
    .vgpr_spill_count: 0
    .wavefront_size: 32
    .workgroup_processor_mode: 1
  - .args:
      - .offset:         0
        .size:           120
        .value_kind:     by_value
    .group_segment_fixed_size: 0
    .kernarg_segment_align: 8
    .kernarg_segment_size: 120
    .language:       OpenCL C
    .language_version:
      - 2
      - 0
    .max_flat_workgroup_size: 256
    .name:           _ZN7rocprim17ROCPRIM_400000_NS6detail17trampoline_kernelINS0_14default_configENS1_29reduce_by_key_config_selectorIxjN6thrust23THRUST_200600_302600_NS4plusIjEEEEZZNS1_33reduce_by_key_impl_wrapped_configILNS1_25lookback_scan_determinismE0ES3_S9_NS6_6detail15normal_iteratorINS6_10device_ptrIxEEEENSD_INSE_IjEEEESG_SI_PmS8_NS6_8equal_toIxEEEE10hipError_tPvRmT2_T3_mT4_T5_T6_T7_T8_P12ihipStream_tbENKUlT_T0_E_clISt17integral_constantIbLb0EES12_IbLb1EEEEDaSY_SZ_EUlSY_E_NS1_11comp_targetILNS1_3genE10ELNS1_11target_archE1200ELNS1_3gpuE4ELNS1_3repE0EEENS1_30default_config_static_selectorELNS0_4arch9wavefront6targetE0EEEvT1_
    .private_segment_fixed_size: 0
    .sgpr_count:     0
    .sgpr_spill_count: 0
    .symbol:         _ZN7rocprim17ROCPRIM_400000_NS6detail17trampoline_kernelINS0_14default_configENS1_29reduce_by_key_config_selectorIxjN6thrust23THRUST_200600_302600_NS4plusIjEEEEZZNS1_33reduce_by_key_impl_wrapped_configILNS1_25lookback_scan_determinismE0ES3_S9_NS6_6detail15normal_iteratorINS6_10device_ptrIxEEEENSD_INSE_IjEEEESG_SI_PmS8_NS6_8equal_toIxEEEE10hipError_tPvRmT2_T3_mT4_T5_T6_T7_T8_P12ihipStream_tbENKUlT_T0_E_clISt17integral_constantIbLb0EES12_IbLb1EEEEDaSY_SZ_EUlSY_E_NS1_11comp_targetILNS1_3genE10ELNS1_11target_archE1200ELNS1_3gpuE4ELNS1_3repE0EEENS1_30default_config_static_selectorELNS0_4arch9wavefront6targetE0EEEvT1_.kd
    .uniform_work_group_size: 1
    .uses_dynamic_stack: false
    .vgpr_count:     0
    .vgpr_spill_count: 0
    .wavefront_size: 32
    .workgroup_processor_mode: 1
  - .args:
      - .offset:         0
        .size:           120
        .value_kind:     by_value
    .group_segment_fixed_size: 30720
    .kernarg_segment_align: 8
    .kernarg_segment_size: 120
    .language:       OpenCL C
    .language_version:
      - 2
      - 0
    .max_flat_workgroup_size: 256
    .name:           _ZN7rocprim17ROCPRIM_400000_NS6detail17trampoline_kernelINS0_14default_configENS1_29reduce_by_key_config_selectorIxjN6thrust23THRUST_200600_302600_NS4plusIjEEEEZZNS1_33reduce_by_key_impl_wrapped_configILNS1_25lookback_scan_determinismE0ES3_S9_NS6_6detail15normal_iteratorINS6_10device_ptrIxEEEENSD_INSE_IjEEEESG_SI_PmS8_NS6_8equal_toIxEEEE10hipError_tPvRmT2_T3_mT4_T5_T6_T7_T8_P12ihipStream_tbENKUlT_T0_E_clISt17integral_constantIbLb0EES12_IbLb1EEEEDaSY_SZ_EUlSY_E_NS1_11comp_targetILNS1_3genE9ELNS1_11target_archE1100ELNS1_3gpuE3ELNS1_3repE0EEENS1_30default_config_static_selectorELNS0_4arch9wavefront6targetE0EEEvT1_
    .private_segment_fixed_size: 0
    .sgpr_count:     47
    .sgpr_spill_count: 0
    .symbol:         _ZN7rocprim17ROCPRIM_400000_NS6detail17trampoline_kernelINS0_14default_configENS1_29reduce_by_key_config_selectorIxjN6thrust23THRUST_200600_302600_NS4plusIjEEEEZZNS1_33reduce_by_key_impl_wrapped_configILNS1_25lookback_scan_determinismE0ES3_S9_NS6_6detail15normal_iteratorINS6_10device_ptrIxEEEENSD_INSE_IjEEEESG_SI_PmS8_NS6_8equal_toIxEEEE10hipError_tPvRmT2_T3_mT4_T5_T6_T7_T8_P12ihipStream_tbENKUlT_T0_E_clISt17integral_constantIbLb0EES12_IbLb1EEEEDaSY_SZ_EUlSY_E_NS1_11comp_targetILNS1_3genE9ELNS1_11target_archE1100ELNS1_3gpuE3ELNS1_3repE0EEENS1_30default_config_static_selectorELNS0_4arch9wavefront6targetE0EEEvT1_.kd
    .uniform_work_group_size: 1
    .uses_dynamic_stack: false
    .vgpr_count:     100
    .vgpr_spill_count: 0
    .wavefront_size: 32
    .workgroup_processor_mode: 1
  - .args:
      - .offset:         0
        .size:           120
        .value_kind:     by_value
    .group_segment_fixed_size: 0
    .kernarg_segment_align: 8
    .kernarg_segment_size: 120
    .language:       OpenCL C
    .language_version:
      - 2
      - 0
    .max_flat_workgroup_size: 256
    .name:           _ZN7rocprim17ROCPRIM_400000_NS6detail17trampoline_kernelINS0_14default_configENS1_29reduce_by_key_config_selectorIxjN6thrust23THRUST_200600_302600_NS4plusIjEEEEZZNS1_33reduce_by_key_impl_wrapped_configILNS1_25lookback_scan_determinismE0ES3_S9_NS6_6detail15normal_iteratorINS6_10device_ptrIxEEEENSD_INSE_IjEEEESG_SI_PmS8_NS6_8equal_toIxEEEE10hipError_tPvRmT2_T3_mT4_T5_T6_T7_T8_P12ihipStream_tbENKUlT_T0_E_clISt17integral_constantIbLb0EES12_IbLb1EEEEDaSY_SZ_EUlSY_E_NS1_11comp_targetILNS1_3genE8ELNS1_11target_archE1030ELNS1_3gpuE2ELNS1_3repE0EEENS1_30default_config_static_selectorELNS0_4arch9wavefront6targetE0EEEvT1_
    .private_segment_fixed_size: 0
    .sgpr_count:     0
    .sgpr_spill_count: 0
    .symbol:         _ZN7rocprim17ROCPRIM_400000_NS6detail17trampoline_kernelINS0_14default_configENS1_29reduce_by_key_config_selectorIxjN6thrust23THRUST_200600_302600_NS4plusIjEEEEZZNS1_33reduce_by_key_impl_wrapped_configILNS1_25lookback_scan_determinismE0ES3_S9_NS6_6detail15normal_iteratorINS6_10device_ptrIxEEEENSD_INSE_IjEEEESG_SI_PmS8_NS6_8equal_toIxEEEE10hipError_tPvRmT2_T3_mT4_T5_T6_T7_T8_P12ihipStream_tbENKUlT_T0_E_clISt17integral_constantIbLb0EES12_IbLb1EEEEDaSY_SZ_EUlSY_E_NS1_11comp_targetILNS1_3genE8ELNS1_11target_archE1030ELNS1_3gpuE2ELNS1_3repE0EEENS1_30default_config_static_selectorELNS0_4arch9wavefront6targetE0EEEvT1_.kd
    .uniform_work_group_size: 1
    .uses_dynamic_stack: false
    .vgpr_count:     0
    .vgpr_spill_count: 0
    .wavefront_size: 32
    .workgroup_processor_mode: 1
  - .args:
      - .offset:         0
        .size:           120
        .value_kind:     by_value
    .group_segment_fixed_size: 0
    .kernarg_segment_align: 8
    .kernarg_segment_size: 120
    .language:       OpenCL C
    .language_version:
      - 2
      - 0
    .max_flat_workgroup_size: 256
    .name:           _ZN7rocprim17ROCPRIM_400000_NS6detail17trampoline_kernelINS0_14default_configENS1_29reduce_by_key_config_selectorIijN6thrust23THRUST_200600_302600_NS4plusIjEEEEZZNS1_33reduce_by_key_impl_wrapped_configILNS1_25lookback_scan_determinismE0ES3_S9_NS6_6detail15normal_iteratorINS6_10device_ptrIiEEEENSD_INSE_IjEEEESG_SI_PmS8_NS6_8equal_toIiEEEE10hipError_tPvRmT2_T3_mT4_T5_T6_T7_T8_P12ihipStream_tbENKUlT_T0_E_clISt17integral_constantIbLb0EES13_EEDaSY_SZ_EUlSY_E_NS1_11comp_targetILNS1_3genE0ELNS1_11target_archE4294967295ELNS1_3gpuE0ELNS1_3repE0EEENS1_30default_config_static_selectorELNS0_4arch9wavefront6targetE0EEEvT1_
    .private_segment_fixed_size: 0
    .sgpr_count:     0
    .sgpr_spill_count: 0
    .symbol:         _ZN7rocprim17ROCPRIM_400000_NS6detail17trampoline_kernelINS0_14default_configENS1_29reduce_by_key_config_selectorIijN6thrust23THRUST_200600_302600_NS4plusIjEEEEZZNS1_33reduce_by_key_impl_wrapped_configILNS1_25lookback_scan_determinismE0ES3_S9_NS6_6detail15normal_iteratorINS6_10device_ptrIiEEEENSD_INSE_IjEEEESG_SI_PmS8_NS6_8equal_toIiEEEE10hipError_tPvRmT2_T3_mT4_T5_T6_T7_T8_P12ihipStream_tbENKUlT_T0_E_clISt17integral_constantIbLb0EES13_EEDaSY_SZ_EUlSY_E_NS1_11comp_targetILNS1_3genE0ELNS1_11target_archE4294967295ELNS1_3gpuE0ELNS1_3repE0EEENS1_30default_config_static_selectorELNS0_4arch9wavefront6targetE0EEEvT1_.kd
    .uniform_work_group_size: 1
    .uses_dynamic_stack: false
    .vgpr_count:     0
    .vgpr_spill_count: 0
    .wavefront_size: 32
    .workgroup_processor_mode: 1
  - .args:
      - .offset:         0
        .size:           120
        .value_kind:     by_value
    .group_segment_fixed_size: 0
    .kernarg_segment_align: 8
    .kernarg_segment_size: 120
    .language:       OpenCL C
    .language_version:
      - 2
      - 0
    .max_flat_workgroup_size: 256
    .name:           _ZN7rocprim17ROCPRIM_400000_NS6detail17trampoline_kernelINS0_14default_configENS1_29reduce_by_key_config_selectorIijN6thrust23THRUST_200600_302600_NS4plusIjEEEEZZNS1_33reduce_by_key_impl_wrapped_configILNS1_25lookback_scan_determinismE0ES3_S9_NS6_6detail15normal_iteratorINS6_10device_ptrIiEEEENSD_INSE_IjEEEESG_SI_PmS8_NS6_8equal_toIiEEEE10hipError_tPvRmT2_T3_mT4_T5_T6_T7_T8_P12ihipStream_tbENKUlT_T0_E_clISt17integral_constantIbLb0EES13_EEDaSY_SZ_EUlSY_E_NS1_11comp_targetILNS1_3genE5ELNS1_11target_archE942ELNS1_3gpuE9ELNS1_3repE0EEENS1_30default_config_static_selectorELNS0_4arch9wavefront6targetE0EEEvT1_
    .private_segment_fixed_size: 0
    .sgpr_count:     0
    .sgpr_spill_count: 0
    .symbol:         _ZN7rocprim17ROCPRIM_400000_NS6detail17trampoline_kernelINS0_14default_configENS1_29reduce_by_key_config_selectorIijN6thrust23THRUST_200600_302600_NS4plusIjEEEEZZNS1_33reduce_by_key_impl_wrapped_configILNS1_25lookback_scan_determinismE0ES3_S9_NS6_6detail15normal_iteratorINS6_10device_ptrIiEEEENSD_INSE_IjEEEESG_SI_PmS8_NS6_8equal_toIiEEEE10hipError_tPvRmT2_T3_mT4_T5_T6_T7_T8_P12ihipStream_tbENKUlT_T0_E_clISt17integral_constantIbLb0EES13_EEDaSY_SZ_EUlSY_E_NS1_11comp_targetILNS1_3genE5ELNS1_11target_archE942ELNS1_3gpuE9ELNS1_3repE0EEENS1_30default_config_static_selectorELNS0_4arch9wavefront6targetE0EEEvT1_.kd
    .uniform_work_group_size: 1
    .uses_dynamic_stack: false
    .vgpr_count:     0
    .vgpr_spill_count: 0
    .wavefront_size: 32
    .workgroup_processor_mode: 1
  - .args:
      - .offset:         0
        .size:           120
        .value_kind:     by_value
    .group_segment_fixed_size: 0
    .kernarg_segment_align: 8
    .kernarg_segment_size: 120
    .language:       OpenCL C
    .language_version:
      - 2
      - 0
    .max_flat_workgroup_size: 256
    .name:           _ZN7rocprim17ROCPRIM_400000_NS6detail17trampoline_kernelINS0_14default_configENS1_29reduce_by_key_config_selectorIijN6thrust23THRUST_200600_302600_NS4plusIjEEEEZZNS1_33reduce_by_key_impl_wrapped_configILNS1_25lookback_scan_determinismE0ES3_S9_NS6_6detail15normal_iteratorINS6_10device_ptrIiEEEENSD_INSE_IjEEEESG_SI_PmS8_NS6_8equal_toIiEEEE10hipError_tPvRmT2_T3_mT4_T5_T6_T7_T8_P12ihipStream_tbENKUlT_T0_E_clISt17integral_constantIbLb0EES13_EEDaSY_SZ_EUlSY_E_NS1_11comp_targetILNS1_3genE4ELNS1_11target_archE910ELNS1_3gpuE8ELNS1_3repE0EEENS1_30default_config_static_selectorELNS0_4arch9wavefront6targetE0EEEvT1_
    .private_segment_fixed_size: 0
    .sgpr_count:     0
    .sgpr_spill_count: 0
    .symbol:         _ZN7rocprim17ROCPRIM_400000_NS6detail17trampoline_kernelINS0_14default_configENS1_29reduce_by_key_config_selectorIijN6thrust23THRUST_200600_302600_NS4plusIjEEEEZZNS1_33reduce_by_key_impl_wrapped_configILNS1_25lookback_scan_determinismE0ES3_S9_NS6_6detail15normal_iteratorINS6_10device_ptrIiEEEENSD_INSE_IjEEEESG_SI_PmS8_NS6_8equal_toIiEEEE10hipError_tPvRmT2_T3_mT4_T5_T6_T7_T8_P12ihipStream_tbENKUlT_T0_E_clISt17integral_constantIbLb0EES13_EEDaSY_SZ_EUlSY_E_NS1_11comp_targetILNS1_3genE4ELNS1_11target_archE910ELNS1_3gpuE8ELNS1_3repE0EEENS1_30default_config_static_selectorELNS0_4arch9wavefront6targetE0EEEvT1_.kd
    .uniform_work_group_size: 1
    .uses_dynamic_stack: false
    .vgpr_count:     0
    .vgpr_spill_count: 0
    .wavefront_size: 32
    .workgroup_processor_mode: 1
  - .args:
      - .offset:         0
        .size:           120
        .value_kind:     by_value
    .group_segment_fixed_size: 0
    .kernarg_segment_align: 8
    .kernarg_segment_size: 120
    .language:       OpenCL C
    .language_version:
      - 2
      - 0
    .max_flat_workgroup_size: 256
    .name:           _ZN7rocprim17ROCPRIM_400000_NS6detail17trampoline_kernelINS0_14default_configENS1_29reduce_by_key_config_selectorIijN6thrust23THRUST_200600_302600_NS4plusIjEEEEZZNS1_33reduce_by_key_impl_wrapped_configILNS1_25lookback_scan_determinismE0ES3_S9_NS6_6detail15normal_iteratorINS6_10device_ptrIiEEEENSD_INSE_IjEEEESG_SI_PmS8_NS6_8equal_toIiEEEE10hipError_tPvRmT2_T3_mT4_T5_T6_T7_T8_P12ihipStream_tbENKUlT_T0_E_clISt17integral_constantIbLb0EES13_EEDaSY_SZ_EUlSY_E_NS1_11comp_targetILNS1_3genE3ELNS1_11target_archE908ELNS1_3gpuE7ELNS1_3repE0EEENS1_30default_config_static_selectorELNS0_4arch9wavefront6targetE0EEEvT1_
    .private_segment_fixed_size: 0
    .sgpr_count:     0
    .sgpr_spill_count: 0
    .symbol:         _ZN7rocprim17ROCPRIM_400000_NS6detail17trampoline_kernelINS0_14default_configENS1_29reduce_by_key_config_selectorIijN6thrust23THRUST_200600_302600_NS4plusIjEEEEZZNS1_33reduce_by_key_impl_wrapped_configILNS1_25lookback_scan_determinismE0ES3_S9_NS6_6detail15normal_iteratorINS6_10device_ptrIiEEEENSD_INSE_IjEEEESG_SI_PmS8_NS6_8equal_toIiEEEE10hipError_tPvRmT2_T3_mT4_T5_T6_T7_T8_P12ihipStream_tbENKUlT_T0_E_clISt17integral_constantIbLb0EES13_EEDaSY_SZ_EUlSY_E_NS1_11comp_targetILNS1_3genE3ELNS1_11target_archE908ELNS1_3gpuE7ELNS1_3repE0EEENS1_30default_config_static_selectorELNS0_4arch9wavefront6targetE0EEEvT1_.kd
    .uniform_work_group_size: 1
    .uses_dynamic_stack: false
    .vgpr_count:     0
    .vgpr_spill_count: 0
    .wavefront_size: 32
    .workgroup_processor_mode: 1
  - .args:
      - .offset:         0
        .size:           120
        .value_kind:     by_value
    .group_segment_fixed_size: 0
    .kernarg_segment_align: 8
    .kernarg_segment_size: 120
    .language:       OpenCL C
    .language_version:
      - 2
      - 0
    .max_flat_workgroup_size: 256
    .name:           _ZN7rocprim17ROCPRIM_400000_NS6detail17trampoline_kernelINS0_14default_configENS1_29reduce_by_key_config_selectorIijN6thrust23THRUST_200600_302600_NS4plusIjEEEEZZNS1_33reduce_by_key_impl_wrapped_configILNS1_25lookback_scan_determinismE0ES3_S9_NS6_6detail15normal_iteratorINS6_10device_ptrIiEEEENSD_INSE_IjEEEESG_SI_PmS8_NS6_8equal_toIiEEEE10hipError_tPvRmT2_T3_mT4_T5_T6_T7_T8_P12ihipStream_tbENKUlT_T0_E_clISt17integral_constantIbLb0EES13_EEDaSY_SZ_EUlSY_E_NS1_11comp_targetILNS1_3genE2ELNS1_11target_archE906ELNS1_3gpuE6ELNS1_3repE0EEENS1_30default_config_static_selectorELNS0_4arch9wavefront6targetE0EEEvT1_
    .private_segment_fixed_size: 0
    .sgpr_count:     0
    .sgpr_spill_count: 0
    .symbol:         _ZN7rocprim17ROCPRIM_400000_NS6detail17trampoline_kernelINS0_14default_configENS1_29reduce_by_key_config_selectorIijN6thrust23THRUST_200600_302600_NS4plusIjEEEEZZNS1_33reduce_by_key_impl_wrapped_configILNS1_25lookback_scan_determinismE0ES3_S9_NS6_6detail15normal_iteratorINS6_10device_ptrIiEEEENSD_INSE_IjEEEESG_SI_PmS8_NS6_8equal_toIiEEEE10hipError_tPvRmT2_T3_mT4_T5_T6_T7_T8_P12ihipStream_tbENKUlT_T0_E_clISt17integral_constantIbLb0EES13_EEDaSY_SZ_EUlSY_E_NS1_11comp_targetILNS1_3genE2ELNS1_11target_archE906ELNS1_3gpuE6ELNS1_3repE0EEENS1_30default_config_static_selectorELNS0_4arch9wavefront6targetE0EEEvT1_.kd
    .uniform_work_group_size: 1
    .uses_dynamic_stack: false
    .vgpr_count:     0
    .vgpr_spill_count: 0
    .wavefront_size: 32
    .workgroup_processor_mode: 1
  - .args:
      - .offset:         0
        .size:           120
        .value_kind:     by_value
    .group_segment_fixed_size: 0
    .kernarg_segment_align: 8
    .kernarg_segment_size: 120
    .language:       OpenCL C
    .language_version:
      - 2
      - 0
    .max_flat_workgroup_size: 256
    .name:           _ZN7rocprim17ROCPRIM_400000_NS6detail17trampoline_kernelINS0_14default_configENS1_29reduce_by_key_config_selectorIijN6thrust23THRUST_200600_302600_NS4plusIjEEEEZZNS1_33reduce_by_key_impl_wrapped_configILNS1_25lookback_scan_determinismE0ES3_S9_NS6_6detail15normal_iteratorINS6_10device_ptrIiEEEENSD_INSE_IjEEEESG_SI_PmS8_NS6_8equal_toIiEEEE10hipError_tPvRmT2_T3_mT4_T5_T6_T7_T8_P12ihipStream_tbENKUlT_T0_E_clISt17integral_constantIbLb0EES13_EEDaSY_SZ_EUlSY_E_NS1_11comp_targetILNS1_3genE10ELNS1_11target_archE1201ELNS1_3gpuE5ELNS1_3repE0EEENS1_30default_config_static_selectorELNS0_4arch9wavefront6targetE0EEEvT1_
    .private_segment_fixed_size: 0
    .sgpr_count:     0
    .sgpr_spill_count: 0
    .symbol:         _ZN7rocprim17ROCPRIM_400000_NS6detail17trampoline_kernelINS0_14default_configENS1_29reduce_by_key_config_selectorIijN6thrust23THRUST_200600_302600_NS4plusIjEEEEZZNS1_33reduce_by_key_impl_wrapped_configILNS1_25lookback_scan_determinismE0ES3_S9_NS6_6detail15normal_iteratorINS6_10device_ptrIiEEEENSD_INSE_IjEEEESG_SI_PmS8_NS6_8equal_toIiEEEE10hipError_tPvRmT2_T3_mT4_T5_T6_T7_T8_P12ihipStream_tbENKUlT_T0_E_clISt17integral_constantIbLb0EES13_EEDaSY_SZ_EUlSY_E_NS1_11comp_targetILNS1_3genE10ELNS1_11target_archE1201ELNS1_3gpuE5ELNS1_3repE0EEENS1_30default_config_static_selectorELNS0_4arch9wavefront6targetE0EEEvT1_.kd
    .uniform_work_group_size: 1
    .uses_dynamic_stack: false
    .vgpr_count:     0
    .vgpr_spill_count: 0
    .wavefront_size: 32
    .workgroup_processor_mode: 1
  - .args:
      - .offset:         0
        .size:           120
        .value_kind:     by_value
    .group_segment_fixed_size: 0
    .kernarg_segment_align: 8
    .kernarg_segment_size: 120
    .language:       OpenCL C
    .language_version:
      - 2
      - 0
    .max_flat_workgroup_size: 256
    .name:           _ZN7rocprim17ROCPRIM_400000_NS6detail17trampoline_kernelINS0_14default_configENS1_29reduce_by_key_config_selectorIijN6thrust23THRUST_200600_302600_NS4plusIjEEEEZZNS1_33reduce_by_key_impl_wrapped_configILNS1_25lookback_scan_determinismE0ES3_S9_NS6_6detail15normal_iteratorINS6_10device_ptrIiEEEENSD_INSE_IjEEEESG_SI_PmS8_NS6_8equal_toIiEEEE10hipError_tPvRmT2_T3_mT4_T5_T6_T7_T8_P12ihipStream_tbENKUlT_T0_E_clISt17integral_constantIbLb0EES13_EEDaSY_SZ_EUlSY_E_NS1_11comp_targetILNS1_3genE10ELNS1_11target_archE1200ELNS1_3gpuE4ELNS1_3repE0EEENS1_30default_config_static_selectorELNS0_4arch9wavefront6targetE0EEEvT1_
    .private_segment_fixed_size: 0
    .sgpr_count:     0
    .sgpr_spill_count: 0
    .symbol:         _ZN7rocprim17ROCPRIM_400000_NS6detail17trampoline_kernelINS0_14default_configENS1_29reduce_by_key_config_selectorIijN6thrust23THRUST_200600_302600_NS4plusIjEEEEZZNS1_33reduce_by_key_impl_wrapped_configILNS1_25lookback_scan_determinismE0ES3_S9_NS6_6detail15normal_iteratorINS6_10device_ptrIiEEEENSD_INSE_IjEEEESG_SI_PmS8_NS6_8equal_toIiEEEE10hipError_tPvRmT2_T3_mT4_T5_T6_T7_T8_P12ihipStream_tbENKUlT_T0_E_clISt17integral_constantIbLb0EES13_EEDaSY_SZ_EUlSY_E_NS1_11comp_targetILNS1_3genE10ELNS1_11target_archE1200ELNS1_3gpuE4ELNS1_3repE0EEENS1_30default_config_static_selectorELNS0_4arch9wavefront6targetE0EEEvT1_.kd
    .uniform_work_group_size: 1
    .uses_dynamic_stack: false
    .vgpr_count:     0
    .vgpr_spill_count: 0
    .wavefront_size: 32
    .workgroup_processor_mode: 1
  - .args:
      - .offset:         0
        .size:           120
        .value_kind:     by_value
    .group_segment_fixed_size: 15360
    .kernarg_segment_align: 8
    .kernarg_segment_size: 120
    .language:       OpenCL C
    .language_version:
      - 2
      - 0
    .max_flat_workgroup_size: 256
    .name:           _ZN7rocprim17ROCPRIM_400000_NS6detail17trampoline_kernelINS0_14default_configENS1_29reduce_by_key_config_selectorIijN6thrust23THRUST_200600_302600_NS4plusIjEEEEZZNS1_33reduce_by_key_impl_wrapped_configILNS1_25lookback_scan_determinismE0ES3_S9_NS6_6detail15normal_iteratorINS6_10device_ptrIiEEEENSD_INSE_IjEEEESG_SI_PmS8_NS6_8equal_toIiEEEE10hipError_tPvRmT2_T3_mT4_T5_T6_T7_T8_P12ihipStream_tbENKUlT_T0_E_clISt17integral_constantIbLb0EES13_EEDaSY_SZ_EUlSY_E_NS1_11comp_targetILNS1_3genE9ELNS1_11target_archE1100ELNS1_3gpuE3ELNS1_3repE0EEENS1_30default_config_static_selectorELNS0_4arch9wavefront6targetE0EEEvT1_
    .private_segment_fixed_size: 0
    .sgpr_count:     48
    .sgpr_spill_count: 0
    .symbol:         _ZN7rocprim17ROCPRIM_400000_NS6detail17trampoline_kernelINS0_14default_configENS1_29reduce_by_key_config_selectorIijN6thrust23THRUST_200600_302600_NS4plusIjEEEEZZNS1_33reduce_by_key_impl_wrapped_configILNS1_25lookback_scan_determinismE0ES3_S9_NS6_6detail15normal_iteratorINS6_10device_ptrIiEEEENSD_INSE_IjEEEESG_SI_PmS8_NS6_8equal_toIiEEEE10hipError_tPvRmT2_T3_mT4_T5_T6_T7_T8_P12ihipStream_tbENKUlT_T0_E_clISt17integral_constantIbLb0EES13_EEDaSY_SZ_EUlSY_E_NS1_11comp_targetILNS1_3genE9ELNS1_11target_archE1100ELNS1_3gpuE3ELNS1_3repE0EEENS1_30default_config_static_selectorELNS0_4arch9wavefront6targetE0EEEvT1_.kd
    .uniform_work_group_size: 1
    .uses_dynamic_stack: false
    .vgpr_count:     87
    .vgpr_spill_count: 0
    .wavefront_size: 32
    .workgroup_processor_mode: 1
  - .args:
      - .offset:         0
        .size:           120
        .value_kind:     by_value
    .group_segment_fixed_size: 0
    .kernarg_segment_align: 8
    .kernarg_segment_size: 120
    .language:       OpenCL C
    .language_version:
      - 2
      - 0
    .max_flat_workgroup_size: 256
    .name:           _ZN7rocprim17ROCPRIM_400000_NS6detail17trampoline_kernelINS0_14default_configENS1_29reduce_by_key_config_selectorIijN6thrust23THRUST_200600_302600_NS4plusIjEEEEZZNS1_33reduce_by_key_impl_wrapped_configILNS1_25lookback_scan_determinismE0ES3_S9_NS6_6detail15normal_iteratorINS6_10device_ptrIiEEEENSD_INSE_IjEEEESG_SI_PmS8_NS6_8equal_toIiEEEE10hipError_tPvRmT2_T3_mT4_T5_T6_T7_T8_P12ihipStream_tbENKUlT_T0_E_clISt17integral_constantIbLb0EES13_EEDaSY_SZ_EUlSY_E_NS1_11comp_targetILNS1_3genE8ELNS1_11target_archE1030ELNS1_3gpuE2ELNS1_3repE0EEENS1_30default_config_static_selectorELNS0_4arch9wavefront6targetE0EEEvT1_
    .private_segment_fixed_size: 0
    .sgpr_count:     0
    .sgpr_spill_count: 0
    .symbol:         _ZN7rocprim17ROCPRIM_400000_NS6detail17trampoline_kernelINS0_14default_configENS1_29reduce_by_key_config_selectorIijN6thrust23THRUST_200600_302600_NS4plusIjEEEEZZNS1_33reduce_by_key_impl_wrapped_configILNS1_25lookback_scan_determinismE0ES3_S9_NS6_6detail15normal_iteratorINS6_10device_ptrIiEEEENSD_INSE_IjEEEESG_SI_PmS8_NS6_8equal_toIiEEEE10hipError_tPvRmT2_T3_mT4_T5_T6_T7_T8_P12ihipStream_tbENKUlT_T0_E_clISt17integral_constantIbLb0EES13_EEDaSY_SZ_EUlSY_E_NS1_11comp_targetILNS1_3genE8ELNS1_11target_archE1030ELNS1_3gpuE2ELNS1_3repE0EEENS1_30default_config_static_selectorELNS0_4arch9wavefront6targetE0EEEvT1_.kd
    .uniform_work_group_size: 1
    .uses_dynamic_stack: false
    .vgpr_count:     0
    .vgpr_spill_count: 0
    .wavefront_size: 32
    .workgroup_processor_mode: 1
  - .args:
      - .offset:         0
        .size:           120
        .value_kind:     by_value
    .group_segment_fixed_size: 0
    .kernarg_segment_align: 8
    .kernarg_segment_size: 120
    .language:       OpenCL C
    .language_version:
      - 2
      - 0
    .max_flat_workgroup_size: 256
    .name:           _ZN7rocprim17ROCPRIM_400000_NS6detail17trampoline_kernelINS0_14default_configENS1_29reduce_by_key_config_selectorIijN6thrust23THRUST_200600_302600_NS4plusIjEEEEZZNS1_33reduce_by_key_impl_wrapped_configILNS1_25lookback_scan_determinismE0ES3_S9_NS6_6detail15normal_iteratorINS6_10device_ptrIiEEEENSD_INSE_IjEEEESG_SI_PmS8_NS6_8equal_toIiEEEE10hipError_tPvRmT2_T3_mT4_T5_T6_T7_T8_P12ihipStream_tbENKUlT_T0_E_clISt17integral_constantIbLb1EES13_EEDaSY_SZ_EUlSY_E_NS1_11comp_targetILNS1_3genE0ELNS1_11target_archE4294967295ELNS1_3gpuE0ELNS1_3repE0EEENS1_30default_config_static_selectorELNS0_4arch9wavefront6targetE0EEEvT1_
    .private_segment_fixed_size: 0
    .sgpr_count:     0
    .sgpr_spill_count: 0
    .symbol:         _ZN7rocprim17ROCPRIM_400000_NS6detail17trampoline_kernelINS0_14default_configENS1_29reduce_by_key_config_selectorIijN6thrust23THRUST_200600_302600_NS4plusIjEEEEZZNS1_33reduce_by_key_impl_wrapped_configILNS1_25lookback_scan_determinismE0ES3_S9_NS6_6detail15normal_iteratorINS6_10device_ptrIiEEEENSD_INSE_IjEEEESG_SI_PmS8_NS6_8equal_toIiEEEE10hipError_tPvRmT2_T3_mT4_T5_T6_T7_T8_P12ihipStream_tbENKUlT_T0_E_clISt17integral_constantIbLb1EES13_EEDaSY_SZ_EUlSY_E_NS1_11comp_targetILNS1_3genE0ELNS1_11target_archE4294967295ELNS1_3gpuE0ELNS1_3repE0EEENS1_30default_config_static_selectorELNS0_4arch9wavefront6targetE0EEEvT1_.kd
    .uniform_work_group_size: 1
    .uses_dynamic_stack: false
    .vgpr_count:     0
    .vgpr_spill_count: 0
    .wavefront_size: 32
    .workgroup_processor_mode: 1
  - .args:
      - .offset:         0
        .size:           120
        .value_kind:     by_value
    .group_segment_fixed_size: 0
    .kernarg_segment_align: 8
    .kernarg_segment_size: 120
    .language:       OpenCL C
    .language_version:
      - 2
      - 0
    .max_flat_workgroup_size: 256
    .name:           _ZN7rocprim17ROCPRIM_400000_NS6detail17trampoline_kernelINS0_14default_configENS1_29reduce_by_key_config_selectorIijN6thrust23THRUST_200600_302600_NS4plusIjEEEEZZNS1_33reduce_by_key_impl_wrapped_configILNS1_25lookback_scan_determinismE0ES3_S9_NS6_6detail15normal_iteratorINS6_10device_ptrIiEEEENSD_INSE_IjEEEESG_SI_PmS8_NS6_8equal_toIiEEEE10hipError_tPvRmT2_T3_mT4_T5_T6_T7_T8_P12ihipStream_tbENKUlT_T0_E_clISt17integral_constantIbLb1EES13_EEDaSY_SZ_EUlSY_E_NS1_11comp_targetILNS1_3genE5ELNS1_11target_archE942ELNS1_3gpuE9ELNS1_3repE0EEENS1_30default_config_static_selectorELNS0_4arch9wavefront6targetE0EEEvT1_
    .private_segment_fixed_size: 0
    .sgpr_count:     0
    .sgpr_spill_count: 0
    .symbol:         _ZN7rocprim17ROCPRIM_400000_NS6detail17trampoline_kernelINS0_14default_configENS1_29reduce_by_key_config_selectorIijN6thrust23THRUST_200600_302600_NS4plusIjEEEEZZNS1_33reduce_by_key_impl_wrapped_configILNS1_25lookback_scan_determinismE0ES3_S9_NS6_6detail15normal_iteratorINS6_10device_ptrIiEEEENSD_INSE_IjEEEESG_SI_PmS8_NS6_8equal_toIiEEEE10hipError_tPvRmT2_T3_mT4_T5_T6_T7_T8_P12ihipStream_tbENKUlT_T0_E_clISt17integral_constantIbLb1EES13_EEDaSY_SZ_EUlSY_E_NS1_11comp_targetILNS1_3genE5ELNS1_11target_archE942ELNS1_3gpuE9ELNS1_3repE0EEENS1_30default_config_static_selectorELNS0_4arch9wavefront6targetE0EEEvT1_.kd
    .uniform_work_group_size: 1
    .uses_dynamic_stack: false
    .vgpr_count:     0
    .vgpr_spill_count: 0
    .wavefront_size: 32
    .workgroup_processor_mode: 1
  - .args:
      - .offset:         0
        .size:           120
        .value_kind:     by_value
    .group_segment_fixed_size: 0
    .kernarg_segment_align: 8
    .kernarg_segment_size: 120
    .language:       OpenCL C
    .language_version:
      - 2
      - 0
    .max_flat_workgroup_size: 256
    .name:           _ZN7rocprim17ROCPRIM_400000_NS6detail17trampoline_kernelINS0_14default_configENS1_29reduce_by_key_config_selectorIijN6thrust23THRUST_200600_302600_NS4plusIjEEEEZZNS1_33reduce_by_key_impl_wrapped_configILNS1_25lookback_scan_determinismE0ES3_S9_NS6_6detail15normal_iteratorINS6_10device_ptrIiEEEENSD_INSE_IjEEEESG_SI_PmS8_NS6_8equal_toIiEEEE10hipError_tPvRmT2_T3_mT4_T5_T6_T7_T8_P12ihipStream_tbENKUlT_T0_E_clISt17integral_constantIbLb1EES13_EEDaSY_SZ_EUlSY_E_NS1_11comp_targetILNS1_3genE4ELNS1_11target_archE910ELNS1_3gpuE8ELNS1_3repE0EEENS1_30default_config_static_selectorELNS0_4arch9wavefront6targetE0EEEvT1_
    .private_segment_fixed_size: 0
    .sgpr_count:     0
    .sgpr_spill_count: 0
    .symbol:         _ZN7rocprim17ROCPRIM_400000_NS6detail17trampoline_kernelINS0_14default_configENS1_29reduce_by_key_config_selectorIijN6thrust23THRUST_200600_302600_NS4plusIjEEEEZZNS1_33reduce_by_key_impl_wrapped_configILNS1_25lookback_scan_determinismE0ES3_S9_NS6_6detail15normal_iteratorINS6_10device_ptrIiEEEENSD_INSE_IjEEEESG_SI_PmS8_NS6_8equal_toIiEEEE10hipError_tPvRmT2_T3_mT4_T5_T6_T7_T8_P12ihipStream_tbENKUlT_T0_E_clISt17integral_constantIbLb1EES13_EEDaSY_SZ_EUlSY_E_NS1_11comp_targetILNS1_3genE4ELNS1_11target_archE910ELNS1_3gpuE8ELNS1_3repE0EEENS1_30default_config_static_selectorELNS0_4arch9wavefront6targetE0EEEvT1_.kd
    .uniform_work_group_size: 1
    .uses_dynamic_stack: false
    .vgpr_count:     0
    .vgpr_spill_count: 0
    .wavefront_size: 32
    .workgroup_processor_mode: 1
  - .args:
      - .offset:         0
        .size:           120
        .value_kind:     by_value
    .group_segment_fixed_size: 0
    .kernarg_segment_align: 8
    .kernarg_segment_size: 120
    .language:       OpenCL C
    .language_version:
      - 2
      - 0
    .max_flat_workgroup_size: 256
    .name:           _ZN7rocprim17ROCPRIM_400000_NS6detail17trampoline_kernelINS0_14default_configENS1_29reduce_by_key_config_selectorIijN6thrust23THRUST_200600_302600_NS4plusIjEEEEZZNS1_33reduce_by_key_impl_wrapped_configILNS1_25lookback_scan_determinismE0ES3_S9_NS6_6detail15normal_iteratorINS6_10device_ptrIiEEEENSD_INSE_IjEEEESG_SI_PmS8_NS6_8equal_toIiEEEE10hipError_tPvRmT2_T3_mT4_T5_T6_T7_T8_P12ihipStream_tbENKUlT_T0_E_clISt17integral_constantIbLb1EES13_EEDaSY_SZ_EUlSY_E_NS1_11comp_targetILNS1_3genE3ELNS1_11target_archE908ELNS1_3gpuE7ELNS1_3repE0EEENS1_30default_config_static_selectorELNS0_4arch9wavefront6targetE0EEEvT1_
    .private_segment_fixed_size: 0
    .sgpr_count:     0
    .sgpr_spill_count: 0
    .symbol:         _ZN7rocprim17ROCPRIM_400000_NS6detail17trampoline_kernelINS0_14default_configENS1_29reduce_by_key_config_selectorIijN6thrust23THRUST_200600_302600_NS4plusIjEEEEZZNS1_33reduce_by_key_impl_wrapped_configILNS1_25lookback_scan_determinismE0ES3_S9_NS6_6detail15normal_iteratorINS6_10device_ptrIiEEEENSD_INSE_IjEEEESG_SI_PmS8_NS6_8equal_toIiEEEE10hipError_tPvRmT2_T3_mT4_T5_T6_T7_T8_P12ihipStream_tbENKUlT_T0_E_clISt17integral_constantIbLb1EES13_EEDaSY_SZ_EUlSY_E_NS1_11comp_targetILNS1_3genE3ELNS1_11target_archE908ELNS1_3gpuE7ELNS1_3repE0EEENS1_30default_config_static_selectorELNS0_4arch9wavefront6targetE0EEEvT1_.kd
    .uniform_work_group_size: 1
    .uses_dynamic_stack: false
    .vgpr_count:     0
    .vgpr_spill_count: 0
    .wavefront_size: 32
    .workgroup_processor_mode: 1
  - .args:
      - .offset:         0
        .size:           120
        .value_kind:     by_value
    .group_segment_fixed_size: 0
    .kernarg_segment_align: 8
    .kernarg_segment_size: 120
    .language:       OpenCL C
    .language_version:
      - 2
      - 0
    .max_flat_workgroup_size: 256
    .name:           _ZN7rocprim17ROCPRIM_400000_NS6detail17trampoline_kernelINS0_14default_configENS1_29reduce_by_key_config_selectorIijN6thrust23THRUST_200600_302600_NS4plusIjEEEEZZNS1_33reduce_by_key_impl_wrapped_configILNS1_25lookback_scan_determinismE0ES3_S9_NS6_6detail15normal_iteratorINS6_10device_ptrIiEEEENSD_INSE_IjEEEESG_SI_PmS8_NS6_8equal_toIiEEEE10hipError_tPvRmT2_T3_mT4_T5_T6_T7_T8_P12ihipStream_tbENKUlT_T0_E_clISt17integral_constantIbLb1EES13_EEDaSY_SZ_EUlSY_E_NS1_11comp_targetILNS1_3genE2ELNS1_11target_archE906ELNS1_3gpuE6ELNS1_3repE0EEENS1_30default_config_static_selectorELNS0_4arch9wavefront6targetE0EEEvT1_
    .private_segment_fixed_size: 0
    .sgpr_count:     0
    .sgpr_spill_count: 0
    .symbol:         _ZN7rocprim17ROCPRIM_400000_NS6detail17trampoline_kernelINS0_14default_configENS1_29reduce_by_key_config_selectorIijN6thrust23THRUST_200600_302600_NS4plusIjEEEEZZNS1_33reduce_by_key_impl_wrapped_configILNS1_25lookback_scan_determinismE0ES3_S9_NS6_6detail15normal_iteratorINS6_10device_ptrIiEEEENSD_INSE_IjEEEESG_SI_PmS8_NS6_8equal_toIiEEEE10hipError_tPvRmT2_T3_mT4_T5_T6_T7_T8_P12ihipStream_tbENKUlT_T0_E_clISt17integral_constantIbLb1EES13_EEDaSY_SZ_EUlSY_E_NS1_11comp_targetILNS1_3genE2ELNS1_11target_archE906ELNS1_3gpuE6ELNS1_3repE0EEENS1_30default_config_static_selectorELNS0_4arch9wavefront6targetE0EEEvT1_.kd
    .uniform_work_group_size: 1
    .uses_dynamic_stack: false
    .vgpr_count:     0
    .vgpr_spill_count: 0
    .wavefront_size: 32
    .workgroup_processor_mode: 1
  - .args:
      - .offset:         0
        .size:           120
        .value_kind:     by_value
    .group_segment_fixed_size: 0
    .kernarg_segment_align: 8
    .kernarg_segment_size: 120
    .language:       OpenCL C
    .language_version:
      - 2
      - 0
    .max_flat_workgroup_size: 256
    .name:           _ZN7rocprim17ROCPRIM_400000_NS6detail17trampoline_kernelINS0_14default_configENS1_29reduce_by_key_config_selectorIijN6thrust23THRUST_200600_302600_NS4plusIjEEEEZZNS1_33reduce_by_key_impl_wrapped_configILNS1_25lookback_scan_determinismE0ES3_S9_NS6_6detail15normal_iteratorINS6_10device_ptrIiEEEENSD_INSE_IjEEEESG_SI_PmS8_NS6_8equal_toIiEEEE10hipError_tPvRmT2_T3_mT4_T5_T6_T7_T8_P12ihipStream_tbENKUlT_T0_E_clISt17integral_constantIbLb1EES13_EEDaSY_SZ_EUlSY_E_NS1_11comp_targetILNS1_3genE10ELNS1_11target_archE1201ELNS1_3gpuE5ELNS1_3repE0EEENS1_30default_config_static_selectorELNS0_4arch9wavefront6targetE0EEEvT1_
    .private_segment_fixed_size: 0
    .sgpr_count:     0
    .sgpr_spill_count: 0
    .symbol:         _ZN7rocprim17ROCPRIM_400000_NS6detail17trampoline_kernelINS0_14default_configENS1_29reduce_by_key_config_selectorIijN6thrust23THRUST_200600_302600_NS4plusIjEEEEZZNS1_33reduce_by_key_impl_wrapped_configILNS1_25lookback_scan_determinismE0ES3_S9_NS6_6detail15normal_iteratorINS6_10device_ptrIiEEEENSD_INSE_IjEEEESG_SI_PmS8_NS6_8equal_toIiEEEE10hipError_tPvRmT2_T3_mT4_T5_T6_T7_T8_P12ihipStream_tbENKUlT_T0_E_clISt17integral_constantIbLb1EES13_EEDaSY_SZ_EUlSY_E_NS1_11comp_targetILNS1_3genE10ELNS1_11target_archE1201ELNS1_3gpuE5ELNS1_3repE0EEENS1_30default_config_static_selectorELNS0_4arch9wavefront6targetE0EEEvT1_.kd
    .uniform_work_group_size: 1
    .uses_dynamic_stack: false
    .vgpr_count:     0
    .vgpr_spill_count: 0
    .wavefront_size: 32
    .workgroup_processor_mode: 1
  - .args:
      - .offset:         0
        .size:           120
        .value_kind:     by_value
    .group_segment_fixed_size: 0
    .kernarg_segment_align: 8
    .kernarg_segment_size: 120
    .language:       OpenCL C
    .language_version:
      - 2
      - 0
    .max_flat_workgroup_size: 256
    .name:           _ZN7rocprim17ROCPRIM_400000_NS6detail17trampoline_kernelINS0_14default_configENS1_29reduce_by_key_config_selectorIijN6thrust23THRUST_200600_302600_NS4plusIjEEEEZZNS1_33reduce_by_key_impl_wrapped_configILNS1_25lookback_scan_determinismE0ES3_S9_NS6_6detail15normal_iteratorINS6_10device_ptrIiEEEENSD_INSE_IjEEEESG_SI_PmS8_NS6_8equal_toIiEEEE10hipError_tPvRmT2_T3_mT4_T5_T6_T7_T8_P12ihipStream_tbENKUlT_T0_E_clISt17integral_constantIbLb1EES13_EEDaSY_SZ_EUlSY_E_NS1_11comp_targetILNS1_3genE10ELNS1_11target_archE1200ELNS1_3gpuE4ELNS1_3repE0EEENS1_30default_config_static_selectorELNS0_4arch9wavefront6targetE0EEEvT1_
    .private_segment_fixed_size: 0
    .sgpr_count:     0
    .sgpr_spill_count: 0
    .symbol:         _ZN7rocprim17ROCPRIM_400000_NS6detail17trampoline_kernelINS0_14default_configENS1_29reduce_by_key_config_selectorIijN6thrust23THRUST_200600_302600_NS4plusIjEEEEZZNS1_33reduce_by_key_impl_wrapped_configILNS1_25lookback_scan_determinismE0ES3_S9_NS6_6detail15normal_iteratorINS6_10device_ptrIiEEEENSD_INSE_IjEEEESG_SI_PmS8_NS6_8equal_toIiEEEE10hipError_tPvRmT2_T3_mT4_T5_T6_T7_T8_P12ihipStream_tbENKUlT_T0_E_clISt17integral_constantIbLb1EES13_EEDaSY_SZ_EUlSY_E_NS1_11comp_targetILNS1_3genE10ELNS1_11target_archE1200ELNS1_3gpuE4ELNS1_3repE0EEENS1_30default_config_static_selectorELNS0_4arch9wavefront6targetE0EEEvT1_.kd
    .uniform_work_group_size: 1
    .uses_dynamic_stack: false
    .vgpr_count:     0
    .vgpr_spill_count: 0
    .wavefront_size: 32
    .workgroup_processor_mode: 1
  - .args:
      - .offset:         0
        .size:           120
        .value_kind:     by_value
    .group_segment_fixed_size: 15360
    .kernarg_segment_align: 8
    .kernarg_segment_size: 120
    .language:       OpenCL C
    .language_version:
      - 2
      - 0
    .max_flat_workgroup_size: 256
    .name:           _ZN7rocprim17ROCPRIM_400000_NS6detail17trampoline_kernelINS0_14default_configENS1_29reduce_by_key_config_selectorIijN6thrust23THRUST_200600_302600_NS4plusIjEEEEZZNS1_33reduce_by_key_impl_wrapped_configILNS1_25lookback_scan_determinismE0ES3_S9_NS6_6detail15normal_iteratorINS6_10device_ptrIiEEEENSD_INSE_IjEEEESG_SI_PmS8_NS6_8equal_toIiEEEE10hipError_tPvRmT2_T3_mT4_T5_T6_T7_T8_P12ihipStream_tbENKUlT_T0_E_clISt17integral_constantIbLb1EES13_EEDaSY_SZ_EUlSY_E_NS1_11comp_targetILNS1_3genE9ELNS1_11target_archE1100ELNS1_3gpuE3ELNS1_3repE0EEENS1_30default_config_static_selectorELNS0_4arch9wavefront6targetE0EEEvT1_
    .private_segment_fixed_size: 0
    .sgpr_count:     51
    .sgpr_spill_count: 0
    .symbol:         _ZN7rocprim17ROCPRIM_400000_NS6detail17trampoline_kernelINS0_14default_configENS1_29reduce_by_key_config_selectorIijN6thrust23THRUST_200600_302600_NS4plusIjEEEEZZNS1_33reduce_by_key_impl_wrapped_configILNS1_25lookback_scan_determinismE0ES3_S9_NS6_6detail15normal_iteratorINS6_10device_ptrIiEEEENSD_INSE_IjEEEESG_SI_PmS8_NS6_8equal_toIiEEEE10hipError_tPvRmT2_T3_mT4_T5_T6_T7_T8_P12ihipStream_tbENKUlT_T0_E_clISt17integral_constantIbLb1EES13_EEDaSY_SZ_EUlSY_E_NS1_11comp_targetILNS1_3genE9ELNS1_11target_archE1100ELNS1_3gpuE3ELNS1_3repE0EEENS1_30default_config_static_selectorELNS0_4arch9wavefront6targetE0EEEvT1_.kd
    .uniform_work_group_size: 1
    .uses_dynamic_stack: false
    .vgpr_count:     87
    .vgpr_spill_count: 0
    .wavefront_size: 32
    .workgroup_processor_mode: 1
  - .args:
      - .offset:         0
        .size:           120
        .value_kind:     by_value
    .group_segment_fixed_size: 0
    .kernarg_segment_align: 8
    .kernarg_segment_size: 120
    .language:       OpenCL C
    .language_version:
      - 2
      - 0
    .max_flat_workgroup_size: 256
    .name:           _ZN7rocprim17ROCPRIM_400000_NS6detail17trampoline_kernelINS0_14default_configENS1_29reduce_by_key_config_selectorIijN6thrust23THRUST_200600_302600_NS4plusIjEEEEZZNS1_33reduce_by_key_impl_wrapped_configILNS1_25lookback_scan_determinismE0ES3_S9_NS6_6detail15normal_iteratorINS6_10device_ptrIiEEEENSD_INSE_IjEEEESG_SI_PmS8_NS6_8equal_toIiEEEE10hipError_tPvRmT2_T3_mT4_T5_T6_T7_T8_P12ihipStream_tbENKUlT_T0_E_clISt17integral_constantIbLb1EES13_EEDaSY_SZ_EUlSY_E_NS1_11comp_targetILNS1_3genE8ELNS1_11target_archE1030ELNS1_3gpuE2ELNS1_3repE0EEENS1_30default_config_static_selectorELNS0_4arch9wavefront6targetE0EEEvT1_
    .private_segment_fixed_size: 0
    .sgpr_count:     0
    .sgpr_spill_count: 0
    .symbol:         _ZN7rocprim17ROCPRIM_400000_NS6detail17trampoline_kernelINS0_14default_configENS1_29reduce_by_key_config_selectorIijN6thrust23THRUST_200600_302600_NS4plusIjEEEEZZNS1_33reduce_by_key_impl_wrapped_configILNS1_25lookback_scan_determinismE0ES3_S9_NS6_6detail15normal_iteratorINS6_10device_ptrIiEEEENSD_INSE_IjEEEESG_SI_PmS8_NS6_8equal_toIiEEEE10hipError_tPvRmT2_T3_mT4_T5_T6_T7_T8_P12ihipStream_tbENKUlT_T0_E_clISt17integral_constantIbLb1EES13_EEDaSY_SZ_EUlSY_E_NS1_11comp_targetILNS1_3genE8ELNS1_11target_archE1030ELNS1_3gpuE2ELNS1_3repE0EEENS1_30default_config_static_selectorELNS0_4arch9wavefront6targetE0EEEvT1_.kd
    .uniform_work_group_size: 1
    .uses_dynamic_stack: false
    .vgpr_count:     0
    .vgpr_spill_count: 0
    .wavefront_size: 32
    .workgroup_processor_mode: 1
  - .args:
      - .offset:         0
        .size:           120
        .value_kind:     by_value
    .group_segment_fixed_size: 0
    .kernarg_segment_align: 8
    .kernarg_segment_size: 120
    .language:       OpenCL C
    .language_version:
      - 2
      - 0
    .max_flat_workgroup_size: 256
    .name:           _ZN7rocprim17ROCPRIM_400000_NS6detail17trampoline_kernelINS0_14default_configENS1_29reduce_by_key_config_selectorIijN6thrust23THRUST_200600_302600_NS4plusIjEEEEZZNS1_33reduce_by_key_impl_wrapped_configILNS1_25lookback_scan_determinismE0ES3_S9_NS6_6detail15normal_iteratorINS6_10device_ptrIiEEEENSD_INSE_IjEEEESG_SI_PmS8_NS6_8equal_toIiEEEE10hipError_tPvRmT2_T3_mT4_T5_T6_T7_T8_P12ihipStream_tbENKUlT_T0_E_clISt17integral_constantIbLb1EES12_IbLb0EEEEDaSY_SZ_EUlSY_E_NS1_11comp_targetILNS1_3genE0ELNS1_11target_archE4294967295ELNS1_3gpuE0ELNS1_3repE0EEENS1_30default_config_static_selectorELNS0_4arch9wavefront6targetE0EEEvT1_
    .private_segment_fixed_size: 0
    .sgpr_count:     0
    .sgpr_spill_count: 0
    .symbol:         _ZN7rocprim17ROCPRIM_400000_NS6detail17trampoline_kernelINS0_14default_configENS1_29reduce_by_key_config_selectorIijN6thrust23THRUST_200600_302600_NS4plusIjEEEEZZNS1_33reduce_by_key_impl_wrapped_configILNS1_25lookback_scan_determinismE0ES3_S9_NS6_6detail15normal_iteratorINS6_10device_ptrIiEEEENSD_INSE_IjEEEESG_SI_PmS8_NS6_8equal_toIiEEEE10hipError_tPvRmT2_T3_mT4_T5_T6_T7_T8_P12ihipStream_tbENKUlT_T0_E_clISt17integral_constantIbLb1EES12_IbLb0EEEEDaSY_SZ_EUlSY_E_NS1_11comp_targetILNS1_3genE0ELNS1_11target_archE4294967295ELNS1_3gpuE0ELNS1_3repE0EEENS1_30default_config_static_selectorELNS0_4arch9wavefront6targetE0EEEvT1_.kd
    .uniform_work_group_size: 1
    .uses_dynamic_stack: false
    .vgpr_count:     0
    .vgpr_spill_count: 0
    .wavefront_size: 32
    .workgroup_processor_mode: 1
  - .args:
      - .offset:         0
        .size:           120
        .value_kind:     by_value
    .group_segment_fixed_size: 0
    .kernarg_segment_align: 8
    .kernarg_segment_size: 120
    .language:       OpenCL C
    .language_version:
      - 2
      - 0
    .max_flat_workgroup_size: 256
    .name:           _ZN7rocprim17ROCPRIM_400000_NS6detail17trampoline_kernelINS0_14default_configENS1_29reduce_by_key_config_selectorIijN6thrust23THRUST_200600_302600_NS4plusIjEEEEZZNS1_33reduce_by_key_impl_wrapped_configILNS1_25lookback_scan_determinismE0ES3_S9_NS6_6detail15normal_iteratorINS6_10device_ptrIiEEEENSD_INSE_IjEEEESG_SI_PmS8_NS6_8equal_toIiEEEE10hipError_tPvRmT2_T3_mT4_T5_T6_T7_T8_P12ihipStream_tbENKUlT_T0_E_clISt17integral_constantIbLb1EES12_IbLb0EEEEDaSY_SZ_EUlSY_E_NS1_11comp_targetILNS1_3genE5ELNS1_11target_archE942ELNS1_3gpuE9ELNS1_3repE0EEENS1_30default_config_static_selectorELNS0_4arch9wavefront6targetE0EEEvT1_
    .private_segment_fixed_size: 0
    .sgpr_count:     0
    .sgpr_spill_count: 0
    .symbol:         _ZN7rocprim17ROCPRIM_400000_NS6detail17trampoline_kernelINS0_14default_configENS1_29reduce_by_key_config_selectorIijN6thrust23THRUST_200600_302600_NS4plusIjEEEEZZNS1_33reduce_by_key_impl_wrapped_configILNS1_25lookback_scan_determinismE0ES3_S9_NS6_6detail15normal_iteratorINS6_10device_ptrIiEEEENSD_INSE_IjEEEESG_SI_PmS8_NS6_8equal_toIiEEEE10hipError_tPvRmT2_T3_mT4_T5_T6_T7_T8_P12ihipStream_tbENKUlT_T0_E_clISt17integral_constantIbLb1EES12_IbLb0EEEEDaSY_SZ_EUlSY_E_NS1_11comp_targetILNS1_3genE5ELNS1_11target_archE942ELNS1_3gpuE9ELNS1_3repE0EEENS1_30default_config_static_selectorELNS0_4arch9wavefront6targetE0EEEvT1_.kd
    .uniform_work_group_size: 1
    .uses_dynamic_stack: false
    .vgpr_count:     0
    .vgpr_spill_count: 0
    .wavefront_size: 32
    .workgroup_processor_mode: 1
  - .args:
      - .offset:         0
        .size:           120
        .value_kind:     by_value
    .group_segment_fixed_size: 0
    .kernarg_segment_align: 8
    .kernarg_segment_size: 120
    .language:       OpenCL C
    .language_version:
      - 2
      - 0
    .max_flat_workgroup_size: 256
    .name:           _ZN7rocprim17ROCPRIM_400000_NS6detail17trampoline_kernelINS0_14default_configENS1_29reduce_by_key_config_selectorIijN6thrust23THRUST_200600_302600_NS4plusIjEEEEZZNS1_33reduce_by_key_impl_wrapped_configILNS1_25lookback_scan_determinismE0ES3_S9_NS6_6detail15normal_iteratorINS6_10device_ptrIiEEEENSD_INSE_IjEEEESG_SI_PmS8_NS6_8equal_toIiEEEE10hipError_tPvRmT2_T3_mT4_T5_T6_T7_T8_P12ihipStream_tbENKUlT_T0_E_clISt17integral_constantIbLb1EES12_IbLb0EEEEDaSY_SZ_EUlSY_E_NS1_11comp_targetILNS1_3genE4ELNS1_11target_archE910ELNS1_3gpuE8ELNS1_3repE0EEENS1_30default_config_static_selectorELNS0_4arch9wavefront6targetE0EEEvT1_
    .private_segment_fixed_size: 0
    .sgpr_count:     0
    .sgpr_spill_count: 0
    .symbol:         _ZN7rocprim17ROCPRIM_400000_NS6detail17trampoline_kernelINS0_14default_configENS1_29reduce_by_key_config_selectorIijN6thrust23THRUST_200600_302600_NS4plusIjEEEEZZNS1_33reduce_by_key_impl_wrapped_configILNS1_25lookback_scan_determinismE0ES3_S9_NS6_6detail15normal_iteratorINS6_10device_ptrIiEEEENSD_INSE_IjEEEESG_SI_PmS8_NS6_8equal_toIiEEEE10hipError_tPvRmT2_T3_mT4_T5_T6_T7_T8_P12ihipStream_tbENKUlT_T0_E_clISt17integral_constantIbLb1EES12_IbLb0EEEEDaSY_SZ_EUlSY_E_NS1_11comp_targetILNS1_3genE4ELNS1_11target_archE910ELNS1_3gpuE8ELNS1_3repE0EEENS1_30default_config_static_selectorELNS0_4arch9wavefront6targetE0EEEvT1_.kd
    .uniform_work_group_size: 1
    .uses_dynamic_stack: false
    .vgpr_count:     0
    .vgpr_spill_count: 0
    .wavefront_size: 32
    .workgroup_processor_mode: 1
  - .args:
      - .offset:         0
        .size:           120
        .value_kind:     by_value
    .group_segment_fixed_size: 0
    .kernarg_segment_align: 8
    .kernarg_segment_size: 120
    .language:       OpenCL C
    .language_version:
      - 2
      - 0
    .max_flat_workgroup_size: 256
    .name:           _ZN7rocprim17ROCPRIM_400000_NS6detail17trampoline_kernelINS0_14default_configENS1_29reduce_by_key_config_selectorIijN6thrust23THRUST_200600_302600_NS4plusIjEEEEZZNS1_33reduce_by_key_impl_wrapped_configILNS1_25lookback_scan_determinismE0ES3_S9_NS6_6detail15normal_iteratorINS6_10device_ptrIiEEEENSD_INSE_IjEEEESG_SI_PmS8_NS6_8equal_toIiEEEE10hipError_tPvRmT2_T3_mT4_T5_T6_T7_T8_P12ihipStream_tbENKUlT_T0_E_clISt17integral_constantIbLb1EES12_IbLb0EEEEDaSY_SZ_EUlSY_E_NS1_11comp_targetILNS1_3genE3ELNS1_11target_archE908ELNS1_3gpuE7ELNS1_3repE0EEENS1_30default_config_static_selectorELNS0_4arch9wavefront6targetE0EEEvT1_
    .private_segment_fixed_size: 0
    .sgpr_count:     0
    .sgpr_spill_count: 0
    .symbol:         _ZN7rocprim17ROCPRIM_400000_NS6detail17trampoline_kernelINS0_14default_configENS1_29reduce_by_key_config_selectorIijN6thrust23THRUST_200600_302600_NS4plusIjEEEEZZNS1_33reduce_by_key_impl_wrapped_configILNS1_25lookback_scan_determinismE0ES3_S9_NS6_6detail15normal_iteratorINS6_10device_ptrIiEEEENSD_INSE_IjEEEESG_SI_PmS8_NS6_8equal_toIiEEEE10hipError_tPvRmT2_T3_mT4_T5_T6_T7_T8_P12ihipStream_tbENKUlT_T0_E_clISt17integral_constantIbLb1EES12_IbLb0EEEEDaSY_SZ_EUlSY_E_NS1_11comp_targetILNS1_3genE3ELNS1_11target_archE908ELNS1_3gpuE7ELNS1_3repE0EEENS1_30default_config_static_selectorELNS0_4arch9wavefront6targetE0EEEvT1_.kd
    .uniform_work_group_size: 1
    .uses_dynamic_stack: false
    .vgpr_count:     0
    .vgpr_spill_count: 0
    .wavefront_size: 32
    .workgroup_processor_mode: 1
  - .args:
      - .offset:         0
        .size:           120
        .value_kind:     by_value
    .group_segment_fixed_size: 0
    .kernarg_segment_align: 8
    .kernarg_segment_size: 120
    .language:       OpenCL C
    .language_version:
      - 2
      - 0
    .max_flat_workgroup_size: 256
    .name:           _ZN7rocprim17ROCPRIM_400000_NS6detail17trampoline_kernelINS0_14default_configENS1_29reduce_by_key_config_selectorIijN6thrust23THRUST_200600_302600_NS4plusIjEEEEZZNS1_33reduce_by_key_impl_wrapped_configILNS1_25lookback_scan_determinismE0ES3_S9_NS6_6detail15normal_iteratorINS6_10device_ptrIiEEEENSD_INSE_IjEEEESG_SI_PmS8_NS6_8equal_toIiEEEE10hipError_tPvRmT2_T3_mT4_T5_T6_T7_T8_P12ihipStream_tbENKUlT_T0_E_clISt17integral_constantIbLb1EES12_IbLb0EEEEDaSY_SZ_EUlSY_E_NS1_11comp_targetILNS1_3genE2ELNS1_11target_archE906ELNS1_3gpuE6ELNS1_3repE0EEENS1_30default_config_static_selectorELNS0_4arch9wavefront6targetE0EEEvT1_
    .private_segment_fixed_size: 0
    .sgpr_count:     0
    .sgpr_spill_count: 0
    .symbol:         _ZN7rocprim17ROCPRIM_400000_NS6detail17trampoline_kernelINS0_14default_configENS1_29reduce_by_key_config_selectorIijN6thrust23THRUST_200600_302600_NS4plusIjEEEEZZNS1_33reduce_by_key_impl_wrapped_configILNS1_25lookback_scan_determinismE0ES3_S9_NS6_6detail15normal_iteratorINS6_10device_ptrIiEEEENSD_INSE_IjEEEESG_SI_PmS8_NS6_8equal_toIiEEEE10hipError_tPvRmT2_T3_mT4_T5_T6_T7_T8_P12ihipStream_tbENKUlT_T0_E_clISt17integral_constantIbLb1EES12_IbLb0EEEEDaSY_SZ_EUlSY_E_NS1_11comp_targetILNS1_3genE2ELNS1_11target_archE906ELNS1_3gpuE6ELNS1_3repE0EEENS1_30default_config_static_selectorELNS0_4arch9wavefront6targetE0EEEvT1_.kd
    .uniform_work_group_size: 1
    .uses_dynamic_stack: false
    .vgpr_count:     0
    .vgpr_spill_count: 0
    .wavefront_size: 32
    .workgroup_processor_mode: 1
  - .args:
      - .offset:         0
        .size:           120
        .value_kind:     by_value
    .group_segment_fixed_size: 0
    .kernarg_segment_align: 8
    .kernarg_segment_size: 120
    .language:       OpenCL C
    .language_version:
      - 2
      - 0
    .max_flat_workgroup_size: 256
    .name:           _ZN7rocprim17ROCPRIM_400000_NS6detail17trampoline_kernelINS0_14default_configENS1_29reduce_by_key_config_selectorIijN6thrust23THRUST_200600_302600_NS4plusIjEEEEZZNS1_33reduce_by_key_impl_wrapped_configILNS1_25lookback_scan_determinismE0ES3_S9_NS6_6detail15normal_iteratorINS6_10device_ptrIiEEEENSD_INSE_IjEEEESG_SI_PmS8_NS6_8equal_toIiEEEE10hipError_tPvRmT2_T3_mT4_T5_T6_T7_T8_P12ihipStream_tbENKUlT_T0_E_clISt17integral_constantIbLb1EES12_IbLb0EEEEDaSY_SZ_EUlSY_E_NS1_11comp_targetILNS1_3genE10ELNS1_11target_archE1201ELNS1_3gpuE5ELNS1_3repE0EEENS1_30default_config_static_selectorELNS0_4arch9wavefront6targetE0EEEvT1_
    .private_segment_fixed_size: 0
    .sgpr_count:     0
    .sgpr_spill_count: 0
    .symbol:         _ZN7rocprim17ROCPRIM_400000_NS6detail17trampoline_kernelINS0_14default_configENS1_29reduce_by_key_config_selectorIijN6thrust23THRUST_200600_302600_NS4plusIjEEEEZZNS1_33reduce_by_key_impl_wrapped_configILNS1_25lookback_scan_determinismE0ES3_S9_NS6_6detail15normal_iteratorINS6_10device_ptrIiEEEENSD_INSE_IjEEEESG_SI_PmS8_NS6_8equal_toIiEEEE10hipError_tPvRmT2_T3_mT4_T5_T6_T7_T8_P12ihipStream_tbENKUlT_T0_E_clISt17integral_constantIbLb1EES12_IbLb0EEEEDaSY_SZ_EUlSY_E_NS1_11comp_targetILNS1_3genE10ELNS1_11target_archE1201ELNS1_3gpuE5ELNS1_3repE0EEENS1_30default_config_static_selectorELNS0_4arch9wavefront6targetE0EEEvT1_.kd
    .uniform_work_group_size: 1
    .uses_dynamic_stack: false
    .vgpr_count:     0
    .vgpr_spill_count: 0
    .wavefront_size: 32
    .workgroup_processor_mode: 1
  - .args:
      - .offset:         0
        .size:           120
        .value_kind:     by_value
    .group_segment_fixed_size: 0
    .kernarg_segment_align: 8
    .kernarg_segment_size: 120
    .language:       OpenCL C
    .language_version:
      - 2
      - 0
    .max_flat_workgroup_size: 256
    .name:           _ZN7rocprim17ROCPRIM_400000_NS6detail17trampoline_kernelINS0_14default_configENS1_29reduce_by_key_config_selectorIijN6thrust23THRUST_200600_302600_NS4plusIjEEEEZZNS1_33reduce_by_key_impl_wrapped_configILNS1_25lookback_scan_determinismE0ES3_S9_NS6_6detail15normal_iteratorINS6_10device_ptrIiEEEENSD_INSE_IjEEEESG_SI_PmS8_NS6_8equal_toIiEEEE10hipError_tPvRmT2_T3_mT4_T5_T6_T7_T8_P12ihipStream_tbENKUlT_T0_E_clISt17integral_constantIbLb1EES12_IbLb0EEEEDaSY_SZ_EUlSY_E_NS1_11comp_targetILNS1_3genE10ELNS1_11target_archE1200ELNS1_3gpuE4ELNS1_3repE0EEENS1_30default_config_static_selectorELNS0_4arch9wavefront6targetE0EEEvT1_
    .private_segment_fixed_size: 0
    .sgpr_count:     0
    .sgpr_spill_count: 0
    .symbol:         _ZN7rocprim17ROCPRIM_400000_NS6detail17trampoline_kernelINS0_14default_configENS1_29reduce_by_key_config_selectorIijN6thrust23THRUST_200600_302600_NS4plusIjEEEEZZNS1_33reduce_by_key_impl_wrapped_configILNS1_25lookback_scan_determinismE0ES3_S9_NS6_6detail15normal_iteratorINS6_10device_ptrIiEEEENSD_INSE_IjEEEESG_SI_PmS8_NS6_8equal_toIiEEEE10hipError_tPvRmT2_T3_mT4_T5_T6_T7_T8_P12ihipStream_tbENKUlT_T0_E_clISt17integral_constantIbLb1EES12_IbLb0EEEEDaSY_SZ_EUlSY_E_NS1_11comp_targetILNS1_3genE10ELNS1_11target_archE1200ELNS1_3gpuE4ELNS1_3repE0EEENS1_30default_config_static_selectorELNS0_4arch9wavefront6targetE0EEEvT1_.kd
    .uniform_work_group_size: 1
    .uses_dynamic_stack: false
    .vgpr_count:     0
    .vgpr_spill_count: 0
    .wavefront_size: 32
    .workgroup_processor_mode: 1
  - .args:
      - .offset:         0
        .size:           120
        .value_kind:     by_value
    .group_segment_fixed_size: 15360
    .kernarg_segment_align: 8
    .kernarg_segment_size: 120
    .language:       OpenCL C
    .language_version:
      - 2
      - 0
    .max_flat_workgroup_size: 256
    .name:           _ZN7rocprim17ROCPRIM_400000_NS6detail17trampoline_kernelINS0_14default_configENS1_29reduce_by_key_config_selectorIijN6thrust23THRUST_200600_302600_NS4plusIjEEEEZZNS1_33reduce_by_key_impl_wrapped_configILNS1_25lookback_scan_determinismE0ES3_S9_NS6_6detail15normal_iteratorINS6_10device_ptrIiEEEENSD_INSE_IjEEEESG_SI_PmS8_NS6_8equal_toIiEEEE10hipError_tPvRmT2_T3_mT4_T5_T6_T7_T8_P12ihipStream_tbENKUlT_T0_E_clISt17integral_constantIbLb1EES12_IbLb0EEEEDaSY_SZ_EUlSY_E_NS1_11comp_targetILNS1_3genE9ELNS1_11target_archE1100ELNS1_3gpuE3ELNS1_3repE0EEENS1_30default_config_static_selectorELNS0_4arch9wavefront6targetE0EEEvT1_
    .private_segment_fixed_size: 0
    .sgpr_count:     50
    .sgpr_spill_count: 0
    .symbol:         _ZN7rocprim17ROCPRIM_400000_NS6detail17trampoline_kernelINS0_14default_configENS1_29reduce_by_key_config_selectorIijN6thrust23THRUST_200600_302600_NS4plusIjEEEEZZNS1_33reduce_by_key_impl_wrapped_configILNS1_25lookback_scan_determinismE0ES3_S9_NS6_6detail15normal_iteratorINS6_10device_ptrIiEEEENSD_INSE_IjEEEESG_SI_PmS8_NS6_8equal_toIiEEEE10hipError_tPvRmT2_T3_mT4_T5_T6_T7_T8_P12ihipStream_tbENKUlT_T0_E_clISt17integral_constantIbLb1EES12_IbLb0EEEEDaSY_SZ_EUlSY_E_NS1_11comp_targetILNS1_3genE9ELNS1_11target_archE1100ELNS1_3gpuE3ELNS1_3repE0EEENS1_30default_config_static_selectorELNS0_4arch9wavefront6targetE0EEEvT1_.kd
    .uniform_work_group_size: 1
    .uses_dynamic_stack: false
    .vgpr_count:     87
    .vgpr_spill_count: 0
    .wavefront_size: 32
    .workgroup_processor_mode: 1
  - .args:
      - .offset:         0
        .size:           120
        .value_kind:     by_value
    .group_segment_fixed_size: 0
    .kernarg_segment_align: 8
    .kernarg_segment_size: 120
    .language:       OpenCL C
    .language_version:
      - 2
      - 0
    .max_flat_workgroup_size: 256
    .name:           _ZN7rocprim17ROCPRIM_400000_NS6detail17trampoline_kernelINS0_14default_configENS1_29reduce_by_key_config_selectorIijN6thrust23THRUST_200600_302600_NS4plusIjEEEEZZNS1_33reduce_by_key_impl_wrapped_configILNS1_25lookback_scan_determinismE0ES3_S9_NS6_6detail15normal_iteratorINS6_10device_ptrIiEEEENSD_INSE_IjEEEESG_SI_PmS8_NS6_8equal_toIiEEEE10hipError_tPvRmT2_T3_mT4_T5_T6_T7_T8_P12ihipStream_tbENKUlT_T0_E_clISt17integral_constantIbLb1EES12_IbLb0EEEEDaSY_SZ_EUlSY_E_NS1_11comp_targetILNS1_3genE8ELNS1_11target_archE1030ELNS1_3gpuE2ELNS1_3repE0EEENS1_30default_config_static_selectorELNS0_4arch9wavefront6targetE0EEEvT1_
    .private_segment_fixed_size: 0
    .sgpr_count:     0
    .sgpr_spill_count: 0
    .symbol:         _ZN7rocprim17ROCPRIM_400000_NS6detail17trampoline_kernelINS0_14default_configENS1_29reduce_by_key_config_selectorIijN6thrust23THRUST_200600_302600_NS4plusIjEEEEZZNS1_33reduce_by_key_impl_wrapped_configILNS1_25lookback_scan_determinismE0ES3_S9_NS6_6detail15normal_iteratorINS6_10device_ptrIiEEEENSD_INSE_IjEEEESG_SI_PmS8_NS6_8equal_toIiEEEE10hipError_tPvRmT2_T3_mT4_T5_T6_T7_T8_P12ihipStream_tbENKUlT_T0_E_clISt17integral_constantIbLb1EES12_IbLb0EEEEDaSY_SZ_EUlSY_E_NS1_11comp_targetILNS1_3genE8ELNS1_11target_archE1030ELNS1_3gpuE2ELNS1_3repE0EEENS1_30default_config_static_selectorELNS0_4arch9wavefront6targetE0EEEvT1_.kd
    .uniform_work_group_size: 1
    .uses_dynamic_stack: false
    .vgpr_count:     0
    .vgpr_spill_count: 0
    .wavefront_size: 32
    .workgroup_processor_mode: 1
  - .args:
      - .offset:         0
        .size:           120
        .value_kind:     by_value
    .group_segment_fixed_size: 0
    .kernarg_segment_align: 8
    .kernarg_segment_size: 120
    .language:       OpenCL C
    .language_version:
      - 2
      - 0
    .max_flat_workgroup_size: 256
    .name:           _ZN7rocprim17ROCPRIM_400000_NS6detail17trampoline_kernelINS0_14default_configENS1_29reduce_by_key_config_selectorIijN6thrust23THRUST_200600_302600_NS4plusIjEEEEZZNS1_33reduce_by_key_impl_wrapped_configILNS1_25lookback_scan_determinismE0ES3_S9_NS6_6detail15normal_iteratorINS6_10device_ptrIiEEEENSD_INSE_IjEEEESG_SI_PmS8_NS6_8equal_toIiEEEE10hipError_tPvRmT2_T3_mT4_T5_T6_T7_T8_P12ihipStream_tbENKUlT_T0_E_clISt17integral_constantIbLb0EES12_IbLb1EEEEDaSY_SZ_EUlSY_E_NS1_11comp_targetILNS1_3genE0ELNS1_11target_archE4294967295ELNS1_3gpuE0ELNS1_3repE0EEENS1_30default_config_static_selectorELNS0_4arch9wavefront6targetE0EEEvT1_
    .private_segment_fixed_size: 0
    .sgpr_count:     0
    .sgpr_spill_count: 0
    .symbol:         _ZN7rocprim17ROCPRIM_400000_NS6detail17trampoline_kernelINS0_14default_configENS1_29reduce_by_key_config_selectorIijN6thrust23THRUST_200600_302600_NS4plusIjEEEEZZNS1_33reduce_by_key_impl_wrapped_configILNS1_25lookback_scan_determinismE0ES3_S9_NS6_6detail15normal_iteratorINS6_10device_ptrIiEEEENSD_INSE_IjEEEESG_SI_PmS8_NS6_8equal_toIiEEEE10hipError_tPvRmT2_T3_mT4_T5_T6_T7_T8_P12ihipStream_tbENKUlT_T0_E_clISt17integral_constantIbLb0EES12_IbLb1EEEEDaSY_SZ_EUlSY_E_NS1_11comp_targetILNS1_3genE0ELNS1_11target_archE4294967295ELNS1_3gpuE0ELNS1_3repE0EEENS1_30default_config_static_selectorELNS0_4arch9wavefront6targetE0EEEvT1_.kd
    .uniform_work_group_size: 1
    .uses_dynamic_stack: false
    .vgpr_count:     0
    .vgpr_spill_count: 0
    .wavefront_size: 32
    .workgroup_processor_mode: 1
  - .args:
      - .offset:         0
        .size:           120
        .value_kind:     by_value
    .group_segment_fixed_size: 0
    .kernarg_segment_align: 8
    .kernarg_segment_size: 120
    .language:       OpenCL C
    .language_version:
      - 2
      - 0
    .max_flat_workgroup_size: 256
    .name:           _ZN7rocprim17ROCPRIM_400000_NS6detail17trampoline_kernelINS0_14default_configENS1_29reduce_by_key_config_selectorIijN6thrust23THRUST_200600_302600_NS4plusIjEEEEZZNS1_33reduce_by_key_impl_wrapped_configILNS1_25lookback_scan_determinismE0ES3_S9_NS6_6detail15normal_iteratorINS6_10device_ptrIiEEEENSD_INSE_IjEEEESG_SI_PmS8_NS6_8equal_toIiEEEE10hipError_tPvRmT2_T3_mT4_T5_T6_T7_T8_P12ihipStream_tbENKUlT_T0_E_clISt17integral_constantIbLb0EES12_IbLb1EEEEDaSY_SZ_EUlSY_E_NS1_11comp_targetILNS1_3genE5ELNS1_11target_archE942ELNS1_3gpuE9ELNS1_3repE0EEENS1_30default_config_static_selectorELNS0_4arch9wavefront6targetE0EEEvT1_
    .private_segment_fixed_size: 0
    .sgpr_count:     0
    .sgpr_spill_count: 0
    .symbol:         _ZN7rocprim17ROCPRIM_400000_NS6detail17trampoline_kernelINS0_14default_configENS1_29reduce_by_key_config_selectorIijN6thrust23THRUST_200600_302600_NS4plusIjEEEEZZNS1_33reduce_by_key_impl_wrapped_configILNS1_25lookback_scan_determinismE0ES3_S9_NS6_6detail15normal_iteratorINS6_10device_ptrIiEEEENSD_INSE_IjEEEESG_SI_PmS8_NS6_8equal_toIiEEEE10hipError_tPvRmT2_T3_mT4_T5_T6_T7_T8_P12ihipStream_tbENKUlT_T0_E_clISt17integral_constantIbLb0EES12_IbLb1EEEEDaSY_SZ_EUlSY_E_NS1_11comp_targetILNS1_3genE5ELNS1_11target_archE942ELNS1_3gpuE9ELNS1_3repE0EEENS1_30default_config_static_selectorELNS0_4arch9wavefront6targetE0EEEvT1_.kd
    .uniform_work_group_size: 1
    .uses_dynamic_stack: false
    .vgpr_count:     0
    .vgpr_spill_count: 0
    .wavefront_size: 32
    .workgroup_processor_mode: 1
  - .args:
      - .offset:         0
        .size:           120
        .value_kind:     by_value
    .group_segment_fixed_size: 0
    .kernarg_segment_align: 8
    .kernarg_segment_size: 120
    .language:       OpenCL C
    .language_version:
      - 2
      - 0
    .max_flat_workgroup_size: 256
    .name:           _ZN7rocprim17ROCPRIM_400000_NS6detail17trampoline_kernelINS0_14default_configENS1_29reduce_by_key_config_selectorIijN6thrust23THRUST_200600_302600_NS4plusIjEEEEZZNS1_33reduce_by_key_impl_wrapped_configILNS1_25lookback_scan_determinismE0ES3_S9_NS6_6detail15normal_iteratorINS6_10device_ptrIiEEEENSD_INSE_IjEEEESG_SI_PmS8_NS6_8equal_toIiEEEE10hipError_tPvRmT2_T3_mT4_T5_T6_T7_T8_P12ihipStream_tbENKUlT_T0_E_clISt17integral_constantIbLb0EES12_IbLb1EEEEDaSY_SZ_EUlSY_E_NS1_11comp_targetILNS1_3genE4ELNS1_11target_archE910ELNS1_3gpuE8ELNS1_3repE0EEENS1_30default_config_static_selectorELNS0_4arch9wavefront6targetE0EEEvT1_
    .private_segment_fixed_size: 0
    .sgpr_count:     0
    .sgpr_spill_count: 0
    .symbol:         _ZN7rocprim17ROCPRIM_400000_NS6detail17trampoline_kernelINS0_14default_configENS1_29reduce_by_key_config_selectorIijN6thrust23THRUST_200600_302600_NS4plusIjEEEEZZNS1_33reduce_by_key_impl_wrapped_configILNS1_25lookback_scan_determinismE0ES3_S9_NS6_6detail15normal_iteratorINS6_10device_ptrIiEEEENSD_INSE_IjEEEESG_SI_PmS8_NS6_8equal_toIiEEEE10hipError_tPvRmT2_T3_mT4_T5_T6_T7_T8_P12ihipStream_tbENKUlT_T0_E_clISt17integral_constantIbLb0EES12_IbLb1EEEEDaSY_SZ_EUlSY_E_NS1_11comp_targetILNS1_3genE4ELNS1_11target_archE910ELNS1_3gpuE8ELNS1_3repE0EEENS1_30default_config_static_selectorELNS0_4arch9wavefront6targetE0EEEvT1_.kd
    .uniform_work_group_size: 1
    .uses_dynamic_stack: false
    .vgpr_count:     0
    .vgpr_spill_count: 0
    .wavefront_size: 32
    .workgroup_processor_mode: 1
  - .args:
      - .offset:         0
        .size:           120
        .value_kind:     by_value
    .group_segment_fixed_size: 0
    .kernarg_segment_align: 8
    .kernarg_segment_size: 120
    .language:       OpenCL C
    .language_version:
      - 2
      - 0
    .max_flat_workgroup_size: 256
    .name:           _ZN7rocprim17ROCPRIM_400000_NS6detail17trampoline_kernelINS0_14default_configENS1_29reduce_by_key_config_selectorIijN6thrust23THRUST_200600_302600_NS4plusIjEEEEZZNS1_33reduce_by_key_impl_wrapped_configILNS1_25lookback_scan_determinismE0ES3_S9_NS6_6detail15normal_iteratorINS6_10device_ptrIiEEEENSD_INSE_IjEEEESG_SI_PmS8_NS6_8equal_toIiEEEE10hipError_tPvRmT2_T3_mT4_T5_T6_T7_T8_P12ihipStream_tbENKUlT_T0_E_clISt17integral_constantIbLb0EES12_IbLb1EEEEDaSY_SZ_EUlSY_E_NS1_11comp_targetILNS1_3genE3ELNS1_11target_archE908ELNS1_3gpuE7ELNS1_3repE0EEENS1_30default_config_static_selectorELNS0_4arch9wavefront6targetE0EEEvT1_
    .private_segment_fixed_size: 0
    .sgpr_count:     0
    .sgpr_spill_count: 0
    .symbol:         _ZN7rocprim17ROCPRIM_400000_NS6detail17trampoline_kernelINS0_14default_configENS1_29reduce_by_key_config_selectorIijN6thrust23THRUST_200600_302600_NS4plusIjEEEEZZNS1_33reduce_by_key_impl_wrapped_configILNS1_25lookback_scan_determinismE0ES3_S9_NS6_6detail15normal_iteratorINS6_10device_ptrIiEEEENSD_INSE_IjEEEESG_SI_PmS8_NS6_8equal_toIiEEEE10hipError_tPvRmT2_T3_mT4_T5_T6_T7_T8_P12ihipStream_tbENKUlT_T0_E_clISt17integral_constantIbLb0EES12_IbLb1EEEEDaSY_SZ_EUlSY_E_NS1_11comp_targetILNS1_3genE3ELNS1_11target_archE908ELNS1_3gpuE7ELNS1_3repE0EEENS1_30default_config_static_selectorELNS0_4arch9wavefront6targetE0EEEvT1_.kd
    .uniform_work_group_size: 1
    .uses_dynamic_stack: false
    .vgpr_count:     0
    .vgpr_spill_count: 0
    .wavefront_size: 32
    .workgroup_processor_mode: 1
  - .args:
      - .offset:         0
        .size:           120
        .value_kind:     by_value
    .group_segment_fixed_size: 0
    .kernarg_segment_align: 8
    .kernarg_segment_size: 120
    .language:       OpenCL C
    .language_version:
      - 2
      - 0
    .max_flat_workgroup_size: 256
    .name:           _ZN7rocprim17ROCPRIM_400000_NS6detail17trampoline_kernelINS0_14default_configENS1_29reduce_by_key_config_selectorIijN6thrust23THRUST_200600_302600_NS4plusIjEEEEZZNS1_33reduce_by_key_impl_wrapped_configILNS1_25lookback_scan_determinismE0ES3_S9_NS6_6detail15normal_iteratorINS6_10device_ptrIiEEEENSD_INSE_IjEEEESG_SI_PmS8_NS6_8equal_toIiEEEE10hipError_tPvRmT2_T3_mT4_T5_T6_T7_T8_P12ihipStream_tbENKUlT_T0_E_clISt17integral_constantIbLb0EES12_IbLb1EEEEDaSY_SZ_EUlSY_E_NS1_11comp_targetILNS1_3genE2ELNS1_11target_archE906ELNS1_3gpuE6ELNS1_3repE0EEENS1_30default_config_static_selectorELNS0_4arch9wavefront6targetE0EEEvT1_
    .private_segment_fixed_size: 0
    .sgpr_count:     0
    .sgpr_spill_count: 0
    .symbol:         _ZN7rocprim17ROCPRIM_400000_NS6detail17trampoline_kernelINS0_14default_configENS1_29reduce_by_key_config_selectorIijN6thrust23THRUST_200600_302600_NS4plusIjEEEEZZNS1_33reduce_by_key_impl_wrapped_configILNS1_25lookback_scan_determinismE0ES3_S9_NS6_6detail15normal_iteratorINS6_10device_ptrIiEEEENSD_INSE_IjEEEESG_SI_PmS8_NS6_8equal_toIiEEEE10hipError_tPvRmT2_T3_mT4_T5_T6_T7_T8_P12ihipStream_tbENKUlT_T0_E_clISt17integral_constantIbLb0EES12_IbLb1EEEEDaSY_SZ_EUlSY_E_NS1_11comp_targetILNS1_3genE2ELNS1_11target_archE906ELNS1_3gpuE6ELNS1_3repE0EEENS1_30default_config_static_selectorELNS0_4arch9wavefront6targetE0EEEvT1_.kd
    .uniform_work_group_size: 1
    .uses_dynamic_stack: false
    .vgpr_count:     0
    .vgpr_spill_count: 0
    .wavefront_size: 32
    .workgroup_processor_mode: 1
  - .args:
      - .offset:         0
        .size:           120
        .value_kind:     by_value
    .group_segment_fixed_size: 0
    .kernarg_segment_align: 8
    .kernarg_segment_size: 120
    .language:       OpenCL C
    .language_version:
      - 2
      - 0
    .max_flat_workgroup_size: 256
    .name:           _ZN7rocprim17ROCPRIM_400000_NS6detail17trampoline_kernelINS0_14default_configENS1_29reduce_by_key_config_selectorIijN6thrust23THRUST_200600_302600_NS4plusIjEEEEZZNS1_33reduce_by_key_impl_wrapped_configILNS1_25lookback_scan_determinismE0ES3_S9_NS6_6detail15normal_iteratorINS6_10device_ptrIiEEEENSD_INSE_IjEEEESG_SI_PmS8_NS6_8equal_toIiEEEE10hipError_tPvRmT2_T3_mT4_T5_T6_T7_T8_P12ihipStream_tbENKUlT_T0_E_clISt17integral_constantIbLb0EES12_IbLb1EEEEDaSY_SZ_EUlSY_E_NS1_11comp_targetILNS1_3genE10ELNS1_11target_archE1201ELNS1_3gpuE5ELNS1_3repE0EEENS1_30default_config_static_selectorELNS0_4arch9wavefront6targetE0EEEvT1_
    .private_segment_fixed_size: 0
    .sgpr_count:     0
    .sgpr_spill_count: 0
    .symbol:         _ZN7rocprim17ROCPRIM_400000_NS6detail17trampoline_kernelINS0_14default_configENS1_29reduce_by_key_config_selectorIijN6thrust23THRUST_200600_302600_NS4plusIjEEEEZZNS1_33reduce_by_key_impl_wrapped_configILNS1_25lookback_scan_determinismE0ES3_S9_NS6_6detail15normal_iteratorINS6_10device_ptrIiEEEENSD_INSE_IjEEEESG_SI_PmS8_NS6_8equal_toIiEEEE10hipError_tPvRmT2_T3_mT4_T5_T6_T7_T8_P12ihipStream_tbENKUlT_T0_E_clISt17integral_constantIbLb0EES12_IbLb1EEEEDaSY_SZ_EUlSY_E_NS1_11comp_targetILNS1_3genE10ELNS1_11target_archE1201ELNS1_3gpuE5ELNS1_3repE0EEENS1_30default_config_static_selectorELNS0_4arch9wavefront6targetE0EEEvT1_.kd
    .uniform_work_group_size: 1
    .uses_dynamic_stack: false
    .vgpr_count:     0
    .vgpr_spill_count: 0
    .wavefront_size: 32
    .workgroup_processor_mode: 1
  - .args:
      - .offset:         0
        .size:           120
        .value_kind:     by_value
    .group_segment_fixed_size: 0
    .kernarg_segment_align: 8
    .kernarg_segment_size: 120
    .language:       OpenCL C
    .language_version:
      - 2
      - 0
    .max_flat_workgroup_size: 256
    .name:           _ZN7rocprim17ROCPRIM_400000_NS6detail17trampoline_kernelINS0_14default_configENS1_29reduce_by_key_config_selectorIijN6thrust23THRUST_200600_302600_NS4plusIjEEEEZZNS1_33reduce_by_key_impl_wrapped_configILNS1_25lookback_scan_determinismE0ES3_S9_NS6_6detail15normal_iteratorINS6_10device_ptrIiEEEENSD_INSE_IjEEEESG_SI_PmS8_NS6_8equal_toIiEEEE10hipError_tPvRmT2_T3_mT4_T5_T6_T7_T8_P12ihipStream_tbENKUlT_T0_E_clISt17integral_constantIbLb0EES12_IbLb1EEEEDaSY_SZ_EUlSY_E_NS1_11comp_targetILNS1_3genE10ELNS1_11target_archE1200ELNS1_3gpuE4ELNS1_3repE0EEENS1_30default_config_static_selectorELNS0_4arch9wavefront6targetE0EEEvT1_
    .private_segment_fixed_size: 0
    .sgpr_count:     0
    .sgpr_spill_count: 0
    .symbol:         _ZN7rocprim17ROCPRIM_400000_NS6detail17trampoline_kernelINS0_14default_configENS1_29reduce_by_key_config_selectorIijN6thrust23THRUST_200600_302600_NS4plusIjEEEEZZNS1_33reduce_by_key_impl_wrapped_configILNS1_25lookback_scan_determinismE0ES3_S9_NS6_6detail15normal_iteratorINS6_10device_ptrIiEEEENSD_INSE_IjEEEESG_SI_PmS8_NS6_8equal_toIiEEEE10hipError_tPvRmT2_T3_mT4_T5_T6_T7_T8_P12ihipStream_tbENKUlT_T0_E_clISt17integral_constantIbLb0EES12_IbLb1EEEEDaSY_SZ_EUlSY_E_NS1_11comp_targetILNS1_3genE10ELNS1_11target_archE1200ELNS1_3gpuE4ELNS1_3repE0EEENS1_30default_config_static_selectorELNS0_4arch9wavefront6targetE0EEEvT1_.kd
    .uniform_work_group_size: 1
    .uses_dynamic_stack: false
    .vgpr_count:     0
    .vgpr_spill_count: 0
    .wavefront_size: 32
    .workgroup_processor_mode: 1
  - .args:
      - .offset:         0
        .size:           120
        .value_kind:     by_value
    .group_segment_fixed_size: 15360
    .kernarg_segment_align: 8
    .kernarg_segment_size: 120
    .language:       OpenCL C
    .language_version:
      - 2
      - 0
    .max_flat_workgroup_size: 256
    .name:           _ZN7rocprim17ROCPRIM_400000_NS6detail17trampoline_kernelINS0_14default_configENS1_29reduce_by_key_config_selectorIijN6thrust23THRUST_200600_302600_NS4plusIjEEEEZZNS1_33reduce_by_key_impl_wrapped_configILNS1_25lookback_scan_determinismE0ES3_S9_NS6_6detail15normal_iteratorINS6_10device_ptrIiEEEENSD_INSE_IjEEEESG_SI_PmS8_NS6_8equal_toIiEEEE10hipError_tPvRmT2_T3_mT4_T5_T6_T7_T8_P12ihipStream_tbENKUlT_T0_E_clISt17integral_constantIbLb0EES12_IbLb1EEEEDaSY_SZ_EUlSY_E_NS1_11comp_targetILNS1_3genE9ELNS1_11target_archE1100ELNS1_3gpuE3ELNS1_3repE0EEENS1_30default_config_static_selectorELNS0_4arch9wavefront6targetE0EEEvT1_
    .private_segment_fixed_size: 0
    .sgpr_count:     46
    .sgpr_spill_count: 0
    .symbol:         _ZN7rocprim17ROCPRIM_400000_NS6detail17trampoline_kernelINS0_14default_configENS1_29reduce_by_key_config_selectorIijN6thrust23THRUST_200600_302600_NS4plusIjEEEEZZNS1_33reduce_by_key_impl_wrapped_configILNS1_25lookback_scan_determinismE0ES3_S9_NS6_6detail15normal_iteratorINS6_10device_ptrIiEEEENSD_INSE_IjEEEESG_SI_PmS8_NS6_8equal_toIiEEEE10hipError_tPvRmT2_T3_mT4_T5_T6_T7_T8_P12ihipStream_tbENKUlT_T0_E_clISt17integral_constantIbLb0EES12_IbLb1EEEEDaSY_SZ_EUlSY_E_NS1_11comp_targetILNS1_3genE9ELNS1_11target_archE1100ELNS1_3gpuE3ELNS1_3repE0EEENS1_30default_config_static_selectorELNS0_4arch9wavefront6targetE0EEEvT1_.kd
    .uniform_work_group_size: 1
    .uses_dynamic_stack: false
    .vgpr_count:     86
    .vgpr_spill_count: 0
    .wavefront_size: 32
    .workgroup_processor_mode: 1
  - .args:
      - .offset:         0
        .size:           120
        .value_kind:     by_value
    .group_segment_fixed_size: 0
    .kernarg_segment_align: 8
    .kernarg_segment_size: 120
    .language:       OpenCL C
    .language_version:
      - 2
      - 0
    .max_flat_workgroup_size: 256
    .name:           _ZN7rocprim17ROCPRIM_400000_NS6detail17trampoline_kernelINS0_14default_configENS1_29reduce_by_key_config_selectorIijN6thrust23THRUST_200600_302600_NS4plusIjEEEEZZNS1_33reduce_by_key_impl_wrapped_configILNS1_25lookback_scan_determinismE0ES3_S9_NS6_6detail15normal_iteratorINS6_10device_ptrIiEEEENSD_INSE_IjEEEESG_SI_PmS8_NS6_8equal_toIiEEEE10hipError_tPvRmT2_T3_mT4_T5_T6_T7_T8_P12ihipStream_tbENKUlT_T0_E_clISt17integral_constantIbLb0EES12_IbLb1EEEEDaSY_SZ_EUlSY_E_NS1_11comp_targetILNS1_3genE8ELNS1_11target_archE1030ELNS1_3gpuE2ELNS1_3repE0EEENS1_30default_config_static_selectorELNS0_4arch9wavefront6targetE0EEEvT1_
    .private_segment_fixed_size: 0
    .sgpr_count:     0
    .sgpr_spill_count: 0
    .symbol:         _ZN7rocprim17ROCPRIM_400000_NS6detail17trampoline_kernelINS0_14default_configENS1_29reduce_by_key_config_selectorIijN6thrust23THRUST_200600_302600_NS4plusIjEEEEZZNS1_33reduce_by_key_impl_wrapped_configILNS1_25lookback_scan_determinismE0ES3_S9_NS6_6detail15normal_iteratorINS6_10device_ptrIiEEEENSD_INSE_IjEEEESG_SI_PmS8_NS6_8equal_toIiEEEE10hipError_tPvRmT2_T3_mT4_T5_T6_T7_T8_P12ihipStream_tbENKUlT_T0_E_clISt17integral_constantIbLb0EES12_IbLb1EEEEDaSY_SZ_EUlSY_E_NS1_11comp_targetILNS1_3genE8ELNS1_11target_archE1030ELNS1_3gpuE2ELNS1_3repE0EEENS1_30default_config_static_selectorELNS0_4arch9wavefront6targetE0EEEvT1_.kd
    .uniform_work_group_size: 1
    .uses_dynamic_stack: false
    .vgpr_count:     0
    .vgpr_spill_count: 0
    .wavefront_size: 32
    .workgroup_processor_mode: 1
  - .args:
      - .offset:         0
        .size:           120
        .value_kind:     by_value
    .group_segment_fixed_size: 0
    .kernarg_segment_align: 8
    .kernarg_segment_size: 120
    .language:       OpenCL C
    .language_version:
      - 2
      - 0
    .max_flat_workgroup_size: 256
    .name:           _ZN7rocprim17ROCPRIM_400000_NS6detail17trampoline_kernelINS0_14default_configENS1_29reduce_by_key_config_selectorIsjN6thrust23THRUST_200600_302600_NS4plusIjEEEEZZNS1_33reduce_by_key_impl_wrapped_configILNS1_25lookback_scan_determinismE0ES3_S9_NS6_6detail15normal_iteratorINS6_10device_ptrIsEEEENSD_INSE_IjEEEESG_SI_PmS8_NS6_8equal_toIsEEEE10hipError_tPvRmT2_T3_mT4_T5_T6_T7_T8_P12ihipStream_tbENKUlT_T0_E_clISt17integral_constantIbLb0EES13_EEDaSY_SZ_EUlSY_E_NS1_11comp_targetILNS1_3genE0ELNS1_11target_archE4294967295ELNS1_3gpuE0ELNS1_3repE0EEENS1_30default_config_static_selectorELNS0_4arch9wavefront6targetE0EEEvT1_
    .private_segment_fixed_size: 0
    .sgpr_count:     0
    .sgpr_spill_count: 0
    .symbol:         _ZN7rocprim17ROCPRIM_400000_NS6detail17trampoline_kernelINS0_14default_configENS1_29reduce_by_key_config_selectorIsjN6thrust23THRUST_200600_302600_NS4plusIjEEEEZZNS1_33reduce_by_key_impl_wrapped_configILNS1_25lookback_scan_determinismE0ES3_S9_NS6_6detail15normal_iteratorINS6_10device_ptrIsEEEENSD_INSE_IjEEEESG_SI_PmS8_NS6_8equal_toIsEEEE10hipError_tPvRmT2_T3_mT4_T5_T6_T7_T8_P12ihipStream_tbENKUlT_T0_E_clISt17integral_constantIbLb0EES13_EEDaSY_SZ_EUlSY_E_NS1_11comp_targetILNS1_3genE0ELNS1_11target_archE4294967295ELNS1_3gpuE0ELNS1_3repE0EEENS1_30default_config_static_selectorELNS0_4arch9wavefront6targetE0EEEvT1_.kd
    .uniform_work_group_size: 1
    .uses_dynamic_stack: false
    .vgpr_count:     0
    .vgpr_spill_count: 0
    .wavefront_size: 32
    .workgroup_processor_mode: 1
  - .args:
      - .offset:         0
        .size:           120
        .value_kind:     by_value
    .group_segment_fixed_size: 0
    .kernarg_segment_align: 8
    .kernarg_segment_size: 120
    .language:       OpenCL C
    .language_version:
      - 2
      - 0
    .max_flat_workgroup_size: 256
    .name:           _ZN7rocprim17ROCPRIM_400000_NS6detail17trampoline_kernelINS0_14default_configENS1_29reduce_by_key_config_selectorIsjN6thrust23THRUST_200600_302600_NS4plusIjEEEEZZNS1_33reduce_by_key_impl_wrapped_configILNS1_25lookback_scan_determinismE0ES3_S9_NS6_6detail15normal_iteratorINS6_10device_ptrIsEEEENSD_INSE_IjEEEESG_SI_PmS8_NS6_8equal_toIsEEEE10hipError_tPvRmT2_T3_mT4_T5_T6_T7_T8_P12ihipStream_tbENKUlT_T0_E_clISt17integral_constantIbLb0EES13_EEDaSY_SZ_EUlSY_E_NS1_11comp_targetILNS1_3genE5ELNS1_11target_archE942ELNS1_3gpuE9ELNS1_3repE0EEENS1_30default_config_static_selectorELNS0_4arch9wavefront6targetE0EEEvT1_
    .private_segment_fixed_size: 0
    .sgpr_count:     0
    .sgpr_spill_count: 0
    .symbol:         _ZN7rocprim17ROCPRIM_400000_NS6detail17trampoline_kernelINS0_14default_configENS1_29reduce_by_key_config_selectorIsjN6thrust23THRUST_200600_302600_NS4plusIjEEEEZZNS1_33reduce_by_key_impl_wrapped_configILNS1_25lookback_scan_determinismE0ES3_S9_NS6_6detail15normal_iteratorINS6_10device_ptrIsEEEENSD_INSE_IjEEEESG_SI_PmS8_NS6_8equal_toIsEEEE10hipError_tPvRmT2_T3_mT4_T5_T6_T7_T8_P12ihipStream_tbENKUlT_T0_E_clISt17integral_constantIbLb0EES13_EEDaSY_SZ_EUlSY_E_NS1_11comp_targetILNS1_3genE5ELNS1_11target_archE942ELNS1_3gpuE9ELNS1_3repE0EEENS1_30default_config_static_selectorELNS0_4arch9wavefront6targetE0EEEvT1_.kd
    .uniform_work_group_size: 1
    .uses_dynamic_stack: false
    .vgpr_count:     0
    .vgpr_spill_count: 0
    .wavefront_size: 32
    .workgroup_processor_mode: 1
  - .args:
      - .offset:         0
        .size:           120
        .value_kind:     by_value
    .group_segment_fixed_size: 0
    .kernarg_segment_align: 8
    .kernarg_segment_size: 120
    .language:       OpenCL C
    .language_version:
      - 2
      - 0
    .max_flat_workgroup_size: 256
    .name:           _ZN7rocprim17ROCPRIM_400000_NS6detail17trampoline_kernelINS0_14default_configENS1_29reduce_by_key_config_selectorIsjN6thrust23THRUST_200600_302600_NS4plusIjEEEEZZNS1_33reduce_by_key_impl_wrapped_configILNS1_25lookback_scan_determinismE0ES3_S9_NS6_6detail15normal_iteratorINS6_10device_ptrIsEEEENSD_INSE_IjEEEESG_SI_PmS8_NS6_8equal_toIsEEEE10hipError_tPvRmT2_T3_mT4_T5_T6_T7_T8_P12ihipStream_tbENKUlT_T0_E_clISt17integral_constantIbLb0EES13_EEDaSY_SZ_EUlSY_E_NS1_11comp_targetILNS1_3genE4ELNS1_11target_archE910ELNS1_3gpuE8ELNS1_3repE0EEENS1_30default_config_static_selectorELNS0_4arch9wavefront6targetE0EEEvT1_
    .private_segment_fixed_size: 0
    .sgpr_count:     0
    .sgpr_spill_count: 0
    .symbol:         _ZN7rocprim17ROCPRIM_400000_NS6detail17trampoline_kernelINS0_14default_configENS1_29reduce_by_key_config_selectorIsjN6thrust23THRUST_200600_302600_NS4plusIjEEEEZZNS1_33reduce_by_key_impl_wrapped_configILNS1_25lookback_scan_determinismE0ES3_S9_NS6_6detail15normal_iteratorINS6_10device_ptrIsEEEENSD_INSE_IjEEEESG_SI_PmS8_NS6_8equal_toIsEEEE10hipError_tPvRmT2_T3_mT4_T5_T6_T7_T8_P12ihipStream_tbENKUlT_T0_E_clISt17integral_constantIbLb0EES13_EEDaSY_SZ_EUlSY_E_NS1_11comp_targetILNS1_3genE4ELNS1_11target_archE910ELNS1_3gpuE8ELNS1_3repE0EEENS1_30default_config_static_selectorELNS0_4arch9wavefront6targetE0EEEvT1_.kd
    .uniform_work_group_size: 1
    .uses_dynamic_stack: false
    .vgpr_count:     0
    .vgpr_spill_count: 0
    .wavefront_size: 32
    .workgroup_processor_mode: 1
  - .args:
      - .offset:         0
        .size:           120
        .value_kind:     by_value
    .group_segment_fixed_size: 0
    .kernarg_segment_align: 8
    .kernarg_segment_size: 120
    .language:       OpenCL C
    .language_version:
      - 2
      - 0
    .max_flat_workgroup_size: 256
    .name:           _ZN7rocprim17ROCPRIM_400000_NS6detail17trampoline_kernelINS0_14default_configENS1_29reduce_by_key_config_selectorIsjN6thrust23THRUST_200600_302600_NS4plusIjEEEEZZNS1_33reduce_by_key_impl_wrapped_configILNS1_25lookback_scan_determinismE0ES3_S9_NS6_6detail15normal_iteratorINS6_10device_ptrIsEEEENSD_INSE_IjEEEESG_SI_PmS8_NS6_8equal_toIsEEEE10hipError_tPvRmT2_T3_mT4_T5_T6_T7_T8_P12ihipStream_tbENKUlT_T0_E_clISt17integral_constantIbLb0EES13_EEDaSY_SZ_EUlSY_E_NS1_11comp_targetILNS1_3genE3ELNS1_11target_archE908ELNS1_3gpuE7ELNS1_3repE0EEENS1_30default_config_static_selectorELNS0_4arch9wavefront6targetE0EEEvT1_
    .private_segment_fixed_size: 0
    .sgpr_count:     0
    .sgpr_spill_count: 0
    .symbol:         _ZN7rocprim17ROCPRIM_400000_NS6detail17trampoline_kernelINS0_14default_configENS1_29reduce_by_key_config_selectorIsjN6thrust23THRUST_200600_302600_NS4plusIjEEEEZZNS1_33reduce_by_key_impl_wrapped_configILNS1_25lookback_scan_determinismE0ES3_S9_NS6_6detail15normal_iteratorINS6_10device_ptrIsEEEENSD_INSE_IjEEEESG_SI_PmS8_NS6_8equal_toIsEEEE10hipError_tPvRmT2_T3_mT4_T5_T6_T7_T8_P12ihipStream_tbENKUlT_T0_E_clISt17integral_constantIbLb0EES13_EEDaSY_SZ_EUlSY_E_NS1_11comp_targetILNS1_3genE3ELNS1_11target_archE908ELNS1_3gpuE7ELNS1_3repE0EEENS1_30default_config_static_selectorELNS0_4arch9wavefront6targetE0EEEvT1_.kd
    .uniform_work_group_size: 1
    .uses_dynamic_stack: false
    .vgpr_count:     0
    .vgpr_spill_count: 0
    .wavefront_size: 32
    .workgroup_processor_mode: 1
  - .args:
      - .offset:         0
        .size:           120
        .value_kind:     by_value
    .group_segment_fixed_size: 0
    .kernarg_segment_align: 8
    .kernarg_segment_size: 120
    .language:       OpenCL C
    .language_version:
      - 2
      - 0
    .max_flat_workgroup_size: 256
    .name:           _ZN7rocprim17ROCPRIM_400000_NS6detail17trampoline_kernelINS0_14default_configENS1_29reduce_by_key_config_selectorIsjN6thrust23THRUST_200600_302600_NS4plusIjEEEEZZNS1_33reduce_by_key_impl_wrapped_configILNS1_25lookback_scan_determinismE0ES3_S9_NS6_6detail15normal_iteratorINS6_10device_ptrIsEEEENSD_INSE_IjEEEESG_SI_PmS8_NS6_8equal_toIsEEEE10hipError_tPvRmT2_T3_mT4_T5_T6_T7_T8_P12ihipStream_tbENKUlT_T0_E_clISt17integral_constantIbLb0EES13_EEDaSY_SZ_EUlSY_E_NS1_11comp_targetILNS1_3genE2ELNS1_11target_archE906ELNS1_3gpuE6ELNS1_3repE0EEENS1_30default_config_static_selectorELNS0_4arch9wavefront6targetE0EEEvT1_
    .private_segment_fixed_size: 0
    .sgpr_count:     0
    .sgpr_spill_count: 0
    .symbol:         _ZN7rocprim17ROCPRIM_400000_NS6detail17trampoline_kernelINS0_14default_configENS1_29reduce_by_key_config_selectorIsjN6thrust23THRUST_200600_302600_NS4plusIjEEEEZZNS1_33reduce_by_key_impl_wrapped_configILNS1_25lookback_scan_determinismE0ES3_S9_NS6_6detail15normal_iteratorINS6_10device_ptrIsEEEENSD_INSE_IjEEEESG_SI_PmS8_NS6_8equal_toIsEEEE10hipError_tPvRmT2_T3_mT4_T5_T6_T7_T8_P12ihipStream_tbENKUlT_T0_E_clISt17integral_constantIbLb0EES13_EEDaSY_SZ_EUlSY_E_NS1_11comp_targetILNS1_3genE2ELNS1_11target_archE906ELNS1_3gpuE6ELNS1_3repE0EEENS1_30default_config_static_selectorELNS0_4arch9wavefront6targetE0EEEvT1_.kd
    .uniform_work_group_size: 1
    .uses_dynamic_stack: false
    .vgpr_count:     0
    .vgpr_spill_count: 0
    .wavefront_size: 32
    .workgroup_processor_mode: 1
  - .args:
      - .offset:         0
        .size:           120
        .value_kind:     by_value
    .group_segment_fixed_size: 0
    .kernarg_segment_align: 8
    .kernarg_segment_size: 120
    .language:       OpenCL C
    .language_version:
      - 2
      - 0
    .max_flat_workgroup_size: 256
    .name:           _ZN7rocprim17ROCPRIM_400000_NS6detail17trampoline_kernelINS0_14default_configENS1_29reduce_by_key_config_selectorIsjN6thrust23THRUST_200600_302600_NS4plusIjEEEEZZNS1_33reduce_by_key_impl_wrapped_configILNS1_25lookback_scan_determinismE0ES3_S9_NS6_6detail15normal_iteratorINS6_10device_ptrIsEEEENSD_INSE_IjEEEESG_SI_PmS8_NS6_8equal_toIsEEEE10hipError_tPvRmT2_T3_mT4_T5_T6_T7_T8_P12ihipStream_tbENKUlT_T0_E_clISt17integral_constantIbLb0EES13_EEDaSY_SZ_EUlSY_E_NS1_11comp_targetILNS1_3genE10ELNS1_11target_archE1201ELNS1_3gpuE5ELNS1_3repE0EEENS1_30default_config_static_selectorELNS0_4arch9wavefront6targetE0EEEvT1_
    .private_segment_fixed_size: 0
    .sgpr_count:     0
    .sgpr_spill_count: 0
    .symbol:         _ZN7rocprim17ROCPRIM_400000_NS6detail17trampoline_kernelINS0_14default_configENS1_29reduce_by_key_config_selectorIsjN6thrust23THRUST_200600_302600_NS4plusIjEEEEZZNS1_33reduce_by_key_impl_wrapped_configILNS1_25lookback_scan_determinismE0ES3_S9_NS6_6detail15normal_iteratorINS6_10device_ptrIsEEEENSD_INSE_IjEEEESG_SI_PmS8_NS6_8equal_toIsEEEE10hipError_tPvRmT2_T3_mT4_T5_T6_T7_T8_P12ihipStream_tbENKUlT_T0_E_clISt17integral_constantIbLb0EES13_EEDaSY_SZ_EUlSY_E_NS1_11comp_targetILNS1_3genE10ELNS1_11target_archE1201ELNS1_3gpuE5ELNS1_3repE0EEENS1_30default_config_static_selectorELNS0_4arch9wavefront6targetE0EEEvT1_.kd
    .uniform_work_group_size: 1
    .uses_dynamic_stack: false
    .vgpr_count:     0
    .vgpr_spill_count: 0
    .wavefront_size: 32
    .workgroup_processor_mode: 1
  - .args:
      - .offset:         0
        .size:           120
        .value_kind:     by_value
    .group_segment_fixed_size: 0
    .kernarg_segment_align: 8
    .kernarg_segment_size: 120
    .language:       OpenCL C
    .language_version:
      - 2
      - 0
    .max_flat_workgroup_size: 256
    .name:           _ZN7rocprim17ROCPRIM_400000_NS6detail17trampoline_kernelINS0_14default_configENS1_29reduce_by_key_config_selectorIsjN6thrust23THRUST_200600_302600_NS4plusIjEEEEZZNS1_33reduce_by_key_impl_wrapped_configILNS1_25lookback_scan_determinismE0ES3_S9_NS6_6detail15normal_iteratorINS6_10device_ptrIsEEEENSD_INSE_IjEEEESG_SI_PmS8_NS6_8equal_toIsEEEE10hipError_tPvRmT2_T3_mT4_T5_T6_T7_T8_P12ihipStream_tbENKUlT_T0_E_clISt17integral_constantIbLb0EES13_EEDaSY_SZ_EUlSY_E_NS1_11comp_targetILNS1_3genE10ELNS1_11target_archE1200ELNS1_3gpuE4ELNS1_3repE0EEENS1_30default_config_static_selectorELNS0_4arch9wavefront6targetE0EEEvT1_
    .private_segment_fixed_size: 0
    .sgpr_count:     0
    .sgpr_spill_count: 0
    .symbol:         _ZN7rocprim17ROCPRIM_400000_NS6detail17trampoline_kernelINS0_14default_configENS1_29reduce_by_key_config_selectorIsjN6thrust23THRUST_200600_302600_NS4plusIjEEEEZZNS1_33reduce_by_key_impl_wrapped_configILNS1_25lookback_scan_determinismE0ES3_S9_NS6_6detail15normal_iteratorINS6_10device_ptrIsEEEENSD_INSE_IjEEEESG_SI_PmS8_NS6_8equal_toIsEEEE10hipError_tPvRmT2_T3_mT4_T5_T6_T7_T8_P12ihipStream_tbENKUlT_T0_E_clISt17integral_constantIbLb0EES13_EEDaSY_SZ_EUlSY_E_NS1_11comp_targetILNS1_3genE10ELNS1_11target_archE1200ELNS1_3gpuE4ELNS1_3repE0EEENS1_30default_config_static_selectorELNS0_4arch9wavefront6targetE0EEEvT1_.kd
    .uniform_work_group_size: 1
    .uses_dynamic_stack: false
    .vgpr_count:     0
    .vgpr_spill_count: 0
    .wavefront_size: 32
    .workgroup_processor_mode: 1
  - .args:
      - .offset:         0
        .size:           120
        .value_kind:     by_value
    .group_segment_fixed_size: 15360
    .kernarg_segment_align: 8
    .kernarg_segment_size: 120
    .language:       OpenCL C
    .language_version:
      - 2
      - 0
    .max_flat_workgroup_size: 256
    .name:           _ZN7rocprim17ROCPRIM_400000_NS6detail17trampoline_kernelINS0_14default_configENS1_29reduce_by_key_config_selectorIsjN6thrust23THRUST_200600_302600_NS4plusIjEEEEZZNS1_33reduce_by_key_impl_wrapped_configILNS1_25lookback_scan_determinismE0ES3_S9_NS6_6detail15normal_iteratorINS6_10device_ptrIsEEEENSD_INSE_IjEEEESG_SI_PmS8_NS6_8equal_toIsEEEE10hipError_tPvRmT2_T3_mT4_T5_T6_T7_T8_P12ihipStream_tbENKUlT_T0_E_clISt17integral_constantIbLb0EES13_EEDaSY_SZ_EUlSY_E_NS1_11comp_targetILNS1_3genE9ELNS1_11target_archE1100ELNS1_3gpuE3ELNS1_3repE0EEENS1_30default_config_static_selectorELNS0_4arch9wavefront6targetE0EEEvT1_
    .private_segment_fixed_size: 0
    .sgpr_count:     46
    .sgpr_spill_count: 0
    .symbol:         _ZN7rocprim17ROCPRIM_400000_NS6detail17trampoline_kernelINS0_14default_configENS1_29reduce_by_key_config_selectorIsjN6thrust23THRUST_200600_302600_NS4plusIjEEEEZZNS1_33reduce_by_key_impl_wrapped_configILNS1_25lookback_scan_determinismE0ES3_S9_NS6_6detail15normal_iteratorINS6_10device_ptrIsEEEENSD_INSE_IjEEEESG_SI_PmS8_NS6_8equal_toIsEEEE10hipError_tPvRmT2_T3_mT4_T5_T6_T7_T8_P12ihipStream_tbENKUlT_T0_E_clISt17integral_constantIbLb0EES13_EEDaSY_SZ_EUlSY_E_NS1_11comp_targetILNS1_3genE9ELNS1_11target_archE1100ELNS1_3gpuE3ELNS1_3repE0EEENS1_30default_config_static_selectorELNS0_4arch9wavefront6targetE0EEEvT1_.kd
    .uniform_work_group_size: 1
    .uses_dynamic_stack: false
    .vgpr_count:     100
    .vgpr_spill_count: 0
    .wavefront_size: 32
    .workgroup_processor_mode: 1
  - .args:
      - .offset:         0
        .size:           120
        .value_kind:     by_value
    .group_segment_fixed_size: 0
    .kernarg_segment_align: 8
    .kernarg_segment_size: 120
    .language:       OpenCL C
    .language_version:
      - 2
      - 0
    .max_flat_workgroup_size: 256
    .name:           _ZN7rocprim17ROCPRIM_400000_NS6detail17trampoline_kernelINS0_14default_configENS1_29reduce_by_key_config_selectorIsjN6thrust23THRUST_200600_302600_NS4plusIjEEEEZZNS1_33reduce_by_key_impl_wrapped_configILNS1_25lookback_scan_determinismE0ES3_S9_NS6_6detail15normal_iteratorINS6_10device_ptrIsEEEENSD_INSE_IjEEEESG_SI_PmS8_NS6_8equal_toIsEEEE10hipError_tPvRmT2_T3_mT4_T5_T6_T7_T8_P12ihipStream_tbENKUlT_T0_E_clISt17integral_constantIbLb0EES13_EEDaSY_SZ_EUlSY_E_NS1_11comp_targetILNS1_3genE8ELNS1_11target_archE1030ELNS1_3gpuE2ELNS1_3repE0EEENS1_30default_config_static_selectorELNS0_4arch9wavefront6targetE0EEEvT1_
    .private_segment_fixed_size: 0
    .sgpr_count:     0
    .sgpr_spill_count: 0
    .symbol:         _ZN7rocprim17ROCPRIM_400000_NS6detail17trampoline_kernelINS0_14default_configENS1_29reduce_by_key_config_selectorIsjN6thrust23THRUST_200600_302600_NS4plusIjEEEEZZNS1_33reduce_by_key_impl_wrapped_configILNS1_25lookback_scan_determinismE0ES3_S9_NS6_6detail15normal_iteratorINS6_10device_ptrIsEEEENSD_INSE_IjEEEESG_SI_PmS8_NS6_8equal_toIsEEEE10hipError_tPvRmT2_T3_mT4_T5_T6_T7_T8_P12ihipStream_tbENKUlT_T0_E_clISt17integral_constantIbLb0EES13_EEDaSY_SZ_EUlSY_E_NS1_11comp_targetILNS1_3genE8ELNS1_11target_archE1030ELNS1_3gpuE2ELNS1_3repE0EEENS1_30default_config_static_selectorELNS0_4arch9wavefront6targetE0EEEvT1_.kd
    .uniform_work_group_size: 1
    .uses_dynamic_stack: false
    .vgpr_count:     0
    .vgpr_spill_count: 0
    .wavefront_size: 32
    .workgroup_processor_mode: 1
  - .args:
      - .offset:         0
        .size:           120
        .value_kind:     by_value
    .group_segment_fixed_size: 0
    .kernarg_segment_align: 8
    .kernarg_segment_size: 120
    .language:       OpenCL C
    .language_version:
      - 2
      - 0
    .max_flat_workgroup_size: 256
    .name:           _ZN7rocprim17ROCPRIM_400000_NS6detail17trampoline_kernelINS0_14default_configENS1_29reduce_by_key_config_selectorIsjN6thrust23THRUST_200600_302600_NS4plusIjEEEEZZNS1_33reduce_by_key_impl_wrapped_configILNS1_25lookback_scan_determinismE0ES3_S9_NS6_6detail15normal_iteratorINS6_10device_ptrIsEEEENSD_INSE_IjEEEESG_SI_PmS8_NS6_8equal_toIsEEEE10hipError_tPvRmT2_T3_mT4_T5_T6_T7_T8_P12ihipStream_tbENKUlT_T0_E_clISt17integral_constantIbLb1EES13_EEDaSY_SZ_EUlSY_E_NS1_11comp_targetILNS1_3genE0ELNS1_11target_archE4294967295ELNS1_3gpuE0ELNS1_3repE0EEENS1_30default_config_static_selectorELNS0_4arch9wavefront6targetE0EEEvT1_
    .private_segment_fixed_size: 0
    .sgpr_count:     0
    .sgpr_spill_count: 0
    .symbol:         _ZN7rocprim17ROCPRIM_400000_NS6detail17trampoline_kernelINS0_14default_configENS1_29reduce_by_key_config_selectorIsjN6thrust23THRUST_200600_302600_NS4plusIjEEEEZZNS1_33reduce_by_key_impl_wrapped_configILNS1_25lookback_scan_determinismE0ES3_S9_NS6_6detail15normal_iteratorINS6_10device_ptrIsEEEENSD_INSE_IjEEEESG_SI_PmS8_NS6_8equal_toIsEEEE10hipError_tPvRmT2_T3_mT4_T5_T6_T7_T8_P12ihipStream_tbENKUlT_T0_E_clISt17integral_constantIbLb1EES13_EEDaSY_SZ_EUlSY_E_NS1_11comp_targetILNS1_3genE0ELNS1_11target_archE4294967295ELNS1_3gpuE0ELNS1_3repE0EEENS1_30default_config_static_selectorELNS0_4arch9wavefront6targetE0EEEvT1_.kd
    .uniform_work_group_size: 1
    .uses_dynamic_stack: false
    .vgpr_count:     0
    .vgpr_spill_count: 0
    .wavefront_size: 32
    .workgroup_processor_mode: 1
  - .args:
      - .offset:         0
        .size:           120
        .value_kind:     by_value
    .group_segment_fixed_size: 0
    .kernarg_segment_align: 8
    .kernarg_segment_size: 120
    .language:       OpenCL C
    .language_version:
      - 2
      - 0
    .max_flat_workgroup_size: 256
    .name:           _ZN7rocprim17ROCPRIM_400000_NS6detail17trampoline_kernelINS0_14default_configENS1_29reduce_by_key_config_selectorIsjN6thrust23THRUST_200600_302600_NS4plusIjEEEEZZNS1_33reduce_by_key_impl_wrapped_configILNS1_25lookback_scan_determinismE0ES3_S9_NS6_6detail15normal_iteratorINS6_10device_ptrIsEEEENSD_INSE_IjEEEESG_SI_PmS8_NS6_8equal_toIsEEEE10hipError_tPvRmT2_T3_mT4_T5_T6_T7_T8_P12ihipStream_tbENKUlT_T0_E_clISt17integral_constantIbLb1EES13_EEDaSY_SZ_EUlSY_E_NS1_11comp_targetILNS1_3genE5ELNS1_11target_archE942ELNS1_3gpuE9ELNS1_3repE0EEENS1_30default_config_static_selectorELNS0_4arch9wavefront6targetE0EEEvT1_
    .private_segment_fixed_size: 0
    .sgpr_count:     0
    .sgpr_spill_count: 0
    .symbol:         _ZN7rocprim17ROCPRIM_400000_NS6detail17trampoline_kernelINS0_14default_configENS1_29reduce_by_key_config_selectorIsjN6thrust23THRUST_200600_302600_NS4plusIjEEEEZZNS1_33reduce_by_key_impl_wrapped_configILNS1_25lookback_scan_determinismE0ES3_S9_NS6_6detail15normal_iteratorINS6_10device_ptrIsEEEENSD_INSE_IjEEEESG_SI_PmS8_NS6_8equal_toIsEEEE10hipError_tPvRmT2_T3_mT4_T5_T6_T7_T8_P12ihipStream_tbENKUlT_T0_E_clISt17integral_constantIbLb1EES13_EEDaSY_SZ_EUlSY_E_NS1_11comp_targetILNS1_3genE5ELNS1_11target_archE942ELNS1_3gpuE9ELNS1_3repE0EEENS1_30default_config_static_selectorELNS0_4arch9wavefront6targetE0EEEvT1_.kd
    .uniform_work_group_size: 1
    .uses_dynamic_stack: false
    .vgpr_count:     0
    .vgpr_spill_count: 0
    .wavefront_size: 32
    .workgroup_processor_mode: 1
  - .args:
      - .offset:         0
        .size:           120
        .value_kind:     by_value
    .group_segment_fixed_size: 0
    .kernarg_segment_align: 8
    .kernarg_segment_size: 120
    .language:       OpenCL C
    .language_version:
      - 2
      - 0
    .max_flat_workgroup_size: 256
    .name:           _ZN7rocprim17ROCPRIM_400000_NS6detail17trampoline_kernelINS0_14default_configENS1_29reduce_by_key_config_selectorIsjN6thrust23THRUST_200600_302600_NS4plusIjEEEEZZNS1_33reduce_by_key_impl_wrapped_configILNS1_25lookback_scan_determinismE0ES3_S9_NS6_6detail15normal_iteratorINS6_10device_ptrIsEEEENSD_INSE_IjEEEESG_SI_PmS8_NS6_8equal_toIsEEEE10hipError_tPvRmT2_T3_mT4_T5_T6_T7_T8_P12ihipStream_tbENKUlT_T0_E_clISt17integral_constantIbLb1EES13_EEDaSY_SZ_EUlSY_E_NS1_11comp_targetILNS1_3genE4ELNS1_11target_archE910ELNS1_3gpuE8ELNS1_3repE0EEENS1_30default_config_static_selectorELNS0_4arch9wavefront6targetE0EEEvT1_
    .private_segment_fixed_size: 0
    .sgpr_count:     0
    .sgpr_spill_count: 0
    .symbol:         _ZN7rocprim17ROCPRIM_400000_NS6detail17trampoline_kernelINS0_14default_configENS1_29reduce_by_key_config_selectorIsjN6thrust23THRUST_200600_302600_NS4plusIjEEEEZZNS1_33reduce_by_key_impl_wrapped_configILNS1_25lookback_scan_determinismE0ES3_S9_NS6_6detail15normal_iteratorINS6_10device_ptrIsEEEENSD_INSE_IjEEEESG_SI_PmS8_NS6_8equal_toIsEEEE10hipError_tPvRmT2_T3_mT4_T5_T6_T7_T8_P12ihipStream_tbENKUlT_T0_E_clISt17integral_constantIbLb1EES13_EEDaSY_SZ_EUlSY_E_NS1_11comp_targetILNS1_3genE4ELNS1_11target_archE910ELNS1_3gpuE8ELNS1_3repE0EEENS1_30default_config_static_selectorELNS0_4arch9wavefront6targetE0EEEvT1_.kd
    .uniform_work_group_size: 1
    .uses_dynamic_stack: false
    .vgpr_count:     0
    .vgpr_spill_count: 0
    .wavefront_size: 32
    .workgroup_processor_mode: 1
  - .args:
      - .offset:         0
        .size:           120
        .value_kind:     by_value
    .group_segment_fixed_size: 0
    .kernarg_segment_align: 8
    .kernarg_segment_size: 120
    .language:       OpenCL C
    .language_version:
      - 2
      - 0
    .max_flat_workgroup_size: 256
    .name:           _ZN7rocprim17ROCPRIM_400000_NS6detail17trampoline_kernelINS0_14default_configENS1_29reduce_by_key_config_selectorIsjN6thrust23THRUST_200600_302600_NS4plusIjEEEEZZNS1_33reduce_by_key_impl_wrapped_configILNS1_25lookback_scan_determinismE0ES3_S9_NS6_6detail15normal_iteratorINS6_10device_ptrIsEEEENSD_INSE_IjEEEESG_SI_PmS8_NS6_8equal_toIsEEEE10hipError_tPvRmT2_T3_mT4_T5_T6_T7_T8_P12ihipStream_tbENKUlT_T0_E_clISt17integral_constantIbLb1EES13_EEDaSY_SZ_EUlSY_E_NS1_11comp_targetILNS1_3genE3ELNS1_11target_archE908ELNS1_3gpuE7ELNS1_3repE0EEENS1_30default_config_static_selectorELNS0_4arch9wavefront6targetE0EEEvT1_
    .private_segment_fixed_size: 0
    .sgpr_count:     0
    .sgpr_spill_count: 0
    .symbol:         _ZN7rocprim17ROCPRIM_400000_NS6detail17trampoline_kernelINS0_14default_configENS1_29reduce_by_key_config_selectorIsjN6thrust23THRUST_200600_302600_NS4plusIjEEEEZZNS1_33reduce_by_key_impl_wrapped_configILNS1_25lookback_scan_determinismE0ES3_S9_NS6_6detail15normal_iteratorINS6_10device_ptrIsEEEENSD_INSE_IjEEEESG_SI_PmS8_NS6_8equal_toIsEEEE10hipError_tPvRmT2_T3_mT4_T5_T6_T7_T8_P12ihipStream_tbENKUlT_T0_E_clISt17integral_constantIbLb1EES13_EEDaSY_SZ_EUlSY_E_NS1_11comp_targetILNS1_3genE3ELNS1_11target_archE908ELNS1_3gpuE7ELNS1_3repE0EEENS1_30default_config_static_selectorELNS0_4arch9wavefront6targetE0EEEvT1_.kd
    .uniform_work_group_size: 1
    .uses_dynamic_stack: false
    .vgpr_count:     0
    .vgpr_spill_count: 0
    .wavefront_size: 32
    .workgroup_processor_mode: 1
  - .args:
      - .offset:         0
        .size:           120
        .value_kind:     by_value
    .group_segment_fixed_size: 0
    .kernarg_segment_align: 8
    .kernarg_segment_size: 120
    .language:       OpenCL C
    .language_version:
      - 2
      - 0
    .max_flat_workgroup_size: 256
    .name:           _ZN7rocprim17ROCPRIM_400000_NS6detail17trampoline_kernelINS0_14default_configENS1_29reduce_by_key_config_selectorIsjN6thrust23THRUST_200600_302600_NS4plusIjEEEEZZNS1_33reduce_by_key_impl_wrapped_configILNS1_25lookback_scan_determinismE0ES3_S9_NS6_6detail15normal_iteratorINS6_10device_ptrIsEEEENSD_INSE_IjEEEESG_SI_PmS8_NS6_8equal_toIsEEEE10hipError_tPvRmT2_T3_mT4_T5_T6_T7_T8_P12ihipStream_tbENKUlT_T0_E_clISt17integral_constantIbLb1EES13_EEDaSY_SZ_EUlSY_E_NS1_11comp_targetILNS1_3genE2ELNS1_11target_archE906ELNS1_3gpuE6ELNS1_3repE0EEENS1_30default_config_static_selectorELNS0_4arch9wavefront6targetE0EEEvT1_
    .private_segment_fixed_size: 0
    .sgpr_count:     0
    .sgpr_spill_count: 0
    .symbol:         _ZN7rocprim17ROCPRIM_400000_NS6detail17trampoline_kernelINS0_14default_configENS1_29reduce_by_key_config_selectorIsjN6thrust23THRUST_200600_302600_NS4plusIjEEEEZZNS1_33reduce_by_key_impl_wrapped_configILNS1_25lookback_scan_determinismE0ES3_S9_NS6_6detail15normal_iteratorINS6_10device_ptrIsEEEENSD_INSE_IjEEEESG_SI_PmS8_NS6_8equal_toIsEEEE10hipError_tPvRmT2_T3_mT4_T5_T6_T7_T8_P12ihipStream_tbENKUlT_T0_E_clISt17integral_constantIbLb1EES13_EEDaSY_SZ_EUlSY_E_NS1_11comp_targetILNS1_3genE2ELNS1_11target_archE906ELNS1_3gpuE6ELNS1_3repE0EEENS1_30default_config_static_selectorELNS0_4arch9wavefront6targetE0EEEvT1_.kd
    .uniform_work_group_size: 1
    .uses_dynamic_stack: false
    .vgpr_count:     0
    .vgpr_spill_count: 0
    .wavefront_size: 32
    .workgroup_processor_mode: 1
  - .args:
      - .offset:         0
        .size:           120
        .value_kind:     by_value
    .group_segment_fixed_size: 0
    .kernarg_segment_align: 8
    .kernarg_segment_size: 120
    .language:       OpenCL C
    .language_version:
      - 2
      - 0
    .max_flat_workgroup_size: 256
    .name:           _ZN7rocprim17ROCPRIM_400000_NS6detail17trampoline_kernelINS0_14default_configENS1_29reduce_by_key_config_selectorIsjN6thrust23THRUST_200600_302600_NS4plusIjEEEEZZNS1_33reduce_by_key_impl_wrapped_configILNS1_25lookback_scan_determinismE0ES3_S9_NS6_6detail15normal_iteratorINS6_10device_ptrIsEEEENSD_INSE_IjEEEESG_SI_PmS8_NS6_8equal_toIsEEEE10hipError_tPvRmT2_T3_mT4_T5_T6_T7_T8_P12ihipStream_tbENKUlT_T0_E_clISt17integral_constantIbLb1EES13_EEDaSY_SZ_EUlSY_E_NS1_11comp_targetILNS1_3genE10ELNS1_11target_archE1201ELNS1_3gpuE5ELNS1_3repE0EEENS1_30default_config_static_selectorELNS0_4arch9wavefront6targetE0EEEvT1_
    .private_segment_fixed_size: 0
    .sgpr_count:     0
    .sgpr_spill_count: 0
    .symbol:         _ZN7rocprim17ROCPRIM_400000_NS6detail17trampoline_kernelINS0_14default_configENS1_29reduce_by_key_config_selectorIsjN6thrust23THRUST_200600_302600_NS4plusIjEEEEZZNS1_33reduce_by_key_impl_wrapped_configILNS1_25lookback_scan_determinismE0ES3_S9_NS6_6detail15normal_iteratorINS6_10device_ptrIsEEEENSD_INSE_IjEEEESG_SI_PmS8_NS6_8equal_toIsEEEE10hipError_tPvRmT2_T3_mT4_T5_T6_T7_T8_P12ihipStream_tbENKUlT_T0_E_clISt17integral_constantIbLb1EES13_EEDaSY_SZ_EUlSY_E_NS1_11comp_targetILNS1_3genE10ELNS1_11target_archE1201ELNS1_3gpuE5ELNS1_3repE0EEENS1_30default_config_static_selectorELNS0_4arch9wavefront6targetE0EEEvT1_.kd
    .uniform_work_group_size: 1
    .uses_dynamic_stack: false
    .vgpr_count:     0
    .vgpr_spill_count: 0
    .wavefront_size: 32
    .workgroup_processor_mode: 1
  - .args:
      - .offset:         0
        .size:           120
        .value_kind:     by_value
    .group_segment_fixed_size: 0
    .kernarg_segment_align: 8
    .kernarg_segment_size: 120
    .language:       OpenCL C
    .language_version:
      - 2
      - 0
    .max_flat_workgroup_size: 256
    .name:           _ZN7rocprim17ROCPRIM_400000_NS6detail17trampoline_kernelINS0_14default_configENS1_29reduce_by_key_config_selectorIsjN6thrust23THRUST_200600_302600_NS4plusIjEEEEZZNS1_33reduce_by_key_impl_wrapped_configILNS1_25lookback_scan_determinismE0ES3_S9_NS6_6detail15normal_iteratorINS6_10device_ptrIsEEEENSD_INSE_IjEEEESG_SI_PmS8_NS6_8equal_toIsEEEE10hipError_tPvRmT2_T3_mT4_T5_T6_T7_T8_P12ihipStream_tbENKUlT_T0_E_clISt17integral_constantIbLb1EES13_EEDaSY_SZ_EUlSY_E_NS1_11comp_targetILNS1_3genE10ELNS1_11target_archE1200ELNS1_3gpuE4ELNS1_3repE0EEENS1_30default_config_static_selectorELNS0_4arch9wavefront6targetE0EEEvT1_
    .private_segment_fixed_size: 0
    .sgpr_count:     0
    .sgpr_spill_count: 0
    .symbol:         _ZN7rocprim17ROCPRIM_400000_NS6detail17trampoline_kernelINS0_14default_configENS1_29reduce_by_key_config_selectorIsjN6thrust23THRUST_200600_302600_NS4plusIjEEEEZZNS1_33reduce_by_key_impl_wrapped_configILNS1_25lookback_scan_determinismE0ES3_S9_NS6_6detail15normal_iteratorINS6_10device_ptrIsEEEENSD_INSE_IjEEEESG_SI_PmS8_NS6_8equal_toIsEEEE10hipError_tPvRmT2_T3_mT4_T5_T6_T7_T8_P12ihipStream_tbENKUlT_T0_E_clISt17integral_constantIbLb1EES13_EEDaSY_SZ_EUlSY_E_NS1_11comp_targetILNS1_3genE10ELNS1_11target_archE1200ELNS1_3gpuE4ELNS1_3repE0EEENS1_30default_config_static_selectorELNS0_4arch9wavefront6targetE0EEEvT1_.kd
    .uniform_work_group_size: 1
    .uses_dynamic_stack: false
    .vgpr_count:     0
    .vgpr_spill_count: 0
    .wavefront_size: 32
    .workgroup_processor_mode: 1
  - .args:
      - .offset:         0
        .size:           120
        .value_kind:     by_value
    .group_segment_fixed_size: 15360
    .kernarg_segment_align: 8
    .kernarg_segment_size: 120
    .language:       OpenCL C
    .language_version:
      - 2
      - 0
    .max_flat_workgroup_size: 256
    .name:           _ZN7rocprim17ROCPRIM_400000_NS6detail17trampoline_kernelINS0_14default_configENS1_29reduce_by_key_config_selectorIsjN6thrust23THRUST_200600_302600_NS4plusIjEEEEZZNS1_33reduce_by_key_impl_wrapped_configILNS1_25lookback_scan_determinismE0ES3_S9_NS6_6detail15normal_iteratorINS6_10device_ptrIsEEEENSD_INSE_IjEEEESG_SI_PmS8_NS6_8equal_toIsEEEE10hipError_tPvRmT2_T3_mT4_T5_T6_T7_T8_P12ihipStream_tbENKUlT_T0_E_clISt17integral_constantIbLb1EES13_EEDaSY_SZ_EUlSY_E_NS1_11comp_targetILNS1_3genE9ELNS1_11target_archE1100ELNS1_3gpuE3ELNS1_3repE0EEENS1_30default_config_static_selectorELNS0_4arch9wavefront6targetE0EEEvT1_
    .private_segment_fixed_size: 0
    .sgpr_count:     48
    .sgpr_spill_count: 0
    .symbol:         _ZN7rocprim17ROCPRIM_400000_NS6detail17trampoline_kernelINS0_14default_configENS1_29reduce_by_key_config_selectorIsjN6thrust23THRUST_200600_302600_NS4plusIjEEEEZZNS1_33reduce_by_key_impl_wrapped_configILNS1_25lookback_scan_determinismE0ES3_S9_NS6_6detail15normal_iteratorINS6_10device_ptrIsEEEENSD_INSE_IjEEEESG_SI_PmS8_NS6_8equal_toIsEEEE10hipError_tPvRmT2_T3_mT4_T5_T6_T7_T8_P12ihipStream_tbENKUlT_T0_E_clISt17integral_constantIbLb1EES13_EEDaSY_SZ_EUlSY_E_NS1_11comp_targetILNS1_3genE9ELNS1_11target_archE1100ELNS1_3gpuE3ELNS1_3repE0EEENS1_30default_config_static_selectorELNS0_4arch9wavefront6targetE0EEEvT1_.kd
    .uniform_work_group_size: 1
    .uses_dynamic_stack: false
    .vgpr_count:     100
    .vgpr_spill_count: 0
    .wavefront_size: 32
    .workgroup_processor_mode: 1
  - .args:
      - .offset:         0
        .size:           120
        .value_kind:     by_value
    .group_segment_fixed_size: 0
    .kernarg_segment_align: 8
    .kernarg_segment_size: 120
    .language:       OpenCL C
    .language_version:
      - 2
      - 0
    .max_flat_workgroup_size: 256
    .name:           _ZN7rocprim17ROCPRIM_400000_NS6detail17trampoline_kernelINS0_14default_configENS1_29reduce_by_key_config_selectorIsjN6thrust23THRUST_200600_302600_NS4plusIjEEEEZZNS1_33reduce_by_key_impl_wrapped_configILNS1_25lookback_scan_determinismE0ES3_S9_NS6_6detail15normal_iteratorINS6_10device_ptrIsEEEENSD_INSE_IjEEEESG_SI_PmS8_NS6_8equal_toIsEEEE10hipError_tPvRmT2_T3_mT4_T5_T6_T7_T8_P12ihipStream_tbENKUlT_T0_E_clISt17integral_constantIbLb1EES13_EEDaSY_SZ_EUlSY_E_NS1_11comp_targetILNS1_3genE8ELNS1_11target_archE1030ELNS1_3gpuE2ELNS1_3repE0EEENS1_30default_config_static_selectorELNS0_4arch9wavefront6targetE0EEEvT1_
    .private_segment_fixed_size: 0
    .sgpr_count:     0
    .sgpr_spill_count: 0
    .symbol:         _ZN7rocprim17ROCPRIM_400000_NS6detail17trampoline_kernelINS0_14default_configENS1_29reduce_by_key_config_selectorIsjN6thrust23THRUST_200600_302600_NS4plusIjEEEEZZNS1_33reduce_by_key_impl_wrapped_configILNS1_25lookback_scan_determinismE0ES3_S9_NS6_6detail15normal_iteratorINS6_10device_ptrIsEEEENSD_INSE_IjEEEESG_SI_PmS8_NS6_8equal_toIsEEEE10hipError_tPvRmT2_T3_mT4_T5_T6_T7_T8_P12ihipStream_tbENKUlT_T0_E_clISt17integral_constantIbLb1EES13_EEDaSY_SZ_EUlSY_E_NS1_11comp_targetILNS1_3genE8ELNS1_11target_archE1030ELNS1_3gpuE2ELNS1_3repE0EEENS1_30default_config_static_selectorELNS0_4arch9wavefront6targetE0EEEvT1_.kd
    .uniform_work_group_size: 1
    .uses_dynamic_stack: false
    .vgpr_count:     0
    .vgpr_spill_count: 0
    .wavefront_size: 32
    .workgroup_processor_mode: 1
  - .args:
      - .offset:         0
        .size:           120
        .value_kind:     by_value
    .group_segment_fixed_size: 0
    .kernarg_segment_align: 8
    .kernarg_segment_size: 120
    .language:       OpenCL C
    .language_version:
      - 2
      - 0
    .max_flat_workgroup_size: 256
    .name:           _ZN7rocprim17ROCPRIM_400000_NS6detail17trampoline_kernelINS0_14default_configENS1_29reduce_by_key_config_selectorIsjN6thrust23THRUST_200600_302600_NS4plusIjEEEEZZNS1_33reduce_by_key_impl_wrapped_configILNS1_25lookback_scan_determinismE0ES3_S9_NS6_6detail15normal_iteratorINS6_10device_ptrIsEEEENSD_INSE_IjEEEESG_SI_PmS8_NS6_8equal_toIsEEEE10hipError_tPvRmT2_T3_mT4_T5_T6_T7_T8_P12ihipStream_tbENKUlT_T0_E_clISt17integral_constantIbLb1EES12_IbLb0EEEEDaSY_SZ_EUlSY_E_NS1_11comp_targetILNS1_3genE0ELNS1_11target_archE4294967295ELNS1_3gpuE0ELNS1_3repE0EEENS1_30default_config_static_selectorELNS0_4arch9wavefront6targetE0EEEvT1_
    .private_segment_fixed_size: 0
    .sgpr_count:     0
    .sgpr_spill_count: 0
    .symbol:         _ZN7rocprim17ROCPRIM_400000_NS6detail17trampoline_kernelINS0_14default_configENS1_29reduce_by_key_config_selectorIsjN6thrust23THRUST_200600_302600_NS4plusIjEEEEZZNS1_33reduce_by_key_impl_wrapped_configILNS1_25lookback_scan_determinismE0ES3_S9_NS6_6detail15normal_iteratorINS6_10device_ptrIsEEEENSD_INSE_IjEEEESG_SI_PmS8_NS6_8equal_toIsEEEE10hipError_tPvRmT2_T3_mT4_T5_T6_T7_T8_P12ihipStream_tbENKUlT_T0_E_clISt17integral_constantIbLb1EES12_IbLb0EEEEDaSY_SZ_EUlSY_E_NS1_11comp_targetILNS1_3genE0ELNS1_11target_archE4294967295ELNS1_3gpuE0ELNS1_3repE0EEENS1_30default_config_static_selectorELNS0_4arch9wavefront6targetE0EEEvT1_.kd
    .uniform_work_group_size: 1
    .uses_dynamic_stack: false
    .vgpr_count:     0
    .vgpr_spill_count: 0
    .wavefront_size: 32
    .workgroup_processor_mode: 1
  - .args:
      - .offset:         0
        .size:           120
        .value_kind:     by_value
    .group_segment_fixed_size: 0
    .kernarg_segment_align: 8
    .kernarg_segment_size: 120
    .language:       OpenCL C
    .language_version:
      - 2
      - 0
    .max_flat_workgroup_size: 256
    .name:           _ZN7rocprim17ROCPRIM_400000_NS6detail17trampoline_kernelINS0_14default_configENS1_29reduce_by_key_config_selectorIsjN6thrust23THRUST_200600_302600_NS4plusIjEEEEZZNS1_33reduce_by_key_impl_wrapped_configILNS1_25lookback_scan_determinismE0ES3_S9_NS6_6detail15normal_iteratorINS6_10device_ptrIsEEEENSD_INSE_IjEEEESG_SI_PmS8_NS6_8equal_toIsEEEE10hipError_tPvRmT2_T3_mT4_T5_T6_T7_T8_P12ihipStream_tbENKUlT_T0_E_clISt17integral_constantIbLb1EES12_IbLb0EEEEDaSY_SZ_EUlSY_E_NS1_11comp_targetILNS1_3genE5ELNS1_11target_archE942ELNS1_3gpuE9ELNS1_3repE0EEENS1_30default_config_static_selectorELNS0_4arch9wavefront6targetE0EEEvT1_
    .private_segment_fixed_size: 0
    .sgpr_count:     0
    .sgpr_spill_count: 0
    .symbol:         _ZN7rocprim17ROCPRIM_400000_NS6detail17trampoline_kernelINS0_14default_configENS1_29reduce_by_key_config_selectorIsjN6thrust23THRUST_200600_302600_NS4plusIjEEEEZZNS1_33reduce_by_key_impl_wrapped_configILNS1_25lookback_scan_determinismE0ES3_S9_NS6_6detail15normal_iteratorINS6_10device_ptrIsEEEENSD_INSE_IjEEEESG_SI_PmS8_NS6_8equal_toIsEEEE10hipError_tPvRmT2_T3_mT4_T5_T6_T7_T8_P12ihipStream_tbENKUlT_T0_E_clISt17integral_constantIbLb1EES12_IbLb0EEEEDaSY_SZ_EUlSY_E_NS1_11comp_targetILNS1_3genE5ELNS1_11target_archE942ELNS1_3gpuE9ELNS1_3repE0EEENS1_30default_config_static_selectorELNS0_4arch9wavefront6targetE0EEEvT1_.kd
    .uniform_work_group_size: 1
    .uses_dynamic_stack: false
    .vgpr_count:     0
    .vgpr_spill_count: 0
    .wavefront_size: 32
    .workgroup_processor_mode: 1
  - .args:
      - .offset:         0
        .size:           120
        .value_kind:     by_value
    .group_segment_fixed_size: 0
    .kernarg_segment_align: 8
    .kernarg_segment_size: 120
    .language:       OpenCL C
    .language_version:
      - 2
      - 0
    .max_flat_workgroup_size: 256
    .name:           _ZN7rocprim17ROCPRIM_400000_NS6detail17trampoline_kernelINS0_14default_configENS1_29reduce_by_key_config_selectorIsjN6thrust23THRUST_200600_302600_NS4plusIjEEEEZZNS1_33reduce_by_key_impl_wrapped_configILNS1_25lookback_scan_determinismE0ES3_S9_NS6_6detail15normal_iteratorINS6_10device_ptrIsEEEENSD_INSE_IjEEEESG_SI_PmS8_NS6_8equal_toIsEEEE10hipError_tPvRmT2_T3_mT4_T5_T6_T7_T8_P12ihipStream_tbENKUlT_T0_E_clISt17integral_constantIbLb1EES12_IbLb0EEEEDaSY_SZ_EUlSY_E_NS1_11comp_targetILNS1_3genE4ELNS1_11target_archE910ELNS1_3gpuE8ELNS1_3repE0EEENS1_30default_config_static_selectorELNS0_4arch9wavefront6targetE0EEEvT1_
    .private_segment_fixed_size: 0
    .sgpr_count:     0
    .sgpr_spill_count: 0
    .symbol:         _ZN7rocprim17ROCPRIM_400000_NS6detail17trampoline_kernelINS0_14default_configENS1_29reduce_by_key_config_selectorIsjN6thrust23THRUST_200600_302600_NS4plusIjEEEEZZNS1_33reduce_by_key_impl_wrapped_configILNS1_25lookback_scan_determinismE0ES3_S9_NS6_6detail15normal_iteratorINS6_10device_ptrIsEEEENSD_INSE_IjEEEESG_SI_PmS8_NS6_8equal_toIsEEEE10hipError_tPvRmT2_T3_mT4_T5_T6_T7_T8_P12ihipStream_tbENKUlT_T0_E_clISt17integral_constantIbLb1EES12_IbLb0EEEEDaSY_SZ_EUlSY_E_NS1_11comp_targetILNS1_3genE4ELNS1_11target_archE910ELNS1_3gpuE8ELNS1_3repE0EEENS1_30default_config_static_selectorELNS0_4arch9wavefront6targetE0EEEvT1_.kd
    .uniform_work_group_size: 1
    .uses_dynamic_stack: false
    .vgpr_count:     0
    .vgpr_spill_count: 0
    .wavefront_size: 32
    .workgroup_processor_mode: 1
  - .args:
      - .offset:         0
        .size:           120
        .value_kind:     by_value
    .group_segment_fixed_size: 0
    .kernarg_segment_align: 8
    .kernarg_segment_size: 120
    .language:       OpenCL C
    .language_version:
      - 2
      - 0
    .max_flat_workgroup_size: 256
    .name:           _ZN7rocprim17ROCPRIM_400000_NS6detail17trampoline_kernelINS0_14default_configENS1_29reduce_by_key_config_selectorIsjN6thrust23THRUST_200600_302600_NS4plusIjEEEEZZNS1_33reduce_by_key_impl_wrapped_configILNS1_25lookback_scan_determinismE0ES3_S9_NS6_6detail15normal_iteratorINS6_10device_ptrIsEEEENSD_INSE_IjEEEESG_SI_PmS8_NS6_8equal_toIsEEEE10hipError_tPvRmT2_T3_mT4_T5_T6_T7_T8_P12ihipStream_tbENKUlT_T0_E_clISt17integral_constantIbLb1EES12_IbLb0EEEEDaSY_SZ_EUlSY_E_NS1_11comp_targetILNS1_3genE3ELNS1_11target_archE908ELNS1_3gpuE7ELNS1_3repE0EEENS1_30default_config_static_selectorELNS0_4arch9wavefront6targetE0EEEvT1_
    .private_segment_fixed_size: 0
    .sgpr_count:     0
    .sgpr_spill_count: 0
    .symbol:         _ZN7rocprim17ROCPRIM_400000_NS6detail17trampoline_kernelINS0_14default_configENS1_29reduce_by_key_config_selectorIsjN6thrust23THRUST_200600_302600_NS4plusIjEEEEZZNS1_33reduce_by_key_impl_wrapped_configILNS1_25lookback_scan_determinismE0ES3_S9_NS6_6detail15normal_iteratorINS6_10device_ptrIsEEEENSD_INSE_IjEEEESG_SI_PmS8_NS6_8equal_toIsEEEE10hipError_tPvRmT2_T3_mT4_T5_T6_T7_T8_P12ihipStream_tbENKUlT_T0_E_clISt17integral_constantIbLb1EES12_IbLb0EEEEDaSY_SZ_EUlSY_E_NS1_11comp_targetILNS1_3genE3ELNS1_11target_archE908ELNS1_3gpuE7ELNS1_3repE0EEENS1_30default_config_static_selectorELNS0_4arch9wavefront6targetE0EEEvT1_.kd
    .uniform_work_group_size: 1
    .uses_dynamic_stack: false
    .vgpr_count:     0
    .vgpr_spill_count: 0
    .wavefront_size: 32
    .workgroup_processor_mode: 1
  - .args:
      - .offset:         0
        .size:           120
        .value_kind:     by_value
    .group_segment_fixed_size: 0
    .kernarg_segment_align: 8
    .kernarg_segment_size: 120
    .language:       OpenCL C
    .language_version:
      - 2
      - 0
    .max_flat_workgroup_size: 256
    .name:           _ZN7rocprim17ROCPRIM_400000_NS6detail17trampoline_kernelINS0_14default_configENS1_29reduce_by_key_config_selectorIsjN6thrust23THRUST_200600_302600_NS4plusIjEEEEZZNS1_33reduce_by_key_impl_wrapped_configILNS1_25lookback_scan_determinismE0ES3_S9_NS6_6detail15normal_iteratorINS6_10device_ptrIsEEEENSD_INSE_IjEEEESG_SI_PmS8_NS6_8equal_toIsEEEE10hipError_tPvRmT2_T3_mT4_T5_T6_T7_T8_P12ihipStream_tbENKUlT_T0_E_clISt17integral_constantIbLb1EES12_IbLb0EEEEDaSY_SZ_EUlSY_E_NS1_11comp_targetILNS1_3genE2ELNS1_11target_archE906ELNS1_3gpuE6ELNS1_3repE0EEENS1_30default_config_static_selectorELNS0_4arch9wavefront6targetE0EEEvT1_
    .private_segment_fixed_size: 0
    .sgpr_count:     0
    .sgpr_spill_count: 0
    .symbol:         _ZN7rocprim17ROCPRIM_400000_NS6detail17trampoline_kernelINS0_14default_configENS1_29reduce_by_key_config_selectorIsjN6thrust23THRUST_200600_302600_NS4plusIjEEEEZZNS1_33reduce_by_key_impl_wrapped_configILNS1_25lookback_scan_determinismE0ES3_S9_NS6_6detail15normal_iteratorINS6_10device_ptrIsEEEENSD_INSE_IjEEEESG_SI_PmS8_NS6_8equal_toIsEEEE10hipError_tPvRmT2_T3_mT4_T5_T6_T7_T8_P12ihipStream_tbENKUlT_T0_E_clISt17integral_constantIbLb1EES12_IbLb0EEEEDaSY_SZ_EUlSY_E_NS1_11comp_targetILNS1_3genE2ELNS1_11target_archE906ELNS1_3gpuE6ELNS1_3repE0EEENS1_30default_config_static_selectorELNS0_4arch9wavefront6targetE0EEEvT1_.kd
    .uniform_work_group_size: 1
    .uses_dynamic_stack: false
    .vgpr_count:     0
    .vgpr_spill_count: 0
    .wavefront_size: 32
    .workgroup_processor_mode: 1
  - .args:
      - .offset:         0
        .size:           120
        .value_kind:     by_value
    .group_segment_fixed_size: 0
    .kernarg_segment_align: 8
    .kernarg_segment_size: 120
    .language:       OpenCL C
    .language_version:
      - 2
      - 0
    .max_flat_workgroup_size: 256
    .name:           _ZN7rocprim17ROCPRIM_400000_NS6detail17trampoline_kernelINS0_14default_configENS1_29reduce_by_key_config_selectorIsjN6thrust23THRUST_200600_302600_NS4plusIjEEEEZZNS1_33reduce_by_key_impl_wrapped_configILNS1_25lookback_scan_determinismE0ES3_S9_NS6_6detail15normal_iteratorINS6_10device_ptrIsEEEENSD_INSE_IjEEEESG_SI_PmS8_NS6_8equal_toIsEEEE10hipError_tPvRmT2_T3_mT4_T5_T6_T7_T8_P12ihipStream_tbENKUlT_T0_E_clISt17integral_constantIbLb1EES12_IbLb0EEEEDaSY_SZ_EUlSY_E_NS1_11comp_targetILNS1_3genE10ELNS1_11target_archE1201ELNS1_3gpuE5ELNS1_3repE0EEENS1_30default_config_static_selectorELNS0_4arch9wavefront6targetE0EEEvT1_
    .private_segment_fixed_size: 0
    .sgpr_count:     0
    .sgpr_spill_count: 0
    .symbol:         _ZN7rocprim17ROCPRIM_400000_NS6detail17trampoline_kernelINS0_14default_configENS1_29reduce_by_key_config_selectorIsjN6thrust23THRUST_200600_302600_NS4plusIjEEEEZZNS1_33reduce_by_key_impl_wrapped_configILNS1_25lookback_scan_determinismE0ES3_S9_NS6_6detail15normal_iteratorINS6_10device_ptrIsEEEENSD_INSE_IjEEEESG_SI_PmS8_NS6_8equal_toIsEEEE10hipError_tPvRmT2_T3_mT4_T5_T6_T7_T8_P12ihipStream_tbENKUlT_T0_E_clISt17integral_constantIbLb1EES12_IbLb0EEEEDaSY_SZ_EUlSY_E_NS1_11comp_targetILNS1_3genE10ELNS1_11target_archE1201ELNS1_3gpuE5ELNS1_3repE0EEENS1_30default_config_static_selectorELNS0_4arch9wavefront6targetE0EEEvT1_.kd
    .uniform_work_group_size: 1
    .uses_dynamic_stack: false
    .vgpr_count:     0
    .vgpr_spill_count: 0
    .wavefront_size: 32
    .workgroup_processor_mode: 1
  - .args:
      - .offset:         0
        .size:           120
        .value_kind:     by_value
    .group_segment_fixed_size: 0
    .kernarg_segment_align: 8
    .kernarg_segment_size: 120
    .language:       OpenCL C
    .language_version:
      - 2
      - 0
    .max_flat_workgroup_size: 256
    .name:           _ZN7rocprim17ROCPRIM_400000_NS6detail17trampoline_kernelINS0_14default_configENS1_29reduce_by_key_config_selectorIsjN6thrust23THRUST_200600_302600_NS4plusIjEEEEZZNS1_33reduce_by_key_impl_wrapped_configILNS1_25lookback_scan_determinismE0ES3_S9_NS6_6detail15normal_iteratorINS6_10device_ptrIsEEEENSD_INSE_IjEEEESG_SI_PmS8_NS6_8equal_toIsEEEE10hipError_tPvRmT2_T3_mT4_T5_T6_T7_T8_P12ihipStream_tbENKUlT_T0_E_clISt17integral_constantIbLb1EES12_IbLb0EEEEDaSY_SZ_EUlSY_E_NS1_11comp_targetILNS1_3genE10ELNS1_11target_archE1200ELNS1_3gpuE4ELNS1_3repE0EEENS1_30default_config_static_selectorELNS0_4arch9wavefront6targetE0EEEvT1_
    .private_segment_fixed_size: 0
    .sgpr_count:     0
    .sgpr_spill_count: 0
    .symbol:         _ZN7rocprim17ROCPRIM_400000_NS6detail17trampoline_kernelINS0_14default_configENS1_29reduce_by_key_config_selectorIsjN6thrust23THRUST_200600_302600_NS4plusIjEEEEZZNS1_33reduce_by_key_impl_wrapped_configILNS1_25lookback_scan_determinismE0ES3_S9_NS6_6detail15normal_iteratorINS6_10device_ptrIsEEEENSD_INSE_IjEEEESG_SI_PmS8_NS6_8equal_toIsEEEE10hipError_tPvRmT2_T3_mT4_T5_T6_T7_T8_P12ihipStream_tbENKUlT_T0_E_clISt17integral_constantIbLb1EES12_IbLb0EEEEDaSY_SZ_EUlSY_E_NS1_11comp_targetILNS1_3genE10ELNS1_11target_archE1200ELNS1_3gpuE4ELNS1_3repE0EEENS1_30default_config_static_selectorELNS0_4arch9wavefront6targetE0EEEvT1_.kd
    .uniform_work_group_size: 1
    .uses_dynamic_stack: false
    .vgpr_count:     0
    .vgpr_spill_count: 0
    .wavefront_size: 32
    .workgroup_processor_mode: 1
  - .args:
      - .offset:         0
        .size:           120
        .value_kind:     by_value
    .group_segment_fixed_size: 15360
    .kernarg_segment_align: 8
    .kernarg_segment_size: 120
    .language:       OpenCL C
    .language_version:
      - 2
      - 0
    .max_flat_workgroup_size: 256
    .name:           _ZN7rocprim17ROCPRIM_400000_NS6detail17trampoline_kernelINS0_14default_configENS1_29reduce_by_key_config_selectorIsjN6thrust23THRUST_200600_302600_NS4plusIjEEEEZZNS1_33reduce_by_key_impl_wrapped_configILNS1_25lookback_scan_determinismE0ES3_S9_NS6_6detail15normal_iteratorINS6_10device_ptrIsEEEENSD_INSE_IjEEEESG_SI_PmS8_NS6_8equal_toIsEEEE10hipError_tPvRmT2_T3_mT4_T5_T6_T7_T8_P12ihipStream_tbENKUlT_T0_E_clISt17integral_constantIbLb1EES12_IbLb0EEEEDaSY_SZ_EUlSY_E_NS1_11comp_targetILNS1_3genE9ELNS1_11target_archE1100ELNS1_3gpuE3ELNS1_3repE0EEENS1_30default_config_static_selectorELNS0_4arch9wavefront6targetE0EEEvT1_
    .private_segment_fixed_size: 0
    .sgpr_count:     48
    .sgpr_spill_count: 0
    .symbol:         _ZN7rocprim17ROCPRIM_400000_NS6detail17trampoline_kernelINS0_14default_configENS1_29reduce_by_key_config_selectorIsjN6thrust23THRUST_200600_302600_NS4plusIjEEEEZZNS1_33reduce_by_key_impl_wrapped_configILNS1_25lookback_scan_determinismE0ES3_S9_NS6_6detail15normal_iteratorINS6_10device_ptrIsEEEENSD_INSE_IjEEEESG_SI_PmS8_NS6_8equal_toIsEEEE10hipError_tPvRmT2_T3_mT4_T5_T6_T7_T8_P12ihipStream_tbENKUlT_T0_E_clISt17integral_constantIbLb1EES12_IbLb0EEEEDaSY_SZ_EUlSY_E_NS1_11comp_targetILNS1_3genE9ELNS1_11target_archE1100ELNS1_3gpuE3ELNS1_3repE0EEENS1_30default_config_static_selectorELNS0_4arch9wavefront6targetE0EEEvT1_.kd
    .uniform_work_group_size: 1
    .uses_dynamic_stack: false
    .vgpr_count:     100
    .vgpr_spill_count: 0
    .wavefront_size: 32
    .workgroup_processor_mode: 1
  - .args:
      - .offset:         0
        .size:           120
        .value_kind:     by_value
    .group_segment_fixed_size: 0
    .kernarg_segment_align: 8
    .kernarg_segment_size: 120
    .language:       OpenCL C
    .language_version:
      - 2
      - 0
    .max_flat_workgroup_size: 256
    .name:           _ZN7rocprim17ROCPRIM_400000_NS6detail17trampoline_kernelINS0_14default_configENS1_29reduce_by_key_config_selectorIsjN6thrust23THRUST_200600_302600_NS4plusIjEEEEZZNS1_33reduce_by_key_impl_wrapped_configILNS1_25lookback_scan_determinismE0ES3_S9_NS6_6detail15normal_iteratorINS6_10device_ptrIsEEEENSD_INSE_IjEEEESG_SI_PmS8_NS6_8equal_toIsEEEE10hipError_tPvRmT2_T3_mT4_T5_T6_T7_T8_P12ihipStream_tbENKUlT_T0_E_clISt17integral_constantIbLb1EES12_IbLb0EEEEDaSY_SZ_EUlSY_E_NS1_11comp_targetILNS1_3genE8ELNS1_11target_archE1030ELNS1_3gpuE2ELNS1_3repE0EEENS1_30default_config_static_selectorELNS0_4arch9wavefront6targetE0EEEvT1_
    .private_segment_fixed_size: 0
    .sgpr_count:     0
    .sgpr_spill_count: 0
    .symbol:         _ZN7rocprim17ROCPRIM_400000_NS6detail17trampoline_kernelINS0_14default_configENS1_29reduce_by_key_config_selectorIsjN6thrust23THRUST_200600_302600_NS4plusIjEEEEZZNS1_33reduce_by_key_impl_wrapped_configILNS1_25lookback_scan_determinismE0ES3_S9_NS6_6detail15normal_iteratorINS6_10device_ptrIsEEEENSD_INSE_IjEEEESG_SI_PmS8_NS6_8equal_toIsEEEE10hipError_tPvRmT2_T3_mT4_T5_T6_T7_T8_P12ihipStream_tbENKUlT_T0_E_clISt17integral_constantIbLb1EES12_IbLb0EEEEDaSY_SZ_EUlSY_E_NS1_11comp_targetILNS1_3genE8ELNS1_11target_archE1030ELNS1_3gpuE2ELNS1_3repE0EEENS1_30default_config_static_selectorELNS0_4arch9wavefront6targetE0EEEvT1_.kd
    .uniform_work_group_size: 1
    .uses_dynamic_stack: false
    .vgpr_count:     0
    .vgpr_spill_count: 0
    .wavefront_size: 32
    .workgroup_processor_mode: 1
  - .args:
      - .offset:         0
        .size:           120
        .value_kind:     by_value
    .group_segment_fixed_size: 0
    .kernarg_segment_align: 8
    .kernarg_segment_size: 120
    .language:       OpenCL C
    .language_version:
      - 2
      - 0
    .max_flat_workgroup_size: 256
    .name:           _ZN7rocprim17ROCPRIM_400000_NS6detail17trampoline_kernelINS0_14default_configENS1_29reduce_by_key_config_selectorIsjN6thrust23THRUST_200600_302600_NS4plusIjEEEEZZNS1_33reduce_by_key_impl_wrapped_configILNS1_25lookback_scan_determinismE0ES3_S9_NS6_6detail15normal_iteratorINS6_10device_ptrIsEEEENSD_INSE_IjEEEESG_SI_PmS8_NS6_8equal_toIsEEEE10hipError_tPvRmT2_T3_mT4_T5_T6_T7_T8_P12ihipStream_tbENKUlT_T0_E_clISt17integral_constantIbLb0EES12_IbLb1EEEEDaSY_SZ_EUlSY_E_NS1_11comp_targetILNS1_3genE0ELNS1_11target_archE4294967295ELNS1_3gpuE0ELNS1_3repE0EEENS1_30default_config_static_selectorELNS0_4arch9wavefront6targetE0EEEvT1_
    .private_segment_fixed_size: 0
    .sgpr_count:     0
    .sgpr_spill_count: 0
    .symbol:         _ZN7rocprim17ROCPRIM_400000_NS6detail17trampoline_kernelINS0_14default_configENS1_29reduce_by_key_config_selectorIsjN6thrust23THRUST_200600_302600_NS4plusIjEEEEZZNS1_33reduce_by_key_impl_wrapped_configILNS1_25lookback_scan_determinismE0ES3_S9_NS6_6detail15normal_iteratorINS6_10device_ptrIsEEEENSD_INSE_IjEEEESG_SI_PmS8_NS6_8equal_toIsEEEE10hipError_tPvRmT2_T3_mT4_T5_T6_T7_T8_P12ihipStream_tbENKUlT_T0_E_clISt17integral_constantIbLb0EES12_IbLb1EEEEDaSY_SZ_EUlSY_E_NS1_11comp_targetILNS1_3genE0ELNS1_11target_archE4294967295ELNS1_3gpuE0ELNS1_3repE0EEENS1_30default_config_static_selectorELNS0_4arch9wavefront6targetE0EEEvT1_.kd
    .uniform_work_group_size: 1
    .uses_dynamic_stack: false
    .vgpr_count:     0
    .vgpr_spill_count: 0
    .wavefront_size: 32
    .workgroup_processor_mode: 1
  - .args:
      - .offset:         0
        .size:           120
        .value_kind:     by_value
    .group_segment_fixed_size: 0
    .kernarg_segment_align: 8
    .kernarg_segment_size: 120
    .language:       OpenCL C
    .language_version:
      - 2
      - 0
    .max_flat_workgroup_size: 256
    .name:           _ZN7rocprim17ROCPRIM_400000_NS6detail17trampoline_kernelINS0_14default_configENS1_29reduce_by_key_config_selectorIsjN6thrust23THRUST_200600_302600_NS4plusIjEEEEZZNS1_33reduce_by_key_impl_wrapped_configILNS1_25lookback_scan_determinismE0ES3_S9_NS6_6detail15normal_iteratorINS6_10device_ptrIsEEEENSD_INSE_IjEEEESG_SI_PmS8_NS6_8equal_toIsEEEE10hipError_tPvRmT2_T3_mT4_T5_T6_T7_T8_P12ihipStream_tbENKUlT_T0_E_clISt17integral_constantIbLb0EES12_IbLb1EEEEDaSY_SZ_EUlSY_E_NS1_11comp_targetILNS1_3genE5ELNS1_11target_archE942ELNS1_3gpuE9ELNS1_3repE0EEENS1_30default_config_static_selectorELNS0_4arch9wavefront6targetE0EEEvT1_
    .private_segment_fixed_size: 0
    .sgpr_count:     0
    .sgpr_spill_count: 0
    .symbol:         _ZN7rocprim17ROCPRIM_400000_NS6detail17trampoline_kernelINS0_14default_configENS1_29reduce_by_key_config_selectorIsjN6thrust23THRUST_200600_302600_NS4plusIjEEEEZZNS1_33reduce_by_key_impl_wrapped_configILNS1_25lookback_scan_determinismE0ES3_S9_NS6_6detail15normal_iteratorINS6_10device_ptrIsEEEENSD_INSE_IjEEEESG_SI_PmS8_NS6_8equal_toIsEEEE10hipError_tPvRmT2_T3_mT4_T5_T6_T7_T8_P12ihipStream_tbENKUlT_T0_E_clISt17integral_constantIbLb0EES12_IbLb1EEEEDaSY_SZ_EUlSY_E_NS1_11comp_targetILNS1_3genE5ELNS1_11target_archE942ELNS1_3gpuE9ELNS1_3repE0EEENS1_30default_config_static_selectorELNS0_4arch9wavefront6targetE0EEEvT1_.kd
    .uniform_work_group_size: 1
    .uses_dynamic_stack: false
    .vgpr_count:     0
    .vgpr_spill_count: 0
    .wavefront_size: 32
    .workgroup_processor_mode: 1
  - .args:
      - .offset:         0
        .size:           120
        .value_kind:     by_value
    .group_segment_fixed_size: 0
    .kernarg_segment_align: 8
    .kernarg_segment_size: 120
    .language:       OpenCL C
    .language_version:
      - 2
      - 0
    .max_flat_workgroup_size: 256
    .name:           _ZN7rocprim17ROCPRIM_400000_NS6detail17trampoline_kernelINS0_14default_configENS1_29reduce_by_key_config_selectorIsjN6thrust23THRUST_200600_302600_NS4plusIjEEEEZZNS1_33reduce_by_key_impl_wrapped_configILNS1_25lookback_scan_determinismE0ES3_S9_NS6_6detail15normal_iteratorINS6_10device_ptrIsEEEENSD_INSE_IjEEEESG_SI_PmS8_NS6_8equal_toIsEEEE10hipError_tPvRmT2_T3_mT4_T5_T6_T7_T8_P12ihipStream_tbENKUlT_T0_E_clISt17integral_constantIbLb0EES12_IbLb1EEEEDaSY_SZ_EUlSY_E_NS1_11comp_targetILNS1_3genE4ELNS1_11target_archE910ELNS1_3gpuE8ELNS1_3repE0EEENS1_30default_config_static_selectorELNS0_4arch9wavefront6targetE0EEEvT1_
    .private_segment_fixed_size: 0
    .sgpr_count:     0
    .sgpr_spill_count: 0
    .symbol:         _ZN7rocprim17ROCPRIM_400000_NS6detail17trampoline_kernelINS0_14default_configENS1_29reduce_by_key_config_selectorIsjN6thrust23THRUST_200600_302600_NS4plusIjEEEEZZNS1_33reduce_by_key_impl_wrapped_configILNS1_25lookback_scan_determinismE0ES3_S9_NS6_6detail15normal_iteratorINS6_10device_ptrIsEEEENSD_INSE_IjEEEESG_SI_PmS8_NS6_8equal_toIsEEEE10hipError_tPvRmT2_T3_mT4_T5_T6_T7_T8_P12ihipStream_tbENKUlT_T0_E_clISt17integral_constantIbLb0EES12_IbLb1EEEEDaSY_SZ_EUlSY_E_NS1_11comp_targetILNS1_3genE4ELNS1_11target_archE910ELNS1_3gpuE8ELNS1_3repE0EEENS1_30default_config_static_selectorELNS0_4arch9wavefront6targetE0EEEvT1_.kd
    .uniform_work_group_size: 1
    .uses_dynamic_stack: false
    .vgpr_count:     0
    .vgpr_spill_count: 0
    .wavefront_size: 32
    .workgroup_processor_mode: 1
  - .args:
      - .offset:         0
        .size:           120
        .value_kind:     by_value
    .group_segment_fixed_size: 0
    .kernarg_segment_align: 8
    .kernarg_segment_size: 120
    .language:       OpenCL C
    .language_version:
      - 2
      - 0
    .max_flat_workgroup_size: 256
    .name:           _ZN7rocprim17ROCPRIM_400000_NS6detail17trampoline_kernelINS0_14default_configENS1_29reduce_by_key_config_selectorIsjN6thrust23THRUST_200600_302600_NS4plusIjEEEEZZNS1_33reduce_by_key_impl_wrapped_configILNS1_25lookback_scan_determinismE0ES3_S9_NS6_6detail15normal_iteratorINS6_10device_ptrIsEEEENSD_INSE_IjEEEESG_SI_PmS8_NS6_8equal_toIsEEEE10hipError_tPvRmT2_T3_mT4_T5_T6_T7_T8_P12ihipStream_tbENKUlT_T0_E_clISt17integral_constantIbLb0EES12_IbLb1EEEEDaSY_SZ_EUlSY_E_NS1_11comp_targetILNS1_3genE3ELNS1_11target_archE908ELNS1_3gpuE7ELNS1_3repE0EEENS1_30default_config_static_selectorELNS0_4arch9wavefront6targetE0EEEvT1_
    .private_segment_fixed_size: 0
    .sgpr_count:     0
    .sgpr_spill_count: 0
    .symbol:         _ZN7rocprim17ROCPRIM_400000_NS6detail17trampoline_kernelINS0_14default_configENS1_29reduce_by_key_config_selectorIsjN6thrust23THRUST_200600_302600_NS4plusIjEEEEZZNS1_33reduce_by_key_impl_wrapped_configILNS1_25lookback_scan_determinismE0ES3_S9_NS6_6detail15normal_iteratorINS6_10device_ptrIsEEEENSD_INSE_IjEEEESG_SI_PmS8_NS6_8equal_toIsEEEE10hipError_tPvRmT2_T3_mT4_T5_T6_T7_T8_P12ihipStream_tbENKUlT_T0_E_clISt17integral_constantIbLb0EES12_IbLb1EEEEDaSY_SZ_EUlSY_E_NS1_11comp_targetILNS1_3genE3ELNS1_11target_archE908ELNS1_3gpuE7ELNS1_3repE0EEENS1_30default_config_static_selectorELNS0_4arch9wavefront6targetE0EEEvT1_.kd
    .uniform_work_group_size: 1
    .uses_dynamic_stack: false
    .vgpr_count:     0
    .vgpr_spill_count: 0
    .wavefront_size: 32
    .workgroup_processor_mode: 1
  - .args:
      - .offset:         0
        .size:           120
        .value_kind:     by_value
    .group_segment_fixed_size: 0
    .kernarg_segment_align: 8
    .kernarg_segment_size: 120
    .language:       OpenCL C
    .language_version:
      - 2
      - 0
    .max_flat_workgroup_size: 256
    .name:           _ZN7rocprim17ROCPRIM_400000_NS6detail17trampoline_kernelINS0_14default_configENS1_29reduce_by_key_config_selectorIsjN6thrust23THRUST_200600_302600_NS4plusIjEEEEZZNS1_33reduce_by_key_impl_wrapped_configILNS1_25lookback_scan_determinismE0ES3_S9_NS6_6detail15normal_iteratorINS6_10device_ptrIsEEEENSD_INSE_IjEEEESG_SI_PmS8_NS6_8equal_toIsEEEE10hipError_tPvRmT2_T3_mT4_T5_T6_T7_T8_P12ihipStream_tbENKUlT_T0_E_clISt17integral_constantIbLb0EES12_IbLb1EEEEDaSY_SZ_EUlSY_E_NS1_11comp_targetILNS1_3genE2ELNS1_11target_archE906ELNS1_3gpuE6ELNS1_3repE0EEENS1_30default_config_static_selectorELNS0_4arch9wavefront6targetE0EEEvT1_
    .private_segment_fixed_size: 0
    .sgpr_count:     0
    .sgpr_spill_count: 0
    .symbol:         _ZN7rocprim17ROCPRIM_400000_NS6detail17trampoline_kernelINS0_14default_configENS1_29reduce_by_key_config_selectorIsjN6thrust23THRUST_200600_302600_NS4plusIjEEEEZZNS1_33reduce_by_key_impl_wrapped_configILNS1_25lookback_scan_determinismE0ES3_S9_NS6_6detail15normal_iteratorINS6_10device_ptrIsEEEENSD_INSE_IjEEEESG_SI_PmS8_NS6_8equal_toIsEEEE10hipError_tPvRmT2_T3_mT4_T5_T6_T7_T8_P12ihipStream_tbENKUlT_T0_E_clISt17integral_constantIbLb0EES12_IbLb1EEEEDaSY_SZ_EUlSY_E_NS1_11comp_targetILNS1_3genE2ELNS1_11target_archE906ELNS1_3gpuE6ELNS1_3repE0EEENS1_30default_config_static_selectorELNS0_4arch9wavefront6targetE0EEEvT1_.kd
    .uniform_work_group_size: 1
    .uses_dynamic_stack: false
    .vgpr_count:     0
    .vgpr_spill_count: 0
    .wavefront_size: 32
    .workgroup_processor_mode: 1
  - .args:
      - .offset:         0
        .size:           120
        .value_kind:     by_value
    .group_segment_fixed_size: 0
    .kernarg_segment_align: 8
    .kernarg_segment_size: 120
    .language:       OpenCL C
    .language_version:
      - 2
      - 0
    .max_flat_workgroup_size: 256
    .name:           _ZN7rocprim17ROCPRIM_400000_NS6detail17trampoline_kernelINS0_14default_configENS1_29reduce_by_key_config_selectorIsjN6thrust23THRUST_200600_302600_NS4plusIjEEEEZZNS1_33reduce_by_key_impl_wrapped_configILNS1_25lookback_scan_determinismE0ES3_S9_NS6_6detail15normal_iteratorINS6_10device_ptrIsEEEENSD_INSE_IjEEEESG_SI_PmS8_NS6_8equal_toIsEEEE10hipError_tPvRmT2_T3_mT4_T5_T6_T7_T8_P12ihipStream_tbENKUlT_T0_E_clISt17integral_constantIbLb0EES12_IbLb1EEEEDaSY_SZ_EUlSY_E_NS1_11comp_targetILNS1_3genE10ELNS1_11target_archE1201ELNS1_3gpuE5ELNS1_3repE0EEENS1_30default_config_static_selectorELNS0_4arch9wavefront6targetE0EEEvT1_
    .private_segment_fixed_size: 0
    .sgpr_count:     0
    .sgpr_spill_count: 0
    .symbol:         _ZN7rocprim17ROCPRIM_400000_NS6detail17trampoline_kernelINS0_14default_configENS1_29reduce_by_key_config_selectorIsjN6thrust23THRUST_200600_302600_NS4plusIjEEEEZZNS1_33reduce_by_key_impl_wrapped_configILNS1_25lookback_scan_determinismE0ES3_S9_NS6_6detail15normal_iteratorINS6_10device_ptrIsEEEENSD_INSE_IjEEEESG_SI_PmS8_NS6_8equal_toIsEEEE10hipError_tPvRmT2_T3_mT4_T5_T6_T7_T8_P12ihipStream_tbENKUlT_T0_E_clISt17integral_constantIbLb0EES12_IbLb1EEEEDaSY_SZ_EUlSY_E_NS1_11comp_targetILNS1_3genE10ELNS1_11target_archE1201ELNS1_3gpuE5ELNS1_3repE0EEENS1_30default_config_static_selectorELNS0_4arch9wavefront6targetE0EEEvT1_.kd
    .uniform_work_group_size: 1
    .uses_dynamic_stack: false
    .vgpr_count:     0
    .vgpr_spill_count: 0
    .wavefront_size: 32
    .workgroup_processor_mode: 1
  - .args:
      - .offset:         0
        .size:           120
        .value_kind:     by_value
    .group_segment_fixed_size: 0
    .kernarg_segment_align: 8
    .kernarg_segment_size: 120
    .language:       OpenCL C
    .language_version:
      - 2
      - 0
    .max_flat_workgroup_size: 256
    .name:           _ZN7rocprim17ROCPRIM_400000_NS6detail17trampoline_kernelINS0_14default_configENS1_29reduce_by_key_config_selectorIsjN6thrust23THRUST_200600_302600_NS4plusIjEEEEZZNS1_33reduce_by_key_impl_wrapped_configILNS1_25lookback_scan_determinismE0ES3_S9_NS6_6detail15normal_iteratorINS6_10device_ptrIsEEEENSD_INSE_IjEEEESG_SI_PmS8_NS6_8equal_toIsEEEE10hipError_tPvRmT2_T3_mT4_T5_T6_T7_T8_P12ihipStream_tbENKUlT_T0_E_clISt17integral_constantIbLb0EES12_IbLb1EEEEDaSY_SZ_EUlSY_E_NS1_11comp_targetILNS1_3genE10ELNS1_11target_archE1200ELNS1_3gpuE4ELNS1_3repE0EEENS1_30default_config_static_selectorELNS0_4arch9wavefront6targetE0EEEvT1_
    .private_segment_fixed_size: 0
    .sgpr_count:     0
    .sgpr_spill_count: 0
    .symbol:         _ZN7rocprim17ROCPRIM_400000_NS6detail17trampoline_kernelINS0_14default_configENS1_29reduce_by_key_config_selectorIsjN6thrust23THRUST_200600_302600_NS4plusIjEEEEZZNS1_33reduce_by_key_impl_wrapped_configILNS1_25lookback_scan_determinismE0ES3_S9_NS6_6detail15normal_iteratorINS6_10device_ptrIsEEEENSD_INSE_IjEEEESG_SI_PmS8_NS6_8equal_toIsEEEE10hipError_tPvRmT2_T3_mT4_T5_T6_T7_T8_P12ihipStream_tbENKUlT_T0_E_clISt17integral_constantIbLb0EES12_IbLb1EEEEDaSY_SZ_EUlSY_E_NS1_11comp_targetILNS1_3genE10ELNS1_11target_archE1200ELNS1_3gpuE4ELNS1_3repE0EEENS1_30default_config_static_selectorELNS0_4arch9wavefront6targetE0EEEvT1_.kd
    .uniform_work_group_size: 1
    .uses_dynamic_stack: false
    .vgpr_count:     0
    .vgpr_spill_count: 0
    .wavefront_size: 32
    .workgroup_processor_mode: 1
  - .args:
      - .offset:         0
        .size:           120
        .value_kind:     by_value
    .group_segment_fixed_size: 15360
    .kernarg_segment_align: 8
    .kernarg_segment_size: 120
    .language:       OpenCL C
    .language_version:
      - 2
      - 0
    .max_flat_workgroup_size: 256
    .name:           _ZN7rocprim17ROCPRIM_400000_NS6detail17trampoline_kernelINS0_14default_configENS1_29reduce_by_key_config_selectorIsjN6thrust23THRUST_200600_302600_NS4plusIjEEEEZZNS1_33reduce_by_key_impl_wrapped_configILNS1_25lookback_scan_determinismE0ES3_S9_NS6_6detail15normal_iteratorINS6_10device_ptrIsEEEENSD_INSE_IjEEEESG_SI_PmS8_NS6_8equal_toIsEEEE10hipError_tPvRmT2_T3_mT4_T5_T6_T7_T8_P12ihipStream_tbENKUlT_T0_E_clISt17integral_constantIbLb0EES12_IbLb1EEEEDaSY_SZ_EUlSY_E_NS1_11comp_targetILNS1_3genE9ELNS1_11target_archE1100ELNS1_3gpuE3ELNS1_3repE0EEENS1_30default_config_static_selectorELNS0_4arch9wavefront6targetE0EEEvT1_
    .private_segment_fixed_size: 0
    .sgpr_count:     47
    .sgpr_spill_count: 0
    .symbol:         _ZN7rocprim17ROCPRIM_400000_NS6detail17trampoline_kernelINS0_14default_configENS1_29reduce_by_key_config_selectorIsjN6thrust23THRUST_200600_302600_NS4plusIjEEEEZZNS1_33reduce_by_key_impl_wrapped_configILNS1_25lookback_scan_determinismE0ES3_S9_NS6_6detail15normal_iteratorINS6_10device_ptrIsEEEENSD_INSE_IjEEEESG_SI_PmS8_NS6_8equal_toIsEEEE10hipError_tPvRmT2_T3_mT4_T5_T6_T7_T8_P12ihipStream_tbENKUlT_T0_E_clISt17integral_constantIbLb0EES12_IbLb1EEEEDaSY_SZ_EUlSY_E_NS1_11comp_targetILNS1_3genE9ELNS1_11target_archE1100ELNS1_3gpuE3ELNS1_3repE0EEENS1_30default_config_static_selectorELNS0_4arch9wavefront6targetE0EEEvT1_.kd
    .uniform_work_group_size: 1
    .uses_dynamic_stack: false
    .vgpr_count:     100
    .vgpr_spill_count: 0
    .wavefront_size: 32
    .workgroup_processor_mode: 1
  - .args:
      - .offset:         0
        .size:           120
        .value_kind:     by_value
    .group_segment_fixed_size: 0
    .kernarg_segment_align: 8
    .kernarg_segment_size: 120
    .language:       OpenCL C
    .language_version:
      - 2
      - 0
    .max_flat_workgroup_size: 256
    .name:           _ZN7rocprim17ROCPRIM_400000_NS6detail17trampoline_kernelINS0_14default_configENS1_29reduce_by_key_config_selectorIsjN6thrust23THRUST_200600_302600_NS4plusIjEEEEZZNS1_33reduce_by_key_impl_wrapped_configILNS1_25lookback_scan_determinismE0ES3_S9_NS6_6detail15normal_iteratorINS6_10device_ptrIsEEEENSD_INSE_IjEEEESG_SI_PmS8_NS6_8equal_toIsEEEE10hipError_tPvRmT2_T3_mT4_T5_T6_T7_T8_P12ihipStream_tbENKUlT_T0_E_clISt17integral_constantIbLb0EES12_IbLb1EEEEDaSY_SZ_EUlSY_E_NS1_11comp_targetILNS1_3genE8ELNS1_11target_archE1030ELNS1_3gpuE2ELNS1_3repE0EEENS1_30default_config_static_selectorELNS0_4arch9wavefront6targetE0EEEvT1_
    .private_segment_fixed_size: 0
    .sgpr_count:     0
    .sgpr_spill_count: 0
    .symbol:         _ZN7rocprim17ROCPRIM_400000_NS6detail17trampoline_kernelINS0_14default_configENS1_29reduce_by_key_config_selectorIsjN6thrust23THRUST_200600_302600_NS4plusIjEEEEZZNS1_33reduce_by_key_impl_wrapped_configILNS1_25lookback_scan_determinismE0ES3_S9_NS6_6detail15normal_iteratorINS6_10device_ptrIsEEEENSD_INSE_IjEEEESG_SI_PmS8_NS6_8equal_toIsEEEE10hipError_tPvRmT2_T3_mT4_T5_T6_T7_T8_P12ihipStream_tbENKUlT_T0_E_clISt17integral_constantIbLb0EES12_IbLb1EEEEDaSY_SZ_EUlSY_E_NS1_11comp_targetILNS1_3genE8ELNS1_11target_archE1030ELNS1_3gpuE2ELNS1_3repE0EEENS1_30default_config_static_selectorELNS0_4arch9wavefront6targetE0EEEvT1_.kd
    .uniform_work_group_size: 1
    .uses_dynamic_stack: false
    .vgpr_count:     0
    .vgpr_spill_count: 0
    .wavefront_size: 32
    .workgroup_processor_mode: 1
  - .args:
      - .offset:         0
        .size:           144
        .value_kind:     by_value
    .group_segment_fixed_size: 0
    .kernarg_segment_align: 8
    .kernarg_segment_size: 144
    .language:       OpenCL C
    .language_version:
      - 2
      - 0
    .max_flat_workgroup_size: 256
    .name:           _ZN7rocprim17ROCPRIM_400000_NS6detail17trampoline_kernelINS0_14default_configENS1_29reduce_by_key_config_selectorIjyN6thrust23THRUST_200600_302600_NS4plusIyEEEEZZNS1_33reduce_by_key_impl_wrapped_configILNS1_25lookback_scan_determinismE0ES3_S9_NS6_6detail15normal_iteratorINS6_10device_ptrIjEEEENSD_INSE_IyEEEENS6_16discard_iteratorINS6_11use_defaultEEESI_PmS8_NS6_8equal_toIjEEEE10hipError_tPvRmT2_T3_mT4_T5_T6_T7_T8_P12ihipStream_tbENKUlT_T0_E_clISt17integral_constantIbLb0EES16_EEDaS11_S12_EUlS11_E_NS1_11comp_targetILNS1_3genE0ELNS1_11target_archE4294967295ELNS1_3gpuE0ELNS1_3repE0EEENS1_30default_config_static_selectorELNS0_4arch9wavefront6targetE0EEEvT1_
    .private_segment_fixed_size: 0
    .sgpr_count:     0
    .sgpr_spill_count: 0
    .symbol:         _ZN7rocprim17ROCPRIM_400000_NS6detail17trampoline_kernelINS0_14default_configENS1_29reduce_by_key_config_selectorIjyN6thrust23THRUST_200600_302600_NS4plusIyEEEEZZNS1_33reduce_by_key_impl_wrapped_configILNS1_25lookback_scan_determinismE0ES3_S9_NS6_6detail15normal_iteratorINS6_10device_ptrIjEEEENSD_INSE_IyEEEENS6_16discard_iteratorINS6_11use_defaultEEESI_PmS8_NS6_8equal_toIjEEEE10hipError_tPvRmT2_T3_mT4_T5_T6_T7_T8_P12ihipStream_tbENKUlT_T0_E_clISt17integral_constantIbLb0EES16_EEDaS11_S12_EUlS11_E_NS1_11comp_targetILNS1_3genE0ELNS1_11target_archE4294967295ELNS1_3gpuE0ELNS1_3repE0EEENS1_30default_config_static_selectorELNS0_4arch9wavefront6targetE0EEEvT1_.kd
    .uniform_work_group_size: 1
    .uses_dynamic_stack: false
    .vgpr_count:     0
    .vgpr_spill_count: 0
    .wavefront_size: 32
    .workgroup_processor_mode: 1
  - .args:
      - .offset:         0
        .size:           144
        .value_kind:     by_value
    .group_segment_fixed_size: 0
    .kernarg_segment_align: 8
    .kernarg_segment_size: 144
    .language:       OpenCL C
    .language_version:
      - 2
      - 0
    .max_flat_workgroup_size: 256
    .name:           _ZN7rocprim17ROCPRIM_400000_NS6detail17trampoline_kernelINS0_14default_configENS1_29reduce_by_key_config_selectorIjyN6thrust23THRUST_200600_302600_NS4plusIyEEEEZZNS1_33reduce_by_key_impl_wrapped_configILNS1_25lookback_scan_determinismE0ES3_S9_NS6_6detail15normal_iteratorINS6_10device_ptrIjEEEENSD_INSE_IyEEEENS6_16discard_iteratorINS6_11use_defaultEEESI_PmS8_NS6_8equal_toIjEEEE10hipError_tPvRmT2_T3_mT4_T5_T6_T7_T8_P12ihipStream_tbENKUlT_T0_E_clISt17integral_constantIbLb0EES16_EEDaS11_S12_EUlS11_E_NS1_11comp_targetILNS1_3genE5ELNS1_11target_archE942ELNS1_3gpuE9ELNS1_3repE0EEENS1_30default_config_static_selectorELNS0_4arch9wavefront6targetE0EEEvT1_
    .private_segment_fixed_size: 0
    .sgpr_count:     0
    .sgpr_spill_count: 0
    .symbol:         _ZN7rocprim17ROCPRIM_400000_NS6detail17trampoline_kernelINS0_14default_configENS1_29reduce_by_key_config_selectorIjyN6thrust23THRUST_200600_302600_NS4plusIyEEEEZZNS1_33reduce_by_key_impl_wrapped_configILNS1_25lookback_scan_determinismE0ES3_S9_NS6_6detail15normal_iteratorINS6_10device_ptrIjEEEENSD_INSE_IyEEEENS6_16discard_iteratorINS6_11use_defaultEEESI_PmS8_NS6_8equal_toIjEEEE10hipError_tPvRmT2_T3_mT4_T5_T6_T7_T8_P12ihipStream_tbENKUlT_T0_E_clISt17integral_constantIbLb0EES16_EEDaS11_S12_EUlS11_E_NS1_11comp_targetILNS1_3genE5ELNS1_11target_archE942ELNS1_3gpuE9ELNS1_3repE0EEENS1_30default_config_static_selectorELNS0_4arch9wavefront6targetE0EEEvT1_.kd
    .uniform_work_group_size: 1
    .uses_dynamic_stack: false
    .vgpr_count:     0
    .vgpr_spill_count: 0
    .wavefront_size: 32
    .workgroup_processor_mode: 1
  - .args:
      - .offset:         0
        .size:           144
        .value_kind:     by_value
    .group_segment_fixed_size: 0
    .kernarg_segment_align: 8
    .kernarg_segment_size: 144
    .language:       OpenCL C
    .language_version:
      - 2
      - 0
    .max_flat_workgroup_size: 256
    .name:           _ZN7rocprim17ROCPRIM_400000_NS6detail17trampoline_kernelINS0_14default_configENS1_29reduce_by_key_config_selectorIjyN6thrust23THRUST_200600_302600_NS4plusIyEEEEZZNS1_33reduce_by_key_impl_wrapped_configILNS1_25lookback_scan_determinismE0ES3_S9_NS6_6detail15normal_iteratorINS6_10device_ptrIjEEEENSD_INSE_IyEEEENS6_16discard_iteratorINS6_11use_defaultEEESI_PmS8_NS6_8equal_toIjEEEE10hipError_tPvRmT2_T3_mT4_T5_T6_T7_T8_P12ihipStream_tbENKUlT_T0_E_clISt17integral_constantIbLb0EES16_EEDaS11_S12_EUlS11_E_NS1_11comp_targetILNS1_3genE4ELNS1_11target_archE910ELNS1_3gpuE8ELNS1_3repE0EEENS1_30default_config_static_selectorELNS0_4arch9wavefront6targetE0EEEvT1_
    .private_segment_fixed_size: 0
    .sgpr_count:     0
    .sgpr_spill_count: 0
    .symbol:         _ZN7rocprim17ROCPRIM_400000_NS6detail17trampoline_kernelINS0_14default_configENS1_29reduce_by_key_config_selectorIjyN6thrust23THRUST_200600_302600_NS4plusIyEEEEZZNS1_33reduce_by_key_impl_wrapped_configILNS1_25lookback_scan_determinismE0ES3_S9_NS6_6detail15normal_iteratorINS6_10device_ptrIjEEEENSD_INSE_IyEEEENS6_16discard_iteratorINS6_11use_defaultEEESI_PmS8_NS6_8equal_toIjEEEE10hipError_tPvRmT2_T3_mT4_T5_T6_T7_T8_P12ihipStream_tbENKUlT_T0_E_clISt17integral_constantIbLb0EES16_EEDaS11_S12_EUlS11_E_NS1_11comp_targetILNS1_3genE4ELNS1_11target_archE910ELNS1_3gpuE8ELNS1_3repE0EEENS1_30default_config_static_selectorELNS0_4arch9wavefront6targetE0EEEvT1_.kd
    .uniform_work_group_size: 1
    .uses_dynamic_stack: false
    .vgpr_count:     0
    .vgpr_spill_count: 0
    .wavefront_size: 32
    .workgroup_processor_mode: 1
  - .args:
      - .offset:         0
        .size:           144
        .value_kind:     by_value
    .group_segment_fixed_size: 0
    .kernarg_segment_align: 8
    .kernarg_segment_size: 144
    .language:       OpenCL C
    .language_version:
      - 2
      - 0
    .max_flat_workgroup_size: 256
    .name:           _ZN7rocprim17ROCPRIM_400000_NS6detail17trampoline_kernelINS0_14default_configENS1_29reduce_by_key_config_selectorIjyN6thrust23THRUST_200600_302600_NS4plusIyEEEEZZNS1_33reduce_by_key_impl_wrapped_configILNS1_25lookback_scan_determinismE0ES3_S9_NS6_6detail15normal_iteratorINS6_10device_ptrIjEEEENSD_INSE_IyEEEENS6_16discard_iteratorINS6_11use_defaultEEESI_PmS8_NS6_8equal_toIjEEEE10hipError_tPvRmT2_T3_mT4_T5_T6_T7_T8_P12ihipStream_tbENKUlT_T0_E_clISt17integral_constantIbLb0EES16_EEDaS11_S12_EUlS11_E_NS1_11comp_targetILNS1_3genE3ELNS1_11target_archE908ELNS1_3gpuE7ELNS1_3repE0EEENS1_30default_config_static_selectorELNS0_4arch9wavefront6targetE0EEEvT1_
    .private_segment_fixed_size: 0
    .sgpr_count:     0
    .sgpr_spill_count: 0
    .symbol:         _ZN7rocprim17ROCPRIM_400000_NS6detail17trampoline_kernelINS0_14default_configENS1_29reduce_by_key_config_selectorIjyN6thrust23THRUST_200600_302600_NS4plusIyEEEEZZNS1_33reduce_by_key_impl_wrapped_configILNS1_25lookback_scan_determinismE0ES3_S9_NS6_6detail15normal_iteratorINS6_10device_ptrIjEEEENSD_INSE_IyEEEENS6_16discard_iteratorINS6_11use_defaultEEESI_PmS8_NS6_8equal_toIjEEEE10hipError_tPvRmT2_T3_mT4_T5_T6_T7_T8_P12ihipStream_tbENKUlT_T0_E_clISt17integral_constantIbLb0EES16_EEDaS11_S12_EUlS11_E_NS1_11comp_targetILNS1_3genE3ELNS1_11target_archE908ELNS1_3gpuE7ELNS1_3repE0EEENS1_30default_config_static_selectorELNS0_4arch9wavefront6targetE0EEEvT1_.kd
    .uniform_work_group_size: 1
    .uses_dynamic_stack: false
    .vgpr_count:     0
    .vgpr_spill_count: 0
    .wavefront_size: 32
    .workgroup_processor_mode: 1
  - .args:
      - .offset:         0
        .size:           144
        .value_kind:     by_value
    .group_segment_fixed_size: 0
    .kernarg_segment_align: 8
    .kernarg_segment_size: 144
    .language:       OpenCL C
    .language_version:
      - 2
      - 0
    .max_flat_workgroup_size: 256
    .name:           _ZN7rocprim17ROCPRIM_400000_NS6detail17trampoline_kernelINS0_14default_configENS1_29reduce_by_key_config_selectorIjyN6thrust23THRUST_200600_302600_NS4plusIyEEEEZZNS1_33reduce_by_key_impl_wrapped_configILNS1_25lookback_scan_determinismE0ES3_S9_NS6_6detail15normal_iteratorINS6_10device_ptrIjEEEENSD_INSE_IyEEEENS6_16discard_iteratorINS6_11use_defaultEEESI_PmS8_NS6_8equal_toIjEEEE10hipError_tPvRmT2_T3_mT4_T5_T6_T7_T8_P12ihipStream_tbENKUlT_T0_E_clISt17integral_constantIbLb0EES16_EEDaS11_S12_EUlS11_E_NS1_11comp_targetILNS1_3genE2ELNS1_11target_archE906ELNS1_3gpuE6ELNS1_3repE0EEENS1_30default_config_static_selectorELNS0_4arch9wavefront6targetE0EEEvT1_
    .private_segment_fixed_size: 0
    .sgpr_count:     0
    .sgpr_spill_count: 0
    .symbol:         _ZN7rocprim17ROCPRIM_400000_NS6detail17trampoline_kernelINS0_14default_configENS1_29reduce_by_key_config_selectorIjyN6thrust23THRUST_200600_302600_NS4plusIyEEEEZZNS1_33reduce_by_key_impl_wrapped_configILNS1_25lookback_scan_determinismE0ES3_S9_NS6_6detail15normal_iteratorINS6_10device_ptrIjEEEENSD_INSE_IyEEEENS6_16discard_iteratorINS6_11use_defaultEEESI_PmS8_NS6_8equal_toIjEEEE10hipError_tPvRmT2_T3_mT4_T5_T6_T7_T8_P12ihipStream_tbENKUlT_T0_E_clISt17integral_constantIbLb0EES16_EEDaS11_S12_EUlS11_E_NS1_11comp_targetILNS1_3genE2ELNS1_11target_archE906ELNS1_3gpuE6ELNS1_3repE0EEENS1_30default_config_static_selectorELNS0_4arch9wavefront6targetE0EEEvT1_.kd
    .uniform_work_group_size: 1
    .uses_dynamic_stack: false
    .vgpr_count:     0
    .vgpr_spill_count: 0
    .wavefront_size: 32
    .workgroup_processor_mode: 1
  - .args:
      - .offset:         0
        .size:           144
        .value_kind:     by_value
    .group_segment_fixed_size: 0
    .kernarg_segment_align: 8
    .kernarg_segment_size: 144
    .language:       OpenCL C
    .language_version:
      - 2
      - 0
    .max_flat_workgroup_size: 256
    .name:           _ZN7rocprim17ROCPRIM_400000_NS6detail17trampoline_kernelINS0_14default_configENS1_29reduce_by_key_config_selectorIjyN6thrust23THRUST_200600_302600_NS4plusIyEEEEZZNS1_33reduce_by_key_impl_wrapped_configILNS1_25lookback_scan_determinismE0ES3_S9_NS6_6detail15normal_iteratorINS6_10device_ptrIjEEEENSD_INSE_IyEEEENS6_16discard_iteratorINS6_11use_defaultEEESI_PmS8_NS6_8equal_toIjEEEE10hipError_tPvRmT2_T3_mT4_T5_T6_T7_T8_P12ihipStream_tbENKUlT_T0_E_clISt17integral_constantIbLb0EES16_EEDaS11_S12_EUlS11_E_NS1_11comp_targetILNS1_3genE10ELNS1_11target_archE1201ELNS1_3gpuE5ELNS1_3repE0EEENS1_30default_config_static_selectorELNS0_4arch9wavefront6targetE0EEEvT1_
    .private_segment_fixed_size: 0
    .sgpr_count:     0
    .sgpr_spill_count: 0
    .symbol:         _ZN7rocprim17ROCPRIM_400000_NS6detail17trampoline_kernelINS0_14default_configENS1_29reduce_by_key_config_selectorIjyN6thrust23THRUST_200600_302600_NS4plusIyEEEEZZNS1_33reduce_by_key_impl_wrapped_configILNS1_25lookback_scan_determinismE0ES3_S9_NS6_6detail15normal_iteratorINS6_10device_ptrIjEEEENSD_INSE_IyEEEENS6_16discard_iteratorINS6_11use_defaultEEESI_PmS8_NS6_8equal_toIjEEEE10hipError_tPvRmT2_T3_mT4_T5_T6_T7_T8_P12ihipStream_tbENKUlT_T0_E_clISt17integral_constantIbLb0EES16_EEDaS11_S12_EUlS11_E_NS1_11comp_targetILNS1_3genE10ELNS1_11target_archE1201ELNS1_3gpuE5ELNS1_3repE0EEENS1_30default_config_static_selectorELNS0_4arch9wavefront6targetE0EEEvT1_.kd
    .uniform_work_group_size: 1
    .uses_dynamic_stack: false
    .vgpr_count:     0
    .vgpr_spill_count: 0
    .wavefront_size: 32
    .workgroup_processor_mode: 1
  - .args:
      - .offset:         0
        .size:           144
        .value_kind:     by_value
    .group_segment_fixed_size: 0
    .kernarg_segment_align: 8
    .kernarg_segment_size: 144
    .language:       OpenCL C
    .language_version:
      - 2
      - 0
    .max_flat_workgroup_size: 256
    .name:           _ZN7rocprim17ROCPRIM_400000_NS6detail17trampoline_kernelINS0_14default_configENS1_29reduce_by_key_config_selectorIjyN6thrust23THRUST_200600_302600_NS4plusIyEEEEZZNS1_33reduce_by_key_impl_wrapped_configILNS1_25lookback_scan_determinismE0ES3_S9_NS6_6detail15normal_iteratorINS6_10device_ptrIjEEEENSD_INSE_IyEEEENS6_16discard_iteratorINS6_11use_defaultEEESI_PmS8_NS6_8equal_toIjEEEE10hipError_tPvRmT2_T3_mT4_T5_T6_T7_T8_P12ihipStream_tbENKUlT_T0_E_clISt17integral_constantIbLb0EES16_EEDaS11_S12_EUlS11_E_NS1_11comp_targetILNS1_3genE10ELNS1_11target_archE1200ELNS1_3gpuE4ELNS1_3repE0EEENS1_30default_config_static_selectorELNS0_4arch9wavefront6targetE0EEEvT1_
    .private_segment_fixed_size: 0
    .sgpr_count:     0
    .sgpr_spill_count: 0
    .symbol:         _ZN7rocprim17ROCPRIM_400000_NS6detail17trampoline_kernelINS0_14default_configENS1_29reduce_by_key_config_selectorIjyN6thrust23THRUST_200600_302600_NS4plusIyEEEEZZNS1_33reduce_by_key_impl_wrapped_configILNS1_25lookback_scan_determinismE0ES3_S9_NS6_6detail15normal_iteratorINS6_10device_ptrIjEEEENSD_INSE_IyEEEENS6_16discard_iteratorINS6_11use_defaultEEESI_PmS8_NS6_8equal_toIjEEEE10hipError_tPvRmT2_T3_mT4_T5_T6_T7_T8_P12ihipStream_tbENKUlT_T0_E_clISt17integral_constantIbLb0EES16_EEDaS11_S12_EUlS11_E_NS1_11comp_targetILNS1_3genE10ELNS1_11target_archE1200ELNS1_3gpuE4ELNS1_3repE0EEENS1_30default_config_static_selectorELNS0_4arch9wavefront6targetE0EEEvT1_.kd
    .uniform_work_group_size: 1
    .uses_dynamic_stack: false
    .vgpr_count:     0
    .vgpr_spill_count: 0
    .wavefront_size: 32
    .workgroup_processor_mode: 1
  - .args:
      - .offset:         0
        .size:           144
        .value_kind:     by_value
    .group_segment_fixed_size: 30720
    .kernarg_segment_align: 8
    .kernarg_segment_size: 144
    .language:       OpenCL C
    .language_version:
      - 2
      - 0
    .max_flat_workgroup_size: 256
    .name:           _ZN7rocprim17ROCPRIM_400000_NS6detail17trampoline_kernelINS0_14default_configENS1_29reduce_by_key_config_selectorIjyN6thrust23THRUST_200600_302600_NS4plusIyEEEEZZNS1_33reduce_by_key_impl_wrapped_configILNS1_25lookback_scan_determinismE0ES3_S9_NS6_6detail15normal_iteratorINS6_10device_ptrIjEEEENSD_INSE_IyEEEENS6_16discard_iteratorINS6_11use_defaultEEESI_PmS8_NS6_8equal_toIjEEEE10hipError_tPvRmT2_T3_mT4_T5_T6_T7_T8_P12ihipStream_tbENKUlT_T0_E_clISt17integral_constantIbLb0EES16_EEDaS11_S12_EUlS11_E_NS1_11comp_targetILNS1_3genE9ELNS1_11target_archE1100ELNS1_3gpuE3ELNS1_3repE0EEENS1_30default_config_static_selectorELNS0_4arch9wavefront6targetE0EEEvT1_
    .private_segment_fixed_size: 0
    .sgpr_count:     54
    .sgpr_spill_count: 0
    .symbol:         _ZN7rocprim17ROCPRIM_400000_NS6detail17trampoline_kernelINS0_14default_configENS1_29reduce_by_key_config_selectorIjyN6thrust23THRUST_200600_302600_NS4plusIyEEEEZZNS1_33reduce_by_key_impl_wrapped_configILNS1_25lookback_scan_determinismE0ES3_S9_NS6_6detail15normal_iteratorINS6_10device_ptrIjEEEENSD_INSE_IyEEEENS6_16discard_iteratorINS6_11use_defaultEEESI_PmS8_NS6_8equal_toIjEEEE10hipError_tPvRmT2_T3_mT4_T5_T6_T7_T8_P12ihipStream_tbENKUlT_T0_E_clISt17integral_constantIbLb0EES16_EEDaS11_S12_EUlS11_E_NS1_11comp_targetILNS1_3genE9ELNS1_11target_archE1100ELNS1_3gpuE3ELNS1_3repE0EEENS1_30default_config_static_selectorELNS0_4arch9wavefront6targetE0EEEvT1_.kd
    .uniform_work_group_size: 1
    .uses_dynamic_stack: false
    .vgpr_count:     103
    .vgpr_spill_count: 0
    .wavefront_size: 32
    .workgroup_processor_mode: 1
  - .args:
      - .offset:         0
        .size:           144
        .value_kind:     by_value
    .group_segment_fixed_size: 0
    .kernarg_segment_align: 8
    .kernarg_segment_size: 144
    .language:       OpenCL C
    .language_version:
      - 2
      - 0
    .max_flat_workgroup_size: 256
    .name:           _ZN7rocprim17ROCPRIM_400000_NS6detail17trampoline_kernelINS0_14default_configENS1_29reduce_by_key_config_selectorIjyN6thrust23THRUST_200600_302600_NS4plusIyEEEEZZNS1_33reduce_by_key_impl_wrapped_configILNS1_25lookback_scan_determinismE0ES3_S9_NS6_6detail15normal_iteratorINS6_10device_ptrIjEEEENSD_INSE_IyEEEENS6_16discard_iteratorINS6_11use_defaultEEESI_PmS8_NS6_8equal_toIjEEEE10hipError_tPvRmT2_T3_mT4_T5_T6_T7_T8_P12ihipStream_tbENKUlT_T0_E_clISt17integral_constantIbLb0EES16_EEDaS11_S12_EUlS11_E_NS1_11comp_targetILNS1_3genE8ELNS1_11target_archE1030ELNS1_3gpuE2ELNS1_3repE0EEENS1_30default_config_static_selectorELNS0_4arch9wavefront6targetE0EEEvT1_
    .private_segment_fixed_size: 0
    .sgpr_count:     0
    .sgpr_spill_count: 0
    .symbol:         _ZN7rocprim17ROCPRIM_400000_NS6detail17trampoline_kernelINS0_14default_configENS1_29reduce_by_key_config_selectorIjyN6thrust23THRUST_200600_302600_NS4plusIyEEEEZZNS1_33reduce_by_key_impl_wrapped_configILNS1_25lookback_scan_determinismE0ES3_S9_NS6_6detail15normal_iteratorINS6_10device_ptrIjEEEENSD_INSE_IyEEEENS6_16discard_iteratorINS6_11use_defaultEEESI_PmS8_NS6_8equal_toIjEEEE10hipError_tPvRmT2_T3_mT4_T5_T6_T7_T8_P12ihipStream_tbENKUlT_T0_E_clISt17integral_constantIbLb0EES16_EEDaS11_S12_EUlS11_E_NS1_11comp_targetILNS1_3genE8ELNS1_11target_archE1030ELNS1_3gpuE2ELNS1_3repE0EEENS1_30default_config_static_selectorELNS0_4arch9wavefront6targetE0EEEvT1_.kd
    .uniform_work_group_size: 1
    .uses_dynamic_stack: false
    .vgpr_count:     0
    .vgpr_spill_count: 0
    .wavefront_size: 32
    .workgroup_processor_mode: 1
  - .args:
      - .offset:         0
        .size:           144
        .value_kind:     by_value
    .group_segment_fixed_size: 0
    .kernarg_segment_align: 8
    .kernarg_segment_size: 144
    .language:       OpenCL C
    .language_version:
      - 2
      - 0
    .max_flat_workgroup_size: 256
    .name:           _ZN7rocprim17ROCPRIM_400000_NS6detail17trampoline_kernelINS0_14default_configENS1_29reduce_by_key_config_selectorIjyN6thrust23THRUST_200600_302600_NS4plusIyEEEEZZNS1_33reduce_by_key_impl_wrapped_configILNS1_25lookback_scan_determinismE0ES3_S9_NS6_6detail15normal_iteratorINS6_10device_ptrIjEEEENSD_INSE_IyEEEENS6_16discard_iteratorINS6_11use_defaultEEESI_PmS8_NS6_8equal_toIjEEEE10hipError_tPvRmT2_T3_mT4_T5_T6_T7_T8_P12ihipStream_tbENKUlT_T0_E_clISt17integral_constantIbLb1EES16_EEDaS11_S12_EUlS11_E_NS1_11comp_targetILNS1_3genE0ELNS1_11target_archE4294967295ELNS1_3gpuE0ELNS1_3repE0EEENS1_30default_config_static_selectorELNS0_4arch9wavefront6targetE0EEEvT1_
    .private_segment_fixed_size: 0
    .sgpr_count:     0
    .sgpr_spill_count: 0
    .symbol:         _ZN7rocprim17ROCPRIM_400000_NS6detail17trampoline_kernelINS0_14default_configENS1_29reduce_by_key_config_selectorIjyN6thrust23THRUST_200600_302600_NS4plusIyEEEEZZNS1_33reduce_by_key_impl_wrapped_configILNS1_25lookback_scan_determinismE0ES3_S9_NS6_6detail15normal_iteratorINS6_10device_ptrIjEEEENSD_INSE_IyEEEENS6_16discard_iteratorINS6_11use_defaultEEESI_PmS8_NS6_8equal_toIjEEEE10hipError_tPvRmT2_T3_mT4_T5_T6_T7_T8_P12ihipStream_tbENKUlT_T0_E_clISt17integral_constantIbLb1EES16_EEDaS11_S12_EUlS11_E_NS1_11comp_targetILNS1_3genE0ELNS1_11target_archE4294967295ELNS1_3gpuE0ELNS1_3repE0EEENS1_30default_config_static_selectorELNS0_4arch9wavefront6targetE0EEEvT1_.kd
    .uniform_work_group_size: 1
    .uses_dynamic_stack: false
    .vgpr_count:     0
    .vgpr_spill_count: 0
    .wavefront_size: 32
    .workgroup_processor_mode: 1
  - .args:
      - .offset:         0
        .size:           144
        .value_kind:     by_value
    .group_segment_fixed_size: 0
    .kernarg_segment_align: 8
    .kernarg_segment_size: 144
    .language:       OpenCL C
    .language_version:
      - 2
      - 0
    .max_flat_workgroup_size: 256
    .name:           _ZN7rocprim17ROCPRIM_400000_NS6detail17trampoline_kernelINS0_14default_configENS1_29reduce_by_key_config_selectorIjyN6thrust23THRUST_200600_302600_NS4plusIyEEEEZZNS1_33reduce_by_key_impl_wrapped_configILNS1_25lookback_scan_determinismE0ES3_S9_NS6_6detail15normal_iteratorINS6_10device_ptrIjEEEENSD_INSE_IyEEEENS6_16discard_iteratorINS6_11use_defaultEEESI_PmS8_NS6_8equal_toIjEEEE10hipError_tPvRmT2_T3_mT4_T5_T6_T7_T8_P12ihipStream_tbENKUlT_T0_E_clISt17integral_constantIbLb1EES16_EEDaS11_S12_EUlS11_E_NS1_11comp_targetILNS1_3genE5ELNS1_11target_archE942ELNS1_3gpuE9ELNS1_3repE0EEENS1_30default_config_static_selectorELNS0_4arch9wavefront6targetE0EEEvT1_
    .private_segment_fixed_size: 0
    .sgpr_count:     0
    .sgpr_spill_count: 0
    .symbol:         _ZN7rocprim17ROCPRIM_400000_NS6detail17trampoline_kernelINS0_14default_configENS1_29reduce_by_key_config_selectorIjyN6thrust23THRUST_200600_302600_NS4plusIyEEEEZZNS1_33reduce_by_key_impl_wrapped_configILNS1_25lookback_scan_determinismE0ES3_S9_NS6_6detail15normal_iteratorINS6_10device_ptrIjEEEENSD_INSE_IyEEEENS6_16discard_iteratorINS6_11use_defaultEEESI_PmS8_NS6_8equal_toIjEEEE10hipError_tPvRmT2_T3_mT4_T5_T6_T7_T8_P12ihipStream_tbENKUlT_T0_E_clISt17integral_constantIbLb1EES16_EEDaS11_S12_EUlS11_E_NS1_11comp_targetILNS1_3genE5ELNS1_11target_archE942ELNS1_3gpuE9ELNS1_3repE0EEENS1_30default_config_static_selectorELNS0_4arch9wavefront6targetE0EEEvT1_.kd
    .uniform_work_group_size: 1
    .uses_dynamic_stack: false
    .vgpr_count:     0
    .vgpr_spill_count: 0
    .wavefront_size: 32
    .workgroup_processor_mode: 1
  - .args:
      - .offset:         0
        .size:           144
        .value_kind:     by_value
    .group_segment_fixed_size: 0
    .kernarg_segment_align: 8
    .kernarg_segment_size: 144
    .language:       OpenCL C
    .language_version:
      - 2
      - 0
    .max_flat_workgroup_size: 256
    .name:           _ZN7rocprim17ROCPRIM_400000_NS6detail17trampoline_kernelINS0_14default_configENS1_29reduce_by_key_config_selectorIjyN6thrust23THRUST_200600_302600_NS4plusIyEEEEZZNS1_33reduce_by_key_impl_wrapped_configILNS1_25lookback_scan_determinismE0ES3_S9_NS6_6detail15normal_iteratorINS6_10device_ptrIjEEEENSD_INSE_IyEEEENS6_16discard_iteratorINS6_11use_defaultEEESI_PmS8_NS6_8equal_toIjEEEE10hipError_tPvRmT2_T3_mT4_T5_T6_T7_T8_P12ihipStream_tbENKUlT_T0_E_clISt17integral_constantIbLb1EES16_EEDaS11_S12_EUlS11_E_NS1_11comp_targetILNS1_3genE4ELNS1_11target_archE910ELNS1_3gpuE8ELNS1_3repE0EEENS1_30default_config_static_selectorELNS0_4arch9wavefront6targetE0EEEvT1_
    .private_segment_fixed_size: 0
    .sgpr_count:     0
    .sgpr_spill_count: 0
    .symbol:         _ZN7rocprim17ROCPRIM_400000_NS6detail17trampoline_kernelINS0_14default_configENS1_29reduce_by_key_config_selectorIjyN6thrust23THRUST_200600_302600_NS4plusIyEEEEZZNS1_33reduce_by_key_impl_wrapped_configILNS1_25lookback_scan_determinismE0ES3_S9_NS6_6detail15normal_iteratorINS6_10device_ptrIjEEEENSD_INSE_IyEEEENS6_16discard_iteratorINS6_11use_defaultEEESI_PmS8_NS6_8equal_toIjEEEE10hipError_tPvRmT2_T3_mT4_T5_T6_T7_T8_P12ihipStream_tbENKUlT_T0_E_clISt17integral_constantIbLb1EES16_EEDaS11_S12_EUlS11_E_NS1_11comp_targetILNS1_3genE4ELNS1_11target_archE910ELNS1_3gpuE8ELNS1_3repE0EEENS1_30default_config_static_selectorELNS0_4arch9wavefront6targetE0EEEvT1_.kd
    .uniform_work_group_size: 1
    .uses_dynamic_stack: false
    .vgpr_count:     0
    .vgpr_spill_count: 0
    .wavefront_size: 32
    .workgroup_processor_mode: 1
  - .args:
      - .offset:         0
        .size:           144
        .value_kind:     by_value
    .group_segment_fixed_size: 0
    .kernarg_segment_align: 8
    .kernarg_segment_size: 144
    .language:       OpenCL C
    .language_version:
      - 2
      - 0
    .max_flat_workgroup_size: 256
    .name:           _ZN7rocprim17ROCPRIM_400000_NS6detail17trampoline_kernelINS0_14default_configENS1_29reduce_by_key_config_selectorIjyN6thrust23THRUST_200600_302600_NS4plusIyEEEEZZNS1_33reduce_by_key_impl_wrapped_configILNS1_25lookback_scan_determinismE0ES3_S9_NS6_6detail15normal_iteratorINS6_10device_ptrIjEEEENSD_INSE_IyEEEENS6_16discard_iteratorINS6_11use_defaultEEESI_PmS8_NS6_8equal_toIjEEEE10hipError_tPvRmT2_T3_mT4_T5_T6_T7_T8_P12ihipStream_tbENKUlT_T0_E_clISt17integral_constantIbLb1EES16_EEDaS11_S12_EUlS11_E_NS1_11comp_targetILNS1_3genE3ELNS1_11target_archE908ELNS1_3gpuE7ELNS1_3repE0EEENS1_30default_config_static_selectorELNS0_4arch9wavefront6targetE0EEEvT1_
    .private_segment_fixed_size: 0
    .sgpr_count:     0
    .sgpr_spill_count: 0
    .symbol:         _ZN7rocprim17ROCPRIM_400000_NS6detail17trampoline_kernelINS0_14default_configENS1_29reduce_by_key_config_selectorIjyN6thrust23THRUST_200600_302600_NS4plusIyEEEEZZNS1_33reduce_by_key_impl_wrapped_configILNS1_25lookback_scan_determinismE0ES3_S9_NS6_6detail15normal_iteratorINS6_10device_ptrIjEEEENSD_INSE_IyEEEENS6_16discard_iteratorINS6_11use_defaultEEESI_PmS8_NS6_8equal_toIjEEEE10hipError_tPvRmT2_T3_mT4_T5_T6_T7_T8_P12ihipStream_tbENKUlT_T0_E_clISt17integral_constantIbLb1EES16_EEDaS11_S12_EUlS11_E_NS1_11comp_targetILNS1_3genE3ELNS1_11target_archE908ELNS1_3gpuE7ELNS1_3repE0EEENS1_30default_config_static_selectorELNS0_4arch9wavefront6targetE0EEEvT1_.kd
    .uniform_work_group_size: 1
    .uses_dynamic_stack: false
    .vgpr_count:     0
    .vgpr_spill_count: 0
    .wavefront_size: 32
    .workgroup_processor_mode: 1
  - .args:
      - .offset:         0
        .size:           144
        .value_kind:     by_value
    .group_segment_fixed_size: 0
    .kernarg_segment_align: 8
    .kernarg_segment_size: 144
    .language:       OpenCL C
    .language_version:
      - 2
      - 0
    .max_flat_workgroup_size: 256
    .name:           _ZN7rocprim17ROCPRIM_400000_NS6detail17trampoline_kernelINS0_14default_configENS1_29reduce_by_key_config_selectorIjyN6thrust23THRUST_200600_302600_NS4plusIyEEEEZZNS1_33reduce_by_key_impl_wrapped_configILNS1_25lookback_scan_determinismE0ES3_S9_NS6_6detail15normal_iteratorINS6_10device_ptrIjEEEENSD_INSE_IyEEEENS6_16discard_iteratorINS6_11use_defaultEEESI_PmS8_NS6_8equal_toIjEEEE10hipError_tPvRmT2_T3_mT4_T5_T6_T7_T8_P12ihipStream_tbENKUlT_T0_E_clISt17integral_constantIbLb1EES16_EEDaS11_S12_EUlS11_E_NS1_11comp_targetILNS1_3genE2ELNS1_11target_archE906ELNS1_3gpuE6ELNS1_3repE0EEENS1_30default_config_static_selectorELNS0_4arch9wavefront6targetE0EEEvT1_
    .private_segment_fixed_size: 0
    .sgpr_count:     0
    .sgpr_spill_count: 0
    .symbol:         _ZN7rocprim17ROCPRIM_400000_NS6detail17trampoline_kernelINS0_14default_configENS1_29reduce_by_key_config_selectorIjyN6thrust23THRUST_200600_302600_NS4plusIyEEEEZZNS1_33reduce_by_key_impl_wrapped_configILNS1_25lookback_scan_determinismE0ES3_S9_NS6_6detail15normal_iteratorINS6_10device_ptrIjEEEENSD_INSE_IyEEEENS6_16discard_iteratorINS6_11use_defaultEEESI_PmS8_NS6_8equal_toIjEEEE10hipError_tPvRmT2_T3_mT4_T5_T6_T7_T8_P12ihipStream_tbENKUlT_T0_E_clISt17integral_constantIbLb1EES16_EEDaS11_S12_EUlS11_E_NS1_11comp_targetILNS1_3genE2ELNS1_11target_archE906ELNS1_3gpuE6ELNS1_3repE0EEENS1_30default_config_static_selectorELNS0_4arch9wavefront6targetE0EEEvT1_.kd
    .uniform_work_group_size: 1
    .uses_dynamic_stack: false
    .vgpr_count:     0
    .vgpr_spill_count: 0
    .wavefront_size: 32
    .workgroup_processor_mode: 1
  - .args:
      - .offset:         0
        .size:           144
        .value_kind:     by_value
    .group_segment_fixed_size: 0
    .kernarg_segment_align: 8
    .kernarg_segment_size: 144
    .language:       OpenCL C
    .language_version:
      - 2
      - 0
    .max_flat_workgroup_size: 256
    .name:           _ZN7rocprim17ROCPRIM_400000_NS6detail17trampoline_kernelINS0_14default_configENS1_29reduce_by_key_config_selectorIjyN6thrust23THRUST_200600_302600_NS4plusIyEEEEZZNS1_33reduce_by_key_impl_wrapped_configILNS1_25lookback_scan_determinismE0ES3_S9_NS6_6detail15normal_iteratorINS6_10device_ptrIjEEEENSD_INSE_IyEEEENS6_16discard_iteratorINS6_11use_defaultEEESI_PmS8_NS6_8equal_toIjEEEE10hipError_tPvRmT2_T3_mT4_T5_T6_T7_T8_P12ihipStream_tbENKUlT_T0_E_clISt17integral_constantIbLb1EES16_EEDaS11_S12_EUlS11_E_NS1_11comp_targetILNS1_3genE10ELNS1_11target_archE1201ELNS1_3gpuE5ELNS1_3repE0EEENS1_30default_config_static_selectorELNS0_4arch9wavefront6targetE0EEEvT1_
    .private_segment_fixed_size: 0
    .sgpr_count:     0
    .sgpr_spill_count: 0
    .symbol:         _ZN7rocprim17ROCPRIM_400000_NS6detail17trampoline_kernelINS0_14default_configENS1_29reduce_by_key_config_selectorIjyN6thrust23THRUST_200600_302600_NS4plusIyEEEEZZNS1_33reduce_by_key_impl_wrapped_configILNS1_25lookback_scan_determinismE0ES3_S9_NS6_6detail15normal_iteratorINS6_10device_ptrIjEEEENSD_INSE_IyEEEENS6_16discard_iteratorINS6_11use_defaultEEESI_PmS8_NS6_8equal_toIjEEEE10hipError_tPvRmT2_T3_mT4_T5_T6_T7_T8_P12ihipStream_tbENKUlT_T0_E_clISt17integral_constantIbLb1EES16_EEDaS11_S12_EUlS11_E_NS1_11comp_targetILNS1_3genE10ELNS1_11target_archE1201ELNS1_3gpuE5ELNS1_3repE0EEENS1_30default_config_static_selectorELNS0_4arch9wavefront6targetE0EEEvT1_.kd
    .uniform_work_group_size: 1
    .uses_dynamic_stack: false
    .vgpr_count:     0
    .vgpr_spill_count: 0
    .wavefront_size: 32
    .workgroup_processor_mode: 1
  - .args:
      - .offset:         0
        .size:           144
        .value_kind:     by_value
    .group_segment_fixed_size: 0
    .kernarg_segment_align: 8
    .kernarg_segment_size: 144
    .language:       OpenCL C
    .language_version:
      - 2
      - 0
    .max_flat_workgroup_size: 256
    .name:           _ZN7rocprim17ROCPRIM_400000_NS6detail17trampoline_kernelINS0_14default_configENS1_29reduce_by_key_config_selectorIjyN6thrust23THRUST_200600_302600_NS4plusIyEEEEZZNS1_33reduce_by_key_impl_wrapped_configILNS1_25lookback_scan_determinismE0ES3_S9_NS6_6detail15normal_iteratorINS6_10device_ptrIjEEEENSD_INSE_IyEEEENS6_16discard_iteratorINS6_11use_defaultEEESI_PmS8_NS6_8equal_toIjEEEE10hipError_tPvRmT2_T3_mT4_T5_T6_T7_T8_P12ihipStream_tbENKUlT_T0_E_clISt17integral_constantIbLb1EES16_EEDaS11_S12_EUlS11_E_NS1_11comp_targetILNS1_3genE10ELNS1_11target_archE1200ELNS1_3gpuE4ELNS1_3repE0EEENS1_30default_config_static_selectorELNS0_4arch9wavefront6targetE0EEEvT1_
    .private_segment_fixed_size: 0
    .sgpr_count:     0
    .sgpr_spill_count: 0
    .symbol:         _ZN7rocprim17ROCPRIM_400000_NS6detail17trampoline_kernelINS0_14default_configENS1_29reduce_by_key_config_selectorIjyN6thrust23THRUST_200600_302600_NS4plusIyEEEEZZNS1_33reduce_by_key_impl_wrapped_configILNS1_25lookback_scan_determinismE0ES3_S9_NS6_6detail15normal_iteratorINS6_10device_ptrIjEEEENSD_INSE_IyEEEENS6_16discard_iteratorINS6_11use_defaultEEESI_PmS8_NS6_8equal_toIjEEEE10hipError_tPvRmT2_T3_mT4_T5_T6_T7_T8_P12ihipStream_tbENKUlT_T0_E_clISt17integral_constantIbLb1EES16_EEDaS11_S12_EUlS11_E_NS1_11comp_targetILNS1_3genE10ELNS1_11target_archE1200ELNS1_3gpuE4ELNS1_3repE0EEENS1_30default_config_static_selectorELNS0_4arch9wavefront6targetE0EEEvT1_.kd
    .uniform_work_group_size: 1
    .uses_dynamic_stack: false
    .vgpr_count:     0
    .vgpr_spill_count: 0
    .wavefront_size: 32
    .workgroup_processor_mode: 1
  - .args:
      - .offset:         0
        .size:           144
        .value_kind:     by_value
    .group_segment_fixed_size: 30720
    .kernarg_segment_align: 8
    .kernarg_segment_size: 144
    .language:       OpenCL C
    .language_version:
      - 2
      - 0
    .max_flat_workgroup_size: 256
    .name:           _ZN7rocprim17ROCPRIM_400000_NS6detail17trampoline_kernelINS0_14default_configENS1_29reduce_by_key_config_selectorIjyN6thrust23THRUST_200600_302600_NS4plusIyEEEEZZNS1_33reduce_by_key_impl_wrapped_configILNS1_25lookback_scan_determinismE0ES3_S9_NS6_6detail15normal_iteratorINS6_10device_ptrIjEEEENSD_INSE_IyEEEENS6_16discard_iteratorINS6_11use_defaultEEESI_PmS8_NS6_8equal_toIjEEEE10hipError_tPvRmT2_T3_mT4_T5_T6_T7_T8_P12ihipStream_tbENKUlT_T0_E_clISt17integral_constantIbLb1EES16_EEDaS11_S12_EUlS11_E_NS1_11comp_targetILNS1_3genE9ELNS1_11target_archE1100ELNS1_3gpuE3ELNS1_3repE0EEENS1_30default_config_static_selectorELNS0_4arch9wavefront6targetE0EEEvT1_
    .private_segment_fixed_size: 0
    .sgpr_count:     54
    .sgpr_spill_count: 0
    .symbol:         _ZN7rocprim17ROCPRIM_400000_NS6detail17trampoline_kernelINS0_14default_configENS1_29reduce_by_key_config_selectorIjyN6thrust23THRUST_200600_302600_NS4plusIyEEEEZZNS1_33reduce_by_key_impl_wrapped_configILNS1_25lookback_scan_determinismE0ES3_S9_NS6_6detail15normal_iteratorINS6_10device_ptrIjEEEENSD_INSE_IyEEEENS6_16discard_iteratorINS6_11use_defaultEEESI_PmS8_NS6_8equal_toIjEEEE10hipError_tPvRmT2_T3_mT4_T5_T6_T7_T8_P12ihipStream_tbENKUlT_T0_E_clISt17integral_constantIbLb1EES16_EEDaS11_S12_EUlS11_E_NS1_11comp_targetILNS1_3genE9ELNS1_11target_archE1100ELNS1_3gpuE3ELNS1_3repE0EEENS1_30default_config_static_selectorELNS0_4arch9wavefront6targetE0EEEvT1_.kd
    .uniform_work_group_size: 1
    .uses_dynamic_stack: false
    .vgpr_count:     103
    .vgpr_spill_count: 0
    .wavefront_size: 32
    .workgroup_processor_mode: 1
  - .args:
      - .offset:         0
        .size:           144
        .value_kind:     by_value
    .group_segment_fixed_size: 0
    .kernarg_segment_align: 8
    .kernarg_segment_size: 144
    .language:       OpenCL C
    .language_version:
      - 2
      - 0
    .max_flat_workgroup_size: 256
    .name:           _ZN7rocprim17ROCPRIM_400000_NS6detail17trampoline_kernelINS0_14default_configENS1_29reduce_by_key_config_selectorIjyN6thrust23THRUST_200600_302600_NS4plusIyEEEEZZNS1_33reduce_by_key_impl_wrapped_configILNS1_25lookback_scan_determinismE0ES3_S9_NS6_6detail15normal_iteratorINS6_10device_ptrIjEEEENSD_INSE_IyEEEENS6_16discard_iteratorINS6_11use_defaultEEESI_PmS8_NS6_8equal_toIjEEEE10hipError_tPvRmT2_T3_mT4_T5_T6_T7_T8_P12ihipStream_tbENKUlT_T0_E_clISt17integral_constantIbLb1EES16_EEDaS11_S12_EUlS11_E_NS1_11comp_targetILNS1_3genE8ELNS1_11target_archE1030ELNS1_3gpuE2ELNS1_3repE0EEENS1_30default_config_static_selectorELNS0_4arch9wavefront6targetE0EEEvT1_
    .private_segment_fixed_size: 0
    .sgpr_count:     0
    .sgpr_spill_count: 0
    .symbol:         _ZN7rocprim17ROCPRIM_400000_NS6detail17trampoline_kernelINS0_14default_configENS1_29reduce_by_key_config_selectorIjyN6thrust23THRUST_200600_302600_NS4plusIyEEEEZZNS1_33reduce_by_key_impl_wrapped_configILNS1_25lookback_scan_determinismE0ES3_S9_NS6_6detail15normal_iteratorINS6_10device_ptrIjEEEENSD_INSE_IyEEEENS6_16discard_iteratorINS6_11use_defaultEEESI_PmS8_NS6_8equal_toIjEEEE10hipError_tPvRmT2_T3_mT4_T5_T6_T7_T8_P12ihipStream_tbENKUlT_T0_E_clISt17integral_constantIbLb1EES16_EEDaS11_S12_EUlS11_E_NS1_11comp_targetILNS1_3genE8ELNS1_11target_archE1030ELNS1_3gpuE2ELNS1_3repE0EEENS1_30default_config_static_selectorELNS0_4arch9wavefront6targetE0EEEvT1_.kd
    .uniform_work_group_size: 1
    .uses_dynamic_stack: false
    .vgpr_count:     0
    .vgpr_spill_count: 0
    .wavefront_size: 32
    .workgroup_processor_mode: 1
  - .args:
      - .offset:         0
        .size:           144
        .value_kind:     by_value
    .group_segment_fixed_size: 0
    .kernarg_segment_align: 8
    .kernarg_segment_size: 144
    .language:       OpenCL C
    .language_version:
      - 2
      - 0
    .max_flat_workgroup_size: 256
    .name:           _ZN7rocprim17ROCPRIM_400000_NS6detail17trampoline_kernelINS0_14default_configENS1_29reduce_by_key_config_selectorIjyN6thrust23THRUST_200600_302600_NS4plusIyEEEEZZNS1_33reduce_by_key_impl_wrapped_configILNS1_25lookback_scan_determinismE0ES3_S9_NS6_6detail15normal_iteratorINS6_10device_ptrIjEEEENSD_INSE_IyEEEENS6_16discard_iteratorINS6_11use_defaultEEESI_PmS8_NS6_8equal_toIjEEEE10hipError_tPvRmT2_T3_mT4_T5_T6_T7_T8_P12ihipStream_tbENKUlT_T0_E_clISt17integral_constantIbLb1EES15_IbLb0EEEEDaS11_S12_EUlS11_E_NS1_11comp_targetILNS1_3genE0ELNS1_11target_archE4294967295ELNS1_3gpuE0ELNS1_3repE0EEENS1_30default_config_static_selectorELNS0_4arch9wavefront6targetE0EEEvT1_
    .private_segment_fixed_size: 0
    .sgpr_count:     0
    .sgpr_spill_count: 0
    .symbol:         _ZN7rocprim17ROCPRIM_400000_NS6detail17trampoline_kernelINS0_14default_configENS1_29reduce_by_key_config_selectorIjyN6thrust23THRUST_200600_302600_NS4plusIyEEEEZZNS1_33reduce_by_key_impl_wrapped_configILNS1_25lookback_scan_determinismE0ES3_S9_NS6_6detail15normal_iteratorINS6_10device_ptrIjEEEENSD_INSE_IyEEEENS6_16discard_iteratorINS6_11use_defaultEEESI_PmS8_NS6_8equal_toIjEEEE10hipError_tPvRmT2_T3_mT4_T5_T6_T7_T8_P12ihipStream_tbENKUlT_T0_E_clISt17integral_constantIbLb1EES15_IbLb0EEEEDaS11_S12_EUlS11_E_NS1_11comp_targetILNS1_3genE0ELNS1_11target_archE4294967295ELNS1_3gpuE0ELNS1_3repE0EEENS1_30default_config_static_selectorELNS0_4arch9wavefront6targetE0EEEvT1_.kd
    .uniform_work_group_size: 1
    .uses_dynamic_stack: false
    .vgpr_count:     0
    .vgpr_spill_count: 0
    .wavefront_size: 32
    .workgroup_processor_mode: 1
  - .args:
      - .offset:         0
        .size:           144
        .value_kind:     by_value
    .group_segment_fixed_size: 0
    .kernarg_segment_align: 8
    .kernarg_segment_size: 144
    .language:       OpenCL C
    .language_version:
      - 2
      - 0
    .max_flat_workgroup_size: 256
    .name:           _ZN7rocprim17ROCPRIM_400000_NS6detail17trampoline_kernelINS0_14default_configENS1_29reduce_by_key_config_selectorIjyN6thrust23THRUST_200600_302600_NS4plusIyEEEEZZNS1_33reduce_by_key_impl_wrapped_configILNS1_25lookback_scan_determinismE0ES3_S9_NS6_6detail15normal_iteratorINS6_10device_ptrIjEEEENSD_INSE_IyEEEENS6_16discard_iteratorINS6_11use_defaultEEESI_PmS8_NS6_8equal_toIjEEEE10hipError_tPvRmT2_T3_mT4_T5_T6_T7_T8_P12ihipStream_tbENKUlT_T0_E_clISt17integral_constantIbLb1EES15_IbLb0EEEEDaS11_S12_EUlS11_E_NS1_11comp_targetILNS1_3genE5ELNS1_11target_archE942ELNS1_3gpuE9ELNS1_3repE0EEENS1_30default_config_static_selectorELNS0_4arch9wavefront6targetE0EEEvT1_
    .private_segment_fixed_size: 0
    .sgpr_count:     0
    .sgpr_spill_count: 0
    .symbol:         _ZN7rocprim17ROCPRIM_400000_NS6detail17trampoline_kernelINS0_14default_configENS1_29reduce_by_key_config_selectorIjyN6thrust23THRUST_200600_302600_NS4plusIyEEEEZZNS1_33reduce_by_key_impl_wrapped_configILNS1_25lookback_scan_determinismE0ES3_S9_NS6_6detail15normal_iteratorINS6_10device_ptrIjEEEENSD_INSE_IyEEEENS6_16discard_iteratorINS6_11use_defaultEEESI_PmS8_NS6_8equal_toIjEEEE10hipError_tPvRmT2_T3_mT4_T5_T6_T7_T8_P12ihipStream_tbENKUlT_T0_E_clISt17integral_constantIbLb1EES15_IbLb0EEEEDaS11_S12_EUlS11_E_NS1_11comp_targetILNS1_3genE5ELNS1_11target_archE942ELNS1_3gpuE9ELNS1_3repE0EEENS1_30default_config_static_selectorELNS0_4arch9wavefront6targetE0EEEvT1_.kd
    .uniform_work_group_size: 1
    .uses_dynamic_stack: false
    .vgpr_count:     0
    .vgpr_spill_count: 0
    .wavefront_size: 32
    .workgroup_processor_mode: 1
  - .args:
      - .offset:         0
        .size:           144
        .value_kind:     by_value
    .group_segment_fixed_size: 0
    .kernarg_segment_align: 8
    .kernarg_segment_size: 144
    .language:       OpenCL C
    .language_version:
      - 2
      - 0
    .max_flat_workgroup_size: 256
    .name:           _ZN7rocprim17ROCPRIM_400000_NS6detail17trampoline_kernelINS0_14default_configENS1_29reduce_by_key_config_selectorIjyN6thrust23THRUST_200600_302600_NS4plusIyEEEEZZNS1_33reduce_by_key_impl_wrapped_configILNS1_25lookback_scan_determinismE0ES3_S9_NS6_6detail15normal_iteratorINS6_10device_ptrIjEEEENSD_INSE_IyEEEENS6_16discard_iteratorINS6_11use_defaultEEESI_PmS8_NS6_8equal_toIjEEEE10hipError_tPvRmT2_T3_mT4_T5_T6_T7_T8_P12ihipStream_tbENKUlT_T0_E_clISt17integral_constantIbLb1EES15_IbLb0EEEEDaS11_S12_EUlS11_E_NS1_11comp_targetILNS1_3genE4ELNS1_11target_archE910ELNS1_3gpuE8ELNS1_3repE0EEENS1_30default_config_static_selectorELNS0_4arch9wavefront6targetE0EEEvT1_
    .private_segment_fixed_size: 0
    .sgpr_count:     0
    .sgpr_spill_count: 0
    .symbol:         _ZN7rocprim17ROCPRIM_400000_NS6detail17trampoline_kernelINS0_14default_configENS1_29reduce_by_key_config_selectorIjyN6thrust23THRUST_200600_302600_NS4plusIyEEEEZZNS1_33reduce_by_key_impl_wrapped_configILNS1_25lookback_scan_determinismE0ES3_S9_NS6_6detail15normal_iteratorINS6_10device_ptrIjEEEENSD_INSE_IyEEEENS6_16discard_iteratorINS6_11use_defaultEEESI_PmS8_NS6_8equal_toIjEEEE10hipError_tPvRmT2_T3_mT4_T5_T6_T7_T8_P12ihipStream_tbENKUlT_T0_E_clISt17integral_constantIbLb1EES15_IbLb0EEEEDaS11_S12_EUlS11_E_NS1_11comp_targetILNS1_3genE4ELNS1_11target_archE910ELNS1_3gpuE8ELNS1_3repE0EEENS1_30default_config_static_selectorELNS0_4arch9wavefront6targetE0EEEvT1_.kd
    .uniform_work_group_size: 1
    .uses_dynamic_stack: false
    .vgpr_count:     0
    .vgpr_spill_count: 0
    .wavefront_size: 32
    .workgroup_processor_mode: 1
  - .args:
      - .offset:         0
        .size:           144
        .value_kind:     by_value
    .group_segment_fixed_size: 0
    .kernarg_segment_align: 8
    .kernarg_segment_size: 144
    .language:       OpenCL C
    .language_version:
      - 2
      - 0
    .max_flat_workgroup_size: 256
    .name:           _ZN7rocprim17ROCPRIM_400000_NS6detail17trampoline_kernelINS0_14default_configENS1_29reduce_by_key_config_selectorIjyN6thrust23THRUST_200600_302600_NS4plusIyEEEEZZNS1_33reduce_by_key_impl_wrapped_configILNS1_25lookback_scan_determinismE0ES3_S9_NS6_6detail15normal_iteratorINS6_10device_ptrIjEEEENSD_INSE_IyEEEENS6_16discard_iteratorINS6_11use_defaultEEESI_PmS8_NS6_8equal_toIjEEEE10hipError_tPvRmT2_T3_mT4_T5_T6_T7_T8_P12ihipStream_tbENKUlT_T0_E_clISt17integral_constantIbLb1EES15_IbLb0EEEEDaS11_S12_EUlS11_E_NS1_11comp_targetILNS1_3genE3ELNS1_11target_archE908ELNS1_3gpuE7ELNS1_3repE0EEENS1_30default_config_static_selectorELNS0_4arch9wavefront6targetE0EEEvT1_
    .private_segment_fixed_size: 0
    .sgpr_count:     0
    .sgpr_spill_count: 0
    .symbol:         _ZN7rocprim17ROCPRIM_400000_NS6detail17trampoline_kernelINS0_14default_configENS1_29reduce_by_key_config_selectorIjyN6thrust23THRUST_200600_302600_NS4plusIyEEEEZZNS1_33reduce_by_key_impl_wrapped_configILNS1_25lookback_scan_determinismE0ES3_S9_NS6_6detail15normal_iteratorINS6_10device_ptrIjEEEENSD_INSE_IyEEEENS6_16discard_iteratorINS6_11use_defaultEEESI_PmS8_NS6_8equal_toIjEEEE10hipError_tPvRmT2_T3_mT4_T5_T6_T7_T8_P12ihipStream_tbENKUlT_T0_E_clISt17integral_constantIbLb1EES15_IbLb0EEEEDaS11_S12_EUlS11_E_NS1_11comp_targetILNS1_3genE3ELNS1_11target_archE908ELNS1_3gpuE7ELNS1_3repE0EEENS1_30default_config_static_selectorELNS0_4arch9wavefront6targetE0EEEvT1_.kd
    .uniform_work_group_size: 1
    .uses_dynamic_stack: false
    .vgpr_count:     0
    .vgpr_spill_count: 0
    .wavefront_size: 32
    .workgroup_processor_mode: 1
  - .args:
      - .offset:         0
        .size:           144
        .value_kind:     by_value
    .group_segment_fixed_size: 0
    .kernarg_segment_align: 8
    .kernarg_segment_size: 144
    .language:       OpenCL C
    .language_version:
      - 2
      - 0
    .max_flat_workgroup_size: 256
    .name:           _ZN7rocprim17ROCPRIM_400000_NS6detail17trampoline_kernelINS0_14default_configENS1_29reduce_by_key_config_selectorIjyN6thrust23THRUST_200600_302600_NS4plusIyEEEEZZNS1_33reduce_by_key_impl_wrapped_configILNS1_25lookback_scan_determinismE0ES3_S9_NS6_6detail15normal_iteratorINS6_10device_ptrIjEEEENSD_INSE_IyEEEENS6_16discard_iteratorINS6_11use_defaultEEESI_PmS8_NS6_8equal_toIjEEEE10hipError_tPvRmT2_T3_mT4_T5_T6_T7_T8_P12ihipStream_tbENKUlT_T0_E_clISt17integral_constantIbLb1EES15_IbLb0EEEEDaS11_S12_EUlS11_E_NS1_11comp_targetILNS1_3genE2ELNS1_11target_archE906ELNS1_3gpuE6ELNS1_3repE0EEENS1_30default_config_static_selectorELNS0_4arch9wavefront6targetE0EEEvT1_
    .private_segment_fixed_size: 0
    .sgpr_count:     0
    .sgpr_spill_count: 0
    .symbol:         _ZN7rocprim17ROCPRIM_400000_NS6detail17trampoline_kernelINS0_14default_configENS1_29reduce_by_key_config_selectorIjyN6thrust23THRUST_200600_302600_NS4plusIyEEEEZZNS1_33reduce_by_key_impl_wrapped_configILNS1_25lookback_scan_determinismE0ES3_S9_NS6_6detail15normal_iteratorINS6_10device_ptrIjEEEENSD_INSE_IyEEEENS6_16discard_iteratorINS6_11use_defaultEEESI_PmS8_NS6_8equal_toIjEEEE10hipError_tPvRmT2_T3_mT4_T5_T6_T7_T8_P12ihipStream_tbENKUlT_T0_E_clISt17integral_constantIbLb1EES15_IbLb0EEEEDaS11_S12_EUlS11_E_NS1_11comp_targetILNS1_3genE2ELNS1_11target_archE906ELNS1_3gpuE6ELNS1_3repE0EEENS1_30default_config_static_selectorELNS0_4arch9wavefront6targetE0EEEvT1_.kd
    .uniform_work_group_size: 1
    .uses_dynamic_stack: false
    .vgpr_count:     0
    .vgpr_spill_count: 0
    .wavefront_size: 32
    .workgroup_processor_mode: 1
  - .args:
      - .offset:         0
        .size:           144
        .value_kind:     by_value
    .group_segment_fixed_size: 0
    .kernarg_segment_align: 8
    .kernarg_segment_size: 144
    .language:       OpenCL C
    .language_version:
      - 2
      - 0
    .max_flat_workgroup_size: 256
    .name:           _ZN7rocprim17ROCPRIM_400000_NS6detail17trampoline_kernelINS0_14default_configENS1_29reduce_by_key_config_selectorIjyN6thrust23THRUST_200600_302600_NS4plusIyEEEEZZNS1_33reduce_by_key_impl_wrapped_configILNS1_25lookback_scan_determinismE0ES3_S9_NS6_6detail15normal_iteratorINS6_10device_ptrIjEEEENSD_INSE_IyEEEENS6_16discard_iteratorINS6_11use_defaultEEESI_PmS8_NS6_8equal_toIjEEEE10hipError_tPvRmT2_T3_mT4_T5_T6_T7_T8_P12ihipStream_tbENKUlT_T0_E_clISt17integral_constantIbLb1EES15_IbLb0EEEEDaS11_S12_EUlS11_E_NS1_11comp_targetILNS1_3genE10ELNS1_11target_archE1201ELNS1_3gpuE5ELNS1_3repE0EEENS1_30default_config_static_selectorELNS0_4arch9wavefront6targetE0EEEvT1_
    .private_segment_fixed_size: 0
    .sgpr_count:     0
    .sgpr_spill_count: 0
    .symbol:         _ZN7rocprim17ROCPRIM_400000_NS6detail17trampoline_kernelINS0_14default_configENS1_29reduce_by_key_config_selectorIjyN6thrust23THRUST_200600_302600_NS4plusIyEEEEZZNS1_33reduce_by_key_impl_wrapped_configILNS1_25lookback_scan_determinismE0ES3_S9_NS6_6detail15normal_iteratorINS6_10device_ptrIjEEEENSD_INSE_IyEEEENS6_16discard_iteratorINS6_11use_defaultEEESI_PmS8_NS6_8equal_toIjEEEE10hipError_tPvRmT2_T3_mT4_T5_T6_T7_T8_P12ihipStream_tbENKUlT_T0_E_clISt17integral_constantIbLb1EES15_IbLb0EEEEDaS11_S12_EUlS11_E_NS1_11comp_targetILNS1_3genE10ELNS1_11target_archE1201ELNS1_3gpuE5ELNS1_3repE0EEENS1_30default_config_static_selectorELNS0_4arch9wavefront6targetE0EEEvT1_.kd
    .uniform_work_group_size: 1
    .uses_dynamic_stack: false
    .vgpr_count:     0
    .vgpr_spill_count: 0
    .wavefront_size: 32
    .workgroup_processor_mode: 1
  - .args:
      - .offset:         0
        .size:           144
        .value_kind:     by_value
    .group_segment_fixed_size: 0
    .kernarg_segment_align: 8
    .kernarg_segment_size: 144
    .language:       OpenCL C
    .language_version:
      - 2
      - 0
    .max_flat_workgroup_size: 256
    .name:           _ZN7rocprim17ROCPRIM_400000_NS6detail17trampoline_kernelINS0_14default_configENS1_29reduce_by_key_config_selectorIjyN6thrust23THRUST_200600_302600_NS4plusIyEEEEZZNS1_33reduce_by_key_impl_wrapped_configILNS1_25lookback_scan_determinismE0ES3_S9_NS6_6detail15normal_iteratorINS6_10device_ptrIjEEEENSD_INSE_IyEEEENS6_16discard_iteratorINS6_11use_defaultEEESI_PmS8_NS6_8equal_toIjEEEE10hipError_tPvRmT2_T3_mT4_T5_T6_T7_T8_P12ihipStream_tbENKUlT_T0_E_clISt17integral_constantIbLb1EES15_IbLb0EEEEDaS11_S12_EUlS11_E_NS1_11comp_targetILNS1_3genE10ELNS1_11target_archE1200ELNS1_3gpuE4ELNS1_3repE0EEENS1_30default_config_static_selectorELNS0_4arch9wavefront6targetE0EEEvT1_
    .private_segment_fixed_size: 0
    .sgpr_count:     0
    .sgpr_spill_count: 0
    .symbol:         _ZN7rocprim17ROCPRIM_400000_NS6detail17trampoline_kernelINS0_14default_configENS1_29reduce_by_key_config_selectorIjyN6thrust23THRUST_200600_302600_NS4plusIyEEEEZZNS1_33reduce_by_key_impl_wrapped_configILNS1_25lookback_scan_determinismE0ES3_S9_NS6_6detail15normal_iteratorINS6_10device_ptrIjEEEENSD_INSE_IyEEEENS6_16discard_iteratorINS6_11use_defaultEEESI_PmS8_NS6_8equal_toIjEEEE10hipError_tPvRmT2_T3_mT4_T5_T6_T7_T8_P12ihipStream_tbENKUlT_T0_E_clISt17integral_constantIbLb1EES15_IbLb0EEEEDaS11_S12_EUlS11_E_NS1_11comp_targetILNS1_3genE10ELNS1_11target_archE1200ELNS1_3gpuE4ELNS1_3repE0EEENS1_30default_config_static_selectorELNS0_4arch9wavefront6targetE0EEEvT1_.kd
    .uniform_work_group_size: 1
    .uses_dynamic_stack: false
    .vgpr_count:     0
    .vgpr_spill_count: 0
    .wavefront_size: 32
    .workgroup_processor_mode: 1
  - .args:
      - .offset:         0
        .size:           144
        .value_kind:     by_value
    .group_segment_fixed_size: 30720
    .kernarg_segment_align: 8
    .kernarg_segment_size: 144
    .language:       OpenCL C
    .language_version:
      - 2
      - 0
    .max_flat_workgroup_size: 256
    .name:           _ZN7rocprim17ROCPRIM_400000_NS6detail17trampoline_kernelINS0_14default_configENS1_29reduce_by_key_config_selectorIjyN6thrust23THRUST_200600_302600_NS4plusIyEEEEZZNS1_33reduce_by_key_impl_wrapped_configILNS1_25lookback_scan_determinismE0ES3_S9_NS6_6detail15normal_iteratorINS6_10device_ptrIjEEEENSD_INSE_IyEEEENS6_16discard_iteratorINS6_11use_defaultEEESI_PmS8_NS6_8equal_toIjEEEE10hipError_tPvRmT2_T3_mT4_T5_T6_T7_T8_P12ihipStream_tbENKUlT_T0_E_clISt17integral_constantIbLb1EES15_IbLb0EEEEDaS11_S12_EUlS11_E_NS1_11comp_targetILNS1_3genE9ELNS1_11target_archE1100ELNS1_3gpuE3ELNS1_3repE0EEENS1_30default_config_static_selectorELNS0_4arch9wavefront6targetE0EEEvT1_
    .private_segment_fixed_size: 0
    .sgpr_count:     54
    .sgpr_spill_count: 0
    .symbol:         _ZN7rocprim17ROCPRIM_400000_NS6detail17trampoline_kernelINS0_14default_configENS1_29reduce_by_key_config_selectorIjyN6thrust23THRUST_200600_302600_NS4plusIyEEEEZZNS1_33reduce_by_key_impl_wrapped_configILNS1_25lookback_scan_determinismE0ES3_S9_NS6_6detail15normal_iteratorINS6_10device_ptrIjEEEENSD_INSE_IyEEEENS6_16discard_iteratorINS6_11use_defaultEEESI_PmS8_NS6_8equal_toIjEEEE10hipError_tPvRmT2_T3_mT4_T5_T6_T7_T8_P12ihipStream_tbENKUlT_T0_E_clISt17integral_constantIbLb1EES15_IbLb0EEEEDaS11_S12_EUlS11_E_NS1_11comp_targetILNS1_3genE9ELNS1_11target_archE1100ELNS1_3gpuE3ELNS1_3repE0EEENS1_30default_config_static_selectorELNS0_4arch9wavefront6targetE0EEEvT1_.kd
    .uniform_work_group_size: 1
    .uses_dynamic_stack: false
    .vgpr_count:     103
    .vgpr_spill_count: 0
    .wavefront_size: 32
    .workgroup_processor_mode: 1
  - .args:
      - .offset:         0
        .size:           144
        .value_kind:     by_value
    .group_segment_fixed_size: 0
    .kernarg_segment_align: 8
    .kernarg_segment_size: 144
    .language:       OpenCL C
    .language_version:
      - 2
      - 0
    .max_flat_workgroup_size: 256
    .name:           _ZN7rocprim17ROCPRIM_400000_NS6detail17trampoline_kernelINS0_14default_configENS1_29reduce_by_key_config_selectorIjyN6thrust23THRUST_200600_302600_NS4plusIyEEEEZZNS1_33reduce_by_key_impl_wrapped_configILNS1_25lookback_scan_determinismE0ES3_S9_NS6_6detail15normal_iteratorINS6_10device_ptrIjEEEENSD_INSE_IyEEEENS6_16discard_iteratorINS6_11use_defaultEEESI_PmS8_NS6_8equal_toIjEEEE10hipError_tPvRmT2_T3_mT4_T5_T6_T7_T8_P12ihipStream_tbENKUlT_T0_E_clISt17integral_constantIbLb1EES15_IbLb0EEEEDaS11_S12_EUlS11_E_NS1_11comp_targetILNS1_3genE8ELNS1_11target_archE1030ELNS1_3gpuE2ELNS1_3repE0EEENS1_30default_config_static_selectorELNS0_4arch9wavefront6targetE0EEEvT1_
    .private_segment_fixed_size: 0
    .sgpr_count:     0
    .sgpr_spill_count: 0
    .symbol:         _ZN7rocprim17ROCPRIM_400000_NS6detail17trampoline_kernelINS0_14default_configENS1_29reduce_by_key_config_selectorIjyN6thrust23THRUST_200600_302600_NS4plusIyEEEEZZNS1_33reduce_by_key_impl_wrapped_configILNS1_25lookback_scan_determinismE0ES3_S9_NS6_6detail15normal_iteratorINS6_10device_ptrIjEEEENSD_INSE_IyEEEENS6_16discard_iteratorINS6_11use_defaultEEESI_PmS8_NS6_8equal_toIjEEEE10hipError_tPvRmT2_T3_mT4_T5_T6_T7_T8_P12ihipStream_tbENKUlT_T0_E_clISt17integral_constantIbLb1EES15_IbLb0EEEEDaS11_S12_EUlS11_E_NS1_11comp_targetILNS1_3genE8ELNS1_11target_archE1030ELNS1_3gpuE2ELNS1_3repE0EEENS1_30default_config_static_selectorELNS0_4arch9wavefront6targetE0EEEvT1_.kd
    .uniform_work_group_size: 1
    .uses_dynamic_stack: false
    .vgpr_count:     0
    .vgpr_spill_count: 0
    .wavefront_size: 32
    .workgroup_processor_mode: 1
  - .args:
      - .offset:         0
        .size:           144
        .value_kind:     by_value
    .group_segment_fixed_size: 0
    .kernarg_segment_align: 8
    .kernarg_segment_size: 144
    .language:       OpenCL C
    .language_version:
      - 2
      - 0
    .max_flat_workgroup_size: 256
    .name:           _ZN7rocprim17ROCPRIM_400000_NS6detail17trampoline_kernelINS0_14default_configENS1_29reduce_by_key_config_selectorIjyN6thrust23THRUST_200600_302600_NS4plusIyEEEEZZNS1_33reduce_by_key_impl_wrapped_configILNS1_25lookback_scan_determinismE0ES3_S9_NS6_6detail15normal_iteratorINS6_10device_ptrIjEEEENSD_INSE_IyEEEENS6_16discard_iteratorINS6_11use_defaultEEESI_PmS8_NS6_8equal_toIjEEEE10hipError_tPvRmT2_T3_mT4_T5_T6_T7_T8_P12ihipStream_tbENKUlT_T0_E_clISt17integral_constantIbLb0EES15_IbLb1EEEEDaS11_S12_EUlS11_E_NS1_11comp_targetILNS1_3genE0ELNS1_11target_archE4294967295ELNS1_3gpuE0ELNS1_3repE0EEENS1_30default_config_static_selectorELNS0_4arch9wavefront6targetE0EEEvT1_
    .private_segment_fixed_size: 0
    .sgpr_count:     0
    .sgpr_spill_count: 0
    .symbol:         _ZN7rocprim17ROCPRIM_400000_NS6detail17trampoline_kernelINS0_14default_configENS1_29reduce_by_key_config_selectorIjyN6thrust23THRUST_200600_302600_NS4plusIyEEEEZZNS1_33reduce_by_key_impl_wrapped_configILNS1_25lookback_scan_determinismE0ES3_S9_NS6_6detail15normal_iteratorINS6_10device_ptrIjEEEENSD_INSE_IyEEEENS6_16discard_iteratorINS6_11use_defaultEEESI_PmS8_NS6_8equal_toIjEEEE10hipError_tPvRmT2_T3_mT4_T5_T6_T7_T8_P12ihipStream_tbENKUlT_T0_E_clISt17integral_constantIbLb0EES15_IbLb1EEEEDaS11_S12_EUlS11_E_NS1_11comp_targetILNS1_3genE0ELNS1_11target_archE4294967295ELNS1_3gpuE0ELNS1_3repE0EEENS1_30default_config_static_selectorELNS0_4arch9wavefront6targetE0EEEvT1_.kd
    .uniform_work_group_size: 1
    .uses_dynamic_stack: false
    .vgpr_count:     0
    .vgpr_spill_count: 0
    .wavefront_size: 32
    .workgroup_processor_mode: 1
  - .args:
      - .offset:         0
        .size:           144
        .value_kind:     by_value
    .group_segment_fixed_size: 0
    .kernarg_segment_align: 8
    .kernarg_segment_size: 144
    .language:       OpenCL C
    .language_version:
      - 2
      - 0
    .max_flat_workgroup_size: 256
    .name:           _ZN7rocprim17ROCPRIM_400000_NS6detail17trampoline_kernelINS0_14default_configENS1_29reduce_by_key_config_selectorIjyN6thrust23THRUST_200600_302600_NS4plusIyEEEEZZNS1_33reduce_by_key_impl_wrapped_configILNS1_25lookback_scan_determinismE0ES3_S9_NS6_6detail15normal_iteratorINS6_10device_ptrIjEEEENSD_INSE_IyEEEENS6_16discard_iteratorINS6_11use_defaultEEESI_PmS8_NS6_8equal_toIjEEEE10hipError_tPvRmT2_T3_mT4_T5_T6_T7_T8_P12ihipStream_tbENKUlT_T0_E_clISt17integral_constantIbLb0EES15_IbLb1EEEEDaS11_S12_EUlS11_E_NS1_11comp_targetILNS1_3genE5ELNS1_11target_archE942ELNS1_3gpuE9ELNS1_3repE0EEENS1_30default_config_static_selectorELNS0_4arch9wavefront6targetE0EEEvT1_
    .private_segment_fixed_size: 0
    .sgpr_count:     0
    .sgpr_spill_count: 0
    .symbol:         _ZN7rocprim17ROCPRIM_400000_NS6detail17trampoline_kernelINS0_14default_configENS1_29reduce_by_key_config_selectorIjyN6thrust23THRUST_200600_302600_NS4plusIyEEEEZZNS1_33reduce_by_key_impl_wrapped_configILNS1_25lookback_scan_determinismE0ES3_S9_NS6_6detail15normal_iteratorINS6_10device_ptrIjEEEENSD_INSE_IyEEEENS6_16discard_iteratorINS6_11use_defaultEEESI_PmS8_NS6_8equal_toIjEEEE10hipError_tPvRmT2_T3_mT4_T5_T6_T7_T8_P12ihipStream_tbENKUlT_T0_E_clISt17integral_constantIbLb0EES15_IbLb1EEEEDaS11_S12_EUlS11_E_NS1_11comp_targetILNS1_3genE5ELNS1_11target_archE942ELNS1_3gpuE9ELNS1_3repE0EEENS1_30default_config_static_selectorELNS0_4arch9wavefront6targetE0EEEvT1_.kd
    .uniform_work_group_size: 1
    .uses_dynamic_stack: false
    .vgpr_count:     0
    .vgpr_spill_count: 0
    .wavefront_size: 32
    .workgroup_processor_mode: 1
  - .args:
      - .offset:         0
        .size:           144
        .value_kind:     by_value
    .group_segment_fixed_size: 0
    .kernarg_segment_align: 8
    .kernarg_segment_size: 144
    .language:       OpenCL C
    .language_version:
      - 2
      - 0
    .max_flat_workgroup_size: 256
    .name:           _ZN7rocprim17ROCPRIM_400000_NS6detail17trampoline_kernelINS0_14default_configENS1_29reduce_by_key_config_selectorIjyN6thrust23THRUST_200600_302600_NS4plusIyEEEEZZNS1_33reduce_by_key_impl_wrapped_configILNS1_25lookback_scan_determinismE0ES3_S9_NS6_6detail15normal_iteratorINS6_10device_ptrIjEEEENSD_INSE_IyEEEENS6_16discard_iteratorINS6_11use_defaultEEESI_PmS8_NS6_8equal_toIjEEEE10hipError_tPvRmT2_T3_mT4_T5_T6_T7_T8_P12ihipStream_tbENKUlT_T0_E_clISt17integral_constantIbLb0EES15_IbLb1EEEEDaS11_S12_EUlS11_E_NS1_11comp_targetILNS1_3genE4ELNS1_11target_archE910ELNS1_3gpuE8ELNS1_3repE0EEENS1_30default_config_static_selectorELNS0_4arch9wavefront6targetE0EEEvT1_
    .private_segment_fixed_size: 0
    .sgpr_count:     0
    .sgpr_spill_count: 0
    .symbol:         _ZN7rocprim17ROCPRIM_400000_NS6detail17trampoline_kernelINS0_14default_configENS1_29reduce_by_key_config_selectorIjyN6thrust23THRUST_200600_302600_NS4plusIyEEEEZZNS1_33reduce_by_key_impl_wrapped_configILNS1_25lookback_scan_determinismE0ES3_S9_NS6_6detail15normal_iteratorINS6_10device_ptrIjEEEENSD_INSE_IyEEEENS6_16discard_iteratorINS6_11use_defaultEEESI_PmS8_NS6_8equal_toIjEEEE10hipError_tPvRmT2_T3_mT4_T5_T6_T7_T8_P12ihipStream_tbENKUlT_T0_E_clISt17integral_constantIbLb0EES15_IbLb1EEEEDaS11_S12_EUlS11_E_NS1_11comp_targetILNS1_3genE4ELNS1_11target_archE910ELNS1_3gpuE8ELNS1_3repE0EEENS1_30default_config_static_selectorELNS0_4arch9wavefront6targetE0EEEvT1_.kd
    .uniform_work_group_size: 1
    .uses_dynamic_stack: false
    .vgpr_count:     0
    .vgpr_spill_count: 0
    .wavefront_size: 32
    .workgroup_processor_mode: 1
  - .args:
      - .offset:         0
        .size:           144
        .value_kind:     by_value
    .group_segment_fixed_size: 0
    .kernarg_segment_align: 8
    .kernarg_segment_size: 144
    .language:       OpenCL C
    .language_version:
      - 2
      - 0
    .max_flat_workgroup_size: 256
    .name:           _ZN7rocprim17ROCPRIM_400000_NS6detail17trampoline_kernelINS0_14default_configENS1_29reduce_by_key_config_selectorIjyN6thrust23THRUST_200600_302600_NS4plusIyEEEEZZNS1_33reduce_by_key_impl_wrapped_configILNS1_25lookback_scan_determinismE0ES3_S9_NS6_6detail15normal_iteratorINS6_10device_ptrIjEEEENSD_INSE_IyEEEENS6_16discard_iteratorINS6_11use_defaultEEESI_PmS8_NS6_8equal_toIjEEEE10hipError_tPvRmT2_T3_mT4_T5_T6_T7_T8_P12ihipStream_tbENKUlT_T0_E_clISt17integral_constantIbLb0EES15_IbLb1EEEEDaS11_S12_EUlS11_E_NS1_11comp_targetILNS1_3genE3ELNS1_11target_archE908ELNS1_3gpuE7ELNS1_3repE0EEENS1_30default_config_static_selectorELNS0_4arch9wavefront6targetE0EEEvT1_
    .private_segment_fixed_size: 0
    .sgpr_count:     0
    .sgpr_spill_count: 0
    .symbol:         _ZN7rocprim17ROCPRIM_400000_NS6detail17trampoline_kernelINS0_14default_configENS1_29reduce_by_key_config_selectorIjyN6thrust23THRUST_200600_302600_NS4plusIyEEEEZZNS1_33reduce_by_key_impl_wrapped_configILNS1_25lookback_scan_determinismE0ES3_S9_NS6_6detail15normal_iteratorINS6_10device_ptrIjEEEENSD_INSE_IyEEEENS6_16discard_iteratorINS6_11use_defaultEEESI_PmS8_NS6_8equal_toIjEEEE10hipError_tPvRmT2_T3_mT4_T5_T6_T7_T8_P12ihipStream_tbENKUlT_T0_E_clISt17integral_constantIbLb0EES15_IbLb1EEEEDaS11_S12_EUlS11_E_NS1_11comp_targetILNS1_3genE3ELNS1_11target_archE908ELNS1_3gpuE7ELNS1_3repE0EEENS1_30default_config_static_selectorELNS0_4arch9wavefront6targetE0EEEvT1_.kd
    .uniform_work_group_size: 1
    .uses_dynamic_stack: false
    .vgpr_count:     0
    .vgpr_spill_count: 0
    .wavefront_size: 32
    .workgroup_processor_mode: 1
  - .args:
      - .offset:         0
        .size:           144
        .value_kind:     by_value
    .group_segment_fixed_size: 0
    .kernarg_segment_align: 8
    .kernarg_segment_size: 144
    .language:       OpenCL C
    .language_version:
      - 2
      - 0
    .max_flat_workgroup_size: 256
    .name:           _ZN7rocprim17ROCPRIM_400000_NS6detail17trampoline_kernelINS0_14default_configENS1_29reduce_by_key_config_selectorIjyN6thrust23THRUST_200600_302600_NS4plusIyEEEEZZNS1_33reduce_by_key_impl_wrapped_configILNS1_25lookback_scan_determinismE0ES3_S9_NS6_6detail15normal_iteratorINS6_10device_ptrIjEEEENSD_INSE_IyEEEENS6_16discard_iteratorINS6_11use_defaultEEESI_PmS8_NS6_8equal_toIjEEEE10hipError_tPvRmT2_T3_mT4_T5_T6_T7_T8_P12ihipStream_tbENKUlT_T0_E_clISt17integral_constantIbLb0EES15_IbLb1EEEEDaS11_S12_EUlS11_E_NS1_11comp_targetILNS1_3genE2ELNS1_11target_archE906ELNS1_3gpuE6ELNS1_3repE0EEENS1_30default_config_static_selectorELNS0_4arch9wavefront6targetE0EEEvT1_
    .private_segment_fixed_size: 0
    .sgpr_count:     0
    .sgpr_spill_count: 0
    .symbol:         _ZN7rocprim17ROCPRIM_400000_NS6detail17trampoline_kernelINS0_14default_configENS1_29reduce_by_key_config_selectorIjyN6thrust23THRUST_200600_302600_NS4plusIyEEEEZZNS1_33reduce_by_key_impl_wrapped_configILNS1_25lookback_scan_determinismE0ES3_S9_NS6_6detail15normal_iteratorINS6_10device_ptrIjEEEENSD_INSE_IyEEEENS6_16discard_iteratorINS6_11use_defaultEEESI_PmS8_NS6_8equal_toIjEEEE10hipError_tPvRmT2_T3_mT4_T5_T6_T7_T8_P12ihipStream_tbENKUlT_T0_E_clISt17integral_constantIbLb0EES15_IbLb1EEEEDaS11_S12_EUlS11_E_NS1_11comp_targetILNS1_3genE2ELNS1_11target_archE906ELNS1_3gpuE6ELNS1_3repE0EEENS1_30default_config_static_selectorELNS0_4arch9wavefront6targetE0EEEvT1_.kd
    .uniform_work_group_size: 1
    .uses_dynamic_stack: false
    .vgpr_count:     0
    .vgpr_spill_count: 0
    .wavefront_size: 32
    .workgroup_processor_mode: 1
  - .args:
      - .offset:         0
        .size:           144
        .value_kind:     by_value
    .group_segment_fixed_size: 0
    .kernarg_segment_align: 8
    .kernarg_segment_size: 144
    .language:       OpenCL C
    .language_version:
      - 2
      - 0
    .max_flat_workgroup_size: 256
    .name:           _ZN7rocprim17ROCPRIM_400000_NS6detail17trampoline_kernelINS0_14default_configENS1_29reduce_by_key_config_selectorIjyN6thrust23THRUST_200600_302600_NS4plusIyEEEEZZNS1_33reduce_by_key_impl_wrapped_configILNS1_25lookback_scan_determinismE0ES3_S9_NS6_6detail15normal_iteratorINS6_10device_ptrIjEEEENSD_INSE_IyEEEENS6_16discard_iteratorINS6_11use_defaultEEESI_PmS8_NS6_8equal_toIjEEEE10hipError_tPvRmT2_T3_mT4_T5_T6_T7_T8_P12ihipStream_tbENKUlT_T0_E_clISt17integral_constantIbLb0EES15_IbLb1EEEEDaS11_S12_EUlS11_E_NS1_11comp_targetILNS1_3genE10ELNS1_11target_archE1201ELNS1_3gpuE5ELNS1_3repE0EEENS1_30default_config_static_selectorELNS0_4arch9wavefront6targetE0EEEvT1_
    .private_segment_fixed_size: 0
    .sgpr_count:     0
    .sgpr_spill_count: 0
    .symbol:         _ZN7rocprim17ROCPRIM_400000_NS6detail17trampoline_kernelINS0_14default_configENS1_29reduce_by_key_config_selectorIjyN6thrust23THRUST_200600_302600_NS4plusIyEEEEZZNS1_33reduce_by_key_impl_wrapped_configILNS1_25lookback_scan_determinismE0ES3_S9_NS6_6detail15normal_iteratorINS6_10device_ptrIjEEEENSD_INSE_IyEEEENS6_16discard_iteratorINS6_11use_defaultEEESI_PmS8_NS6_8equal_toIjEEEE10hipError_tPvRmT2_T3_mT4_T5_T6_T7_T8_P12ihipStream_tbENKUlT_T0_E_clISt17integral_constantIbLb0EES15_IbLb1EEEEDaS11_S12_EUlS11_E_NS1_11comp_targetILNS1_3genE10ELNS1_11target_archE1201ELNS1_3gpuE5ELNS1_3repE0EEENS1_30default_config_static_selectorELNS0_4arch9wavefront6targetE0EEEvT1_.kd
    .uniform_work_group_size: 1
    .uses_dynamic_stack: false
    .vgpr_count:     0
    .vgpr_spill_count: 0
    .wavefront_size: 32
    .workgroup_processor_mode: 1
  - .args:
      - .offset:         0
        .size:           144
        .value_kind:     by_value
    .group_segment_fixed_size: 0
    .kernarg_segment_align: 8
    .kernarg_segment_size: 144
    .language:       OpenCL C
    .language_version:
      - 2
      - 0
    .max_flat_workgroup_size: 256
    .name:           _ZN7rocprim17ROCPRIM_400000_NS6detail17trampoline_kernelINS0_14default_configENS1_29reduce_by_key_config_selectorIjyN6thrust23THRUST_200600_302600_NS4plusIyEEEEZZNS1_33reduce_by_key_impl_wrapped_configILNS1_25lookback_scan_determinismE0ES3_S9_NS6_6detail15normal_iteratorINS6_10device_ptrIjEEEENSD_INSE_IyEEEENS6_16discard_iteratorINS6_11use_defaultEEESI_PmS8_NS6_8equal_toIjEEEE10hipError_tPvRmT2_T3_mT4_T5_T6_T7_T8_P12ihipStream_tbENKUlT_T0_E_clISt17integral_constantIbLb0EES15_IbLb1EEEEDaS11_S12_EUlS11_E_NS1_11comp_targetILNS1_3genE10ELNS1_11target_archE1200ELNS1_3gpuE4ELNS1_3repE0EEENS1_30default_config_static_selectorELNS0_4arch9wavefront6targetE0EEEvT1_
    .private_segment_fixed_size: 0
    .sgpr_count:     0
    .sgpr_spill_count: 0
    .symbol:         _ZN7rocprim17ROCPRIM_400000_NS6detail17trampoline_kernelINS0_14default_configENS1_29reduce_by_key_config_selectorIjyN6thrust23THRUST_200600_302600_NS4plusIyEEEEZZNS1_33reduce_by_key_impl_wrapped_configILNS1_25lookback_scan_determinismE0ES3_S9_NS6_6detail15normal_iteratorINS6_10device_ptrIjEEEENSD_INSE_IyEEEENS6_16discard_iteratorINS6_11use_defaultEEESI_PmS8_NS6_8equal_toIjEEEE10hipError_tPvRmT2_T3_mT4_T5_T6_T7_T8_P12ihipStream_tbENKUlT_T0_E_clISt17integral_constantIbLb0EES15_IbLb1EEEEDaS11_S12_EUlS11_E_NS1_11comp_targetILNS1_3genE10ELNS1_11target_archE1200ELNS1_3gpuE4ELNS1_3repE0EEENS1_30default_config_static_selectorELNS0_4arch9wavefront6targetE0EEEvT1_.kd
    .uniform_work_group_size: 1
    .uses_dynamic_stack: false
    .vgpr_count:     0
    .vgpr_spill_count: 0
    .wavefront_size: 32
    .workgroup_processor_mode: 1
  - .args:
      - .offset:         0
        .size:           144
        .value_kind:     by_value
    .group_segment_fixed_size: 30720
    .kernarg_segment_align: 8
    .kernarg_segment_size: 144
    .language:       OpenCL C
    .language_version:
      - 2
      - 0
    .max_flat_workgroup_size: 256
    .name:           _ZN7rocprim17ROCPRIM_400000_NS6detail17trampoline_kernelINS0_14default_configENS1_29reduce_by_key_config_selectorIjyN6thrust23THRUST_200600_302600_NS4plusIyEEEEZZNS1_33reduce_by_key_impl_wrapped_configILNS1_25lookback_scan_determinismE0ES3_S9_NS6_6detail15normal_iteratorINS6_10device_ptrIjEEEENSD_INSE_IyEEEENS6_16discard_iteratorINS6_11use_defaultEEESI_PmS8_NS6_8equal_toIjEEEE10hipError_tPvRmT2_T3_mT4_T5_T6_T7_T8_P12ihipStream_tbENKUlT_T0_E_clISt17integral_constantIbLb0EES15_IbLb1EEEEDaS11_S12_EUlS11_E_NS1_11comp_targetILNS1_3genE9ELNS1_11target_archE1100ELNS1_3gpuE3ELNS1_3repE0EEENS1_30default_config_static_selectorELNS0_4arch9wavefront6targetE0EEEvT1_
    .private_segment_fixed_size: 0
    .sgpr_count:     54
    .sgpr_spill_count: 0
    .symbol:         _ZN7rocprim17ROCPRIM_400000_NS6detail17trampoline_kernelINS0_14default_configENS1_29reduce_by_key_config_selectorIjyN6thrust23THRUST_200600_302600_NS4plusIyEEEEZZNS1_33reduce_by_key_impl_wrapped_configILNS1_25lookback_scan_determinismE0ES3_S9_NS6_6detail15normal_iteratorINS6_10device_ptrIjEEEENSD_INSE_IyEEEENS6_16discard_iteratorINS6_11use_defaultEEESI_PmS8_NS6_8equal_toIjEEEE10hipError_tPvRmT2_T3_mT4_T5_T6_T7_T8_P12ihipStream_tbENKUlT_T0_E_clISt17integral_constantIbLb0EES15_IbLb1EEEEDaS11_S12_EUlS11_E_NS1_11comp_targetILNS1_3genE9ELNS1_11target_archE1100ELNS1_3gpuE3ELNS1_3repE0EEENS1_30default_config_static_selectorELNS0_4arch9wavefront6targetE0EEEvT1_.kd
    .uniform_work_group_size: 1
    .uses_dynamic_stack: false
    .vgpr_count:     103
    .vgpr_spill_count: 0
    .wavefront_size: 32
    .workgroup_processor_mode: 1
  - .args:
      - .offset:         0
        .size:           144
        .value_kind:     by_value
    .group_segment_fixed_size: 0
    .kernarg_segment_align: 8
    .kernarg_segment_size: 144
    .language:       OpenCL C
    .language_version:
      - 2
      - 0
    .max_flat_workgroup_size: 256
    .name:           _ZN7rocprim17ROCPRIM_400000_NS6detail17trampoline_kernelINS0_14default_configENS1_29reduce_by_key_config_selectorIjyN6thrust23THRUST_200600_302600_NS4plusIyEEEEZZNS1_33reduce_by_key_impl_wrapped_configILNS1_25lookback_scan_determinismE0ES3_S9_NS6_6detail15normal_iteratorINS6_10device_ptrIjEEEENSD_INSE_IyEEEENS6_16discard_iteratorINS6_11use_defaultEEESI_PmS8_NS6_8equal_toIjEEEE10hipError_tPvRmT2_T3_mT4_T5_T6_T7_T8_P12ihipStream_tbENKUlT_T0_E_clISt17integral_constantIbLb0EES15_IbLb1EEEEDaS11_S12_EUlS11_E_NS1_11comp_targetILNS1_3genE8ELNS1_11target_archE1030ELNS1_3gpuE2ELNS1_3repE0EEENS1_30default_config_static_selectorELNS0_4arch9wavefront6targetE0EEEvT1_
    .private_segment_fixed_size: 0
    .sgpr_count:     0
    .sgpr_spill_count: 0
    .symbol:         _ZN7rocprim17ROCPRIM_400000_NS6detail17trampoline_kernelINS0_14default_configENS1_29reduce_by_key_config_selectorIjyN6thrust23THRUST_200600_302600_NS4plusIyEEEEZZNS1_33reduce_by_key_impl_wrapped_configILNS1_25lookback_scan_determinismE0ES3_S9_NS6_6detail15normal_iteratorINS6_10device_ptrIjEEEENSD_INSE_IyEEEENS6_16discard_iteratorINS6_11use_defaultEEESI_PmS8_NS6_8equal_toIjEEEE10hipError_tPvRmT2_T3_mT4_T5_T6_T7_T8_P12ihipStream_tbENKUlT_T0_E_clISt17integral_constantIbLb0EES15_IbLb1EEEEDaS11_S12_EUlS11_E_NS1_11comp_targetILNS1_3genE8ELNS1_11target_archE1030ELNS1_3gpuE2ELNS1_3repE0EEENS1_30default_config_static_selectorELNS0_4arch9wavefront6targetE0EEEvT1_.kd
    .uniform_work_group_size: 1
    .uses_dynamic_stack: false
    .vgpr_count:     0
    .vgpr_spill_count: 0
    .wavefront_size: 32
    .workgroup_processor_mode: 1
  - .args:
      - .offset:         0
        .size:           128
        .value_kind:     by_value
    .group_segment_fixed_size: 0
    .kernarg_segment_align: 8
    .kernarg_segment_size: 128
    .language:       OpenCL C
    .language_version:
      - 2
      - 0
    .max_flat_workgroup_size: 256
    .name:           _ZN7rocprim17ROCPRIM_400000_NS6detail17trampoline_kernelINS0_14default_configENS1_29reduce_by_key_config_selectorIjjN6thrust23THRUST_200600_302600_NS4plusIjEEEEZZNS1_33reduce_by_key_impl_wrapped_configILNS1_25lookback_scan_determinismE0ES3_S9_NS6_6detail15normal_iteratorINS6_10device_ptrIjEEEESG_NS6_16discard_iteratorINS6_11use_defaultEEESG_PmS8_NS6_8equal_toIjEEEE10hipError_tPvRmT2_T3_mT4_T5_T6_T7_T8_P12ihipStream_tbENKUlT_T0_E_clISt17integral_constantIbLb0EES14_EEDaSZ_S10_EUlSZ_E_NS1_11comp_targetILNS1_3genE0ELNS1_11target_archE4294967295ELNS1_3gpuE0ELNS1_3repE0EEENS1_30default_config_static_selectorELNS0_4arch9wavefront6targetE0EEEvT1_
    .private_segment_fixed_size: 0
    .sgpr_count:     0
    .sgpr_spill_count: 0
    .symbol:         _ZN7rocprim17ROCPRIM_400000_NS6detail17trampoline_kernelINS0_14default_configENS1_29reduce_by_key_config_selectorIjjN6thrust23THRUST_200600_302600_NS4plusIjEEEEZZNS1_33reduce_by_key_impl_wrapped_configILNS1_25lookback_scan_determinismE0ES3_S9_NS6_6detail15normal_iteratorINS6_10device_ptrIjEEEESG_NS6_16discard_iteratorINS6_11use_defaultEEESG_PmS8_NS6_8equal_toIjEEEE10hipError_tPvRmT2_T3_mT4_T5_T6_T7_T8_P12ihipStream_tbENKUlT_T0_E_clISt17integral_constantIbLb0EES14_EEDaSZ_S10_EUlSZ_E_NS1_11comp_targetILNS1_3genE0ELNS1_11target_archE4294967295ELNS1_3gpuE0ELNS1_3repE0EEENS1_30default_config_static_selectorELNS0_4arch9wavefront6targetE0EEEvT1_.kd
    .uniform_work_group_size: 1
    .uses_dynamic_stack: false
    .vgpr_count:     0
    .vgpr_spill_count: 0
    .wavefront_size: 32
    .workgroup_processor_mode: 1
  - .args:
      - .offset:         0
        .size:           128
        .value_kind:     by_value
    .group_segment_fixed_size: 0
    .kernarg_segment_align: 8
    .kernarg_segment_size: 128
    .language:       OpenCL C
    .language_version:
      - 2
      - 0
    .max_flat_workgroup_size: 256
    .name:           _ZN7rocprim17ROCPRIM_400000_NS6detail17trampoline_kernelINS0_14default_configENS1_29reduce_by_key_config_selectorIjjN6thrust23THRUST_200600_302600_NS4plusIjEEEEZZNS1_33reduce_by_key_impl_wrapped_configILNS1_25lookback_scan_determinismE0ES3_S9_NS6_6detail15normal_iteratorINS6_10device_ptrIjEEEESG_NS6_16discard_iteratorINS6_11use_defaultEEESG_PmS8_NS6_8equal_toIjEEEE10hipError_tPvRmT2_T3_mT4_T5_T6_T7_T8_P12ihipStream_tbENKUlT_T0_E_clISt17integral_constantIbLb0EES14_EEDaSZ_S10_EUlSZ_E_NS1_11comp_targetILNS1_3genE5ELNS1_11target_archE942ELNS1_3gpuE9ELNS1_3repE0EEENS1_30default_config_static_selectorELNS0_4arch9wavefront6targetE0EEEvT1_
    .private_segment_fixed_size: 0
    .sgpr_count:     0
    .sgpr_spill_count: 0
    .symbol:         _ZN7rocprim17ROCPRIM_400000_NS6detail17trampoline_kernelINS0_14default_configENS1_29reduce_by_key_config_selectorIjjN6thrust23THRUST_200600_302600_NS4plusIjEEEEZZNS1_33reduce_by_key_impl_wrapped_configILNS1_25lookback_scan_determinismE0ES3_S9_NS6_6detail15normal_iteratorINS6_10device_ptrIjEEEESG_NS6_16discard_iteratorINS6_11use_defaultEEESG_PmS8_NS6_8equal_toIjEEEE10hipError_tPvRmT2_T3_mT4_T5_T6_T7_T8_P12ihipStream_tbENKUlT_T0_E_clISt17integral_constantIbLb0EES14_EEDaSZ_S10_EUlSZ_E_NS1_11comp_targetILNS1_3genE5ELNS1_11target_archE942ELNS1_3gpuE9ELNS1_3repE0EEENS1_30default_config_static_selectorELNS0_4arch9wavefront6targetE0EEEvT1_.kd
    .uniform_work_group_size: 1
    .uses_dynamic_stack: false
    .vgpr_count:     0
    .vgpr_spill_count: 0
    .wavefront_size: 32
    .workgroup_processor_mode: 1
  - .args:
      - .offset:         0
        .size:           128
        .value_kind:     by_value
    .group_segment_fixed_size: 0
    .kernarg_segment_align: 8
    .kernarg_segment_size: 128
    .language:       OpenCL C
    .language_version:
      - 2
      - 0
    .max_flat_workgroup_size: 256
    .name:           _ZN7rocprim17ROCPRIM_400000_NS6detail17trampoline_kernelINS0_14default_configENS1_29reduce_by_key_config_selectorIjjN6thrust23THRUST_200600_302600_NS4plusIjEEEEZZNS1_33reduce_by_key_impl_wrapped_configILNS1_25lookback_scan_determinismE0ES3_S9_NS6_6detail15normal_iteratorINS6_10device_ptrIjEEEESG_NS6_16discard_iteratorINS6_11use_defaultEEESG_PmS8_NS6_8equal_toIjEEEE10hipError_tPvRmT2_T3_mT4_T5_T6_T7_T8_P12ihipStream_tbENKUlT_T0_E_clISt17integral_constantIbLb0EES14_EEDaSZ_S10_EUlSZ_E_NS1_11comp_targetILNS1_3genE4ELNS1_11target_archE910ELNS1_3gpuE8ELNS1_3repE0EEENS1_30default_config_static_selectorELNS0_4arch9wavefront6targetE0EEEvT1_
    .private_segment_fixed_size: 0
    .sgpr_count:     0
    .sgpr_spill_count: 0
    .symbol:         _ZN7rocprim17ROCPRIM_400000_NS6detail17trampoline_kernelINS0_14default_configENS1_29reduce_by_key_config_selectorIjjN6thrust23THRUST_200600_302600_NS4plusIjEEEEZZNS1_33reduce_by_key_impl_wrapped_configILNS1_25lookback_scan_determinismE0ES3_S9_NS6_6detail15normal_iteratorINS6_10device_ptrIjEEEESG_NS6_16discard_iteratorINS6_11use_defaultEEESG_PmS8_NS6_8equal_toIjEEEE10hipError_tPvRmT2_T3_mT4_T5_T6_T7_T8_P12ihipStream_tbENKUlT_T0_E_clISt17integral_constantIbLb0EES14_EEDaSZ_S10_EUlSZ_E_NS1_11comp_targetILNS1_3genE4ELNS1_11target_archE910ELNS1_3gpuE8ELNS1_3repE0EEENS1_30default_config_static_selectorELNS0_4arch9wavefront6targetE0EEEvT1_.kd
    .uniform_work_group_size: 1
    .uses_dynamic_stack: false
    .vgpr_count:     0
    .vgpr_spill_count: 0
    .wavefront_size: 32
    .workgroup_processor_mode: 1
  - .args:
      - .offset:         0
        .size:           128
        .value_kind:     by_value
    .group_segment_fixed_size: 0
    .kernarg_segment_align: 8
    .kernarg_segment_size: 128
    .language:       OpenCL C
    .language_version:
      - 2
      - 0
    .max_flat_workgroup_size: 256
    .name:           _ZN7rocprim17ROCPRIM_400000_NS6detail17trampoline_kernelINS0_14default_configENS1_29reduce_by_key_config_selectorIjjN6thrust23THRUST_200600_302600_NS4plusIjEEEEZZNS1_33reduce_by_key_impl_wrapped_configILNS1_25lookback_scan_determinismE0ES3_S9_NS6_6detail15normal_iteratorINS6_10device_ptrIjEEEESG_NS6_16discard_iteratorINS6_11use_defaultEEESG_PmS8_NS6_8equal_toIjEEEE10hipError_tPvRmT2_T3_mT4_T5_T6_T7_T8_P12ihipStream_tbENKUlT_T0_E_clISt17integral_constantIbLb0EES14_EEDaSZ_S10_EUlSZ_E_NS1_11comp_targetILNS1_3genE3ELNS1_11target_archE908ELNS1_3gpuE7ELNS1_3repE0EEENS1_30default_config_static_selectorELNS0_4arch9wavefront6targetE0EEEvT1_
    .private_segment_fixed_size: 0
    .sgpr_count:     0
    .sgpr_spill_count: 0
    .symbol:         _ZN7rocprim17ROCPRIM_400000_NS6detail17trampoline_kernelINS0_14default_configENS1_29reduce_by_key_config_selectorIjjN6thrust23THRUST_200600_302600_NS4plusIjEEEEZZNS1_33reduce_by_key_impl_wrapped_configILNS1_25lookback_scan_determinismE0ES3_S9_NS6_6detail15normal_iteratorINS6_10device_ptrIjEEEESG_NS6_16discard_iteratorINS6_11use_defaultEEESG_PmS8_NS6_8equal_toIjEEEE10hipError_tPvRmT2_T3_mT4_T5_T6_T7_T8_P12ihipStream_tbENKUlT_T0_E_clISt17integral_constantIbLb0EES14_EEDaSZ_S10_EUlSZ_E_NS1_11comp_targetILNS1_3genE3ELNS1_11target_archE908ELNS1_3gpuE7ELNS1_3repE0EEENS1_30default_config_static_selectorELNS0_4arch9wavefront6targetE0EEEvT1_.kd
    .uniform_work_group_size: 1
    .uses_dynamic_stack: false
    .vgpr_count:     0
    .vgpr_spill_count: 0
    .wavefront_size: 32
    .workgroup_processor_mode: 1
  - .args:
      - .offset:         0
        .size:           128
        .value_kind:     by_value
    .group_segment_fixed_size: 0
    .kernarg_segment_align: 8
    .kernarg_segment_size: 128
    .language:       OpenCL C
    .language_version:
      - 2
      - 0
    .max_flat_workgroup_size: 256
    .name:           _ZN7rocprim17ROCPRIM_400000_NS6detail17trampoline_kernelINS0_14default_configENS1_29reduce_by_key_config_selectorIjjN6thrust23THRUST_200600_302600_NS4plusIjEEEEZZNS1_33reduce_by_key_impl_wrapped_configILNS1_25lookback_scan_determinismE0ES3_S9_NS6_6detail15normal_iteratorINS6_10device_ptrIjEEEESG_NS6_16discard_iteratorINS6_11use_defaultEEESG_PmS8_NS6_8equal_toIjEEEE10hipError_tPvRmT2_T3_mT4_T5_T6_T7_T8_P12ihipStream_tbENKUlT_T0_E_clISt17integral_constantIbLb0EES14_EEDaSZ_S10_EUlSZ_E_NS1_11comp_targetILNS1_3genE2ELNS1_11target_archE906ELNS1_3gpuE6ELNS1_3repE0EEENS1_30default_config_static_selectorELNS0_4arch9wavefront6targetE0EEEvT1_
    .private_segment_fixed_size: 0
    .sgpr_count:     0
    .sgpr_spill_count: 0
    .symbol:         _ZN7rocprim17ROCPRIM_400000_NS6detail17trampoline_kernelINS0_14default_configENS1_29reduce_by_key_config_selectorIjjN6thrust23THRUST_200600_302600_NS4plusIjEEEEZZNS1_33reduce_by_key_impl_wrapped_configILNS1_25lookback_scan_determinismE0ES3_S9_NS6_6detail15normal_iteratorINS6_10device_ptrIjEEEESG_NS6_16discard_iteratorINS6_11use_defaultEEESG_PmS8_NS6_8equal_toIjEEEE10hipError_tPvRmT2_T3_mT4_T5_T6_T7_T8_P12ihipStream_tbENKUlT_T0_E_clISt17integral_constantIbLb0EES14_EEDaSZ_S10_EUlSZ_E_NS1_11comp_targetILNS1_3genE2ELNS1_11target_archE906ELNS1_3gpuE6ELNS1_3repE0EEENS1_30default_config_static_selectorELNS0_4arch9wavefront6targetE0EEEvT1_.kd
    .uniform_work_group_size: 1
    .uses_dynamic_stack: false
    .vgpr_count:     0
    .vgpr_spill_count: 0
    .wavefront_size: 32
    .workgroup_processor_mode: 1
  - .args:
      - .offset:         0
        .size:           128
        .value_kind:     by_value
    .group_segment_fixed_size: 0
    .kernarg_segment_align: 8
    .kernarg_segment_size: 128
    .language:       OpenCL C
    .language_version:
      - 2
      - 0
    .max_flat_workgroup_size: 256
    .name:           _ZN7rocprim17ROCPRIM_400000_NS6detail17trampoline_kernelINS0_14default_configENS1_29reduce_by_key_config_selectorIjjN6thrust23THRUST_200600_302600_NS4plusIjEEEEZZNS1_33reduce_by_key_impl_wrapped_configILNS1_25lookback_scan_determinismE0ES3_S9_NS6_6detail15normal_iteratorINS6_10device_ptrIjEEEESG_NS6_16discard_iteratorINS6_11use_defaultEEESG_PmS8_NS6_8equal_toIjEEEE10hipError_tPvRmT2_T3_mT4_T5_T6_T7_T8_P12ihipStream_tbENKUlT_T0_E_clISt17integral_constantIbLb0EES14_EEDaSZ_S10_EUlSZ_E_NS1_11comp_targetILNS1_3genE10ELNS1_11target_archE1201ELNS1_3gpuE5ELNS1_3repE0EEENS1_30default_config_static_selectorELNS0_4arch9wavefront6targetE0EEEvT1_
    .private_segment_fixed_size: 0
    .sgpr_count:     0
    .sgpr_spill_count: 0
    .symbol:         _ZN7rocprim17ROCPRIM_400000_NS6detail17trampoline_kernelINS0_14default_configENS1_29reduce_by_key_config_selectorIjjN6thrust23THRUST_200600_302600_NS4plusIjEEEEZZNS1_33reduce_by_key_impl_wrapped_configILNS1_25lookback_scan_determinismE0ES3_S9_NS6_6detail15normal_iteratorINS6_10device_ptrIjEEEESG_NS6_16discard_iteratorINS6_11use_defaultEEESG_PmS8_NS6_8equal_toIjEEEE10hipError_tPvRmT2_T3_mT4_T5_T6_T7_T8_P12ihipStream_tbENKUlT_T0_E_clISt17integral_constantIbLb0EES14_EEDaSZ_S10_EUlSZ_E_NS1_11comp_targetILNS1_3genE10ELNS1_11target_archE1201ELNS1_3gpuE5ELNS1_3repE0EEENS1_30default_config_static_selectorELNS0_4arch9wavefront6targetE0EEEvT1_.kd
    .uniform_work_group_size: 1
    .uses_dynamic_stack: false
    .vgpr_count:     0
    .vgpr_spill_count: 0
    .wavefront_size: 32
    .workgroup_processor_mode: 1
  - .args:
      - .offset:         0
        .size:           128
        .value_kind:     by_value
    .group_segment_fixed_size: 0
    .kernarg_segment_align: 8
    .kernarg_segment_size: 128
    .language:       OpenCL C
    .language_version:
      - 2
      - 0
    .max_flat_workgroup_size: 256
    .name:           _ZN7rocprim17ROCPRIM_400000_NS6detail17trampoline_kernelINS0_14default_configENS1_29reduce_by_key_config_selectorIjjN6thrust23THRUST_200600_302600_NS4plusIjEEEEZZNS1_33reduce_by_key_impl_wrapped_configILNS1_25lookback_scan_determinismE0ES3_S9_NS6_6detail15normal_iteratorINS6_10device_ptrIjEEEESG_NS6_16discard_iteratorINS6_11use_defaultEEESG_PmS8_NS6_8equal_toIjEEEE10hipError_tPvRmT2_T3_mT4_T5_T6_T7_T8_P12ihipStream_tbENKUlT_T0_E_clISt17integral_constantIbLb0EES14_EEDaSZ_S10_EUlSZ_E_NS1_11comp_targetILNS1_3genE10ELNS1_11target_archE1200ELNS1_3gpuE4ELNS1_3repE0EEENS1_30default_config_static_selectorELNS0_4arch9wavefront6targetE0EEEvT1_
    .private_segment_fixed_size: 0
    .sgpr_count:     0
    .sgpr_spill_count: 0
    .symbol:         _ZN7rocprim17ROCPRIM_400000_NS6detail17trampoline_kernelINS0_14default_configENS1_29reduce_by_key_config_selectorIjjN6thrust23THRUST_200600_302600_NS4plusIjEEEEZZNS1_33reduce_by_key_impl_wrapped_configILNS1_25lookback_scan_determinismE0ES3_S9_NS6_6detail15normal_iteratorINS6_10device_ptrIjEEEESG_NS6_16discard_iteratorINS6_11use_defaultEEESG_PmS8_NS6_8equal_toIjEEEE10hipError_tPvRmT2_T3_mT4_T5_T6_T7_T8_P12ihipStream_tbENKUlT_T0_E_clISt17integral_constantIbLb0EES14_EEDaSZ_S10_EUlSZ_E_NS1_11comp_targetILNS1_3genE10ELNS1_11target_archE1200ELNS1_3gpuE4ELNS1_3repE0EEENS1_30default_config_static_selectorELNS0_4arch9wavefront6targetE0EEEvT1_.kd
    .uniform_work_group_size: 1
    .uses_dynamic_stack: false
    .vgpr_count:     0
    .vgpr_spill_count: 0
    .wavefront_size: 32
    .workgroup_processor_mode: 1
  - .args:
      - .offset:         0
        .size:           128
        .value_kind:     by_value
    .group_segment_fixed_size: 15360
    .kernarg_segment_align: 8
    .kernarg_segment_size: 128
    .language:       OpenCL C
    .language_version:
      - 2
      - 0
    .max_flat_workgroup_size: 256
    .name:           _ZN7rocprim17ROCPRIM_400000_NS6detail17trampoline_kernelINS0_14default_configENS1_29reduce_by_key_config_selectorIjjN6thrust23THRUST_200600_302600_NS4plusIjEEEEZZNS1_33reduce_by_key_impl_wrapped_configILNS1_25lookback_scan_determinismE0ES3_S9_NS6_6detail15normal_iteratorINS6_10device_ptrIjEEEESG_NS6_16discard_iteratorINS6_11use_defaultEEESG_PmS8_NS6_8equal_toIjEEEE10hipError_tPvRmT2_T3_mT4_T5_T6_T7_T8_P12ihipStream_tbENKUlT_T0_E_clISt17integral_constantIbLb0EES14_EEDaSZ_S10_EUlSZ_E_NS1_11comp_targetILNS1_3genE9ELNS1_11target_archE1100ELNS1_3gpuE3ELNS1_3repE0EEENS1_30default_config_static_selectorELNS0_4arch9wavefront6targetE0EEEvT1_
    .private_segment_fixed_size: 0
    .sgpr_count:     44
    .sgpr_spill_count: 0
    .symbol:         _ZN7rocprim17ROCPRIM_400000_NS6detail17trampoline_kernelINS0_14default_configENS1_29reduce_by_key_config_selectorIjjN6thrust23THRUST_200600_302600_NS4plusIjEEEEZZNS1_33reduce_by_key_impl_wrapped_configILNS1_25lookback_scan_determinismE0ES3_S9_NS6_6detail15normal_iteratorINS6_10device_ptrIjEEEESG_NS6_16discard_iteratorINS6_11use_defaultEEESG_PmS8_NS6_8equal_toIjEEEE10hipError_tPvRmT2_T3_mT4_T5_T6_T7_T8_P12ihipStream_tbENKUlT_T0_E_clISt17integral_constantIbLb0EES14_EEDaSZ_S10_EUlSZ_E_NS1_11comp_targetILNS1_3genE9ELNS1_11target_archE1100ELNS1_3gpuE3ELNS1_3repE0EEENS1_30default_config_static_selectorELNS0_4arch9wavefront6targetE0EEEvT1_.kd
    .uniform_work_group_size: 1
    .uses_dynamic_stack: false
    .vgpr_count:     85
    .vgpr_spill_count: 0
    .wavefront_size: 32
    .workgroup_processor_mode: 1
  - .args:
      - .offset:         0
        .size:           128
        .value_kind:     by_value
    .group_segment_fixed_size: 0
    .kernarg_segment_align: 8
    .kernarg_segment_size: 128
    .language:       OpenCL C
    .language_version:
      - 2
      - 0
    .max_flat_workgroup_size: 256
    .name:           _ZN7rocprim17ROCPRIM_400000_NS6detail17trampoline_kernelINS0_14default_configENS1_29reduce_by_key_config_selectorIjjN6thrust23THRUST_200600_302600_NS4plusIjEEEEZZNS1_33reduce_by_key_impl_wrapped_configILNS1_25lookback_scan_determinismE0ES3_S9_NS6_6detail15normal_iteratorINS6_10device_ptrIjEEEESG_NS6_16discard_iteratorINS6_11use_defaultEEESG_PmS8_NS6_8equal_toIjEEEE10hipError_tPvRmT2_T3_mT4_T5_T6_T7_T8_P12ihipStream_tbENKUlT_T0_E_clISt17integral_constantIbLb0EES14_EEDaSZ_S10_EUlSZ_E_NS1_11comp_targetILNS1_3genE8ELNS1_11target_archE1030ELNS1_3gpuE2ELNS1_3repE0EEENS1_30default_config_static_selectorELNS0_4arch9wavefront6targetE0EEEvT1_
    .private_segment_fixed_size: 0
    .sgpr_count:     0
    .sgpr_spill_count: 0
    .symbol:         _ZN7rocprim17ROCPRIM_400000_NS6detail17trampoline_kernelINS0_14default_configENS1_29reduce_by_key_config_selectorIjjN6thrust23THRUST_200600_302600_NS4plusIjEEEEZZNS1_33reduce_by_key_impl_wrapped_configILNS1_25lookback_scan_determinismE0ES3_S9_NS6_6detail15normal_iteratorINS6_10device_ptrIjEEEESG_NS6_16discard_iteratorINS6_11use_defaultEEESG_PmS8_NS6_8equal_toIjEEEE10hipError_tPvRmT2_T3_mT4_T5_T6_T7_T8_P12ihipStream_tbENKUlT_T0_E_clISt17integral_constantIbLb0EES14_EEDaSZ_S10_EUlSZ_E_NS1_11comp_targetILNS1_3genE8ELNS1_11target_archE1030ELNS1_3gpuE2ELNS1_3repE0EEENS1_30default_config_static_selectorELNS0_4arch9wavefront6targetE0EEEvT1_.kd
    .uniform_work_group_size: 1
    .uses_dynamic_stack: false
    .vgpr_count:     0
    .vgpr_spill_count: 0
    .wavefront_size: 32
    .workgroup_processor_mode: 1
  - .args:
      - .offset:         0
        .size:           128
        .value_kind:     by_value
    .group_segment_fixed_size: 0
    .kernarg_segment_align: 8
    .kernarg_segment_size: 128
    .language:       OpenCL C
    .language_version:
      - 2
      - 0
    .max_flat_workgroup_size: 256
    .name:           _ZN7rocprim17ROCPRIM_400000_NS6detail17trampoline_kernelINS0_14default_configENS1_29reduce_by_key_config_selectorIjjN6thrust23THRUST_200600_302600_NS4plusIjEEEEZZNS1_33reduce_by_key_impl_wrapped_configILNS1_25lookback_scan_determinismE0ES3_S9_NS6_6detail15normal_iteratorINS6_10device_ptrIjEEEESG_NS6_16discard_iteratorINS6_11use_defaultEEESG_PmS8_NS6_8equal_toIjEEEE10hipError_tPvRmT2_T3_mT4_T5_T6_T7_T8_P12ihipStream_tbENKUlT_T0_E_clISt17integral_constantIbLb1EES14_EEDaSZ_S10_EUlSZ_E_NS1_11comp_targetILNS1_3genE0ELNS1_11target_archE4294967295ELNS1_3gpuE0ELNS1_3repE0EEENS1_30default_config_static_selectorELNS0_4arch9wavefront6targetE0EEEvT1_
    .private_segment_fixed_size: 0
    .sgpr_count:     0
    .sgpr_spill_count: 0
    .symbol:         _ZN7rocprim17ROCPRIM_400000_NS6detail17trampoline_kernelINS0_14default_configENS1_29reduce_by_key_config_selectorIjjN6thrust23THRUST_200600_302600_NS4plusIjEEEEZZNS1_33reduce_by_key_impl_wrapped_configILNS1_25lookback_scan_determinismE0ES3_S9_NS6_6detail15normal_iteratorINS6_10device_ptrIjEEEESG_NS6_16discard_iteratorINS6_11use_defaultEEESG_PmS8_NS6_8equal_toIjEEEE10hipError_tPvRmT2_T3_mT4_T5_T6_T7_T8_P12ihipStream_tbENKUlT_T0_E_clISt17integral_constantIbLb1EES14_EEDaSZ_S10_EUlSZ_E_NS1_11comp_targetILNS1_3genE0ELNS1_11target_archE4294967295ELNS1_3gpuE0ELNS1_3repE0EEENS1_30default_config_static_selectorELNS0_4arch9wavefront6targetE0EEEvT1_.kd
    .uniform_work_group_size: 1
    .uses_dynamic_stack: false
    .vgpr_count:     0
    .vgpr_spill_count: 0
    .wavefront_size: 32
    .workgroup_processor_mode: 1
  - .args:
      - .offset:         0
        .size:           128
        .value_kind:     by_value
    .group_segment_fixed_size: 0
    .kernarg_segment_align: 8
    .kernarg_segment_size: 128
    .language:       OpenCL C
    .language_version:
      - 2
      - 0
    .max_flat_workgroup_size: 256
    .name:           _ZN7rocprim17ROCPRIM_400000_NS6detail17trampoline_kernelINS0_14default_configENS1_29reduce_by_key_config_selectorIjjN6thrust23THRUST_200600_302600_NS4plusIjEEEEZZNS1_33reduce_by_key_impl_wrapped_configILNS1_25lookback_scan_determinismE0ES3_S9_NS6_6detail15normal_iteratorINS6_10device_ptrIjEEEESG_NS6_16discard_iteratorINS6_11use_defaultEEESG_PmS8_NS6_8equal_toIjEEEE10hipError_tPvRmT2_T3_mT4_T5_T6_T7_T8_P12ihipStream_tbENKUlT_T0_E_clISt17integral_constantIbLb1EES14_EEDaSZ_S10_EUlSZ_E_NS1_11comp_targetILNS1_3genE5ELNS1_11target_archE942ELNS1_3gpuE9ELNS1_3repE0EEENS1_30default_config_static_selectorELNS0_4arch9wavefront6targetE0EEEvT1_
    .private_segment_fixed_size: 0
    .sgpr_count:     0
    .sgpr_spill_count: 0
    .symbol:         _ZN7rocprim17ROCPRIM_400000_NS6detail17trampoline_kernelINS0_14default_configENS1_29reduce_by_key_config_selectorIjjN6thrust23THRUST_200600_302600_NS4plusIjEEEEZZNS1_33reduce_by_key_impl_wrapped_configILNS1_25lookback_scan_determinismE0ES3_S9_NS6_6detail15normal_iteratorINS6_10device_ptrIjEEEESG_NS6_16discard_iteratorINS6_11use_defaultEEESG_PmS8_NS6_8equal_toIjEEEE10hipError_tPvRmT2_T3_mT4_T5_T6_T7_T8_P12ihipStream_tbENKUlT_T0_E_clISt17integral_constantIbLb1EES14_EEDaSZ_S10_EUlSZ_E_NS1_11comp_targetILNS1_3genE5ELNS1_11target_archE942ELNS1_3gpuE9ELNS1_3repE0EEENS1_30default_config_static_selectorELNS0_4arch9wavefront6targetE0EEEvT1_.kd
    .uniform_work_group_size: 1
    .uses_dynamic_stack: false
    .vgpr_count:     0
    .vgpr_spill_count: 0
    .wavefront_size: 32
    .workgroup_processor_mode: 1
  - .args:
      - .offset:         0
        .size:           128
        .value_kind:     by_value
    .group_segment_fixed_size: 0
    .kernarg_segment_align: 8
    .kernarg_segment_size: 128
    .language:       OpenCL C
    .language_version:
      - 2
      - 0
    .max_flat_workgroup_size: 256
    .name:           _ZN7rocprim17ROCPRIM_400000_NS6detail17trampoline_kernelINS0_14default_configENS1_29reduce_by_key_config_selectorIjjN6thrust23THRUST_200600_302600_NS4plusIjEEEEZZNS1_33reduce_by_key_impl_wrapped_configILNS1_25lookback_scan_determinismE0ES3_S9_NS6_6detail15normal_iteratorINS6_10device_ptrIjEEEESG_NS6_16discard_iteratorINS6_11use_defaultEEESG_PmS8_NS6_8equal_toIjEEEE10hipError_tPvRmT2_T3_mT4_T5_T6_T7_T8_P12ihipStream_tbENKUlT_T0_E_clISt17integral_constantIbLb1EES14_EEDaSZ_S10_EUlSZ_E_NS1_11comp_targetILNS1_3genE4ELNS1_11target_archE910ELNS1_3gpuE8ELNS1_3repE0EEENS1_30default_config_static_selectorELNS0_4arch9wavefront6targetE0EEEvT1_
    .private_segment_fixed_size: 0
    .sgpr_count:     0
    .sgpr_spill_count: 0
    .symbol:         _ZN7rocprim17ROCPRIM_400000_NS6detail17trampoline_kernelINS0_14default_configENS1_29reduce_by_key_config_selectorIjjN6thrust23THRUST_200600_302600_NS4plusIjEEEEZZNS1_33reduce_by_key_impl_wrapped_configILNS1_25lookback_scan_determinismE0ES3_S9_NS6_6detail15normal_iteratorINS6_10device_ptrIjEEEESG_NS6_16discard_iteratorINS6_11use_defaultEEESG_PmS8_NS6_8equal_toIjEEEE10hipError_tPvRmT2_T3_mT4_T5_T6_T7_T8_P12ihipStream_tbENKUlT_T0_E_clISt17integral_constantIbLb1EES14_EEDaSZ_S10_EUlSZ_E_NS1_11comp_targetILNS1_3genE4ELNS1_11target_archE910ELNS1_3gpuE8ELNS1_3repE0EEENS1_30default_config_static_selectorELNS0_4arch9wavefront6targetE0EEEvT1_.kd
    .uniform_work_group_size: 1
    .uses_dynamic_stack: false
    .vgpr_count:     0
    .vgpr_spill_count: 0
    .wavefront_size: 32
    .workgroup_processor_mode: 1
  - .args:
      - .offset:         0
        .size:           128
        .value_kind:     by_value
    .group_segment_fixed_size: 0
    .kernarg_segment_align: 8
    .kernarg_segment_size: 128
    .language:       OpenCL C
    .language_version:
      - 2
      - 0
    .max_flat_workgroup_size: 256
    .name:           _ZN7rocprim17ROCPRIM_400000_NS6detail17trampoline_kernelINS0_14default_configENS1_29reduce_by_key_config_selectorIjjN6thrust23THRUST_200600_302600_NS4plusIjEEEEZZNS1_33reduce_by_key_impl_wrapped_configILNS1_25lookback_scan_determinismE0ES3_S9_NS6_6detail15normal_iteratorINS6_10device_ptrIjEEEESG_NS6_16discard_iteratorINS6_11use_defaultEEESG_PmS8_NS6_8equal_toIjEEEE10hipError_tPvRmT2_T3_mT4_T5_T6_T7_T8_P12ihipStream_tbENKUlT_T0_E_clISt17integral_constantIbLb1EES14_EEDaSZ_S10_EUlSZ_E_NS1_11comp_targetILNS1_3genE3ELNS1_11target_archE908ELNS1_3gpuE7ELNS1_3repE0EEENS1_30default_config_static_selectorELNS0_4arch9wavefront6targetE0EEEvT1_
    .private_segment_fixed_size: 0
    .sgpr_count:     0
    .sgpr_spill_count: 0
    .symbol:         _ZN7rocprim17ROCPRIM_400000_NS6detail17trampoline_kernelINS0_14default_configENS1_29reduce_by_key_config_selectorIjjN6thrust23THRUST_200600_302600_NS4plusIjEEEEZZNS1_33reduce_by_key_impl_wrapped_configILNS1_25lookback_scan_determinismE0ES3_S9_NS6_6detail15normal_iteratorINS6_10device_ptrIjEEEESG_NS6_16discard_iteratorINS6_11use_defaultEEESG_PmS8_NS6_8equal_toIjEEEE10hipError_tPvRmT2_T3_mT4_T5_T6_T7_T8_P12ihipStream_tbENKUlT_T0_E_clISt17integral_constantIbLb1EES14_EEDaSZ_S10_EUlSZ_E_NS1_11comp_targetILNS1_3genE3ELNS1_11target_archE908ELNS1_3gpuE7ELNS1_3repE0EEENS1_30default_config_static_selectorELNS0_4arch9wavefront6targetE0EEEvT1_.kd
    .uniform_work_group_size: 1
    .uses_dynamic_stack: false
    .vgpr_count:     0
    .vgpr_spill_count: 0
    .wavefront_size: 32
    .workgroup_processor_mode: 1
  - .args:
      - .offset:         0
        .size:           128
        .value_kind:     by_value
    .group_segment_fixed_size: 0
    .kernarg_segment_align: 8
    .kernarg_segment_size: 128
    .language:       OpenCL C
    .language_version:
      - 2
      - 0
    .max_flat_workgroup_size: 256
    .name:           _ZN7rocprim17ROCPRIM_400000_NS6detail17trampoline_kernelINS0_14default_configENS1_29reduce_by_key_config_selectorIjjN6thrust23THRUST_200600_302600_NS4plusIjEEEEZZNS1_33reduce_by_key_impl_wrapped_configILNS1_25lookback_scan_determinismE0ES3_S9_NS6_6detail15normal_iteratorINS6_10device_ptrIjEEEESG_NS6_16discard_iteratorINS6_11use_defaultEEESG_PmS8_NS6_8equal_toIjEEEE10hipError_tPvRmT2_T3_mT4_T5_T6_T7_T8_P12ihipStream_tbENKUlT_T0_E_clISt17integral_constantIbLb1EES14_EEDaSZ_S10_EUlSZ_E_NS1_11comp_targetILNS1_3genE2ELNS1_11target_archE906ELNS1_3gpuE6ELNS1_3repE0EEENS1_30default_config_static_selectorELNS0_4arch9wavefront6targetE0EEEvT1_
    .private_segment_fixed_size: 0
    .sgpr_count:     0
    .sgpr_spill_count: 0
    .symbol:         _ZN7rocprim17ROCPRIM_400000_NS6detail17trampoline_kernelINS0_14default_configENS1_29reduce_by_key_config_selectorIjjN6thrust23THRUST_200600_302600_NS4plusIjEEEEZZNS1_33reduce_by_key_impl_wrapped_configILNS1_25lookback_scan_determinismE0ES3_S9_NS6_6detail15normal_iteratorINS6_10device_ptrIjEEEESG_NS6_16discard_iteratorINS6_11use_defaultEEESG_PmS8_NS6_8equal_toIjEEEE10hipError_tPvRmT2_T3_mT4_T5_T6_T7_T8_P12ihipStream_tbENKUlT_T0_E_clISt17integral_constantIbLb1EES14_EEDaSZ_S10_EUlSZ_E_NS1_11comp_targetILNS1_3genE2ELNS1_11target_archE906ELNS1_3gpuE6ELNS1_3repE0EEENS1_30default_config_static_selectorELNS0_4arch9wavefront6targetE0EEEvT1_.kd
    .uniform_work_group_size: 1
    .uses_dynamic_stack: false
    .vgpr_count:     0
    .vgpr_spill_count: 0
    .wavefront_size: 32
    .workgroup_processor_mode: 1
  - .args:
      - .offset:         0
        .size:           128
        .value_kind:     by_value
    .group_segment_fixed_size: 0
    .kernarg_segment_align: 8
    .kernarg_segment_size: 128
    .language:       OpenCL C
    .language_version:
      - 2
      - 0
    .max_flat_workgroup_size: 256
    .name:           _ZN7rocprim17ROCPRIM_400000_NS6detail17trampoline_kernelINS0_14default_configENS1_29reduce_by_key_config_selectorIjjN6thrust23THRUST_200600_302600_NS4plusIjEEEEZZNS1_33reduce_by_key_impl_wrapped_configILNS1_25lookback_scan_determinismE0ES3_S9_NS6_6detail15normal_iteratorINS6_10device_ptrIjEEEESG_NS6_16discard_iteratorINS6_11use_defaultEEESG_PmS8_NS6_8equal_toIjEEEE10hipError_tPvRmT2_T3_mT4_T5_T6_T7_T8_P12ihipStream_tbENKUlT_T0_E_clISt17integral_constantIbLb1EES14_EEDaSZ_S10_EUlSZ_E_NS1_11comp_targetILNS1_3genE10ELNS1_11target_archE1201ELNS1_3gpuE5ELNS1_3repE0EEENS1_30default_config_static_selectorELNS0_4arch9wavefront6targetE0EEEvT1_
    .private_segment_fixed_size: 0
    .sgpr_count:     0
    .sgpr_spill_count: 0
    .symbol:         _ZN7rocprim17ROCPRIM_400000_NS6detail17trampoline_kernelINS0_14default_configENS1_29reduce_by_key_config_selectorIjjN6thrust23THRUST_200600_302600_NS4plusIjEEEEZZNS1_33reduce_by_key_impl_wrapped_configILNS1_25lookback_scan_determinismE0ES3_S9_NS6_6detail15normal_iteratorINS6_10device_ptrIjEEEESG_NS6_16discard_iteratorINS6_11use_defaultEEESG_PmS8_NS6_8equal_toIjEEEE10hipError_tPvRmT2_T3_mT4_T5_T6_T7_T8_P12ihipStream_tbENKUlT_T0_E_clISt17integral_constantIbLb1EES14_EEDaSZ_S10_EUlSZ_E_NS1_11comp_targetILNS1_3genE10ELNS1_11target_archE1201ELNS1_3gpuE5ELNS1_3repE0EEENS1_30default_config_static_selectorELNS0_4arch9wavefront6targetE0EEEvT1_.kd
    .uniform_work_group_size: 1
    .uses_dynamic_stack: false
    .vgpr_count:     0
    .vgpr_spill_count: 0
    .wavefront_size: 32
    .workgroup_processor_mode: 1
  - .args:
      - .offset:         0
        .size:           128
        .value_kind:     by_value
    .group_segment_fixed_size: 0
    .kernarg_segment_align: 8
    .kernarg_segment_size: 128
    .language:       OpenCL C
    .language_version:
      - 2
      - 0
    .max_flat_workgroup_size: 256
    .name:           _ZN7rocprim17ROCPRIM_400000_NS6detail17trampoline_kernelINS0_14default_configENS1_29reduce_by_key_config_selectorIjjN6thrust23THRUST_200600_302600_NS4plusIjEEEEZZNS1_33reduce_by_key_impl_wrapped_configILNS1_25lookback_scan_determinismE0ES3_S9_NS6_6detail15normal_iteratorINS6_10device_ptrIjEEEESG_NS6_16discard_iteratorINS6_11use_defaultEEESG_PmS8_NS6_8equal_toIjEEEE10hipError_tPvRmT2_T3_mT4_T5_T6_T7_T8_P12ihipStream_tbENKUlT_T0_E_clISt17integral_constantIbLb1EES14_EEDaSZ_S10_EUlSZ_E_NS1_11comp_targetILNS1_3genE10ELNS1_11target_archE1200ELNS1_3gpuE4ELNS1_3repE0EEENS1_30default_config_static_selectorELNS0_4arch9wavefront6targetE0EEEvT1_
    .private_segment_fixed_size: 0
    .sgpr_count:     0
    .sgpr_spill_count: 0
    .symbol:         _ZN7rocprim17ROCPRIM_400000_NS6detail17trampoline_kernelINS0_14default_configENS1_29reduce_by_key_config_selectorIjjN6thrust23THRUST_200600_302600_NS4plusIjEEEEZZNS1_33reduce_by_key_impl_wrapped_configILNS1_25lookback_scan_determinismE0ES3_S9_NS6_6detail15normal_iteratorINS6_10device_ptrIjEEEESG_NS6_16discard_iteratorINS6_11use_defaultEEESG_PmS8_NS6_8equal_toIjEEEE10hipError_tPvRmT2_T3_mT4_T5_T6_T7_T8_P12ihipStream_tbENKUlT_T0_E_clISt17integral_constantIbLb1EES14_EEDaSZ_S10_EUlSZ_E_NS1_11comp_targetILNS1_3genE10ELNS1_11target_archE1200ELNS1_3gpuE4ELNS1_3repE0EEENS1_30default_config_static_selectorELNS0_4arch9wavefront6targetE0EEEvT1_.kd
    .uniform_work_group_size: 1
    .uses_dynamic_stack: false
    .vgpr_count:     0
    .vgpr_spill_count: 0
    .wavefront_size: 32
    .workgroup_processor_mode: 1
  - .args:
      - .offset:         0
        .size:           128
        .value_kind:     by_value
    .group_segment_fixed_size: 15360
    .kernarg_segment_align: 8
    .kernarg_segment_size: 128
    .language:       OpenCL C
    .language_version:
      - 2
      - 0
    .max_flat_workgroup_size: 256
    .name:           _ZN7rocprim17ROCPRIM_400000_NS6detail17trampoline_kernelINS0_14default_configENS1_29reduce_by_key_config_selectorIjjN6thrust23THRUST_200600_302600_NS4plusIjEEEEZZNS1_33reduce_by_key_impl_wrapped_configILNS1_25lookback_scan_determinismE0ES3_S9_NS6_6detail15normal_iteratorINS6_10device_ptrIjEEEESG_NS6_16discard_iteratorINS6_11use_defaultEEESG_PmS8_NS6_8equal_toIjEEEE10hipError_tPvRmT2_T3_mT4_T5_T6_T7_T8_P12ihipStream_tbENKUlT_T0_E_clISt17integral_constantIbLb1EES14_EEDaSZ_S10_EUlSZ_E_NS1_11comp_targetILNS1_3genE9ELNS1_11target_archE1100ELNS1_3gpuE3ELNS1_3repE0EEENS1_30default_config_static_selectorELNS0_4arch9wavefront6targetE0EEEvT1_
    .private_segment_fixed_size: 0
    .sgpr_count:     48
    .sgpr_spill_count: 0
    .symbol:         _ZN7rocprim17ROCPRIM_400000_NS6detail17trampoline_kernelINS0_14default_configENS1_29reduce_by_key_config_selectorIjjN6thrust23THRUST_200600_302600_NS4plusIjEEEEZZNS1_33reduce_by_key_impl_wrapped_configILNS1_25lookback_scan_determinismE0ES3_S9_NS6_6detail15normal_iteratorINS6_10device_ptrIjEEEESG_NS6_16discard_iteratorINS6_11use_defaultEEESG_PmS8_NS6_8equal_toIjEEEE10hipError_tPvRmT2_T3_mT4_T5_T6_T7_T8_P12ihipStream_tbENKUlT_T0_E_clISt17integral_constantIbLb1EES14_EEDaSZ_S10_EUlSZ_E_NS1_11comp_targetILNS1_3genE9ELNS1_11target_archE1100ELNS1_3gpuE3ELNS1_3repE0EEENS1_30default_config_static_selectorELNS0_4arch9wavefront6targetE0EEEvT1_.kd
    .uniform_work_group_size: 1
    .uses_dynamic_stack: false
    .vgpr_count:     85
    .vgpr_spill_count: 0
    .wavefront_size: 32
    .workgroup_processor_mode: 1
  - .args:
      - .offset:         0
        .size:           128
        .value_kind:     by_value
    .group_segment_fixed_size: 0
    .kernarg_segment_align: 8
    .kernarg_segment_size: 128
    .language:       OpenCL C
    .language_version:
      - 2
      - 0
    .max_flat_workgroup_size: 256
    .name:           _ZN7rocprim17ROCPRIM_400000_NS6detail17trampoline_kernelINS0_14default_configENS1_29reduce_by_key_config_selectorIjjN6thrust23THRUST_200600_302600_NS4plusIjEEEEZZNS1_33reduce_by_key_impl_wrapped_configILNS1_25lookback_scan_determinismE0ES3_S9_NS6_6detail15normal_iteratorINS6_10device_ptrIjEEEESG_NS6_16discard_iteratorINS6_11use_defaultEEESG_PmS8_NS6_8equal_toIjEEEE10hipError_tPvRmT2_T3_mT4_T5_T6_T7_T8_P12ihipStream_tbENKUlT_T0_E_clISt17integral_constantIbLb1EES14_EEDaSZ_S10_EUlSZ_E_NS1_11comp_targetILNS1_3genE8ELNS1_11target_archE1030ELNS1_3gpuE2ELNS1_3repE0EEENS1_30default_config_static_selectorELNS0_4arch9wavefront6targetE0EEEvT1_
    .private_segment_fixed_size: 0
    .sgpr_count:     0
    .sgpr_spill_count: 0
    .symbol:         _ZN7rocprim17ROCPRIM_400000_NS6detail17trampoline_kernelINS0_14default_configENS1_29reduce_by_key_config_selectorIjjN6thrust23THRUST_200600_302600_NS4plusIjEEEEZZNS1_33reduce_by_key_impl_wrapped_configILNS1_25lookback_scan_determinismE0ES3_S9_NS6_6detail15normal_iteratorINS6_10device_ptrIjEEEESG_NS6_16discard_iteratorINS6_11use_defaultEEESG_PmS8_NS6_8equal_toIjEEEE10hipError_tPvRmT2_T3_mT4_T5_T6_T7_T8_P12ihipStream_tbENKUlT_T0_E_clISt17integral_constantIbLb1EES14_EEDaSZ_S10_EUlSZ_E_NS1_11comp_targetILNS1_3genE8ELNS1_11target_archE1030ELNS1_3gpuE2ELNS1_3repE0EEENS1_30default_config_static_selectorELNS0_4arch9wavefront6targetE0EEEvT1_.kd
    .uniform_work_group_size: 1
    .uses_dynamic_stack: false
    .vgpr_count:     0
    .vgpr_spill_count: 0
    .wavefront_size: 32
    .workgroup_processor_mode: 1
  - .args:
      - .offset:         0
        .size:           128
        .value_kind:     by_value
    .group_segment_fixed_size: 0
    .kernarg_segment_align: 8
    .kernarg_segment_size: 128
    .language:       OpenCL C
    .language_version:
      - 2
      - 0
    .max_flat_workgroup_size: 256
    .name:           _ZN7rocprim17ROCPRIM_400000_NS6detail17trampoline_kernelINS0_14default_configENS1_29reduce_by_key_config_selectorIjjN6thrust23THRUST_200600_302600_NS4plusIjEEEEZZNS1_33reduce_by_key_impl_wrapped_configILNS1_25lookback_scan_determinismE0ES3_S9_NS6_6detail15normal_iteratorINS6_10device_ptrIjEEEESG_NS6_16discard_iteratorINS6_11use_defaultEEESG_PmS8_NS6_8equal_toIjEEEE10hipError_tPvRmT2_T3_mT4_T5_T6_T7_T8_P12ihipStream_tbENKUlT_T0_E_clISt17integral_constantIbLb1EES13_IbLb0EEEEDaSZ_S10_EUlSZ_E_NS1_11comp_targetILNS1_3genE0ELNS1_11target_archE4294967295ELNS1_3gpuE0ELNS1_3repE0EEENS1_30default_config_static_selectorELNS0_4arch9wavefront6targetE0EEEvT1_
    .private_segment_fixed_size: 0
    .sgpr_count:     0
    .sgpr_spill_count: 0
    .symbol:         _ZN7rocprim17ROCPRIM_400000_NS6detail17trampoline_kernelINS0_14default_configENS1_29reduce_by_key_config_selectorIjjN6thrust23THRUST_200600_302600_NS4plusIjEEEEZZNS1_33reduce_by_key_impl_wrapped_configILNS1_25lookback_scan_determinismE0ES3_S9_NS6_6detail15normal_iteratorINS6_10device_ptrIjEEEESG_NS6_16discard_iteratorINS6_11use_defaultEEESG_PmS8_NS6_8equal_toIjEEEE10hipError_tPvRmT2_T3_mT4_T5_T6_T7_T8_P12ihipStream_tbENKUlT_T0_E_clISt17integral_constantIbLb1EES13_IbLb0EEEEDaSZ_S10_EUlSZ_E_NS1_11comp_targetILNS1_3genE0ELNS1_11target_archE4294967295ELNS1_3gpuE0ELNS1_3repE0EEENS1_30default_config_static_selectorELNS0_4arch9wavefront6targetE0EEEvT1_.kd
    .uniform_work_group_size: 1
    .uses_dynamic_stack: false
    .vgpr_count:     0
    .vgpr_spill_count: 0
    .wavefront_size: 32
    .workgroup_processor_mode: 1
  - .args:
      - .offset:         0
        .size:           128
        .value_kind:     by_value
    .group_segment_fixed_size: 0
    .kernarg_segment_align: 8
    .kernarg_segment_size: 128
    .language:       OpenCL C
    .language_version:
      - 2
      - 0
    .max_flat_workgroup_size: 256
    .name:           _ZN7rocprim17ROCPRIM_400000_NS6detail17trampoline_kernelINS0_14default_configENS1_29reduce_by_key_config_selectorIjjN6thrust23THRUST_200600_302600_NS4plusIjEEEEZZNS1_33reduce_by_key_impl_wrapped_configILNS1_25lookback_scan_determinismE0ES3_S9_NS6_6detail15normal_iteratorINS6_10device_ptrIjEEEESG_NS6_16discard_iteratorINS6_11use_defaultEEESG_PmS8_NS6_8equal_toIjEEEE10hipError_tPvRmT2_T3_mT4_T5_T6_T7_T8_P12ihipStream_tbENKUlT_T0_E_clISt17integral_constantIbLb1EES13_IbLb0EEEEDaSZ_S10_EUlSZ_E_NS1_11comp_targetILNS1_3genE5ELNS1_11target_archE942ELNS1_3gpuE9ELNS1_3repE0EEENS1_30default_config_static_selectorELNS0_4arch9wavefront6targetE0EEEvT1_
    .private_segment_fixed_size: 0
    .sgpr_count:     0
    .sgpr_spill_count: 0
    .symbol:         _ZN7rocprim17ROCPRIM_400000_NS6detail17trampoline_kernelINS0_14default_configENS1_29reduce_by_key_config_selectorIjjN6thrust23THRUST_200600_302600_NS4plusIjEEEEZZNS1_33reduce_by_key_impl_wrapped_configILNS1_25lookback_scan_determinismE0ES3_S9_NS6_6detail15normal_iteratorINS6_10device_ptrIjEEEESG_NS6_16discard_iteratorINS6_11use_defaultEEESG_PmS8_NS6_8equal_toIjEEEE10hipError_tPvRmT2_T3_mT4_T5_T6_T7_T8_P12ihipStream_tbENKUlT_T0_E_clISt17integral_constantIbLb1EES13_IbLb0EEEEDaSZ_S10_EUlSZ_E_NS1_11comp_targetILNS1_3genE5ELNS1_11target_archE942ELNS1_3gpuE9ELNS1_3repE0EEENS1_30default_config_static_selectorELNS0_4arch9wavefront6targetE0EEEvT1_.kd
    .uniform_work_group_size: 1
    .uses_dynamic_stack: false
    .vgpr_count:     0
    .vgpr_spill_count: 0
    .wavefront_size: 32
    .workgroup_processor_mode: 1
  - .args:
      - .offset:         0
        .size:           128
        .value_kind:     by_value
    .group_segment_fixed_size: 0
    .kernarg_segment_align: 8
    .kernarg_segment_size: 128
    .language:       OpenCL C
    .language_version:
      - 2
      - 0
    .max_flat_workgroup_size: 256
    .name:           _ZN7rocprim17ROCPRIM_400000_NS6detail17trampoline_kernelINS0_14default_configENS1_29reduce_by_key_config_selectorIjjN6thrust23THRUST_200600_302600_NS4plusIjEEEEZZNS1_33reduce_by_key_impl_wrapped_configILNS1_25lookback_scan_determinismE0ES3_S9_NS6_6detail15normal_iteratorINS6_10device_ptrIjEEEESG_NS6_16discard_iteratorINS6_11use_defaultEEESG_PmS8_NS6_8equal_toIjEEEE10hipError_tPvRmT2_T3_mT4_T5_T6_T7_T8_P12ihipStream_tbENKUlT_T0_E_clISt17integral_constantIbLb1EES13_IbLb0EEEEDaSZ_S10_EUlSZ_E_NS1_11comp_targetILNS1_3genE4ELNS1_11target_archE910ELNS1_3gpuE8ELNS1_3repE0EEENS1_30default_config_static_selectorELNS0_4arch9wavefront6targetE0EEEvT1_
    .private_segment_fixed_size: 0
    .sgpr_count:     0
    .sgpr_spill_count: 0
    .symbol:         _ZN7rocprim17ROCPRIM_400000_NS6detail17trampoline_kernelINS0_14default_configENS1_29reduce_by_key_config_selectorIjjN6thrust23THRUST_200600_302600_NS4plusIjEEEEZZNS1_33reduce_by_key_impl_wrapped_configILNS1_25lookback_scan_determinismE0ES3_S9_NS6_6detail15normal_iteratorINS6_10device_ptrIjEEEESG_NS6_16discard_iteratorINS6_11use_defaultEEESG_PmS8_NS6_8equal_toIjEEEE10hipError_tPvRmT2_T3_mT4_T5_T6_T7_T8_P12ihipStream_tbENKUlT_T0_E_clISt17integral_constantIbLb1EES13_IbLb0EEEEDaSZ_S10_EUlSZ_E_NS1_11comp_targetILNS1_3genE4ELNS1_11target_archE910ELNS1_3gpuE8ELNS1_3repE0EEENS1_30default_config_static_selectorELNS0_4arch9wavefront6targetE0EEEvT1_.kd
    .uniform_work_group_size: 1
    .uses_dynamic_stack: false
    .vgpr_count:     0
    .vgpr_spill_count: 0
    .wavefront_size: 32
    .workgroup_processor_mode: 1
  - .args:
      - .offset:         0
        .size:           128
        .value_kind:     by_value
    .group_segment_fixed_size: 0
    .kernarg_segment_align: 8
    .kernarg_segment_size: 128
    .language:       OpenCL C
    .language_version:
      - 2
      - 0
    .max_flat_workgroup_size: 256
    .name:           _ZN7rocprim17ROCPRIM_400000_NS6detail17trampoline_kernelINS0_14default_configENS1_29reduce_by_key_config_selectorIjjN6thrust23THRUST_200600_302600_NS4plusIjEEEEZZNS1_33reduce_by_key_impl_wrapped_configILNS1_25lookback_scan_determinismE0ES3_S9_NS6_6detail15normal_iteratorINS6_10device_ptrIjEEEESG_NS6_16discard_iteratorINS6_11use_defaultEEESG_PmS8_NS6_8equal_toIjEEEE10hipError_tPvRmT2_T3_mT4_T5_T6_T7_T8_P12ihipStream_tbENKUlT_T0_E_clISt17integral_constantIbLb1EES13_IbLb0EEEEDaSZ_S10_EUlSZ_E_NS1_11comp_targetILNS1_3genE3ELNS1_11target_archE908ELNS1_3gpuE7ELNS1_3repE0EEENS1_30default_config_static_selectorELNS0_4arch9wavefront6targetE0EEEvT1_
    .private_segment_fixed_size: 0
    .sgpr_count:     0
    .sgpr_spill_count: 0
    .symbol:         _ZN7rocprim17ROCPRIM_400000_NS6detail17trampoline_kernelINS0_14default_configENS1_29reduce_by_key_config_selectorIjjN6thrust23THRUST_200600_302600_NS4plusIjEEEEZZNS1_33reduce_by_key_impl_wrapped_configILNS1_25lookback_scan_determinismE0ES3_S9_NS6_6detail15normal_iteratorINS6_10device_ptrIjEEEESG_NS6_16discard_iteratorINS6_11use_defaultEEESG_PmS8_NS6_8equal_toIjEEEE10hipError_tPvRmT2_T3_mT4_T5_T6_T7_T8_P12ihipStream_tbENKUlT_T0_E_clISt17integral_constantIbLb1EES13_IbLb0EEEEDaSZ_S10_EUlSZ_E_NS1_11comp_targetILNS1_3genE3ELNS1_11target_archE908ELNS1_3gpuE7ELNS1_3repE0EEENS1_30default_config_static_selectorELNS0_4arch9wavefront6targetE0EEEvT1_.kd
    .uniform_work_group_size: 1
    .uses_dynamic_stack: false
    .vgpr_count:     0
    .vgpr_spill_count: 0
    .wavefront_size: 32
    .workgroup_processor_mode: 1
  - .args:
      - .offset:         0
        .size:           128
        .value_kind:     by_value
    .group_segment_fixed_size: 0
    .kernarg_segment_align: 8
    .kernarg_segment_size: 128
    .language:       OpenCL C
    .language_version:
      - 2
      - 0
    .max_flat_workgroup_size: 256
    .name:           _ZN7rocprim17ROCPRIM_400000_NS6detail17trampoline_kernelINS0_14default_configENS1_29reduce_by_key_config_selectorIjjN6thrust23THRUST_200600_302600_NS4plusIjEEEEZZNS1_33reduce_by_key_impl_wrapped_configILNS1_25lookback_scan_determinismE0ES3_S9_NS6_6detail15normal_iteratorINS6_10device_ptrIjEEEESG_NS6_16discard_iteratorINS6_11use_defaultEEESG_PmS8_NS6_8equal_toIjEEEE10hipError_tPvRmT2_T3_mT4_T5_T6_T7_T8_P12ihipStream_tbENKUlT_T0_E_clISt17integral_constantIbLb1EES13_IbLb0EEEEDaSZ_S10_EUlSZ_E_NS1_11comp_targetILNS1_3genE2ELNS1_11target_archE906ELNS1_3gpuE6ELNS1_3repE0EEENS1_30default_config_static_selectorELNS0_4arch9wavefront6targetE0EEEvT1_
    .private_segment_fixed_size: 0
    .sgpr_count:     0
    .sgpr_spill_count: 0
    .symbol:         _ZN7rocprim17ROCPRIM_400000_NS6detail17trampoline_kernelINS0_14default_configENS1_29reduce_by_key_config_selectorIjjN6thrust23THRUST_200600_302600_NS4plusIjEEEEZZNS1_33reduce_by_key_impl_wrapped_configILNS1_25lookback_scan_determinismE0ES3_S9_NS6_6detail15normal_iteratorINS6_10device_ptrIjEEEESG_NS6_16discard_iteratorINS6_11use_defaultEEESG_PmS8_NS6_8equal_toIjEEEE10hipError_tPvRmT2_T3_mT4_T5_T6_T7_T8_P12ihipStream_tbENKUlT_T0_E_clISt17integral_constantIbLb1EES13_IbLb0EEEEDaSZ_S10_EUlSZ_E_NS1_11comp_targetILNS1_3genE2ELNS1_11target_archE906ELNS1_3gpuE6ELNS1_3repE0EEENS1_30default_config_static_selectorELNS0_4arch9wavefront6targetE0EEEvT1_.kd
    .uniform_work_group_size: 1
    .uses_dynamic_stack: false
    .vgpr_count:     0
    .vgpr_spill_count: 0
    .wavefront_size: 32
    .workgroup_processor_mode: 1
  - .args:
      - .offset:         0
        .size:           128
        .value_kind:     by_value
    .group_segment_fixed_size: 0
    .kernarg_segment_align: 8
    .kernarg_segment_size: 128
    .language:       OpenCL C
    .language_version:
      - 2
      - 0
    .max_flat_workgroup_size: 256
    .name:           _ZN7rocprim17ROCPRIM_400000_NS6detail17trampoline_kernelINS0_14default_configENS1_29reduce_by_key_config_selectorIjjN6thrust23THRUST_200600_302600_NS4plusIjEEEEZZNS1_33reduce_by_key_impl_wrapped_configILNS1_25lookback_scan_determinismE0ES3_S9_NS6_6detail15normal_iteratorINS6_10device_ptrIjEEEESG_NS6_16discard_iteratorINS6_11use_defaultEEESG_PmS8_NS6_8equal_toIjEEEE10hipError_tPvRmT2_T3_mT4_T5_T6_T7_T8_P12ihipStream_tbENKUlT_T0_E_clISt17integral_constantIbLb1EES13_IbLb0EEEEDaSZ_S10_EUlSZ_E_NS1_11comp_targetILNS1_3genE10ELNS1_11target_archE1201ELNS1_3gpuE5ELNS1_3repE0EEENS1_30default_config_static_selectorELNS0_4arch9wavefront6targetE0EEEvT1_
    .private_segment_fixed_size: 0
    .sgpr_count:     0
    .sgpr_spill_count: 0
    .symbol:         _ZN7rocprim17ROCPRIM_400000_NS6detail17trampoline_kernelINS0_14default_configENS1_29reduce_by_key_config_selectorIjjN6thrust23THRUST_200600_302600_NS4plusIjEEEEZZNS1_33reduce_by_key_impl_wrapped_configILNS1_25lookback_scan_determinismE0ES3_S9_NS6_6detail15normal_iteratorINS6_10device_ptrIjEEEESG_NS6_16discard_iteratorINS6_11use_defaultEEESG_PmS8_NS6_8equal_toIjEEEE10hipError_tPvRmT2_T3_mT4_T5_T6_T7_T8_P12ihipStream_tbENKUlT_T0_E_clISt17integral_constantIbLb1EES13_IbLb0EEEEDaSZ_S10_EUlSZ_E_NS1_11comp_targetILNS1_3genE10ELNS1_11target_archE1201ELNS1_3gpuE5ELNS1_3repE0EEENS1_30default_config_static_selectorELNS0_4arch9wavefront6targetE0EEEvT1_.kd
    .uniform_work_group_size: 1
    .uses_dynamic_stack: false
    .vgpr_count:     0
    .vgpr_spill_count: 0
    .wavefront_size: 32
    .workgroup_processor_mode: 1
  - .args:
      - .offset:         0
        .size:           128
        .value_kind:     by_value
    .group_segment_fixed_size: 0
    .kernarg_segment_align: 8
    .kernarg_segment_size: 128
    .language:       OpenCL C
    .language_version:
      - 2
      - 0
    .max_flat_workgroup_size: 256
    .name:           _ZN7rocprim17ROCPRIM_400000_NS6detail17trampoline_kernelINS0_14default_configENS1_29reduce_by_key_config_selectorIjjN6thrust23THRUST_200600_302600_NS4plusIjEEEEZZNS1_33reduce_by_key_impl_wrapped_configILNS1_25lookback_scan_determinismE0ES3_S9_NS6_6detail15normal_iteratorINS6_10device_ptrIjEEEESG_NS6_16discard_iteratorINS6_11use_defaultEEESG_PmS8_NS6_8equal_toIjEEEE10hipError_tPvRmT2_T3_mT4_T5_T6_T7_T8_P12ihipStream_tbENKUlT_T0_E_clISt17integral_constantIbLb1EES13_IbLb0EEEEDaSZ_S10_EUlSZ_E_NS1_11comp_targetILNS1_3genE10ELNS1_11target_archE1200ELNS1_3gpuE4ELNS1_3repE0EEENS1_30default_config_static_selectorELNS0_4arch9wavefront6targetE0EEEvT1_
    .private_segment_fixed_size: 0
    .sgpr_count:     0
    .sgpr_spill_count: 0
    .symbol:         _ZN7rocprim17ROCPRIM_400000_NS6detail17trampoline_kernelINS0_14default_configENS1_29reduce_by_key_config_selectorIjjN6thrust23THRUST_200600_302600_NS4plusIjEEEEZZNS1_33reduce_by_key_impl_wrapped_configILNS1_25lookback_scan_determinismE0ES3_S9_NS6_6detail15normal_iteratorINS6_10device_ptrIjEEEESG_NS6_16discard_iteratorINS6_11use_defaultEEESG_PmS8_NS6_8equal_toIjEEEE10hipError_tPvRmT2_T3_mT4_T5_T6_T7_T8_P12ihipStream_tbENKUlT_T0_E_clISt17integral_constantIbLb1EES13_IbLb0EEEEDaSZ_S10_EUlSZ_E_NS1_11comp_targetILNS1_3genE10ELNS1_11target_archE1200ELNS1_3gpuE4ELNS1_3repE0EEENS1_30default_config_static_selectorELNS0_4arch9wavefront6targetE0EEEvT1_.kd
    .uniform_work_group_size: 1
    .uses_dynamic_stack: false
    .vgpr_count:     0
    .vgpr_spill_count: 0
    .wavefront_size: 32
    .workgroup_processor_mode: 1
  - .args:
      - .offset:         0
        .size:           128
        .value_kind:     by_value
    .group_segment_fixed_size: 15360
    .kernarg_segment_align: 8
    .kernarg_segment_size: 128
    .language:       OpenCL C
    .language_version:
      - 2
      - 0
    .max_flat_workgroup_size: 256
    .name:           _ZN7rocprim17ROCPRIM_400000_NS6detail17trampoline_kernelINS0_14default_configENS1_29reduce_by_key_config_selectorIjjN6thrust23THRUST_200600_302600_NS4plusIjEEEEZZNS1_33reduce_by_key_impl_wrapped_configILNS1_25lookback_scan_determinismE0ES3_S9_NS6_6detail15normal_iteratorINS6_10device_ptrIjEEEESG_NS6_16discard_iteratorINS6_11use_defaultEEESG_PmS8_NS6_8equal_toIjEEEE10hipError_tPvRmT2_T3_mT4_T5_T6_T7_T8_P12ihipStream_tbENKUlT_T0_E_clISt17integral_constantIbLb1EES13_IbLb0EEEEDaSZ_S10_EUlSZ_E_NS1_11comp_targetILNS1_3genE9ELNS1_11target_archE1100ELNS1_3gpuE3ELNS1_3repE0EEENS1_30default_config_static_selectorELNS0_4arch9wavefront6targetE0EEEvT1_
    .private_segment_fixed_size: 0
    .sgpr_count:     46
    .sgpr_spill_count: 0
    .symbol:         _ZN7rocprim17ROCPRIM_400000_NS6detail17trampoline_kernelINS0_14default_configENS1_29reduce_by_key_config_selectorIjjN6thrust23THRUST_200600_302600_NS4plusIjEEEEZZNS1_33reduce_by_key_impl_wrapped_configILNS1_25lookback_scan_determinismE0ES3_S9_NS6_6detail15normal_iteratorINS6_10device_ptrIjEEEESG_NS6_16discard_iteratorINS6_11use_defaultEEESG_PmS8_NS6_8equal_toIjEEEE10hipError_tPvRmT2_T3_mT4_T5_T6_T7_T8_P12ihipStream_tbENKUlT_T0_E_clISt17integral_constantIbLb1EES13_IbLb0EEEEDaSZ_S10_EUlSZ_E_NS1_11comp_targetILNS1_3genE9ELNS1_11target_archE1100ELNS1_3gpuE3ELNS1_3repE0EEENS1_30default_config_static_selectorELNS0_4arch9wavefront6targetE0EEEvT1_.kd
    .uniform_work_group_size: 1
    .uses_dynamic_stack: false
    .vgpr_count:     85
    .vgpr_spill_count: 0
    .wavefront_size: 32
    .workgroup_processor_mode: 1
  - .args:
      - .offset:         0
        .size:           128
        .value_kind:     by_value
    .group_segment_fixed_size: 0
    .kernarg_segment_align: 8
    .kernarg_segment_size: 128
    .language:       OpenCL C
    .language_version:
      - 2
      - 0
    .max_flat_workgroup_size: 256
    .name:           _ZN7rocprim17ROCPRIM_400000_NS6detail17trampoline_kernelINS0_14default_configENS1_29reduce_by_key_config_selectorIjjN6thrust23THRUST_200600_302600_NS4plusIjEEEEZZNS1_33reduce_by_key_impl_wrapped_configILNS1_25lookback_scan_determinismE0ES3_S9_NS6_6detail15normal_iteratorINS6_10device_ptrIjEEEESG_NS6_16discard_iteratorINS6_11use_defaultEEESG_PmS8_NS6_8equal_toIjEEEE10hipError_tPvRmT2_T3_mT4_T5_T6_T7_T8_P12ihipStream_tbENKUlT_T0_E_clISt17integral_constantIbLb1EES13_IbLb0EEEEDaSZ_S10_EUlSZ_E_NS1_11comp_targetILNS1_3genE8ELNS1_11target_archE1030ELNS1_3gpuE2ELNS1_3repE0EEENS1_30default_config_static_selectorELNS0_4arch9wavefront6targetE0EEEvT1_
    .private_segment_fixed_size: 0
    .sgpr_count:     0
    .sgpr_spill_count: 0
    .symbol:         _ZN7rocprim17ROCPRIM_400000_NS6detail17trampoline_kernelINS0_14default_configENS1_29reduce_by_key_config_selectorIjjN6thrust23THRUST_200600_302600_NS4plusIjEEEEZZNS1_33reduce_by_key_impl_wrapped_configILNS1_25lookback_scan_determinismE0ES3_S9_NS6_6detail15normal_iteratorINS6_10device_ptrIjEEEESG_NS6_16discard_iteratorINS6_11use_defaultEEESG_PmS8_NS6_8equal_toIjEEEE10hipError_tPvRmT2_T3_mT4_T5_T6_T7_T8_P12ihipStream_tbENKUlT_T0_E_clISt17integral_constantIbLb1EES13_IbLb0EEEEDaSZ_S10_EUlSZ_E_NS1_11comp_targetILNS1_3genE8ELNS1_11target_archE1030ELNS1_3gpuE2ELNS1_3repE0EEENS1_30default_config_static_selectorELNS0_4arch9wavefront6targetE0EEEvT1_.kd
    .uniform_work_group_size: 1
    .uses_dynamic_stack: false
    .vgpr_count:     0
    .vgpr_spill_count: 0
    .wavefront_size: 32
    .workgroup_processor_mode: 1
  - .args:
      - .offset:         0
        .size:           128
        .value_kind:     by_value
    .group_segment_fixed_size: 0
    .kernarg_segment_align: 8
    .kernarg_segment_size: 128
    .language:       OpenCL C
    .language_version:
      - 2
      - 0
    .max_flat_workgroup_size: 256
    .name:           _ZN7rocprim17ROCPRIM_400000_NS6detail17trampoline_kernelINS0_14default_configENS1_29reduce_by_key_config_selectorIjjN6thrust23THRUST_200600_302600_NS4plusIjEEEEZZNS1_33reduce_by_key_impl_wrapped_configILNS1_25lookback_scan_determinismE0ES3_S9_NS6_6detail15normal_iteratorINS6_10device_ptrIjEEEESG_NS6_16discard_iteratorINS6_11use_defaultEEESG_PmS8_NS6_8equal_toIjEEEE10hipError_tPvRmT2_T3_mT4_T5_T6_T7_T8_P12ihipStream_tbENKUlT_T0_E_clISt17integral_constantIbLb0EES13_IbLb1EEEEDaSZ_S10_EUlSZ_E_NS1_11comp_targetILNS1_3genE0ELNS1_11target_archE4294967295ELNS1_3gpuE0ELNS1_3repE0EEENS1_30default_config_static_selectorELNS0_4arch9wavefront6targetE0EEEvT1_
    .private_segment_fixed_size: 0
    .sgpr_count:     0
    .sgpr_spill_count: 0
    .symbol:         _ZN7rocprim17ROCPRIM_400000_NS6detail17trampoline_kernelINS0_14default_configENS1_29reduce_by_key_config_selectorIjjN6thrust23THRUST_200600_302600_NS4plusIjEEEEZZNS1_33reduce_by_key_impl_wrapped_configILNS1_25lookback_scan_determinismE0ES3_S9_NS6_6detail15normal_iteratorINS6_10device_ptrIjEEEESG_NS6_16discard_iteratorINS6_11use_defaultEEESG_PmS8_NS6_8equal_toIjEEEE10hipError_tPvRmT2_T3_mT4_T5_T6_T7_T8_P12ihipStream_tbENKUlT_T0_E_clISt17integral_constantIbLb0EES13_IbLb1EEEEDaSZ_S10_EUlSZ_E_NS1_11comp_targetILNS1_3genE0ELNS1_11target_archE4294967295ELNS1_3gpuE0ELNS1_3repE0EEENS1_30default_config_static_selectorELNS0_4arch9wavefront6targetE0EEEvT1_.kd
    .uniform_work_group_size: 1
    .uses_dynamic_stack: false
    .vgpr_count:     0
    .vgpr_spill_count: 0
    .wavefront_size: 32
    .workgroup_processor_mode: 1
  - .args:
      - .offset:         0
        .size:           128
        .value_kind:     by_value
    .group_segment_fixed_size: 0
    .kernarg_segment_align: 8
    .kernarg_segment_size: 128
    .language:       OpenCL C
    .language_version:
      - 2
      - 0
    .max_flat_workgroup_size: 256
    .name:           _ZN7rocprim17ROCPRIM_400000_NS6detail17trampoline_kernelINS0_14default_configENS1_29reduce_by_key_config_selectorIjjN6thrust23THRUST_200600_302600_NS4plusIjEEEEZZNS1_33reduce_by_key_impl_wrapped_configILNS1_25lookback_scan_determinismE0ES3_S9_NS6_6detail15normal_iteratorINS6_10device_ptrIjEEEESG_NS6_16discard_iteratorINS6_11use_defaultEEESG_PmS8_NS6_8equal_toIjEEEE10hipError_tPvRmT2_T3_mT4_T5_T6_T7_T8_P12ihipStream_tbENKUlT_T0_E_clISt17integral_constantIbLb0EES13_IbLb1EEEEDaSZ_S10_EUlSZ_E_NS1_11comp_targetILNS1_3genE5ELNS1_11target_archE942ELNS1_3gpuE9ELNS1_3repE0EEENS1_30default_config_static_selectorELNS0_4arch9wavefront6targetE0EEEvT1_
    .private_segment_fixed_size: 0
    .sgpr_count:     0
    .sgpr_spill_count: 0
    .symbol:         _ZN7rocprim17ROCPRIM_400000_NS6detail17trampoline_kernelINS0_14default_configENS1_29reduce_by_key_config_selectorIjjN6thrust23THRUST_200600_302600_NS4plusIjEEEEZZNS1_33reduce_by_key_impl_wrapped_configILNS1_25lookback_scan_determinismE0ES3_S9_NS6_6detail15normal_iteratorINS6_10device_ptrIjEEEESG_NS6_16discard_iteratorINS6_11use_defaultEEESG_PmS8_NS6_8equal_toIjEEEE10hipError_tPvRmT2_T3_mT4_T5_T6_T7_T8_P12ihipStream_tbENKUlT_T0_E_clISt17integral_constantIbLb0EES13_IbLb1EEEEDaSZ_S10_EUlSZ_E_NS1_11comp_targetILNS1_3genE5ELNS1_11target_archE942ELNS1_3gpuE9ELNS1_3repE0EEENS1_30default_config_static_selectorELNS0_4arch9wavefront6targetE0EEEvT1_.kd
    .uniform_work_group_size: 1
    .uses_dynamic_stack: false
    .vgpr_count:     0
    .vgpr_spill_count: 0
    .wavefront_size: 32
    .workgroup_processor_mode: 1
  - .args:
      - .offset:         0
        .size:           128
        .value_kind:     by_value
    .group_segment_fixed_size: 0
    .kernarg_segment_align: 8
    .kernarg_segment_size: 128
    .language:       OpenCL C
    .language_version:
      - 2
      - 0
    .max_flat_workgroup_size: 256
    .name:           _ZN7rocprim17ROCPRIM_400000_NS6detail17trampoline_kernelINS0_14default_configENS1_29reduce_by_key_config_selectorIjjN6thrust23THRUST_200600_302600_NS4plusIjEEEEZZNS1_33reduce_by_key_impl_wrapped_configILNS1_25lookback_scan_determinismE0ES3_S9_NS6_6detail15normal_iteratorINS6_10device_ptrIjEEEESG_NS6_16discard_iteratorINS6_11use_defaultEEESG_PmS8_NS6_8equal_toIjEEEE10hipError_tPvRmT2_T3_mT4_T5_T6_T7_T8_P12ihipStream_tbENKUlT_T0_E_clISt17integral_constantIbLb0EES13_IbLb1EEEEDaSZ_S10_EUlSZ_E_NS1_11comp_targetILNS1_3genE4ELNS1_11target_archE910ELNS1_3gpuE8ELNS1_3repE0EEENS1_30default_config_static_selectorELNS0_4arch9wavefront6targetE0EEEvT1_
    .private_segment_fixed_size: 0
    .sgpr_count:     0
    .sgpr_spill_count: 0
    .symbol:         _ZN7rocprim17ROCPRIM_400000_NS6detail17trampoline_kernelINS0_14default_configENS1_29reduce_by_key_config_selectorIjjN6thrust23THRUST_200600_302600_NS4plusIjEEEEZZNS1_33reduce_by_key_impl_wrapped_configILNS1_25lookback_scan_determinismE0ES3_S9_NS6_6detail15normal_iteratorINS6_10device_ptrIjEEEESG_NS6_16discard_iteratorINS6_11use_defaultEEESG_PmS8_NS6_8equal_toIjEEEE10hipError_tPvRmT2_T3_mT4_T5_T6_T7_T8_P12ihipStream_tbENKUlT_T0_E_clISt17integral_constantIbLb0EES13_IbLb1EEEEDaSZ_S10_EUlSZ_E_NS1_11comp_targetILNS1_3genE4ELNS1_11target_archE910ELNS1_3gpuE8ELNS1_3repE0EEENS1_30default_config_static_selectorELNS0_4arch9wavefront6targetE0EEEvT1_.kd
    .uniform_work_group_size: 1
    .uses_dynamic_stack: false
    .vgpr_count:     0
    .vgpr_spill_count: 0
    .wavefront_size: 32
    .workgroup_processor_mode: 1
  - .args:
      - .offset:         0
        .size:           128
        .value_kind:     by_value
    .group_segment_fixed_size: 0
    .kernarg_segment_align: 8
    .kernarg_segment_size: 128
    .language:       OpenCL C
    .language_version:
      - 2
      - 0
    .max_flat_workgroup_size: 256
    .name:           _ZN7rocprim17ROCPRIM_400000_NS6detail17trampoline_kernelINS0_14default_configENS1_29reduce_by_key_config_selectorIjjN6thrust23THRUST_200600_302600_NS4plusIjEEEEZZNS1_33reduce_by_key_impl_wrapped_configILNS1_25lookback_scan_determinismE0ES3_S9_NS6_6detail15normal_iteratorINS6_10device_ptrIjEEEESG_NS6_16discard_iteratorINS6_11use_defaultEEESG_PmS8_NS6_8equal_toIjEEEE10hipError_tPvRmT2_T3_mT4_T5_T6_T7_T8_P12ihipStream_tbENKUlT_T0_E_clISt17integral_constantIbLb0EES13_IbLb1EEEEDaSZ_S10_EUlSZ_E_NS1_11comp_targetILNS1_3genE3ELNS1_11target_archE908ELNS1_3gpuE7ELNS1_3repE0EEENS1_30default_config_static_selectorELNS0_4arch9wavefront6targetE0EEEvT1_
    .private_segment_fixed_size: 0
    .sgpr_count:     0
    .sgpr_spill_count: 0
    .symbol:         _ZN7rocprim17ROCPRIM_400000_NS6detail17trampoline_kernelINS0_14default_configENS1_29reduce_by_key_config_selectorIjjN6thrust23THRUST_200600_302600_NS4plusIjEEEEZZNS1_33reduce_by_key_impl_wrapped_configILNS1_25lookback_scan_determinismE0ES3_S9_NS6_6detail15normal_iteratorINS6_10device_ptrIjEEEESG_NS6_16discard_iteratorINS6_11use_defaultEEESG_PmS8_NS6_8equal_toIjEEEE10hipError_tPvRmT2_T3_mT4_T5_T6_T7_T8_P12ihipStream_tbENKUlT_T0_E_clISt17integral_constantIbLb0EES13_IbLb1EEEEDaSZ_S10_EUlSZ_E_NS1_11comp_targetILNS1_3genE3ELNS1_11target_archE908ELNS1_3gpuE7ELNS1_3repE0EEENS1_30default_config_static_selectorELNS0_4arch9wavefront6targetE0EEEvT1_.kd
    .uniform_work_group_size: 1
    .uses_dynamic_stack: false
    .vgpr_count:     0
    .vgpr_spill_count: 0
    .wavefront_size: 32
    .workgroup_processor_mode: 1
  - .args:
      - .offset:         0
        .size:           128
        .value_kind:     by_value
    .group_segment_fixed_size: 0
    .kernarg_segment_align: 8
    .kernarg_segment_size: 128
    .language:       OpenCL C
    .language_version:
      - 2
      - 0
    .max_flat_workgroup_size: 256
    .name:           _ZN7rocprim17ROCPRIM_400000_NS6detail17trampoline_kernelINS0_14default_configENS1_29reduce_by_key_config_selectorIjjN6thrust23THRUST_200600_302600_NS4plusIjEEEEZZNS1_33reduce_by_key_impl_wrapped_configILNS1_25lookback_scan_determinismE0ES3_S9_NS6_6detail15normal_iteratorINS6_10device_ptrIjEEEESG_NS6_16discard_iteratorINS6_11use_defaultEEESG_PmS8_NS6_8equal_toIjEEEE10hipError_tPvRmT2_T3_mT4_T5_T6_T7_T8_P12ihipStream_tbENKUlT_T0_E_clISt17integral_constantIbLb0EES13_IbLb1EEEEDaSZ_S10_EUlSZ_E_NS1_11comp_targetILNS1_3genE2ELNS1_11target_archE906ELNS1_3gpuE6ELNS1_3repE0EEENS1_30default_config_static_selectorELNS0_4arch9wavefront6targetE0EEEvT1_
    .private_segment_fixed_size: 0
    .sgpr_count:     0
    .sgpr_spill_count: 0
    .symbol:         _ZN7rocprim17ROCPRIM_400000_NS6detail17trampoline_kernelINS0_14default_configENS1_29reduce_by_key_config_selectorIjjN6thrust23THRUST_200600_302600_NS4plusIjEEEEZZNS1_33reduce_by_key_impl_wrapped_configILNS1_25lookback_scan_determinismE0ES3_S9_NS6_6detail15normal_iteratorINS6_10device_ptrIjEEEESG_NS6_16discard_iteratorINS6_11use_defaultEEESG_PmS8_NS6_8equal_toIjEEEE10hipError_tPvRmT2_T3_mT4_T5_T6_T7_T8_P12ihipStream_tbENKUlT_T0_E_clISt17integral_constantIbLb0EES13_IbLb1EEEEDaSZ_S10_EUlSZ_E_NS1_11comp_targetILNS1_3genE2ELNS1_11target_archE906ELNS1_3gpuE6ELNS1_3repE0EEENS1_30default_config_static_selectorELNS0_4arch9wavefront6targetE0EEEvT1_.kd
    .uniform_work_group_size: 1
    .uses_dynamic_stack: false
    .vgpr_count:     0
    .vgpr_spill_count: 0
    .wavefront_size: 32
    .workgroup_processor_mode: 1
  - .args:
      - .offset:         0
        .size:           128
        .value_kind:     by_value
    .group_segment_fixed_size: 0
    .kernarg_segment_align: 8
    .kernarg_segment_size: 128
    .language:       OpenCL C
    .language_version:
      - 2
      - 0
    .max_flat_workgroup_size: 256
    .name:           _ZN7rocprim17ROCPRIM_400000_NS6detail17trampoline_kernelINS0_14default_configENS1_29reduce_by_key_config_selectorIjjN6thrust23THRUST_200600_302600_NS4plusIjEEEEZZNS1_33reduce_by_key_impl_wrapped_configILNS1_25lookback_scan_determinismE0ES3_S9_NS6_6detail15normal_iteratorINS6_10device_ptrIjEEEESG_NS6_16discard_iteratorINS6_11use_defaultEEESG_PmS8_NS6_8equal_toIjEEEE10hipError_tPvRmT2_T3_mT4_T5_T6_T7_T8_P12ihipStream_tbENKUlT_T0_E_clISt17integral_constantIbLb0EES13_IbLb1EEEEDaSZ_S10_EUlSZ_E_NS1_11comp_targetILNS1_3genE10ELNS1_11target_archE1201ELNS1_3gpuE5ELNS1_3repE0EEENS1_30default_config_static_selectorELNS0_4arch9wavefront6targetE0EEEvT1_
    .private_segment_fixed_size: 0
    .sgpr_count:     0
    .sgpr_spill_count: 0
    .symbol:         _ZN7rocprim17ROCPRIM_400000_NS6detail17trampoline_kernelINS0_14default_configENS1_29reduce_by_key_config_selectorIjjN6thrust23THRUST_200600_302600_NS4plusIjEEEEZZNS1_33reduce_by_key_impl_wrapped_configILNS1_25lookback_scan_determinismE0ES3_S9_NS6_6detail15normal_iteratorINS6_10device_ptrIjEEEESG_NS6_16discard_iteratorINS6_11use_defaultEEESG_PmS8_NS6_8equal_toIjEEEE10hipError_tPvRmT2_T3_mT4_T5_T6_T7_T8_P12ihipStream_tbENKUlT_T0_E_clISt17integral_constantIbLb0EES13_IbLb1EEEEDaSZ_S10_EUlSZ_E_NS1_11comp_targetILNS1_3genE10ELNS1_11target_archE1201ELNS1_3gpuE5ELNS1_3repE0EEENS1_30default_config_static_selectorELNS0_4arch9wavefront6targetE0EEEvT1_.kd
    .uniform_work_group_size: 1
    .uses_dynamic_stack: false
    .vgpr_count:     0
    .vgpr_spill_count: 0
    .wavefront_size: 32
    .workgroup_processor_mode: 1
  - .args:
      - .offset:         0
        .size:           128
        .value_kind:     by_value
    .group_segment_fixed_size: 0
    .kernarg_segment_align: 8
    .kernarg_segment_size: 128
    .language:       OpenCL C
    .language_version:
      - 2
      - 0
    .max_flat_workgroup_size: 256
    .name:           _ZN7rocprim17ROCPRIM_400000_NS6detail17trampoline_kernelINS0_14default_configENS1_29reduce_by_key_config_selectorIjjN6thrust23THRUST_200600_302600_NS4plusIjEEEEZZNS1_33reduce_by_key_impl_wrapped_configILNS1_25lookback_scan_determinismE0ES3_S9_NS6_6detail15normal_iteratorINS6_10device_ptrIjEEEESG_NS6_16discard_iteratorINS6_11use_defaultEEESG_PmS8_NS6_8equal_toIjEEEE10hipError_tPvRmT2_T3_mT4_T5_T6_T7_T8_P12ihipStream_tbENKUlT_T0_E_clISt17integral_constantIbLb0EES13_IbLb1EEEEDaSZ_S10_EUlSZ_E_NS1_11comp_targetILNS1_3genE10ELNS1_11target_archE1200ELNS1_3gpuE4ELNS1_3repE0EEENS1_30default_config_static_selectorELNS0_4arch9wavefront6targetE0EEEvT1_
    .private_segment_fixed_size: 0
    .sgpr_count:     0
    .sgpr_spill_count: 0
    .symbol:         _ZN7rocprim17ROCPRIM_400000_NS6detail17trampoline_kernelINS0_14default_configENS1_29reduce_by_key_config_selectorIjjN6thrust23THRUST_200600_302600_NS4plusIjEEEEZZNS1_33reduce_by_key_impl_wrapped_configILNS1_25lookback_scan_determinismE0ES3_S9_NS6_6detail15normal_iteratorINS6_10device_ptrIjEEEESG_NS6_16discard_iteratorINS6_11use_defaultEEESG_PmS8_NS6_8equal_toIjEEEE10hipError_tPvRmT2_T3_mT4_T5_T6_T7_T8_P12ihipStream_tbENKUlT_T0_E_clISt17integral_constantIbLb0EES13_IbLb1EEEEDaSZ_S10_EUlSZ_E_NS1_11comp_targetILNS1_3genE10ELNS1_11target_archE1200ELNS1_3gpuE4ELNS1_3repE0EEENS1_30default_config_static_selectorELNS0_4arch9wavefront6targetE0EEEvT1_.kd
    .uniform_work_group_size: 1
    .uses_dynamic_stack: false
    .vgpr_count:     0
    .vgpr_spill_count: 0
    .wavefront_size: 32
    .workgroup_processor_mode: 1
  - .args:
      - .offset:         0
        .size:           128
        .value_kind:     by_value
    .group_segment_fixed_size: 15360
    .kernarg_segment_align: 8
    .kernarg_segment_size: 128
    .language:       OpenCL C
    .language_version:
      - 2
      - 0
    .max_flat_workgroup_size: 256
    .name:           _ZN7rocprim17ROCPRIM_400000_NS6detail17trampoline_kernelINS0_14default_configENS1_29reduce_by_key_config_selectorIjjN6thrust23THRUST_200600_302600_NS4plusIjEEEEZZNS1_33reduce_by_key_impl_wrapped_configILNS1_25lookback_scan_determinismE0ES3_S9_NS6_6detail15normal_iteratorINS6_10device_ptrIjEEEESG_NS6_16discard_iteratorINS6_11use_defaultEEESG_PmS8_NS6_8equal_toIjEEEE10hipError_tPvRmT2_T3_mT4_T5_T6_T7_T8_P12ihipStream_tbENKUlT_T0_E_clISt17integral_constantIbLb0EES13_IbLb1EEEEDaSZ_S10_EUlSZ_E_NS1_11comp_targetILNS1_3genE9ELNS1_11target_archE1100ELNS1_3gpuE3ELNS1_3repE0EEENS1_30default_config_static_selectorELNS0_4arch9wavefront6targetE0EEEvT1_
    .private_segment_fixed_size: 0
    .sgpr_count:     44
    .sgpr_spill_count: 0
    .symbol:         _ZN7rocprim17ROCPRIM_400000_NS6detail17trampoline_kernelINS0_14default_configENS1_29reduce_by_key_config_selectorIjjN6thrust23THRUST_200600_302600_NS4plusIjEEEEZZNS1_33reduce_by_key_impl_wrapped_configILNS1_25lookback_scan_determinismE0ES3_S9_NS6_6detail15normal_iteratorINS6_10device_ptrIjEEEESG_NS6_16discard_iteratorINS6_11use_defaultEEESG_PmS8_NS6_8equal_toIjEEEE10hipError_tPvRmT2_T3_mT4_T5_T6_T7_T8_P12ihipStream_tbENKUlT_T0_E_clISt17integral_constantIbLb0EES13_IbLb1EEEEDaSZ_S10_EUlSZ_E_NS1_11comp_targetILNS1_3genE9ELNS1_11target_archE1100ELNS1_3gpuE3ELNS1_3repE0EEENS1_30default_config_static_selectorELNS0_4arch9wavefront6targetE0EEEvT1_.kd
    .uniform_work_group_size: 1
    .uses_dynamic_stack: false
    .vgpr_count:     85
    .vgpr_spill_count: 0
    .wavefront_size: 32
    .workgroup_processor_mode: 1
  - .args:
      - .offset:         0
        .size:           128
        .value_kind:     by_value
    .group_segment_fixed_size: 0
    .kernarg_segment_align: 8
    .kernarg_segment_size: 128
    .language:       OpenCL C
    .language_version:
      - 2
      - 0
    .max_flat_workgroup_size: 256
    .name:           _ZN7rocprim17ROCPRIM_400000_NS6detail17trampoline_kernelINS0_14default_configENS1_29reduce_by_key_config_selectorIjjN6thrust23THRUST_200600_302600_NS4plusIjEEEEZZNS1_33reduce_by_key_impl_wrapped_configILNS1_25lookback_scan_determinismE0ES3_S9_NS6_6detail15normal_iteratorINS6_10device_ptrIjEEEESG_NS6_16discard_iteratorINS6_11use_defaultEEESG_PmS8_NS6_8equal_toIjEEEE10hipError_tPvRmT2_T3_mT4_T5_T6_T7_T8_P12ihipStream_tbENKUlT_T0_E_clISt17integral_constantIbLb0EES13_IbLb1EEEEDaSZ_S10_EUlSZ_E_NS1_11comp_targetILNS1_3genE8ELNS1_11target_archE1030ELNS1_3gpuE2ELNS1_3repE0EEENS1_30default_config_static_selectorELNS0_4arch9wavefront6targetE0EEEvT1_
    .private_segment_fixed_size: 0
    .sgpr_count:     0
    .sgpr_spill_count: 0
    .symbol:         _ZN7rocprim17ROCPRIM_400000_NS6detail17trampoline_kernelINS0_14default_configENS1_29reduce_by_key_config_selectorIjjN6thrust23THRUST_200600_302600_NS4plusIjEEEEZZNS1_33reduce_by_key_impl_wrapped_configILNS1_25lookback_scan_determinismE0ES3_S9_NS6_6detail15normal_iteratorINS6_10device_ptrIjEEEESG_NS6_16discard_iteratorINS6_11use_defaultEEESG_PmS8_NS6_8equal_toIjEEEE10hipError_tPvRmT2_T3_mT4_T5_T6_T7_T8_P12ihipStream_tbENKUlT_T0_E_clISt17integral_constantIbLb0EES13_IbLb1EEEEDaSZ_S10_EUlSZ_E_NS1_11comp_targetILNS1_3genE8ELNS1_11target_archE1030ELNS1_3gpuE2ELNS1_3repE0EEENS1_30default_config_static_selectorELNS0_4arch9wavefront6targetE0EEEvT1_.kd
    .uniform_work_group_size: 1
    .uses_dynamic_stack: false
    .vgpr_count:     0
    .vgpr_spill_count: 0
    .wavefront_size: 32
    .workgroup_processor_mode: 1
  - .args:
      - .offset:         0
        .size:           128
        .value_kind:     by_value
    .group_segment_fixed_size: 0
    .kernarg_segment_align: 8
    .kernarg_segment_size: 128
    .language:       OpenCL C
    .language_version:
      - 2
      - 0
    .max_flat_workgroup_size: 256
    .name:           _ZN7rocprim17ROCPRIM_400000_NS6detail17trampoline_kernelINS0_14default_configENS1_29reduce_by_key_config_selectorIjtN6thrust23THRUST_200600_302600_NS4plusItEEEEZZNS1_33reduce_by_key_impl_wrapped_configILNS1_25lookback_scan_determinismE0ES3_S9_NS6_6detail15normal_iteratorINS6_10device_ptrIjEEEENSD_INSE_ItEEEENS6_16discard_iteratorINS6_11use_defaultEEESI_PmS8_NS6_8equal_toIjEEEE10hipError_tPvRmT2_T3_mT4_T5_T6_T7_T8_P12ihipStream_tbENKUlT_T0_E_clISt17integral_constantIbLb0EES16_EEDaS11_S12_EUlS11_E_NS1_11comp_targetILNS1_3genE0ELNS1_11target_archE4294967295ELNS1_3gpuE0ELNS1_3repE0EEENS1_30default_config_static_selectorELNS0_4arch9wavefront6targetE0EEEvT1_
    .private_segment_fixed_size: 0
    .sgpr_count:     0
    .sgpr_spill_count: 0
    .symbol:         _ZN7rocprim17ROCPRIM_400000_NS6detail17trampoline_kernelINS0_14default_configENS1_29reduce_by_key_config_selectorIjtN6thrust23THRUST_200600_302600_NS4plusItEEEEZZNS1_33reduce_by_key_impl_wrapped_configILNS1_25lookback_scan_determinismE0ES3_S9_NS6_6detail15normal_iteratorINS6_10device_ptrIjEEEENSD_INSE_ItEEEENS6_16discard_iteratorINS6_11use_defaultEEESI_PmS8_NS6_8equal_toIjEEEE10hipError_tPvRmT2_T3_mT4_T5_T6_T7_T8_P12ihipStream_tbENKUlT_T0_E_clISt17integral_constantIbLb0EES16_EEDaS11_S12_EUlS11_E_NS1_11comp_targetILNS1_3genE0ELNS1_11target_archE4294967295ELNS1_3gpuE0ELNS1_3repE0EEENS1_30default_config_static_selectorELNS0_4arch9wavefront6targetE0EEEvT1_.kd
    .uniform_work_group_size: 1
    .uses_dynamic_stack: false
    .vgpr_count:     0
    .vgpr_spill_count: 0
    .wavefront_size: 32
    .workgroup_processor_mode: 1
  - .args:
      - .offset:         0
        .size:           128
        .value_kind:     by_value
    .group_segment_fixed_size: 0
    .kernarg_segment_align: 8
    .kernarg_segment_size: 128
    .language:       OpenCL C
    .language_version:
      - 2
      - 0
    .max_flat_workgroup_size: 256
    .name:           _ZN7rocprim17ROCPRIM_400000_NS6detail17trampoline_kernelINS0_14default_configENS1_29reduce_by_key_config_selectorIjtN6thrust23THRUST_200600_302600_NS4plusItEEEEZZNS1_33reduce_by_key_impl_wrapped_configILNS1_25lookback_scan_determinismE0ES3_S9_NS6_6detail15normal_iteratorINS6_10device_ptrIjEEEENSD_INSE_ItEEEENS6_16discard_iteratorINS6_11use_defaultEEESI_PmS8_NS6_8equal_toIjEEEE10hipError_tPvRmT2_T3_mT4_T5_T6_T7_T8_P12ihipStream_tbENKUlT_T0_E_clISt17integral_constantIbLb0EES16_EEDaS11_S12_EUlS11_E_NS1_11comp_targetILNS1_3genE5ELNS1_11target_archE942ELNS1_3gpuE9ELNS1_3repE0EEENS1_30default_config_static_selectorELNS0_4arch9wavefront6targetE0EEEvT1_
    .private_segment_fixed_size: 0
    .sgpr_count:     0
    .sgpr_spill_count: 0
    .symbol:         _ZN7rocprim17ROCPRIM_400000_NS6detail17trampoline_kernelINS0_14default_configENS1_29reduce_by_key_config_selectorIjtN6thrust23THRUST_200600_302600_NS4plusItEEEEZZNS1_33reduce_by_key_impl_wrapped_configILNS1_25lookback_scan_determinismE0ES3_S9_NS6_6detail15normal_iteratorINS6_10device_ptrIjEEEENSD_INSE_ItEEEENS6_16discard_iteratorINS6_11use_defaultEEESI_PmS8_NS6_8equal_toIjEEEE10hipError_tPvRmT2_T3_mT4_T5_T6_T7_T8_P12ihipStream_tbENKUlT_T0_E_clISt17integral_constantIbLb0EES16_EEDaS11_S12_EUlS11_E_NS1_11comp_targetILNS1_3genE5ELNS1_11target_archE942ELNS1_3gpuE9ELNS1_3repE0EEENS1_30default_config_static_selectorELNS0_4arch9wavefront6targetE0EEEvT1_.kd
    .uniform_work_group_size: 1
    .uses_dynamic_stack: false
    .vgpr_count:     0
    .vgpr_spill_count: 0
    .wavefront_size: 32
    .workgroup_processor_mode: 1
  - .args:
      - .offset:         0
        .size:           128
        .value_kind:     by_value
    .group_segment_fixed_size: 0
    .kernarg_segment_align: 8
    .kernarg_segment_size: 128
    .language:       OpenCL C
    .language_version:
      - 2
      - 0
    .max_flat_workgroup_size: 256
    .name:           _ZN7rocprim17ROCPRIM_400000_NS6detail17trampoline_kernelINS0_14default_configENS1_29reduce_by_key_config_selectorIjtN6thrust23THRUST_200600_302600_NS4plusItEEEEZZNS1_33reduce_by_key_impl_wrapped_configILNS1_25lookback_scan_determinismE0ES3_S9_NS6_6detail15normal_iteratorINS6_10device_ptrIjEEEENSD_INSE_ItEEEENS6_16discard_iteratorINS6_11use_defaultEEESI_PmS8_NS6_8equal_toIjEEEE10hipError_tPvRmT2_T3_mT4_T5_T6_T7_T8_P12ihipStream_tbENKUlT_T0_E_clISt17integral_constantIbLb0EES16_EEDaS11_S12_EUlS11_E_NS1_11comp_targetILNS1_3genE4ELNS1_11target_archE910ELNS1_3gpuE8ELNS1_3repE0EEENS1_30default_config_static_selectorELNS0_4arch9wavefront6targetE0EEEvT1_
    .private_segment_fixed_size: 0
    .sgpr_count:     0
    .sgpr_spill_count: 0
    .symbol:         _ZN7rocprim17ROCPRIM_400000_NS6detail17trampoline_kernelINS0_14default_configENS1_29reduce_by_key_config_selectorIjtN6thrust23THRUST_200600_302600_NS4plusItEEEEZZNS1_33reduce_by_key_impl_wrapped_configILNS1_25lookback_scan_determinismE0ES3_S9_NS6_6detail15normal_iteratorINS6_10device_ptrIjEEEENSD_INSE_ItEEEENS6_16discard_iteratorINS6_11use_defaultEEESI_PmS8_NS6_8equal_toIjEEEE10hipError_tPvRmT2_T3_mT4_T5_T6_T7_T8_P12ihipStream_tbENKUlT_T0_E_clISt17integral_constantIbLb0EES16_EEDaS11_S12_EUlS11_E_NS1_11comp_targetILNS1_3genE4ELNS1_11target_archE910ELNS1_3gpuE8ELNS1_3repE0EEENS1_30default_config_static_selectorELNS0_4arch9wavefront6targetE0EEEvT1_.kd
    .uniform_work_group_size: 1
    .uses_dynamic_stack: false
    .vgpr_count:     0
    .vgpr_spill_count: 0
    .wavefront_size: 32
    .workgroup_processor_mode: 1
  - .args:
      - .offset:         0
        .size:           128
        .value_kind:     by_value
    .group_segment_fixed_size: 0
    .kernarg_segment_align: 8
    .kernarg_segment_size: 128
    .language:       OpenCL C
    .language_version:
      - 2
      - 0
    .max_flat_workgroup_size: 256
    .name:           _ZN7rocprim17ROCPRIM_400000_NS6detail17trampoline_kernelINS0_14default_configENS1_29reduce_by_key_config_selectorIjtN6thrust23THRUST_200600_302600_NS4plusItEEEEZZNS1_33reduce_by_key_impl_wrapped_configILNS1_25lookback_scan_determinismE0ES3_S9_NS6_6detail15normal_iteratorINS6_10device_ptrIjEEEENSD_INSE_ItEEEENS6_16discard_iteratorINS6_11use_defaultEEESI_PmS8_NS6_8equal_toIjEEEE10hipError_tPvRmT2_T3_mT4_T5_T6_T7_T8_P12ihipStream_tbENKUlT_T0_E_clISt17integral_constantIbLb0EES16_EEDaS11_S12_EUlS11_E_NS1_11comp_targetILNS1_3genE3ELNS1_11target_archE908ELNS1_3gpuE7ELNS1_3repE0EEENS1_30default_config_static_selectorELNS0_4arch9wavefront6targetE0EEEvT1_
    .private_segment_fixed_size: 0
    .sgpr_count:     0
    .sgpr_spill_count: 0
    .symbol:         _ZN7rocprim17ROCPRIM_400000_NS6detail17trampoline_kernelINS0_14default_configENS1_29reduce_by_key_config_selectorIjtN6thrust23THRUST_200600_302600_NS4plusItEEEEZZNS1_33reduce_by_key_impl_wrapped_configILNS1_25lookback_scan_determinismE0ES3_S9_NS6_6detail15normal_iteratorINS6_10device_ptrIjEEEENSD_INSE_ItEEEENS6_16discard_iteratorINS6_11use_defaultEEESI_PmS8_NS6_8equal_toIjEEEE10hipError_tPvRmT2_T3_mT4_T5_T6_T7_T8_P12ihipStream_tbENKUlT_T0_E_clISt17integral_constantIbLb0EES16_EEDaS11_S12_EUlS11_E_NS1_11comp_targetILNS1_3genE3ELNS1_11target_archE908ELNS1_3gpuE7ELNS1_3repE0EEENS1_30default_config_static_selectorELNS0_4arch9wavefront6targetE0EEEvT1_.kd
    .uniform_work_group_size: 1
    .uses_dynamic_stack: false
    .vgpr_count:     0
    .vgpr_spill_count: 0
    .wavefront_size: 32
    .workgroup_processor_mode: 1
  - .args:
      - .offset:         0
        .size:           128
        .value_kind:     by_value
    .group_segment_fixed_size: 0
    .kernarg_segment_align: 8
    .kernarg_segment_size: 128
    .language:       OpenCL C
    .language_version:
      - 2
      - 0
    .max_flat_workgroup_size: 256
    .name:           _ZN7rocprim17ROCPRIM_400000_NS6detail17trampoline_kernelINS0_14default_configENS1_29reduce_by_key_config_selectorIjtN6thrust23THRUST_200600_302600_NS4plusItEEEEZZNS1_33reduce_by_key_impl_wrapped_configILNS1_25lookback_scan_determinismE0ES3_S9_NS6_6detail15normal_iteratorINS6_10device_ptrIjEEEENSD_INSE_ItEEEENS6_16discard_iteratorINS6_11use_defaultEEESI_PmS8_NS6_8equal_toIjEEEE10hipError_tPvRmT2_T3_mT4_T5_T6_T7_T8_P12ihipStream_tbENKUlT_T0_E_clISt17integral_constantIbLb0EES16_EEDaS11_S12_EUlS11_E_NS1_11comp_targetILNS1_3genE2ELNS1_11target_archE906ELNS1_3gpuE6ELNS1_3repE0EEENS1_30default_config_static_selectorELNS0_4arch9wavefront6targetE0EEEvT1_
    .private_segment_fixed_size: 0
    .sgpr_count:     0
    .sgpr_spill_count: 0
    .symbol:         _ZN7rocprim17ROCPRIM_400000_NS6detail17trampoline_kernelINS0_14default_configENS1_29reduce_by_key_config_selectorIjtN6thrust23THRUST_200600_302600_NS4plusItEEEEZZNS1_33reduce_by_key_impl_wrapped_configILNS1_25lookback_scan_determinismE0ES3_S9_NS6_6detail15normal_iteratorINS6_10device_ptrIjEEEENSD_INSE_ItEEEENS6_16discard_iteratorINS6_11use_defaultEEESI_PmS8_NS6_8equal_toIjEEEE10hipError_tPvRmT2_T3_mT4_T5_T6_T7_T8_P12ihipStream_tbENKUlT_T0_E_clISt17integral_constantIbLb0EES16_EEDaS11_S12_EUlS11_E_NS1_11comp_targetILNS1_3genE2ELNS1_11target_archE906ELNS1_3gpuE6ELNS1_3repE0EEENS1_30default_config_static_selectorELNS0_4arch9wavefront6targetE0EEEvT1_.kd
    .uniform_work_group_size: 1
    .uses_dynamic_stack: false
    .vgpr_count:     0
    .vgpr_spill_count: 0
    .wavefront_size: 32
    .workgroup_processor_mode: 1
  - .args:
      - .offset:         0
        .size:           128
        .value_kind:     by_value
    .group_segment_fixed_size: 0
    .kernarg_segment_align: 8
    .kernarg_segment_size: 128
    .language:       OpenCL C
    .language_version:
      - 2
      - 0
    .max_flat_workgroup_size: 256
    .name:           _ZN7rocprim17ROCPRIM_400000_NS6detail17trampoline_kernelINS0_14default_configENS1_29reduce_by_key_config_selectorIjtN6thrust23THRUST_200600_302600_NS4plusItEEEEZZNS1_33reduce_by_key_impl_wrapped_configILNS1_25lookback_scan_determinismE0ES3_S9_NS6_6detail15normal_iteratorINS6_10device_ptrIjEEEENSD_INSE_ItEEEENS6_16discard_iteratorINS6_11use_defaultEEESI_PmS8_NS6_8equal_toIjEEEE10hipError_tPvRmT2_T3_mT4_T5_T6_T7_T8_P12ihipStream_tbENKUlT_T0_E_clISt17integral_constantIbLb0EES16_EEDaS11_S12_EUlS11_E_NS1_11comp_targetILNS1_3genE10ELNS1_11target_archE1201ELNS1_3gpuE5ELNS1_3repE0EEENS1_30default_config_static_selectorELNS0_4arch9wavefront6targetE0EEEvT1_
    .private_segment_fixed_size: 0
    .sgpr_count:     0
    .sgpr_spill_count: 0
    .symbol:         _ZN7rocprim17ROCPRIM_400000_NS6detail17trampoline_kernelINS0_14default_configENS1_29reduce_by_key_config_selectorIjtN6thrust23THRUST_200600_302600_NS4plusItEEEEZZNS1_33reduce_by_key_impl_wrapped_configILNS1_25lookback_scan_determinismE0ES3_S9_NS6_6detail15normal_iteratorINS6_10device_ptrIjEEEENSD_INSE_ItEEEENS6_16discard_iteratorINS6_11use_defaultEEESI_PmS8_NS6_8equal_toIjEEEE10hipError_tPvRmT2_T3_mT4_T5_T6_T7_T8_P12ihipStream_tbENKUlT_T0_E_clISt17integral_constantIbLb0EES16_EEDaS11_S12_EUlS11_E_NS1_11comp_targetILNS1_3genE10ELNS1_11target_archE1201ELNS1_3gpuE5ELNS1_3repE0EEENS1_30default_config_static_selectorELNS0_4arch9wavefront6targetE0EEEvT1_.kd
    .uniform_work_group_size: 1
    .uses_dynamic_stack: false
    .vgpr_count:     0
    .vgpr_spill_count: 0
    .wavefront_size: 32
    .workgroup_processor_mode: 1
  - .args:
      - .offset:         0
        .size:           128
        .value_kind:     by_value
    .group_segment_fixed_size: 0
    .kernarg_segment_align: 8
    .kernarg_segment_size: 128
    .language:       OpenCL C
    .language_version:
      - 2
      - 0
    .max_flat_workgroup_size: 256
    .name:           _ZN7rocprim17ROCPRIM_400000_NS6detail17trampoline_kernelINS0_14default_configENS1_29reduce_by_key_config_selectorIjtN6thrust23THRUST_200600_302600_NS4plusItEEEEZZNS1_33reduce_by_key_impl_wrapped_configILNS1_25lookback_scan_determinismE0ES3_S9_NS6_6detail15normal_iteratorINS6_10device_ptrIjEEEENSD_INSE_ItEEEENS6_16discard_iteratorINS6_11use_defaultEEESI_PmS8_NS6_8equal_toIjEEEE10hipError_tPvRmT2_T3_mT4_T5_T6_T7_T8_P12ihipStream_tbENKUlT_T0_E_clISt17integral_constantIbLb0EES16_EEDaS11_S12_EUlS11_E_NS1_11comp_targetILNS1_3genE10ELNS1_11target_archE1200ELNS1_3gpuE4ELNS1_3repE0EEENS1_30default_config_static_selectorELNS0_4arch9wavefront6targetE0EEEvT1_
    .private_segment_fixed_size: 0
    .sgpr_count:     0
    .sgpr_spill_count: 0
    .symbol:         _ZN7rocprim17ROCPRIM_400000_NS6detail17trampoline_kernelINS0_14default_configENS1_29reduce_by_key_config_selectorIjtN6thrust23THRUST_200600_302600_NS4plusItEEEEZZNS1_33reduce_by_key_impl_wrapped_configILNS1_25lookback_scan_determinismE0ES3_S9_NS6_6detail15normal_iteratorINS6_10device_ptrIjEEEENSD_INSE_ItEEEENS6_16discard_iteratorINS6_11use_defaultEEESI_PmS8_NS6_8equal_toIjEEEE10hipError_tPvRmT2_T3_mT4_T5_T6_T7_T8_P12ihipStream_tbENKUlT_T0_E_clISt17integral_constantIbLb0EES16_EEDaS11_S12_EUlS11_E_NS1_11comp_targetILNS1_3genE10ELNS1_11target_archE1200ELNS1_3gpuE4ELNS1_3repE0EEENS1_30default_config_static_selectorELNS0_4arch9wavefront6targetE0EEEvT1_.kd
    .uniform_work_group_size: 1
    .uses_dynamic_stack: false
    .vgpr_count:     0
    .vgpr_spill_count: 0
    .wavefront_size: 32
    .workgroup_processor_mode: 1
  - .args:
      - .offset:         0
        .size:           128
        .value_kind:     by_value
    .group_segment_fixed_size: 15360
    .kernarg_segment_align: 8
    .kernarg_segment_size: 128
    .language:       OpenCL C
    .language_version:
      - 2
      - 0
    .max_flat_workgroup_size: 256
    .name:           _ZN7rocprim17ROCPRIM_400000_NS6detail17trampoline_kernelINS0_14default_configENS1_29reduce_by_key_config_selectorIjtN6thrust23THRUST_200600_302600_NS4plusItEEEEZZNS1_33reduce_by_key_impl_wrapped_configILNS1_25lookback_scan_determinismE0ES3_S9_NS6_6detail15normal_iteratorINS6_10device_ptrIjEEEENSD_INSE_ItEEEENS6_16discard_iteratorINS6_11use_defaultEEESI_PmS8_NS6_8equal_toIjEEEE10hipError_tPvRmT2_T3_mT4_T5_T6_T7_T8_P12ihipStream_tbENKUlT_T0_E_clISt17integral_constantIbLb0EES16_EEDaS11_S12_EUlS11_E_NS1_11comp_targetILNS1_3genE9ELNS1_11target_archE1100ELNS1_3gpuE3ELNS1_3repE0EEENS1_30default_config_static_selectorELNS0_4arch9wavefront6targetE0EEEvT1_
    .private_segment_fixed_size: 0
    .sgpr_count:     44
    .sgpr_spill_count: 0
    .symbol:         _ZN7rocprim17ROCPRIM_400000_NS6detail17trampoline_kernelINS0_14default_configENS1_29reduce_by_key_config_selectorIjtN6thrust23THRUST_200600_302600_NS4plusItEEEEZZNS1_33reduce_by_key_impl_wrapped_configILNS1_25lookback_scan_determinismE0ES3_S9_NS6_6detail15normal_iteratorINS6_10device_ptrIjEEEENSD_INSE_ItEEEENS6_16discard_iteratorINS6_11use_defaultEEESI_PmS8_NS6_8equal_toIjEEEE10hipError_tPvRmT2_T3_mT4_T5_T6_T7_T8_P12ihipStream_tbENKUlT_T0_E_clISt17integral_constantIbLb0EES16_EEDaS11_S12_EUlS11_E_NS1_11comp_targetILNS1_3genE9ELNS1_11target_archE1100ELNS1_3gpuE3ELNS1_3repE0EEENS1_30default_config_static_selectorELNS0_4arch9wavefront6targetE0EEEvT1_.kd
    .uniform_work_group_size: 1
    .uses_dynamic_stack: false
    .vgpr_count:     89
    .vgpr_spill_count: 0
    .wavefront_size: 32
    .workgroup_processor_mode: 1
  - .args:
      - .offset:         0
        .size:           128
        .value_kind:     by_value
    .group_segment_fixed_size: 0
    .kernarg_segment_align: 8
    .kernarg_segment_size: 128
    .language:       OpenCL C
    .language_version:
      - 2
      - 0
    .max_flat_workgroup_size: 256
    .name:           _ZN7rocprim17ROCPRIM_400000_NS6detail17trampoline_kernelINS0_14default_configENS1_29reduce_by_key_config_selectorIjtN6thrust23THRUST_200600_302600_NS4plusItEEEEZZNS1_33reduce_by_key_impl_wrapped_configILNS1_25lookback_scan_determinismE0ES3_S9_NS6_6detail15normal_iteratorINS6_10device_ptrIjEEEENSD_INSE_ItEEEENS6_16discard_iteratorINS6_11use_defaultEEESI_PmS8_NS6_8equal_toIjEEEE10hipError_tPvRmT2_T3_mT4_T5_T6_T7_T8_P12ihipStream_tbENKUlT_T0_E_clISt17integral_constantIbLb0EES16_EEDaS11_S12_EUlS11_E_NS1_11comp_targetILNS1_3genE8ELNS1_11target_archE1030ELNS1_3gpuE2ELNS1_3repE0EEENS1_30default_config_static_selectorELNS0_4arch9wavefront6targetE0EEEvT1_
    .private_segment_fixed_size: 0
    .sgpr_count:     0
    .sgpr_spill_count: 0
    .symbol:         _ZN7rocprim17ROCPRIM_400000_NS6detail17trampoline_kernelINS0_14default_configENS1_29reduce_by_key_config_selectorIjtN6thrust23THRUST_200600_302600_NS4plusItEEEEZZNS1_33reduce_by_key_impl_wrapped_configILNS1_25lookback_scan_determinismE0ES3_S9_NS6_6detail15normal_iteratorINS6_10device_ptrIjEEEENSD_INSE_ItEEEENS6_16discard_iteratorINS6_11use_defaultEEESI_PmS8_NS6_8equal_toIjEEEE10hipError_tPvRmT2_T3_mT4_T5_T6_T7_T8_P12ihipStream_tbENKUlT_T0_E_clISt17integral_constantIbLb0EES16_EEDaS11_S12_EUlS11_E_NS1_11comp_targetILNS1_3genE8ELNS1_11target_archE1030ELNS1_3gpuE2ELNS1_3repE0EEENS1_30default_config_static_selectorELNS0_4arch9wavefront6targetE0EEEvT1_.kd
    .uniform_work_group_size: 1
    .uses_dynamic_stack: false
    .vgpr_count:     0
    .vgpr_spill_count: 0
    .wavefront_size: 32
    .workgroup_processor_mode: 1
  - .args:
      - .offset:         0
        .size:           128
        .value_kind:     by_value
    .group_segment_fixed_size: 0
    .kernarg_segment_align: 8
    .kernarg_segment_size: 128
    .language:       OpenCL C
    .language_version:
      - 2
      - 0
    .max_flat_workgroup_size: 256
    .name:           _ZN7rocprim17ROCPRIM_400000_NS6detail17trampoline_kernelINS0_14default_configENS1_29reduce_by_key_config_selectorIjtN6thrust23THRUST_200600_302600_NS4plusItEEEEZZNS1_33reduce_by_key_impl_wrapped_configILNS1_25lookback_scan_determinismE0ES3_S9_NS6_6detail15normal_iteratorINS6_10device_ptrIjEEEENSD_INSE_ItEEEENS6_16discard_iteratorINS6_11use_defaultEEESI_PmS8_NS6_8equal_toIjEEEE10hipError_tPvRmT2_T3_mT4_T5_T6_T7_T8_P12ihipStream_tbENKUlT_T0_E_clISt17integral_constantIbLb1EES16_EEDaS11_S12_EUlS11_E_NS1_11comp_targetILNS1_3genE0ELNS1_11target_archE4294967295ELNS1_3gpuE0ELNS1_3repE0EEENS1_30default_config_static_selectorELNS0_4arch9wavefront6targetE0EEEvT1_
    .private_segment_fixed_size: 0
    .sgpr_count:     0
    .sgpr_spill_count: 0
    .symbol:         _ZN7rocprim17ROCPRIM_400000_NS6detail17trampoline_kernelINS0_14default_configENS1_29reduce_by_key_config_selectorIjtN6thrust23THRUST_200600_302600_NS4plusItEEEEZZNS1_33reduce_by_key_impl_wrapped_configILNS1_25lookback_scan_determinismE0ES3_S9_NS6_6detail15normal_iteratorINS6_10device_ptrIjEEEENSD_INSE_ItEEEENS6_16discard_iteratorINS6_11use_defaultEEESI_PmS8_NS6_8equal_toIjEEEE10hipError_tPvRmT2_T3_mT4_T5_T6_T7_T8_P12ihipStream_tbENKUlT_T0_E_clISt17integral_constantIbLb1EES16_EEDaS11_S12_EUlS11_E_NS1_11comp_targetILNS1_3genE0ELNS1_11target_archE4294967295ELNS1_3gpuE0ELNS1_3repE0EEENS1_30default_config_static_selectorELNS0_4arch9wavefront6targetE0EEEvT1_.kd
    .uniform_work_group_size: 1
    .uses_dynamic_stack: false
    .vgpr_count:     0
    .vgpr_spill_count: 0
    .wavefront_size: 32
    .workgroup_processor_mode: 1
  - .args:
      - .offset:         0
        .size:           128
        .value_kind:     by_value
    .group_segment_fixed_size: 0
    .kernarg_segment_align: 8
    .kernarg_segment_size: 128
    .language:       OpenCL C
    .language_version:
      - 2
      - 0
    .max_flat_workgroup_size: 256
    .name:           _ZN7rocprim17ROCPRIM_400000_NS6detail17trampoline_kernelINS0_14default_configENS1_29reduce_by_key_config_selectorIjtN6thrust23THRUST_200600_302600_NS4plusItEEEEZZNS1_33reduce_by_key_impl_wrapped_configILNS1_25lookback_scan_determinismE0ES3_S9_NS6_6detail15normal_iteratorINS6_10device_ptrIjEEEENSD_INSE_ItEEEENS6_16discard_iteratorINS6_11use_defaultEEESI_PmS8_NS6_8equal_toIjEEEE10hipError_tPvRmT2_T3_mT4_T5_T6_T7_T8_P12ihipStream_tbENKUlT_T0_E_clISt17integral_constantIbLb1EES16_EEDaS11_S12_EUlS11_E_NS1_11comp_targetILNS1_3genE5ELNS1_11target_archE942ELNS1_3gpuE9ELNS1_3repE0EEENS1_30default_config_static_selectorELNS0_4arch9wavefront6targetE0EEEvT1_
    .private_segment_fixed_size: 0
    .sgpr_count:     0
    .sgpr_spill_count: 0
    .symbol:         _ZN7rocprim17ROCPRIM_400000_NS6detail17trampoline_kernelINS0_14default_configENS1_29reduce_by_key_config_selectorIjtN6thrust23THRUST_200600_302600_NS4plusItEEEEZZNS1_33reduce_by_key_impl_wrapped_configILNS1_25lookback_scan_determinismE0ES3_S9_NS6_6detail15normal_iteratorINS6_10device_ptrIjEEEENSD_INSE_ItEEEENS6_16discard_iteratorINS6_11use_defaultEEESI_PmS8_NS6_8equal_toIjEEEE10hipError_tPvRmT2_T3_mT4_T5_T6_T7_T8_P12ihipStream_tbENKUlT_T0_E_clISt17integral_constantIbLb1EES16_EEDaS11_S12_EUlS11_E_NS1_11comp_targetILNS1_3genE5ELNS1_11target_archE942ELNS1_3gpuE9ELNS1_3repE0EEENS1_30default_config_static_selectorELNS0_4arch9wavefront6targetE0EEEvT1_.kd
    .uniform_work_group_size: 1
    .uses_dynamic_stack: false
    .vgpr_count:     0
    .vgpr_spill_count: 0
    .wavefront_size: 32
    .workgroup_processor_mode: 1
  - .args:
      - .offset:         0
        .size:           128
        .value_kind:     by_value
    .group_segment_fixed_size: 0
    .kernarg_segment_align: 8
    .kernarg_segment_size: 128
    .language:       OpenCL C
    .language_version:
      - 2
      - 0
    .max_flat_workgroup_size: 256
    .name:           _ZN7rocprim17ROCPRIM_400000_NS6detail17trampoline_kernelINS0_14default_configENS1_29reduce_by_key_config_selectorIjtN6thrust23THRUST_200600_302600_NS4plusItEEEEZZNS1_33reduce_by_key_impl_wrapped_configILNS1_25lookback_scan_determinismE0ES3_S9_NS6_6detail15normal_iteratorINS6_10device_ptrIjEEEENSD_INSE_ItEEEENS6_16discard_iteratorINS6_11use_defaultEEESI_PmS8_NS6_8equal_toIjEEEE10hipError_tPvRmT2_T3_mT4_T5_T6_T7_T8_P12ihipStream_tbENKUlT_T0_E_clISt17integral_constantIbLb1EES16_EEDaS11_S12_EUlS11_E_NS1_11comp_targetILNS1_3genE4ELNS1_11target_archE910ELNS1_3gpuE8ELNS1_3repE0EEENS1_30default_config_static_selectorELNS0_4arch9wavefront6targetE0EEEvT1_
    .private_segment_fixed_size: 0
    .sgpr_count:     0
    .sgpr_spill_count: 0
    .symbol:         _ZN7rocprim17ROCPRIM_400000_NS6detail17trampoline_kernelINS0_14default_configENS1_29reduce_by_key_config_selectorIjtN6thrust23THRUST_200600_302600_NS4plusItEEEEZZNS1_33reduce_by_key_impl_wrapped_configILNS1_25lookback_scan_determinismE0ES3_S9_NS6_6detail15normal_iteratorINS6_10device_ptrIjEEEENSD_INSE_ItEEEENS6_16discard_iteratorINS6_11use_defaultEEESI_PmS8_NS6_8equal_toIjEEEE10hipError_tPvRmT2_T3_mT4_T5_T6_T7_T8_P12ihipStream_tbENKUlT_T0_E_clISt17integral_constantIbLb1EES16_EEDaS11_S12_EUlS11_E_NS1_11comp_targetILNS1_3genE4ELNS1_11target_archE910ELNS1_3gpuE8ELNS1_3repE0EEENS1_30default_config_static_selectorELNS0_4arch9wavefront6targetE0EEEvT1_.kd
    .uniform_work_group_size: 1
    .uses_dynamic_stack: false
    .vgpr_count:     0
    .vgpr_spill_count: 0
    .wavefront_size: 32
    .workgroup_processor_mode: 1
  - .args:
      - .offset:         0
        .size:           128
        .value_kind:     by_value
    .group_segment_fixed_size: 0
    .kernarg_segment_align: 8
    .kernarg_segment_size: 128
    .language:       OpenCL C
    .language_version:
      - 2
      - 0
    .max_flat_workgroup_size: 256
    .name:           _ZN7rocprim17ROCPRIM_400000_NS6detail17trampoline_kernelINS0_14default_configENS1_29reduce_by_key_config_selectorIjtN6thrust23THRUST_200600_302600_NS4plusItEEEEZZNS1_33reduce_by_key_impl_wrapped_configILNS1_25lookback_scan_determinismE0ES3_S9_NS6_6detail15normal_iteratorINS6_10device_ptrIjEEEENSD_INSE_ItEEEENS6_16discard_iteratorINS6_11use_defaultEEESI_PmS8_NS6_8equal_toIjEEEE10hipError_tPvRmT2_T3_mT4_T5_T6_T7_T8_P12ihipStream_tbENKUlT_T0_E_clISt17integral_constantIbLb1EES16_EEDaS11_S12_EUlS11_E_NS1_11comp_targetILNS1_3genE3ELNS1_11target_archE908ELNS1_3gpuE7ELNS1_3repE0EEENS1_30default_config_static_selectorELNS0_4arch9wavefront6targetE0EEEvT1_
    .private_segment_fixed_size: 0
    .sgpr_count:     0
    .sgpr_spill_count: 0
    .symbol:         _ZN7rocprim17ROCPRIM_400000_NS6detail17trampoline_kernelINS0_14default_configENS1_29reduce_by_key_config_selectorIjtN6thrust23THRUST_200600_302600_NS4plusItEEEEZZNS1_33reduce_by_key_impl_wrapped_configILNS1_25lookback_scan_determinismE0ES3_S9_NS6_6detail15normal_iteratorINS6_10device_ptrIjEEEENSD_INSE_ItEEEENS6_16discard_iteratorINS6_11use_defaultEEESI_PmS8_NS6_8equal_toIjEEEE10hipError_tPvRmT2_T3_mT4_T5_T6_T7_T8_P12ihipStream_tbENKUlT_T0_E_clISt17integral_constantIbLb1EES16_EEDaS11_S12_EUlS11_E_NS1_11comp_targetILNS1_3genE3ELNS1_11target_archE908ELNS1_3gpuE7ELNS1_3repE0EEENS1_30default_config_static_selectorELNS0_4arch9wavefront6targetE0EEEvT1_.kd
    .uniform_work_group_size: 1
    .uses_dynamic_stack: false
    .vgpr_count:     0
    .vgpr_spill_count: 0
    .wavefront_size: 32
    .workgroup_processor_mode: 1
  - .args:
      - .offset:         0
        .size:           128
        .value_kind:     by_value
    .group_segment_fixed_size: 0
    .kernarg_segment_align: 8
    .kernarg_segment_size: 128
    .language:       OpenCL C
    .language_version:
      - 2
      - 0
    .max_flat_workgroup_size: 256
    .name:           _ZN7rocprim17ROCPRIM_400000_NS6detail17trampoline_kernelINS0_14default_configENS1_29reduce_by_key_config_selectorIjtN6thrust23THRUST_200600_302600_NS4plusItEEEEZZNS1_33reduce_by_key_impl_wrapped_configILNS1_25lookback_scan_determinismE0ES3_S9_NS6_6detail15normal_iteratorINS6_10device_ptrIjEEEENSD_INSE_ItEEEENS6_16discard_iteratorINS6_11use_defaultEEESI_PmS8_NS6_8equal_toIjEEEE10hipError_tPvRmT2_T3_mT4_T5_T6_T7_T8_P12ihipStream_tbENKUlT_T0_E_clISt17integral_constantIbLb1EES16_EEDaS11_S12_EUlS11_E_NS1_11comp_targetILNS1_3genE2ELNS1_11target_archE906ELNS1_3gpuE6ELNS1_3repE0EEENS1_30default_config_static_selectorELNS0_4arch9wavefront6targetE0EEEvT1_
    .private_segment_fixed_size: 0
    .sgpr_count:     0
    .sgpr_spill_count: 0
    .symbol:         _ZN7rocprim17ROCPRIM_400000_NS6detail17trampoline_kernelINS0_14default_configENS1_29reduce_by_key_config_selectorIjtN6thrust23THRUST_200600_302600_NS4plusItEEEEZZNS1_33reduce_by_key_impl_wrapped_configILNS1_25lookback_scan_determinismE0ES3_S9_NS6_6detail15normal_iteratorINS6_10device_ptrIjEEEENSD_INSE_ItEEEENS6_16discard_iteratorINS6_11use_defaultEEESI_PmS8_NS6_8equal_toIjEEEE10hipError_tPvRmT2_T3_mT4_T5_T6_T7_T8_P12ihipStream_tbENKUlT_T0_E_clISt17integral_constantIbLb1EES16_EEDaS11_S12_EUlS11_E_NS1_11comp_targetILNS1_3genE2ELNS1_11target_archE906ELNS1_3gpuE6ELNS1_3repE0EEENS1_30default_config_static_selectorELNS0_4arch9wavefront6targetE0EEEvT1_.kd
    .uniform_work_group_size: 1
    .uses_dynamic_stack: false
    .vgpr_count:     0
    .vgpr_spill_count: 0
    .wavefront_size: 32
    .workgroup_processor_mode: 1
  - .args:
      - .offset:         0
        .size:           128
        .value_kind:     by_value
    .group_segment_fixed_size: 0
    .kernarg_segment_align: 8
    .kernarg_segment_size: 128
    .language:       OpenCL C
    .language_version:
      - 2
      - 0
    .max_flat_workgroup_size: 256
    .name:           _ZN7rocprim17ROCPRIM_400000_NS6detail17trampoline_kernelINS0_14default_configENS1_29reduce_by_key_config_selectorIjtN6thrust23THRUST_200600_302600_NS4plusItEEEEZZNS1_33reduce_by_key_impl_wrapped_configILNS1_25lookback_scan_determinismE0ES3_S9_NS6_6detail15normal_iteratorINS6_10device_ptrIjEEEENSD_INSE_ItEEEENS6_16discard_iteratorINS6_11use_defaultEEESI_PmS8_NS6_8equal_toIjEEEE10hipError_tPvRmT2_T3_mT4_T5_T6_T7_T8_P12ihipStream_tbENKUlT_T0_E_clISt17integral_constantIbLb1EES16_EEDaS11_S12_EUlS11_E_NS1_11comp_targetILNS1_3genE10ELNS1_11target_archE1201ELNS1_3gpuE5ELNS1_3repE0EEENS1_30default_config_static_selectorELNS0_4arch9wavefront6targetE0EEEvT1_
    .private_segment_fixed_size: 0
    .sgpr_count:     0
    .sgpr_spill_count: 0
    .symbol:         _ZN7rocprim17ROCPRIM_400000_NS6detail17trampoline_kernelINS0_14default_configENS1_29reduce_by_key_config_selectorIjtN6thrust23THRUST_200600_302600_NS4plusItEEEEZZNS1_33reduce_by_key_impl_wrapped_configILNS1_25lookback_scan_determinismE0ES3_S9_NS6_6detail15normal_iteratorINS6_10device_ptrIjEEEENSD_INSE_ItEEEENS6_16discard_iteratorINS6_11use_defaultEEESI_PmS8_NS6_8equal_toIjEEEE10hipError_tPvRmT2_T3_mT4_T5_T6_T7_T8_P12ihipStream_tbENKUlT_T0_E_clISt17integral_constantIbLb1EES16_EEDaS11_S12_EUlS11_E_NS1_11comp_targetILNS1_3genE10ELNS1_11target_archE1201ELNS1_3gpuE5ELNS1_3repE0EEENS1_30default_config_static_selectorELNS0_4arch9wavefront6targetE0EEEvT1_.kd
    .uniform_work_group_size: 1
    .uses_dynamic_stack: false
    .vgpr_count:     0
    .vgpr_spill_count: 0
    .wavefront_size: 32
    .workgroup_processor_mode: 1
  - .args:
      - .offset:         0
        .size:           128
        .value_kind:     by_value
    .group_segment_fixed_size: 0
    .kernarg_segment_align: 8
    .kernarg_segment_size: 128
    .language:       OpenCL C
    .language_version:
      - 2
      - 0
    .max_flat_workgroup_size: 256
    .name:           _ZN7rocprim17ROCPRIM_400000_NS6detail17trampoline_kernelINS0_14default_configENS1_29reduce_by_key_config_selectorIjtN6thrust23THRUST_200600_302600_NS4plusItEEEEZZNS1_33reduce_by_key_impl_wrapped_configILNS1_25lookback_scan_determinismE0ES3_S9_NS6_6detail15normal_iteratorINS6_10device_ptrIjEEEENSD_INSE_ItEEEENS6_16discard_iteratorINS6_11use_defaultEEESI_PmS8_NS6_8equal_toIjEEEE10hipError_tPvRmT2_T3_mT4_T5_T6_T7_T8_P12ihipStream_tbENKUlT_T0_E_clISt17integral_constantIbLb1EES16_EEDaS11_S12_EUlS11_E_NS1_11comp_targetILNS1_3genE10ELNS1_11target_archE1200ELNS1_3gpuE4ELNS1_3repE0EEENS1_30default_config_static_selectorELNS0_4arch9wavefront6targetE0EEEvT1_
    .private_segment_fixed_size: 0
    .sgpr_count:     0
    .sgpr_spill_count: 0
    .symbol:         _ZN7rocprim17ROCPRIM_400000_NS6detail17trampoline_kernelINS0_14default_configENS1_29reduce_by_key_config_selectorIjtN6thrust23THRUST_200600_302600_NS4plusItEEEEZZNS1_33reduce_by_key_impl_wrapped_configILNS1_25lookback_scan_determinismE0ES3_S9_NS6_6detail15normal_iteratorINS6_10device_ptrIjEEEENSD_INSE_ItEEEENS6_16discard_iteratorINS6_11use_defaultEEESI_PmS8_NS6_8equal_toIjEEEE10hipError_tPvRmT2_T3_mT4_T5_T6_T7_T8_P12ihipStream_tbENKUlT_T0_E_clISt17integral_constantIbLb1EES16_EEDaS11_S12_EUlS11_E_NS1_11comp_targetILNS1_3genE10ELNS1_11target_archE1200ELNS1_3gpuE4ELNS1_3repE0EEENS1_30default_config_static_selectorELNS0_4arch9wavefront6targetE0EEEvT1_.kd
    .uniform_work_group_size: 1
    .uses_dynamic_stack: false
    .vgpr_count:     0
    .vgpr_spill_count: 0
    .wavefront_size: 32
    .workgroup_processor_mode: 1
  - .args:
      - .offset:         0
        .size:           128
        .value_kind:     by_value
    .group_segment_fixed_size: 15360
    .kernarg_segment_align: 8
    .kernarg_segment_size: 128
    .language:       OpenCL C
    .language_version:
      - 2
      - 0
    .max_flat_workgroup_size: 256
    .name:           _ZN7rocprim17ROCPRIM_400000_NS6detail17trampoline_kernelINS0_14default_configENS1_29reduce_by_key_config_selectorIjtN6thrust23THRUST_200600_302600_NS4plusItEEEEZZNS1_33reduce_by_key_impl_wrapped_configILNS1_25lookback_scan_determinismE0ES3_S9_NS6_6detail15normal_iteratorINS6_10device_ptrIjEEEENSD_INSE_ItEEEENS6_16discard_iteratorINS6_11use_defaultEEESI_PmS8_NS6_8equal_toIjEEEE10hipError_tPvRmT2_T3_mT4_T5_T6_T7_T8_P12ihipStream_tbENKUlT_T0_E_clISt17integral_constantIbLb1EES16_EEDaS11_S12_EUlS11_E_NS1_11comp_targetILNS1_3genE9ELNS1_11target_archE1100ELNS1_3gpuE3ELNS1_3repE0EEENS1_30default_config_static_selectorELNS0_4arch9wavefront6targetE0EEEvT1_
    .private_segment_fixed_size: 0
    .sgpr_count:     48
    .sgpr_spill_count: 0
    .symbol:         _ZN7rocprim17ROCPRIM_400000_NS6detail17trampoline_kernelINS0_14default_configENS1_29reduce_by_key_config_selectorIjtN6thrust23THRUST_200600_302600_NS4plusItEEEEZZNS1_33reduce_by_key_impl_wrapped_configILNS1_25lookback_scan_determinismE0ES3_S9_NS6_6detail15normal_iteratorINS6_10device_ptrIjEEEENSD_INSE_ItEEEENS6_16discard_iteratorINS6_11use_defaultEEESI_PmS8_NS6_8equal_toIjEEEE10hipError_tPvRmT2_T3_mT4_T5_T6_T7_T8_P12ihipStream_tbENKUlT_T0_E_clISt17integral_constantIbLb1EES16_EEDaS11_S12_EUlS11_E_NS1_11comp_targetILNS1_3genE9ELNS1_11target_archE1100ELNS1_3gpuE3ELNS1_3repE0EEENS1_30default_config_static_selectorELNS0_4arch9wavefront6targetE0EEEvT1_.kd
    .uniform_work_group_size: 1
    .uses_dynamic_stack: false
    .vgpr_count:     89
    .vgpr_spill_count: 0
    .wavefront_size: 32
    .workgroup_processor_mode: 1
  - .args:
      - .offset:         0
        .size:           128
        .value_kind:     by_value
    .group_segment_fixed_size: 0
    .kernarg_segment_align: 8
    .kernarg_segment_size: 128
    .language:       OpenCL C
    .language_version:
      - 2
      - 0
    .max_flat_workgroup_size: 256
    .name:           _ZN7rocprim17ROCPRIM_400000_NS6detail17trampoline_kernelINS0_14default_configENS1_29reduce_by_key_config_selectorIjtN6thrust23THRUST_200600_302600_NS4plusItEEEEZZNS1_33reduce_by_key_impl_wrapped_configILNS1_25lookback_scan_determinismE0ES3_S9_NS6_6detail15normal_iteratorINS6_10device_ptrIjEEEENSD_INSE_ItEEEENS6_16discard_iteratorINS6_11use_defaultEEESI_PmS8_NS6_8equal_toIjEEEE10hipError_tPvRmT2_T3_mT4_T5_T6_T7_T8_P12ihipStream_tbENKUlT_T0_E_clISt17integral_constantIbLb1EES16_EEDaS11_S12_EUlS11_E_NS1_11comp_targetILNS1_3genE8ELNS1_11target_archE1030ELNS1_3gpuE2ELNS1_3repE0EEENS1_30default_config_static_selectorELNS0_4arch9wavefront6targetE0EEEvT1_
    .private_segment_fixed_size: 0
    .sgpr_count:     0
    .sgpr_spill_count: 0
    .symbol:         _ZN7rocprim17ROCPRIM_400000_NS6detail17trampoline_kernelINS0_14default_configENS1_29reduce_by_key_config_selectorIjtN6thrust23THRUST_200600_302600_NS4plusItEEEEZZNS1_33reduce_by_key_impl_wrapped_configILNS1_25lookback_scan_determinismE0ES3_S9_NS6_6detail15normal_iteratorINS6_10device_ptrIjEEEENSD_INSE_ItEEEENS6_16discard_iteratorINS6_11use_defaultEEESI_PmS8_NS6_8equal_toIjEEEE10hipError_tPvRmT2_T3_mT4_T5_T6_T7_T8_P12ihipStream_tbENKUlT_T0_E_clISt17integral_constantIbLb1EES16_EEDaS11_S12_EUlS11_E_NS1_11comp_targetILNS1_3genE8ELNS1_11target_archE1030ELNS1_3gpuE2ELNS1_3repE0EEENS1_30default_config_static_selectorELNS0_4arch9wavefront6targetE0EEEvT1_.kd
    .uniform_work_group_size: 1
    .uses_dynamic_stack: false
    .vgpr_count:     0
    .vgpr_spill_count: 0
    .wavefront_size: 32
    .workgroup_processor_mode: 1
  - .args:
      - .offset:         0
        .size:           128
        .value_kind:     by_value
    .group_segment_fixed_size: 0
    .kernarg_segment_align: 8
    .kernarg_segment_size: 128
    .language:       OpenCL C
    .language_version:
      - 2
      - 0
    .max_flat_workgroup_size: 256
    .name:           _ZN7rocprim17ROCPRIM_400000_NS6detail17trampoline_kernelINS0_14default_configENS1_29reduce_by_key_config_selectorIjtN6thrust23THRUST_200600_302600_NS4plusItEEEEZZNS1_33reduce_by_key_impl_wrapped_configILNS1_25lookback_scan_determinismE0ES3_S9_NS6_6detail15normal_iteratorINS6_10device_ptrIjEEEENSD_INSE_ItEEEENS6_16discard_iteratorINS6_11use_defaultEEESI_PmS8_NS6_8equal_toIjEEEE10hipError_tPvRmT2_T3_mT4_T5_T6_T7_T8_P12ihipStream_tbENKUlT_T0_E_clISt17integral_constantIbLb1EES15_IbLb0EEEEDaS11_S12_EUlS11_E_NS1_11comp_targetILNS1_3genE0ELNS1_11target_archE4294967295ELNS1_3gpuE0ELNS1_3repE0EEENS1_30default_config_static_selectorELNS0_4arch9wavefront6targetE0EEEvT1_
    .private_segment_fixed_size: 0
    .sgpr_count:     0
    .sgpr_spill_count: 0
    .symbol:         _ZN7rocprim17ROCPRIM_400000_NS6detail17trampoline_kernelINS0_14default_configENS1_29reduce_by_key_config_selectorIjtN6thrust23THRUST_200600_302600_NS4plusItEEEEZZNS1_33reduce_by_key_impl_wrapped_configILNS1_25lookback_scan_determinismE0ES3_S9_NS6_6detail15normal_iteratorINS6_10device_ptrIjEEEENSD_INSE_ItEEEENS6_16discard_iteratorINS6_11use_defaultEEESI_PmS8_NS6_8equal_toIjEEEE10hipError_tPvRmT2_T3_mT4_T5_T6_T7_T8_P12ihipStream_tbENKUlT_T0_E_clISt17integral_constantIbLb1EES15_IbLb0EEEEDaS11_S12_EUlS11_E_NS1_11comp_targetILNS1_3genE0ELNS1_11target_archE4294967295ELNS1_3gpuE0ELNS1_3repE0EEENS1_30default_config_static_selectorELNS0_4arch9wavefront6targetE0EEEvT1_.kd
    .uniform_work_group_size: 1
    .uses_dynamic_stack: false
    .vgpr_count:     0
    .vgpr_spill_count: 0
    .wavefront_size: 32
    .workgroup_processor_mode: 1
  - .args:
      - .offset:         0
        .size:           128
        .value_kind:     by_value
    .group_segment_fixed_size: 0
    .kernarg_segment_align: 8
    .kernarg_segment_size: 128
    .language:       OpenCL C
    .language_version:
      - 2
      - 0
    .max_flat_workgroup_size: 256
    .name:           _ZN7rocprim17ROCPRIM_400000_NS6detail17trampoline_kernelINS0_14default_configENS1_29reduce_by_key_config_selectorIjtN6thrust23THRUST_200600_302600_NS4plusItEEEEZZNS1_33reduce_by_key_impl_wrapped_configILNS1_25lookback_scan_determinismE0ES3_S9_NS6_6detail15normal_iteratorINS6_10device_ptrIjEEEENSD_INSE_ItEEEENS6_16discard_iteratorINS6_11use_defaultEEESI_PmS8_NS6_8equal_toIjEEEE10hipError_tPvRmT2_T3_mT4_T5_T6_T7_T8_P12ihipStream_tbENKUlT_T0_E_clISt17integral_constantIbLb1EES15_IbLb0EEEEDaS11_S12_EUlS11_E_NS1_11comp_targetILNS1_3genE5ELNS1_11target_archE942ELNS1_3gpuE9ELNS1_3repE0EEENS1_30default_config_static_selectorELNS0_4arch9wavefront6targetE0EEEvT1_
    .private_segment_fixed_size: 0
    .sgpr_count:     0
    .sgpr_spill_count: 0
    .symbol:         _ZN7rocprim17ROCPRIM_400000_NS6detail17trampoline_kernelINS0_14default_configENS1_29reduce_by_key_config_selectorIjtN6thrust23THRUST_200600_302600_NS4plusItEEEEZZNS1_33reduce_by_key_impl_wrapped_configILNS1_25lookback_scan_determinismE0ES3_S9_NS6_6detail15normal_iteratorINS6_10device_ptrIjEEEENSD_INSE_ItEEEENS6_16discard_iteratorINS6_11use_defaultEEESI_PmS8_NS6_8equal_toIjEEEE10hipError_tPvRmT2_T3_mT4_T5_T6_T7_T8_P12ihipStream_tbENKUlT_T0_E_clISt17integral_constantIbLb1EES15_IbLb0EEEEDaS11_S12_EUlS11_E_NS1_11comp_targetILNS1_3genE5ELNS1_11target_archE942ELNS1_3gpuE9ELNS1_3repE0EEENS1_30default_config_static_selectorELNS0_4arch9wavefront6targetE0EEEvT1_.kd
    .uniform_work_group_size: 1
    .uses_dynamic_stack: false
    .vgpr_count:     0
    .vgpr_spill_count: 0
    .wavefront_size: 32
    .workgroup_processor_mode: 1
  - .args:
      - .offset:         0
        .size:           128
        .value_kind:     by_value
    .group_segment_fixed_size: 0
    .kernarg_segment_align: 8
    .kernarg_segment_size: 128
    .language:       OpenCL C
    .language_version:
      - 2
      - 0
    .max_flat_workgroup_size: 256
    .name:           _ZN7rocprim17ROCPRIM_400000_NS6detail17trampoline_kernelINS0_14default_configENS1_29reduce_by_key_config_selectorIjtN6thrust23THRUST_200600_302600_NS4plusItEEEEZZNS1_33reduce_by_key_impl_wrapped_configILNS1_25lookback_scan_determinismE0ES3_S9_NS6_6detail15normal_iteratorINS6_10device_ptrIjEEEENSD_INSE_ItEEEENS6_16discard_iteratorINS6_11use_defaultEEESI_PmS8_NS6_8equal_toIjEEEE10hipError_tPvRmT2_T3_mT4_T5_T6_T7_T8_P12ihipStream_tbENKUlT_T0_E_clISt17integral_constantIbLb1EES15_IbLb0EEEEDaS11_S12_EUlS11_E_NS1_11comp_targetILNS1_3genE4ELNS1_11target_archE910ELNS1_3gpuE8ELNS1_3repE0EEENS1_30default_config_static_selectorELNS0_4arch9wavefront6targetE0EEEvT1_
    .private_segment_fixed_size: 0
    .sgpr_count:     0
    .sgpr_spill_count: 0
    .symbol:         _ZN7rocprim17ROCPRIM_400000_NS6detail17trampoline_kernelINS0_14default_configENS1_29reduce_by_key_config_selectorIjtN6thrust23THRUST_200600_302600_NS4plusItEEEEZZNS1_33reduce_by_key_impl_wrapped_configILNS1_25lookback_scan_determinismE0ES3_S9_NS6_6detail15normal_iteratorINS6_10device_ptrIjEEEENSD_INSE_ItEEEENS6_16discard_iteratorINS6_11use_defaultEEESI_PmS8_NS6_8equal_toIjEEEE10hipError_tPvRmT2_T3_mT4_T5_T6_T7_T8_P12ihipStream_tbENKUlT_T0_E_clISt17integral_constantIbLb1EES15_IbLb0EEEEDaS11_S12_EUlS11_E_NS1_11comp_targetILNS1_3genE4ELNS1_11target_archE910ELNS1_3gpuE8ELNS1_3repE0EEENS1_30default_config_static_selectorELNS0_4arch9wavefront6targetE0EEEvT1_.kd
    .uniform_work_group_size: 1
    .uses_dynamic_stack: false
    .vgpr_count:     0
    .vgpr_spill_count: 0
    .wavefront_size: 32
    .workgroup_processor_mode: 1
  - .args:
      - .offset:         0
        .size:           128
        .value_kind:     by_value
    .group_segment_fixed_size: 0
    .kernarg_segment_align: 8
    .kernarg_segment_size: 128
    .language:       OpenCL C
    .language_version:
      - 2
      - 0
    .max_flat_workgroup_size: 256
    .name:           _ZN7rocprim17ROCPRIM_400000_NS6detail17trampoline_kernelINS0_14default_configENS1_29reduce_by_key_config_selectorIjtN6thrust23THRUST_200600_302600_NS4plusItEEEEZZNS1_33reduce_by_key_impl_wrapped_configILNS1_25lookback_scan_determinismE0ES3_S9_NS6_6detail15normal_iteratorINS6_10device_ptrIjEEEENSD_INSE_ItEEEENS6_16discard_iteratorINS6_11use_defaultEEESI_PmS8_NS6_8equal_toIjEEEE10hipError_tPvRmT2_T3_mT4_T5_T6_T7_T8_P12ihipStream_tbENKUlT_T0_E_clISt17integral_constantIbLb1EES15_IbLb0EEEEDaS11_S12_EUlS11_E_NS1_11comp_targetILNS1_3genE3ELNS1_11target_archE908ELNS1_3gpuE7ELNS1_3repE0EEENS1_30default_config_static_selectorELNS0_4arch9wavefront6targetE0EEEvT1_
    .private_segment_fixed_size: 0
    .sgpr_count:     0
    .sgpr_spill_count: 0
    .symbol:         _ZN7rocprim17ROCPRIM_400000_NS6detail17trampoline_kernelINS0_14default_configENS1_29reduce_by_key_config_selectorIjtN6thrust23THRUST_200600_302600_NS4plusItEEEEZZNS1_33reduce_by_key_impl_wrapped_configILNS1_25lookback_scan_determinismE0ES3_S9_NS6_6detail15normal_iteratorINS6_10device_ptrIjEEEENSD_INSE_ItEEEENS6_16discard_iteratorINS6_11use_defaultEEESI_PmS8_NS6_8equal_toIjEEEE10hipError_tPvRmT2_T3_mT4_T5_T6_T7_T8_P12ihipStream_tbENKUlT_T0_E_clISt17integral_constantIbLb1EES15_IbLb0EEEEDaS11_S12_EUlS11_E_NS1_11comp_targetILNS1_3genE3ELNS1_11target_archE908ELNS1_3gpuE7ELNS1_3repE0EEENS1_30default_config_static_selectorELNS0_4arch9wavefront6targetE0EEEvT1_.kd
    .uniform_work_group_size: 1
    .uses_dynamic_stack: false
    .vgpr_count:     0
    .vgpr_spill_count: 0
    .wavefront_size: 32
    .workgroup_processor_mode: 1
  - .args:
      - .offset:         0
        .size:           128
        .value_kind:     by_value
    .group_segment_fixed_size: 0
    .kernarg_segment_align: 8
    .kernarg_segment_size: 128
    .language:       OpenCL C
    .language_version:
      - 2
      - 0
    .max_flat_workgroup_size: 256
    .name:           _ZN7rocprim17ROCPRIM_400000_NS6detail17trampoline_kernelINS0_14default_configENS1_29reduce_by_key_config_selectorIjtN6thrust23THRUST_200600_302600_NS4plusItEEEEZZNS1_33reduce_by_key_impl_wrapped_configILNS1_25lookback_scan_determinismE0ES3_S9_NS6_6detail15normal_iteratorINS6_10device_ptrIjEEEENSD_INSE_ItEEEENS6_16discard_iteratorINS6_11use_defaultEEESI_PmS8_NS6_8equal_toIjEEEE10hipError_tPvRmT2_T3_mT4_T5_T6_T7_T8_P12ihipStream_tbENKUlT_T0_E_clISt17integral_constantIbLb1EES15_IbLb0EEEEDaS11_S12_EUlS11_E_NS1_11comp_targetILNS1_3genE2ELNS1_11target_archE906ELNS1_3gpuE6ELNS1_3repE0EEENS1_30default_config_static_selectorELNS0_4arch9wavefront6targetE0EEEvT1_
    .private_segment_fixed_size: 0
    .sgpr_count:     0
    .sgpr_spill_count: 0
    .symbol:         _ZN7rocprim17ROCPRIM_400000_NS6detail17trampoline_kernelINS0_14default_configENS1_29reduce_by_key_config_selectorIjtN6thrust23THRUST_200600_302600_NS4plusItEEEEZZNS1_33reduce_by_key_impl_wrapped_configILNS1_25lookback_scan_determinismE0ES3_S9_NS6_6detail15normal_iteratorINS6_10device_ptrIjEEEENSD_INSE_ItEEEENS6_16discard_iteratorINS6_11use_defaultEEESI_PmS8_NS6_8equal_toIjEEEE10hipError_tPvRmT2_T3_mT4_T5_T6_T7_T8_P12ihipStream_tbENKUlT_T0_E_clISt17integral_constantIbLb1EES15_IbLb0EEEEDaS11_S12_EUlS11_E_NS1_11comp_targetILNS1_3genE2ELNS1_11target_archE906ELNS1_3gpuE6ELNS1_3repE0EEENS1_30default_config_static_selectorELNS0_4arch9wavefront6targetE0EEEvT1_.kd
    .uniform_work_group_size: 1
    .uses_dynamic_stack: false
    .vgpr_count:     0
    .vgpr_spill_count: 0
    .wavefront_size: 32
    .workgroup_processor_mode: 1
  - .args:
      - .offset:         0
        .size:           128
        .value_kind:     by_value
    .group_segment_fixed_size: 0
    .kernarg_segment_align: 8
    .kernarg_segment_size: 128
    .language:       OpenCL C
    .language_version:
      - 2
      - 0
    .max_flat_workgroup_size: 256
    .name:           _ZN7rocprim17ROCPRIM_400000_NS6detail17trampoline_kernelINS0_14default_configENS1_29reduce_by_key_config_selectorIjtN6thrust23THRUST_200600_302600_NS4plusItEEEEZZNS1_33reduce_by_key_impl_wrapped_configILNS1_25lookback_scan_determinismE0ES3_S9_NS6_6detail15normal_iteratorINS6_10device_ptrIjEEEENSD_INSE_ItEEEENS6_16discard_iteratorINS6_11use_defaultEEESI_PmS8_NS6_8equal_toIjEEEE10hipError_tPvRmT2_T3_mT4_T5_T6_T7_T8_P12ihipStream_tbENKUlT_T0_E_clISt17integral_constantIbLb1EES15_IbLb0EEEEDaS11_S12_EUlS11_E_NS1_11comp_targetILNS1_3genE10ELNS1_11target_archE1201ELNS1_3gpuE5ELNS1_3repE0EEENS1_30default_config_static_selectorELNS0_4arch9wavefront6targetE0EEEvT1_
    .private_segment_fixed_size: 0
    .sgpr_count:     0
    .sgpr_spill_count: 0
    .symbol:         _ZN7rocprim17ROCPRIM_400000_NS6detail17trampoline_kernelINS0_14default_configENS1_29reduce_by_key_config_selectorIjtN6thrust23THRUST_200600_302600_NS4plusItEEEEZZNS1_33reduce_by_key_impl_wrapped_configILNS1_25lookback_scan_determinismE0ES3_S9_NS6_6detail15normal_iteratorINS6_10device_ptrIjEEEENSD_INSE_ItEEEENS6_16discard_iteratorINS6_11use_defaultEEESI_PmS8_NS6_8equal_toIjEEEE10hipError_tPvRmT2_T3_mT4_T5_T6_T7_T8_P12ihipStream_tbENKUlT_T0_E_clISt17integral_constantIbLb1EES15_IbLb0EEEEDaS11_S12_EUlS11_E_NS1_11comp_targetILNS1_3genE10ELNS1_11target_archE1201ELNS1_3gpuE5ELNS1_3repE0EEENS1_30default_config_static_selectorELNS0_4arch9wavefront6targetE0EEEvT1_.kd
    .uniform_work_group_size: 1
    .uses_dynamic_stack: false
    .vgpr_count:     0
    .vgpr_spill_count: 0
    .wavefront_size: 32
    .workgroup_processor_mode: 1
  - .args:
      - .offset:         0
        .size:           128
        .value_kind:     by_value
    .group_segment_fixed_size: 0
    .kernarg_segment_align: 8
    .kernarg_segment_size: 128
    .language:       OpenCL C
    .language_version:
      - 2
      - 0
    .max_flat_workgroup_size: 256
    .name:           _ZN7rocprim17ROCPRIM_400000_NS6detail17trampoline_kernelINS0_14default_configENS1_29reduce_by_key_config_selectorIjtN6thrust23THRUST_200600_302600_NS4plusItEEEEZZNS1_33reduce_by_key_impl_wrapped_configILNS1_25lookback_scan_determinismE0ES3_S9_NS6_6detail15normal_iteratorINS6_10device_ptrIjEEEENSD_INSE_ItEEEENS6_16discard_iteratorINS6_11use_defaultEEESI_PmS8_NS6_8equal_toIjEEEE10hipError_tPvRmT2_T3_mT4_T5_T6_T7_T8_P12ihipStream_tbENKUlT_T0_E_clISt17integral_constantIbLb1EES15_IbLb0EEEEDaS11_S12_EUlS11_E_NS1_11comp_targetILNS1_3genE10ELNS1_11target_archE1200ELNS1_3gpuE4ELNS1_3repE0EEENS1_30default_config_static_selectorELNS0_4arch9wavefront6targetE0EEEvT1_
    .private_segment_fixed_size: 0
    .sgpr_count:     0
    .sgpr_spill_count: 0
    .symbol:         _ZN7rocprim17ROCPRIM_400000_NS6detail17trampoline_kernelINS0_14default_configENS1_29reduce_by_key_config_selectorIjtN6thrust23THRUST_200600_302600_NS4plusItEEEEZZNS1_33reduce_by_key_impl_wrapped_configILNS1_25lookback_scan_determinismE0ES3_S9_NS6_6detail15normal_iteratorINS6_10device_ptrIjEEEENSD_INSE_ItEEEENS6_16discard_iteratorINS6_11use_defaultEEESI_PmS8_NS6_8equal_toIjEEEE10hipError_tPvRmT2_T3_mT4_T5_T6_T7_T8_P12ihipStream_tbENKUlT_T0_E_clISt17integral_constantIbLb1EES15_IbLb0EEEEDaS11_S12_EUlS11_E_NS1_11comp_targetILNS1_3genE10ELNS1_11target_archE1200ELNS1_3gpuE4ELNS1_3repE0EEENS1_30default_config_static_selectorELNS0_4arch9wavefront6targetE0EEEvT1_.kd
    .uniform_work_group_size: 1
    .uses_dynamic_stack: false
    .vgpr_count:     0
    .vgpr_spill_count: 0
    .wavefront_size: 32
    .workgroup_processor_mode: 1
  - .args:
      - .offset:         0
        .size:           128
        .value_kind:     by_value
    .group_segment_fixed_size: 15360
    .kernarg_segment_align: 8
    .kernarg_segment_size: 128
    .language:       OpenCL C
    .language_version:
      - 2
      - 0
    .max_flat_workgroup_size: 256
    .name:           _ZN7rocprim17ROCPRIM_400000_NS6detail17trampoline_kernelINS0_14default_configENS1_29reduce_by_key_config_selectorIjtN6thrust23THRUST_200600_302600_NS4plusItEEEEZZNS1_33reduce_by_key_impl_wrapped_configILNS1_25lookback_scan_determinismE0ES3_S9_NS6_6detail15normal_iteratorINS6_10device_ptrIjEEEENSD_INSE_ItEEEENS6_16discard_iteratorINS6_11use_defaultEEESI_PmS8_NS6_8equal_toIjEEEE10hipError_tPvRmT2_T3_mT4_T5_T6_T7_T8_P12ihipStream_tbENKUlT_T0_E_clISt17integral_constantIbLb1EES15_IbLb0EEEEDaS11_S12_EUlS11_E_NS1_11comp_targetILNS1_3genE9ELNS1_11target_archE1100ELNS1_3gpuE3ELNS1_3repE0EEENS1_30default_config_static_selectorELNS0_4arch9wavefront6targetE0EEEvT1_
    .private_segment_fixed_size: 0
    .sgpr_count:     46
    .sgpr_spill_count: 0
    .symbol:         _ZN7rocprim17ROCPRIM_400000_NS6detail17trampoline_kernelINS0_14default_configENS1_29reduce_by_key_config_selectorIjtN6thrust23THRUST_200600_302600_NS4plusItEEEEZZNS1_33reduce_by_key_impl_wrapped_configILNS1_25lookback_scan_determinismE0ES3_S9_NS6_6detail15normal_iteratorINS6_10device_ptrIjEEEENSD_INSE_ItEEEENS6_16discard_iteratorINS6_11use_defaultEEESI_PmS8_NS6_8equal_toIjEEEE10hipError_tPvRmT2_T3_mT4_T5_T6_T7_T8_P12ihipStream_tbENKUlT_T0_E_clISt17integral_constantIbLb1EES15_IbLb0EEEEDaS11_S12_EUlS11_E_NS1_11comp_targetILNS1_3genE9ELNS1_11target_archE1100ELNS1_3gpuE3ELNS1_3repE0EEENS1_30default_config_static_selectorELNS0_4arch9wavefront6targetE0EEEvT1_.kd
    .uniform_work_group_size: 1
    .uses_dynamic_stack: false
    .vgpr_count:     89
    .vgpr_spill_count: 0
    .wavefront_size: 32
    .workgroup_processor_mode: 1
  - .args:
      - .offset:         0
        .size:           128
        .value_kind:     by_value
    .group_segment_fixed_size: 0
    .kernarg_segment_align: 8
    .kernarg_segment_size: 128
    .language:       OpenCL C
    .language_version:
      - 2
      - 0
    .max_flat_workgroup_size: 256
    .name:           _ZN7rocprim17ROCPRIM_400000_NS6detail17trampoline_kernelINS0_14default_configENS1_29reduce_by_key_config_selectorIjtN6thrust23THRUST_200600_302600_NS4plusItEEEEZZNS1_33reduce_by_key_impl_wrapped_configILNS1_25lookback_scan_determinismE0ES3_S9_NS6_6detail15normal_iteratorINS6_10device_ptrIjEEEENSD_INSE_ItEEEENS6_16discard_iteratorINS6_11use_defaultEEESI_PmS8_NS6_8equal_toIjEEEE10hipError_tPvRmT2_T3_mT4_T5_T6_T7_T8_P12ihipStream_tbENKUlT_T0_E_clISt17integral_constantIbLb1EES15_IbLb0EEEEDaS11_S12_EUlS11_E_NS1_11comp_targetILNS1_3genE8ELNS1_11target_archE1030ELNS1_3gpuE2ELNS1_3repE0EEENS1_30default_config_static_selectorELNS0_4arch9wavefront6targetE0EEEvT1_
    .private_segment_fixed_size: 0
    .sgpr_count:     0
    .sgpr_spill_count: 0
    .symbol:         _ZN7rocprim17ROCPRIM_400000_NS6detail17trampoline_kernelINS0_14default_configENS1_29reduce_by_key_config_selectorIjtN6thrust23THRUST_200600_302600_NS4plusItEEEEZZNS1_33reduce_by_key_impl_wrapped_configILNS1_25lookback_scan_determinismE0ES3_S9_NS6_6detail15normal_iteratorINS6_10device_ptrIjEEEENSD_INSE_ItEEEENS6_16discard_iteratorINS6_11use_defaultEEESI_PmS8_NS6_8equal_toIjEEEE10hipError_tPvRmT2_T3_mT4_T5_T6_T7_T8_P12ihipStream_tbENKUlT_T0_E_clISt17integral_constantIbLb1EES15_IbLb0EEEEDaS11_S12_EUlS11_E_NS1_11comp_targetILNS1_3genE8ELNS1_11target_archE1030ELNS1_3gpuE2ELNS1_3repE0EEENS1_30default_config_static_selectorELNS0_4arch9wavefront6targetE0EEEvT1_.kd
    .uniform_work_group_size: 1
    .uses_dynamic_stack: false
    .vgpr_count:     0
    .vgpr_spill_count: 0
    .wavefront_size: 32
    .workgroup_processor_mode: 1
  - .args:
      - .offset:         0
        .size:           128
        .value_kind:     by_value
    .group_segment_fixed_size: 0
    .kernarg_segment_align: 8
    .kernarg_segment_size: 128
    .language:       OpenCL C
    .language_version:
      - 2
      - 0
    .max_flat_workgroup_size: 256
    .name:           _ZN7rocprim17ROCPRIM_400000_NS6detail17trampoline_kernelINS0_14default_configENS1_29reduce_by_key_config_selectorIjtN6thrust23THRUST_200600_302600_NS4plusItEEEEZZNS1_33reduce_by_key_impl_wrapped_configILNS1_25lookback_scan_determinismE0ES3_S9_NS6_6detail15normal_iteratorINS6_10device_ptrIjEEEENSD_INSE_ItEEEENS6_16discard_iteratorINS6_11use_defaultEEESI_PmS8_NS6_8equal_toIjEEEE10hipError_tPvRmT2_T3_mT4_T5_T6_T7_T8_P12ihipStream_tbENKUlT_T0_E_clISt17integral_constantIbLb0EES15_IbLb1EEEEDaS11_S12_EUlS11_E_NS1_11comp_targetILNS1_3genE0ELNS1_11target_archE4294967295ELNS1_3gpuE0ELNS1_3repE0EEENS1_30default_config_static_selectorELNS0_4arch9wavefront6targetE0EEEvT1_
    .private_segment_fixed_size: 0
    .sgpr_count:     0
    .sgpr_spill_count: 0
    .symbol:         _ZN7rocprim17ROCPRIM_400000_NS6detail17trampoline_kernelINS0_14default_configENS1_29reduce_by_key_config_selectorIjtN6thrust23THRUST_200600_302600_NS4plusItEEEEZZNS1_33reduce_by_key_impl_wrapped_configILNS1_25lookback_scan_determinismE0ES3_S9_NS6_6detail15normal_iteratorINS6_10device_ptrIjEEEENSD_INSE_ItEEEENS6_16discard_iteratorINS6_11use_defaultEEESI_PmS8_NS6_8equal_toIjEEEE10hipError_tPvRmT2_T3_mT4_T5_T6_T7_T8_P12ihipStream_tbENKUlT_T0_E_clISt17integral_constantIbLb0EES15_IbLb1EEEEDaS11_S12_EUlS11_E_NS1_11comp_targetILNS1_3genE0ELNS1_11target_archE4294967295ELNS1_3gpuE0ELNS1_3repE0EEENS1_30default_config_static_selectorELNS0_4arch9wavefront6targetE0EEEvT1_.kd
    .uniform_work_group_size: 1
    .uses_dynamic_stack: false
    .vgpr_count:     0
    .vgpr_spill_count: 0
    .wavefront_size: 32
    .workgroup_processor_mode: 1
  - .args:
      - .offset:         0
        .size:           128
        .value_kind:     by_value
    .group_segment_fixed_size: 0
    .kernarg_segment_align: 8
    .kernarg_segment_size: 128
    .language:       OpenCL C
    .language_version:
      - 2
      - 0
    .max_flat_workgroup_size: 256
    .name:           _ZN7rocprim17ROCPRIM_400000_NS6detail17trampoline_kernelINS0_14default_configENS1_29reduce_by_key_config_selectorIjtN6thrust23THRUST_200600_302600_NS4plusItEEEEZZNS1_33reduce_by_key_impl_wrapped_configILNS1_25lookback_scan_determinismE0ES3_S9_NS6_6detail15normal_iteratorINS6_10device_ptrIjEEEENSD_INSE_ItEEEENS6_16discard_iteratorINS6_11use_defaultEEESI_PmS8_NS6_8equal_toIjEEEE10hipError_tPvRmT2_T3_mT4_T5_T6_T7_T8_P12ihipStream_tbENKUlT_T0_E_clISt17integral_constantIbLb0EES15_IbLb1EEEEDaS11_S12_EUlS11_E_NS1_11comp_targetILNS1_3genE5ELNS1_11target_archE942ELNS1_3gpuE9ELNS1_3repE0EEENS1_30default_config_static_selectorELNS0_4arch9wavefront6targetE0EEEvT1_
    .private_segment_fixed_size: 0
    .sgpr_count:     0
    .sgpr_spill_count: 0
    .symbol:         _ZN7rocprim17ROCPRIM_400000_NS6detail17trampoline_kernelINS0_14default_configENS1_29reduce_by_key_config_selectorIjtN6thrust23THRUST_200600_302600_NS4plusItEEEEZZNS1_33reduce_by_key_impl_wrapped_configILNS1_25lookback_scan_determinismE0ES3_S9_NS6_6detail15normal_iteratorINS6_10device_ptrIjEEEENSD_INSE_ItEEEENS6_16discard_iteratorINS6_11use_defaultEEESI_PmS8_NS6_8equal_toIjEEEE10hipError_tPvRmT2_T3_mT4_T5_T6_T7_T8_P12ihipStream_tbENKUlT_T0_E_clISt17integral_constantIbLb0EES15_IbLb1EEEEDaS11_S12_EUlS11_E_NS1_11comp_targetILNS1_3genE5ELNS1_11target_archE942ELNS1_3gpuE9ELNS1_3repE0EEENS1_30default_config_static_selectorELNS0_4arch9wavefront6targetE0EEEvT1_.kd
    .uniform_work_group_size: 1
    .uses_dynamic_stack: false
    .vgpr_count:     0
    .vgpr_spill_count: 0
    .wavefront_size: 32
    .workgroup_processor_mode: 1
  - .args:
      - .offset:         0
        .size:           128
        .value_kind:     by_value
    .group_segment_fixed_size: 0
    .kernarg_segment_align: 8
    .kernarg_segment_size: 128
    .language:       OpenCL C
    .language_version:
      - 2
      - 0
    .max_flat_workgroup_size: 256
    .name:           _ZN7rocprim17ROCPRIM_400000_NS6detail17trampoline_kernelINS0_14default_configENS1_29reduce_by_key_config_selectorIjtN6thrust23THRUST_200600_302600_NS4plusItEEEEZZNS1_33reduce_by_key_impl_wrapped_configILNS1_25lookback_scan_determinismE0ES3_S9_NS6_6detail15normal_iteratorINS6_10device_ptrIjEEEENSD_INSE_ItEEEENS6_16discard_iteratorINS6_11use_defaultEEESI_PmS8_NS6_8equal_toIjEEEE10hipError_tPvRmT2_T3_mT4_T5_T6_T7_T8_P12ihipStream_tbENKUlT_T0_E_clISt17integral_constantIbLb0EES15_IbLb1EEEEDaS11_S12_EUlS11_E_NS1_11comp_targetILNS1_3genE4ELNS1_11target_archE910ELNS1_3gpuE8ELNS1_3repE0EEENS1_30default_config_static_selectorELNS0_4arch9wavefront6targetE0EEEvT1_
    .private_segment_fixed_size: 0
    .sgpr_count:     0
    .sgpr_spill_count: 0
    .symbol:         _ZN7rocprim17ROCPRIM_400000_NS6detail17trampoline_kernelINS0_14default_configENS1_29reduce_by_key_config_selectorIjtN6thrust23THRUST_200600_302600_NS4plusItEEEEZZNS1_33reduce_by_key_impl_wrapped_configILNS1_25lookback_scan_determinismE0ES3_S9_NS6_6detail15normal_iteratorINS6_10device_ptrIjEEEENSD_INSE_ItEEEENS6_16discard_iteratorINS6_11use_defaultEEESI_PmS8_NS6_8equal_toIjEEEE10hipError_tPvRmT2_T3_mT4_T5_T6_T7_T8_P12ihipStream_tbENKUlT_T0_E_clISt17integral_constantIbLb0EES15_IbLb1EEEEDaS11_S12_EUlS11_E_NS1_11comp_targetILNS1_3genE4ELNS1_11target_archE910ELNS1_3gpuE8ELNS1_3repE0EEENS1_30default_config_static_selectorELNS0_4arch9wavefront6targetE0EEEvT1_.kd
    .uniform_work_group_size: 1
    .uses_dynamic_stack: false
    .vgpr_count:     0
    .vgpr_spill_count: 0
    .wavefront_size: 32
    .workgroup_processor_mode: 1
  - .args:
      - .offset:         0
        .size:           128
        .value_kind:     by_value
    .group_segment_fixed_size: 0
    .kernarg_segment_align: 8
    .kernarg_segment_size: 128
    .language:       OpenCL C
    .language_version:
      - 2
      - 0
    .max_flat_workgroup_size: 256
    .name:           _ZN7rocprim17ROCPRIM_400000_NS6detail17trampoline_kernelINS0_14default_configENS1_29reduce_by_key_config_selectorIjtN6thrust23THRUST_200600_302600_NS4plusItEEEEZZNS1_33reduce_by_key_impl_wrapped_configILNS1_25lookback_scan_determinismE0ES3_S9_NS6_6detail15normal_iteratorINS6_10device_ptrIjEEEENSD_INSE_ItEEEENS6_16discard_iteratorINS6_11use_defaultEEESI_PmS8_NS6_8equal_toIjEEEE10hipError_tPvRmT2_T3_mT4_T5_T6_T7_T8_P12ihipStream_tbENKUlT_T0_E_clISt17integral_constantIbLb0EES15_IbLb1EEEEDaS11_S12_EUlS11_E_NS1_11comp_targetILNS1_3genE3ELNS1_11target_archE908ELNS1_3gpuE7ELNS1_3repE0EEENS1_30default_config_static_selectorELNS0_4arch9wavefront6targetE0EEEvT1_
    .private_segment_fixed_size: 0
    .sgpr_count:     0
    .sgpr_spill_count: 0
    .symbol:         _ZN7rocprim17ROCPRIM_400000_NS6detail17trampoline_kernelINS0_14default_configENS1_29reduce_by_key_config_selectorIjtN6thrust23THRUST_200600_302600_NS4plusItEEEEZZNS1_33reduce_by_key_impl_wrapped_configILNS1_25lookback_scan_determinismE0ES3_S9_NS6_6detail15normal_iteratorINS6_10device_ptrIjEEEENSD_INSE_ItEEEENS6_16discard_iteratorINS6_11use_defaultEEESI_PmS8_NS6_8equal_toIjEEEE10hipError_tPvRmT2_T3_mT4_T5_T6_T7_T8_P12ihipStream_tbENKUlT_T0_E_clISt17integral_constantIbLb0EES15_IbLb1EEEEDaS11_S12_EUlS11_E_NS1_11comp_targetILNS1_3genE3ELNS1_11target_archE908ELNS1_3gpuE7ELNS1_3repE0EEENS1_30default_config_static_selectorELNS0_4arch9wavefront6targetE0EEEvT1_.kd
    .uniform_work_group_size: 1
    .uses_dynamic_stack: false
    .vgpr_count:     0
    .vgpr_spill_count: 0
    .wavefront_size: 32
    .workgroup_processor_mode: 1
  - .args:
      - .offset:         0
        .size:           128
        .value_kind:     by_value
    .group_segment_fixed_size: 0
    .kernarg_segment_align: 8
    .kernarg_segment_size: 128
    .language:       OpenCL C
    .language_version:
      - 2
      - 0
    .max_flat_workgroup_size: 256
    .name:           _ZN7rocprim17ROCPRIM_400000_NS6detail17trampoline_kernelINS0_14default_configENS1_29reduce_by_key_config_selectorIjtN6thrust23THRUST_200600_302600_NS4plusItEEEEZZNS1_33reduce_by_key_impl_wrapped_configILNS1_25lookback_scan_determinismE0ES3_S9_NS6_6detail15normal_iteratorINS6_10device_ptrIjEEEENSD_INSE_ItEEEENS6_16discard_iteratorINS6_11use_defaultEEESI_PmS8_NS6_8equal_toIjEEEE10hipError_tPvRmT2_T3_mT4_T5_T6_T7_T8_P12ihipStream_tbENKUlT_T0_E_clISt17integral_constantIbLb0EES15_IbLb1EEEEDaS11_S12_EUlS11_E_NS1_11comp_targetILNS1_3genE2ELNS1_11target_archE906ELNS1_3gpuE6ELNS1_3repE0EEENS1_30default_config_static_selectorELNS0_4arch9wavefront6targetE0EEEvT1_
    .private_segment_fixed_size: 0
    .sgpr_count:     0
    .sgpr_spill_count: 0
    .symbol:         _ZN7rocprim17ROCPRIM_400000_NS6detail17trampoline_kernelINS0_14default_configENS1_29reduce_by_key_config_selectorIjtN6thrust23THRUST_200600_302600_NS4plusItEEEEZZNS1_33reduce_by_key_impl_wrapped_configILNS1_25lookback_scan_determinismE0ES3_S9_NS6_6detail15normal_iteratorINS6_10device_ptrIjEEEENSD_INSE_ItEEEENS6_16discard_iteratorINS6_11use_defaultEEESI_PmS8_NS6_8equal_toIjEEEE10hipError_tPvRmT2_T3_mT4_T5_T6_T7_T8_P12ihipStream_tbENKUlT_T0_E_clISt17integral_constantIbLb0EES15_IbLb1EEEEDaS11_S12_EUlS11_E_NS1_11comp_targetILNS1_3genE2ELNS1_11target_archE906ELNS1_3gpuE6ELNS1_3repE0EEENS1_30default_config_static_selectorELNS0_4arch9wavefront6targetE0EEEvT1_.kd
    .uniform_work_group_size: 1
    .uses_dynamic_stack: false
    .vgpr_count:     0
    .vgpr_spill_count: 0
    .wavefront_size: 32
    .workgroup_processor_mode: 1
  - .args:
      - .offset:         0
        .size:           128
        .value_kind:     by_value
    .group_segment_fixed_size: 0
    .kernarg_segment_align: 8
    .kernarg_segment_size: 128
    .language:       OpenCL C
    .language_version:
      - 2
      - 0
    .max_flat_workgroup_size: 256
    .name:           _ZN7rocprim17ROCPRIM_400000_NS6detail17trampoline_kernelINS0_14default_configENS1_29reduce_by_key_config_selectorIjtN6thrust23THRUST_200600_302600_NS4plusItEEEEZZNS1_33reduce_by_key_impl_wrapped_configILNS1_25lookback_scan_determinismE0ES3_S9_NS6_6detail15normal_iteratorINS6_10device_ptrIjEEEENSD_INSE_ItEEEENS6_16discard_iteratorINS6_11use_defaultEEESI_PmS8_NS6_8equal_toIjEEEE10hipError_tPvRmT2_T3_mT4_T5_T6_T7_T8_P12ihipStream_tbENKUlT_T0_E_clISt17integral_constantIbLb0EES15_IbLb1EEEEDaS11_S12_EUlS11_E_NS1_11comp_targetILNS1_3genE10ELNS1_11target_archE1201ELNS1_3gpuE5ELNS1_3repE0EEENS1_30default_config_static_selectorELNS0_4arch9wavefront6targetE0EEEvT1_
    .private_segment_fixed_size: 0
    .sgpr_count:     0
    .sgpr_spill_count: 0
    .symbol:         _ZN7rocprim17ROCPRIM_400000_NS6detail17trampoline_kernelINS0_14default_configENS1_29reduce_by_key_config_selectorIjtN6thrust23THRUST_200600_302600_NS4plusItEEEEZZNS1_33reduce_by_key_impl_wrapped_configILNS1_25lookback_scan_determinismE0ES3_S9_NS6_6detail15normal_iteratorINS6_10device_ptrIjEEEENSD_INSE_ItEEEENS6_16discard_iteratorINS6_11use_defaultEEESI_PmS8_NS6_8equal_toIjEEEE10hipError_tPvRmT2_T3_mT4_T5_T6_T7_T8_P12ihipStream_tbENKUlT_T0_E_clISt17integral_constantIbLb0EES15_IbLb1EEEEDaS11_S12_EUlS11_E_NS1_11comp_targetILNS1_3genE10ELNS1_11target_archE1201ELNS1_3gpuE5ELNS1_3repE0EEENS1_30default_config_static_selectorELNS0_4arch9wavefront6targetE0EEEvT1_.kd
    .uniform_work_group_size: 1
    .uses_dynamic_stack: false
    .vgpr_count:     0
    .vgpr_spill_count: 0
    .wavefront_size: 32
    .workgroup_processor_mode: 1
  - .args:
      - .offset:         0
        .size:           128
        .value_kind:     by_value
    .group_segment_fixed_size: 0
    .kernarg_segment_align: 8
    .kernarg_segment_size: 128
    .language:       OpenCL C
    .language_version:
      - 2
      - 0
    .max_flat_workgroup_size: 256
    .name:           _ZN7rocprim17ROCPRIM_400000_NS6detail17trampoline_kernelINS0_14default_configENS1_29reduce_by_key_config_selectorIjtN6thrust23THRUST_200600_302600_NS4plusItEEEEZZNS1_33reduce_by_key_impl_wrapped_configILNS1_25lookback_scan_determinismE0ES3_S9_NS6_6detail15normal_iteratorINS6_10device_ptrIjEEEENSD_INSE_ItEEEENS6_16discard_iteratorINS6_11use_defaultEEESI_PmS8_NS6_8equal_toIjEEEE10hipError_tPvRmT2_T3_mT4_T5_T6_T7_T8_P12ihipStream_tbENKUlT_T0_E_clISt17integral_constantIbLb0EES15_IbLb1EEEEDaS11_S12_EUlS11_E_NS1_11comp_targetILNS1_3genE10ELNS1_11target_archE1200ELNS1_3gpuE4ELNS1_3repE0EEENS1_30default_config_static_selectorELNS0_4arch9wavefront6targetE0EEEvT1_
    .private_segment_fixed_size: 0
    .sgpr_count:     0
    .sgpr_spill_count: 0
    .symbol:         _ZN7rocprim17ROCPRIM_400000_NS6detail17trampoline_kernelINS0_14default_configENS1_29reduce_by_key_config_selectorIjtN6thrust23THRUST_200600_302600_NS4plusItEEEEZZNS1_33reduce_by_key_impl_wrapped_configILNS1_25lookback_scan_determinismE0ES3_S9_NS6_6detail15normal_iteratorINS6_10device_ptrIjEEEENSD_INSE_ItEEEENS6_16discard_iteratorINS6_11use_defaultEEESI_PmS8_NS6_8equal_toIjEEEE10hipError_tPvRmT2_T3_mT4_T5_T6_T7_T8_P12ihipStream_tbENKUlT_T0_E_clISt17integral_constantIbLb0EES15_IbLb1EEEEDaS11_S12_EUlS11_E_NS1_11comp_targetILNS1_3genE10ELNS1_11target_archE1200ELNS1_3gpuE4ELNS1_3repE0EEENS1_30default_config_static_selectorELNS0_4arch9wavefront6targetE0EEEvT1_.kd
    .uniform_work_group_size: 1
    .uses_dynamic_stack: false
    .vgpr_count:     0
    .vgpr_spill_count: 0
    .wavefront_size: 32
    .workgroup_processor_mode: 1
  - .args:
      - .offset:         0
        .size:           128
        .value_kind:     by_value
    .group_segment_fixed_size: 15360
    .kernarg_segment_align: 8
    .kernarg_segment_size: 128
    .language:       OpenCL C
    .language_version:
      - 2
      - 0
    .max_flat_workgroup_size: 256
    .name:           _ZN7rocprim17ROCPRIM_400000_NS6detail17trampoline_kernelINS0_14default_configENS1_29reduce_by_key_config_selectorIjtN6thrust23THRUST_200600_302600_NS4plusItEEEEZZNS1_33reduce_by_key_impl_wrapped_configILNS1_25lookback_scan_determinismE0ES3_S9_NS6_6detail15normal_iteratorINS6_10device_ptrIjEEEENSD_INSE_ItEEEENS6_16discard_iteratorINS6_11use_defaultEEESI_PmS8_NS6_8equal_toIjEEEE10hipError_tPvRmT2_T3_mT4_T5_T6_T7_T8_P12ihipStream_tbENKUlT_T0_E_clISt17integral_constantIbLb0EES15_IbLb1EEEEDaS11_S12_EUlS11_E_NS1_11comp_targetILNS1_3genE9ELNS1_11target_archE1100ELNS1_3gpuE3ELNS1_3repE0EEENS1_30default_config_static_selectorELNS0_4arch9wavefront6targetE0EEEvT1_
    .private_segment_fixed_size: 0
    .sgpr_count:     44
    .sgpr_spill_count: 0
    .symbol:         _ZN7rocprim17ROCPRIM_400000_NS6detail17trampoline_kernelINS0_14default_configENS1_29reduce_by_key_config_selectorIjtN6thrust23THRUST_200600_302600_NS4plusItEEEEZZNS1_33reduce_by_key_impl_wrapped_configILNS1_25lookback_scan_determinismE0ES3_S9_NS6_6detail15normal_iteratorINS6_10device_ptrIjEEEENSD_INSE_ItEEEENS6_16discard_iteratorINS6_11use_defaultEEESI_PmS8_NS6_8equal_toIjEEEE10hipError_tPvRmT2_T3_mT4_T5_T6_T7_T8_P12ihipStream_tbENKUlT_T0_E_clISt17integral_constantIbLb0EES15_IbLb1EEEEDaS11_S12_EUlS11_E_NS1_11comp_targetILNS1_3genE9ELNS1_11target_archE1100ELNS1_3gpuE3ELNS1_3repE0EEENS1_30default_config_static_selectorELNS0_4arch9wavefront6targetE0EEEvT1_.kd
    .uniform_work_group_size: 1
    .uses_dynamic_stack: false
    .vgpr_count:     89
    .vgpr_spill_count: 0
    .wavefront_size: 32
    .workgroup_processor_mode: 1
  - .args:
      - .offset:         0
        .size:           128
        .value_kind:     by_value
    .group_segment_fixed_size: 0
    .kernarg_segment_align: 8
    .kernarg_segment_size: 128
    .language:       OpenCL C
    .language_version:
      - 2
      - 0
    .max_flat_workgroup_size: 256
    .name:           _ZN7rocprim17ROCPRIM_400000_NS6detail17trampoline_kernelINS0_14default_configENS1_29reduce_by_key_config_selectorIjtN6thrust23THRUST_200600_302600_NS4plusItEEEEZZNS1_33reduce_by_key_impl_wrapped_configILNS1_25lookback_scan_determinismE0ES3_S9_NS6_6detail15normal_iteratorINS6_10device_ptrIjEEEENSD_INSE_ItEEEENS6_16discard_iteratorINS6_11use_defaultEEESI_PmS8_NS6_8equal_toIjEEEE10hipError_tPvRmT2_T3_mT4_T5_T6_T7_T8_P12ihipStream_tbENKUlT_T0_E_clISt17integral_constantIbLb0EES15_IbLb1EEEEDaS11_S12_EUlS11_E_NS1_11comp_targetILNS1_3genE8ELNS1_11target_archE1030ELNS1_3gpuE2ELNS1_3repE0EEENS1_30default_config_static_selectorELNS0_4arch9wavefront6targetE0EEEvT1_
    .private_segment_fixed_size: 0
    .sgpr_count:     0
    .sgpr_spill_count: 0
    .symbol:         _ZN7rocprim17ROCPRIM_400000_NS6detail17trampoline_kernelINS0_14default_configENS1_29reduce_by_key_config_selectorIjtN6thrust23THRUST_200600_302600_NS4plusItEEEEZZNS1_33reduce_by_key_impl_wrapped_configILNS1_25lookback_scan_determinismE0ES3_S9_NS6_6detail15normal_iteratorINS6_10device_ptrIjEEEENSD_INSE_ItEEEENS6_16discard_iteratorINS6_11use_defaultEEESI_PmS8_NS6_8equal_toIjEEEE10hipError_tPvRmT2_T3_mT4_T5_T6_T7_T8_P12ihipStream_tbENKUlT_T0_E_clISt17integral_constantIbLb0EES15_IbLb1EEEEDaS11_S12_EUlS11_E_NS1_11comp_targetILNS1_3genE8ELNS1_11target_archE1030ELNS1_3gpuE2ELNS1_3repE0EEENS1_30default_config_static_selectorELNS0_4arch9wavefront6targetE0EEEvT1_.kd
    .uniform_work_group_size: 1
    .uses_dynamic_stack: false
    .vgpr_count:     0
    .vgpr_spill_count: 0
    .wavefront_size: 32
    .workgroup_processor_mode: 1
  - .args:
      - .offset:         0
        .size:           144
        .value_kind:     by_value
    .group_segment_fixed_size: 0
    .kernarg_segment_align: 8
    .kernarg_segment_size: 144
    .language:       OpenCL C
    .language_version:
      - 2
      - 0
    .max_flat_workgroup_size: 256
    .name:           _ZN7rocprim17ROCPRIM_400000_NS6detail17trampoline_kernelINS0_14default_configENS1_29reduce_by_key_config_selectorIjxN6thrust23THRUST_200600_302600_NS4plusIxEEEEZZNS1_33reduce_by_key_impl_wrapped_configILNS1_25lookback_scan_determinismE0ES3_S9_NS6_6detail15normal_iteratorINS6_10device_ptrIjEEEENSD_INSE_IxEEEENS6_16discard_iteratorINS6_11use_defaultEEESI_PmS8_NS6_8equal_toIjEEEE10hipError_tPvRmT2_T3_mT4_T5_T6_T7_T8_P12ihipStream_tbENKUlT_T0_E_clISt17integral_constantIbLb0EES16_EEDaS11_S12_EUlS11_E_NS1_11comp_targetILNS1_3genE0ELNS1_11target_archE4294967295ELNS1_3gpuE0ELNS1_3repE0EEENS1_30default_config_static_selectorELNS0_4arch9wavefront6targetE0EEEvT1_
    .private_segment_fixed_size: 0
    .sgpr_count:     0
    .sgpr_spill_count: 0
    .symbol:         _ZN7rocprim17ROCPRIM_400000_NS6detail17trampoline_kernelINS0_14default_configENS1_29reduce_by_key_config_selectorIjxN6thrust23THRUST_200600_302600_NS4plusIxEEEEZZNS1_33reduce_by_key_impl_wrapped_configILNS1_25lookback_scan_determinismE0ES3_S9_NS6_6detail15normal_iteratorINS6_10device_ptrIjEEEENSD_INSE_IxEEEENS6_16discard_iteratorINS6_11use_defaultEEESI_PmS8_NS6_8equal_toIjEEEE10hipError_tPvRmT2_T3_mT4_T5_T6_T7_T8_P12ihipStream_tbENKUlT_T0_E_clISt17integral_constantIbLb0EES16_EEDaS11_S12_EUlS11_E_NS1_11comp_targetILNS1_3genE0ELNS1_11target_archE4294967295ELNS1_3gpuE0ELNS1_3repE0EEENS1_30default_config_static_selectorELNS0_4arch9wavefront6targetE0EEEvT1_.kd
    .uniform_work_group_size: 1
    .uses_dynamic_stack: false
    .vgpr_count:     0
    .vgpr_spill_count: 0
    .wavefront_size: 32
    .workgroup_processor_mode: 1
  - .args:
      - .offset:         0
        .size:           144
        .value_kind:     by_value
    .group_segment_fixed_size: 0
    .kernarg_segment_align: 8
    .kernarg_segment_size: 144
    .language:       OpenCL C
    .language_version:
      - 2
      - 0
    .max_flat_workgroup_size: 256
    .name:           _ZN7rocprim17ROCPRIM_400000_NS6detail17trampoline_kernelINS0_14default_configENS1_29reduce_by_key_config_selectorIjxN6thrust23THRUST_200600_302600_NS4plusIxEEEEZZNS1_33reduce_by_key_impl_wrapped_configILNS1_25lookback_scan_determinismE0ES3_S9_NS6_6detail15normal_iteratorINS6_10device_ptrIjEEEENSD_INSE_IxEEEENS6_16discard_iteratorINS6_11use_defaultEEESI_PmS8_NS6_8equal_toIjEEEE10hipError_tPvRmT2_T3_mT4_T5_T6_T7_T8_P12ihipStream_tbENKUlT_T0_E_clISt17integral_constantIbLb0EES16_EEDaS11_S12_EUlS11_E_NS1_11comp_targetILNS1_3genE5ELNS1_11target_archE942ELNS1_3gpuE9ELNS1_3repE0EEENS1_30default_config_static_selectorELNS0_4arch9wavefront6targetE0EEEvT1_
    .private_segment_fixed_size: 0
    .sgpr_count:     0
    .sgpr_spill_count: 0
    .symbol:         _ZN7rocprim17ROCPRIM_400000_NS6detail17trampoline_kernelINS0_14default_configENS1_29reduce_by_key_config_selectorIjxN6thrust23THRUST_200600_302600_NS4plusIxEEEEZZNS1_33reduce_by_key_impl_wrapped_configILNS1_25lookback_scan_determinismE0ES3_S9_NS6_6detail15normal_iteratorINS6_10device_ptrIjEEEENSD_INSE_IxEEEENS6_16discard_iteratorINS6_11use_defaultEEESI_PmS8_NS6_8equal_toIjEEEE10hipError_tPvRmT2_T3_mT4_T5_T6_T7_T8_P12ihipStream_tbENKUlT_T0_E_clISt17integral_constantIbLb0EES16_EEDaS11_S12_EUlS11_E_NS1_11comp_targetILNS1_3genE5ELNS1_11target_archE942ELNS1_3gpuE9ELNS1_3repE0EEENS1_30default_config_static_selectorELNS0_4arch9wavefront6targetE0EEEvT1_.kd
    .uniform_work_group_size: 1
    .uses_dynamic_stack: false
    .vgpr_count:     0
    .vgpr_spill_count: 0
    .wavefront_size: 32
    .workgroup_processor_mode: 1
  - .args:
      - .offset:         0
        .size:           144
        .value_kind:     by_value
    .group_segment_fixed_size: 0
    .kernarg_segment_align: 8
    .kernarg_segment_size: 144
    .language:       OpenCL C
    .language_version:
      - 2
      - 0
    .max_flat_workgroup_size: 256
    .name:           _ZN7rocprim17ROCPRIM_400000_NS6detail17trampoline_kernelINS0_14default_configENS1_29reduce_by_key_config_selectorIjxN6thrust23THRUST_200600_302600_NS4plusIxEEEEZZNS1_33reduce_by_key_impl_wrapped_configILNS1_25lookback_scan_determinismE0ES3_S9_NS6_6detail15normal_iteratorINS6_10device_ptrIjEEEENSD_INSE_IxEEEENS6_16discard_iteratorINS6_11use_defaultEEESI_PmS8_NS6_8equal_toIjEEEE10hipError_tPvRmT2_T3_mT4_T5_T6_T7_T8_P12ihipStream_tbENKUlT_T0_E_clISt17integral_constantIbLb0EES16_EEDaS11_S12_EUlS11_E_NS1_11comp_targetILNS1_3genE4ELNS1_11target_archE910ELNS1_3gpuE8ELNS1_3repE0EEENS1_30default_config_static_selectorELNS0_4arch9wavefront6targetE0EEEvT1_
    .private_segment_fixed_size: 0
    .sgpr_count:     0
    .sgpr_spill_count: 0
    .symbol:         _ZN7rocprim17ROCPRIM_400000_NS6detail17trampoline_kernelINS0_14default_configENS1_29reduce_by_key_config_selectorIjxN6thrust23THRUST_200600_302600_NS4plusIxEEEEZZNS1_33reduce_by_key_impl_wrapped_configILNS1_25lookback_scan_determinismE0ES3_S9_NS6_6detail15normal_iteratorINS6_10device_ptrIjEEEENSD_INSE_IxEEEENS6_16discard_iteratorINS6_11use_defaultEEESI_PmS8_NS6_8equal_toIjEEEE10hipError_tPvRmT2_T3_mT4_T5_T6_T7_T8_P12ihipStream_tbENKUlT_T0_E_clISt17integral_constantIbLb0EES16_EEDaS11_S12_EUlS11_E_NS1_11comp_targetILNS1_3genE4ELNS1_11target_archE910ELNS1_3gpuE8ELNS1_3repE0EEENS1_30default_config_static_selectorELNS0_4arch9wavefront6targetE0EEEvT1_.kd
    .uniform_work_group_size: 1
    .uses_dynamic_stack: false
    .vgpr_count:     0
    .vgpr_spill_count: 0
    .wavefront_size: 32
    .workgroup_processor_mode: 1
  - .args:
      - .offset:         0
        .size:           144
        .value_kind:     by_value
    .group_segment_fixed_size: 0
    .kernarg_segment_align: 8
    .kernarg_segment_size: 144
    .language:       OpenCL C
    .language_version:
      - 2
      - 0
    .max_flat_workgroup_size: 256
    .name:           _ZN7rocprim17ROCPRIM_400000_NS6detail17trampoline_kernelINS0_14default_configENS1_29reduce_by_key_config_selectorIjxN6thrust23THRUST_200600_302600_NS4plusIxEEEEZZNS1_33reduce_by_key_impl_wrapped_configILNS1_25lookback_scan_determinismE0ES3_S9_NS6_6detail15normal_iteratorINS6_10device_ptrIjEEEENSD_INSE_IxEEEENS6_16discard_iteratorINS6_11use_defaultEEESI_PmS8_NS6_8equal_toIjEEEE10hipError_tPvRmT2_T3_mT4_T5_T6_T7_T8_P12ihipStream_tbENKUlT_T0_E_clISt17integral_constantIbLb0EES16_EEDaS11_S12_EUlS11_E_NS1_11comp_targetILNS1_3genE3ELNS1_11target_archE908ELNS1_3gpuE7ELNS1_3repE0EEENS1_30default_config_static_selectorELNS0_4arch9wavefront6targetE0EEEvT1_
    .private_segment_fixed_size: 0
    .sgpr_count:     0
    .sgpr_spill_count: 0
    .symbol:         _ZN7rocprim17ROCPRIM_400000_NS6detail17trampoline_kernelINS0_14default_configENS1_29reduce_by_key_config_selectorIjxN6thrust23THRUST_200600_302600_NS4plusIxEEEEZZNS1_33reduce_by_key_impl_wrapped_configILNS1_25lookback_scan_determinismE0ES3_S9_NS6_6detail15normal_iteratorINS6_10device_ptrIjEEEENSD_INSE_IxEEEENS6_16discard_iteratorINS6_11use_defaultEEESI_PmS8_NS6_8equal_toIjEEEE10hipError_tPvRmT2_T3_mT4_T5_T6_T7_T8_P12ihipStream_tbENKUlT_T0_E_clISt17integral_constantIbLb0EES16_EEDaS11_S12_EUlS11_E_NS1_11comp_targetILNS1_3genE3ELNS1_11target_archE908ELNS1_3gpuE7ELNS1_3repE0EEENS1_30default_config_static_selectorELNS0_4arch9wavefront6targetE0EEEvT1_.kd
    .uniform_work_group_size: 1
    .uses_dynamic_stack: false
    .vgpr_count:     0
    .vgpr_spill_count: 0
    .wavefront_size: 32
    .workgroup_processor_mode: 1
  - .args:
      - .offset:         0
        .size:           144
        .value_kind:     by_value
    .group_segment_fixed_size: 0
    .kernarg_segment_align: 8
    .kernarg_segment_size: 144
    .language:       OpenCL C
    .language_version:
      - 2
      - 0
    .max_flat_workgroup_size: 256
    .name:           _ZN7rocprim17ROCPRIM_400000_NS6detail17trampoline_kernelINS0_14default_configENS1_29reduce_by_key_config_selectorIjxN6thrust23THRUST_200600_302600_NS4plusIxEEEEZZNS1_33reduce_by_key_impl_wrapped_configILNS1_25lookback_scan_determinismE0ES3_S9_NS6_6detail15normal_iteratorINS6_10device_ptrIjEEEENSD_INSE_IxEEEENS6_16discard_iteratorINS6_11use_defaultEEESI_PmS8_NS6_8equal_toIjEEEE10hipError_tPvRmT2_T3_mT4_T5_T6_T7_T8_P12ihipStream_tbENKUlT_T0_E_clISt17integral_constantIbLb0EES16_EEDaS11_S12_EUlS11_E_NS1_11comp_targetILNS1_3genE2ELNS1_11target_archE906ELNS1_3gpuE6ELNS1_3repE0EEENS1_30default_config_static_selectorELNS0_4arch9wavefront6targetE0EEEvT1_
    .private_segment_fixed_size: 0
    .sgpr_count:     0
    .sgpr_spill_count: 0
    .symbol:         _ZN7rocprim17ROCPRIM_400000_NS6detail17trampoline_kernelINS0_14default_configENS1_29reduce_by_key_config_selectorIjxN6thrust23THRUST_200600_302600_NS4plusIxEEEEZZNS1_33reduce_by_key_impl_wrapped_configILNS1_25lookback_scan_determinismE0ES3_S9_NS6_6detail15normal_iteratorINS6_10device_ptrIjEEEENSD_INSE_IxEEEENS6_16discard_iteratorINS6_11use_defaultEEESI_PmS8_NS6_8equal_toIjEEEE10hipError_tPvRmT2_T3_mT4_T5_T6_T7_T8_P12ihipStream_tbENKUlT_T0_E_clISt17integral_constantIbLb0EES16_EEDaS11_S12_EUlS11_E_NS1_11comp_targetILNS1_3genE2ELNS1_11target_archE906ELNS1_3gpuE6ELNS1_3repE0EEENS1_30default_config_static_selectorELNS0_4arch9wavefront6targetE0EEEvT1_.kd
    .uniform_work_group_size: 1
    .uses_dynamic_stack: false
    .vgpr_count:     0
    .vgpr_spill_count: 0
    .wavefront_size: 32
    .workgroup_processor_mode: 1
  - .args:
      - .offset:         0
        .size:           144
        .value_kind:     by_value
    .group_segment_fixed_size: 0
    .kernarg_segment_align: 8
    .kernarg_segment_size: 144
    .language:       OpenCL C
    .language_version:
      - 2
      - 0
    .max_flat_workgroup_size: 256
    .name:           _ZN7rocprim17ROCPRIM_400000_NS6detail17trampoline_kernelINS0_14default_configENS1_29reduce_by_key_config_selectorIjxN6thrust23THRUST_200600_302600_NS4plusIxEEEEZZNS1_33reduce_by_key_impl_wrapped_configILNS1_25lookback_scan_determinismE0ES3_S9_NS6_6detail15normal_iteratorINS6_10device_ptrIjEEEENSD_INSE_IxEEEENS6_16discard_iteratorINS6_11use_defaultEEESI_PmS8_NS6_8equal_toIjEEEE10hipError_tPvRmT2_T3_mT4_T5_T6_T7_T8_P12ihipStream_tbENKUlT_T0_E_clISt17integral_constantIbLb0EES16_EEDaS11_S12_EUlS11_E_NS1_11comp_targetILNS1_3genE10ELNS1_11target_archE1201ELNS1_3gpuE5ELNS1_3repE0EEENS1_30default_config_static_selectorELNS0_4arch9wavefront6targetE0EEEvT1_
    .private_segment_fixed_size: 0
    .sgpr_count:     0
    .sgpr_spill_count: 0
    .symbol:         _ZN7rocprim17ROCPRIM_400000_NS6detail17trampoline_kernelINS0_14default_configENS1_29reduce_by_key_config_selectorIjxN6thrust23THRUST_200600_302600_NS4plusIxEEEEZZNS1_33reduce_by_key_impl_wrapped_configILNS1_25lookback_scan_determinismE0ES3_S9_NS6_6detail15normal_iteratorINS6_10device_ptrIjEEEENSD_INSE_IxEEEENS6_16discard_iteratorINS6_11use_defaultEEESI_PmS8_NS6_8equal_toIjEEEE10hipError_tPvRmT2_T3_mT4_T5_T6_T7_T8_P12ihipStream_tbENKUlT_T0_E_clISt17integral_constantIbLb0EES16_EEDaS11_S12_EUlS11_E_NS1_11comp_targetILNS1_3genE10ELNS1_11target_archE1201ELNS1_3gpuE5ELNS1_3repE0EEENS1_30default_config_static_selectorELNS0_4arch9wavefront6targetE0EEEvT1_.kd
    .uniform_work_group_size: 1
    .uses_dynamic_stack: false
    .vgpr_count:     0
    .vgpr_spill_count: 0
    .wavefront_size: 32
    .workgroup_processor_mode: 1
  - .args:
      - .offset:         0
        .size:           144
        .value_kind:     by_value
    .group_segment_fixed_size: 0
    .kernarg_segment_align: 8
    .kernarg_segment_size: 144
    .language:       OpenCL C
    .language_version:
      - 2
      - 0
    .max_flat_workgroup_size: 256
    .name:           _ZN7rocprim17ROCPRIM_400000_NS6detail17trampoline_kernelINS0_14default_configENS1_29reduce_by_key_config_selectorIjxN6thrust23THRUST_200600_302600_NS4plusIxEEEEZZNS1_33reduce_by_key_impl_wrapped_configILNS1_25lookback_scan_determinismE0ES3_S9_NS6_6detail15normal_iteratorINS6_10device_ptrIjEEEENSD_INSE_IxEEEENS6_16discard_iteratorINS6_11use_defaultEEESI_PmS8_NS6_8equal_toIjEEEE10hipError_tPvRmT2_T3_mT4_T5_T6_T7_T8_P12ihipStream_tbENKUlT_T0_E_clISt17integral_constantIbLb0EES16_EEDaS11_S12_EUlS11_E_NS1_11comp_targetILNS1_3genE10ELNS1_11target_archE1200ELNS1_3gpuE4ELNS1_3repE0EEENS1_30default_config_static_selectorELNS0_4arch9wavefront6targetE0EEEvT1_
    .private_segment_fixed_size: 0
    .sgpr_count:     0
    .sgpr_spill_count: 0
    .symbol:         _ZN7rocprim17ROCPRIM_400000_NS6detail17trampoline_kernelINS0_14default_configENS1_29reduce_by_key_config_selectorIjxN6thrust23THRUST_200600_302600_NS4plusIxEEEEZZNS1_33reduce_by_key_impl_wrapped_configILNS1_25lookback_scan_determinismE0ES3_S9_NS6_6detail15normal_iteratorINS6_10device_ptrIjEEEENSD_INSE_IxEEEENS6_16discard_iteratorINS6_11use_defaultEEESI_PmS8_NS6_8equal_toIjEEEE10hipError_tPvRmT2_T3_mT4_T5_T6_T7_T8_P12ihipStream_tbENKUlT_T0_E_clISt17integral_constantIbLb0EES16_EEDaS11_S12_EUlS11_E_NS1_11comp_targetILNS1_3genE10ELNS1_11target_archE1200ELNS1_3gpuE4ELNS1_3repE0EEENS1_30default_config_static_selectorELNS0_4arch9wavefront6targetE0EEEvT1_.kd
    .uniform_work_group_size: 1
    .uses_dynamic_stack: false
    .vgpr_count:     0
    .vgpr_spill_count: 0
    .wavefront_size: 32
    .workgroup_processor_mode: 1
  - .args:
      - .offset:         0
        .size:           144
        .value_kind:     by_value
    .group_segment_fixed_size: 30720
    .kernarg_segment_align: 8
    .kernarg_segment_size: 144
    .language:       OpenCL C
    .language_version:
      - 2
      - 0
    .max_flat_workgroup_size: 256
    .name:           _ZN7rocprim17ROCPRIM_400000_NS6detail17trampoline_kernelINS0_14default_configENS1_29reduce_by_key_config_selectorIjxN6thrust23THRUST_200600_302600_NS4plusIxEEEEZZNS1_33reduce_by_key_impl_wrapped_configILNS1_25lookback_scan_determinismE0ES3_S9_NS6_6detail15normal_iteratorINS6_10device_ptrIjEEEENSD_INSE_IxEEEENS6_16discard_iteratorINS6_11use_defaultEEESI_PmS8_NS6_8equal_toIjEEEE10hipError_tPvRmT2_T3_mT4_T5_T6_T7_T8_P12ihipStream_tbENKUlT_T0_E_clISt17integral_constantIbLb0EES16_EEDaS11_S12_EUlS11_E_NS1_11comp_targetILNS1_3genE9ELNS1_11target_archE1100ELNS1_3gpuE3ELNS1_3repE0EEENS1_30default_config_static_selectorELNS0_4arch9wavefront6targetE0EEEvT1_
    .private_segment_fixed_size: 0
    .sgpr_count:     54
    .sgpr_spill_count: 0
    .symbol:         _ZN7rocprim17ROCPRIM_400000_NS6detail17trampoline_kernelINS0_14default_configENS1_29reduce_by_key_config_selectorIjxN6thrust23THRUST_200600_302600_NS4plusIxEEEEZZNS1_33reduce_by_key_impl_wrapped_configILNS1_25lookback_scan_determinismE0ES3_S9_NS6_6detail15normal_iteratorINS6_10device_ptrIjEEEENSD_INSE_IxEEEENS6_16discard_iteratorINS6_11use_defaultEEESI_PmS8_NS6_8equal_toIjEEEE10hipError_tPvRmT2_T3_mT4_T5_T6_T7_T8_P12ihipStream_tbENKUlT_T0_E_clISt17integral_constantIbLb0EES16_EEDaS11_S12_EUlS11_E_NS1_11comp_targetILNS1_3genE9ELNS1_11target_archE1100ELNS1_3gpuE3ELNS1_3repE0EEENS1_30default_config_static_selectorELNS0_4arch9wavefront6targetE0EEEvT1_.kd
    .uniform_work_group_size: 1
    .uses_dynamic_stack: false
    .vgpr_count:     103
    .vgpr_spill_count: 0
    .wavefront_size: 32
    .workgroup_processor_mode: 1
  - .args:
      - .offset:         0
        .size:           144
        .value_kind:     by_value
    .group_segment_fixed_size: 0
    .kernarg_segment_align: 8
    .kernarg_segment_size: 144
    .language:       OpenCL C
    .language_version:
      - 2
      - 0
    .max_flat_workgroup_size: 256
    .name:           _ZN7rocprim17ROCPRIM_400000_NS6detail17trampoline_kernelINS0_14default_configENS1_29reduce_by_key_config_selectorIjxN6thrust23THRUST_200600_302600_NS4plusIxEEEEZZNS1_33reduce_by_key_impl_wrapped_configILNS1_25lookback_scan_determinismE0ES3_S9_NS6_6detail15normal_iteratorINS6_10device_ptrIjEEEENSD_INSE_IxEEEENS6_16discard_iteratorINS6_11use_defaultEEESI_PmS8_NS6_8equal_toIjEEEE10hipError_tPvRmT2_T3_mT4_T5_T6_T7_T8_P12ihipStream_tbENKUlT_T0_E_clISt17integral_constantIbLb0EES16_EEDaS11_S12_EUlS11_E_NS1_11comp_targetILNS1_3genE8ELNS1_11target_archE1030ELNS1_3gpuE2ELNS1_3repE0EEENS1_30default_config_static_selectorELNS0_4arch9wavefront6targetE0EEEvT1_
    .private_segment_fixed_size: 0
    .sgpr_count:     0
    .sgpr_spill_count: 0
    .symbol:         _ZN7rocprim17ROCPRIM_400000_NS6detail17trampoline_kernelINS0_14default_configENS1_29reduce_by_key_config_selectorIjxN6thrust23THRUST_200600_302600_NS4plusIxEEEEZZNS1_33reduce_by_key_impl_wrapped_configILNS1_25lookback_scan_determinismE0ES3_S9_NS6_6detail15normal_iteratorINS6_10device_ptrIjEEEENSD_INSE_IxEEEENS6_16discard_iteratorINS6_11use_defaultEEESI_PmS8_NS6_8equal_toIjEEEE10hipError_tPvRmT2_T3_mT4_T5_T6_T7_T8_P12ihipStream_tbENKUlT_T0_E_clISt17integral_constantIbLb0EES16_EEDaS11_S12_EUlS11_E_NS1_11comp_targetILNS1_3genE8ELNS1_11target_archE1030ELNS1_3gpuE2ELNS1_3repE0EEENS1_30default_config_static_selectorELNS0_4arch9wavefront6targetE0EEEvT1_.kd
    .uniform_work_group_size: 1
    .uses_dynamic_stack: false
    .vgpr_count:     0
    .vgpr_spill_count: 0
    .wavefront_size: 32
    .workgroup_processor_mode: 1
  - .args:
      - .offset:         0
        .size:           144
        .value_kind:     by_value
    .group_segment_fixed_size: 0
    .kernarg_segment_align: 8
    .kernarg_segment_size: 144
    .language:       OpenCL C
    .language_version:
      - 2
      - 0
    .max_flat_workgroup_size: 256
    .name:           _ZN7rocprim17ROCPRIM_400000_NS6detail17trampoline_kernelINS0_14default_configENS1_29reduce_by_key_config_selectorIjxN6thrust23THRUST_200600_302600_NS4plusIxEEEEZZNS1_33reduce_by_key_impl_wrapped_configILNS1_25lookback_scan_determinismE0ES3_S9_NS6_6detail15normal_iteratorINS6_10device_ptrIjEEEENSD_INSE_IxEEEENS6_16discard_iteratorINS6_11use_defaultEEESI_PmS8_NS6_8equal_toIjEEEE10hipError_tPvRmT2_T3_mT4_T5_T6_T7_T8_P12ihipStream_tbENKUlT_T0_E_clISt17integral_constantIbLb1EES16_EEDaS11_S12_EUlS11_E_NS1_11comp_targetILNS1_3genE0ELNS1_11target_archE4294967295ELNS1_3gpuE0ELNS1_3repE0EEENS1_30default_config_static_selectorELNS0_4arch9wavefront6targetE0EEEvT1_
    .private_segment_fixed_size: 0
    .sgpr_count:     0
    .sgpr_spill_count: 0
    .symbol:         _ZN7rocprim17ROCPRIM_400000_NS6detail17trampoline_kernelINS0_14default_configENS1_29reduce_by_key_config_selectorIjxN6thrust23THRUST_200600_302600_NS4plusIxEEEEZZNS1_33reduce_by_key_impl_wrapped_configILNS1_25lookback_scan_determinismE0ES3_S9_NS6_6detail15normal_iteratorINS6_10device_ptrIjEEEENSD_INSE_IxEEEENS6_16discard_iteratorINS6_11use_defaultEEESI_PmS8_NS6_8equal_toIjEEEE10hipError_tPvRmT2_T3_mT4_T5_T6_T7_T8_P12ihipStream_tbENKUlT_T0_E_clISt17integral_constantIbLb1EES16_EEDaS11_S12_EUlS11_E_NS1_11comp_targetILNS1_3genE0ELNS1_11target_archE4294967295ELNS1_3gpuE0ELNS1_3repE0EEENS1_30default_config_static_selectorELNS0_4arch9wavefront6targetE0EEEvT1_.kd
    .uniform_work_group_size: 1
    .uses_dynamic_stack: false
    .vgpr_count:     0
    .vgpr_spill_count: 0
    .wavefront_size: 32
    .workgroup_processor_mode: 1
  - .args:
      - .offset:         0
        .size:           144
        .value_kind:     by_value
    .group_segment_fixed_size: 0
    .kernarg_segment_align: 8
    .kernarg_segment_size: 144
    .language:       OpenCL C
    .language_version:
      - 2
      - 0
    .max_flat_workgroup_size: 256
    .name:           _ZN7rocprim17ROCPRIM_400000_NS6detail17trampoline_kernelINS0_14default_configENS1_29reduce_by_key_config_selectorIjxN6thrust23THRUST_200600_302600_NS4plusIxEEEEZZNS1_33reduce_by_key_impl_wrapped_configILNS1_25lookback_scan_determinismE0ES3_S9_NS6_6detail15normal_iteratorINS6_10device_ptrIjEEEENSD_INSE_IxEEEENS6_16discard_iteratorINS6_11use_defaultEEESI_PmS8_NS6_8equal_toIjEEEE10hipError_tPvRmT2_T3_mT4_T5_T6_T7_T8_P12ihipStream_tbENKUlT_T0_E_clISt17integral_constantIbLb1EES16_EEDaS11_S12_EUlS11_E_NS1_11comp_targetILNS1_3genE5ELNS1_11target_archE942ELNS1_3gpuE9ELNS1_3repE0EEENS1_30default_config_static_selectorELNS0_4arch9wavefront6targetE0EEEvT1_
    .private_segment_fixed_size: 0
    .sgpr_count:     0
    .sgpr_spill_count: 0
    .symbol:         _ZN7rocprim17ROCPRIM_400000_NS6detail17trampoline_kernelINS0_14default_configENS1_29reduce_by_key_config_selectorIjxN6thrust23THRUST_200600_302600_NS4plusIxEEEEZZNS1_33reduce_by_key_impl_wrapped_configILNS1_25lookback_scan_determinismE0ES3_S9_NS6_6detail15normal_iteratorINS6_10device_ptrIjEEEENSD_INSE_IxEEEENS6_16discard_iteratorINS6_11use_defaultEEESI_PmS8_NS6_8equal_toIjEEEE10hipError_tPvRmT2_T3_mT4_T5_T6_T7_T8_P12ihipStream_tbENKUlT_T0_E_clISt17integral_constantIbLb1EES16_EEDaS11_S12_EUlS11_E_NS1_11comp_targetILNS1_3genE5ELNS1_11target_archE942ELNS1_3gpuE9ELNS1_3repE0EEENS1_30default_config_static_selectorELNS0_4arch9wavefront6targetE0EEEvT1_.kd
    .uniform_work_group_size: 1
    .uses_dynamic_stack: false
    .vgpr_count:     0
    .vgpr_spill_count: 0
    .wavefront_size: 32
    .workgroup_processor_mode: 1
  - .args:
      - .offset:         0
        .size:           144
        .value_kind:     by_value
    .group_segment_fixed_size: 0
    .kernarg_segment_align: 8
    .kernarg_segment_size: 144
    .language:       OpenCL C
    .language_version:
      - 2
      - 0
    .max_flat_workgroup_size: 256
    .name:           _ZN7rocprim17ROCPRIM_400000_NS6detail17trampoline_kernelINS0_14default_configENS1_29reduce_by_key_config_selectorIjxN6thrust23THRUST_200600_302600_NS4plusIxEEEEZZNS1_33reduce_by_key_impl_wrapped_configILNS1_25lookback_scan_determinismE0ES3_S9_NS6_6detail15normal_iteratorINS6_10device_ptrIjEEEENSD_INSE_IxEEEENS6_16discard_iteratorINS6_11use_defaultEEESI_PmS8_NS6_8equal_toIjEEEE10hipError_tPvRmT2_T3_mT4_T5_T6_T7_T8_P12ihipStream_tbENKUlT_T0_E_clISt17integral_constantIbLb1EES16_EEDaS11_S12_EUlS11_E_NS1_11comp_targetILNS1_3genE4ELNS1_11target_archE910ELNS1_3gpuE8ELNS1_3repE0EEENS1_30default_config_static_selectorELNS0_4arch9wavefront6targetE0EEEvT1_
    .private_segment_fixed_size: 0
    .sgpr_count:     0
    .sgpr_spill_count: 0
    .symbol:         _ZN7rocprim17ROCPRIM_400000_NS6detail17trampoline_kernelINS0_14default_configENS1_29reduce_by_key_config_selectorIjxN6thrust23THRUST_200600_302600_NS4plusIxEEEEZZNS1_33reduce_by_key_impl_wrapped_configILNS1_25lookback_scan_determinismE0ES3_S9_NS6_6detail15normal_iteratorINS6_10device_ptrIjEEEENSD_INSE_IxEEEENS6_16discard_iteratorINS6_11use_defaultEEESI_PmS8_NS6_8equal_toIjEEEE10hipError_tPvRmT2_T3_mT4_T5_T6_T7_T8_P12ihipStream_tbENKUlT_T0_E_clISt17integral_constantIbLb1EES16_EEDaS11_S12_EUlS11_E_NS1_11comp_targetILNS1_3genE4ELNS1_11target_archE910ELNS1_3gpuE8ELNS1_3repE0EEENS1_30default_config_static_selectorELNS0_4arch9wavefront6targetE0EEEvT1_.kd
    .uniform_work_group_size: 1
    .uses_dynamic_stack: false
    .vgpr_count:     0
    .vgpr_spill_count: 0
    .wavefront_size: 32
    .workgroup_processor_mode: 1
  - .args:
      - .offset:         0
        .size:           144
        .value_kind:     by_value
    .group_segment_fixed_size: 0
    .kernarg_segment_align: 8
    .kernarg_segment_size: 144
    .language:       OpenCL C
    .language_version:
      - 2
      - 0
    .max_flat_workgroup_size: 256
    .name:           _ZN7rocprim17ROCPRIM_400000_NS6detail17trampoline_kernelINS0_14default_configENS1_29reduce_by_key_config_selectorIjxN6thrust23THRUST_200600_302600_NS4plusIxEEEEZZNS1_33reduce_by_key_impl_wrapped_configILNS1_25lookback_scan_determinismE0ES3_S9_NS6_6detail15normal_iteratorINS6_10device_ptrIjEEEENSD_INSE_IxEEEENS6_16discard_iteratorINS6_11use_defaultEEESI_PmS8_NS6_8equal_toIjEEEE10hipError_tPvRmT2_T3_mT4_T5_T6_T7_T8_P12ihipStream_tbENKUlT_T0_E_clISt17integral_constantIbLb1EES16_EEDaS11_S12_EUlS11_E_NS1_11comp_targetILNS1_3genE3ELNS1_11target_archE908ELNS1_3gpuE7ELNS1_3repE0EEENS1_30default_config_static_selectorELNS0_4arch9wavefront6targetE0EEEvT1_
    .private_segment_fixed_size: 0
    .sgpr_count:     0
    .sgpr_spill_count: 0
    .symbol:         _ZN7rocprim17ROCPRIM_400000_NS6detail17trampoline_kernelINS0_14default_configENS1_29reduce_by_key_config_selectorIjxN6thrust23THRUST_200600_302600_NS4plusIxEEEEZZNS1_33reduce_by_key_impl_wrapped_configILNS1_25lookback_scan_determinismE0ES3_S9_NS6_6detail15normal_iteratorINS6_10device_ptrIjEEEENSD_INSE_IxEEEENS6_16discard_iteratorINS6_11use_defaultEEESI_PmS8_NS6_8equal_toIjEEEE10hipError_tPvRmT2_T3_mT4_T5_T6_T7_T8_P12ihipStream_tbENKUlT_T0_E_clISt17integral_constantIbLb1EES16_EEDaS11_S12_EUlS11_E_NS1_11comp_targetILNS1_3genE3ELNS1_11target_archE908ELNS1_3gpuE7ELNS1_3repE0EEENS1_30default_config_static_selectorELNS0_4arch9wavefront6targetE0EEEvT1_.kd
    .uniform_work_group_size: 1
    .uses_dynamic_stack: false
    .vgpr_count:     0
    .vgpr_spill_count: 0
    .wavefront_size: 32
    .workgroup_processor_mode: 1
  - .args:
      - .offset:         0
        .size:           144
        .value_kind:     by_value
    .group_segment_fixed_size: 0
    .kernarg_segment_align: 8
    .kernarg_segment_size: 144
    .language:       OpenCL C
    .language_version:
      - 2
      - 0
    .max_flat_workgroup_size: 256
    .name:           _ZN7rocprim17ROCPRIM_400000_NS6detail17trampoline_kernelINS0_14default_configENS1_29reduce_by_key_config_selectorIjxN6thrust23THRUST_200600_302600_NS4plusIxEEEEZZNS1_33reduce_by_key_impl_wrapped_configILNS1_25lookback_scan_determinismE0ES3_S9_NS6_6detail15normal_iteratorINS6_10device_ptrIjEEEENSD_INSE_IxEEEENS6_16discard_iteratorINS6_11use_defaultEEESI_PmS8_NS6_8equal_toIjEEEE10hipError_tPvRmT2_T3_mT4_T5_T6_T7_T8_P12ihipStream_tbENKUlT_T0_E_clISt17integral_constantIbLb1EES16_EEDaS11_S12_EUlS11_E_NS1_11comp_targetILNS1_3genE2ELNS1_11target_archE906ELNS1_3gpuE6ELNS1_3repE0EEENS1_30default_config_static_selectorELNS0_4arch9wavefront6targetE0EEEvT1_
    .private_segment_fixed_size: 0
    .sgpr_count:     0
    .sgpr_spill_count: 0
    .symbol:         _ZN7rocprim17ROCPRIM_400000_NS6detail17trampoline_kernelINS0_14default_configENS1_29reduce_by_key_config_selectorIjxN6thrust23THRUST_200600_302600_NS4plusIxEEEEZZNS1_33reduce_by_key_impl_wrapped_configILNS1_25lookback_scan_determinismE0ES3_S9_NS6_6detail15normal_iteratorINS6_10device_ptrIjEEEENSD_INSE_IxEEEENS6_16discard_iteratorINS6_11use_defaultEEESI_PmS8_NS6_8equal_toIjEEEE10hipError_tPvRmT2_T3_mT4_T5_T6_T7_T8_P12ihipStream_tbENKUlT_T0_E_clISt17integral_constantIbLb1EES16_EEDaS11_S12_EUlS11_E_NS1_11comp_targetILNS1_3genE2ELNS1_11target_archE906ELNS1_3gpuE6ELNS1_3repE0EEENS1_30default_config_static_selectorELNS0_4arch9wavefront6targetE0EEEvT1_.kd
    .uniform_work_group_size: 1
    .uses_dynamic_stack: false
    .vgpr_count:     0
    .vgpr_spill_count: 0
    .wavefront_size: 32
    .workgroup_processor_mode: 1
  - .args:
      - .offset:         0
        .size:           144
        .value_kind:     by_value
    .group_segment_fixed_size: 0
    .kernarg_segment_align: 8
    .kernarg_segment_size: 144
    .language:       OpenCL C
    .language_version:
      - 2
      - 0
    .max_flat_workgroup_size: 256
    .name:           _ZN7rocprim17ROCPRIM_400000_NS6detail17trampoline_kernelINS0_14default_configENS1_29reduce_by_key_config_selectorIjxN6thrust23THRUST_200600_302600_NS4plusIxEEEEZZNS1_33reduce_by_key_impl_wrapped_configILNS1_25lookback_scan_determinismE0ES3_S9_NS6_6detail15normal_iteratorINS6_10device_ptrIjEEEENSD_INSE_IxEEEENS6_16discard_iteratorINS6_11use_defaultEEESI_PmS8_NS6_8equal_toIjEEEE10hipError_tPvRmT2_T3_mT4_T5_T6_T7_T8_P12ihipStream_tbENKUlT_T0_E_clISt17integral_constantIbLb1EES16_EEDaS11_S12_EUlS11_E_NS1_11comp_targetILNS1_3genE10ELNS1_11target_archE1201ELNS1_3gpuE5ELNS1_3repE0EEENS1_30default_config_static_selectorELNS0_4arch9wavefront6targetE0EEEvT1_
    .private_segment_fixed_size: 0
    .sgpr_count:     0
    .sgpr_spill_count: 0
    .symbol:         _ZN7rocprim17ROCPRIM_400000_NS6detail17trampoline_kernelINS0_14default_configENS1_29reduce_by_key_config_selectorIjxN6thrust23THRUST_200600_302600_NS4plusIxEEEEZZNS1_33reduce_by_key_impl_wrapped_configILNS1_25lookback_scan_determinismE0ES3_S9_NS6_6detail15normal_iteratorINS6_10device_ptrIjEEEENSD_INSE_IxEEEENS6_16discard_iteratorINS6_11use_defaultEEESI_PmS8_NS6_8equal_toIjEEEE10hipError_tPvRmT2_T3_mT4_T5_T6_T7_T8_P12ihipStream_tbENKUlT_T0_E_clISt17integral_constantIbLb1EES16_EEDaS11_S12_EUlS11_E_NS1_11comp_targetILNS1_3genE10ELNS1_11target_archE1201ELNS1_3gpuE5ELNS1_3repE0EEENS1_30default_config_static_selectorELNS0_4arch9wavefront6targetE0EEEvT1_.kd
    .uniform_work_group_size: 1
    .uses_dynamic_stack: false
    .vgpr_count:     0
    .vgpr_spill_count: 0
    .wavefront_size: 32
    .workgroup_processor_mode: 1
  - .args:
      - .offset:         0
        .size:           144
        .value_kind:     by_value
    .group_segment_fixed_size: 0
    .kernarg_segment_align: 8
    .kernarg_segment_size: 144
    .language:       OpenCL C
    .language_version:
      - 2
      - 0
    .max_flat_workgroup_size: 256
    .name:           _ZN7rocprim17ROCPRIM_400000_NS6detail17trampoline_kernelINS0_14default_configENS1_29reduce_by_key_config_selectorIjxN6thrust23THRUST_200600_302600_NS4plusIxEEEEZZNS1_33reduce_by_key_impl_wrapped_configILNS1_25lookback_scan_determinismE0ES3_S9_NS6_6detail15normal_iteratorINS6_10device_ptrIjEEEENSD_INSE_IxEEEENS6_16discard_iteratorINS6_11use_defaultEEESI_PmS8_NS6_8equal_toIjEEEE10hipError_tPvRmT2_T3_mT4_T5_T6_T7_T8_P12ihipStream_tbENKUlT_T0_E_clISt17integral_constantIbLb1EES16_EEDaS11_S12_EUlS11_E_NS1_11comp_targetILNS1_3genE10ELNS1_11target_archE1200ELNS1_3gpuE4ELNS1_3repE0EEENS1_30default_config_static_selectorELNS0_4arch9wavefront6targetE0EEEvT1_
    .private_segment_fixed_size: 0
    .sgpr_count:     0
    .sgpr_spill_count: 0
    .symbol:         _ZN7rocprim17ROCPRIM_400000_NS6detail17trampoline_kernelINS0_14default_configENS1_29reduce_by_key_config_selectorIjxN6thrust23THRUST_200600_302600_NS4plusIxEEEEZZNS1_33reduce_by_key_impl_wrapped_configILNS1_25lookback_scan_determinismE0ES3_S9_NS6_6detail15normal_iteratorINS6_10device_ptrIjEEEENSD_INSE_IxEEEENS6_16discard_iteratorINS6_11use_defaultEEESI_PmS8_NS6_8equal_toIjEEEE10hipError_tPvRmT2_T3_mT4_T5_T6_T7_T8_P12ihipStream_tbENKUlT_T0_E_clISt17integral_constantIbLb1EES16_EEDaS11_S12_EUlS11_E_NS1_11comp_targetILNS1_3genE10ELNS1_11target_archE1200ELNS1_3gpuE4ELNS1_3repE0EEENS1_30default_config_static_selectorELNS0_4arch9wavefront6targetE0EEEvT1_.kd
    .uniform_work_group_size: 1
    .uses_dynamic_stack: false
    .vgpr_count:     0
    .vgpr_spill_count: 0
    .wavefront_size: 32
    .workgroup_processor_mode: 1
  - .args:
      - .offset:         0
        .size:           144
        .value_kind:     by_value
    .group_segment_fixed_size: 30720
    .kernarg_segment_align: 8
    .kernarg_segment_size: 144
    .language:       OpenCL C
    .language_version:
      - 2
      - 0
    .max_flat_workgroup_size: 256
    .name:           _ZN7rocprim17ROCPRIM_400000_NS6detail17trampoline_kernelINS0_14default_configENS1_29reduce_by_key_config_selectorIjxN6thrust23THRUST_200600_302600_NS4plusIxEEEEZZNS1_33reduce_by_key_impl_wrapped_configILNS1_25lookback_scan_determinismE0ES3_S9_NS6_6detail15normal_iteratorINS6_10device_ptrIjEEEENSD_INSE_IxEEEENS6_16discard_iteratorINS6_11use_defaultEEESI_PmS8_NS6_8equal_toIjEEEE10hipError_tPvRmT2_T3_mT4_T5_T6_T7_T8_P12ihipStream_tbENKUlT_T0_E_clISt17integral_constantIbLb1EES16_EEDaS11_S12_EUlS11_E_NS1_11comp_targetILNS1_3genE9ELNS1_11target_archE1100ELNS1_3gpuE3ELNS1_3repE0EEENS1_30default_config_static_selectorELNS0_4arch9wavefront6targetE0EEEvT1_
    .private_segment_fixed_size: 0
    .sgpr_count:     54
    .sgpr_spill_count: 0
    .symbol:         _ZN7rocprim17ROCPRIM_400000_NS6detail17trampoline_kernelINS0_14default_configENS1_29reduce_by_key_config_selectorIjxN6thrust23THRUST_200600_302600_NS4plusIxEEEEZZNS1_33reduce_by_key_impl_wrapped_configILNS1_25lookback_scan_determinismE0ES3_S9_NS6_6detail15normal_iteratorINS6_10device_ptrIjEEEENSD_INSE_IxEEEENS6_16discard_iteratorINS6_11use_defaultEEESI_PmS8_NS6_8equal_toIjEEEE10hipError_tPvRmT2_T3_mT4_T5_T6_T7_T8_P12ihipStream_tbENKUlT_T0_E_clISt17integral_constantIbLb1EES16_EEDaS11_S12_EUlS11_E_NS1_11comp_targetILNS1_3genE9ELNS1_11target_archE1100ELNS1_3gpuE3ELNS1_3repE0EEENS1_30default_config_static_selectorELNS0_4arch9wavefront6targetE0EEEvT1_.kd
    .uniform_work_group_size: 1
    .uses_dynamic_stack: false
    .vgpr_count:     103
    .vgpr_spill_count: 0
    .wavefront_size: 32
    .workgroup_processor_mode: 1
  - .args:
      - .offset:         0
        .size:           144
        .value_kind:     by_value
    .group_segment_fixed_size: 0
    .kernarg_segment_align: 8
    .kernarg_segment_size: 144
    .language:       OpenCL C
    .language_version:
      - 2
      - 0
    .max_flat_workgroup_size: 256
    .name:           _ZN7rocprim17ROCPRIM_400000_NS6detail17trampoline_kernelINS0_14default_configENS1_29reduce_by_key_config_selectorIjxN6thrust23THRUST_200600_302600_NS4plusIxEEEEZZNS1_33reduce_by_key_impl_wrapped_configILNS1_25lookback_scan_determinismE0ES3_S9_NS6_6detail15normal_iteratorINS6_10device_ptrIjEEEENSD_INSE_IxEEEENS6_16discard_iteratorINS6_11use_defaultEEESI_PmS8_NS6_8equal_toIjEEEE10hipError_tPvRmT2_T3_mT4_T5_T6_T7_T8_P12ihipStream_tbENKUlT_T0_E_clISt17integral_constantIbLb1EES16_EEDaS11_S12_EUlS11_E_NS1_11comp_targetILNS1_3genE8ELNS1_11target_archE1030ELNS1_3gpuE2ELNS1_3repE0EEENS1_30default_config_static_selectorELNS0_4arch9wavefront6targetE0EEEvT1_
    .private_segment_fixed_size: 0
    .sgpr_count:     0
    .sgpr_spill_count: 0
    .symbol:         _ZN7rocprim17ROCPRIM_400000_NS6detail17trampoline_kernelINS0_14default_configENS1_29reduce_by_key_config_selectorIjxN6thrust23THRUST_200600_302600_NS4plusIxEEEEZZNS1_33reduce_by_key_impl_wrapped_configILNS1_25lookback_scan_determinismE0ES3_S9_NS6_6detail15normal_iteratorINS6_10device_ptrIjEEEENSD_INSE_IxEEEENS6_16discard_iteratorINS6_11use_defaultEEESI_PmS8_NS6_8equal_toIjEEEE10hipError_tPvRmT2_T3_mT4_T5_T6_T7_T8_P12ihipStream_tbENKUlT_T0_E_clISt17integral_constantIbLb1EES16_EEDaS11_S12_EUlS11_E_NS1_11comp_targetILNS1_3genE8ELNS1_11target_archE1030ELNS1_3gpuE2ELNS1_3repE0EEENS1_30default_config_static_selectorELNS0_4arch9wavefront6targetE0EEEvT1_.kd
    .uniform_work_group_size: 1
    .uses_dynamic_stack: false
    .vgpr_count:     0
    .vgpr_spill_count: 0
    .wavefront_size: 32
    .workgroup_processor_mode: 1
  - .args:
      - .offset:         0
        .size:           144
        .value_kind:     by_value
    .group_segment_fixed_size: 0
    .kernarg_segment_align: 8
    .kernarg_segment_size: 144
    .language:       OpenCL C
    .language_version:
      - 2
      - 0
    .max_flat_workgroup_size: 256
    .name:           _ZN7rocprim17ROCPRIM_400000_NS6detail17trampoline_kernelINS0_14default_configENS1_29reduce_by_key_config_selectorIjxN6thrust23THRUST_200600_302600_NS4plusIxEEEEZZNS1_33reduce_by_key_impl_wrapped_configILNS1_25lookback_scan_determinismE0ES3_S9_NS6_6detail15normal_iteratorINS6_10device_ptrIjEEEENSD_INSE_IxEEEENS6_16discard_iteratorINS6_11use_defaultEEESI_PmS8_NS6_8equal_toIjEEEE10hipError_tPvRmT2_T3_mT4_T5_T6_T7_T8_P12ihipStream_tbENKUlT_T0_E_clISt17integral_constantIbLb1EES15_IbLb0EEEEDaS11_S12_EUlS11_E_NS1_11comp_targetILNS1_3genE0ELNS1_11target_archE4294967295ELNS1_3gpuE0ELNS1_3repE0EEENS1_30default_config_static_selectorELNS0_4arch9wavefront6targetE0EEEvT1_
    .private_segment_fixed_size: 0
    .sgpr_count:     0
    .sgpr_spill_count: 0
    .symbol:         _ZN7rocprim17ROCPRIM_400000_NS6detail17trampoline_kernelINS0_14default_configENS1_29reduce_by_key_config_selectorIjxN6thrust23THRUST_200600_302600_NS4plusIxEEEEZZNS1_33reduce_by_key_impl_wrapped_configILNS1_25lookback_scan_determinismE0ES3_S9_NS6_6detail15normal_iteratorINS6_10device_ptrIjEEEENSD_INSE_IxEEEENS6_16discard_iteratorINS6_11use_defaultEEESI_PmS8_NS6_8equal_toIjEEEE10hipError_tPvRmT2_T3_mT4_T5_T6_T7_T8_P12ihipStream_tbENKUlT_T0_E_clISt17integral_constantIbLb1EES15_IbLb0EEEEDaS11_S12_EUlS11_E_NS1_11comp_targetILNS1_3genE0ELNS1_11target_archE4294967295ELNS1_3gpuE0ELNS1_3repE0EEENS1_30default_config_static_selectorELNS0_4arch9wavefront6targetE0EEEvT1_.kd
    .uniform_work_group_size: 1
    .uses_dynamic_stack: false
    .vgpr_count:     0
    .vgpr_spill_count: 0
    .wavefront_size: 32
    .workgroup_processor_mode: 1
  - .args:
      - .offset:         0
        .size:           144
        .value_kind:     by_value
    .group_segment_fixed_size: 0
    .kernarg_segment_align: 8
    .kernarg_segment_size: 144
    .language:       OpenCL C
    .language_version:
      - 2
      - 0
    .max_flat_workgroup_size: 256
    .name:           _ZN7rocprim17ROCPRIM_400000_NS6detail17trampoline_kernelINS0_14default_configENS1_29reduce_by_key_config_selectorIjxN6thrust23THRUST_200600_302600_NS4plusIxEEEEZZNS1_33reduce_by_key_impl_wrapped_configILNS1_25lookback_scan_determinismE0ES3_S9_NS6_6detail15normal_iteratorINS6_10device_ptrIjEEEENSD_INSE_IxEEEENS6_16discard_iteratorINS6_11use_defaultEEESI_PmS8_NS6_8equal_toIjEEEE10hipError_tPvRmT2_T3_mT4_T5_T6_T7_T8_P12ihipStream_tbENKUlT_T0_E_clISt17integral_constantIbLb1EES15_IbLb0EEEEDaS11_S12_EUlS11_E_NS1_11comp_targetILNS1_3genE5ELNS1_11target_archE942ELNS1_3gpuE9ELNS1_3repE0EEENS1_30default_config_static_selectorELNS0_4arch9wavefront6targetE0EEEvT1_
    .private_segment_fixed_size: 0
    .sgpr_count:     0
    .sgpr_spill_count: 0
    .symbol:         _ZN7rocprim17ROCPRIM_400000_NS6detail17trampoline_kernelINS0_14default_configENS1_29reduce_by_key_config_selectorIjxN6thrust23THRUST_200600_302600_NS4plusIxEEEEZZNS1_33reduce_by_key_impl_wrapped_configILNS1_25lookback_scan_determinismE0ES3_S9_NS6_6detail15normal_iteratorINS6_10device_ptrIjEEEENSD_INSE_IxEEEENS6_16discard_iteratorINS6_11use_defaultEEESI_PmS8_NS6_8equal_toIjEEEE10hipError_tPvRmT2_T3_mT4_T5_T6_T7_T8_P12ihipStream_tbENKUlT_T0_E_clISt17integral_constantIbLb1EES15_IbLb0EEEEDaS11_S12_EUlS11_E_NS1_11comp_targetILNS1_3genE5ELNS1_11target_archE942ELNS1_3gpuE9ELNS1_3repE0EEENS1_30default_config_static_selectorELNS0_4arch9wavefront6targetE0EEEvT1_.kd
    .uniform_work_group_size: 1
    .uses_dynamic_stack: false
    .vgpr_count:     0
    .vgpr_spill_count: 0
    .wavefront_size: 32
    .workgroup_processor_mode: 1
  - .args:
      - .offset:         0
        .size:           144
        .value_kind:     by_value
    .group_segment_fixed_size: 0
    .kernarg_segment_align: 8
    .kernarg_segment_size: 144
    .language:       OpenCL C
    .language_version:
      - 2
      - 0
    .max_flat_workgroup_size: 256
    .name:           _ZN7rocprim17ROCPRIM_400000_NS6detail17trampoline_kernelINS0_14default_configENS1_29reduce_by_key_config_selectorIjxN6thrust23THRUST_200600_302600_NS4plusIxEEEEZZNS1_33reduce_by_key_impl_wrapped_configILNS1_25lookback_scan_determinismE0ES3_S9_NS6_6detail15normal_iteratorINS6_10device_ptrIjEEEENSD_INSE_IxEEEENS6_16discard_iteratorINS6_11use_defaultEEESI_PmS8_NS6_8equal_toIjEEEE10hipError_tPvRmT2_T3_mT4_T5_T6_T7_T8_P12ihipStream_tbENKUlT_T0_E_clISt17integral_constantIbLb1EES15_IbLb0EEEEDaS11_S12_EUlS11_E_NS1_11comp_targetILNS1_3genE4ELNS1_11target_archE910ELNS1_3gpuE8ELNS1_3repE0EEENS1_30default_config_static_selectorELNS0_4arch9wavefront6targetE0EEEvT1_
    .private_segment_fixed_size: 0
    .sgpr_count:     0
    .sgpr_spill_count: 0
    .symbol:         _ZN7rocprim17ROCPRIM_400000_NS6detail17trampoline_kernelINS0_14default_configENS1_29reduce_by_key_config_selectorIjxN6thrust23THRUST_200600_302600_NS4plusIxEEEEZZNS1_33reduce_by_key_impl_wrapped_configILNS1_25lookback_scan_determinismE0ES3_S9_NS6_6detail15normal_iteratorINS6_10device_ptrIjEEEENSD_INSE_IxEEEENS6_16discard_iteratorINS6_11use_defaultEEESI_PmS8_NS6_8equal_toIjEEEE10hipError_tPvRmT2_T3_mT4_T5_T6_T7_T8_P12ihipStream_tbENKUlT_T0_E_clISt17integral_constantIbLb1EES15_IbLb0EEEEDaS11_S12_EUlS11_E_NS1_11comp_targetILNS1_3genE4ELNS1_11target_archE910ELNS1_3gpuE8ELNS1_3repE0EEENS1_30default_config_static_selectorELNS0_4arch9wavefront6targetE0EEEvT1_.kd
    .uniform_work_group_size: 1
    .uses_dynamic_stack: false
    .vgpr_count:     0
    .vgpr_spill_count: 0
    .wavefront_size: 32
    .workgroup_processor_mode: 1
  - .args:
      - .offset:         0
        .size:           144
        .value_kind:     by_value
    .group_segment_fixed_size: 0
    .kernarg_segment_align: 8
    .kernarg_segment_size: 144
    .language:       OpenCL C
    .language_version:
      - 2
      - 0
    .max_flat_workgroup_size: 256
    .name:           _ZN7rocprim17ROCPRIM_400000_NS6detail17trampoline_kernelINS0_14default_configENS1_29reduce_by_key_config_selectorIjxN6thrust23THRUST_200600_302600_NS4plusIxEEEEZZNS1_33reduce_by_key_impl_wrapped_configILNS1_25lookback_scan_determinismE0ES3_S9_NS6_6detail15normal_iteratorINS6_10device_ptrIjEEEENSD_INSE_IxEEEENS6_16discard_iteratorINS6_11use_defaultEEESI_PmS8_NS6_8equal_toIjEEEE10hipError_tPvRmT2_T3_mT4_T5_T6_T7_T8_P12ihipStream_tbENKUlT_T0_E_clISt17integral_constantIbLb1EES15_IbLb0EEEEDaS11_S12_EUlS11_E_NS1_11comp_targetILNS1_3genE3ELNS1_11target_archE908ELNS1_3gpuE7ELNS1_3repE0EEENS1_30default_config_static_selectorELNS0_4arch9wavefront6targetE0EEEvT1_
    .private_segment_fixed_size: 0
    .sgpr_count:     0
    .sgpr_spill_count: 0
    .symbol:         _ZN7rocprim17ROCPRIM_400000_NS6detail17trampoline_kernelINS0_14default_configENS1_29reduce_by_key_config_selectorIjxN6thrust23THRUST_200600_302600_NS4plusIxEEEEZZNS1_33reduce_by_key_impl_wrapped_configILNS1_25lookback_scan_determinismE0ES3_S9_NS6_6detail15normal_iteratorINS6_10device_ptrIjEEEENSD_INSE_IxEEEENS6_16discard_iteratorINS6_11use_defaultEEESI_PmS8_NS6_8equal_toIjEEEE10hipError_tPvRmT2_T3_mT4_T5_T6_T7_T8_P12ihipStream_tbENKUlT_T0_E_clISt17integral_constantIbLb1EES15_IbLb0EEEEDaS11_S12_EUlS11_E_NS1_11comp_targetILNS1_3genE3ELNS1_11target_archE908ELNS1_3gpuE7ELNS1_3repE0EEENS1_30default_config_static_selectorELNS0_4arch9wavefront6targetE0EEEvT1_.kd
    .uniform_work_group_size: 1
    .uses_dynamic_stack: false
    .vgpr_count:     0
    .vgpr_spill_count: 0
    .wavefront_size: 32
    .workgroup_processor_mode: 1
  - .args:
      - .offset:         0
        .size:           144
        .value_kind:     by_value
    .group_segment_fixed_size: 0
    .kernarg_segment_align: 8
    .kernarg_segment_size: 144
    .language:       OpenCL C
    .language_version:
      - 2
      - 0
    .max_flat_workgroup_size: 256
    .name:           _ZN7rocprim17ROCPRIM_400000_NS6detail17trampoline_kernelINS0_14default_configENS1_29reduce_by_key_config_selectorIjxN6thrust23THRUST_200600_302600_NS4plusIxEEEEZZNS1_33reduce_by_key_impl_wrapped_configILNS1_25lookback_scan_determinismE0ES3_S9_NS6_6detail15normal_iteratorINS6_10device_ptrIjEEEENSD_INSE_IxEEEENS6_16discard_iteratorINS6_11use_defaultEEESI_PmS8_NS6_8equal_toIjEEEE10hipError_tPvRmT2_T3_mT4_T5_T6_T7_T8_P12ihipStream_tbENKUlT_T0_E_clISt17integral_constantIbLb1EES15_IbLb0EEEEDaS11_S12_EUlS11_E_NS1_11comp_targetILNS1_3genE2ELNS1_11target_archE906ELNS1_3gpuE6ELNS1_3repE0EEENS1_30default_config_static_selectorELNS0_4arch9wavefront6targetE0EEEvT1_
    .private_segment_fixed_size: 0
    .sgpr_count:     0
    .sgpr_spill_count: 0
    .symbol:         _ZN7rocprim17ROCPRIM_400000_NS6detail17trampoline_kernelINS0_14default_configENS1_29reduce_by_key_config_selectorIjxN6thrust23THRUST_200600_302600_NS4plusIxEEEEZZNS1_33reduce_by_key_impl_wrapped_configILNS1_25lookback_scan_determinismE0ES3_S9_NS6_6detail15normal_iteratorINS6_10device_ptrIjEEEENSD_INSE_IxEEEENS6_16discard_iteratorINS6_11use_defaultEEESI_PmS8_NS6_8equal_toIjEEEE10hipError_tPvRmT2_T3_mT4_T5_T6_T7_T8_P12ihipStream_tbENKUlT_T0_E_clISt17integral_constantIbLb1EES15_IbLb0EEEEDaS11_S12_EUlS11_E_NS1_11comp_targetILNS1_3genE2ELNS1_11target_archE906ELNS1_3gpuE6ELNS1_3repE0EEENS1_30default_config_static_selectorELNS0_4arch9wavefront6targetE0EEEvT1_.kd
    .uniform_work_group_size: 1
    .uses_dynamic_stack: false
    .vgpr_count:     0
    .vgpr_spill_count: 0
    .wavefront_size: 32
    .workgroup_processor_mode: 1
  - .args:
      - .offset:         0
        .size:           144
        .value_kind:     by_value
    .group_segment_fixed_size: 0
    .kernarg_segment_align: 8
    .kernarg_segment_size: 144
    .language:       OpenCL C
    .language_version:
      - 2
      - 0
    .max_flat_workgroup_size: 256
    .name:           _ZN7rocprim17ROCPRIM_400000_NS6detail17trampoline_kernelINS0_14default_configENS1_29reduce_by_key_config_selectorIjxN6thrust23THRUST_200600_302600_NS4plusIxEEEEZZNS1_33reduce_by_key_impl_wrapped_configILNS1_25lookback_scan_determinismE0ES3_S9_NS6_6detail15normal_iteratorINS6_10device_ptrIjEEEENSD_INSE_IxEEEENS6_16discard_iteratorINS6_11use_defaultEEESI_PmS8_NS6_8equal_toIjEEEE10hipError_tPvRmT2_T3_mT4_T5_T6_T7_T8_P12ihipStream_tbENKUlT_T0_E_clISt17integral_constantIbLb1EES15_IbLb0EEEEDaS11_S12_EUlS11_E_NS1_11comp_targetILNS1_3genE10ELNS1_11target_archE1201ELNS1_3gpuE5ELNS1_3repE0EEENS1_30default_config_static_selectorELNS0_4arch9wavefront6targetE0EEEvT1_
    .private_segment_fixed_size: 0
    .sgpr_count:     0
    .sgpr_spill_count: 0
    .symbol:         _ZN7rocprim17ROCPRIM_400000_NS6detail17trampoline_kernelINS0_14default_configENS1_29reduce_by_key_config_selectorIjxN6thrust23THRUST_200600_302600_NS4plusIxEEEEZZNS1_33reduce_by_key_impl_wrapped_configILNS1_25lookback_scan_determinismE0ES3_S9_NS6_6detail15normal_iteratorINS6_10device_ptrIjEEEENSD_INSE_IxEEEENS6_16discard_iteratorINS6_11use_defaultEEESI_PmS8_NS6_8equal_toIjEEEE10hipError_tPvRmT2_T3_mT4_T5_T6_T7_T8_P12ihipStream_tbENKUlT_T0_E_clISt17integral_constantIbLb1EES15_IbLb0EEEEDaS11_S12_EUlS11_E_NS1_11comp_targetILNS1_3genE10ELNS1_11target_archE1201ELNS1_3gpuE5ELNS1_3repE0EEENS1_30default_config_static_selectorELNS0_4arch9wavefront6targetE0EEEvT1_.kd
    .uniform_work_group_size: 1
    .uses_dynamic_stack: false
    .vgpr_count:     0
    .vgpr_spill_count: 0
    .wavefront_size: 32
    .workgroup_processor_mode: 1
  - .args:
      - .offset:         0
        .size:           144
        .value_kind:     by_value
    .group_segment_fixed_size: 0
    .kernarg_segment_align: 8
    .kernarg_segment_size: 144
    .language:       OpenCL C
    .language_version:
      - 2
      - 0
    .max_flat_workgroup_size: 256
    .name:           _ZN7rocprim17ROCPRIM_400000_NS6detail17trampoline_kernelINS0_14default_configENS1_29reduce_by_key_config_selectorIjxN6thrust23THRUST_200600_302600_NS4plusIxEEEEZZNS1_33reduce_by_key_impl_wrapped_configILNS1_25lookback_scan_determinismE0ES3_S9_NS6_6detail15normal_iteratorINS6_10device_ptrIjEEEENSD_INSE_IxEEEENS6_16discard_iteratorINS6_11use_defaultEEESI_PmS8_NS6_8equal_toIjEEEE10hipError_tPvRmT2_T3_mT4_T5_T6_T7_T8_P12ihipStream_tbENKUlT_T0_E_clISt17integral_constantIbLb1EES15_IbLb0EEEEDaS11_S12_EUlS11_E_NS1_11comp_targetILNS1_3genE10ELNS1_11target_archE1200ELNS1_3gpuE4ELNS1_3repE0EEENS1_30default_config_static_selectorELNS0_4arch9wavefront6targetE0EEEvT1_
    .private_segment_fixed_size: 0
    .sgpr_count:     0
    .sgpr_spill_count: 0
    .symbol:         _ZN7rocprim17ROCPRIM_400000_NS6detail17trampoline_kernelINS0_14default_configENS1_29reduce_by_key_config_selectorIjxN6thrust23THRUST_200600_302600_NS4plusIxEEEEZZNS1_33reduce_by_key_impl_wrapped_configILNS1_25lookback_scan_determinismE0ES3_S9_NS6_6detail15normal_iteratorINS6_10device_ptrIjEEEENSD_INSE_IxEEEENS6_16discard_iteratorINS6_11use_defaultEEESI_PmS8_NS6_8equal_toIjEEEE10hipError_tPvRmT2_T3_mT4_T5_T6_T7_T8_P12ihipStream_tbENKUlT_T0_E_clISt17integral_constantIbLb1EES15_IbLb0EEEEDaS11_S12_EUlS11_E_NS1_11comp_targetILNS1_3genE10ELNS1_11target_archE1200ELNS1_3gpuE4ELNS1_3repE0EEENS1_30default_config_static_selectorELNS0_4arch9wavefront6targetE0EEEvT1_.kd
    .uniform_work_group_size: 1
    .uses_dynamic_stack: false
    .vgpr_count:     0
    .vgpr_spill_count: 0
    .wavefront_size: 32
    .workgroup_processor_mode: 1
  - .args:
      - .offset:         0
        .size:           144
        .value_kind:     by_value
    .group_segment_fixed_size: 30720
    .kernarg_segment_align: 8
    .kernarg_segment_size: 144
    .language:       OpenCL C
    .language_version:
      - 2
      - 0
    .max_flat_workgroup_size: 256
    .name:           _ZN7rocprim17ROCPRIM_400000_NS6detail17trampoline_kernelINS0_14default_configENS1_29reduce_by_key_config_selectorIjxN6thrust23THRUST_200600_302600_NS4plusIxEEEEZZNS1_33reduce_by_key_impl_wrapped_configILNS1_25lookback_scan_determinismE0ES3_S9_NS6_6detail15normal_iteratorINS6_10device_ptrIjEEEENSD_INSE_IxEEEENS6_16discard_iteratorINS6_11use_defaultEEESI_PmS8_NS6_8equal_toIjEEEE10hipError_tPvRmT2_T3_mT4_T5_T6_T7_T8_P12ihipStream_tbENKUlT_T0_E_clISt17integral_constantIbLb1EES15_IbLb0EEEEDaS11_S12_EUlS11_E_NS1_11comp_targetILNS1_3genE9ELNS1_11target_archE1100ELNS1_3gpuE3ELNS1_3repE0EEENS1_30default_config_static_selectorELNS0_4arch9wavefront6targetE0EEEvT1_
    .private_segment_fixed_size: 0
    .sgpr_count:     54
    .sgpr_spill_count: 0
    .symbol:         _ZN7rocprim17ROCPRIM_400000_NS6detail17trampoline_kernelINS0_14default_configENS1_29reduce_by_key_config_selectorIjxN6thrust23THRUST_200600_302600_NS4plusIxEEEEZZNS1_33reduce_by_key_impl_wrapped_configILNS1_25lookback_scan_determinismE0ES3_S9_NS6_6detail15normal_iteratorINS6_10device_ptrIjEEEENSD_INSE_IxEEEENS6_16discard_iteratorINS6_11use_defaultEEESI_PmS8_NS6_8equal_toIjEEEE10hipError_tPvRmT2_T3_mT4_T5_T6_T7_T8_P12ihipStream_tbENKUlT_T0_E_clISt17integral_constantIbLb1EES15_IbLb0EEEEDaS11_S12_EUlS11_E_NS1_11comp_targetILNS1_3genE9ELNS1_11target_archE1100ELNS1_3gpuE3ELNS1_3repE0EEENS1_30default_config_static_selectorELNS0_4arch9wavefront6targetE0EEEvT1_.kd
    .uniform_work_group_size: 1
    .uses_dynamic_stack: false
    .vgpr_count:     103
    .vgpr_spill_count: 0
    .wavefront_size: 32
    .workgroup_processor_mode: 1
  - .args:
      - .offset:         0
        .size:           144
        .value_kind:     by_value
    .group_segment_fixed_size: 0
    .kernarg_segment_align: 8
    .kernarg_segment_size: 144
    .language:       OpenCL C
    .language_version:
      - 2
      - 0
    .max_flat_workgroup_size: 256
    .name:           _ZN7rocprim17ROCPRIM_400000_NS6detail17trampoline_kernelINS0_14default_configENS1_29reduce_by_key_config_selectorIjxN6thrust23THRUST_200600_302600_NS4plusIxEEEEZZNS1_33reduce_by_key_impl_wrapped_configILNS1_25lookback_scan_determinismE0ES3_S9_NS6_6detail15normal_iteratorINS6_10device_ptrIjEEEENSD_INSE_IxEEEENS6_16discard_iteratorINS6_11use_defaultEEESI_PmS8_NS6_8equal_toIjEEEE10hipError_tPvRmT2_T3_mT4_T5_T6_T7_T8_P12ihipStream_tbENKUlT_T0_E_clISt17integral_constantIbLb1EES15_IbLb0EEEEDaS11_S12_EUlS11_E_NS1_11comp_targetILNS1_3genE8ELNS1_11target_archE1030ELNS1_3gpuE2ELNS1_3repE0EEENS1_30default_config_static_selectorELNS0_4arch9wavefront6targetE0EEEvT1_
    .private_segment_fixed_size: 0
    .sgpr_count:     0
    .sgpr_spill_count: 0
    .symbol:         _ZN7rocprim17ROCPRIM_400000_NS6detail17trampoline_kernelINS0_14default_configENS1_29reduce_by_key_config_selectorIjxN6thrust23THRUST_200600_302600_NS4plusIxEEEEZZNS1_33reduce_by_key_impl_wrapped_configILNS1_25lookback_scan_determinismE0ES3_S9_NS6_6detail15normal_iteratorINS6_10device_ptrIjEEEENSD_INSE_IxEEEENS6_16discard_iteratorINS6_11use_defaultEEESI_PmS8_NS6_8equal_toIjEEEE10hipError_tPvRmT2_T3_mT4_T5_T6_T7_T8_P12ihipStream_tbENKUlT_T0_E_clISt17integral_constantIbLb1EES15_IbLb0EEEEDaS11_S12_EUlS11_E_NS1_11comp_targetILNS1_3genE8ELNS1_11target_archE1030ELNS1_3gpuE2ELNS1_3repE0EEENS1_30default_config_static_selectorELNS0_4arch9wavefront6targetE0EEEvT1_.kd
    .uniform_work_group_size: 1
    .uses_dynamic_stack: false
    .vgpr_count:     0
    .vgpr_spill_count: 0
    .wavefront_size: 32
    .workgroup_processor_mode: 1
  - .args:
      - .offset:         0
        .size:           144
        .value_kind:     by_value
    .group_segment_fixed_size: 0
    .kernarg_segment_align: 8
    .kernarg_segment_size: 144
    .language:       OpenCL C
    .language_version:
      - 2
      - 0
    .max_flat_workgroup_size: 256
    .name:           _ZN7rocprim17ROCPRIM_400000_NS6detail17trampoline_kernelINS0_14default_configENS1_29reduce_by_key_config_selectorIjxN6thrust23THRUST_200600_302600_NS4plusIxEEEEZZNS1_33reduce_by_key_impl_wrapped_configILNS1_25lookback_scan_determinismE0ES3_S9_NS6_6detail15normal_iteratorINS6_10device_ptrIjEEEENSD_INSE_IxEEEENS6_16discard_iteratorINS6_11use_defaultEEESI_PmS8_NS6_8equal_toIjEEEE10hipError_tPvRmT2_T3_mT4_T5_T6_T7_T8_P12ihipStream_tbENKUlT_T0_E_clISt17integral_constantIbLb0EES15_IbLb1EEEEDaS11_S12_EUlS11_E_NS1_11comp_targetILNS1_3genE0ELNS1_11target_archE4294967295ELNS1_3gpuE0ELNS1_3repE0EEENS1_30default_config_static_selectorELNS0_4arch9wavefront6targetE0EEEvT1_
    .private_segment_fixed_size: 0
    .sgpr_count:     0
    .sgpr_spill_count: 0
    .symbol:         _ZN7rocprim17ROCPRIM_400000_NS6detail17trampoline_kernelINS0_14default_configENS1_29reduce_by_key_config_selectorIjxN6thrust23THRUST_200600_302600_NS4plusIxEEEEZZNS1_33reduce_by_key_impl_wrapped_configILNS1_25lookback_scan_determinismE0ES3_S9_NS6_6detail15normal_iteratorINS6_10device_ptrIjEEEENSD_INSE_IxEEEENS6_16discard_iteratorINS6_11use_defaultEEESI_PmS8_NS6_8equal_toIjEEEE10hipError_tPvRmT2_T3_mT4_T5_T6_T7_T8_P12ihipStream_tbENKUlT_T0_E_clISt17integral_constantIbLb0EES15_IbLb1EEEEDaS11_S12_EUlS11_E_NS1_11comp_targetILNS1_3genE0ELNS1_11target_archE4294967295ELNS1_3gpuE0ELNS1_3repE0EEENS1_30default_config_static_selectorELNS0_4arch9wavefront6targetE0EEEvT1_.kd
    .uniform_work_group_size: 1
    .uses_dynamic_stack: false
    .vgpr_count:     0
    .vgpr_spill_count: 0
    .wavefront_size: 32
    .workgroup_processor_mode: 1
  - .args:
      - .offset:         0
        .size:           144
        .value_kind:     by_value
    .group_segment_fixed_size: 0
    .kernarg_segment_align: 8
    .kernarg_segment_size: 144
    .language:       OpenCL C
    .language_version:
      - 2
      - 0
    .max_flat_workgroup_size: 256
    .name:           _ZN7rocprim17ROCPRIM_400000_NS6detail17trampoline_kernelINS0_14default_configENS1_29reduce_by_key_config_selectorIjxN6thrust23THRUST_200600_302600_NS4plusIxEEEEZZNS1_33reduce_by_key_impl_wrapped_configILNS1_25lookback_scan_determinismE0ES3_S9_NS6_6detail15normal_iteratorINS6_10device_ptrIjEEEENSD_INSE_IxEEEENS6_16discard_iteratorINS6_11use_defaultEEESI_PmS8_NS6_8equal_toIjEEEE10hipError_tPvRmT2_T3_mT4_T5_T6_T7_T8_P12ihipStream_tbENKUlT_T0_E_clISt17integral_constantIbLb0EES15_IbLb1EEEEDaS11_S12_EUlS11_E_NS1_11comp_targetILNS1_3genE5ELNS1_11target_archE942ELNS1_3gpuE9ELNS1_3repE0EEENS1_30default_config_static_selectorELNS0_4arch9wavefront6targetE0EEEvT1_
    .private_segment_fixed_size: 0
    .sgpr_count:     0
    .sgpr_spill_count: 0
    .symbol:         _ZN7rocprim17ROCPRIM_400000_NS6detail17trampoline_kernelINS0_14default_configENS1_29reduce_by_key_config_selectorIjxN6thrust23THRUST_200600_302600_NS4plusIxEEEEZZNS1_33reduce_by_key_impl_wrapped_configILNS1_25lookback_scan_determinismE0ES3_S9_NS6_6detail15normal_iteratorINS6_10device_ptrIjEEEENSD_INSE_IxEEEENS6_16discard_iteratorINS6_11use_defaultEEESI_PmS8_NS6_8equal_toIjEEEE10hipError_tPvRmT2_T3_mT4_T5_T6_T7_T8_P12ihipStream_tbENKUlT_T0_E_clISt17integral_constantIbLb0EES15_IbLb1EEEEDaS11_S12_EUlS11_E_NS1_11comp_targetILNS1_3genE5ELNS1_11target_archE942ELNS1_3gpuE9ELNS1_3repE0EEENS1_30default_config_static_selectorELNS0_4arch9wavefront6targetE0EEEvT1_.kd
    .uniform_work_group_size: 1
    .uses_dynamic_stack: false
    .vgpr_count:     0
    .vgpr_spill_count: 0
    .wavefront_size: 32
    .workgroup_processor_mode: 1
  - .args:
      - .offset:         0
        .size:           144
        .value_kind:     by_value
    .group_segment_fixed_size: 0
    .kernarg_segment_align: 8
    .kernarg_segment_size: 144
    .language:       OpenCL C
    .language_version:
      - 2
      - 0
    .max_flat_workgroup_size: 256
    .name:           _ZN7rocprim17ROCPRIM_400000_NS6detail17trampoline_kernelINS0_14default_configENS1_29reduce_by_key_config_selectorIjxN6thrust23THRUST_200600_302600_NS4plusIxEEEEZZNS1_33reduce_by_key_impl_wrapped_configILNS1_25lookback_scan_determinismE0ES3_S9_NS6_6detail15normal_iteratorINS6_10device_ptrIjEEEENSD_INSE_IxEEEENS6_16discard_iteratorINS6_11use_defaultEEESI_PmS8_NS6_8equal_toIjEEEE10hipError_tPvRmT2_T3_mT4_T5_T6_T7_T8_P12ihipStream_tbENKUlT_T0_E_clISt17integral_constantIbLb0EES15_IbLb1EEEEDaS11_S12_EUlS11_E_NS1_11comp_targetILNS1_3genE4ELNS1_11target_archE910ELNS1_3gpuE8ELNS1_3repE0EEENS1_30default_config_static_selectorELNS0_4arch9wavefront6targetE0EEEvT1_
    .private_segment_fixed_size: 0
    .sgpr_count:     0
    .sgpr_spill_count: 0
    .symbol:         _ZN7rocprim17ROCPRIM_400000_NS6detail17trampoline_kernelINS0_14default_configENS1_29reduce_by_key_config_selectorIjxN6thrust23THRUST_200600_302600_NS4plusIxEEEEZZNS1_33reduce_by_key_impl_wrapped_configILNS1_25lookback_scan_determinismE0ES3_S9_NS6_6detail15normal_iteratorINS6_10device_ptrIjEEEENSD_INSE_IxEEEENS6_16discard_iteratorINS6_11use_defaultEEESI_PmS8_NS6_8equal_toIjEEEE10hipError_tPvRmT2_T3_mT4_T5_T6_T7_T8_P12ihipStream_tbENKUlT_T0_E_clISt17integral_constantIbLb0EES15_IbLb1EEEEDaS11_S12_EUlS11_E_NS1_11comp_targetILNS1_3genE4ELNS1_11target_archE910ELNS1_3gpuE8ELNS1_3repE0EEENS1_30default_config_static_selectorELNS0_4arch9wavefront6targetE0EEEvT1_.kd
    .uniform_work_group_size: 1
    .uses_dynamic_stack: false
    .vgpr_count:     0
    .vgpr_spill_count: 0
    .wavefront_size: 32
    .workgroup_processor_mode: 1
  - .args:
      - .offset:         0
        .size:           144
        .value_kind:     by_value
    .group_segment_fixed_size: 0
    .kernarg_segment_align: 8
    .kernarg_segment_size: 144
    .language:       OpenCL C
    .language_version:
      - 2
      - 0
    .max_flat_workgroup_size: 256
    .name:           _ZN7rocprim17ROCPRIM_400000_NS6detail17trampoline_kernelINS0_14default_configENS1_29reduce_by_key_config_selectorIjxN6thrust23THRUST_200600_302600_NS4plusIxEEEEZZNS1_33reduce_by_key_impl_wrapped_configILNS1_25lookback_scan_determinismE0ES3_S9_NS6_6detail15normal_iteratorINS6_10device_ptrIjEEEENSD_INSE_IxEEEENS6_16discard_iteratorINS6_11use_defaultEEESI_PmS8_NS6_8equal_toIjEEEE10hipError_tPvRmT2_T3_mT4_T5_T6_T7_T8_P12ihipStream_tbENKUlT_T0_E_clISt17integral_constantIbLb0EES15_IbLb1EEEEDaS11_S12_EUlS11_E_NS1_11comp_targetILNS1_3genE3ELNS1_11target_archE908ELNS1_3gpuE7ELNS1_3repE0EEENS1_30default_config_static_selectorELNS0_4arch9wavefront6targetE0EEEvT1_
    .private_segment_fixed_size: 0
    .sgpr_count:     0
    .sgpr_spill_count: 0
    .symbol:         _ZN7rocprim17ROCPRIM_400000_NS6detail17trampoline_kernelINS0_14default_configENS1_29reduce_by_key_config_selectorIjxN6thrust23THRUST_200600_302600_NS4plusIxEEEEZZNS1_33reduce_by_key_impl_wrapped_configILNS1_25lookback_scan_determinismE0ES3_S9_NS6_6detail15normal_iteratorINS6_10device_ptrIjEEEENSD_INSE_IxEEEENS6_16discard_iteratorINS6_11use_defaultEEESI_PmS8_NS6_8equal_toIjEEEE10hipError_tPvRmT2_T3_mT4_T5_T6_T7_T8_P12ihipStream_tbENKUlT_T0_E_clISt17integral_constantIbLb0EES15_IbLb1EEEEDaS11_S12_EUlS11_E_NS1_11comp_targetILNS1_3genE3ELNS1_11target_archE908ELNS1_3gpuE7ELNS1_3repE0EEENS1_30default_config_static_selectorELNS0_4arch9wavefront6targetE0EEEvT1_.kd
    .uniform_work_group_size: 1
    .uses_dynamic_stack: false
    .vgpr_count:     0
    .vgpr_spill_count: 0
    .wavefront_size: 32
    .workgroup_processor_mode: 1
  - .args:
      - .offset:         0
        .size:           144
        .value_kind:     by_value
    .group_segment_fixed_size: 0
    .kernarg_segment_align: 8
    .kernarg_segment_size: 144
    .language:       OpenCL C
    .language_version:
      - 2
      - 0
    .max_flat_workgroup_size: 256
    .name:           _ZN7rocprim17ROCPRIM_400000_NS6detail17trampoline_kernelINS0_14default_configENS1_29reduce_by_key_config_selectorIjxN6thrust23THRUST_200600_302600_NS4plusIxEEEEZZNS1_33reduce_by_key_impl_wrapped_configILNS1_25lookback_scan_determinismE0ES3_S9_NS6_6detail15normal_iteratorINS6_10device_ptrIjEEEENSD_INSE_IxEEEENS6_16discard_iteratorINS6_11use_defaultEEESI_PmS8_NS6_8equal_toIjEEEE10hipError_tPvRmT2_T3_mT4_T5_T6_T7_T8_P12ihipStream_tbENKUlT_T0_E_clISt17integral_constantIbLb0EES15_IbLb1EEEEDaS11_S12_EUlS11_E_NS1_11comp_targetILNS1_3genE2ELNS1_11target_archE906ELNS1_3gpuE6ELNS1_3repE0EEENS1_30default_config_static_selectorELNS0_4arch9wavefront6targetE0EEEvT1_
    .private_segment_fixed_size: 0
    .sgpr_count:     0
    .sgpr_spill_count: 0
    .symbol:         _ZN7rocprim17ROCPRIM_400000_NS6detail17trampoline_kernelINS0_14default_configENS1_29reduce_by_key_config_selectorIjxN6thrust23THRUST_200600_302600_NS4plusIxEEEEZZNS1_33reduce_by_key_impl_wrapped_configILNS1_25lookback_scan_determinismE0ES3_S9_NS6_6detail15normal_iteratorINS6_10device_ptrIjEEEENSD_INSE_IxEEEENS6_16discard_iteratorINS6_11use_defaultEEESI_PmS8_NS6_8equal_toIjEEEE10hipError_tPvRmT2_T3_mT4_T5_T6_T7_T8_P12ihipStream_tbENKUlT_T0_E_clISt17integral_constantIbLb0EES15_IbLb1EEEEDaS11_S12_EUlS11_E_NS1_11comp_targetILNS1_3genE2ELNS1_11target_archE906ELNS1_3gpuE6ELNS1_3repE0EEENS1_30default_config_static_selectorELNS0_4arch9wavefront6targetE0EEEvT1_.kd
    .uniform_work_group_size: 1
    .uses_dynamic_stack: false
    .vgpr_count:     0
    .vgpr_spill_count: 0
    .wavefront_size: 32
    .workgroup_processor_mode: 1
  - .args:
      - .offset:         0
        .size:           144
        .value_kind:     by_value
    .group_segment_fixed_size: 0
    .kernarg_segment_align: 8
    .kernarg_segment_size: 144
    .language:       OpenCL C
    .language_version:
      - 2
      - 0
    .max_flat_workgroup_size: 256
    .name:           _ZN7rocprim17ROCPRIM_400000_NS6detail17trampoline_kernelINS0_14default_configENS1_29reduce_by_key_config_selectorIjxN6thrust23THRUST_200600_302600_NS4plusIxEEEEZZNS1_33reduce_by_key_impl_wrapped_configILNS1_25lookback_scan_determinismE0ES3_S9_NS6_6detail15normal_iteratorINS6_10device_ptrIjEEEENSD_INSE_IxEEEENS6_16discard_iteratorINS6_11use_defaultEEESI_PmS8_NS6_8equal_toIjEEEE10hipError_tPvRmT2_T3_mT4_T5_T6_T7_T8_P12ihipStream_tbENKUlT_T0_E_clISt17integral_constantIbLb0EES15_IbLb1EEEEDaS11_S12_EUlS11_E_NS1_11comp_targetILNS1_3genE10ELNS1_11target_archE1201ELNS1_3gpuE5ELNS1_3repE0EEENS1_30default_config_static_selectorELNS0_4arch9wavefront6targetE0EEEvT1_
    .private_segment_fixed_size: 0
    .sgpr_count:     0
    .sgpr_spill_count: 0
    .symbol:         _ZN7rocprim17ROCPRIM_400000_NS6detail17trampoline_kernelINS0_14default_configENS1_29reduce_by_key_config_selectorIjxN6thrust23THRUST_200600_302600_NS4plusIxEEEEZZNS1_33reduce_by_key_impl_wrapped_configILNS1_25lookback_scan_determinismE0ES3_S9_NS6_6detail15normal_iteratorINS6_10device_ptrIjEEEENSD_INSE_IxEEEENS6_16discard_iteratorINS6_11use_defaultEEESI_PmS8_NS6_8equal_toIjEEEE10hipError_tPvRmT2_T3_mT4_T5_T6_T7_T8_P12ihipStream_tbENKUlT_T0_E_clISt17integral_constantIbLb0EES15_IbLb1EEEEDaS11_S12_EUlS11_E_NS1_11comp_targetILNS1_3genE10ELNS1_11target_archE1201ELNS1_3gpuE5ELNS1_3repE0EEENS1_30default_config_static_selectorELNS0_4arch9wavefront6targetE0EEEvT1_.kd
    .uniform_work_group_size: 1
    .uses_dynamic_stack: false
    .vgpr_count:     0
    .vgpr_spill_count: 0
    .wavefront_size: 32
    .workgroup_processor_mode: 1
  - .args:
      - .offset:         0
        .size:           144
        .value_kind:     by_value
    .group_segment_fixed_size: 0
    .kernarg_segment_align: 8
    .kernarg_segment_size: 144
    .language:       OpenCL C
    .language_version:
      - 2
      - 0
    .max_flat_workgroup_size: 256
    .name:           _ZN7rocprim17ROCPRIM_400000_NS6detail17trampoline_kernelINS0_14default_configENS1_29reduce_by_key_config_selectorIjxN6thrust23THRUST_200600_302600_NS4plusIxEEEEZZNS1_33reduce_by_key_impl_wrapped_configILNS1_25lookback_scan_determinismE0ES3_S9_NS6_6detail15normal_iteratorINS6_10device_ptrIjEEEENSD_INSE_IxEEEENS6_16discard_iteratorINS6_11use_defaultEEESI_PmS8_NS6_8equal_toIjEEEE10hipError_tPvRmT2_T3_mT4_T5_T6_T7_T8_P12ihipStream_tbENKUlT_T0_E_clISt17integral_constantIbLb0EES15_IbLb1EEEEDaS11_S12_EUlS11_E_NS1_11comp_targetILNS1_3genE10ELNS1_11target_archE1200ELNS1_3gpuE4ELNS1_3repE0EEENS1_30default_config_static_selectorELNS0_4arch9wavefront6targetE0EEEvT1_
    .private_segment_fixed_size: 0
    .sgpr_count:     0
    .sgpr_spill_count: 0
    .symbol:         _ZN7rocprim17ROCPRIM_400000_NS6detail17trampoline_kernelINS0_14default_configENS1_29reduce_by_key_config_selectorIjxN6thrust23THRUST_200600_302600_NS4plusIxEEEEZZNS1_33reduce_by_key_impl_wrapped_configILNS1_25lookback_scan_determinismE0ES3_S9_NS6_6detail15normal_iteratorINS6_10device_ptrIjEEEENSD_INSE_IxEEEENS6_16discard_iteratorINS6_11use_defaultEEESI_PmS8_NS6_8equal_toIjEEEE10hipError_tPvRmT2_T3_mT4_T5_T6_T7_T8_P12ihipStream_tbENKUlT_T0_E_clISt17integral_constantIbLb0EES15_IbLb1EEEEDaS11_S12_EUlS11_E_NS1_11comp_targetILNS1_3genE10ELNS1_11target_archE1200ELNS1_3gpuE4ELNS1_3repE0EEENS1_30default_config_static_selectorELNS0_4arch9wavefront6targetE0EEEvT1_.kd
    .uniform_work_group_size: 1
    .uses_dynamic_stack: false
    .vgpr_count:     0
    .vgpr_spill_count: 0
    .wavefront_size: 32
    .workgroup_processor_mode: 1
  - .args:
      - .offset:         0
        .size:           144
        .value_kind:     by_value
    .group_segment_fixed_size: 30720
    .kernarg_segment_align: 8
    .kernarg_segment_size: 144
    .language:       OpenCL C
    .language_version:
      - 2
      - 0
    .max_flat_workgroup_size: 256
    .name:           _ZN7rocprim17ROCPRIM_400000_NS6detail17trampoline_kernelINS0_14default_configENS1_29reduce_by_key_config_selectorIjxN6thrust23THRUST_200600_302600_NS4plusIxEEEEZZNS1_33reduce_by_key_impl_wrapped_configILNS1_25lookback_scan_determinismE0ES3_S9_NS6_6detail15normal_iteratorINS6_10device_ptrIjEEEENSD_INSE_IxEEEENS6_16discard_iteratorINS6_11use_defaultEEESI_PmS8_NS6_8equal_toIjEEEE10hipError_tPvRmT2_T3_mT4_T5_T6_T7_T8_P12ihipStream_tbENKUlT_T0_E_clISt17integral_constantIbLb0EES15_IbLb1EEEEDaS11_S12_EUlS11_E_NS1_11comp_targetILNS1_3genE9ELNS1_11target_archE1100ELNS1_3gpuE3ELNS1_3repE0EEENS1_30default_config_static_selectorELNS0_4arch9wavefront6targetE0EEEvT1_
    .private_segment_fixed_size: 0
    .sgpr_count:     54
    .sgpr_spill_count: 0
    .symbol:         _ZN7rocprim17ROCPRIM_400000_NS6detail17trampoline_kernelINS0_14default_configENS1_29reduce_by_key_config_selectorIjxN6thrust23THRUST_200600_302600_NS4plusIxEEEEZZNS1_33reduce_by_key_impl_wrapped_configILNS1_25lookback_scan_determinismE0ES3_S9_NS6_6detail15normal_iteratorINS6_10device_ptrIjEEEENSD_INSE_IxEEEENS6_16discard_iteratorINS6_11use_defaultEEESI_PmS8_NS6_8equal_toIjEEEE10hipError_tPvRmT2_T3_mT4_T5_T6_T7_T8_P12ihipStream_tbENKUlT_T0_E_clISt17integral_constantIbLb0EES15_IbLb1EEEEDaS11_S12_EUlS11_E_NS1_11comp_targetILNS1_3genE9ELNS1_11target_archE1100ELNS1_3gpuE3ELNS1_3repE0EEENS1_30default_config_static_selectorELNS0_4arch9wavefront6targetE0EEEvT1_.kd
    .uniform_work_group_size: 1
    .uses_dynamic_stack: false
    .vgpr_count:     103
    .vgpr_spill_count: 0
    .wavefront_size: 32
    .workgroup_processor_mode: 1
  - .args:
      - .offset:         0
        .size:           144
        .value_kind:     by_value
    .group_segment_fixed_size: 0
    .kernarg_segment_align: 8
    .kernarg_segment_size: 144
    .language:       OpenCL C
    .language_version:
      - 2
      - 0
    .max_flat_workgroup_size: 256
    .name:           _ZN7rocprim17ROCPRIM_400000_NS6detail17trampoline_kernelINS0_14default_configENS1_29reduce_by_key_config_selectorIjxN6thrust23THRUST_200600_302600_NS4plusIxEEEEZZNS1_33reduce_by_key_impl_wrapped_configILNS1_25lookback_scan_determinismE0ES3_S9_NS6_6detail15normal_iteratorINS6_10device_ptrIjEEEENSD_INSE_IxEEEENS6_16discard_iteratorINS6_11use_defaultEEESI_PmS8_NS6_8equal_toIjEEEE10hipError_tPvRmT2_T3_mT4_T5_T6_T7_T8_P12ihipStream_tbENKUlT_T0_E_clISt17integral_constantIbLb0EES15_IbLb1EEEEDaS11_S12_EUlS11_E_NS1_11comp_targetILNS1_3genE8ELNS1_11target_archE1030ELNS1_3gpuE2ELNS1_3repE0EEENS1_30default_config_static_selectorELNS0_4arch9wavefront6targetE0EEEvT1_
    .private_segment_fixed_size: 0
    .sgpr_count:     0
    .sgpr_spill_count: 0
    .symbol:         _ZN7rocprim17ROCPRIM_400000_NS6detail17trampoline_kernelINS0_14default_configENS1_29reduce_by_key_config_selectorIjxN6thrust23THRUST_200600_302600_NS4plusIxEEEEZZNS1_33reduce_by_key_impl_wrapped_configILNS1_25lookback_scan_determinismE0ES3_S9_NS6_6detail15normal_iteratorINS6_10device_ptrIjEEEENSD_INSE_IxEEEENS6_16discard_iteratorINS6_11use_defaultEEESI_PmS8_NS6_8equal_toIjEEEE10hipError_tPvRmT2_T3_mT4_T5_T6_T7_T8_P12ihipStream_tbENKUlT_T0_E_clISt17integral_constantIbLb0EES15_IbLb1EEEEDaS11_S12_EUlS11_E_NS1_11comp_targetILNS1_3genE8ELNS1_11target_archE1030ELNS1_3gpuE2ELNS1_3repE0EEENS1_30default_config_static_selectorELNS0_4arch9wavefront6targetE0EEEvT1_.kd
    .uniform_work_group_size: 1
    .uses_dynamic_stack: false
    .vgpr_count:     0
    .vgpr_spill_count: 0
    .wavefront_size: 32
    .workgroup_processor_mode: 1
  - .args:
      - .offset:         0
        .size:           128
        .value_kind:     by_value
    .group_segment_fixed_size: 0
    .kernarg_segment_align: 8
    .kernarg_segment_size: 128
    .language:       OpenCL C
    .language_version:
      - 2
      - 0
    .max_flat_workgroup_size: 256
    .name:           _ZN7rocprim17ROCPRIM_400000_NS6detail17trampoline_kernelINS0_14default_configENS1_29reduce_by_key_config_selectorIjiN6thrust23THRUST_200600_302600_NS4plusIiEEEEZZNS1_33reduce_by_key_impl_wrapped_configILNS1_25lookback_scan_determinismE0ES3_S9_NS6_6detail15normal_iteratorINS6_10device_ptrIjEEEENSD_INSE_IiEEEENS6_16discard_iteratorINS6_11use_defaultEEESI_PmS8_NS6_8equal_toIjEEEE10hipError_tPvRmT2_T3_mT4_T5_T6_T7_T8_P12ihipStream_tbENKUlT_T0_E_clISt17integral_constantIbLb0EES16_EEDaS11_S12_EUlS11_E_NS1_11comp_targetILNS1_3genE0ELNS1_11target_archE4294967295ELNS1_3gpuE0ELNS1_3repE0EEENS1_30default_config_static_selectorELNS0_4arch9wavefront6targetE0EEEvT1_
    .private_segment_fixed_size: 0
    .sgpr_count:     0
    .sgpr_spill_count: 0
    .symbol:         _ZN7rocprim17ROCPRIM_400000_NS6detail17trampoline_kernelINS0_14default_configENS1_29reduce_by_key_config_selectorIjiN6thrust23THRUST_200600_302600_NS4plusIiEEEEZZNS1_33reduce_by_key_impl_wrapped_configILNS1_25lookback_scan_determinismE0ES3_S9_NS6_6detail15normal_iteratorINS6_10device_ptrIjEEEENSD_INSE_IiEEEENS6_16discard_iteratorINS6_11use_defaultEEESI_PmS8_NS6_8equal_toIjEEEE10hipError_tPvRmT2_T3_mT4_T5_T6_T7_T8_P12ihipStream_tbENKUlT_T0_E_clISt17integral_constantIbLb0EES16_EEDaS11_S12_EUlS11_E_NS1_11comp_targetILNS1_3genE0ELNS1_11target_archE4294967295ELNS1_3gpuE0ELNS1_3repE0EEENS1_30default_config_static_selectorELNS0_4arch9wavefront6targetE0EEEvT1_.kd
    .uniform_work_group_size: 1
    .uses_dynamic_stack: false
    .vgpr_count:     0
    .vgpr_spill_count: 0
    .wavefront_size: 32
    .workgroup_processor_mode: 1
  - .args:
      - .offset:         0
        .size:           128
        .value_kind:     by_value
    .group_segment_fixed_size: 0
    .kernarg_segment_align: 8
    .kernarg_segment_size: 128
    .language:       OpenCL C
    .language_version:
      - 2
      - 0
    .max_flat_workgroup_size: 256
    .name:           _ZN7rocprim17ROCPRIM_400000_NS6detail17trampoline_kernelINS0_14default_configENS1_29reduce_by_key_config_selectorIjiN6thrust23THRUST_200600_302600_NS4plusIiEEEEZZNS1_33reduce_by_key_impl_wrapped_configILNS1_25lookback_scan_determinismE0ES3_S9_NS6_6detail15normal_iteratorINS6_10device_ptrIjEEEENSD_INSE_IiEEEENS6_16discard_iteratorINS6_11use_defaultEEESI_PmS8_NS6_8equal_toIjEEEE10hipError_tPvRmT2_T3_mT4_T5_T6_T7_T8_P12ihipStream_tbENKUlT_T0_E_clISt17integral_constantIbLb0EES16_EEDaS11_S12_EUlS11_E_NS1_11comp_targetILNS1_3genE5ELNS1_11target_archE942ELNS1_3gpuE9ELNS1_3repE0EEENS1_30default_config_static_selectorELNS0_4arch9wavefront6targetE0EEEvT1_
    .private_segment_fixed_size: 0
    .sgpr_count:     0
    .sgpr_spill_count: 0
    .symbol:         _ZN7rocprim17ROCPRIM_400000_NS6detail17trampoline_kernelINS0_14default_configENS1_29reduce_by_key_config_selectorIjiN6thrust23THRUST_200600_302600_NS4plusIiEEEEZZNS1_33reduce_by_key_impl_wrapped_configILNS1_25lookback_scan_determinismE0ES3_S9_NS6_6detail15normal_iteratorINS6_10device_ptrIjEEEENSD_INSE_IiEEEENS6_16discard_iteratorINS6_11use_defaultEEESI_PmS8_NS6_8equal_toIjEEEE10hipError_tPvRmT2_T3_mT4_T5_T6_T7_T8_P12ihipStream_tbENKUlT_T0_E_clISt17integral_constantIbLb0EES16_EEDaS11_S12_EUlS11_E_NS1_11comp_targetILNS1_3genE5ELNS1_11target_archE942ELNS1_3gpuE9ELNS1_3repE0EEENS1_30default_config_static_selectorELNS0_4arch9wavefront6targetE0EEEvT1_.kd
    .uniform_work_group_size: 1
    .uses_dynamic_stack: false
    .vgpr_count:     0
    .vgpr_spill_count: 0
    .wavefront_size: 32
    .workgroup_processor_mode: 1
  - .args:
      - .offset:         0
        .size:           128
        .value_kind:     by_value
    .group_segment_fixed_size: 0
    .kernarg_segment_align: 8
    .kernarg_segment_size: 128
    .language:       OpenCL C
    .language_version:
      - 2
      - 0
    .max_flat_workgroup_size: 256
    .name:           _ZN7rocprim17ROCPRIM_400000_NS6detail17trampoline_kernelINS0_14default_configENS1_29reduce_by_key_config_selectorIjiN6thrust23THRUST_200600_302600_NS4plusIiEEEEZZNS1_33reduce_by_key_impl_wrapped_configILNS1_25lookback_scan_determinismE0ES3_S9_NS6_6detail15normal_iteratorINS6_10device_ptrIjEEEENSD_INSE_IiEEEENS6_16discard_iteratorINS6_11use_defaultEEESI_PmS8_NS6_8equal_toIjEEEE10hipError_tPvRmT2_T3_mT4_T5_T6_T7_T8_P12ihipStream_tbENKUlT_T0_E_clISt17integral_constantIbLb0EES16_EEDaS11_S12_EUlS11_E_NS1_11comp_targetILNS1_3genE4ELNS1_11target_archE910ELNS1_3gpuE8ELNS1_3repE0EEENS1_30default_config_static_selectorELNS0_4arch9wavefront6targetE0EEEvT1_
    .private_segment_fixed_size: 0
    .sgpr_count:     0
    .sgpr_spill_count: 0
    .symbol:         _ZN7rocprim17ROCPRIM_400000_NS6detail17trampoline_kernelINS0_14default_configENS1_29reduce_by_key_config_selectorIjiN6thrust23THRUST_200600_302600_NS4plusIiEEEEZZNS1_33reduce_by_key_impl_wrapped_configILNS1_25lookback_scan_determinismE0ES3_S9_NS6_6detail15normal_iteratorINS6_10device_ptrIjEEEENSD_INSE_IiEEEENS6_16discard_iteratorINS6_11use_defaultEEESI_PmS8_NS6_8equal_toIjEEEE10hipError_tPvRmT2_T3_mT4_T5_T6_T7_T8_P12ihipStream_tbENKUlT_T0_E_clISt17integral_constantIbLb0EES16_EEDaS11_S12_EUlS11_E_NS1_11comp_targetILNS1_3genE4ELNS1_11target_archE910ELNS1_3gpuE8ELNS1_3repE0EEENS1_30default_config_static_selectorELNS0_4arch9wavefront6targetE0EEEvT1_.kd
    .uniform_work_group_size: 1
    .uses_dynamic_stack: false
    .vgpr_count:     0
    .vgpr_spill_count: 0
    .wavefront_size: 32
    .workgroup_processor_mode: 1
  - .args:
      - .offset:         0
        .size:           128
        .value_kind:     by_value
    .group_segment_fixed_size: 0
    .kernarg_segment_align: 8
    .kernarg_segment_size: 128
    .language:       OpenCL C
    .language_version:
      - 2
      - 0
    .max_flat_workgroup_size: 256
    .name:           _ZN7rocprim17ROCPRIM_400000_NS6detail17trampoline_kernelINS0_14default_configENS1_29reduce_by_key_config_selectorIjiN6thrust23THRUST_200600_302600_NS4plusIiEEEEZZNS1_33reduce_by_key_impl_wrapped_configILNS1_25lookback_scan_determinismE0ES3_S9_NS6_6detail15normal_iteratorINS6_10device_ptrIjEEEENSD_INSE_IiEEEENS6_16discard_iteratorINS6_11use_defaultEEESI_PmS8_NS6_8equal_toIjEEEE10hipError_tPvRmT2_T3_mT4_T5_T6_T7_T8_P12ihipStream_tbENKUlT_T0_E_clISt17integral_constantIbLb0EES16_EEDaS11_S12_EUlS11_E_NS1_11comp_targetILNS1_3genE3ELNS1_11target_archE908ELNS1_3gpuE7ELNS1_3repE0EEENS1_30default_config_static_selectorELNS0_4arch9wavefront6targetE0EEEvT1_
    .private_segment_fixed_size: 0
    .sgpr_count:     0
    .sgpr_spill_count: 0
    .symbol:         _ZN7rocprim17ROCPRIM_400000_NS6detail17trampoline_kernelINS0_14default_configENS1_29reduce_by_key_config_selectorIjiN6thrust23THRUST_200600_302600_NS4plusIiEEEEZZNS1_33reduce_by_key_impl_wrapped_configILNS1_25lookback_scan_determinismE0ES3_S9_NS6_6detail15normal_iteratorINS6_10device_ptrIjEEEENSD_INSE_IiEEEENS6_16discard_iteratorINS6_11use_defaultEEESI_PmS8_NS6_8equal_toIjEEEE10hipError_tPvRmT2_T3_mT4_T5_T6_T7_T8_P12ihipStream_tbENKUlT_T0_E_clISt17integral_constantIbLb0EES16_EEDaS11_S12_EUlS11_E_NS1_11comp_targetILNS1_3genE3ELNS1_11target_archE908ELNS1_3gpuE7ELNS1_3repE0EEENS1_30default_config_static_selectorELNS0_4arch9wavefront6targetE0EEEvT1_.kd
    .uniform_work_group_size: 1
    .uses_dynamic_stack: false
    .vgpr_count:     0
    .vgpr_spill_count: 0
    .wavefront_size: 32
    .workgroup_processor_mode: 1
  - .args:
      - .offset:         0
        .size:           128
        .value_kind:     by_value
    .group_segment_fixed_size: 0
    .kernarg_segment_align: 8
    .kernarg_segment_size: 128
    .language:       OpenCL C
    .language_version:
      - 2
      - 0
    .max_flat_workgroup_size: 256
    .name:           _ZN7rocprim17ROCPRIM_400000_NS6detail17trampoline_kernelINS0_14default_configENS1_29reduce_by_key_config_selectorIjiN6thrust23THRUST_200600_302600_NS4plusIiEEEEZZNS1_33reduce_by_key_impl_wrapped_configILNS1_25lookback_scan_determinismE0ES3_S9_NS6_6detail15normal_iteratorINS6_10device_ptrIjEEEENSD_INSE_IiEEEENS6_16discard_iteratorINS6_11use_defaultEEESI_PmS8_NS6_8equal_toIjEEEE10hipError_tPvRmT2_T3_mT4_T5_T6_T7_T8_P12ihipStream_tbENKUlT_T0_E_clISt17integral_constantIbLb0EES16_EEDaS11_S12_EUlS11_E_NS1_11comp_targetILNS1_3genE2ELNS1_11target_archE906ELNS1_3gpuE6ELNS1_3repE0EEENS1_30default_config_static_selectorELNS0_4arch9wavefront6targetE0EEEvT1_
    .private_segment_fixed_size: 0
    .sgpr_count:     0
    .sgpr_spill_count: 0
    .symbol:         _ZN7rocprim17ROCPRIM_400000_NS6detail17trampoline_kernelINS0_14default_configENS1_29reduce_by_key_config_selectorIjiN6thrust23THRUST_200600_302600_NS4plusIiEEEEZZNS1_33reduce_by_key_impl_wrapped_configILNS1_25lookback_scan_determinismE0ES3_S9_NS6_6detail15normal_iteratorINS6_10device_ptrIjEEEENSD_INSE_IiEEEENS6_16discard_iteratorINS6_11use_defaultEEESI_PmS8_NS6_8equal_toIjEEEE10hipError_tPvRmT2_T3_mT4_T5_T6_T7_T8_P12ihipStream_tbENKUlT_T0_E_clISt17integral_constantIbLb0EES16_EEDaS11_S12_EUlS11_E_NS1_11comp_targetILNS1_3genE2ELNS1_11target_archE906ELNS1_3gpuE6ELNS1_3repE0EEENS1_30default_config_static_selectorELNS0_4arch9wavefront6targetE0EEEvT1_.kd
    .uniform_work_group_size: 1
    .uses_dynamic_stack: false
    .vgpr_count:     0
    .vgpr_spill_count: 0
    .wavefront_size: 32
    .workgroup_processor_mode: 1
  - .args:
      - .offset:         0
        .size:           128
        .value_kind:     by_value
    .group_segment_fixed_size: 0
    .kernarg_segment_align: 8
    .kernarg_segment_size: 128
    .language:       OpenCL C
    .language_version:
      - 2
      - 0
    .max_flat_workgroup_size: 256
    .name:           _ZN7rocprim17ROCPRIM_400000_NS6detail17trampoline_kernelINS0_14default_configENS1_29reduce_by_key_config_selectorIjiN6thrust23THRUST_200600_302600_NS4plusIiEEEEZZNS1_33reduce_by_key_impl_wrapped_configILNS1_25lookback_scan_determinismE0ES3_S9_NS6_6detail15normal_iteratorINS6_10device_ptrIjEEEENSD_INSE_IiEEEENS6_16discard_iteratorINS6_11use_defaultEEESI_PmS8_NS6_8equal_toIjEEEE10hipError_tPvRmT2_T3_mT4_T5_T6_T7_T8_P12ihipStream_tbENKUlT_T0_E_clISt17integral_constantIbLb0EES16_EEDaS11_S12_EUlS11_E_NS1_11comp_targetILNS1_3genE10ELNS1_11target_archE1201ELNS1_3gpuE5ELNS1_3repE0EEENS1_30default_config_static_selectorELNS0_4arch9wavefront6targetE0EEEvT1_
    .private_segment_fixed_size: 0
    .sgpr_count:     0
    .sgpr_spill_count: 0
    .symbol:         _ZN7rocprim17ROCPRIM_400000_NS6detail17trampoline_kernelINS0_14default_configENS1_29reduce_by_key_config_selectorIjiN6thrust23THRUST_200600_302600_NS4plusIiEEEEZZNS1_33reduce_by_key_impl_wrapped_configILNS1_25lookback_scan_determinismE0ES3_S9_NS6_6detail15normal_iteratorINS6_10device_ptrIjEEEENSD_INSE_IiEEEENS6_16discard_iteratorINS6_11use_defaultEEESI_PmS8_NS6_8equal_toIjEEEE10hipError_tPvRmT2_T3_mT4_T5_T6_T7_T8_P12ihipStream_tbENKUlT_T0_E_clISt17integral_constantIbLb0EES16_EEDaS11_S12_EUlS11_E_NS1_11comp_targetILNS1_3genE10ELNS1_11target_archE1201ELNS1_3gpuE5ELNS1_3repE0EEENS1_30default_config_static_selectorELNS0_4arch9wavefront6targetE0EEEvT1_.kd
    .uniform_work_group_size: 1
    .uses_dynamic_stack: false
    .vgpr_count:     0
    .vgpr_spill_count: 0
    .wavefront_size: 32
    .workgroup_processor_mode: 1
  - .args:
      - .offset:         0
        .size:           128
        .value_kind:     by_value
    .group_segment_fixed_size: 0
    .kernarg_segment_align: 8
    .kernarg_segment_size: 128
    .language:       OpenCL C
    .language_version:
      - 2
      - 0
    .max_flat_workgroup_size: 256
    .name:           _ZN7rocprim17ROCPRIM_400000_NS6detail17trampoline_kernelINS0_14default_configENS1_29reduce_by_key_config_selectorIjiN6thrust23THRUST_200600_302600_NS4plusIiEEEEZZNS1_33reduce_by_key_impl_wrapped_configILNS1_25lookback_scan_determinismE0ES3_S9_NS6_6detail15normal_iteratorINS6_10device_ptrIjEEEENSD_INSE_IiEEEENS6_16discard_iteratorINS6_11use_defaultEEESI_PmS8_NS6_8equal_toIjEEEE10hipError_tPvRmT2_T3_mT4_T5_T6_T7_T8_P12ihipStream_tbENKUlT_T0_E_clISt17integral_constantIbLb0EES16_EEDaS11_S12_EUlS11_E_NS1_11comp_targetILNS1_3genE10ELNS1_11target_archE1200ELNS1_3gpuE4ELNS1_3repE0EEENS1_30default_config_static_selectorELNS0_4arch9wavefront6targetE0EEEvT1_
    .private_segment_fixed_size: 0
    .sgpr_count:     0
    .sgpr_spill_count: 0
    .symbol:         _ZN7rocprim17ROCPRIM_400000_NS6detail17trampoline_kernelINS0_14default_configENS1_29reduce_by_key_config_selectorIjiN6thrust23THRUST_200600_302600_NS4plusIiEEEEZZNS1_33reduce_by_key_impl_wrapped_configILNS1_25lookback_scan_determinismE0ES3_S9_NS6_6detail15normal_iteratorINS6_10device_ptrIjEEEENSD_INSE_IiEEEENS6_16discard_iteratorINS6_11use_defaultEEESI_PmS8_NS6_8equal_toIjEEEE10hipError_tPvRmT2_T3_mT4_T5_T6_T7_T8_P12ihipStream_tbENKUlT_T0_E_clISt17integral_constantIbLb0EES16_EEDaS11_S12_EUlS11_E_NS1_11comp_targetILNS1_3genE10ELNS1_11target_archE1200ELNS1_3gpuE4ELNS1_3repE0EEENS1_30default_config_static_selectorELNS0_4arch9wavefront6targetE0EEEvT1_.kd
    .uniform_work_group_size: 1
    .uses_dynamic_stack: false
    .vgpr_count:     0
    .vgpr_spill_count: 0
    .wavefront_size: 32
    .workgroup_processor_mode: 1
  - .args:
      - .offset:         0
        .size:           128
        .value_kind:     by_value
    .group_segment_fixed_size: 15360
    .kernarg_segment_align: 8
    .kernarg_segment_size: 128
    .language:       OpenCL C
    .language_version:
      - 2
      - 0
    .max_flat_workgroup_size: 256
    .name:           _ZN7rocprim17ROCPRIM_400000_NS6detail17trampoline_kernelINS0_14default_configENS1_29reduce_by_key_config_selectorIjiN6thrust23THRUST_200600_302600_NS4plusIiEEEEZZNS1_33reduce_by_key_impl_wrapped_configILNS1_25lookback_scan_determinismE0ES3_S9_NS6_6detail15normal_iteratorINS6_10device_ptrIjEEEENSD_INSE_IiEEEENS6_16discard_iteratorINS6_11use_defaultEEESI_PmS8_NS6_8equal_toIjEEEE10hipError_tPvRmT2_T3_mT4_T5_T6_T7_T8_P12ihipStream_tbENKUlT_T0_E_clISt17integral_constantIbLb0EES16_EEDaS11_S12_EUlS11_E_NS1_11comp_targetILNS1_3genE9ELNS1_11target_archE1100ELNS1_3gpuE3ELNS1_3repE0EEENS1_30default_config_static_selectorELNS0_4arch9wavefront6targetE0EEEvT1_
    .private_segment_fixed_size: 0
    .sgpr_count:     44
    .sgpr_spill_count: 0
    .symbol:         _ZN7rocprim17ROCPRIM_400000_NS6detail17trampoline_kernelINS0_14default_configENS1_29reduce_by_key_config_selectorIjiN6thrust23THRUST_200600_302600_NS4plusIiEEEEZZNS1_33reduce_by_key_impl_wrapped_configILNS1_25lookback_scan_determinismE0ES3_S9_NS6_6detail15normal_iteratorINS6_10device_ptrIjEEEENSD_INSE_IiEEEENS6_16discard_iteratorINS6_11use_defaultEEESI_PmS8_NS6_8equal_toIjEEEE10hipError_tPvRmT2_T3_mT4_T5_T6_T7_T8_P12ihipStream_tbENKUlT_T0_E_clISt17integral_constantIbLb0EES16_EEDaS11_S12_EUlS11_E_NS1_11comp_targetILNS1_3genE9ELNS1_11target_archE1100ELNS1_3gpuE3ELNS1_3repE0EEENS1_30default_config_static_selectorELNS0_4arch9wavefront6targetE0EEEvT1_.kd
    .uniform_work_group_size: 1
    .uses_dynamic_stack: false
    .vgpr_count:     85
    .vgpr_spill_count: 0
    .wavefront_size: 32
    .workgroup_processor_mode: 1
  - .args:
      - .offset:         0
        .size:           128
        .value_kind:     by_value
    .group_segment_fixed_size: 0
    .kernarg_segment_align: 8
    .kernarg_segment_size: 128
    .language:       OpenCL C
    .language_version:
      - 2
      - 0
    .max_flat_workgroup_size: 256
    .name:           _ZN7rocprim17ROCPRIM_400000_NS6detail17trampoline_kernelINS0_14default_configENS1_29reduce_by_key_config_selectorIjiN6thrust23THRUST_200600_302600_NS4plusIiEEEEZZNS1_33reduce_by_key_impl_wrapped_configILNS1_25lookback_scan_determinismE0ES3_S9_NS6_6detail15normal_iteratorINS6_10device_ptrIjEEEENSD_INSE_IiEEEENS6_16discard_iteratorINS6_11use_defaultEEESI_PmS8_NS6_8equal_toIjEEEE10hipError_tPvRmT2_T3_mT4_T5_T6_T7_T8_P12ihipStream_tbENKUlT_T0_E_clISt17integral_constantIbLb0EES16_EEDaS11_S12_EUlS11_E_NS1_11comp_targetILNS1_3genE8ELNS1_11target_archE1030ELNS1_3gpuE2ELNS1_3repE0EEENS1_30default_config_static_selectorELNS0_4arch9wavefront6targetE0EEEvT1_
    .private_segment_fixed_size: 0
    .sgpr_count:     0
    .sgpr_spill_count: 0
    .symbol:         _ZN7rocprim17ROCPRIM_400000_NS6detail17trampoline_kernelINS0_14default_configENS1_29reduce_by_key_config_selectorIjiN6thrust23THRUST_200600_302600_NS4plusIiEEEEZZNS1_33reduce_by_key_impl_wrapped_configILNS1_25lookback_scan_determinismE0ES3_S9_NS6_6detail15normal_iteratorINS6_10device_ptrIjEEEENSD_INSE_IiEEEENS6_16discard_iteratorINS6_11use_defaultEEESI_PmS8_NS6_8equal_toIjEEEE10hipError_tPvRmT2_T3_mT4_T5_T6_T7_T8_P12ihipStream_tbENKUlT_T0_E_clISt17integral_constantIbLb0EES16_EEDaS11_S12_EUlS11_E_NS1_11comp_targetILNS1_3genE8ELNS1_11target_archE1030ELNS1_3gpuE2ELNS1_3repE0EEENS1_30default_config_static_selectorELNS0_4arch9wavefront6targetE0EEEvT1_.kd
    .uniform_work_group_size: 1
    .uses_dynamic_stack: false
    .vgpr_count:     0
    .vgpr_spill_count: 0
    .wavefront_size: 32
    .workgroup_processor_mode: 1
  - .args:
      - .offset:         0
        .size:           128
        .value_kind:     by_value
    .group_segment_fixed_size: 0
    .kernarg_segment_align: 8
    .kernarg_segment_size: 128
    .language:       OpenCL C
    .language_version:
      - 2
      - 0
    .max_flat_workgroup_size: 256
    .name:           _ZN7rocprim17ROCPRIM_400000_NS6detail17trampoline_kernelINS0_14default_configENS1_29reduce_by_key_config_selectorIjiN6thrust23THRUST_200600_302600_NS4plusIiEEEEZZNS1_33reduce_by_key_impl_wrapped_configILNS1_25lookback_scan_determinismE0ES3_S9_NS6_6detail15normal_iteratorINS6_10device_ptrIjEEEENSD_INSE_IiEEEENS6_16discard_iteratorINS6_11use_defaultEEESI_PmS8_NS6_8equal_toIjEEEE10hipError_tPvRmT2_T3_mT4_T5_T6_T7_T8_P12ihipStream_tbENKUlT_T0_E_clISt17integral_constantIbLb1EES16_EEDaS11_S12_EUlS11_E_NS1_11comp_targetILNS1_3genE0ELNS1_11target_archE4294967295ELNS1_3gpuE0ELNS1_3repE0EEENS1_30default_config_static_selectorELNS0_4arch9wavefront6targetE0EEEvT1_
    .private_segment_fixed_size: 0
    .sgpr_count:     0
    .sgpr_spill_count: 0
    .symbol:         _ZN7rocprim17ROCPRIM_400000_NS6detail17trampoline_kernelINS0_14default_configENS1_29reduce_by_key_config_selectorIjiN6thrust23THRUST_200600_302600_NS4plusIiEEEEZZNS1_33reduce_by_key_impl_wrapped_configILNS1_25lookback_scan_determinismE0ES3_S9_NS6_6detail15normal_iteratorINS6_10device_ptrIjEEEENSD_INSE_IiEEEENS6_16discard_iteratorINS6_11use_defaultEEESI_PmS8_NS6_8equal_toIjEEEE10hipError_tPvRmT2_T3_mT4_T5_T6_T7_T8_P12ihipStream_tbENKUlT_T0_E_clISt17integral_constantIbLb1EES16_EEDaS11_S12_EUlS11_E_NS1_11comp_targetILNS1_3genE0ELNS1_11target_archE4294967295ELNS1_3gpuE0ELNS1_3repE0EEENS1_30default_config_static_selectorELNS0_4arch9wavefront6targetE0EEEvT1_.kd
    .uniform_work_group_size: 1
    .uses_dynamic_stack: false
    .vgpr_count:     0
    .vgpr_spill_count: 0
    .wavefront_size: 32
    .workgroup_processor_mode: 1
  - .args:
      - .offset:         0
        .size:           128
        .value_kind:     by_value
    .group_segment_fixed_size: 0
    .kernarg_segment_align: 8
    .kernarg_segment_size: 128
    .language:       OpenCL C
    .language_version:
      - 2
      - 0
    .max_flat_workgroup_size: 256
    .name:           _ZN7rocprim17ROCPRIM_400000_NS6detail17trampoline_kernelINS0_14default_configENS1_29reduce_by_key_config_selectorIjiN6thrust23THRUST_200600_302600_NS4plusIiEEEEZZNS1_33reduce_by_key_impl_wrapped_configILNS1_25lookback_scan_determinismE0ES3_S9_NS6_6detail15normal_iteratorINS6_10device_ptrIjEEEENSD_INSE_IiEEEENS6_16discard_iteratorINS6_11use_defaultEEESI_PmS8_NS6_8equal_toIjEEEE10hipError_tPvRmT2_T3_mT4_T5_T6_T7_T8_P12ihipStream_tbENKUlT_T0_E_clISt17integral_constantIbLb1EES16_EEDaS11_S12_EUlS11_E_NS1_11comp_targetILNS1_3genE5ELNS1_11target_archE942ELNS1_3gpuE9ELNS1_3repE0EEENS1_30default_config_static_selectorELNS0_4arch9wavefront6targetE0EEEvT1_
    .private_segment_fixed_size: 0
    .sgpr_count:     0
    .sgpr_spill_count: 0
    .symbol:         _ZN7rocprim17ROCPRIM_400000_NS6detail17trampoline_kernelINS0_14default_configENS1_29reduce_by_key_config_selectorIjiN6thrust23THRUST_200600_302600_NS4plusIiEEEEZZNS1_33reduce_by_key_impl_wrapped_configILNS1_25lookback_scan_determinismE0ES3_S9_NS6_6detail15normal_iteratorINS6_10device_ptrIjEEEENSD_INSE_IiEEEENS6_16discard_iteratorINS6_11use_defaultEEESI_PmS8_NS6_8equal_toIjEEEE10hipError_tPvRmT2_T3_mT4_T5_T6_T7_T8_P12ihipStream_tbENKUlT_T0_E_clISt17integral_constantIbLb1EES16_EEDaS11_S12_EUlS11_E_NS1_11comp_targetILNS1_3genE5ELNS1_11target_archE942ELNS1_3gpuE9ELNS1_3repE0EEENS1_30default_config_static_selectorELNS0_4arch9wavefront6targetE0EEEvT1_.kd
    .uniform_work_group_size: 1
    .uses_dynamic_stack: false
    .vgpr_count:     0
    .vgpr_spill_count: 0
    .wavefront_size: 32
    .workgroup_processor_mode: 1
  - .args:
      - .offset:         0
        .size:           128
        .value_kind:     by_value
    .group_segment_fixed_size: 0
    .kernarg_segment_align: 8
    .kernarg_segment_size: 128
    .language:       OpenCL C
    .language_version:
      - 2
      - 0
    .max_flat_workgroup_size: 256
    .name:           _ZN7rocprim17ROCPRIM_400000_NS6detail17trampoline_kernelINS0_14default_configENS1_29reduce_by_key_config_selectorIjiN6thrust23THRUST_200600_302600_NS4plusIiEEEEZZNS1_33reduce_by_key_impl_wrapped_configILNS1_25lookback_scan_determinismE0ES3_S9_NS6_6detail15normal_iteratorINS6_10device_ptrIjEEEENSD_INSE_IiEEEENS6_16discard_iteratorINS6_11use_defaultEEESI_PmS8_NS6_8equal_toIjEEEE10hipError_tPvRmT2_T3_mT4_T5_T6_T7_T8_P12ihipStream_tbENKUlT_T0_E_clISt17integral_constantIbLb1EES16_EEDaS11_S12_EUlS11_E_NS1_11comp_targetILNS1_3genE4ELNS1_11target_archE910ELNS1_3gpuE8ELNS1_3repE0EEENS1_30default_config_static_selectorELNS0_4arch9wavefront6targetE0EEEvT1_
    .private_segment_fixed_size: 0
    .sgpr_count:     0
    .sgpr_spill_count: 0
    .symbol:         _ZN7rocprim17ROCPRIM_400000_NS6detail17trampoline_kernelINS0_14default_configENS1_29reduce_by_key_config_selectorIjiN6thrust23THRUST_200600_302600_NS4plusIiEEEEZZNS1_33reduce_by_key_impl_wrapped_configILNS1_25lookback_scan_determinismE0ES3_S9_NS6_6detail15normal_iteratorINS6_10device_ptrIjEEEENSD_INSE_IiEEEENS6_16discard_iteratorINS6_11use_defaultEEESI_PmS8_NS6_8equal_toIjEEEE10hipError_tPvRmT2_T3_mT4_T5_T6_T7_T8_P12ihipStream_tbENKUlT_T0_E_clISt17integral_constantIbLb1EES16_EEDaS11_S12_EUlS11_E_NS1_11comp_targetILNS1_3genE4ELNS1_11target_archE910ELNS1_3gpuE8ELNS1_3repE0EEENS1_30default_config_static_selectorELNS0_4arch9wavefront6targetE0EEEvT1_.kd
    .uniform_work_group_size: 1
    .uses_dynamic_stack: false
    .vgpr_count:     0
    .vgpr_spill_count: 0
    .wavefront_size: 32
    .workgroup_processor_mode: 1
  - .args:
      - .offset:         0
        .size:           128
        .value_kind:     by_value
    .group_segment_fixed_size: 0
    .kernarg_segment_align: 8
    .kernarg_segment_size: 128
    .language:       OpenCL C
    .language_version:
      - 2
      - 0
    .max_flat_workgroup_size: 256
    .name:           _ZN7rocprim17ROCPRIM_400000_NS6detail17trampoline_kernelINS0_14default_configENS1_29reduce_by_key_config_selectorIjiN6thrust23THRUST_200600_302600_NS4plusIiEEEEZZNS1_33reduce_by_key_impl_wrapped_configILNS1_25lookback_scan_determinismE0ES3_S9_NS6_6detail15normal_iteratorINS6_10device_ptrIjEEEENSD_INSE_IiEEEENS6_16discard_iteratorINS6_11use_defaultEEESI_PmS8_NS6_8equal_toIjEEEE10hipError_tPvRmT2_T3_mT4_T5_T6_T7_T8_P12ihipStream_tbENKUlT_T0_E_clISt17integral_constantIbLb1EES16_EEDaS11_S12_EUlS11_E_NS1_11comp_targetILNS1_3genE3ELNS1_11target_archE908ELNS1_3gpuE7ELNS1_3repE0EEENS1_30default_config_static_selectorELNS0_4arch9wavefront6targetE0EEEvT1_
    .private_segment_fixed_size: 0
    .sgpr_count:     0
    .sgpr_spill_count: 0
    .symbol:         _ZN7rocprim17ROCPRIM_400000_NS6detail17trampoline_kernelINS0_14default_configENS1_29reduce_by_key_config_selectorIjiN6thrust23THRUST_200600_302600_NS4plusIiEEEEZZNS1_33reduce_by_key_impl_wrapped_configILNS1_25lookback_scan_determinismE0ES3_S9_NS6_6detail15normal_iteratorINS6_10device_ptrIjEEEENSD_INSE_IiEEEENS6_16discard_iteratorINS6_11use_defaultEEESI_PmS8_NS6_8equal_toIjEEEE10hipError_tPvRmT2_T3_mT4_T5_T6_T7_T8_P12ihipStream_tbENKUlT_T0_E_clISt17integral_constantIbLb1EES16_EEDaS11_S12_EUlS11_E_NS1_11comp_targetILNS1_3genE3ELNS1_11target_archE908ELNS1_3gpuE7ELNS1_3repE0EEENS1_30default_config_static_selectorELNS0_4arch9wavefront6targetE0EEEvT1_.kd
    .uniform_work_group_size: 1
    .uses_dynamic_stack: false
    .vgpr_count:     0
    .vgpr_spill_count: 0
    .wavefront_size: 32
    .workgroup_processor_mode: 1
  - .args:
      - .offset:         0
        .size:           128
        .value_kind:     by_value
    .group_segment_fixed_size: 0
    .kernarg_segment_align: 8
    .kernarg_segment_size: 128
    .language:       OpenCL C
    .language_version:
      - 2
      - 0
    .max_flat_workgroup_size: 256
    .name:           _ZN7rocprim17ROCPRIM_400000_NS6detail17trampoline_kernelINS0_14default_configENS1_29reduce_by_key_config_selectorIjiN6thrust23THRUST_200600_302600_NS4plusIiEEEEZZNS1_33reduce_by_key_impl_wrapped_configILNS1_25lookback_scan_determinismE0ES3_S9_NS6_6detail15normal_iteratorINS6_10device_ptrIjEEEENSD_INSE_IiEEEENS6_16discard_iteratorINS6_11use_defaultEEESI_PmS8_NS6_8equal_toIjEEEE10hipError_tPvRmT2_T3_mT4_T5_T6_T7_T8_P12ihipStream_tbENKUlT_T0_E_clISt17integral_constantIbLb1EES16_EEDaS11_S12_EUlS11_E_NS1_11comp_targetILNS1_3genE2ELNS1_11target_archE906ELNS1_3gpuE6ELNS1_3repE0EEENS1_30default_config_static_selectorELNS0_4arch9wavefront6targetE0EEEvT1_
    .private_segment_fixed_size: 0
    .sgpr_count:     0
    .sgpr_spill_count: 0
    .symbol:         _ZN7rocprim17ROCPRIM_400000_NS6detail17trampoline_kernelINS0_14default_configENS1_29reduce_by_key_config_selectorIjiN6thrust23THRUST_200600_302600_NS4plusIiEEEEZZNS1_33reduce_by_key_impl_wrapped_configILNS1_25lookback_scan_determinismE0ES3_S9_NS6_6detail15normal_iteratorINS6_10device_ptrIjEEEENSD_INSE_IiEEEENS6_16discard_iteratorINS6_11use_defaultEEESI_PmS8_NS6_8equal_toIjEEEE10hipError_tPvRmT2_T3_mT4_T5_T6_T7_T8_P12ihipStream_tbENKUlT_T0_E_clISt17integral_constantIbLb1EES16_EEDaS11_S12_EUlS11_E_NS1_11comp_targetILNS1_3genE2ELNS1_11target_archE906ELNS1_3gpuE6ELNS1_3repE0EEENS1_30default_config_static_selectorELNS0_4arch9wavefront6targetE0EEEvT1_.kd
    .uniform_work_group_size: 1
    .uses_dynamic_stack: false
    .vgpr_count:     0
    .vgpr_spill_count: 0
    .wavefront_size: 32
    .workgroup_processor_mode: 1
  - .args:
      - .offset:         0
        .size:           128
        .value_kind:     by_value
    .group_segment_fixed_size: 0
    .kernarg_segment_align: 8
    .kernarg_segment_size: 128
    .language:       OpenCL C
    .language_version:
      - 2
      - 0
    .max_flat_workgroup_size: 256
    .name:           _ZN7rocprim17ROCPRIM_400000_NS6detail17trampoline_kernelINS0_14default_configENS1_29reduce_by_key_config_selectorIjiN6thrust23THRUST_200600_302600_NS4plusIiEEEEZZNS1_33reduce_by_key_impl_wrapped_configILNS1_25lookback_scan_determinismE0ES3_S9_NS6_6detail15normal_iteratorINS6_10device_ptrIjEEEENSD_INSE_IiEEEENS6_16discard_iteratorINS6_11use_defaultEEESI_PmS8_NS6_8equal_toIjEEEE10hipError_tPvRmT2_T3_mT4_T5_T6_T7_T8_P12ihipStream_tbENKUlT_T0_E_clISt17integral_constantIbLb1EES16_EEDaS11_S12_EUlS11_E_NS1_11comp_targetILNS1_3genE10ELNS1_11target_archE1201ELNS1_3gpuE5ELNS1_3repE0EEENS1_30default_config_static_selectorELNS0_4arch9wavefront6targetE0EEEvT1_
    .private_segment_fixed_size: 0
    .sgpr_count:     0
    .sgpr_spill_count: 0
    .symbol:         _ZN7rocprim17ROCPRIM_400000_NS6detail17trampoline_kernelINS0_14default_configENS1_29reduce_by_key_config_selectorIjiN6thrust23THRUST_200600_302600_NS4plusIiEEEEZZNS1_33reduce_by_key_impl_wrapped_configILNS1_25lookback_scan_determinismE0ES3_S9_NS6_6detail15normal_iteratorINS6_10device_ptrIjEEEENSD_INSE_IiEEEENS6_16discard_iteratorINS6_11use_defaultEEESI_PmS8_NS6_8equal_toIjEEEE10hipError_tPvRmT2_T3_mT4_T5_T6_T7_T8_P12ihipStream_tbENKUlT_T0_E_clISt17integral_constantIbLb1EES16_EEDaS11_S12_EUlS11_E_NS1_11comp_targetILNS1_3genE10ELNS1_11target_archE1201ELNS1_3gpuE5ELNS1_3repE0EEENS1_30default_config_static_selectorELNS0_4arch9wavefront6targetE0EEEvT1_.kd
    .uniform_work_group_size: 1
    .uses_dynamic_stack: false
    .vgpr_count:     0
    .vgpr_spill_count: 0
    .wavefront_size: 32
    .workgroup_processor_mode: 1
  - .args:
      - .offset:         0
        .size:           128
        .value_kind:     by_value
    .group_segment_fixed_size: 0
    .kernarg_segment_align: 8
    .kernarg_segment_size: 128
    .language:       OpenCL C
    .language_version:
      - 2
      - 0
    .max_flat_workgroup_size: 256
    .name:           _ZN7rocprim17ROCPRIM_400000_NS6detail17trampoline_kernelINS0_14default_configENS1_29reduce_by_key_config_selectorIjiN6thrust23THRUST_200600_302600_NS4plusIiEEEEZZNS1_33reduce_by_key_impl_wrapped_configILNS1_25lookback_scan_determinismE0ES3_S9_NS6_6detail15normal_iteratorINS6_10device_ptrIjEEEENSD_INSE_IiEEEENS6_16discard_iteratorINS6_11use_defaultEEESI_PmS8_NS6_8equal_toIjEEEE10hipError_tPvRmT2_T3_mT4_T5_T6_T7_T8_P12ihipStream_tbENKUlT_T0_E_clISt17integral_constantIbLb1EES16_EEDaS11_S12_EUlS11_E_NS1_11comp_targetILNS1_3genE10ELNS1_11target_archE1200ELNS1_3gpuE4ELNS1_3repE0EEENS1_30default_config_static_selectorELNS0_4arch9wavefront6targetE0EEEvT1_
    .private_segment_fixed_size: 0
    .sgpr_count:     0
    .sgpr_spill_count: 0
    .symbol:         _ZN7rocprim17ROCPRIM_400000_NS6detail17trampoline_kernelINS0_14default_configENS1_29reduce_by_key_config_selectorIjiN6thrust23THRUST_200600_302600_NS4plusIiEEEEZZNS1_33reduce_by_key_impl_wrapped_configILNS1_25lookback_scan_determinismE0ES3_S9_NS6_6detail15normal_iteratorINS6_10device_ptrIjEEEENSD_INSE_IiEEEENS6_16discard_iteratorINS6_11use_defaultEEESI_PmS8_NS6_8equal_toIjEEEE10hipError_tPvRmT2_T3_mT4_T5_T6_T7_T8_P12ihipStream_tbENKUlT_T0_E_clISt17integral_constantIbLb1EES16_EEDaS11_S12_EUlS11_E_NS1_11comp_targetILNS1_3genE10ELNS1_11target_archE1200ELNS1_3gpuE4ELNS1_3repE0EEENS1_30default_config_static_selectorELNS0_4arch9wavefront6targetE0EEEvT1_.kd
    .uniform_work_group_size: 1
    .uses_dynamic_stack: false
    .vgpr_count:     0
    .vgpr_spill_count: 0
    .wavefront_size: 32
    .workgroup_processor_mode: 1
  - .args:
      - .offset:         0
        .size:           128
        .value_kind:     by_value
    .group_segment_fixed_size: 15360
    .kernarg_segment_align: 8
    .kernarg_segment_size: 128
    .language:       OpenCL C
    .language_version:
      - 2
      - 0
    .max_flat_workgroup_size: 256
    .name:           _ZN7rocprim17ROCPRIM_400000_NS6detail17trampoline_kernelINS0_14default_configENS1_29reduce_by_key_config_selectorIjiN6thrust23THRUST_200600_302600_NS4plusIiEEEEZZNS1_33reduce_by_key_impl_wrapped_configILNS1_25lookback_scan_determinismE0ES3_S9_NS6_6detail15normal_iteratorINS6_10device_ptrIjEEEENSD_INSE_IiEEEENS6_16discard_iteratorINS6_11use_defaultEEESI_PmS8_NS6_8equal_toIjEEEE10hipError_tPvRmT2_T3_mT4_T5_T6_T7_T8_P12ihipStream_tbENKUlT_T0_E_clISt17integral_constantIbLb1EES16_EEDaS11_S12_EUlS11_E_NS1_11comp_targetILNS1_3genE9ELNS1_11target_archE1100ELNS1_3gpuE3ELNS1_3repE0EEENS1_30default_config_static_selectorELNS0_4arch9wavefront6targetE0EEEvT1_
    .private_segment_fixed_size: 0
    .sgpr_count:     48
    .sgpr_spill_count: 0
    .symbol:         _ZN7rocprim17ROCPRIM_400000_NS6detail17trampoline_kernelINS0_14default_configENS1_29reduce_by_key_config_selectorIjiN6thrust23THRUST_200600_302600_NS4plusIiEEEEZZNS1_33reduce_by_key_impl_wrapped_configILNS1_25lookback_scan_determinismE0ES3_S9_NS6_6detail15normal_iteratorINS6_10device_ptrIjEEEENSD_INSE_IiEEEENS6_16discard_iteratorINS6_11use_defaultEEESI_PmS8_NS6_8equal_toIjEEEE10hipError_tPvRmT2_T3_mT4_T5_T6_T7_T8_P12ihipStream_tbENKUlT_T0_E_clISt17integral_constantIbLb1EES16_EEDaS11_S12_EUlS11_E_NS1_11comp_targetILNS1_3genE9ELNS1_11target_archE1100ELNS1_3gpuE3ELNS1_3repE0EEENS1_30default_config_static_selectorELNS0_4arch9wavefront6targetE0EEEvT1_.kd
    .uniform_work_group_size: 1
    .uses_dynamic_stack: false
    .vgpr_count:     85
    .vgpr_spill_count: 0
    .wavefront_size: 32
    .workgroup_processor_mode: 1
  - .args:
      - .offset:         0
        .size:           128
        .value_kind:     by_value
    .group_segment_fixed_size: 0
    .kernarg_segment_align: 8
    .kernarg_segment_size: 128
    .language:       OpenCL C
    .language_version:
      - 2
      - 0
    .max_flat_workgroup_size: 256
    .name:           _ZN7rocprim17ROCPRIM_400000_NS6detail17trampoline_kernelINS0_14default_configENS1_29reduce_by_key_config_selectorIjiN6thrust23THRUST_200600_302600_NS4plusIiEEEEZZNS1_33reduce_by_key_impl_wrapped_configILNS1_25lookback_scan_determinismE0ES3_S9_NS6_6detail15normal_iteratorINS6_10device_ptrIjEEEENSD_INSE_IiEEEENS6_16discard_iteratorINS6_11use_defaultEEESI_PmS8_NS6_8equal_toIjEEEE10hipError_tPvRmT2_T3_mT4_T5_T6_T7_T8_P12ihipStream_tbENKUlT_T0_E_clISt17integral_constantIbLb1EES16_EEDaS11_S12_EUlS11_E_NS1_11comp_targetILNS1_3genE8ELNS1_11target_archE1030ELNS1_3gpuE2ELNS1_3repE0EEENS1_30default_config_static_selectorELNS0_4arch9wavefront6targetE0EEEvT1_
    .private_segment_fixed_size: 0
    .sgpr_count:     0
    .sgpr_spill_count: 0
    .symbol:         _ZN7rocprim17ROCPRIM_400000_NS6detail17trampoline_kernelINS0_14default_configENS1_29reduce_by_key_config_selectorIjiN6thrust23THRUST_200600_302600_NS4plusIiEEEEZZNS1_33reduce_by_key_impl_wrapped_configILNS1_25lookback_scan_determinismE0ES3_S9_NS6_6detail15normal_iteratorINS6_10device_ptrIjEEEENSD_INSE_IiEEEENS6_16discard_iteratorINS6_11use_defaultEEESI_PmS8_NS6_8equal_toIjEEEE10hipError_tPvRmT2_T3_mT4_T5_T6_T7_T8_P12ihipStream_tbENKUlT_T0_E_clISt17integral_constantIbLb1EES16_EEDaS11_S12_EUlS11_E_NS1_11comp_targetILNS1_3genE8ELNS1_11target_archE1030ELNS1_3gpuE2ELNS1_3repE0EEENS1_30default_config_static_selectorELNS0_4arch9wavefront6targetE0EEEvT1_.kd
    .uniform_work_group_size: 1
    .uses_dynamic_stack: false
    .vgpr_count:     0
    .vgpr_spill_count: 0
    .wavefront_size: 32
    .workgroup_processor_mode: 1
  - .args:
      - .offset:         0
        .size:           128
        .value_kind:     by_value
    .group_segment_fixed_size: 0
    .kernarg_segment_align: 8
    .kernarg_segment_size: 128
    .language:       OpenCL C
    .language_version:
      - 2
      - 0
    .max_flat_workgroup_size: 256
    .name:           _ZN7rocprim17ROCPRIM_400000_NS6detail17trampoline_kernelINS0_14default_configENS1_29reduce_by_key_config_selectorIjiN6thrust23THRUST_200600_302600_NS4plusIiEEEEZZNS1_33reduce_by_key_impl_wrapped_configILNS1_25lookback_scan_determinismE0ES3_S9_NS6_6detail15normal_iteratorINS6_10device_ptrIjEEEENSD_INSE_IiEEEENS6_16discard_iteratorINS6_11use_defaultEEESI_PmS8_NS6_8equal_toIjEEEE10hipError_tPvRmT2_T3_mT4_T5_T6_T7_T8_P12ihipStream_tbENKUlT_T0_E_clISt17integral_constantIbLb1EES15_IbLb0EEEEDaS11_S12_EUlS11_E_NS1_11comp_targetILNS1_3genE0ELNS1_11target_archE4294967295ELNS1_3gpuE0ELNS1_3repE0EEENS1_30default_config_static_selectorELNS0_4arch9wavefront6targetE0EEEvT1_
    .private_segment_fixed_size: 0
    .sgpr_count:     0
    .sgpr_spill_count: 0
    .symbol:         _ZN7rocprim17ROCPRIM_400000_NS6detail17trampoline_kernelINS0_14default_configENS1_29reduce_by_key_config_selectorIjiN6thrust23THRUST_200600_302600_NS4plusIiEEEEZZNS1_33reduce_by_key_impl_wrapped_configILNS1_25lookback_scan_determinismE0ES3_S9_NS6_6detail15normal_iteratorINS6_10device_ptrIjEEEENSD_INSE_IiEEEENS6_16discard_iteratorINS6_11use_defaultEEESI_PmS8_NS6_8equal_toIjEEEE10hipError_tPvRmT2_T3_mT4_T5_T6_T7_T8_P12ihipStream_tbENKUlT_T0_E_clISt17integral_constantIbLb1EES15_IbLb0EEEEDaS11_S12_EUlS11_E_NS1_11comp_targetILNS1_3genE0ELNS1_11target_archE4294967295ELNS1_3gpuE0ELNS1_3repE0EEENS1_30default_config_static_selectorELNS0_4arch9wavefront6targetE0EEEvT1_.kd
    .uniform_work_group_size: 1
    .uses_dynamic_stack: false
    .vgpr_count:     0
    .vgpr_spill_count: 0
    .wavefront_size: 32
    .workgroup_processor_mode: 1
  - .args:
      - .offset:         0
        .size:           128
        .value_kind:     by_value
    .group_segment_fixed_size: 0
    .kernarg_segment_align: 8
    .kernarg_segment_size: 128
    .language:       OpenCL C
    .language_version:
      - 2
      - 0
    .max_flat_workgroup_size: 256
    .name:           _ZN7rocprim17ROCPRIM_400000_NS6detail17trampoline_kernelINS0_14default_configENS1_29reduce_by_key_config_selectorIjiN6thrust23THRUST_200600_302600_NS4plusIiEEEEZZNS1_33reduce_by_key_impl_wrapped_configILNS1_25lookback_scan_determinismE0ES3_S9_NS6_6detail15normal_iteratorINS6_10device_ptrIjEEEENSD_INSE_IiEEEENS6_16discard_iteratorINS6_11use_defaultEEESI_PmS8_NS6_8equal_toIjEEEE10hipError_tPvRmT2_T3_mT4_T5_T6_T7_T8_P12ihipStream_tbENKUlT_T0_E_clISt17integral_constantIbLb1EES15_IbLb0EEEEDaS11_S12_EUlS11_E_NS1_11comp_targetILNS1_3genE5ELNS1_11target_archE942ELNS1_3gpuE9ELNS1_3repE0EEENS1_30default_config_static_selectorELNS0_4arch9wavefront6targetE0EEEvT1_
    .private_segment_fixed_size: 0
    .sgpr_count:     0
    .sgpr_spill_count: 0
    .symbol:         _ZN7rocprim17ROCPRIM_400000_NS6detail17trampoline_kernelINS0_14default_configENS1_29reduce_by_key_config_selectorIjiN6thrust23THRUST_200600_302600_NS4plusIiEEEEZZNS1_33reduce_by_key_impl_wrapped_configILNS1_25lookback_scan_determinismE0ES3_S9_NS6_6detail15normal_iteratorINS6_10device_ptrIjEEEENSD_INSE_IiEEEENS6_16discard_iteratorINS6_11use_defaultEEESI_PmS8_NS6_8equal_toIjEEEE10hipError_tPvRmT2_T3_mT4_T5_T6_T7_T8_P12ihipStream_tbENKUlT_T0_E_clISt17integral_constantIbLb1EES15_IbLb0EEEEDaS11_S12_EUlS11_E_NS1_11comp_targetILNS1_3genE5ELNS1_11target_archE942ELNS1_3gpuE9ELNS1_3repE0EEENS1_30default_config_static_selectorELNS0_4arch9wavefront6targetE0EEEvT1_.kd
    .uniform_work_group_size: 1
    .uses_dynamic_stack: false
    .vgpr_count:     0
    .vgpr_spill_count: 0
    .wavefront_size: 32
    .workgroup_processor_mode: 1
  - .args:
      - .offset:         0
        .size:           128
        .value_kind:     by_value
    .group_segment_fixed_size: 0
    .kernarg_segment_align: 8
    .kernarg_segment_size: 128
    .language:       OpenCL C
    .language_version:
      - 2
      - 0
    .max_flat_workgroup_size: 256
    .name:           _ZN7rocprim17ROCPRIM_400000_NS6detail17trampoline_kernelINS0_14default_configENS1_29reduce_by_key_config_selectorIjiN6thrust23THRUST_200600_302600_NS4plusIiEEEEZZNS1_33reduce_by_key_impl_wrapped_configILNS1_25lookback_scan_determinismE0ES3_S9_NS6_6detail15normal_iteratorINS6_10device_ptrIjEEEENSD_INSE_IiEEEENS6_16discard_iteratorINS6_11use_defaultEEESI_PmS8_NS6_8equal_toIjEEEE10hipError_tPvRmT2_T3_mT4_T5_T6_T7_T8_P12ihipStream_tbENKUlT_T0_E_clISt17integral_constantIbLb1EES15_IbLb0EEEEDaS11_S12_EUlS11_E_NS1_11comp_targetILNS1_3genE4ELNS1_11target_archE910ELNS1_3gpuE8ELNS1_3repE0EEENS1_30default_config_static_selectorELNS0_4arch9wavefront6targetE0EEEvT1_
    .private_segment_fixed_size: 0
    .sgpr_count:     0
    .sgpr_spill_count: 0
    .symbol:         _ZN7rocprim17ROCPRIM_400000_NS6detail17trampoline_kernelINS0_14default_configENS1_29reduce_by_key_config_selectorIjiN6thrust23THRUST_200600_302600_NS4plusIiEEEEZZNS1_33reduce_by_key_impl_wrapped_configILNS1_25lookback_scan_determinismE0ES3_S9_NS6_6detail15normal_iteratorINS6_10device_ptrIjEEEENSD_INSE_IiEEEENS6_16discard_iteratorINS6_11use_defaultEEESI_PmS8_NS6_8equal_toIjEEEE10hipError_tPvRmT2_T3_mT4_T5_T6_T7_T8_P12ihipStream_tbENKUlT_T0_E_clISt17integral_constantIbLb1EES15_IbLb0EEEEDaS11_S12_EUlS11_E_NS1_11comp_targetILNS1_3genE4ELNS1_11target_archE910ELNS1_3gpuE8ELNS1_3repE0EEENS1_30default_config_static_selectorELNS0_4arch9wavefront6targetE0EEEvT1_.kd
    .uniform_work_group_size: 1
    .uses_dynamic_stack: false
    .vgpr_count:     0
    .vgpr_spill_count: 0
    .wavefront_size: 32
    .workgroup_processor_mode: 1
  - .args:
      - .offset:         0
        .size:           128
        .value_kind:     by_value
    .group_segment_fixed_size: 0
    .kernarg_segment_align: 8
    .kernarg_segment_size: 128
    .language:       OpenCL C
    .language_version:
      - 2
      - 0
    .max_flat_workgroup_size: 256
    .name:           _ZN7rocprim17ROCPRIM_400000_NS6detail17trampoline_kernelINS0_14default_configENS1_29reduce_by_key_config_selectorIjiN6thrust23THRUST_200600_302600_NS4plusIiEEEEZZNS1_33reduce_by_key_impl_wrapped_configILNS1_25lookback_scan_determinismE0ES3_S9_NS6_6detail15normal_iteratorINS6_10device_ptrIjEEEENSD_INSE_IiEEEENS6_16discard_iteratorINS6_11use_defaultEEESI_PmS8_NS6_8equal_toIjEEEE10hipError_tPvRmT2_T3_mT4_T5_T6_T7_T8_P12ihipStream_tbENKUlT_T0_E_clISt17integral_constantIbLb1EES15_IbLb0EEEEDaS11_S12_EUlS11_E_NS1_11comp_targetILNS1_3genE3ELNS1_11target_archE908ELNS1_3gpuE7ELNS1_3repE0EEENS1_30default_config_static_selectorELNS0_4arch9wavefront6targetE0EEEvT1_
    .private_segment_fixed_size: 0
    .sgpr_count:     0
    .sgpr_spill_count: 0
    .symbol:         _ZN7rocprim17ROCPRIM_400000_NS6detail17trampoline_kernelINS0_14default_configENS1_29reduce_by_key_config_selectorIjiN6thrust23THRUST_200600_302600_NS4plusIiEEEEZZNS1_33reduce_by_key_impl_wrapped_configILNS1_25lookback_scan_determinismE0ES3_S9_NS6_6detail15normal_iteratorINS6_10device_ptrIjEEEENSD_INSE_IiEEEENS6_16discard_iteratorINS6_11use_defaultEEESI_PmS8_NS6_8equal_toIjEEEE10hipError_tPvRmT2_T3_mT4_T5_T6_T7_T8_P12ihipStream_tbENKUlT_T0_E_clISt17integral_constantIbLb1EES15_IbLb0EEEEDaS11_S12_EUlS11_E_NS1_11comp_targetILNS1_3genE3ELNS1_11target_archE908ELNS1_3gpuE7ELNS1_3repE0EEENS1_30default_config_static_selectorELNS0_4arch9wavefront6targetE0EEEvT1_.kd
    .uniform_work_group_size: 1
    .uses_dynamic_stack: false
    .vgpr_count:     0
    .vgpr_spill_count: 0
    .wavefront_size: 32
    .workgroup_processor_mode: 1
  - .args:
      - .offset:         0
        .size:           128
        .value_kind:     by_value
    .group_segment_fixed_size: 0
    .kernarg_segment_align: 8
    .kernarg_segment_size: 128
    .language:       OpenCL C
    .language_version:
      - 2
      - 0
    .max_flat_workgroup_size: 256
    .name:           _ZN7rocprim17ROCPRIM_400000_NS6detail17trampoline_kernelINS0_14default_configENS1_29reduce_by_key_config_selectorIjiN6thrust23THRUST_200600_302600_NS4plusIiEEEEZZNS1_33reduce_by_key_impl_wrapped_configILNS1_25lookback_scan_determinismE0ES3_S9_NS6_6detail15normal_iteratorINS6_10device_ptrIjEEEENSD_INSE_IiEEEENS6_16discard_iteratorINS6_11use_defaultEEESI_PmS8_NS6_8equal_toIjEEEE10hipError_tPvRmT2_T3_mT4_T5_T6_T7_T8_P12ihipStream_tbENKUlT_T0_E_clISt17integral_constantIbLb1EES15_IbLb0EEEEDaS11_S12_EUlS11_E_NS1_11comp_targetILNS1_3genE2ELNS1_11target_archE906ELNS1_3gpuE6ELNS1_3repE0EEENS1_30default_config_static_selectorELNS0_4arch9wavefront6targetE0EEEvT1_
    .private_segment_fixed_size: 0
    .sgpr_count:     0
    .sgpr_spill_count: 0
    .symbol:         _ZN7rocprim17ROCPRIM_400000_NS6detail17trampoline_kernelINS0_14default_configENS1_29reduce_by_key_config_selectorIjiN6thrust23THRUST_200600_302600_NS4plusIiEEEEZZNS1_33reduce_by_key_impl_wrapped_configILNS1_25lookback_scan_determinismE0ES3_S9_NS6_6detail15normal_iteratorINS6_10device_ptrIjEEEENSD_INSE_IiEEEENS6_16discard_iteratorINS6_11use_defaultEEESI_PmS8_NS6_8equal_toIjEEEE10hipError_tPvRmT2_T3_mT4_T5_T6_T7_T8_P12ihipStream_tbENKUlT_T0_E_clISt17integral_constantIbLb1EES15_IbLb0EEEEDaS11_S12_EUlS11_E_NS1_11comp_targetILNS1_3genE2ELNS1_11target_archE906ELNS1_3gpuE6ELNS1_3repE0EEENS1_30default_config_static_selectorELNS0_4arch9wavefront6targetE0EEEvT1_.kd
    .uniform_work_group_size: 1
    .uses_dynamic_stack: false
    .vgpr_count:     0
    .vgpr_spill_count: 0
    .wavefront_size: 32
    .workgroup_processor_mode: 1
  - .args:
      - .offset:         0
        .size:           128
        .value_kind:     by_value
    .group_segment_fixed_size: 0
    .kernarg_segment_align: 8
    .kernarg_segment_size: 128
    .language:       OpenCL C
    .language_version:
      - 2
      - 0
    .max_flat_workgroup_size: 256
    .name:           _ZN7rocprim17ROCPRIM_400000_NS6detail17trampoline_kernelINS0_14default_configENS1_29reduce_by_key_config_selectorIjiN6thrust23THRUST_200600_302600_NS4plusIiEEEEZZNS1_33reduce_by_key_impl_wrapped_configILNS1_25lookback_scan_determinismE0ES3_S9_NS6_6detail15normal_iteratorINS6_10device_ptrIjEEEENSD_INSE_IiEEEENS6_16discard_iteratorINS6_11use_defaultEEESI_PmS8_NS6_8equal_toIjEEEE10hipError_tPvRmT2_T3_mT4_T5_T6_T7_T8_P12ihipStream_tbENKUlT_T0_E_clISt17integral_constantIbLb1EES15_IbLb0EEEEDaS11_S12_EUlS11_E_NS1_11comp_targetILNS1_3genE10ELNS1_11target_archE1201ELNS1_3gpuE5ELNS1_3repE0EEENS1_30default_config_static_selectorELNS0_4arch9wavefront6targetE0EEEvT1_
    .private_segment_fixed_size: 0
    .sgpr_count:     0
    .sgpr_spill_count: 0
    .symbol:         _ZN7rocprim17ROCPRIM_400000_NS6detail17trampoline_kernelINS0_14default_configENS1_29reduce_by_key_config_selectorIjiN6thrust23THRUST_200600_302600_NS4plusIiEEEEZZNS1_33reduce_by_key_impl_wrapped_configILNS1_25lookback_scan_determinismE0ES3_S9_NS6_6detail15normal_iteratorINS6_10device_ptrIjEEEENSD_INSE_IiEEEENS6_16discard_iteratorINS6_11use_defaultEEESI_PmS8_NS6_8equal_toIjEEEE10hipError_tPvRmT2_T3_mT4_T5_T6_T7_T8_P12ihipStream_tbENKUlT_T0_E_clISt17integral_constantIbLb1EES15_IbLb0EEEEDaS11_S12_EUlS11_E_NS1_11comp_targetILNS1_3genE10ELNS1_11target_archE1201ELNS1_3gpuE5ELNS1_3repE0EEENS1_30default_config_static_selectorELNS0_4arch9wavefront6targetE0EEEvT1_.kd
    .uniform_work_group_size: 1
    .uses_dynamic_stack: false
    .vgpr_count:     0
    .vgpr_spill_count: 0
    .wavefront_size: 32
    .workgroup_processor_mode: 1
  - .args:
      - .offset:         0
        .size:           128
        .value_kind:     by_value
    .group_segment_fixed_size: 0
    .kernarg_segment_align: 8
    .kernarg_segment_size: 128
    .language:       OpenCL C
    .language_version:
      - 2
      - 0
    .max_flat_workgroup_size: 256
    .name:           _ZN7rocprim17ROCPRIM_400000_NS6detail17trampoline_kernelINS0_14default_configENS1_29reduce_by_key_config_selectorIjiN6thrust23THRUST_200600_302600_NS4plusIiEEEEZZNS1_33reduce_by_key_impl_wrapped_configILNS1_25lookback_scan_determinismE0ES3_S9_NS6_6detail15normal_iteratorINS6_10device_ptrIjEEEENSD_INSE_IiEEEENS6_16discard_iteratorINS6_11use_defaultEEESI_PmS8_NS6_8equal_toIjEEEE10hipError_tPvRmT2_T3_mT4_T5_T6_T7_T8_P12ihipStream_tbENKUlT_T0_E_clISt17integral_constantIbLb1EES15_IbLb0EEEEDaS11_S12_EUlS11_E_NS1_11comp_targetILNS1_3genE10ELNS1_11target_archE1200ELNS1_3gpuE4ELNS1_3repE0EEENS1_30default_config_static_selectorELNS0_4arch9wavefront6targetE0EEEvT1_
    .private_segment_fixed_size: 0
    .sgpr_count:     0
    .sgpr_spill_count: 0
    .symbol:         _ZN7rocprim17ROCPRIM_400000_NS6detail17trampoline_kernelINS0_14default_configENS1_29reduce_by_key_config_selectorIjiN6thrust23THRUST_200600_302600_NS4plusIiEEEEZZNS1_33reduce_by_key_impl_wrapped_configILNS1_25lookback_scan_determinismE0ES3_S9_NS6_6detail15normal_iteratorINS6_10device_ptrIjEEEENSD_INSE_IiEEEENS6_16discard_iteratorINS6_11use_defaultEEESI_PmS8_NS6_8equal_toIjEEEE10hipError_tPvRmT2_T3_mT4_T5_T6_T7_T8_P12ihipStream_tbENKUlT_T0_E_clISt17integral_constantIbLb1EES15_IbLb0EEEEDaS11_S12_EUlS11_E_NS1_11comp_targetILNS1_3genE10ELNS1_11target_archE1200ELNS1_3gpuE4ELNS1_3repE0EEENS1_30default_config_static_selectorELNS0_4arch9wavefront6targetE0EEEvT1_.kd
    .uniform_work_group_size: 1
    .uses_dynamic_stack: false
    .vgpr_count:     0
    .vgpr_spill_count: 0
    .wavefront_size: 32
    .workgroup_processor_mode: 1
  - .args:
      - .offset:         0
        .size:           128
        .value_kind:     by_value
    .group_segment_fixed_size: 15360
    .kernarg_segment_align: 8
    .kernarg_segment_size: 128
    .language:       OpenCL C
    .language_version:
      - 2
      - 0
    .max_flat_workgroup_size: 256
    .name:           _ZN7rocprim17ROCPRIM_400000_NS6detail17trampoline_kernelINS0_14default_configENS1_29reduce_by_key_config_selectorIjiN6thrust23THRUST_200600_302600_NS4plusIiEEEEZZNS1_33reduce_by_key_impl_wrapped_configILNS1_25lookback_scan_determinismE0ES3_S9_NS6_6detail15normal_iteratorINS6_10device_ptrIjEEEENSD_INSE_IiEEEENS6_16discard_iteratorINS6_11use_defaultEEESI_PmS8_NS6_8equal_toIjEEEE10hipError_tPvRmT2_T3_mT4_T5_T6_T7_T8_P12ihipStream_tbENKUlT_T0_E_clISt17integral_constantIbLb1EES15_IbLb0EEEEDaS11_S12_EUlS11_E_NS1_11comp_targetILNS1_3genE9ELNS1_11target_archE1100ELNS1_3gpuE3ELNS1_3repE0EEENS1_30default_config_static_selectorELNS0_4arch9wavefront6targetE0EEEvT1_
    .private_segment_fixed_size: 0
    .sgpr_count:     46
    .sgpr_spill_count: 0
    .symbol:         _ZN7rocprim17ROCPRIM_400000_NS6detail17trampoline_kernelINS0_14default_configENS1_29reduce_by_key_config_selectorIjiN6thrust23THRUST_200600_302600_NS4plusIiEEEEZZNS1_33reduce_by_key_impl_wrapped_configILNS1_25lookback_scan_determinismE0ES3_S9_NS6_6detail15normal_iteratorINS6_10device_ptrIjEEEENSD_INSE_IiEEEENS6_16discard_iteratorINS6_11use_defaultEEESI_PmS8_NS6_8equal_toIjEEEE10hipError_tPvRmT2_T3_mT4_T5_T6_T7_T8_P12ihipStream_tbENKUlT_T0_E_clISt17integral_constantIbLb1EES15_IbLb0EEEEDaS11_S12_EUlS11_E_NS1_11comp_targetILNS1_3genE9ELNS1_11target_archE1100ELNS1_3gpuE3ELNS1_3repE0EEENS1_30default_config_static_selectorELNS0_4arch9wavefront6targetE0EEEvT1_.kd
    .uniform_work_group_size: 1
    .uses_dynamic_stack: false
    .vgpr_count:     85
    .vgpr_spill_count: 0
    .wavefront_size: 32
    .workgroup_processor_mode: 1
  - .args:
      - .offset:         0
        .size:           128
        .value_kind:     by_value
    .group_segment_fixed_size: 0
    .kernarg_segment_align: 8
    .kernarg_segment_size: 128
    .language:       OpenCL C
    .language_version:
      - 2
      - 0
    .max_flat_workgroup_size: 256
    .name:           _ZN7rocprim17ROCPRIM_400000_NS6detail17trampoline_kernelINS0_14default_configENS1_29reduce_by_key_config_selectorIjiN6thrust23THRUST_200600_302600_NS4plusIiEEEEZZNS1_33reduce_by_key_impl_wrapped_configILNS1_25lookback_scan_determinismE0ES3_S9_NS6_6detail15normal_iteratorINS6_10device_ptrIjEEEENSD_INSE_IiEEEENS6_16discard_iteratorINS6_11use_defaultEEESI_PmS8_NS6_8equal_toIjEEEE10hipError_tPvRmT2_T3_mT4_T5_T6_T7_T8_P12ihipStream_tbENKUlT_T0_E_clISt17integral_constantIbLb1EES15_IbLb0EEEEDaS11_S12_EUlS11_E_NS1_11comp_targetILNS1_3genE8ELNS1_11target_archE1030ELNS1_3gpuE2ELNS1_3repE0EEENS1_30default_config_static_selectorELNS0_4arch9wavefront6targetE0EEEvT1_
    .private_segment_fixed_size: 0
    .sgpr_count:     0
    .sgpr_spill_count: 0
    .symbol:         _ZN7rocprim17ROCPRIM_400000_NS6detail17trampoline_kernelINS0_14default_configENS1_29reduce_by_key_config_selectorIjiN6thrust23THRUST_200600_302600_NS4plusIiEEEEZZNS1_33reduce_by_key_impl_wrapped_configILNS1_25lookback_scan_determinismE0ES3_S9_NS6_6detail15normal_iteratorINS6_10device_ptrIjEEEENSD_INSE_IiEEEENS6_16discard_iteratorINS6_11use_defaultEEESI_PmS8_NS6_8equal_toIjEEEE10hipError_tPvRmT2_T3_mT4_T5_T6_T7_T8_P12ihipStream_tbENKUlT_T0_E_clISt17integral_constantIbLb1EES15_IbLb0EEEEDaS11_S12_EUlS11_E_NS1_11comp_targetILNS1_3genE8ELNS1_11target_archE1030ELNS1_3gpuE2ELNS1_3repE0EEENS1_30default_config_static_selectorELNS0_4arch9wavefront6targetE0EEEvT1_.kd
    .uniform_work_group_size: 1
    .uses_dynamic_stack: false
    .vgpr_count:     0
    .vgpr_spill_count: 0
    .wavefront_size: 32
    .workgroup_processor_mode: 1
  - .args:
      - .offset:         0
        .size:           128
        .value_kind:     by_value
    .group_segment_fixed_size: 0
    .kernarg_segment_align: 8
    .kernarg_segment_size: 128
    .language:       OpenCL C
    .language_version:
      - 2
      - 0
    .max_flat_workgroup_size: 256
    .name:           _ZN7rocprim17ROCPRIM_400000_NS6detail17trampoline_kernelINS0_14default_configENS1_29reduce_by_key_config_selectorIjiN6thrust23THRUST_200600_302600_NS4plusIiEEEEZZNS1_33reduce_by_key_impl_wrapped_configILNS1_25lookback_scan_determinismE0ES3_S9_NS6_6detail15normal_iteratorINS6_10device_ptrIjEEEENSD_INSE_IiEEEENS6_16discard_iteratorINS6_11use_defaultEEESI_PmS8_NS6_8equal_toIjEEEE10hipError_tPvRmT2_T3_mT4_T5_T6_T7_T8_P12ihipStream_tbENKUlT_T0_E_clISt17integral_constantIbLb0EES15_IbLb1EEEEDaS11_S12_EUlS11_E_NS1_11comp_targetILNS1_3genE0ELNS1_11target_archE4294967295ELNS1_3gpuE0ELNS1_3repE0EEENS1_30default_config_static_selectorELNS0_4arch9wavefront6targetE0EEEvT1_
    .private_segment_fixed_size: 0
    .sgpr_count:     0
    .sgpr_spill_count: 0
    .symbol:         _ZN7rocprim17ROCPRIM_400000_NS6detail17trampoline_kernelINS0_14default_configENS1_29reduce_by_key_config_selectorIjiN6thrust23THRUST_200600_302600_NS4plusIiEEEEZZNS1_33reduce_by_key_impl_wrapped_configILNS1_25lookback_scan_determinismE0ES3_S9_NS6_6detail15normal_iteratorINS6_10device_ptrIjEEEENSD_INSE_IiEEEENS6_16discard_iteratorINS6_11use_defaultEEESI_PmS8_NS6_8equal_toIjEEEE10hipError_tPvRmT2_T3_mT4_T5_T6_T7_T8_P12ihipStream_tbENKUlT_T0_E_clISt17integral_constantIbLb0EES15_IbLb1EEEEDaS11_S12_EUlS11_E_NS1_11comp_targetILNS1_3genE0ELNS1_11target_archE4294967295ELNS1_3gpuE0ELNS1_3repE0EEENS1_30default_config_static_selectorELNS0_4arch9wavefront6targetE0EEEvT1_.kd
    .uniform_work_group_size: 1
    .uses_dynamic_stack: false
    .vgpr_count:     0
    .vgpr_spill_count: 0
    .wavefront_size: 32
    .workgroup_processor_mode: 1
  - .args:
      - .offset:         0
        .size:           128
        .value_kind:     by_value
    .group_segment_fixed_size: 0
    .kernarg_segment_align: 8
    .kernarg_segment_size: 128
    .language:       OpenCL C
    .language_version:
      - 2
      - 0
    .max_flat_workgroup_size: 256
    .name:           _ZN7rocprim17ROCPRIM_400000_NS6detail17trampoline_kernelINS0_14default_configENS1_29reduce_by_key_config_selectorIjiN6thrust23THRUST_200600_302600_NS4plusIiEEEEZZNS1_33reduce_by_key_impl_wrapped_configILNS1_25lookback_scan_determinismE0ES3_S9_NS6_6detail15normal_iteratorINS6_10device_ptrIjEEEENSD_INSE_IiEEEENS6_16discard_iteratorINS6_11use_defaultEEESI_PmS8_NS6_8equal_toIjEEEE10hipError_tPvRmT2_T3_mT4_T5_T6_T7_T8_P12ihipStream_tbENKUlT_T0_E_clISt17integral_constantIbLb0EES15_IbLb1EEEEDaS11_S12_EUlS11_E_NS1_11comp_targetILNS1_3genE5ELNS1_11target_archE942ELNS1_3gpuE9ELNS1_3repE0EEENS1_30default_config_static_selectorELNS0_4arch9wavefront6targetE0EEEvT1_
    .private_segment_fixed_size: 0
    .sgpr_count:     0
    .sgpr_spill_count: 0
    .symbol:         _ZN7rocprim17ROCPRIM_400000_NS6detail17trampoline_kernelINS0_14default_configENS1_29reduce_by_key_config_selectorIjiN6thrust23THRUST_200600_302600_NS4plusIiEEEEZZNS1_33reduce_by_key_impl_wrapped_configILNS1_25lookback_scan_determinismE0ES3_S9_NS6_6detail15normal_iteratorINS6_10device_ptrIjEEEENSD_INSE_IiEEEENS6_16discard_iteratorINS6_11use_defaultEEESI_PmS8_NS6_8equal_toIjEEEE10hipError_tPvRmT2_T3_mT4_T5_T6_T7_T8_P12ihipStream_tbENKUlT_T0_E_clISt17integral_constantIbLb0EES15_IbLb1EEEEDaS11_S12_EUlS11_E_NS1_11comp_targetILNS1_3genE5ELNS1_11target_archE942ELNS1_3gpuE9ELNS1_3repE0EEENS1_30default_config_static_selectorELNS0_4arch9wavefront6targetE0EEEvT1_.kd
    .uniform_work_group_size: 1
    .uses_dynamic_stack: false
    .vgpr_count:     0
    .vgpr_spill_count: 0
    .wavefront_size: 32
    .workgroup_processor_mode: 1
  - .args:
      - .offset:         0
        .size:           128
        .value_kind:     by_value
    .group_segment_fixed_size: 0
    .kernarg_segment_align: 8
    .kernarg_segment_size: 128
    .language:       OpenCL C
    .language_version:
      - 2
      - 0
    .max_flat_workgroup_size: 256
    .name:           _ZN7rocprim17ROCPRIM_400000_NS6detail17trampoline_kernelINS0_14default_configENS1_29reduce_by_key_config_selectorIjiN6thrust23THRUST_200600_302600_NS4plusIiEEEEZZNS1_33reduce_by_key_impl_wrapped_configILNS1_25lookback_scan_determinismE0ES3_S9_NS6_6detail15normal_iteratorINS6_10device_ptrIjEEEENSD_INSE_IiEEEENS6_16discard_iteratorINS6_11use_defaultEEESI_PmS8_NS6_8equal_toIjEEEE10hipError_tPvRmT2_T3_mT4_T5_T6_T7_T8_P12ihipStream_tbENKUlT_T0_E_clISt17integral_constantIbLb0EES15_IbLb1EEEEDaS11_S12_EUlS11_E_NS1_11comp_targetILNS1_3genE4ELNS1_11target_archE910ELNS1_3gpuE8ELNS1_3repE0EEENS1_30default_config_static_selectorELNS0_4arch9wavefront6targetE0EEEvT1_
    .private_segment_fixed_size: 0
    .sgpr_count:     0
    .sgpr_spill_count: 0
    .symbol:         _ZN7rocprim17ROCPRIM_400000_NS6detail17trampoline_kernelINS0_14default_configENS1_29reduce_by_key_config_selectorIjiN6thrust23THRUST_200600_302600_NS4plusIiEEEEZZNS1_33reduce_by_key_impl_wrapped_configILNS1_25lookback_scan_determinismE0ES3_S9_NS6_6detail15normal_iteratorINS6_10device_ptrIjEEEENSD_INSE_IiEEEENS6_16discard_iteratorINS6_11use_defaultEEESI_PmS8_NS6_8equal_toIjEEEE10hipError_tPvRmT2_T3_mT4_T5_T6_T7_T8_P12ihipStream_tbENKUlT_T0_E_clISt17integral_constantIbLb0EES15_IbLb1EEEEDaS11_S12_EUlS11_E_NS1_11comp_targetILNS1_3genE4ELNS1_11target_archE910ELNS1_3gpuE8ELNS1_3repE0EEENS1_30default_config_static_selectorELNS0_4arch9wavefront6targetE0EEEvT1_.kd
    .uniform_work_group_size: 1
    .uses_dynamic_stack: false
    .vgpr_count:     0
    .vgpr_spill_count: 0
    .wavefront_size: 32
    .workgroup_processor_mode: 1
  - .args:
      - .offset:         0
        .size:           128
        .value_kind:     by_value
    .group_segment_fixed_size: 0
    .kernarg_segment_align: 8
    .kernarg_segment_size: 128
    .language:       OpenCL C
    .language_version:
      - 2
      - 0
    .max_flat_workgroup_size: 256
    .name:           _ZN7rocprim17ROCPRIM_400000_NS6detail17trampoline_kernelINS0_14default_configENS1_29reduce_by_key_config_selectorIjiN6thrust23THRUST_200600_302600_NS4plusIiEEEEZZNS1_33reduce_by_key_impl_wrapped_configILNS1_25lookback_scan_determinismE0ES3_S9_NS6_6detail15normal_iteratorINS6_10device_ptrIjEEEENSD_INSE_IiEEEENS6_16discard_iteratorINS6_11use_defaultEEESI_PmS8_NS6_8equal_toIjEEEE10hipError_tPvRmT2_T3_mT4_T5_T6_T7_T8_P12ihipStream_tbENKUlT_T0_E_clISt17integral_constantIbLb0EES15_IbLb1EEEEDaS11_S12_EUlS11_E_NS1_11comp_targetILNS1_3genE3ELNS1_11target_archE908ELNS1_3gpuE7ELNS1_3repE0EEENS1_30default_config_static_selectorELNS0_4arch9wavefront6targetE0EEEvT1_
    .private_segment_fixed_size: 0
    .sgpr_count:     0
    .sgpr_spill_count: 0
    .symbol:         _ZN7rocprim17ROCPRIM_400000_NS6detail17trampoline_kernelINS0_14default_configENS1_29reduce_by_key_config_selectorIjiN6thrust23THRUST_200600_302600_NS4plusIiEEEEZZNS1_33reduce_by_key_impl_wrapped_configILNS1_25lookback_scan_determinismE0ES3_S9_NS6_6detail15normal_iteratorINS6_10device_ptrIjEEEENSD_INSE_IiEEEENS6_16discard_iteratorINS6_11use_defaultEEESI_PmS8_NS6_8equal_toIjEEEE10hipError_tPvRmT2_T3_mT4_T5_T6_T7_T8_P12ihipStream_tbENKUlT_T0_E_clISt17integral_constantIbLb0EES15_IbLb1EEEEDaS11_S12_EUlS11_E_NS1_11comp_targetILNS1_3genE3ELNS1_11target_archE908ELNS1_3gpuE7ELNS1_3repE0EEENS1_30default_config_static_selectorELNS0_4arch9wavefront6targetE0EEEvT1_.kd
    .uniform_work_group_size: 1
    .uses_dynamic_stack: false
    .vgpr_count:     0
    .vgpr_spill_count: 0
    .wavefront_size: 32
    .workgroup_processor_mode: 1
  - .args:
      - .offset:         0
        .size:           128
        .value_kind:     by_value
    .group_segment_fixed_size: 0
    .kernarg_segment_align: 8
    .kernarg_segment_size: 128
    .language:       OpenCL C
    .language_version:
      - 2
      - 0
    .max_flat_workgroup_size: 256
    .name:           _ZN7rocprim17ROCPRIM_400000_NS6detail17trampoline_kernelINS0_14default_configENS1_29reduce_by_key_config_selectorIjiN6thrust23THRUST_200600_302600_NS4plusIiEEEEZZNS1_33reduce_by_key_impl_wrapped_configILNS1_25lookback_scan_determinismE0ES3_S9_NS6_6detail15normal_iteratorINS6_10device_ptrIjEEEENSD_INSE_IiEEEENS6_16discard_iteratorINS6_11use_defaultEEESI_PmS8_NS6_8equal_toIjEEEE10hipError_tPvRmT2_T3_mT4_T5_T6_T7_T8_P12ihipStream_tbENKUlT_T0_E_clISt17integral_constantIbLb0EES15_IbLb1EEEEDaS11_S12_EUlS11_E_NS1_11comp_targetILNS1_3genE2ELNS1_11target_archE906ELNS1_3gpuE6ELNS1_3repE0EEENS1_30default_config_static_selectorELNS0_4arch9wavefront6targetE0EEEvT1_
    .private_segment_fixed_size: 0
    .sgpr_count:     0
    .sgpr_spill_count: 0
    .symbol:         _ZN7rocprim17ROCPRIM_400000_NS6detail17trampoline_kernelINS0_14default_configENS1_29reduce_by_key_config_selectorIjiN6thrust23THRUST_200600_302600_NS4plusIiEEEEZZNS1_33reduce_by_key_impl_wrapped_configILNS1_25lookback_scan_determinismE0ES3_S9_NS6_6detail15normal_iteratorINS6_10device_ptrIjEEEENSD_INSE_IiEEEENS6_16discard_iteratorINS6_11use_defaultEEESI_PmS8_NS6_8equal_toIjEEEE10hipError_tPvRmT2_T3_mT4_T5_T6_T7_T8_P12ihipStream_tbENKUlT_T0_E_clISt17integral_constantIbLb0EES15_IbLb1EEEEDaS11_S12_EUlS11_E_NS1_11comp_targetILNS1_3genE2ELNS1_11target_archE906ELNS1_3gpuE6ELNS1_3repE0EEENS1_30default_config_static_selectorELNS0_4arch9wavefront6targetE0EEEvT1_.kd
    .uniform_work_group_size: 1
    .uses_dynamic_stack: false
    .vgpr_count:     0
    .vgpr_spill_count: 0
    .wavefront_size: 32
    .workgroup_processor_mode: 1
  - .args:
      - .offset:         0
        .size:           128
        .value_kind:     by_value
    .group_segment_fixed_size: 0
    .kernarg_segment_align: 8
    .kernarg_segment_size: 128
    .language:       OpenCL C
    .language_version:
      - 2
      - 0
    .max_flat_workgroup_size: 256
    .name:           _ZN7rocprim17ROCPRIM_400000_NS6detail17trampoline_kernelINS0_14default_configENS1_29reduce_by_key_config_selectorIjiN6thrust23THRUST_200600_302600_NS4plusIiEEEEZZNS1_33reduce_by_key_impl_wrapped_configILNS1_25lookback_scan_determinismE0ES3_S9_NS6_6detail15normal_iteratorINS6_10device_ptrIjEEEENSD_INSE_IiEEEENS6_16discard_iteratorINS6_11use_defaultEEESI_PmS8_NS6_8equal_toIjEEEE10hipError_tPvRmT2_T3_mT4_T5_T6_T7_T8_P12ihipStream_tbENKUlT_T0_E_clISt17integral_constantIbLb0EES15_IbLb1EEEEDaS11_S12_EUlS11_E_NS1_11comp_targetILNS1_3genE10ELNS1_11target_archE1201ELNS1_3gpuE5ELNS1_3repE0EEENS1_30default_config_static_selectorELNS0_4arch9wavefront6targetE0EEEvT1_
    .private_segment_fixed_size: 0
    .sgpr_count:     0
    .sgpr_spill_count: 0
    .symbol:         _ZN7rocprim17ROCPRIM_400000_NS6detail17trampoline_kernelINS0_14default_configENS1_29reduce_by_key_config_selectorIjiN6thrust23THRUST_200600_302600_NS4plusIiEEEEZZNS1_33reduce_by_key_impl_wrapped_configILNS1_25lookback_scan_determinismE0ES3_S9_NS6_6detail15normal_iteratorINS6_10device_ptrIjEEEENSD_INSE_IiEEEENS6_16discard_iteratorINS6_11use_defaultEEESI_PmS8_NS6_8equal_toIjEEEE10hipError_tPvRmT2_T3_mT4_T5_T6_T7_T8_P12ihipStream_tbENKUlT_T0_E_clISt17integral_constantIbLb0EES15_IbLb1EEEEDaS11_S12_EUlS11_E_NS1_11comp_targetILNS1_3genE10ELNS1_11target_archE1201ELNS1_3gpuE5ELNS1_3repE0EEENS1_30default_config_static_selectorELNS0_4arch9wavefront6targetE0EEEvT1_.kd
    .uniform_work_group_size: 1
    .uses_dynamic_stack: false
    .vgpr_count:     0
    .vgpr_spill_count: 0
    .wavefront_size: 32
    .workgroup_processor_mode: 1
  - .args:
      - .offset:         0
        .size:           128
        .value_kind:     by_value
    .group_segment_fixed_size: 0
    .kernarg_segment_align: 8
    .kernarg_segment_size: 128
    .language:       OpenCL C
    .language_version:
      - 2
      - 0
    .max_flat_workgroup_size: 256
    .name:           _ZN7rocprim17ROCPRIM_400000_NS6detail17trampoline_kernelINS0_14default_configENS1_29reduce_by_key_config_selectorIjiN6thrust23THRUST_200600_302600_NS4plusIiEEEEZZNS1_33reduce_by_key_impl_wrapped_configILNS1_25lookback_scan_determinismE0ES3_S9_NS6_6detail15normal_iteratorINS6_10device_ptrIjEEEENSD_INSE_IiEEEENS6_16discard_iteratorINS6_11use_defaultEEESI_PmS8_NS6_8equal_toIjEEEE10hipError_tPvRmT2_T3_mT4_T5_T6_T7_T8_P12ihipStream_tbENKUlT_T0_E_clISt17integral_constantIbLb0EES15_IbLb1EEEEDaS11_S12_EUlS11_E_NS1_11comp_targetILNS1_3genE10ELNS1_11target_archE1200ELNS1_3gpuE4ELNS1_3repE0EEENS1_30default_config_static_selectorELNS0_4arch9wavefront6targetE0EEEvT1_
    .private_segment_fixed_size: 0
    .sgpr_count:     0
    .sgpr_spill_count: 0
    .symbol:         _ZN7rocprim17ROCPRIM_400000_NS6detail17trampoline_kernelINS0_14default_configENS1_29reduce_by_key_config_selectorIjiN6thrust23THRUST_200600_302600_NS4plusIiEEEEZZNS1_33reduce_by_key_impl_wrapped_configILNS1_25lookback_scan_determinismE0ES3_S9_NS6_6detail15normal_iteratorINS6_10device_ptrIjEEEENSD_INSE_IiEEEENS6_16discard_iteratorINS6_11use_defaultEEESI_PmS8_NS6_8equal_toIjEEEE10hipError_tPvRmT2_T3_mT4_T5_T6_T7_T8_P12ihipStream_tbENKUlT_T0_E_clISt17integral_constantIbLb0EES15_IbLb1EEEEDaS11_S12_EUlS11_E_NS1_11comp_targetILNS1_3genE10ELNS1_11target_archE1200ELNS1_3gpuE4ELNS1_3repE0EEENS1_30default_config_static_selectorELNS0_4arch9wavefront6targetE0EEEvT1_.kd
    .uniform_work_group_size: 1
    .uses_dynamic_stack: false
    .vgpr_count:     0
    .vgpr_spill_count: 0
    .wavefront_size: 32
    .workgroup_processor_mode: 1
  - .args:
      - .offset:         0
        .size:           128
        .value_kind:     by_value
    .group_segment_fixed_size: 15360
    .kernarg_segment_align: 8
    .kernarg_segment_size: 128
    .language:       OpenCL C
    .language_version:
      - 2
      - 0
    .max_flat_workgroup_size: 256
    .name:           _ZN7rocprim17ROCPRIM_400000_NS6detail17trampoline_kernelINS0_14default_configENS1_29reduce_by_key_config_selectorIjiN6thrust23THRUST_200600_302600_NS4plusIiEEEEZZNS1_33reduce_by_key_impl_wrapped_configILNS1_25lookback_scan_determinismE0ES3_S9_NS6_6detail15normal_iteratorINS6_10device_ptrIjEEEENSD_INSE_IiEEEENS6_16discard_iteratorINS6_11use_defaultEEESI_PmS8_NS6_8equal_toIjEEEE10hipError_tPvRmT2_T3_mT4_T5_T6_T7_T8_P12ihipStream_tbENKUlT_T0_E_clISt17integral_constantIbLb0EES15_IbLb1EEEEDaS11_S12_EUlS11_E_NS1_11comp_targetILNS1_3genE9ELNS1_11target_archE1100ELNS1_3gpuE3ELNS1_3repE0EEENS1_30default_config_static_selectorELNS0_4arch9wavefront6targetE0EEEvT1_
    .private_segment_fixed_size: 0
    .sgpr_count:     44
    .sgpr_spill_count: 0
    .symbol:         _ZN7rocprim17ROCPRIM_400000_NS6detail17trampoline_kernelINS0_14default_configENS1_29reduce_by_key_config_selectorIjiN6thrust23THRUST_200600_302600_NS4plusIiEEEEZZNS1_33reduce_by_key_impl_wrapped_configILNS1_25lookback_scan_determinismE0ES3_S9_NS6_6detail15normal_iteratorINS6_10device_ptrIjEEEENSD_INSE_IiEEEENS6_16discard_iteratorINS6_11use_defaultEEESI_PmS8_NS6_8equal_toIjEEEE10hipError_tPvRmT2_T3_mT4_T5_T6_T7_T8_P12ihipStream_tbENKUlT_T0_E_clISt17integral_constantIbLb0EES15_IbLb1EEEEDaS11_S12_EUlS11_E_NS1_11comp_targetILNS1_3genE9ELNS1_11target_archE1100ELNS1_3gpuE3ELNS1_3repE0EEENS1_30default_config_static_selectorELNS0_4arch9wavefront6targetE0EEEvT1_.kd
    .uniform_work_group_size: 1
    .uses_dynamic_stack: false
    .vgpr_count:     85
    .vgpr_spill_count: 0
    .wavefront_size: 32
    .workgroup_processor_mode: 1
  - .args:
      - .offset:         0
        .size:           128
        .value_kind:     by_value
    .group_segment_fixed_size: 0
    .kernarg_segment_align: 8
    .kernarg_segment_size: 128
    .language:       OpenCL C
    .language_version:
      - 2
      - 0
    .max_flat_workgroup_size: 256
    .name:           _ZN7rocprim17ROCPRIM_400000_NS6detail17trampoline_kernelINS0_14default_configENS1_29reduce_by_key_config_selectorIjiN6thrust23THRUST_200600_302600_NS4plusIiEEEEZZNS1_33reduce_by_key_impl_wrapped_configILNS1_25lookback_scan_determinismE0ES3_S9_NS6_6detail15normal_iteratorINS6_10device_ptrIjEEEENSD_INSE_IiEEEENS6_16discard_iteratorINS6_11use_defaultEEESI_PmS8_NS6_8equal_toIjEEEE10hipError_tPvRmT2_T3_mT4_T5_T6_T7_T8_P12ihipStream_tbENKUlT_T0_E_clISt17integral_constantIbLb0EES15_IbLb1EEEEDaS11_S12_EUlS11_E_NS1_11comp_targetILNS1_3genE8ELNS1_11target_archE1030ELNS1_3gpuE2ELNS1_3repE0EEENS1_30default_config_static_selectorELNS0_4arch9wavefront6targetE0EEEvT1_
    .private_segment_fixed_size: 0
    .sgpr_count:     0
    .sgpr_spill_count: 0
    .symbol:         _ZN7rocprim17ROCPRIM_400000_NS6detail17trampoline_kernelINS0_14default_configENS1_29reduce_by_key_config_selectorIjiN6thrust23THRUST_200600_302600_NS4plusIiEEEEZZNS1_33reduce_by_key_impl_wrapped_configILNS1_25lookback_scan_determinismE0ES3_S9_NS6_6detail15normal_iteratorINS6_10device_ptrIjEEEENSD_INSE_IiEEEENS6_16discard_iteratorINS6_11use_defaultEEESI_PmS8_NS6_8equal_toIjEEEE10hipError_tPvRmT2_T3_mT4_T5_T6_T7_T8_P12ihipStream_tbENKUlT_T0_E_clISt17integral_constantIbLb0EES15_IbLb1EEEEDaS11_S12_EUlS11_E_NS1_11comp_targetILNS1_3genE8ELNS1_11target_archE1030ELNS1_3gpuE2ELNS1_3repE0EEENS1_30default_config_static_selectorELNS0_4arch9wavefront6targetE0EEEvT1_.kd
    .uniform_work_group_size: 1
    .uses_dynamic_stack: false
    .vgpr_count:     0
    .vgpr_spill_count: 0
    .wavefront_size: 32
    .workgroup_processor_mode: 1
  - .args:
      - .offset:         0
        .size:           128
        .value_kind:     by_value
    .group_segment_fixed_size: 0
    .kernarg_segment_align: 8
    .kernarg_segment_size: 128
    .language:       OpenCL C
    .language_version:
      - 2
      - 0
    .max_flat_workgroup_size: 256
    .name:           _ZN7rocprim17ROCPRIM_400000_NS6detail17trampoline_kernelINS0_14default_configENS1_29reduce_by_key_config_selectorIjsN6thrust23THRUST_200600_302600_NS4plusIsEEEEZZNS1_33reduce_by_key_impl_wrapped_configILNS1_25lookback_scan_determinismE0ES3_S9_NS6_6detail15normal_iteratorINS6_10device_ptrIjEEEENSD_INSE_IsEEEENS6_16discard_iteratorINS6_11use_defaultEEESI_PmS8_NS6_8equal_toIjEEEE10hipError_tPvRmT2_T3_mT4_T5_T6_T7_T8_P12ihipStream_tbENKUlT_T0_E_clISt17integral_constantIbLb0EES16_EEDaS11_S12_EUlS11_E_NS1_11comp_targetILNS1_3genE0ELNS1_11target_archE4294967295ELNS1_3gpuE0ELNS1_3repE0EEENS1_30default_config_static_selectorELNS0_4arch9wavefront6targetE0EEEvT1_
    .private_segment_fixed_size: 0
    .sgpr_count:     0
    .sgpr_spill_count: 0
    .symbol:         _ZN7rocprim17ROCPRIM_400000_NS6detail17trampoline_kernelINS0_14default_configENS1_29reduce_by_key_config_selectorIjsN6thrust23THRUST_200600_302600_NS4plusIsEEEEZZNS1_33reduce_by_key_impl_wrapped_configILNS1_25lookback_scan_determinismE0ES3_S9_NS6_6detail15normal_iteratorINS6_10device_ptrIjEEEENSD_INSE_IsEEEENS6_16discard_iteratorINS6_11use_defaultEEESI_PmS8_NS6_8equal_toIjEEEE10hipError_tPvRmT2_T3_mT4_T5_T6_T7_T8_P12ihipStream_tbENKUlT_T0_E_clISt17integral_constantIbLb0EES16_EEDaS11_S12_EUlS11_E_NS1_11comp_targetILNS1_3genE0ELNS1_11target_archE4294967295ELNS1_3gpuE0ELNS1_3repE0EEENS1_30default_config_static_selectorELNS0_4arch9wavefront6targetE0EEEvT1_.kd
    .uniform_work_group_size: 1
    .uses_dynamic_stack: false
    .vgpr_count:     0
    .vgpr_spill_count: 0
    .wavefront_size: 32
    .workgroup_processor_mode: 1
  - .args:
      - .offset:         0
        .size:           128
        .value_kind:     by_value
    .group_segment_fixed_size: 0
    .kernarg_segment_align: 8
    .kernarg_segment_size: 128
    .language:       OpenCL C
    .language_version:
      - 2
      - 0
    .max_flat_workgroup_size: 256
    .name:           _ZN7rocprim17ROCPRIM_400000_NS6detail17trampoline_kernelINS0_14default_configENS1_29reduce_by_key_config_selectorIjsN6thrust23THRUST_200600_302600_NS4plusIsEEEEZZNS1_33reduce_by_key_impl_wrapped_configILNS1_25lookback_scan_determinismE0ES3_S9_NS6_6detail15normal_iteratorINS6_10device_ptrIjEEEENSD_INSE_IsEEEENS6_16discard_iteratorINS6_11use_defaultEEESI_PmS8_NS6_8equal_toIjEEEE10hipError_tPvRmT2_T3_mT4_T5_T6_T7_T8_P12ihipStream_tbENKUlT_T0_E_clISt17integral_constantIbLb0EES16_EEDaS11_S12_EUlS11_E_NS1_11comp_targetILNS1_3genE5ELNS1_11target_archE942ELNS1_3gpuE9ELNS1_3repE0EEENS1_30default_config_static_selectorELNS0_4arch9wavefront6targetE0EEEvT1_
    .private_segment_fixed_size: 0
    .sgpr_count:     0
    .sgpr_spill_count: 0
    .symbol:         _ZN7rocprim17ROCPRIM_400000_NS6detail17trampoline_kernelINS0_14default_configENS1_29reduce_by_key_config_selectorIjsN6thrust23THRUST_200600_302600_NS4plusIsEEEEZZNS1_33reduce_by_key_impl_wrapped_configILNS1_25lookback_scan_determinismE0ES3_S9_NS6_6detail15normal_iteratorINS6_10device_ptrIjEEEENSD_INSE_IsEEEENS6_16discard_iteratorINS6_11use_defaultEEESI_PmS8_NS6_8equal_toIjEEEE10hipError_tPvRmT2_T3_mT4_T5_T6_T7_T8_P12ihipStream_tbENKUlT_T0_E_clISt17integral_constantIbLb0EES16_EEDaS11_S12_EUlS11_E_NS1_11comp_targetILNS1_3genE5ELNS1_11target_archE942ELNS1_3gpuE9ELNS1_3repE0EEENS1_30default_config_static_selectorELNS0_4arch9wavefront6targetE0EEEvT1_.kd
    .uniform_work_group_size: 1
    .uses_dynamic_stack: false
    .vgpr_count:     0
    .vgpr_spill_count: 0
    .wavefront_size: 32
    .workgroup_processor_mode: 1
  - .args:
      - .offset:         0
        .size:           128
        .value_kind:     by_value
    .group_segment_fixed_size: 0
    .kernarg_segment_align: 8
    .kernarg_segment_size: 128
    .language:       OpenCL C
    .language_version:
      - 2
      - 0
    .max_flat_workgroup_size: 256
    .name:           _ZN7rocprim17ROCPRIM_400000_NS6detail17trampoline_kernelINS0_14default_configENS1_29reduce_by_key_config_selectorIjsN6thrust23THRUST_200600_302600_NS4plusIsEEEEZZNS1_33reduce_by_key_impl_wrapped_configILNS1_25lookback_scan_determinismE0ES3_S9_NS6_6detail15normal_iteratorINS6_10device_ptrIjEEEENSD_INSE_IsEEEENS6_16discard_iteratorINS6_11use_defaultEEESI_PmS8_NS6_8equal_toIjEEEE10hipError_tPvRmT2_T3_mT4_T5_T6_T7_T8_P12ihipStream_tbENKUlT_T0_E_clISt17integral_constantIbLb0EES16_EEDaS11_S12_EUlS11_E_NS1_11comp_targetILNS1_3genE4ELNS1_11target_archE910ELNS1_3gpuE8ELNS1_3repE0EEENS1_30default_config_static_selectorELNS0_4arch9wavefront6targetE0EEEvT1_
    .private_segment_fixed_size: 0
    .sgpr_count:     0
    .sgpr_spill_count: 0
    .symbol:         _ZN7rocprim17ROCPRIM_400000_NS6detail17trampoline_kernelINS0_14default_configENS1_29reduce_by_key_config_selectorIjsN6thrust23THRUST_200600_302600_NS4plusIsEEEEZZNS1_33reduce_by_key_impl_wrapped_configILNS1_25lookback_scan_determinismE0ES3_S9_NS6_6detail15normal_iteratorINS6_10device_ptrIjEEEENSD_INSE_IsEEEENS6_16discard_iteratorINS6_11use_defaultEEESI_PmS8_NS6_8equal_toIjEEEE10hipError_tPvRmT2_T3_mT4_T5_T6_T7_T8_P12ihipStream_tbENKUlT_T0_E_clISt17integral_constantIbLb0EES16_EEDaS11_S12_EUlS11_E_NS1_11comp_targetILNS1_3genE4ELNS1_11target_archE910ELNS1_3gpuE8ELNS1_3repE0EEENS1_30default_config_static_selectorELNS0_4arch9wavefront6targetE0EEEvT1_.kd
    .uniform_work_group_size: 1
    .uses_dynamic_stack: false
    .vgpr_count:     0
    .vgpr_spill_count: 0
    .wavefront_size: 32
    .workgroup_processor_mode: 1
  - .args:
      - .offset:         0
        .size:           128
        .value_kind:     by_value
    .group_segment_fixed_size: 0
    .kernarg_segment_align: 8
    .kernarg_segment_size: 128
    .language:       OpenCL C
    .language_version:
      - 2
      - 0
    .max_flat_workgroup_size: 256
    .name:           _ZN7rocprim17ROCPRIM_400000_NS6detail17trampoline_kernelINS0_14default_configENS1_29reduce_by_key_config_selectorIjsN6thrust23THRUST_200600_302600_NS4plusIsEEEEZZNS1_33reduce_by_key_impl_wrapped_configILNS1_25lookback_scan_determinismE0ES3_S9_NS6_6detail15normal_iteratorINS6_10device_ptrIjEEEENSD_INSE_IsEEEENS6_16discard_iteratorINS6_11use_defaultEEESI_PmS8_NS6_8equal_toIjEEEE10hipError_tPvRmT2_T3_mT4_T5_T6_T7_T8_P12ihipStream_tbENKUlT_T0_E_clISt17integral_constantIbLb0EES16_EEDaS11_S12_EUlS11_E_NS1_11comp_targetILNS1_3genE3ELNS1_11target_archE908ELNS1_3gpuE7ELNS1_3repE0EEENS1_30default_config_static_selectorELNS0_4arch9wavefront6targetE0EEEvT1_
    .private_segment_fixed_size: 0
    .sgpr_count:     0
    .sgpr_spill_count: 0
    .symbol:         _ZN7rocprim17ROCPRIM_400000_NS6detail17trampoline_kernelINS0_14default_configENS1_29reduce_by_key_config_selectorIjsN6thrust23THRUST_200600_302600_NS4plusIsEEEEZZNS1_33reduce_by_key_impl_wrapped_configILNS1_25lookback_scan_determinismE0ES3_S9_NS6_6detail15normal_iteratorINS6_10device_ptrIjEEEENSD_INSE_IsEEEENS6_16discard_iteratorINS6_11use_defaultEEESI_PmS8_NS6_8equal_toIjEEEE10hipError_tPvRmT2_T3_mT4_T5_T6_T7_T8_P12ihipStream_tbENKUlT_T0_E_clISt17integral_constantIbLb0EES16_EEDaS11_S12_EUlS11_E_NS1_11comp_targetILNS1_3genE3ELNS1_11target_archE908ELNS1_3gpuE7ELNS1_3repE0EEENS1_30default_config_static_selectorELNS0_4arch9wavefront6targetE0EEEvT1_.kd
    .uniform_work_group_size: 1
    .uses_dynamic_stack: false
    .vgpr_count:     0
    .vgpr_spill_count: 0
    .wavefront_size: 32
    .workgroup_processor_mode: 1
  - .args:
      - .offset:         0
        .size:           128
        .value_kind:     by_value
    .group_segment_fixed_size: 0
    .kernarg_segment_align: 8
    .kernarg_segment_size: 128
    .language:       OpenCL C
    .language_version:
      - 2
      - 0
    .max_flat_workgroup_size: 256
    .name:           _ZN7rocprim17ROCPRIM_400000_NS6detail17trampoline_kernelINS0_14default_configENS1_29reduce_by_key_config_selectorIjsN6thrust23THRUST_200600_302600_NS4plusIsEEEEZZNS1_33reduce_by_key_impl_wrapped_configILNS1_25lookback_scan_determinismE0ES3_S9_NS6_6detail15normal_iteratorINS6_10device_ptrIjEEEENSD_INSE_IsEEEENS6_16discard_iteratorINS6_11use_defaultEEESI_PmS8_NS6_8equal_toIjEEEE10hipError_tPvRmT2_T3_mT4_T5_T6_T7_T8_P12ihipStream_tbENKUlT_T0_E_clISt17integral_constantIbLb0EES16_EEDaS11_S12_EUlS11_E_NS1_11comp_targetILNS1_3genE2ELNS1_11target_archE906ELNS1_3gpuE6ELNS1_3repE0EEENS1_30default_config_static_selectorELNS0_4arch9wavefront6targetE0EEEvT1_
    .private_segment_fixed_size: 0
    .sgpr_count:     0
    .sgpr_spill_count: 0
    .symbol:         _ZN7rocprim17ROCPRIM_400000_NS6detail17trampoline_kernelINS0_14default_configENS1_29reduce_by_key_config_selectorIjsN6thrust23THRUST_200600_302600_NS4plusIsEEEEZZNS1_33reduce_by_key_impl_wrapped_configILNS1_25lookback_scan_determinismE0ES3_S9_NS6_6detail15normal_iteratorINS6_10device_ptrIjEEEENSD_INSE_IsEEEENS6_16discard_iteratorINS6_11use_defaultEEESI_PmS8_NS6_8equal_toIjEEEE10hipError_tPvRmT2_T3_mT4_T5_T6_T7_T8_P12ihipStream_tbENKUlT_T0_E_clISt17integral_constantIbLb0EES16_EEDaS11_S12_EUlS11_E_NS1_11comp_targetILNS1_3genE2ELNS1_11target_archE906ELNS1_3gpuE6ELNS1_3repE0EEENS1_30default_config_static_selectorELNS0_4arch9wavefront6targetE0EEEvT1_.kd
    .uniform_work_group_size: 1
    .uses_dynamic_stack: false
    .vgpr_count:     0
    .vgpr_spill_count: 0
    .wavefront_size: 32
    .workgroup_processor_mode: 1
  - .args:
      - .offset:         0
        .size:           128
        .value_kind:     by_value
    .group_segment_fixed_size: 0
    .kernarg_segment_align: 8
    .kernarg_segment_size: 128
    .language:       OpenCL C
    .language_version:
      - 2
      - 0
    .max_flat_workgroup_size: 256
    .name:           _ZN7rocprim17ROCPRIM_400000_NS6detail17trampoline_kernelINS0_14default_configENS1_29reduce_by_key_config_selectorIjsN6thrust23THRUST_200600_302600_NS4plusIsEEEEZZNS1_33reduce_by_key_impl_wrapped_configILNS1_25lookback_scan_determinismE0ES3_S9_NS6_6detail15normal_iteratorINS6_10device_ptrIjEEEENSD_INSE_IsEEEENS6_16discard_iteratorINS6_11use_defaultEEESI_PmS8_NS6_8equal_toIjEEEE10hipError_tPvRmT2_T3_mT4_T5_T6_T7_T8_P12ihipStream_tbENKUlT_T0_E_clISt17integral_constantIbLb0EES16_EEDaS11_S12_EUlS11_E_NS1_11comp_targetILNS1_3genE10ELNS1_11target_archE1201ELNS1_3gpuE5ELNS1_3repE0EEENS1_30default_config_static_selectorELNS0_4arch9wavefront6targetE0EEEvT1_
    .private_segment_fixed_size: 0
    .sgpr_count:     0
    .sgpr_spill_count: 0
    .symbol:         _ZN7rocprim17ROCPRIM_400000_NS6detail17trampoline_kernelINS0_14default_configENS1_29reduce_by_key_config_selectorIjsN6thrust23THRUST_200600_302600_NS4plusIsEEEEZZNS1_33reduce_by_key_impl_wrapped_configILNS1_25lookback_scan_determinismE0ES3_S9_NS6_6detail15normal_iteratorINS6_10device_ptrIjEEEENSD_INSE_IsEEEENS6_16discard_iteratorINS6_11use_defaultEEESI_PmS8_NS6_8equal_toIjEEEE10hipError_tPvRmT2_T3_mT4_T5_T6_T7_T8_P12ihipStream_tbENKUlT_T0_E_clISt17integral_constantIbLb0EES16_EEDaS11_S12_EUlS11_E_NS1_11comp_targetILNS1_3genE10ELNS1_11target_archE1201ELNS1_3gpuE5ELNS1_3repE0EEENS1_30default_config_static_selectorELNS0_4arch9wavefront6targetE0EEEvT1_.kd
    .uniform_work_group_size: 1
    .uses_dynamic_stack: false
    .vgpr_count:     0
    .vgpr_spill_count: 0
    .wavefront_size: 32
    .workgroup_processor_mode: 1
  - .args:
      - .offset:         0
        .size:           128
        .value_kind:     by_value
    .group_segment_fixed_size: 0
    .kernarg_segment_align: 8
    .kernarg_segment_size: 128
    .language:       OpenCL C
    .language_version:
      - 2
      - 0
    .max_flat_workgroup_size: 256
    .name:           _ZN7rocprim17ROCPRIM_400000_NS6detail17trampoline_kernelINS0_14default_configENS1_29reduce_by_key_config_selectorIjsN6thrust23THRUST_200600_302600_NS4plusIsEEEEZZNS1_33reduce_by_key_impl_wrapped_configILNS1_25lookback_scan_determinismE0ES3_S9_NS6_6detail15normal_iteratorINS6_10device_ptrIjEEEENSD_INSE_IsEEEENS6_16discard_iteratorINS6_11use_defaultEEESI_PmS8_NS6_8equal_toIjEEEE10hipError_tPvRmT2_T3_mT4_T5_T6_T7_T8_P12ihipStream_tbENKUlT_T0_E_clISt17integral_constantIbLb0EES16_EEDaS11_S12_EUlS11_E_NS1_11comp_targetILNS1_3genE10ELNS1_11target_archE1200ELNS1_3gpuE4ELNS1_3repE0EEENS1_30default_config_static_selectorELNS0_4arch9wavefront6targetE0EEEvT1_
    .private_segment_fixed_size: 0
    .sgpr_count:     0
    .sgpr_spill_count: 0
    .symbol:         _ZN7rocprim17ROCPRIM_400000_NS6detail17trampoline_kernelINS0_14default_configENS1_29reduce_by_key_config_selectorIjsN6thrust23THRUST_200600_302600_NS4plusIsEEEEZZNS1_33reduce_by_key_impl_wrapped_configILNS1_25lookback_scan_determinismE0ES3_S9_NS6_6detail15normal_iteratorINS6_10device_ptrIjEEEENSD_INSE_IsEEEENS6_16discard_iteratorINS6_11use_defaultEEESI_PmS8_NS6_8equal_toIjEEEE10hipError_tPvRmT2_T3_mT4_T5_T6_T7_T8_P12ihipStream_tbENKUlT_T0_E_clISt17integral_constantIbLb0EES16_EEDaS11_S12_EUlS11_E_NS1_11comp_targetILNS1_3genE10ELNS1_11target_archE1200ELNS1_3gpuE4ELNS1_3repE0EEENS1_30default_config_static_selectorELNS0_4arch9wavefront6targetE0EEEvT1_.kd
    .uniform_work_group_size: 1
    .uses_dynamic_stack: false
    .vgpr_count:     0
    .vgpr_spill_count: 0
    .wavefront_size: 32
    .workgroup_processor_mode: 1
  - .args:
      - .offset:         0
        .size:           128
        .value_kind:     by_value
    .group_segment_fixed_size: 15360
    .kernarg_segment_align: 8
    .kernarg_segment_size: 128
    .language:       OpenCL C
    .language_version:
      - 2
      - 0
    .max_flat_workgroup_size: 256
    .name:           _ZN7rocprim17ROCPRIM_400000_NS6detail17trampoline_kernelINS0_14default_configENS1_29reduce_by_key_config_selectorIjsN6thrust23THRUST_200600_302600_NS4plusIsEEEEZZNS1_33reduce_by_key_impl_wrapped_configILNS1_25lookback_scan_determinismE0ES3_S9_NS6_6detail15normal_iteratorINS6_10device_ptrIjEEEENSD_INSE_IsEEEENS6_16discard_iteratorINS6_11use_defaultEEESI_PmS8_NS6_8equal_toIjEEEE10hipError_tPvRmT2_T3_mT4_T5_T6_T7_T8_P12ihipStream_tbENKUlT_T0_E_clISt17integral_constantIbLb0EES16_EEDaS11_S12_EUlS11_E_NS1_11comp_targetILNS1_3genE9ELNS1_11target_archE1100ELNS1_3gpuE3ELNS1_3repE0EEENS1_30default_config_static_selectorELNS0_4arch9wavefront6targetE0EEEvT1_
    .private_segment_fixed_size: 0
    .sgpr_count:     44
    .sgpr_spill_count: 0
    .symbol:         _ZN7rocprim17ROCPRIM_400000_NS6detail17trampoline_kernelINS0_14default_configENS1_29reduce_by_key_config_selectorIjsN6thrust23THRUST_200600_302600_NS4plusIsEEEEZZNS1_33reduce_by_key_impl_wrapped_configILNS1_25lookback_scan_determinismE0ES3_S9_NS6_6detail15normal_iteratorINS6_10device_ptrIjEEEENSD_INSE_IsEEEENS6_16discard_iteratorINS6_11use_defaultEEESI_PmS8_NS6_8equal_toIjEEEE10hipError_tPvRmT2_T3_mT4_T5_T6_T7_T8_P12ihipStream_tbENKUlT_T0_E_clISt17integral_constantIbLb0EES16_EEDaS11_S12_EUlS11_E_NS1_11comp_targetILNS1_3genE9ELNS1_11target_archE1100ELNS1_3gpuE3ELNS1_3repE0EEENS1_30default_config_static_selectorELNS0_4arch9wavefront6targetE0EEEvT1_.kd
    .uniform_work_group_size: 1
    .uses_dynamic_stack: false
    .vgpr_count:     89
    .vgpr_spill_count: 0
    .wavefront_size: 32
    .workgroup_processor_mode: 1
  - .args:
      - .offset:         0
        .size:           128
        .value_kind:     by_value
    .group_segment_fixed_size: 0
    .kernarg_segment_align: 8
    .kernarg_segment_size: 128
    .language:       OpenCL C
    .language_version:
      - 2
      - 0
    .max_flat_workgroup_size: 256
    .name:           _ZN7rocprim17ROCPRIM_400000_NS6detail17trampoline_kernelINS0_14default_configENS1_29reduce_by_key_config_selectorIjsN6thrust23THRUST_200600_302600_NS4plusIsEEEEZZNS1_33reduce_by_key_impl_wrapped_configILNS1_25lookback_scan_determinismE0ES3_S9_NS6_6detail15normal_iteratorINS6_10device_ptrIjEEEENSD_INSE_IsEEEENS6_16discard_iteratorINS6_11use_defaultEEESI_PmS8_NS6_8equal_toIjEEEE10hipError_tPvRmT2_T3_mT4_T5_T6_T7_T8_P12ihipStream_tbENKUlT_T0_E_clISt17integral_constantIbLb0EES16_EEDaS11_S12_EUlS11_E_NS1_11comp_targetILNS1_3genE8ELNS1_11target_archE1030ELNS1_3gpuE2ELNS1_3repE0EEENS1_30default_config_static_selectorELNS0_4arch9wavefront6targetE0EEEvT1_
    .private_segment_fixed_size: 0
    .sgpr_count:     0
    .sgpr_spill_count: 0
    .symbol:         _ZN7rocprim17ROCPRIM_400000_NS6detail17trampoline_kernelINS0_14default_configENS1_29reduce_by_key_config_selectorIjsN6thrust23THRUST_200600_302600_NS4plusIsEEEEZZNS1_33reduce_by_key_impl_wrapped_configILNS1_25lookback_scan_determinismE0ES3_S9_NS6_6detail15normal_iteratorINS6_10device_ptrIjEEEENSD_INSE_IsEEEENS6_16discard_iteratorINS6_11use_defaultEEESI_PmS8_NS6_8equal_toIjEEEE10hipError_tPvRmT2_T3_mT4_T5_T6_T7_T8_P12ihipStream_tbENKUlT_T0_E_clISt17integral_constantIbLb0EES16_EEDaS11_S12_EUlS11_E_NS1_11comp_targetILNS1_3genE8ELNS1_11target_archE1030ELNS1_3gpuE2ELNS1_3repE0EEENS1_30default_config_static_selectorELNS0_4arch9wavefront6targetE0EEEvT1_.kd
    .uniform_work_group_size: 1
    .uses_dynamic_stack: false
    .vgpr_count:     0
    .vgpr_spill_count: 0
    .wavefront_size: 32
    .workgroup_processor_mode: 1
  - .args:
      - .offset:         0
        .size:           128
        .value_kind:     by_value
    .group_segment_fixed_size: 0
    .kernarg_segment_align: 8
    .kernarg_segment_size: 128
    .language:       OpenCL C
    .language_version:
      - 2
      - 0
    .max_flat_workgroup_size: 256
    .name:           _ZN7rocprim17ROCPRIM_400000_NS6detail17trampoline_kernelINS0_14default_configENS1_29reduce_by_key_config_selectorIjsN6thrust23THRUST_200600_302600_NS4plusIsEEEEZZNS1_33reduce_by_key_impl_wrapped_configILNS1_25lookback_scan_determinismE0ES3_S9_NS6_6detail15normal_iteratorINS6_10device_ptrIjEEEENSD_INSE_IsEEEENS6_16discard_iteratorINS6_11use_defaultEEESI_PmS8_NS6_8equal_toIjEEEE10hipError_tPvRmT2_T3_mT4_T5_T6_T7_T8_P12ihipStream_tbENKUlT_T0_E_clISt17integral_constantIbLb1EES16_EEDaS11_S12_EUlS11_E_NS1_11comp_targetILNS1_3genE0ELNS1_11target_archE4294967295ELNS1_3gpuE0ELNS1_3repE0EEENS1_30default_config_static_selectorELNS0_4arch9wavefront6targetE0EEEvT1_
    .private_segment_fixed_size: 0
    .sgpr_count:     0
    .sgpr_spill_count: 0
    .symbol:         _ZN7rocprim17ROCPRIM_400000_NS6detail17trampoline_kernelINS0_14default_configENS1_29reduce_by_key_config_selectorIjsN6thrust23THRUST_200600_302600_NS4plusIsEEEEZZNS1_33reduce_by_key_impl_wrapped_configILNS1_25lookback_scan_determinismE0ES3_S9_NS6_6detail15normal_iteratorINS6_10device_ptrIjEEEENSD_INSE_IsEEEENS6_16discard_iteratorINS6_11use_defaultEEESI_PmS8_NS6_8equal_toIjEEEE10hipError_tPvRmT2_T3_mT4_T5_T6_T7_T8_P12ihipStream_tbENKUlT_T0_E_clISt17integral_constantIbLb1EES16_EEDaS11_S12_EUlS11_E_NS1_11comp_targetILNS1_3genE0ELNS1_11target_archE4294967295ELNS1_3gpuE0ELNS1_3repE0EEENS1_30default_config_static_selectorELNS0_4arch9wavefront6targetE0EEEvT1_.kd
    .uniform_work_group_size: 1
    .uses_dynamic_stack: false
    .vgpr_count:     0
    .vgpr_spill_count: 0
    .wavefront_size: 32
    .workgroup_processor_mode: 1
  - .args:
      - .offset:         0
        .size:           128
        .value_kind:     by_value
    .group_segment_fixed_size: 0
    .kernarg_segment_align: 8
    .kernarg_segment_size: 128
    .language:       OpenCL C
    .language_version:
      - 2
      - 0
    .max_flat_workgroup_size: 256
    .name:           _ZN7rocprim17ROCPRIM_400000_NS6detail17trampoline_kernelINS0_14default_configENS1_29reduce_by_key_config_selectorIjsN6thrust23THRUST_200600_302600_NS4plusIsEEEEZZNS1_33reduce_by_key_impl_wrapped_configILNS1_25lookback_scan_determinismE0ES3_S9_NS6_6detail15normal_iteratorINS6_10device_ptrIjEEEENSD_INSE_IsEEEENS6_16discard_iteratorINS6_11use_defaultEEESI_PmS8_NS6_8equal_toIjEEEE10hipError_tPvRmT2_T3_mT4_T5_T6_T7_T8_P12ihipStream_tbENKUlT_T0_E_clISt17integral_constantIbLb1EES16_EEDaS11_S12_EUlS11_E_NS1_11comp_targetILNS1_3genE5ELNS1_11target_archE942ELNS1_3gpuE9ELNS1_3repE0EEENS1_30default_config_static_selectorELNS0_4arch9wavefront6targetE0EEEvT1_
    .private_segment_fixed_size: 0
    .sgpr_count:     0
    .sgpr_spill_count: 0
    .symbol:         _ZN7rocprim17ROCPRIM_400000_NS6detail17trampoline_kernelINS0_14default_configENS1_29reduce_by_key_config_selectorIjsN6thrust23THRUST_200600_302600_NS4plusIsEEEEZZNS1_33reduce_by_key_impl_wrapped_configILNS1_25lookback_scan_determinismE0ES3_S9_NS6_6detail15normal_iteratorINS6_10device_ptrIjEEEENSD_INSE_IsEEEENS6_16discard_iteratorINS6_11use_defaultEEESI_PmS8_NS6_8equal_toIjEEEE10hipError_tPvRmT2_T3_mT4_T5_T6_T7_T8_P12ihipStream_tbENKUlT_T0_E_clISt17integral_constantIbLb1EES16_EEDaS11_S12_EUlS11_E_NS1_11comp_targetILNS1_3genE5ELNS1_11target_archE942ELNS1_3gpuE9ELNS1_3repE0EEENS1_30default_config_static_selectorELNS0_4arch9wavefront6targetE0EEEvT1_.kd
    .uniform_work_group_size: 1
    .uses_dynamic_stack: false
    .vgpr_count:     0
    .vgpr_spill_count: 0
    .wavefront_size: 32
    .workgroup_processor_mode: 1
  - .args:
      - .offset:         0
        .size:           128
        .value_kind:     by_value
    .group_segment_fixed_size: 0
    .kernarg_segment_align: 8
    .kernarg_segment_size: 128
    .language:       OpenCL C
    .language_version:
      - 2
      - 0
    .max_flat_workgroup_size: 256
    .name:           _ZN7rocprim17ROCPRIM_400000_NS6detail17trampoline_kernelINS0_14default_configENS1_29reduce_by_key_config_selectorIjsN6thrust23THRUST_200600_302600_NS4plusIsEEEEZZNS1_33reduce_by_key_impl_wrapped_configILNS1_25lookback_scan_determinismE0ES3_S9_NS6_6detail15normal_iteratorINS6_10device_ptrIjEEEENSD_INSE_IsEEEENS6_16discard_iteratorINS6_11use_defaultEEESI_PmS8_NS6_8equal_toIjEEEE10hipError_tPvRmT2_T3_mT4_T5_T6_T7_T8_P12ihipStream_tbENKUlT_T0_E_clISt17integral_constantIbLb1EES16_EEDaS11_S12_EUlS11_E_NS1_11comp_targetILNS1_3genE4ELNS1_11target_archE910ELNS1_3gpuE8ELNS1_3repE0EEENS1_30default_config_static_selectorELNS0_4arch9wavefront6targetE0EEEvT1_
    .private_segment_fixed_size: 0
    .sgpr_count:     0
    .sgpr_spill_count: 0
    .symbol:         _ZN7rocprim17ROCPRIM_400000_NS6detail17trampoline_kernelINS0_14default_configENS1_29reduce_by_key_config_selectorIjsN6thrust23THRUST_200600_302600_NS4plusIsEEEEZZNS1_33reduce_by_key_impl_wrapped_configILNS1_25lookback_scan_determinismE0ES3_S9_NS6_6detail15normal_iteratorINS6_10device_ptrIjEEEENSD_INSE_IsEEEENS6_16discard_iteratorINS6_11use_defaultEEESI_PmS8_NS6_8equal_toIjEEEE10hipError_tPvRmT2_T3_mT4_T5_T6_T7_T8_P12ihipStream_tbENKUlT_T0_E_clISt17integral_constantIbLb1EES16_EEDaS11_S12_EUlS11_E_NS1_11comp_targetILNS1_3genE4ELNS1_11target_archE910ELNS1_3gpuE8ELNS1_3repE0EEENS1_30default_config_static_selectorELNS0_4arch9wavefront6targetE0EEEvT1_.kd
    .uniform_work_group_size: 1
    .uses_dynamic_stack: false
    .vgpr_count:     0
    .vgpr_spill_count: 0
    .wavefront_size: 32
    .workgroup_processor_mode: 1
  - .args:
      - .offset:         0
        .size:           128
        .value_kind:     by_value
    .group_segment_fixed_size: 0
    .kernarg_segment_align: 8
    .kernarg_segment_size: 128
    .language:       OpenCL C
    .language_version:
      - 2
      - 0
    .max_flat_workgroup_size: 256
    .name:           _ZN7rocprim17ROCPRIM_400000_NS6detail17trampoline_kernelINS0_14default_configENS1_29reduce_by_key_config_selectorIjsN6thrust23THRUST_200600_302600_NS4plusIsEEEEZZNS1_33reduce_by_key_impl_wrapped_configILNS1_25lookback_scan_determinismE0ES3_S9_NS6_6detail15normal_iteratorINS6_10device_ptrIjEEEENSD_INSE_IsEEEENS6_16discard_iteratorINS6_11use_defaultEEESI_PmS8_NS6_8equal_toIjEEEE10hipError_tPvRmT2_T3_mT4_T5_T6_T7_T8_P12ihipStream_tbENKUlT_T0_E_clISt17integral_constantIbLb1EES16_EEDaS11_S12_EUlS11_E_NS1_11comp_targetILNS1_3genE3ELNS1_11target_archE908ELNS1_3gpuE7ELNS1_3repE0EEENS1_30default_config_static_selectorELNS0_4arch9wavefront6targetE0EEEvT1_
    .private_segment_fixed_size: 0
    .sgpr_count:     0
    .sgpr_spill_count: 0
    .symbol:         _ZN7rocprim17ROCPRIM_400000_NS6detail17trampoline_kernelINS0_14default_configENS1_29reduce_by_key_config_selectorIjsN6thrust23THRUST_200600_302600_NS4plusIsEEEEZZNS1_33reduce_by_key_impl_wrapped_configILNS1_25lookback_scan_determinismE0ES3_S9_NS6_6detail15normal_iteratorINS6_10device_ptrIjEEEENSD_INSE_IsEEEENS6_16discard_iteratorINS6_11use_defaultEEESI_PmS8_NS6_8equal_toIjEEEE10hipError_tPvRmT2_T3_mT4_T5_T6_T7_T8_P12ihipStream_tbENKUlT_T0_E_clISt17integral_constantIbLb1EES16_EEDaS11_S12_EUlS11_E_NS1_11comp_targetILNS1_3genE3ELNS1_11target_archE908ELNS1_3gpuE7ELNS1_3repE0EEENS1_30default_config_static_selectorELNS0_4arch9wavefront6targetE0EEEvT1_.kd
    .uniform_work_group_size: 1
    .uses_dynamic_stack: false
    .vgpr_count:     0
    .vgpr_spill_count: 0
    .wavefront_size: 32
    .workgroup_processor_mode: 1
  - .args:
      - .offset:         0
        .size:           128
        .value_kind:     by_value
    .group_segment_fixed_size: 0
    .kernarg_segment_align: 8
    .kernarg_segment_size: 128
    .language:       OpenCL C
    .language_version:
      - 2
      - 0
    .max_flat_workgroup_size: 256
    .name:           _ZN7rocprim17ROCPRIM_400000_NS6detail17trampoline_kernelINS0_14default_configENS1_29reduce_by_key_config_selectorIjsN6thrust23THRUST_200600_302600_NS4plusIsEEEEZZNS1_33reduce_by_key_impl_wrapped_configILNS1_25lookback_scan_determinismE0ES3_S9_NS6_6detail15normal_iteratorINS6_10device_ptrIjEEEENSD_INSE_IsEEEENS6_16discard_iteratorINS6_11use_defaultEEESI_PmS8_NS6_8equal_toIjEEEE10hipError_tPvRmT2_T3_mT4_T5_T6_T7_T8_P12ihipStream_tbENKUlT_T0_E_clISt17integral_constantIbLb1EES16_EEDaS11_S12_EUlS11_E_NS1_11comp_targetILNS1_3genE2ELNS1_11target_archE906ELNS1_3gpuE6ELNS1_3repE0EEENS1_30default_config_static_selectorELNS0_4arch9wavefront6targetE0EEEvT1_
    .private_segment_fixed_size: 0
    .sgpr_count:     0
    .sgpr_spill_count: 0
    .symbol:         _ZN7rocprim17ROCPRIM_400000_NS6detail17trampoline_kernelINS0_14default_configENS1_29reduce_by_key_config_selectorIjsN6thrust23THRUST_200600_302600_NS4plusIsEEEEZZNS1_33reduce_by_key_impl_wrapped_configILNS1_25lookback_scan_determinismE0ES3_S9_NS6_6detail15normal_iteratorINS6_10device_ptrIjEEEENSD_INSE_IsEEEENS6_16discard_iteratorINS6_11use_defaultEEESI_PmS8_NS6_8equal_toIjEEEE10hipError_tPvRmT2_T3_mT4_T5_T6_T7_T8_P12ihipStream_tbENKUlT_T0_E_clISt17integral_constantIbLb1EES16_EEDaS11_S12_EUlS11_E_NS1_11comp_targetILNS1_3genE2ELNS1_11target_archE906ELNS1_3gpuE6ELNS1_3repE0EEENS1_30default_config_static_selectorELNS0_4arch9wavefront6targetE0EEEvT1_.kd
    .uniform_work_group_size: 1
    .uses_dynamic_stack: false
    .vgpr_count:     0
    .vgpr_spill_count: 0
    .wavefront_size: 32
    .workgroup_processor_mode: 1
  - .args:
      - .offset:         0
        .size:           128
        .value_kind:     by_value
    .group_segment_fixed_size: 0
    .kernarg_segment_align: 8
    .kernarg_segment_size: 128
    .language:       OpenCL C
    .language_version:
      - 2
      - 0
    .max_flat_workgroup_size: 256
    .name:           _ZN7rocprim17ROCPRIM_400000_NS6detail17trampoline_kernelINS0_14default_configENS1_29reduce_by_key_config_selectorIjsN6thrust23THRUST_200600_302600_NS4plusIsEEEEZZNS1_33reduce_by_key_impl_wrapped_configILNS1_25lookback_scan_determinismE0ES3_S9_NS6_6detail15normal_iteratorINS6_10device_ptrIjEEEENSD_INSE_IsEEEENS6_16discard_iteratorINS6_11use_defaultEEESI_PmS8_NS6_8equal_toIjEEEE10hipError_tPvRmT2_T3_mT4_T5_T6_T7_T8_P12ihipStream_tbENKUlT_T0_E_clISt17integral_constantIbLb1EES16_EEDaS11_S12_EUlS11_E_NS1_11comp_targetILNS1_3genE10ELNS1_11target_archE1201ELNS1_3gpuE5ELNS1_3repE0EEENS1_30default_config_static_selectorELNS0_4arch9wavefront6targetE0EEEvT1_
    .private_segment_fixed_size: 0
    .sgpr_count:     0
    .sgpr_spill_count: 0
    .symbol:         _ZN7rocprim17ROCPRIM_400000_NS6detail17trampoline_kernelINS0_14default_configENS1_29reduce_by_key_config_selectorIjsN6thrust23THRUST_200600_302600_NS4plusIsEEEEZZNS1_33reduce_by_key_impl_wrapped_configILNS1_25lookback_scan_determinismE0ES3_S9_NS6_6detail15normal_iteratorINS6_10device_ptrIjEEEENSD_INSE_IsEEEENS6_16discard_iteratorINS6_11use_defaultEEESI_PmS8_NS6_8equal_toIjEEEE10hipError_tPvRmT2_T3_mT4_T5_T6_T7_T8_P12ihipStream_tbENKUlT_T0_E_clISt17integral_constantIbLb1EES16_EEDaS11_S12_EUlS11_E_NS1_11comp_targetILNS1_3genE10ELNS1_11target_archE1201ELNS1_3gpuE5ELNS1_3repE0EEENS1_30default_config_static_selectorELNS0_4arch9wavefront6targetE0EEEvT1_.kd
    .uniform_work_group_size: 1
    .uses_dynamic_stack: false
    .vgpr_count:     0
    .vgpr_spill_count: 0
    .wavefront_size: 32
    .workgroup_processor_mode: 1
  - .args:
      - .offset:         0
        .size:           128
        .value_kind:     by_value
    .group_segment_fixed_size: 0
    .kernarg_segment_align: 8
    .kernarg_segment_size: 128
    .language:       OpenCL C
    .language_version:
      - 2
      - 0
    .max_flat_workgroup_size: 256
    .name:           _ZN7rocprim17ROCPRIM_400000_NS6detail17trampoline_kernelINS0_14default_configENS1_29reduce_by_key_config_selectorIjsN6thrust23THRUST_200600_302600_NS4plusIsEEEEZZNS1_33reduce_by_key_impl_wrapped_configILNS1_25lookback_scan_determinismE0ES3_S9_NS6_6detail15normal_iteratorINS6_10device_ptrIjEEEENSD_INSE_IsEEEENS6_16discard_iteratorINS6_11use_defaultEEESI_PmS8_NS6_8equal_toIjEEEE10hipError_tPvRmT2_T3_mT4_T5_T6_T7_T8_P12ihipStream_tbENKUlT_T0_E_clISt17integral_constantIbLb1EES16_EEDaS11_S12_EUlS11_E_NS1_11comp_targetILNS1_3genE10ELNS1_11target_archE1200ELNS1_3gpuE4ELNS1_3repE0EEENS1_30default_config_static_selectorELNS0_4arch9wavefront6targetE0EEEvT1_
    .private_segment_fixed_size: 0
    .sgpr_count:     0
    .sgpr_spill_count: 0
    .symbol:         _ZN7rocprim17ROCPRIM_400000_NS6detail17trampoline_kernelINS0_14default_configENS1_29reduce_by_key_config_selectorIjsN6thrust23THRUST_200600_302600_NS4plusIsEEEEZZNS1_33reduce_by_key_impl_wrapped_configILNS1_25lookback_scan_determinismE0ES3_S9_NS6_6detail15normal_iteratorINS6_10device_ptrIjEEEENSD_INSE_IsEEEENS6_16discard_iteratorINS6_11use_defaultEEESI_PmS8_NS6_8equal_toIjEEEE10hipError_tPvRmT2_T3_mT4_T5_T6_T7_T8_P12ihipStream_tbENKUlT_T0_E_clISt17integral_constantIbLb1EES16_EEDaS11_S12_EUlS11_E_NS1_11comp_targetILNS1_3genE10ELNS1_11target_archE1200ELNS1_3gpuE4ELNS1_3repE0EEENS1_30default_config_static_selectorELNS0_4arch9wavefront6targetE0EEEvT1_.kd
    .uniform_work_group_size: 1
    .uses_dynamic_stack: false
    .vgpr_count:     0
    .vgpr_spill_count: 0
    .wavefront_size: 32
    .workgroup_processor_mode: 1
  - .args:
      - .offset:         0
        .size:           128
        .value_kind:     by_value
    .group_segment_fixed_size: 15360
    .kernarg_segment_align: 8
    .kernarg_segment_size: 128
    .language:       OpenCL C
    .language_version:
      - 2
      - 0
    .max_flat_workgroup_size: 256
    .name:           _ZN7rocprim17ROCPRIM_400000_NS6detail17trampoline_kernelINS0_14default_configENS1_29reduce_by_key_config_selectorIjsN6thrust23THRUST_200600_302600_NS4plusIsEEEEZZNS1_33reduce_by_key_impl_wrapped_configILNS1_25lookback_scan_determinismE0ES3_S9_NS6_6detail15normal_iteratorINS6_10device_ptrIjEEEENSD_INSE_IsEEEENS6_16discard_iteratorINS6_11use_defaultEEESI_PmS8_NS6_8equal_toIjEEEE10hipError_tPvRmT2_T3_mT4_T5_T6_T7_T8_P12ihipStream_tbENKUlT_T0_E_clISt17integral_constantIbLb1EES16_EEDaS11_S12_EUlS11_E_NS1_11comp_targetILNS1_3genE9ELNS1_11target_archE1100ELNS1_3gpuE3ELNS1_3repE0EEENS1_30default_config_static_selectorELNS0_4arch9wavefront6targetE0EEEvT1_
    .private_segment_fixed_size: 0
    .sgpr_count:     48
    .sgpr_spill_count: 0
    .symbol:         _ZN7rocprim17ROCPRIM_400000_NS6detail17trampoline_kernelINS0_14default_configENS1_29reduce_by_key_config_selectorIjsN6thrust23THRUST_200600_302600_NS4plusIsEEEEZZNS1_33reduce_by_key_impl_wrapped_configILNS1_25lookback_scan_determinismE0ES3_S9_NS6_6detail15normal_iteratorINS6_10device_ptrIjEEEENSD_INSE_IsEEEENS6_16discard_iteratorINS6_11use_defaultEEESI_PmS8_NS6_8equal_toIjEEEE10hipError_tPvRmT2_T3_mT4_T5_T6_T7_T8_P12ihipStream_tbENKUlT_T0_E_clISt17integral_constantIbLb1EES16_EEDaS11_S12_EUlS11_E_NS1_11comp_targetILNS1_3genE9ELNS1_11target_archE1100ELNS1_3gpuE3ELNS1_3repE0EEENS1_30default_config_static_selectorELNS0_4arch9wavefront6targetE0EEEvT1_.kd
    .uniform_work_group_size: 1
    .uses_dynamic_stack: false
    .vgpr_count:     89
    .vgpr_spill_count: 0
    .wavefront_size: 32
    .workgroup_processor_mode: 1
  - .args:
      - .offset:         0
        .size:           128
        .value_kind:     by_value
    .group_segment_fixed_size: 0
    .kernarg_segment_align: 8
    .kernarg_segment_size: 128
    .language:       OpenCL C
    .language_version:
      - 2
      - 0
    .max_flat_workgroup_size: 256
    .name:           _ZN7rocprim17ROCPRIM_400000_NS6detail17trampoline_kernelINS0_14default_configENS1_29reduce_by_key_config_selectorIjsN6thrust23THRUST_200600_302600_NS4plusIsEEEEZZNS1_33reduce_by_key_impl_wrapped_configILNS1_25lookback_scan_determinismE0ES3_S9_NS6_6detail15normal_iteratorINS6_10device_ptrIjEEEENSD_INSE_IsEEEENS6_16discard_iteratorINS6_11use_defaultEEESI_PmS8_NS6_8equal_toIjEEEE10hipError_tPvRmT2_T3_mT4_T5_T6_T7_T8_P12ihipStream_tbENKUlT_T0_E_clISt17integral_constantIbLb1EES16_EEDaS11_S12_EUlS11_E_NS1_11comp_targetILNS1_3genE8ELNS1_11target_archE1030ELNS1_3gpuE2ELNS1_3repE0EEENS1_30default_config_static_selectorELNS0_4arch9wavefront6targetE0EEEvT1_
    .private_segment_fixed_size: 0
    .sgpr_count:     0
    .sgpr_spill_count: 0
    .symbol:         _ZN7rocprim17ROCPRIM_400000_NS6detail17trampoline_kernelINS0_14default_configENS1_29reduce_by_key_config_selectorIjsN6thrust23THRUST_200600_302600_NS4plusIsEEEEZZNS1_33reduce_by_key_impl_wrapped_configILNS1_25lookback_scan_determinismE0ES3_S9_NS6_6detail15normal_iteratorINS6_10device_ptrIjEEEENSD_INSE_IsEEEENS6_16discard_iteratorINS6_11use_defaultEEESI_PmS8_NS6_8equal_toIjEEEE10hipError_tPvRmT2_T3_mT4_T5_T6_T7_T8_P12ihipStream_tbENKUlT_T0_E_clISt17integral_constantIbLb1EES16_EEDaS11_S12_EUlS11_E_NS1_11comp_targetILNS1_3genE8ELNS1_11target_archE1030ELNS1_3gpuE2ELNS1_3repE0EEENS1_30default_config_static_selectorELNS0_4arch9wavefront6targetE0EEEvT1_.kd
    .uniform_work_group_size: 1
    .uses_dynamic_stack: false
    .vgpr_count:     0
    .vgpr_spill_count: 0
    .wavefront_size: 32
    .workgroup_processor_mode: 1
  - .args:
      - .offset:         0
        .size:           128
        .value_kind:     by_value
    .group_segment_fixed_size: 0
    .kernarg_segment_align: 8
    .kernarg_segment_size: 128
    .language:       OpenCL C
    .language_version:
      - 2
      - 0
    .max_flat_workgroup_size: 256
    .name:           _ZN7rocprim17ROCPRIM_400000_NS6detail17trampoline_kernelINS0_14default_configENS1_29reduce_by_key_config_selectorIjsN6thrust23THRUST_200600_302600_NS4plusIsEEEEZZNS1_33reduce_by_key_impl_wrapped_configILNS1_25lookback_scan_determinismE0ES3_S9_NS6_6detail15normal_iteratorINS6_10device_ptrIjEEEENSD_INSE_IsEEEENS6_16discard_iteratorINS6_11use_defaultEEESI_PmS8_NS6_8equal_toIjEEEE10hipError_tPvRmT2_T3_mT4_T5_T6_T7_T8_P12ihipStream_tbENKUlT_T0_E_clISt17integral_constantIbLb1EES15_IbLb0EEEEDaS11_S12_EUlS11_E_NS1_11comp_targetILNS1_3genE0ELNS1_11target_archE4294967295ELNS1_3gpuE0ELNS1_3repE0EEENS1_30default_config_static_selectorELNS0_4arch9wavefront6targetE0EEEvT1_
    .private_segment_fixed_size: 0
    .sgpr_count:     0
    .sgpr_spill_count: 0
    .symbol:         _ZN7rocprim17ROCPRIM_400000_NS6detail17trampoline_kernelINS0_14default_configENS1_29reduce_by_key_config_selectorIjsN6thrust23THRUST_200600_302600_NS4plusIsEEEEZZNS1_33reduce_by_key_impl_wrapped_configILNS1_25lookback_scan_determinismE0ES3_S9_NS6_6detail15normal_iteratorINS6_10device_ptrIjEEEENSD_INSE_IsEEEENS6_16discard_iteratorINS6_11use_defaultEEESI_PmS8_NS6_8equal_toIjEEEE10hipError_tPvRmT2_T3_mT4_T5_T6_T7_T8_P12ihipStream_tbENKUlT_T0_E_clISt17integral_constantIbLb1EES15_IbLb0EEEEDaS11_S12_EUlS11_E_NS1_11comp_targetILNS1_3genE0ELNS1_11target_archE4294967295ELNS1_3gpuE0ELNS1_3repE0EEENS1_30default_config_static_selectorELNS0_4arch9wavefront6targetE0EEEvT1_.kd
    .uniform_work_group_size: 1
    .uses_dynamic_stack: false
    .vgpr_count:     0
    .vgpr_spill_count: 0
    .wavefront_size: 32
    .workgroup_processor_mode: 1
  - .args:
      - .offset:         0
        .size:           128
        .value_kind:     by_value
    .group_segment_fixed_size: 0
    .kernarg_segment_align: 8
    .kernarg_segment_size: 128
    .language:       OpenCL C
    .language_version:
      - 2
      - 0
    .max_flat_workgroup_size: 256
    .name:           _ZN7rocprim17ROCPRIM_400000_NS6detail17trampoline_kernelINS0_14default_configENS1_29reduce_by_key_config_selectorIjsN6thrust23THRUST_200600_302600_NS4plusIsEEEEZZNS1_33reduce_by_key_impl_wrapped_configILNS1_25lookback_scan_determinismE0ES3_S9_NS6_6detail15normal_iteratorINS6_10device_ptrIjEEEENSD_INSE_IsEEEENS6_16discard_iteratorINS6_11use_defaultEEESI_PmS8_NS6_8equal_toIjEEEE10hipError_tPvRmT2_T3_mT4_T5_T6_T7_T8_P12ihipStream_tbENKUlT_T0_E_clISt17integral_constantIbLb1EES15_IbLb0EEEEDaS11_S12_EUlS11_E_NS1_11comp_targetILNS1_3genE5ELNS1_11target_archE942ELNS1_3gpuE9ELNS1_3repE0EEENS1_30default_config_static_selectorELNS0_4arch9wavefront6targetE0EEEvT1_
    .private_segment_fixed_size: 0
    .sgpr_count:     0
    .sgpr_spill_count: 0
    .symbol:         _ZN7rocprim17ROCPRIM_400000_NS6detail17trampoline_kernelINS0_14default_configENS1_29reduce_by_key_config_selectorIjsN6thrust23THRUST_200600_302600_NS4plusIsEEEEZZNS1_33reduce_by_key_impl_wrapped_configILNS1_25lookback_scan_determinismE0ES3_S9_NS6_6detail15normal_iteratorINS6_10device_ptrIjEEEENSD_INSE_IsEEEENS6_16discard_iteratorINS6_11use_defaultEEESI_PmS8_NS6_8equal_toIjEEEE10hipError_tPvRmT2_T3_mT4_T5_T6_T7_T8_P12ihipStream_tbENKUlT_T0_E_clISt17integral_constantIbLb1EES15_IbLb0EEEEDaS11_S12_EUlS11_E_NS1_11comp_targetILNS1_3genE5ELNS1_11target_archE942ELNS1_3gpuE9ELNS1_3repE0EEENS1_30default_config_static_selectorELNS0_4arch9wavefront6targetE0EEEvT1_.kd
    .uniform_work_group_size: 1
    .uses_dynamic_stack: false
    .vgpr_count:     0
    .vgpr_spill_count: 0
    .wavefront_size: 32
    .workgroup_processor_mode: 1
  - .args:
      - .offset:         0
        .size:           128
        .value_kind:     by_value
    .group_segment_fixed_size: 0
    .kernarg_segment_align: 8
    .kernarg_segment_size: 128
    .language:       OpenCL C
    .language_version:
      - 2
      - 0
    .max_flat_workgroup_size: 256
    .name:           _ZN7rocprim17ROCPRIM_400000_NS6detail17trampoline_kernelINS0_14default_configENS1_29reduce_by_key_config_selectorIjsN6thrust23THRUST_200600_302600_NS4plusIsEEEEZZNS1_33reduce_by_key_impl_wrapped_configILNS1_25lookback_scan_determinismE0ES3_S9_NS6_6detail15normal_iteratorINS6_10device_ptrIjEEEENSD_INSE_IsEEEENS6_16discard_iteratorINS6_11use_defaultEEESI_PmS8_NS6_8equal_toIjEEEE10hipError_tPvRmT2_T3_mT4_T5_T6_T7_T8_P12ihipStream_tbENKUlT_T0_E_clISt17integral_constantIbLb1EES15_IbLb0EEEEDaS11_S12_EUlS11_E_NS1_11comp_targetILNS1_3genE4ELNS1_11target_archE910ELNS1_3gpuE8ELNS1_3repE0EEENS1_30default_config_static_selectorELNS0_4arch9wavefront6targetE0EEEvT1_
    .private_segment_fixed_size: 0
    .sgpr_count:     0
    .sgpr_spill_count: 0
    .symbol:         _ZN7rocprim17ROCPRIM_400000_NS6detail17trampoline_kernelINS0_14default_configENS1_29reduce_by_key_config_selectorIjsN6thrust23THRUST_200600_302600_NS4plusIsEEEEZZNS1_33reduce_by_key_impl_wrapped_configILNS1_25lookback_scan_determinismE0ES3_S9_NS6_6detail15normal_iteratorINS6_10device_ptrIjEEEENSD_INSE_IsEEEENS6_16discard_iteratorINS6_11use_defaultEEESI_PmS8_NS6_8equal_toIjEEEE10hipError_tPvRmT2_T3_mT4_T5_T6_T7_T8_P12ihipStream_tbENKUlT_T0_E_clISt17integral_constantIbLb1EES15_IbLb0EEEEDaS11_S12_EUlS11_E_NS1_11comp_targetILNS1_3genE4ELNS1_11target_archE910ELNS1_3gpuE8ELNS1_3repE0EEENS1_30default_config_static_selectorELNS0_4arch9wavefront6targetE0EEEvT1_.kd
    .uniform_work_group_size: 1
    .uses_dynamic_stack: false
    .vgpr_count:     0
    .vgpr_spill_count: 0
    .wavefront_size: 32
    .workgroup_processor_mode: 1
  - .args:
      - .offset:         0
        .size:           128
        .value_kind:     by_value
    .group_segment_fixed_size: 0
    .kernarg_segment_align: 8
    .kernarg_segment_size: 128
    .language:       OpenCL C
    .language_version:
      - 2
      - 0
    .max_flat_workgroup_size: 256
    .name:           _ZN7rocprim17ROCPRIM_400000_NS6detail17trampoline_kernelINS0_14default_configENS1_29reduce_by_key_config_selectorIjsN6thrust23THRUST_200600_302600_NS4plusIsEEEEZZNS1_33reduce_by_key_impl_wrapped_configILNS1_25lookback_scan_determinismE0ES3_S9_NS6_6detail15normal_iteratorINS6_10device_ptrIjEEEENSD_INSE_IsEEEENS6_16discard_iteratorINS6_11use_defaultEEESI_PmS8_NS6_8equal_toIjEEEE10hipError_tPvRmT2_T3_mT4_T5_T6_T7_T8_P12ihipStream_tbENKUlT_T0_E_clISt17integral_constantIbLb1EES15_IbLb0EEEEDaS11_S12_EUlS11_E_NS1_11comp_targetILNS1_3genE3ELNS1_11target_archE908ELNS1_3gpuE7ELNS1_3repE0EEENS1_30default_config_static_selectorELNS0_4arch9wavefront6targetE0EEEvT1_
    .private_segment_fixed_size: 0
    .sgpr_count:     0
    .sgpr_spill_count: 0
    .symbol:         _ZN7rocprim17ROCPRIM_400000_NS6detail17trampoline_kernelINS0_14default_configENS1_29reduce_by_key_config_selectorIjsN6thrust23THRUST_200600_302600_NS4plusIsEEEEZZNS1_33reduce_by_key_impl_wrapped_configILNS1_25lookback_scan_determinismE0ES3_S9_NS6_6detail15normal_iteratorINS6_10device_ptrIjEEEENSD_INSE_IsEEEENS6_16discard_iteratorINS6_11use_defaultEEESI_PmS8_NS6_8equal_toIjEEEE10hipError_tPvRmT2_T3_mT4_T5_T6_T7_T8_P12ihipStream_tbENKUlT_T0_E_clISt17integral_constantIbLb1EES15_IbLb0EEEEDaS11_S12_EUlS11_E_NS1_11comp_targetILNS1_3genE3ELNS1_11target_archE908ELNS1_3gpuE7ELNS1_3repE0EEENS1_30default_config_static_selectorELNS0_4arch9wavefront6targetE0EEEvT1_.kd
    .uniform_work_group_size: 1
    .uses_dynamic_stack: false
    .vgpr_count:     0
    .vgpr_spill_count: 0
    .wavefront_size: 32
    .workgroup_processor_mode: 1
  - .args:
      - .offset:         0
        .size:           128
        .value_kind:     by_value
    .group_segment_fixed_size: 0
    .kernarg_segment_align: 8
    .kernarg_segment_size: 128
    .language:       OpenCL C
    .language_version:
      - 2
      - 0
    .max_flat_workgroup_size: 256
    .name:           _ZN7rocprim17ROCPRIM_400000_NS6detail17trampoline_kernelINS0_14default_configENS1_29reduce_by_key_config_selectorIjsN6thrust23THRUST_200600_302600_NS4plusIsEEEEZZNS1_33reduce_by_key_impl_wrapped_configILNS1_25lookback_scan_determinismE0ES3_S9_NS6_6detail15normal_iteratorINS6_10device_ptrIjEEEENSD_INSE_IsEEEENS6_16discard_iteratorINS6_11use_defaultEEESI_PmS8_NS6_8equal_toIjEEEE10hipError_tPvRmT2_T3_mT4_T5_T6_T7_T8_P12ihipStream_tbENKUlT_T0_E_clISt17integral_constantIbLb1EES15_IbLb0EEEEDaS11_S12_EUlS11_E_NS1_11comp_targetILNS1_3genE2ELNS1_11target_archE906ELNS1_3gpuE6ELNS1_3repE0EEENS1_30default_config_static_selectorELNS0_4arch9wavefront6targetE0EEEvT1_
    .private_segment_fixed_size: 0
    .sgpr_count:     0
    .sgpr_spill_count: 0
    .symbol:         _ZN7rocprim17ROCPRIM_400000_NS6detail17trampoline_kernelINS0_14default_configENS1_29reduce_by_key_config_selectorIjsN6thrust23THRUST_200600_302600_NS4plusIsEEEEZZNS1_33reduce_by_key_impl_wrapped_configILNS1_25lookback_scan_determinismE0ES3_S9_NS6_6detail15normal_iteratorINS6_10device_ptrIjEEEENSD_INSE_IsEEEENS6_16discard_iteratorINS6_11use_defaultEEESI_PmS8_NS6_8equal_toIjEEEE10hipError_tPvRmT2_T3_mT4_T5_T6_T7_T8_P12ihipStream_tbENKUlT_T0_E_clISt17integral_constantIbLb1EES15_IbLb0EEEEDaS11_S12_EUlS11_E_NS1_11comp_targetILNS1_3genE2ELNS1_11target_archE906ELNS1_3gpuE6ELNS1_3repE0EEENS1_30default_config_static_selectorELNS0_4arch9wavefront6targetE0EEEvT1_.kd
    .uniform_work_group_size: 1
    .uses_dynamic_stack: false
    .vgpr_count:     0
    .vgpr_spill_count: 0
    .wavefront_size: 32
    .workgroup_processor_mode: 1
  - .args:
      - .offset:         0
        .size:           128
        .value_kind:     by_value
    .group_segment_fixed_size: 0
    .kernarg_segment_align: 8
    .kernarg_segment_size: 128
    .language:       OpenCL C
    .language_version:
      - 2
      - 0
    .max_flat_workgroup_size: 256
    .name:           _ZN7rocprim17ROCPRIM_400000_NS6detail17trampoline_kernelINS0_14default_configENS1_29reduce_by_key_config_selectorIjsN6thrust23THRUST_200600_302600_NS4plusIsEEEEZZNS1_33reduce_by_key_impl_wrapped_configILNS1_25lookback_scan_determinismE0ES3_S9_NS6_6detail15normal_iteratorINS6_10device_ptrIjEEEENSD_INSE_IsEEEENS6_16discard_iteratorINS6_11use_defaultEEESI_PmS8_NS6_8equal_toIjEEEE10hipError_tPvRmT2_T3_mT4_T5_T6_T7_T8_P12ihipStream_tbENKUlT_T0_E_clISt17integral_constantIbLb1EES15_IbLb0EEEEDaS11_S12_EUlS11_E_NS1_11comp_targetILNS1_3genE10ELNS1_11target_archE1201ELNS1_3gpuE5ELNS1_3repE0EEENS1_30default_config_static_selectorELNS0_4arch9wavefront6targetE0EEEvT1_
    .private_segment_fixed_size: 0
    .sgpr_count:     0
    .sgpr_spill_count: 0
    .symbol:         _ZN7rocprim17ROCPRIM_400000_NS6detail17trampoline_kernelINS0_14default_configENS1_29reduce_by_key_config_selectorIjsN6thrust23THRUST_200600_302600_NS4plusIsEEEEZZNS1_33reduce_by_key_impl_wrapped_configILNS1_25lookback_scan_determinismE0ES3_S9_NS6_6detail15normal_iteratorINS6_10device_ptrIjEEEENSD_INSE_IsEEEENS6_16discard_iteratorINS6_11use_defaultEEESI_PmS8_NS6_8equal_toIjEEEE10hipError_tPvRmT2_T3_mT4_T5_T6_T7_T8_P12ihipStream_tbENKUlT_T0_E_clISt17integral_constantIbLb1EES15_IbLb0EEEEDaS11_S12_EUlS11_E_NS1_11comp_targetILNS1_3genE10ELNS1_11target_archE1201ELNS1_3gpuE5ELNS1_3repE0EEENS1_30default_config_static_selectorELNS0_4arch9wavefront6targetE0EEEvT1_.kd
    .uniform_work_group_size: 1
    .uses_dynamic_stack: false
    .vgpr_count:     0
    .vgpr_spill_count: 0
    .wavefront_size: 32
    .workgroup_processor_mode: 1
  - .args:
      - .offset:         0
        .size:           128
        .value_kind:     by_value
    .group_segment_fixed_size: 0
    .kernarg_segment_align: 8
    .kernarg_segment_size: 128
    .language:       OpenCL C
    .language_version:
      - 2
      - 0
    .max_flat_workgroup_size: 256
    .name:           _ZN7rocprim17ROCPRIM_400000_NS6detail17trampoline_kernelINS0_14default_configENS1_29reduce_by_key_config_selectorIjsN6thrust23THRUST_200600_302600_NS4plusIsEEEEZZNS1_33reduce_by_key_impl_wrapped_configILNS1_25lookback_scan_determinismE0ES3_S9_NS6_6detail15normal_iteratorINS6_10device_ptrIjEEEENSD_INSE_IsEEEENS6_16discard_iteratorINS6_11use_defaultEEESI_PmS8_NS6_8equal_toIjEEEE10hipError_tPvRmT2_T3_mT4_T5_T6_T7_T8_P12ihipStream_tbENKUlT_T0_E_clISt17integral_constantIbLb1EES15_IbLb0EEEEDaS11_S12_EUlS11_E_NS1_11comp_targetILNS1_3genE10ELNS1_11target_archE1200ELNS1_3gpuE4ELNS1_3repE0EEENS1_30default_config_static_selectorELNS0_4arch9wavefront6targetE0EEEvT1_
    .private_segment_fixed_size: 0
    .sgpr_count:     0
    .sgpr_spill_count: 0
    .symbol:         _ZN7rocprim17ROCPRIM_400000_NS6detail17trampoline_kernelINS0_14default_configENS1_29reduce_by_key_config_selectorIjsN6thrust23THRUST_200600_302600_NS4plusIsEEEEZZNS1_33reduce_by_key_impl_wrapped_configILNS1_25lookback_scan_determinismE0ES3_S9_NS6_6detail15normal_iteratorINS6_10device_ptrIjEEEENSD_INSE_IsEEEENS6_16discard_iteratorINS6_11use_defaultEEESI_PmS8_NS6_8equal_toIjEEEE10hipError_tPvRmT2_T3_mT4_T5_T6_T7_T8_P12ihipStream_tbENKUlT_T0_E_clISt17integral_constantIbLb1EES15_IbLb0EEEEDaS11_S12_EUlS11_E_NS1_11comp_targetILNS1_3genE10ELNS1_11target_archE1200ELNS1_3gpuE4ELNS1_3repE0EEENS1_30default_config_static_selectorELNS0_4arch9wavefront6targetE0EEEvT1_.kd
    .uniform_work_group_size: 1
    .uses_dynamic_stack: false
    .vgpr_count:     0
    .vgpr_spill_count: 0
    .wavefront_size: 32
    .workgroup_processor_mode: 1
  - .args:
      - .offset:         0
        .size:           128
        .value_kind:     by_value
    .group_segment_fixed_size: 15360
    .kernarg_segment_align: 8
    .kernarg_segment_size: 128
    .language:       OpenCL C
    .language_version:
      - 2
      - 0
    .max_flat_workgroup_size: 256
    .name:           _ZN7rocprim17ROCPRIM_400000_NS6detail17trampoline_kernelINS0_14default_configENS1_29reduce_by_key_config_selectorIjsN6thrust23THRUST_200600_302600_NS4plusIsEEEEZZNS1_33reduce_by_key_impl_wrapped_configILNS1_25lookback_scan_determinismE0ES3_S9_NS6_6detail15normal_iteratorINS6_10device_ptrIjEEEENSD_INSE_IsEEEENS6_16discard_iteratorINS6_11use_defaultEEESI_PmS8_NS6_8equal_toIjEEEE10hipError_tPvRmT2_T3_mT4_T5_T6_T7_T8_P12ihipStream_tbENKUlT_T0_E_clISt17integral_constantIbLb1EES15_IbLb0EEEEDaS11_S12_EUlS11_E_NS1_11comp_targetILNS1_3genE9ELNS1_11target_archE1100ELNS1_3gpuE3ELNS1_3repE0EEENS1_30default_config_static_selectorELNS0_4arch9wavefront6targetE0EEEvT1_
    .private_segment_fixed_size: 0
    .sgpr_count:     46
    .sgpr_spill_count: 0
    .symbol:         _ZN7rocprim17ROCPRIM_400000_NS6detail17trampoline_kernelINS0_14default_configENS1_29reduce_by_key_config_selectorIjsN6thrust23THRUST_200600_302600_NS4plusIsEEEEZZNS1_33reduce_by_key_impl_wrapped_configILNS1_25lookback_scan_determinismE0ES3_S9_NS6_6detail15normal_iteratorINS6_10device_ptrIjEEEENSD_INSE_IsEEEENS6_16discard_iteratorINS6_11use_defaultEEESI_PmS8_NS6_8equal_toIjEEEE10hipError_tPvRmT2_T3_mT4_T5_T6_T7_T8_P12ihipStream_tbENKUlT_T0_E_clISt17integral_constantIbLb1EES15_IbLb0EEEEDaS11_S12_EUlS11_E_NS1_11comp_targetILNS1_3genE9ELNS1_11target_archE1100ELNS1_3gpuE3ELNS1_3repE0EEENS1_30default_config_static_selectorELNS0_4arch9wavefront6targetE0EEEvT1_.kd
    .uniform_work_group_size: 1
    .uses_dynamic_stack: false
    .vgpr_count:     89
    .vgpr_spill_count: 0
    .wavefront_size: 32
    .workgroup_processor_mode: 1
  - .args:
      - .offset:         0
        .size:           128
        .value_kind:     by_value
    .group_segment_fixed_size: 0
    .kernarg_segment_align: 8
    .kernarg_segment_size: 128
    .language:       OpenCL C
    .language_version:
      - 2
      - 0
    .max_flat_workgroup_size: 256
    .name:           _ZN7rocprim17ROCPRIM_400000_NS6detail17trampoline_kernelINS0_14default_configENS1_29reduce_by_key_config_selectorIjsN6thrust23THRUST_200600_302600_NS4plusIsEEEEZZNS1_33reduce_by_key_impl_wrapped_configILNS1_25lookback_scan_determinismE0ES3_S9_NS6_6detail15normal_iteratorINS6_10device_ptrIjEEEENSD_INSE_IsEEEENS6_16discard_iteratorINS6_11use_defaultEEESI_PmS8_NS6_8equal_toIjEEEE10hipError_tPvRmT2_T3_mT4_T5_T6_T7_T8_P12ihipStream_tbENKUlT_T0_E_clISt17integral_constantIbLb1EES15_IbLb0EEEEDaS11_S12_EUlS11_E_NS1_11comp_targetILNS1_3genE8ELNS1_11target_archE1030ELNS1_3gpuE2ELNS1_3repE0EEENS1_30default_config_static_selectorELNS0_4arch9wavefront6targetE0EEEvT1_
    .private_segment_fixed_size: 0
    .sgpr_count:     0
    .sgpr_spill_count: 0
    .symbol:         _ZN7rocprim17ROCPRIM_400000_NS6detail17trampoline_kernelINS0_14default_configENS1_29reduce_by_key_config_selectorIjsN6thrust23THRUST_200600_302600_NS4plusIsEEEEZZNS1_33reduce_by_key_impl_wrapped_configILNS1_25lookback_scan_determinismE0ES3_S9_NS6_6detail15normal_iteratorINS6_10device_ptrIjEEEENSD_INSE_IsEEEENS6_16discard_iteratorINS6_11use_defaultEEESI_PmS8_NS6_8equal_toIjEEEE10hipError_tPvRmT2_T3_mT4_T5_T6_T7_T8_P12ihipStream_tbENKUlT_T0_E_clISt17integral_constantIbLb1EES15_IbLb0EEEEDaS11_S12_EUlS11_E_NS1_11comp_targetILNS1_3genE8ELNS1_11target_archE1030ELNS1_3gpuE2ELNS1_3repE0EEENS1_30default_config_static_selectorELNS0_4arch9wavefront6targetE0EEEvT1_.kd
    .uniform_work_group_size: 1
    .uses_dynamic_stack: false
    .vgpr_count:     0
    .vgpr_spill_count: 0
    .wavefront_size: 32
    .workgroup_processor_mode: 1
  - .args:
      - .offset:         0
        .size:           128
        .value_kind:     by_value
    .group_segment_fixed_size: 0
    .kernarg_segment_align: 8
    .kernarg_segment_size: 128
    .language:       OpenCL C
    .language_version:
      - 2
      - 0
    .max_flat_workgroup_size: 256
    .name:           _ZN7rocprim17ROCPRIM_400000_NS6detail17trampoline_kernelINS0_14default_configENS1_29reduce_by_key_config_selectorIjsN6thrust23THRUST_200600_302600_NS4plusIsEEEEZZNS1_33reduce_by_key_impl_wrapped_configILNS1_25lookback_scan_determinismE0ES3_S9_NS6_6detail15normal_iteratorINS6_10device_ptrIjEEEENSD_INSE_IsEEEENS6_16discard_iteratorINS6_11use_defaultEEESI_PmS8_NS6_8equal_toIjEEEE10hipError_tPvRmT2_T3_mT4_T5_T6_T7_T8_P12ihipStream_tbENKUlT_T0_E_clISt17integral_constantIbLb0EES15_IbLb1EEEEDaS11_S12_EUlS11_E_NS1_11comp_targetILNS1_3genE0ELNS1_11target_archE4294967295ELNS1_3gpuE0ELNS1_3repE0EEENS1_30default_config_static_selectorELNS0_4arch9wavefront6targetE0EEEvT1_
    .private_segment_fixed_size: 0
    .sgpr_count:     0
    .sgpr_spill_count: 0
    .symbol:         _ZN7rocprim17ROCPRIM_400000_NS6detail17trampoline_kernelINS0_14default_configENS1_29reduce_by_key_config_selectorIjsN6thrust23THRUST_200600_302600_NS4plusIsEEEEZZNS1_33reduce_by_key_impl_wrapped_configILNS1_25lookback_scan_determinismE0ES3_S9_NS6_6detail15normal_iteratorINS6_10device_ptrIjEEEENSD_INSE_IsEEEENS6_16discard_iteratorINS6_11use_defaultEEESI_PmS8_NS6_8equal_toIjEEEE10hipError_tPvRmT2_T3_mT4_T5_T6_T7_T8_P12ihipStream_tbENKUlT_T0_E_clISt17integral_constantIbLb0EES15_IbLb1EEEEDaS11_S12_EUlS11_E_NS1_11comp_targetILNS1_3genE0ELNS1_11target_archE4294967295ELNS1_3gpuE0ELNS1_3repE0EEENS1_30default_config_static_selectorELNS0_4arch9wavefront6targetE0EEEvT1_.kd
    .uniform_work_group_size: 1
    .uses_dynamic_stack: false
    .vgpr_count:     0
    .vgpr_spill_count: 0
    .wavefront_size: 32
    .workgroup_processor_mode: 1
  - .args:
      - .offset:         0
        .size:           128
        .value_kind:     by_value
    .group_segment_fixed_size: 0
    .kernarg_segment_align: 8
    .kernarg_segment_size: 128
    .language:       OpenCL C
    .language_version:
      - 2
      - 0
    .max_flat_workgroup_size: 256
    .name:           _ZN7rocprim17ROCPRIM_400000_NS6detail17trampoline_kernelINS0_14default_configENS1_29reduce_by_key_config_selectorIjsN6thrust23THRUST_200600_302600_NS4plusIsEEEEZZNS1_33reduce_by_key_impl_wrapped_configILNS1_25lookback_scan_determinismE0ES3_S9_NS6_6detail15normal_iteratorINS6_10device_ptrIjEEEENSD_INSE_IsEEEENS6_16discard_iteratorINS6_11use_defaultEEESI_PmS8_NS6_8equal_toIjEEEE10hipError_tPvRmT2_T3_mT4_T5_T6_T7_T8_P12ihipStream_tbENKUlT_T0_E_clISt17integral_constantIbLb0EES15_IbLb1EEEEDaS11_S12_EUlS11_E_NS1_11comp_targetILNS1_3genE5ELNS1_11target_archE942ELNS1_3gpuE9ELNS1_3repE0EEENS1_30default_config_static_selectorELNS0_4arch9wavefront6targetE0EEEvT1_
    .private_segment_fixed_size: 0
    .sgpr_count:     0
    .sgpr_spill_count: 0
    .symbol:         _ZN7rocprim17ROCPRIM_400000_NS6detail17trampoline_kernelINS0_14default_configENS1_29reduce_by_key_config_selectorIjsN6thrust23THRUST_200600_302600_NS4plusIsEEEEZZNS1_33reduce_by_key_impl_wrapped_configILNS1_25lookback_scan_determinismE0ES3_S9_NS6_6detail15normal_iteratorINS6_10device_ptrIjEEEENSD_INSE_IsEEEENS6_16discard_iteratorINS6_11use_defaultEEESI_PmS8_NS6_8equal_toIjEEEE10hipError_tPvRmT2_T3_mT4_T5_T6_T7_T8_P12ihipStream_tbENKUlT_T0_E_clISt17integral_constantIbLb0EES15_IbLb1EEEEDaS11_S12_EUlS11_E_NS1_11comp_targetILNS1_3genE5ELNS1_11target_archE942ELNS1_3gpuE9ELNS1_3repE0EEENS1_30default_config_static_selectorELNS0_4arch9wavefront6targetE0EEEvT1_.kd
    .uniform_work_group_size: 1
    .uses_dynamic_stack: false
    .vgpr_count:     0
    .vgpr_spill_count: 0
    .wavefront_size: 32
    .workgroup_processor_mode: 1
  - .args:
      - .offset:         0
        .size:           128
        .value_kind:     by_value
    .group_segment_fixed_size: 0
    .kernarg_segment_align: 8
    .kernarg_segment_size: 128
    .language:       OpenCL C
    .language_version:
      - 2
      - 0
    .max_flat_workgroup_size: 256
    .name:           _ZN7rocprim17ROCPRIM_400000_NS6detail17trampoline_kernelINS0_14default_configENS1_29reduce_by_key_config_selectorIjsN6thrust23THRUST_200600_302600_NS4plusIsEEEEZZNS1_33reduce_by_key_impl_wrapped_configILNS1_25lookback_scan_determinismE0ES3_S9_NS6_6detail15normal_iteratorINS6_10device_ptrIjEEEENSD_INSE_IsEEEENS6_16discard_iteratorINS6_11use_defaultEEESI_PmS8_NS6_8equal_toIjEEEE10hipError_tPvRmT2_T3_mT4_T5_T6_T7_T8_P12ihipStream_tbENKUlT_T0_E_clISt17integral_constantIbLb0EES15_IbLb1EEEEDaS11_S12_EUlS11_E_NS1_11comp_targetILNS1_3genE4ELNS1_11target_archE910ELNS1_3gpuE8ELNS1_3repE0EEENS1_30default_config_static_selectorELNS0_4arch9wavefront6targetE0EEEvT1_
    .private_segment_fixed_size: 0
    .sgpr_count:     0
    .sgpr_spill_count: 0
    .symbol:         _ZN7rocprim17ROCPRIM_400000_NS6detail17trampoline_kernelINS0_14default_configENS1_29reduce_by_key_config_selectorIjsN6thrust23THRUST_200600_302600_NS4plusIsEEEEZZNS1_33reduce_by_key_impl_wrapped_configILNS1_25lookback_scan_determinismE0ES3_S9_NS6_6detail15normal_iteratorINS6_10device_ptrIjEEEENSD_INSE_IsEEEENS6_16discard_iteratorINS6_11use_defaultEEESI_PmS8_NS6_8equal_toIjEEEE10hipError_tPvRmT2_T3_mT4_T5_T6_T7_T8_P12ihipStream_tbENKUlT_T0_E_clISt17integral_constantIbLb0EES15_IbLb1EEEEDaS11_S12_EUlS11_E_NS1_11comp_targetILNS1_3genE4ELNS1_11target_archE910ELNS1_3gpuE8ELNS1_3repE0EEENS1_30default_config_static_selectorELNS0_4arch9wavefront6targetE0EEEvT1_.kd
    .uniform_work_group_size: 1
    .uses_dynamic_stack: false
    .vgpr_count:     0
    .vgpr_spill_count: 0
    .wavefront_size: 32
    .workgroup_processor_mode: 1
  - .args:
      - .offset:         0
        .size:           128
        .value_kind:     by_value
    .group_segment_fixed_size: 0
    .kernarg_segment_align: 8
    .kernarg_segment_size: 128
    .language:       OpenCL C
    .language_version:
      - 2
      - 0
    .max_flat_workgroup_size: 256
    .name:           _ZN7rocprim17ROCPRIM_400000_NS6detail17trampoline_kernelINS0_14default_configENS1_29reduce_by_key_config_selectorIjsN6thrust23THRUST_200600_302600_NS4plusIsEEEEZZNS1_33reduce_by_key_impl_wrapped_configILNS1_25lookback_scan_determinismE0ES3_S9_NS6_6detail15normal_iteratorINS6_10device_ptrIjEEEENSD_INSE_IsEEEENS6_16discard_iteratorINS6_11use_defaultEEESI_PmS8_NS6_8equal_toIjEEEE10hipError_tPvRmT2_T3_mT4_T5_T6_T7_T8_P12ihipStream_tbENKUlT_T0_E_clISt17integral_constantIbLb0EES15_IbLb1EEEEDaS11_S12_EUlS11_E_NS1_11comp_targetILNS1_3genE3ELNS1_11target_archE908ELNS1_3gpuE7ELNS1_3repE0EEENS1_30default_config_static_selectorELNS0_4arch9wavefront6targetE0EEEvT1_
    .private_segment_fixed_size: 0
    .sgpr_count:     0
    .sgpr_spill_count: 0
    .symbol:         _ZN7rocprim17ROCPRIM_400000_NS6detail17trampoline_kernelINS0_14default_configENS1_29reduce_by_key_config_selectorIjsN6thrust23THRUST_200600_302600_NS4plusIsEEEEZZNS1_33reduce_by_key_impl_wrapped_configILNS1_25lookback_scan_determinismE0ES3_S9_NS6_6detail15normal_iteratorINS6_10device_ptrIjEEEENSD_INSE_IsEEEENS6_16discard_iteratorINS6_11use_defaultEEESI_PmS8_NS6_8equal_toIjEEEE10hipError_tPvRmT2_T3_mT4_T5_T6_T7_T8_P12ihipStream_tbENKUlT_T0_E_clISt17integral_constantIbLb0EES15_IbLb1EEEEDaS11_S12_EUlS11_E_NS1_11comp_targetILNS1_3genE3ELNS1_11target_archE908ELNS1_3gpuE7ELNS1_3repE0EEENS1_30default_config_static_selectorELNS0_4arch9wavefront6targetE0EEEvT1_.kd
    .uniform_work_group_size: 1
    .uses_dynamic_stack: false
    .vgpr_count:     0
    .vgpr_spill_count: 0
    .wavefront_size: 32
    .workgroup_processor_mode: 1
  - .args:
      - .offset:         0
        .size:           128
        .value_kind:     by_value
    .group_segment_fixed_size: 0
    .kernarg_segment_align: 8
    .kernarg_segment_size: 128
    .language:       OpenCL C
    .language_version:
      - 2
      - 0
    .max_flat_workgroup_size: 256
    .name:           _ZN7rocprim17ROCPRIM_400000_NS6detail17trampoline_kernelINS0_14default_configENS1_29reduce_by_key_config_selectorIjsN6thrust23THRUST_200600_302600_NS4plusIsEEEEZZNS1_33reduce_by_key_impl_wrapped_configILNS1_25lookback_scan_determinismE0ES3_S9_NS6_6detail15normal_iteratorINS6_10device_ptrIjEEEENSD_INSE_IsEEEENS6_16discard_iteratorINS6_11use_defaultEEESI_PmS8_NS6_8equal_toIjEEEE10hipError_tPvRmT2_T3_mT4_T5_T6_T7_T8_P12ihipStream_tbENKUlT_T0_E_clISt17integral_constantIbLb0EES15_IbLb1EEEEDaS11_S12_EUlS11_E_NS1_11comp_targetILNS1_3genE2ELNS1_11target_archE906ELNS1_3gpuE6ELNS1_3repE0EEENS1_30default_config_static_selectorELNS0_4arch9wavefront6targetE0EEEvT1_
    .private_segment_fixed_size: 0
    .sgpr_count:     0
    .sgpr_spill_count: 0
    .symbol:         _ZN7rocprim17ROCPRIM_400000_NS6detail17trampoline_kernelINS0_14default_configENS1_29reduce_by_key_config_selectorIjsN6thrust23THRUST_200600_302600_NS4plusIsEEEEZZNS1_33reduce_by_key_impl_wrapped_configILNS1_25lookback_scan_determinismE0ES3_S9_NS6_6detail15normal_iteratorINS6_10device_ptrIjEEEENSD_INSE_IsEEEENS6_16discard_iteratorINS6_11use_defaultEEESI_PmS8_NS6_8equal_toIjEEEE10hipError_tPvRmT2_T3_mT4_T5_T6_T7_T8_P12ihipStream_tbENKUlT_T0_E_clISt17integral_constantIbLb0EES15_IbLb1EEEEDaS11_S12_EUlS11_E_NS1_11comp_targetILNS1_3genE2ELNS1_11target_archE906ELNS1_3gpuE6ELNS1_3repE0EEENS1_30default_config_static_selectorELNS0_4arch9wavefront6targetE0EEEvT1_.kd
    .uniform_work_group_size: 1
    .uses_dynamic_stack: false
    .vgpr_count:     0
    .vgpr_spill_count: 0
    .wavefront_size: 32
    .workgroup_processor_mode: 1
  - .args:
      - .offset:         0
        .size:           128
        .value_kind:     by_value
    .group_segment_fixed_size: 0
    .kernarg_segment_align: 8
    .kernarg_segment_size: 128
    .language:       OpenCL C
    .language_version:
      - 2
      - 0
    .max_flat_workgroup_size: 256
    .name:           _ZN7rocprim17ROCPRIM_400000_NS6detail17trampoline_kernelINS0_14default_configENS1_29reduce_by_key_config_selectorIjsN6thrust23THRUST_200600_302600_NS4plusIsEEEEZZNS1_33reduce_by_key_impl_wrapped_configILNS1_25lookback_scan_determinismE0ES3_S9_NS6_6detail15normal_iteratorINS6_10device_ptrIjEEEENSD_INSE_IsEEEENS6_16discard_iteratorINS6_11use_defaultEEESI_PmS8_NS6_8equal_toIjEEEE10hipError_tPvRmT2_T3_mT4_T5_T6_T7_T8_P12ihipStream_tbENKUlT_T0_E_clISt17integral_constantIbLb0EES15_IbLb1EEEEDaS11_S12_EUlS11_E_NS1_11comp_targetILNS1_3genE10ELNS1_11target_archE1201ELNS1_3gpuE5ELNS1_3repE0EEENS1_30default_config_static_selectorELNS0_4arch9wavefront6targetE0EEEvT1_
    .private_segment_fixed_size: 0
    .sgpr_count:     0
    .sgpr_spill_count: 0
    .symbol:         _ZN7rocprim17ROCPRIM_400000_NS6detail17trampoline_kernelINS0_14default_configENS1_29reduce_by_key_config_selectorIjsN6thrust23THRUST_200600_302600_NS4plusIsEEEEZZNS1_33reduce_by_key_impl_wrapped_configILNS1_25lookback_scan_determinismE0ES3_S9_NS6_6detail15normal_iteratorINS6_10device_ptrIjEEEENSD_INSE_IsEEEENS6_16discard_iteratorINS6_11use_defaultEEESI_PmS8_NS6_8equal_toIjEEEE10hipError_tPvRmT2_T3_mT4_T5_T6_T7_T8_P12ihipStream_tbENKUlT_T0_E_clISt17integral_constantIbLb0EES15_IbLb1EEEEDaS11_S12_EUlS11_E_NS1_11comp_targetILNS1_3genE10ELNS1_11target_archE1201ELNS1_3gpuE5ELNS1_3repE0EEENS1_30default_config_static_selectorELNS0_4arch9wavefront6targetE0EEEvT1_.kd
    .uniform_work_group_size: 1
    .uses_dynamic_stack: false
    .vgpr_count:     0
    .vgpr_spill_count: 0
    .wavefront_size: 32
    .workgroup_processor_mode: 1
  - .args:
      - .offset:         0
        .size:           128
        .value_kind:     by_value
    .group_segment_fixed_size: 0
    .kernarg_segment_align: 8
    .kernarg_segment_size: 128
    .language:       OpenCL C
    .language_version:
      - 2
      - 0
    .max_flat_workgroup_size: 256
    .name:           _ZN7rocprim17ROCPRIM_400000_NS6detail17trampoline_kernelINS0_14default_configENS1_29reduce_by_key_config_selectorIjsN6thrust23THRUST_200600_302600_NS4plusIsEEEEZZNS1_33reduce_by_key_impl_wrapped_configILNS1_25lookback_scan_determinismE0ES3_S9_NS6_6detail15normal_iteratorINS6_10device_ptrIjEEEENSD_INSE_IsEEEENS6_16discard_iteratorINS6_11use_defaultEEESI_PmS8_NS6_8equal_toIjEEEE10hipError_tPvRmT2_T3_mT4_T5_T6_T7_T8_P12ihipStream_tbENKUlT_T0_E_clISt17integral_constantIbLb0EES15_IbLb1EEEEDaS11_S12_EUlS11_E_NS1_11comp_targetILNS1_3genE10ELNS1_11target_archE1200ELNS1_3gpuE4ELNS1_3repE0EEENS1_30default_config_static_selectorELNS0_4arch9wavefront6targetE0EEEvT1_
    .private_segment_fixed_size: 0
    .sgpr_count:     0
    .sgpr_spill_count: 0
    .symbol:         _ZN7rocprim17ROCPRIM_400000_NS6detail17trampoline_kernelINS0_14default_configENS1_29reduce_by_key_config_selectorIjsN6thrust23THRUST_200600_302600_NS4plusIsEEEEZZNS1_33reduce_by_key_impl_wrapped_configILNS1_25lookback_scan_determinismE0ES3_S9_NS6_6detail15normal_iteratorINS6_10device_ptrIjEEEENSD_INSE_IsEEEENS6_16discard_iteratorINS6_11use_defaultEEESI_PmS8_NS6_8equal_toIjEEEE10hipError_tPvRmT2_T3_mT4_T5_T6_T7_T8_P12ihipStream_tbENKUlT_T0_E_clISt17integral_constantIbLb0EES15_IbLb1EEEEDaS11_S12_EUlS11_E_NS1_11comp_targetILNS1_3genE10ELNS1_11target_archE1200ELNS1_3gpuE4ELNS1_3repE0EEENS1_30default_config_static_selectorELNS0_4arch9wavefront6targetE0EEEvT1_.kd
    .uniform_work_group_size: 1
    .uses_dynamic_stack: false
    .vgpr_count:     0
    .vgpr_spill_count: 0
    .wavefront_size: 32
    .workgroup_processor_mode: 1
  - .args:
      - .offset:         0
        .size:           128
        .value_kind:     by_value
    .group_segment_fixed_size: 15360
    .kernarg_segment_align: 8
    .kernarg_segment_size: 128
    .language:       OpenCL C
    .language_version:
      - 2
      - 0
    .max_flat_workgroup_size: 256
    .name:           _ZN7rocprim17ROCPRIM_400000_NS6detail17trampoline_kernelINS0_14default_configENS1_29reduce_by_key_config_selectorIjsN6thrust23THRUST_200600_302600_NS4plusIsEEEEZZNS1_33reduce_by_key_impl_wrapped_configILNS1_25lookback_scan_determinismE0ES3_S9_NS6_6detail15normal_iteratorINS6_10device_ptrIjEEEENSD_INSE_IsEEEENS6_16discard_iteratorINS6_11use_defaultEEESI_PmS8_NS6_8equal_toIjEEEE10hipError_tPvRmT2_T3_mT4_T5_T6_T7_T8_P12ihipStream_tbENKUlT_T0_E_clISt17integral_constantIbLb0EES15_IbLb1EEEEDaS11_S12_EUlS11_E_NS1_11comp_targetILNS1_3genE9ELNS1_11target_archE1100ELNS1_3gpuE3ELNS1_3repE0EEENS1_30default_config_static_selectorELNS0_4arch9wavefront6targetE0EEEvT1_
    .private_segment_fixed_size: 0
    .sgpr_count:     44
    .sgpr_spill_count: 0
    .symbol:         _ZN7rocprim17ROCPRIM_400000_NS6detail17trampoline_kernelINS0_14default_configENS1_29reduce_by_key_config_selectorIjsN6thrust23THRUST_200600_302600_NS4plusIsEEEEZZNS1_33reduce_by_key_impl_wrapped_configILNS1_25lookback_scan_determinismE0ES3_S9_NS6_6detail15normal_iteratorINS6_10device_ptrIjEEEENSD_INSE_IsEEEENS6_16discard_iteratorINS6_11use_defaultEEESI_PmS8_NS6_8equal_toIjEEEE10hipError_tPvRmT2_T3_mT4_T5_T6_T7_T8_P12ihipStream_tbENKUlT_T0_E_clISt17integral_constantIbLb0EES15_IbLb1EEEEDaS11_S12_EUlS11_E_NS1_11comp_targetILNS1_3genE9ELNS1_11target_archE1100ELNS1_3gpuE3ELNS1_3repE0EEENS1_30default_config_static_selectorELNS0_4arch9wavefront6targetE0EEEvT1_.kd
    .uniform_work_group_size: 1
    .uses_dynamic_stack: false
    .vgpr_count:     89
    .vgpr_spill_count: 0
    .wavefront_size: 32
    .workgroup_processor_mode: 1
  - .args:
      - .offset:         0
        .size:           128
        .value_kind:     by_value
    .group_segment_fixed_size: 0
    .kernarg_segment_align: 8
    .kernarg_segment_size: 128
    .language:       OpenCL C
    .language_version:
      - 2
      - 0
    .max_flat_workgroup_size: 256
    .name:           _ZN7rocprim17ROCPRIM_400000_NS6detail17trampoline_kernelINS0_14default_configENS1_29reduce_by_key_config_selectorIjsN6thrust23THRUST_200600_302600_NS4plusIsEEEEZZNS1_33reduce_by_key_impl_wrapped_configILNS1_25lookback_scan_determinismE0ES3_S9_NS6_6detail15normal_iteratorINS6_10device_ptrIjEEEENSD_INSE_IsEEEENS6_16discard_iteratorINS6_11use_defaultEEESI_PmS8_NS6_8equal_toIjEEEE10hipError_tPvRmT2_T3_mT4_T5_T6_T7_T8_P12ihipStream_tbENKUlT_T0_E_clISt17integral_constantIbLb0EES15_IbLb1EEEEDaS11_S12_EUlS11_E_NS1_11comp_targetILNS1_3genE8ELNS1_11target_archE1030ELNS1_3gpuE2ELNS1_3repE0EEENS1_30default_config_static_selectorELNS0_4arch9wavefront6targetE0EEEvT1_
    .private_segment_fixed_size: 0
    .sgpr_count:     0
    .sgpr_spill_count: 0
    .symbol:         _ZN7rocprim17ROCPRIM_400000_NS6detail17trampoline_kernelINS0_14default_configENS1_29reduce_by_key_config_selectorIjsN6thrust23THRUST_200600_302600_NS4plusIsEEEEZZNS1_33reduce_by_key_impl_wrapped_configILNS1_25lookback_scan_determinismE0ES3_S9_NS6_6detail15normal_iteratorINS6_10device_ptrIjEEEENSD_INSE_IsEEEENS6_16discard_iteratorINS6_11use_defaultEEESI_PmS8_NS6_8equal_toIjEEEE10hipError_tPvRmT2_T3_mT4_T5_T6_T7_T8_P12ihipStream_tbENKUlT_T0_E_clISt17integral_constantIbLb0EES15_IbLb1EEEEDaS11_S12_EUlS11_E_NS1_11comp_targetILNS1_3genE8ELNS1_11target_archE1030ELNS1_3gpuE2ELNS1_3repE0EEENS1_30default_config_static_selectorELNS0_4arch9wavefront6targetE0EEEvT1_.kd
    .uniform_work_group_size: 1
    .uses_dynamic_stack: false
    .vgpr_count:     0
    .vgpr_spill_count: 0
    .wavefront_size: 32
    .workgroup_processor_mode: 1
  - .args:
      - .offset:         0
        .size:           16
        .value_kind:     by_value
      - .offset:         16
        .size:           8
        .value_kind:     by_value
      - .offset:         24
        .size:           8
        .value_kind:     by_value
    .group_segment_fixed_size: 0
    .kernarg_segment_align: 8
    .kernarg_segment_size: 32
    .language:       OpenCL C
    .language_version:
      - 2
      - 0
    .max_flat_workgroup_size: 256
    .name:           _ZN6thrust23THRUST_200600_302600_NS11hip_rocprim14__parallel_for6kernelILj256ENS1_20__uninitialized_fill7functorINS0_10device_ptrIiEEiEEmLj1EEEvT0_T1_SA_
    .private_segment_fixed_size: 0
    .sgpr_count:     18
    .sgpr_spill_count: 0
    .symbol:         _ZN6thrust23THRUST_200600_302600_NS11hip_rocprim14__parallel_for6kernelILj256ENS1_20__uninitialized_fill7functorINS0_10device_ptrIiEEiEEmLj1EEEvT0_T1_SA_.kd
    .uniform_work_group_size: 1
    .uses_dynamic_stack: false
    .vgpr_count:     3
    .vgpr_spill_count: 0
    .wavefront_size: 32
    .workgroup_processor_mode: 1
  - .args:
      - .offset:         0
        .size:           120
        .value_kind:     by_value
    .group_segment_fixed_size: 0
    .kernarg_segment_align: 8
    .kernarg_segment_size: 120
    .language:       OpenCL C
    .language_version:
      - 2
      - 0
    .max_flat_workgroup_size: 256
    .name:           _ZN7rocprim17ROCPRIM_400000_NS6detail17trampoline_kernelINS0_14default_configENS1_29reduce_by_key_config_selectorIiiN6thrust23THRUST_200600_302600_NS4plusIiEEEEZZNS1_33reduce_by_key_impl_wrapped_configILNS1_25lookback_scan_determinismE0ES3_S9_NS6_10device_ptrIiEESD_SD_SD_PmS8_NS6_8equal_toIiEEEE10hipError_tPvRmT2_T3_mT4_T5_T6_T7_T8_P12ihipStream_tbENKUlT_T0_E_clISt17integral_constantIbLb0EESY_EEDaST_SU_EUlST_E_NS1_11comp_targetILNS1_3genE0ELNS1_11target_archE4294967295ELNS1_3gpuE0ELNS1_3repE0EEENS1_30default_config_static_selectorELNS0_4arch9wavefront6targetE0EEEvT1_
    .private_segment_fixed_size: 0
    .sgpr_count:     0
    .sgpr_spill_count: 0
    .symbol:         _ZN7rocprim17ROCPRIM_400000_NS6detail17trampoline_kernelINS0_14default_configENS1_29reduce_by_key_config_selectorIiiN6thrust23THRUST_200600_302600_NS4plusIiEEEEZZNS1_33reduce_by_key_impl_wrapped_configILNS1_25lookback_scan_determinismE0ES3_S9_NS6_10device_ptrIiEESD_SD_SD_PmS8_NS6_8equal_toIiEEEE10hipError_tPvRmT2_T3_mT4_T5_T6_T7_T8_P12ihipStream_tbENKUlT_T0_E_clISt17integral_constantIbLb0EESY_EEDaST_SU_EUlST_E_NS1_11comp_targetILNS1_3genE0ELNS1_11target_archE4294967295ELNS1_3gpuE0ELNS1_3repE0EEENS1_30default_config_static_selectorELNS0_4arch9wavefront6targetE0EEEvT1_.kd
    .uniform_work_group_size: 1
    .uses_dynamic_stack: false
    .vgpr_count:     0
    .vgpr_spill_count: 0
    .wavefront_size: 32
    .workgroup_processor_mode: 1
  - .args:
      - .offset:         0
        .size:           120
        .value_kind:     by_value
    .group_segment_fixed_size: 0
    .kernarg_segment_align: 8
    .kernarg_segment_size: 120
    .language:       OpenCL C
    .language_version:
      - 2
      - 0
    .max_flat_workgroup_size: 256
    .name:           _ZN7rocprim17ROCPRIM_400000_NS6detail17trampoline_kernelINS0_14default_configENS1_29reduce_by_key_config_selectorIiiN6thrust23THRUST_200600_302600_NS4plusIiEEEEZZNS1_33reduce_by_key_impl_wrapped_configILNS1_25lookback_scan_determinismE0ES3_S9_NS6_10device_ptrIiEESD_SD_SD_PmS8_NS6_8equal_toIiEEEE10hipError_tPvRmT2_T3_mT4_T5_T6_T7_T8_P12ihipStream_tbENKUlT_T0_E_clISt17integral_constantIbLb0EESY_EEDaST_SU_EUlST_E_NS1_11comp_targetILNS1_3genE5ELNS1_11target_archE942ELNS1_3gpuE9ELNS1_3repE0EEENS1_30default_config_static_selectorELNS0_4arch9wavefront6targetE0EEEvT1_
    .private_segment_fixed_size: 0
    .sgpr_count:     0
    .sgpr_spill_count: 0
    .symbol:         _ZN7rocprim17ROCPRIM_400000_NS6detail17trampoline_kernelINS0_14default_configENS1_29reduce_by_key_config_selectorIiiN6thrust23THRUST_200600_302600_NS4plusIiEEEEZZNS1_33reduce_by_key_impl_wrapped_configILNS1_25lookback_scan_determinismE0ES3_S9_NS6_10device_ptrIiEESD_SD_SD_PmS8_NS6_8equal_toIiEEEE10hipError_tPvRmT2_T3_mT4_T5_T6_T7_T8_P12ihipStream_tbENKUlT_T0_E_clISt17integral_constantIbLb0EESY_EEDaST_SU_EUlST_E_NS1_11comp_targetILNS1_3genE5ELNS1_11target_archE942ELNS1_3gpuE9ELNS1_3repE0EEENS1_30default_config_static_selectorELNS0_4arch9wavefront6targetE0EEEvT1_.kd
    .uniform_work_group_size: 1
    .uses_dynamic_stack: false
    .vgpr_count:     0
    .vgpr_spill_count: 0
    .wavefront_size: 32
    .workgroup_processor_mode: 1
  - .args:
      - .offset:         0
        .size:           120
        .value_kind:     by_value
    .group_segment_fixed_size: 0
    .kernarg_segment_align: 8
    .kernarg_segment_size: 120
    .language:       OpenCL C
    .language_version:
      - 2
      - 0
    .max_flat_workgroup_size: 256
    .name:           _ZN7rocprim17ROCPRIM_400000_NS6detail17trampoline_kernelINS0_14default_configENS1_29reduce_by_key_config_selectorIiiN6thrust23THRUST_200600_302600_NS4plusIiEEEEZZNS1_33reduce_by_key_impl_wrapped_configILNS1_25lookback_scan_determinismE0ES3_S9_NS6_10device_ptrIiEESD_SD_SD_PmS8_NS6_8equal_toIiEEEE10hipError_tPvRmT2_T3_mT4_T5_T6_T7_T8_P12ihipStream_tbENKUlT_T0_E_clISt17integral_constantIbLb0EESY_EEDaST_SU_EUlST_E_NS1_11comp_targetILNS1_3genE4ELNS1_11target_archE910ELNS1_3gpuE8ELNS1_3repE0EEENS1_30default_config_static_selectorELNS0_4arch9wavefront6targetE0EEEvT1_
    .private_segment_fixed_size: 0
    .sgpr_count:     0
    .sgpr_spill_count: 0
    .symbol:         _ZN7rocprim17ROCPRIM_400000_NS6detail17trampoline_kernelINS0_14default_configENS1_29reduce_by_key_config_selectorIiiN6thrust23THRUST_200600_302600_NS4plusIiEEEEZZNS1_33reduce_by_key_impl_wrapped_configILNS1_25lookback_scan_determinismE0ES3_S9_NS6_10device_ptrIiEESD_SD_SD_PmS8_NS6_8equal_toIiEEEE10hipError_tPvRmT2_T3_mT4_T5_T6_T7_T8_P12ihipStream_tbENKUlT_T0_E_clISt17integral_constantIbLb0EESY_EEDaST_SU_EUlST_E_NS1_11comp_targetILNS1_3genE4ELNS1_11target_archE910ELNS1_3gpuE8ELNS1_3repE0EEENS1_30default_config_static_selectorELNS0_4arch9wavefront6targetE0EEEvT1_.kd
    .uniform_work_group_size: 1
    .uses_dynamic_stack: false
    .vgpr_count:     0
    .vgpr_spill_count: 0
    .wavefront_size: 32
    .workgroup_processor_mode: 1
  - .args:
      - .offset:         0
        .size:           120
        .value_kind:     by_value
    .group_segment_fixed_size: 0
    .kernarg_segment_align: 8
    .kernarg_segment_size: 120
    .language:       OpenCL C
    .language_version:
      - 2
      - 0
    .max_flat_workgroup_size: 256
    .name:           _ZN7rocprim17ROCPRIM_400000_NS6detail17trampoline_kernelINS0_14default_configENS1_29reduce_by_key_config_selectorIiiN6thrust23THRUST_200600_302600_NS4plusIiEEEEZZNS1_33reduce_by_key_impl_wrapped_configILNS1_25lookback_scan_determinismE0ES3_S9_NS6_10device_ptrIiEESD_SD_SD_PmS8_NS6_8equal_toIiEEEE10hipError_tPvRmT2_T3_mT4_T5_T6_T7_T8_P12ihipStream_tbENKUlT_T0_E_clISt17integral_constantIbLb0EESY_EEDaST_SU_EUlST_E_NS1_11comp_targetILNS1_3genE3ELNS1_11target_archE908ELNS1_3gpuE7ELNS1_3repE0EEENS1_30default_config_static_selectorELNS0_4arch9wavefront6targetE0EEEvT1_
    .private_segment_fixed_size: 0
    .sgpr_count:     0
    .sgpr_spill_count: 0
    .symbol:         _ZN7rocprim17ROCPRIM_400000_NS6detail17trampoline_kernelINS0_14default_configENS1_29reduce_by_key_config_selectorIiiN6thrust23THRUST_200600_302600_NS4plusIiEEEEZZNS1_33reduce_by_key_impl_wrapped_configILNS1_25lookback_scan_determinismE0ES3_S9_NS6_10device_ptrIiEESD_SD_SD_PmS8_NS6_8equal_toIiEEEE10hipError_tPvRmT2_T3_mT4_T5_T6_T7_T8_P12ihipStream_tbENKUlT_T0_E_clISt17integral_constantIbLb0EESY_EEDaST_SU_EUlST_E_NS1_11comp_targetILNS1_3genE3ELNS1_11target_archE908ELNS1_3gpuE7ELNS1_3repE0EEENS1_30default_config_static_selectorELNS0_4arch9wavefront6targetE0EEEvT1_.kd
    .uniform_work_group_size: 1
    .uses_dynamic_stack: false
    .vgpr_count:     0
    .vgpr_spill_count: 0
    .wavefront_size: 32
    .workgroup_processor_mode: 1
  - .args:
      - .offset:         0
        .size:           120
        .value_kind:     by_value
    .group_segment_fixed_size: 0
    .kernarg_segment_align: 8
    .kernarg_segment_size: 120
    .language:       OpenCL C
    .language_version:
      - 2
      - 0
    .max_flat_workgroup_size: 256
    .name:           _ZN7rocprim17ROCPRIM_400000_NS6detail17trampoline_kernelINS0_14default_configENS1_29reduce_by_key_config_selectorIiiN6thrust23THRUST_200600_302600_NS4plusIiEEEEZZNS1_33reduce_by_key_impl_wrapped_configILNS1_25lookback_scan_determinismE0ES3_S9_NS6_10device_ptrIiEESD_SD_SD_PmS8_NS6_8equal_toIiEEEE10hipError_tPvRmT2_T3_mT4_T5_T6_T7_T8_P12ihipStream_tbENKUlT_T0_E_clISt17integral_constantIbLb0EESY_EEDaST_SU_EUlST_E_NS1_11comp_targetILNS1_3genE2ELNS1_11target_archE906ELNS1_3gpuE6ELNS1_3repE0EEENS1_30default_config_static_selectorELNS0_4arch9wavefront6targetE0EEEvT1_
    .private_segment_fixed_size: 0
    .sgpr_count:     0
    .sgpr_spill_count: 0
    .symbol:         _ZN7rocprim17ROCPRIM_400000_NS6detail17trampoline_kernelINS0_14default_configENS1_29reduce_by_key_config_selectorIiiN6thrust23THRUST_200600_302600_NS4plusIiEEEEZZNS1_33reduce_by_key_impl_wrapped_configILNS1_25lookback_scan_determinismE0ES3_S9_NS6_10device_ptrIiEESD_SD_SD_PmS8_NS6_8equal_toIiEEEE10hipError_tPvRmT2_T3_mT4_T5_T6_T7_T8_P12ihipStream_tbENKUlT_T0_E_clISt17integral_constantIbLb0EESY_EEDaST_SU_EUlST_E_NS1_11comp_targetILNS1_3genE2ELNS1_11target_archE906ELNS1_3gpuE6ELNS1_3repE0EEENS1_30default_config_static_selectorELNS0_4arch9wavefront6targetE0EEEvT1_.kd
    .uniform_work_group_size: 1
    .uses_dynamic_stack: false
    .vgpr_count:     0
    .vgpr_spill_count: 0
    .wavefront_size: 32
    .workgroup_processor_mode: 1
  - .args:
      - .offset:         0
        .size:           120
        .value_kind:     by_value
    .group_segment_fixed_size: 0
    .kernarg_segment_align: 8
    .kernarg_segment_size: 120
    .language:       OpenCL C
    .language_version:
      - 2
      - 0
    .max_flat_workgroup_size: 256
    .name:           _ZN7rocprim17ROCPRIM_400000_NS6detail17trampoline_kernelINS0_14default_configENS1_29reduce_by_key_config_selectorIiiN6thrust23THRUST_200600_302600_NS4plusIiEEEEZZNS1_33reduce_by_key_impl_wrapped_configILNS1_25lookback_scan_determinismE0ES3_S9_NS6_10device_ptrIiEESD_SD_SD_PmS8_NS6_8equal_toIiEEEE10hipError_tPvRmT2_T3_mT4_T5_T6_T7_T8_P12ihipStream_tbENKUlT_T0_E_clISt17integral_constantIbLb0EESY_EEDaST_SU_EUlST_E_NS1_11comp_targetILNS1_3genE10ELNS1_11target_archE1201ELNS1_3gpuE5ELNS1_3repE0EEENS1_30default_config_static_selectorELNS0_4arch9wavefront6targetE0EEEvT1_
    .private_segment_fixed_size: 0
    .sgpr_count:     0
    .sgpr_spill_count: 0
    .symbol:         _ZN7rocprim17ROCPRIM_400000_NS6detail17trampoline_kernelINS0_14default_configENS1_29reduce_by_key_config_selectorIiiN6thrust23THRUST_200600_302600_NS4plusIiEEEEZZNS1_33reduce_by_key_impl_wrapped_configILNS1_25lookback_scan_determinismE0ES3_S9_NS6_10device_ptrIiEESD_SD_SD_PmS8_NS6_8equal_toIiEEEE10hipError_tPvRmT2_T3_mT4_T5_T6_T7_T8_P12ihipStream_tbENKUlT_T0_E_clISt17integral_constantIbLb0EESY_EEDaST_SU_EUlST_E_NS1_11comp_targetILNS1_3genE10ELNS1_11target_archE1201ELNS1_3gpuE5ELNS1_3repE0EEENS1_30default_config_static_selectorELNS0_4arch9wavefront6targetE0EEEvT1_.kd
    .uniform_work_group_size: 1
    .uses_dynamic_stack: false
    .vgpr_count:     0
    .vgpr_spill_count: 0
    .wavefront_size: 32
    .workgroup_processor_mode: 1
  - .args:
      - .offset:         0
        .size:           120
        .value_kind:     by_value
    .group_segment_fixed_size: 0
    .kernarg_segment_align: 8
    .kernarg_segment_size: 120
    .language:       OpenCL C
    .language_version:
      - 2
      - 0
    .max_flat_workgroup_size: 256
    .name:           _ZN7rocprim17ROCPRIM_400000_NS6detail17trampoline_kernelINS0_14default_configENS1_29reduce_by_key_config_selectorIiiN6thrust23THRUST_200600_302600_NS4plusIiEEEEZZNS1_33reduce_by_key_impl_wrapped_configILNS1_25lookback_scan_determinismE0ES3_S9_NS6_10device_ptrIiEESD_SD_SD_PmS8_NS6_8equal_toIiEEEE10hipError_tPvRmT2_T3_mT4_T5_T6_T7_T8_P12ihipStream_tbENKUlT_T0_E_clISt17integral_constantIbLb0EESY_EEDaST_SU_EUlST_E_NS1_11comp_targetILNS1_3genE10ELNS1_11target_archE1200ELNS1_3gpuE4ELNS1_3repE0EEENS1_30default_config_static_selectorELNS0_4arch9wavefront6targetE0EEEvT1_
    .private_segment_fixed_size: 0
    .sgpr_count:     0
    .sgpr_spill_count: 0
    .symbol:         _ZN7rocprim17ROCPRIM_400000_NS6detail17trampoline_kernelINS0_14default_configENS1_29reduce_by_key_config_selectorIiiN6thrust23THRUST_200600_302600_NS4plusIiEEEEZZNS1_33reduce_by_key_impl_wrapped_configILNS1_25lookback_scan_determinismE0ES3_S9_NS6_10device_ptrIiEESD_SD_SD_PmS8_NS6_8equal_toIiEEEE10hipError_tPvRmT2_T3_mT4_T5_T6_T7_T8_P12ihipStream_tbENKUlT_T0_E_clISt17integral_constantIbLb0EESY_EEDaST_SU_EUlST_E_NS1_11comp_targetILNS1_3genE10ELNS1_11target_archE1200ELNS1_3gpuE4ELNS1_3repE0EEENS1_30default_config_static_selectorELNS0_4arch9wavefront6targetE0EEEvT1_.kd
    .uniform_work_group_size: 1
    .uses_dynamic_stack: false
    .vgpr_count:     0
    .vgpr_spill_count: 0
    .wavefront_size: 32
    .workgroup_processor_mode: 1
  - .args:
      - .offset:         0
        .size:           120
        .value_kind:     by_value
    .group_segment_fixed_size: 15360
    .kernarg_segment_align: 8
    .kernarg_segment_size: 120
    .language:       OpenCL C
    .language_version:
      - 2
      - 0
    .max_flat_workgroup_size: 256
    .name:           _ZN7rocprim17ROCPRIM_400000_NS6detail17trampoline_kernelINS0_14default_configENS1_29reduce_by_key_config_selectorIiiN6thrust23THRUST_200600_302600_NS4plusIiEEEEZZNS1_33reduce_by_key_impl_wrapped_configILNS1_25lookback_scan_determinismE0ES3_S9_NS6_10device_ptrIiEESD_SD_SD_PmS8_NS6_8equal_toIiEEEE10hipError_tPvRmT2_T3_mT4_T5_T6_T7_T8_P12ihipStream_tbENKUlT_T0_E_clISt17integral_constantIbLb0EESY_EEDaST_SU_EUlST_E_NS1_11comp_targetILNS1_3genE9ELNS1_11target_archE1100ELNS1_3gpuE3ELNS1_3repE0EEENS1_30default_config_static_selectorELNS0_4arch9wavefront6targetE0EEEvT1_
    .private_segment_fixed_size: 0
    .sgpr_count:     48
    .sgpr_spill_count: 0
    .symbol:         _ZN7rocprim17ROCPRIM_400000_NS6detail17trampoline_kernelINS0_14default_configENS1_29reduce_by_key_config_selectorIiiN6thrust23THRUST_200600_302600_NS4plusIiEEEEZZNS1_33reduce_by_key_impl_wrapped_configILNS1_25lookback_scan_determinismE0ES3_S9_NS6_10device_ptrIiEESD_SD_SD_PmS8_NS6_8equal_toIiEEEE10hipError_tPvRmT2_T3_mT4_T5_T6_T7_T8_P12ihipStream_tbENKUlT_T0_E_clISt17integral_constantIbLb0EESY_EEDaST_SU_EUlST_E_NS1_11comp_targetILNS1_3genE9ELNS1_11target_archE1100ELNS1_3gpuE3ELNS1_3repE0EEENS1_30default_config_static_selectorELNS0_4arch9wavefront6targetE0EEEvT1_.kd
    .uniform_work_group_size: 1
    .uses_dynamic_stack: false
    .vgpr_count:     87
    .vgpr_spill_count: 0
    .wavefront_size: 32
    .workgroup_processor_mode: 1
  - .args:
      - .offset:         0
        .size:           120
        .value_kind:     by_value
    .group_segment_fixed_size: 0
    .kernarg_segment_align: 8
    .kernarg_segment_size: 120
    .language:       OpenCL C
    .language_version:
      - 2
      - 0
    .max_flat_workgroup_size: 256
    .name:           _ZN7rocprim17ROCPRIM_400000_NS6detail17trampoline_kernelINS0_14default_configENS1_29reduce_by_key_config_selectorIiiN6thrust23THRUST_200600_302600_NS4plusIiEEEEZZNS1_33reduce_by_key_impl_wrapped_configILNS1_25lookback_scan_determinismE0ES3_S9_NS6_10device_ptrIiEESD_SD_SD_PmS8_NS6_8equal_toIiEEEE10hipError_tPvRmT2_T3_mT4_T5_T6_T7_T8_P12ihipStream_tbENKUlT_T0_E_clISt17integral_constantIbLb0EESY_EEDaST_SU_EUlST_E_NS1_11comp_targetILNS1_3genE8ELNS1_11target_archE1030ELNS1_3gpuE2ELNS1_3repE0EEENS1_30default_config_static_selectorELNS0_4arch9wavefront6targetE0EEEvT1_
    .private_segment_fixed_size: 0
    .sgpr_count:     0
    .sgpr_spill_count: 0
    .symbol:         _ZN7rocprim17ROCPRIM_400000_NS6detail17trampoline_kernelINS0_14default_configENS1_29reduce_by_key_config_selectorIiiN6thrust23THRUST_200600_302600_NS4plusIiEEEEZZNS1_33reduce_by_key_impl_wrapped_configILNS1_25lookback_scan_determinismE0ES3_S9_NS6_10device_ptrIiEESD_SD_SD_PmS8_NS6_8equal_toIiEEEE10hipError_tPvRmT2_T3_mT4_T5_T6_T7_T8_P12ihipStream_tbENKUlT_T0_E_clISt17integral_constantIbLb0EESY_EEDaST_SU_EUlST_E_NS1_11comp_targetILNS1_3genE8ELNS1_11target_archE1030ELNS1_3gpuE2ELNS1_3repE0EEENS1_30default_config_static_selectorELNS0_4arch9wavefront6targetE0EEEvT1_.kd
    .uniform_work_group_size: 1
    .uses_dynamic_stack: false
    .vgpr_count:     0
    .vgpr_spill_count: 0
    .wavefront_size: 32
    .workgroup_processor_mode: 1
  - .args:
      - .offset:         0
        .size:           120
        .value_kind:     by_value
    .group_segment_fixed_size: 0
    .kernarg_segment_align: 8
    .kernarg_segment_size: 120
    .language:       OpenCL C
    .language_version:
      - 2
      - 0
    .max_flat_workgroup_size: 256
    .name:           _ZN7rocprim17ROCPRIM_400000_NS6detail17trampoline_kernelINS0_14default_configENS1_29reduce_by_key_config_selectorIiiN6thrust23THRUST_200600_302600_NS4plusIiEEEEZZNS1_33reduce_by_key_impl_wrapped_configILNS1_25lookback_scan_determinismE0ES3_S9_NS6_10device_ptrIiEESD_SD_SD_PmS8_NS6_8equal_toIiEEEE10hipError_tPvRmT2_T3_mT4_T5_T6_T7_T8_P12ihipStream_tbENKUlT_T0_E_clISt17integral_constantIbLb1EESY_EEDaST_SU_EUlST_E_NS1_11comp_targetILNS1_3genE0ELNS1_11target_archE4294967295ELNS1_3gpuE0ELNS1_3repE0EEENS1_30default_config_static_selectorELNS0_4arch9wavefront6targetE0EEEvT1_
    .private_segment_fixed_size: 0
    .sgpr_count:     0
    .sgpr_spill_count: 0
    .symbol:         _ZN7rocprim17ROCPRIM_400000_NS6detail17trampoline_kernelINS0_14default_configENS1_29reduce_by_key_config_selectorIiiN6thrust23THRUST_200600_302600_NS4plusIiEEEEZZNS1_33reduce_by_key_impl_wrapped_configILNS1_25lookback_scan_determinismE0ES3_S9_NS6_10device_ptrIiEESD_SD_SD_PmS8_NS6_8equal_toIiEEEE10hipError_tPvRmT2_T3_mT4_T5_T6_T7_T8_P12ihipStream_tbENKUlT_T0_E_clISt17integral_constantIbLb1EESY_EEDaST_SU_EUlST_E_NS1_11comp_targetILNS1_3genE0ELNS1_11target_archE4294967295ELNS1_3gpuE0ELNS1_3repE0EEENS1_30default_config_static_selectorELNS0_4arch9wavefront6targetE0EEEvT1_.kd
    .uniform_work_group_size: 1
    .uses_dynamic_stack: false
    .vgpr_count:     0
    .vgpr_spill_count: 0
    .wavefront_size: 32
    .workgroup_processor_mode: 1
  - .args:
      - .offset:         0
        .size:           120
        .value_kind:     by_value
    .group_segment_fixed_size: 0
    .kernarg_segment_align: 8
    .kernarg_segment_size: 120
    .language:       OpenCL C
    .language_version:
      - 2
      - 0
    .max_flat_workgroup_size: 256
    .name:           _ZN7rocprim17ROCPRIM_400000_NS6detail17trampoline_kernelINS0_14default_configENS1_29reduce_by_key_config_selectorIiiN6thrust23THRUST_200600_302600_NS4plusIiEEEEZZNS1_33reduce_by_key_impl_wrapped_configILNS1_25lookback_scan_determinismE0ES3_S9_NS6_10device_ptrIiEESD_SD_SD_PmS8_NS6_8equal_toIiEEEE10hipError_tPvRmT2_T3_mT4_T5_T6_T7_T8_P12ihipStream_tbENKUlT_T0_E_clISt17integral_constantIbLb1EESY_EEDaST_SU_EUlST_E_NS1_11comp_targetILNS1_3genE5ELNS1_11target_archE942ELNS1_3gpuE9ELNS1_3repE0EEENS1_30default_config_static_selectorELNS0_4arch9wavefront6targetE0EEEvT1_
    .private_segment_fixed_size: 0
    .sgpr_count:     0
    .sgpr_spill_count: 0
    .symbol:         _ZN7rocprim17ROCPRIM_400000_NS6detail17trampoline_kernelINS0_14default_configENS1_29reduce_by_key_config_selectorIiiN6thrust23THRUST_200600_302600_NS4plusIiEEEEZZNS1_33reduce_by_key_impl_wrapped_configILNS1_25lookback_scan_determinismE0ES3_S9_NS6_10device_ptrIiEESD_SD_SD_PmS8_NS6_8equal_toIiEEEE10hipError_tPvRmT2_T3_mT4_T5_T6_T7_T8_P12ihipStream_tbENKUlT_T0_E_clISt17integral_constantIbLb1EESY_EEDaST_SU_EUlST_E_NS1_11comp_targetILNS1_3genE5ELNS1_11target_archE942ELNS1_3gpuE9ELNS1_3repE0EEENS1_30default_config_static_selectorELNS0_4arch9wavefront6targetE0EEEvT1_.kd
    .uniform_work_group_size: 1
    .uses_dynamic_stack: false
    .vgpr_count:     0
    .vgpr_spill_count: 0
    .wavefront_size: 32
    .workgroup_processor_mode: 1
  - .args:
      - .offset:         0
        .size:           120
        .value_kind:     by_value
    .group_segment_fixed_size: 0
    .kernarg_segment_align: 8
    .kernarg_segment_size: 120
    .language:       OpenCL C
    .language_version:
      - 2
      - 0
    .max_flat_workgroup_size: 256
    .name:           _ZN7rocprim17ROCPRIM_400000_NS6detail17trampoline_kernelINS0_14default_configENS1_29reduce_by_key_config_selectorIiiN6thrust23THRUST_200600_302600_NS4plusIiEEEEZZNS1_33reduce_by_key_impl_wrapped_configILNS1_25lookback_scan_determinismE0ES3_S9_NS6_10device_ptrIiEESD_SD_SD_PmS8_NS6_8equal_toIiEEEE10hipError_tPvRmT2_T3_mT4_T5_T6_T7_T8_P12ihipStream_tbENKUlT_T0_E_clISt17integral_constantIbLb1EESY_EEDaST_SU_EUlST_E_NS1_11comp_targetILNS1_3genE4ELNS1_11target_archE910ELNS1_3gpuE8ELNS1_3repE0EEENS1_30default_config_static_selectorELNS0_4arch9wavefront6targetE0EEEvT1_
    .private_segment_fixed_size: 0
    .sgpr_count:     0
    .sgpr_spill_count: 0
    .symbol:         _ZN7rocprim17ROCPRIM_400000_NS6detail17trampoline_kernelINS0_14default_configENS1_29reduce_by_key_config_selectorIiiN6thrust23THRUST_200600_302600_NS4plusIiEEEEZZNS1_33reduce_by_key_impl_wrapped_configILNS1_25lookback_scan_determinismE0ES3_S9_NS6_10device_ptrIiEESD_SD_SD_PmS8_NS6_8equal_toIiEEEE10hipError_tPvRmT2_T3_mT4_T5_T6_T7_T8_P12ihipStream_tbENKUlT_T0_E_clISt17integral_constantIbLb1EESY_EEDaST_SU_EUlST_E_NS1_11comp_targetILNS1_3genE4ELNS1_11target_archE910ELNS1_3gpuE8ELNS1_3repE0EEENS1_30default_config_static_selectorELNS0_4arch9wavefront6targetE0EEEvT1_.kd
    .uniform_work_group_size: 1
    .uses_dynamic_stack: false
    .vgpr_count:     0
    .vgpr_spill_count: 0
    .wavefront_size: 32
    .workgroup_processor_mode: 1
  - .args:
      - .offset:         0
        .size:           120
        .value_kind:     by_value
    .group_segment_fixed_size: 0
    .kernarg_segment_align: 8
    .kernarg_segment_size: 120
    .language:       OpenCL C
    .language_version:
      - 2
      - 0
    .max_flat_workgroup_size: 256
    .name:           _ZN7rocprim17ROCPRIM_400000_NS6detail17trampoline_kernelINS0_14default_configENS1_29reduce_by_key_config_selectorIiiN6thrust23THRUST_200600_302600_NS4plusIiEEEEZZNS1_33reduce_by_key_impl_wrapped_configILNS1_25lookback_scan_determinismE0ES3_S9_NS6_10device_ptrIiEESD_SD_SD_PmS8_NS6_8equal_toIiEEEE10hipError_tPvRmT2_T3_mT4_T5_T6_T7_T8_P12ihipStream_tbENKUlT_T0_E_clISt17integral_constantIbLb1EESY_EEDaST_SU_EUlST_E_NS1_11comp_targetILNS1_3genE3ELNS1_11target_archE908ELNS1_3gpuE7ELNS1_3repE0EEENS1_30default_config_static_selectorELNS0_4arch9wavefront6targetE0EEEvT1_
    .private_segment_fixed_size: 0
    .sgpr_count:     0
    .sgpr_spill_count: 0
    .symbol:         _ZN7rocprim17ROCPRIM_400000_NS6detail17trampoline_kernelINS0_14default_configENS1_29reduce_by_key_config_selectorIiiN6thrust23THRUST_200600_302600_NS4plusIiEEEEZZNS1_33reduce_by_key_impl_wrapped_configILNS1_25lookback_scan_determinismE0ES3_S9_NS6_10device_ptrIiEESD_SD_SD_PmS8_NS6_8equal_toIiEEEE10hipError_tPvRmT2_T3_mT4_T5_T6_T7_T8_P12ihipStream_tbENKUlT_T0_E_clISt17integral_constantIbLb1EESY_EEDaST_SU_EUlST_E_NS1_11comp_targetILNS1_3genE3ELNS1_11target_archE908ELNS1_3gpuE7ELNS1_3repE0EEENS1_30default_config_static_selectorELNS0_4arch9wavefront6targetE0EEEvT1_.kd
    .uniform_work_group_size: 1
    .uses_dynamic_stack: false
    .vgpr_count:     0
    .vgpr_spill_count: 0
    .wavefront_size: 32
    .workgroup_processor_mode: 1
  - .args:
      - .offset:         0
        .size:           120
        .value_kind:     by_value
    .group_segment_fixed_size: 0
    .kernarg_segment_align: 8
    .kernarg_segment_size: 120
    .language:       OpenCL C
    .language_version:
      - 2
      - 0
    .max_flat_workgroup_size: 256
    .name:           _ZN7rocprim17ROCPRIM_400000_NS6detail17trampoline_kernelINS0_14default_configENS1_29reduce_by_key_config_selectorIiiN6thrust23THRUST_200600_302600_NS4plusIiEEEEZZNS1_33reduce_by_key_impl_wrapped_configILNS1_25lookback_scan_determinismE0ES3_S9_NS6_10device_ptrIiEESD_SD_SD_PmS8_NS6_8equal_toIiEEEE10hipError_tPvRmT2_T3_mT4_T5_T6_T7_T8_P12ihipStream_tbENKUlT_T0_E_clISt17integral_constantIbLb1EESY_EEDaST_SU_EUlST_E_NS1_11comp_targetILNS1_3genE2ELNS1_11target_archE906ELNS1_3gpuE6ELNS1_3repE0EEENS1_30default_config_static_selectorELNS0_4arch9wavefront6targetE0EEEvT1_
    .private_segment_fixed_size: 0
    .sgpr_count:     0
    .sgpr_spill_count: 0
    .symbol:         _ZN7rocprim17ROCPRIM_400000_NS6detail17trampoline_kernelINS0_14default_configENS1_29reduce_by_key_config_selectorIiiN6thrust23THRUST_200600_302600_NS4plusIiEEEEZZNS1_33reduce_by_key_impl_wrapped_configILNS1_25lookback_scan_determinismE0ES3_S9_NS6_10device_ptrIiEESD_SD_SD_PmS8_NS6_8equal_toIiEEEE10hipError_tPvRmT2_T3_mT4_T5_T6_T7_T8_P12ihipStream_tbENKUlT_T0_E_clISt17integral_constantIbLb1EESY_EEDaST_SU_EUlST_E_NS1_11comp_targetILNS1_3genE2ELNS1_11target_archE906ELNS1_3gpuE6ELNS1_3repE0EEENS1_30default_config_static_selectorELNS0_4arch9wavefront6targetE0EEEvT1_.kd
    .uniform_work_group_size: 1
    .uses_dynamic_stack: false
    .vgpr_count:     0
    .vgpr_spill_count: 0
    .wavefront_size: 32
    .workgroup_processor_mode: 1
  - .args:
      - .offset:         0
        .size:           120
        .value_kind:     by_value
    .group_segment_fixed_size: 0
    .kernarg_segment_align: 8
    .kernarg_segment_size: 120
    .language:       OpenCL C
    .language_version:
      - 2
      - 0
    .max_flat_workgroup_size: 256
    .name:           _ZN7rocprim17ROCPRIM_400000_NS6detail17trampoline_kernelINS0_14default_configENS1_29reduce_by_key_config_selectorIiiN6thrust23THRUST_200600_302600_NS4plusIiEEEEZZNS1_33reduce_by_key_impl_wrapped_configILNS1_25lookback_scan_determinismE0ES3_S9_NS6_10device_ptrIiEESD_SD_SD_PmS8_NS6_8equal_toIiEEEE10hipError_tPvRmT2_T3_mT4_T5_T6_T7_T8_P12ihipStream_tbENKUlT_T0_E_clISt17integral_constantIbLb1EESY_EEDaST_SU_EUlST_E_NS1_11comp_targetILNS1_3genE10ELNS1_11target_archE1201ELNS1_3gpuE5ELNS1_3repE0EEENS1_30default_config_static_selectorELNS0_4arch9wavefront6targetE0EEEvT1_
    .private_segment_fixed_size: 0
    .sgpr_count:     0
    .sgpr_spill_count: 0
    .symbol:         _ZN7rocprim17ROCPRIM_400000_NS6detail17trampoline_kernelINS0_14default_configENS1_29reduce_by_key_config_selectorIiiN6thrust23THRUST_200600_302600_NS4plusIiEEEEZZNS1_33reduce_by_key_impl_wrapped_configILNS1_25lookback_scan_determinismE0ES3_S9_NS6_10device_ptrIiEESD_SD_SD_PmS8_NS6_8equal_toIiEEEE10hipError_tPvRmT2_T3_mT4_T5_T6_T7_T8_P12ihipStream_tbENKUlT_T0_E_clISt17integral_constantIbLb1EESY_EEDaST_SU_EUlST_E_NS1_11comp_targetILNS1_3genE10ELNS1_11target_archE1201ELNS1_3gpuE5ELNS1_3repE0EEENS1_30default_config_static_selectorELNS0_4arch9wavefront6targetE0EEEvT1_.kd
    .uniform_work_group_size: 1
    .uses_dynamic_stack: false
    .vgpr_count:     0
    .vgpr_spill_count: 0
    .wavefront_size: 32
    .workgroup_processor_mode: 1
  - .args:
      - .offset:         0
        .size:           120
        .value_kind:     by_value
    .group_segment_fixed_size: 0
    .kernarg_segment_align: 8
    .kernarg_segment_size: 120
    .language:       OpenCL C
    .language_version:
      - 2
      - 0
    .max_flat_workgroup_size: 256
    .name:           _ZN7rocprim17ROCPRIM_400000_NS6detail17trampoline_kernelINS0_14default_configENS1_29reduce_by_key_config_selectorIiiN6thrust23THRUST_200600_302600_NS4plusIiEEEEZZNS1_33reduce_by_key_impl_wrapped_configILNS1_25lookback_scan_determinismE0ES3_S9_NS6_10device_ptrIiEESD_SD_SD_PmS8_NS6_8equal_toIiEEEE10hipError_tPvRmT2_T3_mT4_T5_T6_T7_T8_P12ihipStream_tbENKUlT_T0_E_clISt17integral_constantIbLb1EESY_EEDaST_SU_EUlST_E_NS1_11comp_targetILNS1_3genE10ELNS1_11target_archE1200ELNS1_3gpuE4ELNS1_3repE0EEENS1_30default_config_static_selectorELNS0_4arch9wavefront6targetE0EEEvT1_
    .private_segment_fixed_size: 0
    .sgpr_count:     0
    .sgpr_spill_count: 0
    .symbol:         _ZN7rocprim17ROCPRIM_400000_NS6detail17trampoline_kernelINS0_14default_configENS1_29reduce_by_key_config_selectorIiiN6thrust23THRUST_200600_302600_NS4plusIiEEEEZZNS1_33reduce_by_key_impl_wrapped_configILNS1_25lookback_scan_determinismE0ES3_S9_NS6_10device_ptrIiEESD_SD_SD_PmS8_NS6_8equal_toIiEEEE10hipError_tPvRmT2_T3_mT4_T5_T6_T7_T8_P12ihipStream_tbENKUlT_T0_E_clISt17integral_constantIbLb1EESY_EEDaST_SU_EUlST_E_NS1_11comp_targetILNS1_3genE10ELNS1_11target_archE1200ELNS1_3gpuE4ELNS1_3repE0EEENS1_30default_config_static_selectorELNS0_4arch9wavefront6targetE0EEEvT1_.kd
    .uniform_work_group_size: 1
    .uses_dynamic_stack: false
    .vgpr_count:     0
    .vgpr_spill_count: 0
    .wavefront_size: 32
    .workgroup_processor_mode: 1
  - .args:
      - .offset:         0
        .size:           120
        .value_kind:     by_value
    .group_segment_fixed_size: 15360
    .kernarg_segment_align: 8
    .kernarg_segment_size: 120
    .language:       OpenCL C
    .language_version:
      - 2
      - 0
    .max_flat_workgroup_size: 256
    .name:           _ZN7rocprim17ROCPRIM_400000_NS6detail17trampoline_kernelINS0_14default_configENS1_29reduce_by_key_config_selectorIiiN6thrust23THRUST_200600_302600_NS4plusIiEEEEZZNS1_33reduce_by_key_impl_wrapped_configILNS1_25lookback_scan_determinismE0ES3_S9_NS6_10device_ptrIiEESD_SD_SD_PmS8_NS6_8equal_toIiEEEE10hipError_tPvRmT2_T3_mT4_T5_T6_T7_T8_P12ihipStream_tbENKUlT_T0_E_clISt17integral_constantIbLb1EESY_EEDaST_SU_EUlST_E_NS1_11comp_targetILNS1_3genE9ELNS1_11target_archE1100ELNS1_3gpuE3ELNS1_3repE0EEENS1_30default_config_static_selectorELNS0_4arch9wavefront6targetE0EEEvT1_
    .private_segment_fixed_size: 0
    .sgpr_count:     51
    .sgpr_spill_count: 0
    .symbol:         _ZN7rocprim17ROCPRIM_400000_NS6detail17trampoline_kernelINS0_14default_configENS1_29reduce_by_key_config_selectorIiiN6thrust23THRUST_200600_302600_NS4plusIiEEEEZZNS1_33reduce_by_key_impl_wrapped_configILNS1_25lookback_scan_determinismE0ES3_S9_NS6_10device_ptrIiEESD_SD_SD_PmS8_NS6_8equal_toIiEEEE10hipError_tPvRmT2_T3_mT4_T5_T6_T7_T8_P12ihipStream_tbENKUlT_T0_E_clISt17integral_constantIbLb1EESY_EEDaST_SU_EUlST_E_NS1_11comp_targetILNS1_3genE9ELNS1_11target_archE1100ELNS1_3gpuE3ELNS1_3repE0EEENS1_30default_config_static_selectorELNS0_4arch9wavefront6targetE0EEEvT1_.kd
    .uniform_work_group_size: 1
    .uses_dynamic_stack: false
    .vgpr_count:     87
    .vgpr_spill_count: 0
    .wavefront_size: 32
    .workgroup_processor_mode: 1
  - .args:
      - .offset:         0
        .size:           120
        .value_kind:     by_value
    .group_segment_fixed_size: 0
    .kernarg_segment_align: 8
    .kernarg_segment_size: 120
    .language:       OpenCL C
    .language_version:
      - 2
      - 0
    .max_flat_workgroup_size: 256
    .name:           _ZN7rocprim17ROCPRIM_400000_NS6detail17trampoline_kernelINS0_14default_configENS1_29reduce_by_key_config_selectorIiiN6thrust23THRUST_200600_302600_NS4plusIiEEEEZZNS1_33reduce_by_key_impl_wrapped_configILNS1_25lookback_scan_determinismE0ES3_S9_NS6_10device_ptrIiEESD_SD_SD_PmS8_NS6_8equal_toIiEEEE10hipError_tPvRmT2_T3_mT4_T5_T6_T7_T8_P12ihipStream_tbENKUlT_T0_E_clISt17integral_constantIbLb1EESY_EEDaST_SU_EUlST_E_NS1_11comp_targetILNS1_3genE8ELNS1_11target_archE1030ELNS1_3gpuE2ELNS1_3repE0EEENS1_30default_config_static_selectorELNS0_4arch9wavefront6targetE0EEEvT1_
    .private_segment_fixed_size: 0
    .sgpr_count:     0
    .sgpr_spill_count: 0
    .symbol:         _ZN7rocprim17ROCPRIM_400000_NS6detail17trampoline_kernelINS0_14default_configENS1_29reduce_by_key_config_selectorIiiN6thrust23THRUST_200600_302600_NS4plusIiEEEEZZNS1_33reduce_by_key_impl_wrapped_configILNS1_25lookback_scan_determinismE0ES3_S9_NS6_10device_ptrIiEESD_SD_SD_PmS8_NS6_8equal_toIiEEEE10hipError_tPvRmT2_T3_mT4_T5_T6_T7_T8_P12ihipStream_tbENKUlT_T0_E_clISt17integral_constantIbLb1EESY_EEDaST_SU_EUlST_E_NS1_11comp_targetILNS1_3genE8ELNS1_11target_archE1030ELNS1_3gpuE2ELNS1_3repE0EEENS1_30default_config_static_selectorELNS0_4arch9wavefront6targetE0EEEvT1_.kd
    .uniform_work_group_size: 1
    .uses_dynamic_stack: false
    .vgpr_count:     0
    .vgpr_spill_count: 0
    .wavefront_size: 32
    .workgroup_processor_mode: 1
  - .args:
      - .offset:         0
        .size:           120
        .value_kind:     by_value
    .group_segment_fixed_size: 0
    .kernarg_segment_align: 8
    .kernarg_segment_size: 120
    .language:       OpenCL C
    .language_version:
      - 2
      - 0
    .max_flat_workgroup_size: 256
    .name:           _ZN7rocprim17ROCPRIM_400000_NS6detail17trampoline_kernelINS0_14default_configENS1_29reduce_by_key_config_selectorIiiN6thrust23THRUST_200600_302600_NS4plusIiEEEEZZNS1_33reduce_by_key_impl_wrapped_configILNS1_25lookback_scan_determinismE0ES3_S9_NS6_10device_ptrIiEESD_SD_SD_PmS8_NS6_8equal_toIiEEEE10hipError_tPvRmT2_T3_mT4_T5_T6_T7_T8_P12ihipStream_tbENKUlT_T0_E_clISt17integral_constantIbLb1EESX_IbLb0EEEEDaST_SU_EUlST_E_NS1_11comp_targetILNS1_3genE0ELNS1_11target_archE4294967295ELNS1_3gpuE0ELNS1_3repE0EEENS1_30default_config_static_selectorELNS0_4arch9wavefront6targetE0EEEvT1_
    .private_segment_fixed_size: 0
    .sgpr_count:     0
    .sgpr_spill_count: 0
    .symbol:         _ZN7rocprim17ROCPRIM_400000_NS6detail17trampoline_kernelINS0_14default_configENS1_29reduce_by_key_config_selectorIiiN6thrust23THRUST_200600_302600_NS4plusIiEEEEZZNS1_33reduce_by_key_impl_wrapped_configILNS1_25lookback_scan_determinismE0ES3_S9_NS6_10device_ptrIiEESD_SD_SD_PmS8_NS6_8equal_toIiEEEE10hipError_tPvRmT2_T3_mT4_T5_T6_T7_T8_P12ihipStream_tbENKUlT_T0_E_clISt17integral_constantIbLb1EESX_IbLb0EEEEDaST_SU_EUlST_E_NS1_11comp_targetILNS1_3genE0ELNS1_11target_archE4294967295ELNS1_3gpuE0ELNS1_3repE0EEENS1_30default_config_static_selectorELNS0_4arch9wavefront6targetE0EEEvT1_.kd
    .uniform_work_group_size: 1
    .uses_dynamic_stack: false
    .vgpr_count:     0
    .vgpr_spill_count: 0
    .wavefront_size: 32
    .workgroup_processor_mode: 1
  - .args:
      - .offset:         0
        .size:           120
        .value_kind:     by_value
    .group_segment_fixed_size: 0
    .kernarg_segment_align: 8
    .kernarg_segment_size: 120
    .language:       OpenCL C
    .language_version:
      - 2
      - 0
    .max_flat_workgroup_size: 256
    .name:           _ZN7rocprim17ROCPRIM_400000_NS6detail17trampoline_kernelINS0_14default_configENS1_29reduce_by_key_config_selectorIiiN6thrust23THRUST_200600_302600_NS4plusIiEEEEZZNS1_33reduce_by_key_impl_wrapped_configILNS1_25lookback_scan_determinismE0ES3_S9_NS6_10device_ptrIiEESD_SD_SD_PmS8_NS6_8equal_toIiEEEE10hipError_tPvRmT2_T3_mT4_T5_T6_T7_T8_P12ihipStream_tbENKUlT_T0_E_clISt17integral_constantIbLb1EESX_IbLb0EEEEDaST_SU_EUlST_E_NS1_11comp_targetILNS1_3genE5ELNS1_11target_archE942ELNS1_3gpuE9ELNS1_3repE0EEENS1_30default_config_static_selectorELNS0_4arch9wavefront6targetE0EEEvT1_
    .private_segment_fixed_size: 0
    .sgpr_count:     0
    .sgpr_spill_count: 0
    .symbol:         _ZN7rocprim17ROCPRIM_400000_NS6detail17trampoline_kernelINS0_14default_configENS1_29reduce_by_key_config_selectorIiiN6thrust23THRUST_200600_302600_NS4plusIiEEEEZZNS1_33reduce_by_key_impl_wrapped_configILNS1_25lookback_scan_determinismE0ES3_S9_NS6_10device_ptrIiEESD_SD_SD_PmS8_NS6_8equal_toIiEEEE10hipError_tPvRmT2_T3_mT4_T5_T6_T7_T8_P12ihipStream_tbENKUlT_T0_E_clISt17integral_constantIbLb1EESX_IbLb0EEEEDaST_SU_EUlST_E_NS1_11comp_targetILNS1_3genE5ELNS1_11target_archE942ELNS1_3gpuE9ELNS1_3repE0EEENS1_30default_config_static_selectorELNS0_4arch9wavefront6targetE0EEEvT1_.kd
    .uniform_work_group_size: 1
    .uses_dynamic_stack: false
    .vgpr_count:     0
    .vgpr_spill_count: 0
    .wavefront_size: 32
    .workgroup_processor_mode: 1
  - .args:
      - .offset:         0
        .size:           120
        .value_kind:     by_value
    .group_segment_fixed_size: 0
    .kernarg_segment_align: 8
    .kernarg_segment_size: 120
    .language:       OpenCL C
    .language_version:
      - 2
      - 0
    .max_flat_workgroup_size: 256
    .name:           _ZN7rocprim17ROCPRIM_400000_NS6detail17trampoline_kernelINS0_14default_configENS1_29reduce_by_key_config_selectorIiiN6thrust23THRUST_200600_302600_NS4plusIiEEEEZZNS1_33reduce_by_key_impl_wrapped_configILNS1_25lookback_scan_determinismE0ES3_S9_NS6_10device_ptrIiEESD_SD_SD_PmS8_NS6_8equal_toIiEEEE10hipError_tPvRmT2_T3_mT4_T5_T6_T7_T8_P12ihipStream_tbENKUlT_T0_E_clISt17integral_constantIbLb1EESX_IbLb0EEEEDaST_SU_EUlST_E_NS1_11comp_targetILNS1_3genE4ELNS1_11target_archE910ELNS1_3gpuE8ELNS1_3repE0EEENS1_30default_config_static_selectorELNS0_4arch9wavefront6targetE0EEEvT1_
    .private_segment_fixed_size: 0
    .sgpr_count:     0
    .sgpr_spill_count: 0
    .symbol:         _ZN7rocprim17ROCPRIM_400000_NS6detail17trampoline_kernelINS0_14default_configENS1_29reduce_by_key_config_selectorIiiN6thrust23THRUST_200600_302600_NS4plusIiEEEEZZNS1_33reduce_by_key_impl_wrapped_configILNS1_25lookback_scan_determinismE0ES3_S9_NS6_10device_ptrIiEESD_SD_SD_PmS8_NS6_8equal_toIiEEEE10hipError_tPvRmT2_T3_mT4_T5_T6_T7_T8_P12ihipStream_tbENKUlT_T0_E_clISt17integral_constantIbLb1EESX_IbLb0EEEEDaST_SU_EUlST_E_NS1_11comp_targetILNS1_3genE4ELNS1_11target_archE910ELNS1_3gpuE8ELNS1_3repE0EEENS1_30default_config_static_selectorELNS0_4arch9wavefront6targetE0EEEvT1_.kd
    .uniform_work_group_size: 1
    .uses_dynamic_stack: false
    .vgpr_count:     0
    .vgpr_spill_count: 0
    .wavefront_size: 32
    .workgroup_processor_mode: 1
  - .args:
      - .offset:         0
        .size:           120
        .value_kind:     by_value
    .group_segment_fixed_size: 0
    .kernarg_segment_align: 8
    .kernarg_segment_size: 120
    .language:       OpenCL C
    .language_version:
      - 2
      - 0
    .max_flat_workgroup_size: 256
    .name:           _ZN7rocprim17ROCPRIM_400000_NS6detail17trampoline_kernelINS0_14default_configENS1_29reduce_by_key_config_selectorIiiN6thrust23THRUST_200600_302600_NS4plusIiEEEEZZNS1_33reduce_by_key_impl_wrapped_configILNS1_25lookback_scan_determinismE0ES3_S9_NS6_10device_ptrIiEESD_SD_SD_PmS8_NS6_8equal_toIiEEEE10hipError_tPvRmT2_T3_mT4_T5_T6_T7_T8_P12ihipStream_tbENKUlT_T0_E_clISt17integral_constantIbLb1EESX_IbLb0EEEEDaST_SU_EUlST_E_NS1_11comp_targetILNS1_3genE3ELNS1_11target_archE908ELNS1_3gpuE7ELNS1_3repE0EEENS1_30default_config_static_selectorELNS0_4arch9wavefront6targetE0EEEvT1_
    .private_segment_fixed_size: 0
    .sgpr_count:     0
    .sgpr_spill_count: 0
    .symbol:         _ZN7rocprim17ROCPRIM_400000_NS6detail17trampoline_kernelINS0_14default_configENS1_29reduce_by_key_config_selectorIiiN6thrust23THRUST_200600_302600_NS4plusIiEEEEZZNS1_33reduce_by_key_impl_wrapped_configILNS1_25lookback_scan_determinismE0ES3_S9_NS6_10device_ptrIiEESD_SD_SD_PmS8_NS6_8equal_toIiEEEE10hipError_tPvRmT2_T3_mT4_T5_T6_T7_T8_P12ihipStream_tbENKUlT_T0_E_clISt17integral_constantIbLb1EESX_IbLb0EEEEDaST_SU_EUlST_E_NS1_11comp_targetILNS1_3genE3ELNS1_11target_archE908ELNS1_3gpuE7ELNS1_3repE0EEENS1_30default_config_static_selectorELNS0_4arch9wavefront6targetE0EEEvT1_.kd
    .uniform_work_group_size: 1
    .uses_dynamic_stack: false
    .vgpr_count:     0
    .vgpr_spill_count: 0
    .wavefront_size: 32
    .workgroup_processor_mode: 1
  - .args:
      - .offset:         0
        .size:           120
        .value_kind:     by_value
    .group_segment_fixed_size: 0
    .kernarg_segment_align: 8
    .kernarg_segment_size: 120
    .language:       OpenCL C
    .language_version:
      - 2
      - 0
    .max_flat_workgroup_size: 256
    .name:           _ZN7rocprim17ROCPRIM_400000_NS6detail17trampoline_kernelINS0_14default_configENS1_29reduce_by_key_config_selectorIiiN6thrust23THRUST_200600_302600_NS4plusIiEEEEZZNS1_33reduce_by_key_impl_wrapped_configILNS1_25lookback_scan_determinismE0ES3_S9_NS6_10device_ptrIiEESD_SD_SD_PmS8_NS6_8equal_toIiEEEE10hipError_tPvRmT2_T3_mT4_T5_T6_T7_T8_P12ihipStream_tbENKUlT_T0_E_clISt17integral_constantIbLb1EESX_IbLb0EEEEDaST_SU_EUlST_E_NS1_11comp_targetILNS1_3genE2ELNS1_11target_archE906ELNS1_3gpuE6ELNS1_3repE0EEENS1_30default_config_static_selectorELNS0_4arch9wavefront6targetE0EEEvT1_
    .private_segment_fixed_size: 0
    .sgpr_count:     0
    .sgpr_spill_count: 0
    .symbol:         _ZN7rocprim17ROCPRIM_400000_NS6detail17trampoline_kernelINS0_14default_configENS1_29reduce_by_key_config_selectorIiiN6thrust23THRUST_200600_302600_NS4plusIiEEEEZZNS1_33reduce_by_key_impl_wrapped_configILNS1_25lookback_scan_determinismE0ES3_S9_NS6_10device_ptrIiEESD_SD_SD_PmS8_NS6_8equal_toIiEEEE10hipError_tPvRmT2_T3_mT4_T5_T6_T7_T8_P12ihipStream_tbENKUlT_T0_E_clISt17integral_constantIbLb1EESX_IbLb0EEEEDaST_SU_EUlST_E_NS1_11comp_targetILNS1_3genE2ELNS1_11target_archE906ELNS1_3gpuE6ELNS1_3repE0EEENS1_30default_config_static_selectorELNS0_4arch9wavefront6targetE0EEEvT1_.kd
    .uniform_work_group_size: 1
    .uses_dynamic_stack: false
    .vgpr_count:     0
    .vgpr_spill_count: 0
    .wavefront_size: 32
    .workgroup_processor_mode: 1
  - .args:
      - .offset:         0
        .size:           120
        .value_kind:     by_value
    .group_segment_fixed_size: 0
    .kernarg_segment_align: 8
    .kernarg_segment_size: 120
    .language:       OpenCL C
    .language_version:
      - 2
      - 0
    .max_flat_workgroup_size: 256
    .name:           _ZN7rocprim17ROCPRIM_400000_NS6detail17trampoline_kernelINS0_14default_configENS1_29reduce_by_key_config_selectorIiiN6thrust23THRUST_200600_302600_NS4plusIiEEEEZZNS1_33reduce_by_key_impl_wrapped_configILNS1_25lookback_scan_determinismE0ES3_S9_NS6_10device_ptrIiEESD_SD_SD_PmS8_NS6_8equal_toIiEEEE10hipError_tPvRmT2_T3_mT4_T5_T6_T7_T8_P12ihipStream_tbENKUlT_T0_E_clISt17integral_constantIbLb1EESX_IbLb0EEEEDaST_SU_EUlST_E_NS1_11comp_targetILNS1_3genE10ELNS1_11target_archE1201ELNS1_3gpuE5ELNS1_3repE0EEENS1_30default_config_static_selectorELNS0_4arch9wavefront6targetE0EEEvT1_
    .private_segment_fixed_size: 0
    .sgpr_count:     0
    .sgpr_spill_count: 0
    .symbol:         _ZN7rocprim17ROCPRIM_400000_NS6detail17trampoline_kernelINS0_14default_configENS1_29reduce_by_key_config_selectorIiiN6thrust23THRUST_200600_302600_NS4plusIiEEEEZZNS1_33reduce_by_key_impl_wrapped_configILNS1_25lookback_scan_determinismE0ES3_S9_NS6_10device_ptrIiEESD_SD_SD_PmS8_NS6_8equal_toIiEEEE10hipError_tPvRmT2_T3_mT4_T5_T6_T7_T8_P12ihipStream_tbENKUlT_T0_E_clISt17integral_constantIbLb1EESX_IbLb0EEEEDaST_SU_EUlST_E_NS1_11comp_targetILNS1_3genE10ELNS1_11target_archE1201ELNS1_3gpuE5ELNS1_3repE0EEENS1_30default_config_static_selectorELNS0_4arch9wavefront6targetE0EEEvT1_.kd
    .uniform_work_group_size: 1
    .uses_dynamic_stack: false
    .vgpr_count:     0
    .vgpr_spill_count: 0
    .wavefront_size: 32
    .workgroup_processor_mode: 1
  - .args:
      - .offset:         0
        .size:           120
        .value_kind:     by_value
    .group_segment_fixed_size: 0
    .kernarg_segment_align: 8
    .kernarg_segment_size: 120
    .language:       OpenCL C
    .language_version:
      - 2
      - 0
    .max_flat_workgroup_size: 256
    .name:           _ZN7rocprim17ROCPRIM_400000_NS6detail17trampoline_kernelINS0_14default_configENS1_29reduce_by_key_config_selectorIiiN6thrust23THRUST_200600_302600_NS4plusIiEEEEZZNS1_33reduce_by_key_impl_wrapped_configILNS1_25lookback_scan_determinismE0ES3_S9_NS6_10device_ptrIiEESD_SD_SD_PmS8_NS6_8equal_toIiEEEE10hipError_tPvRmT2_T3_mT4_T5_T6_T7_T8_P12ihipStream_tbENKUlT_T0_E_clISt17integral_constantIbLb1EESX_IbLb0EEEEDaST_SU_EUlST_E_NS1_11comp_targetILNS1_3genE10ELNS1_11target_archE1200ELNS1_3gpuE4ELNS1_3repE0EEENS1_30default_config_static_selectorELNS0_4arch9wavefront6targetE0EEEvT1_
    .private_segment_fixed_size: 0
    .sgpr_count:     0
    .sgpr_spill_count: 0
    .symbol:         _ZN7rocprim17ROCPRIM_400000_NS6detail17trampoline_kernelINS0_14default_configENS1_29reduce_by_key_config_selectorIiiN6thrust23THRUST_200600_302600_NS4plusIiEEEEZZNS1_33reduce_by_key_impl_wrapped_configILNS1_25lookback_scan_determinismE0ES3_S9_NS6_10device_ptrIiEESD_SD_SD_PmS8_NS6_8equal_toIiEEEE10hipError_tPvRmT2_T3_mT4_T5_T6_T7_T8_P12ihipStream_tbENKUlT_T0_E_clISt17integral_constantIbLb1EESX_IbLb0EEEEDaST_SU_EUlST_E_NS1_11comp_targetILNS1_3genE10ELNS1_11target_archE1200ELNS1_3gpuE4ELNS1_3repE0EEENS1_30default_config_static_selectorELNS0_4arch9wavefront6targetE0EEEvT1_.kd
    .uniform_work_group_size: 1
    .uses_dynamic_stack: false
    .vgpr_count:     0
    .vgpr_spill_count: 0
    .wavefront_size: 32
    .workgroup_processor_mode: 1
  - .args:
      - .offset:         0
        .size:           120
        .value_kind:     by_value
    .group_segment_fixed_size: 15360
    .kernarg_segment_align: 8
    .kernarg_segment_size: 120
    .language:       OpenCL C
    .language_version:
      - 2
      - 0
    .max_flat_workgroup_size: 256
    .name:           _ZN7rocprim17ROCPRIM_400000_NS6detail17trampoline_kernelINS0_14default_configENS1_29reduce_by_key_config_selectorIiiN6thrust23THRUST_200600_302600_NS4plusIiEEEEZZNS1_33reduce_by_key_impl_wrapped_configILNS1_25lookback_scan_determinismE0ES3_S9_NS6_10device_ptrIiEESD_SD_SD_PmS8_NS6_8equal_toIiEEEE10hipError_tPvRmT2_T3_mT4_T5_T6_T7_T8_P12ihipStream_tbENKUlT_T0_E_clISt17integral_constantIbLb1EESX_IbLb0EEEEDaST_SU_EUlST_E_NS1_11comp_targetILNS1_3genE9ELNS1_11target_archE1100ELNS1_3gpuE3ELNS1_3repE0EEENS1_30default_config_static_selectorELNS0_4arch9wavefront6targetE0EEEvT1_
    .private_segment_fixed_size: 0
    .sgpr_count:     50
    .sgpr_spill_count: 0
    .symbol:         _ZN7rocprim17ROCPRIM_400000_NS6detail17trampoline_kernelINS0_14default_configENS1_29reduce_by_key_config_selectorIiiN6thrust23THRUST_200600_302600_NS4plusIiEEEEZZNS1_33reduce_by_key_impl_wrapped_configILNS1_25lookback_scan_determinismE0ES3_S9_NS6_10device_ptrIiEESD_SD_SD_PmS8_NS6_8equal_toIiEEEE10hipError_tPvRmT2_T3_mT4_T5_T6_T7_T8_P12ihipStream_tbENKUlT_T0_E_clISt17integral_constantIbLb1EESX_IbLb0EEEEDaST_SU_EUlST_E_NS1_11comp_targetILNS1_3genE9ELNS1_11target_archE1100ELNS1_3gpuE3ELNS1_3repE0EEENS1_30default_config_static_selectorELNS0_4arch9wavefront6targetE0EEEvT1_.kd
    .uniform_work_group_size: 1
    .uses_dynamic_stack: false
    .vgpr_count:     87
    .vgpr_spill_count: 0
    .wavefront_size: 32
    .workgroup_processor_mode: 1
  - .args:
      - .offset:         0
        .size:           120
        .value_kind:     by_value
    .group_segment_fixed_size: 0
    .kernarg_segment_align: 8
    .kernarg_segment_size: 120
    .language:       OpenCL C
    .language_version:
      - 2
      - 0
    .max_flat_workgroup_size: 256
    .name:           _ZN7rocprim17ROCPRIM_400000_NS6detail17trampoline_kernelINS0_14default_configENS1_29reduce_by_key_config_selectorIiiN6thrust23THRUST_200600_302600_NS4plusIiEEEEZZNS1_33reduce_by_key_impl_wrapped_configILNS1_25lookback_scan_determinismE0ES3_S9_NS6_10device_ptrIiEESD_SD_SD_PmS8_NS6_8equal_toIiEEEE10hipError_tPvRmT2_T3_mT4_T5_T6_T7_T8_P12ihipStream_tbENKUlT_T0_E_clISt17integral_constantIbLb1EESX_IbLb0EEEEDaST_SU_EUlST_E_NS1_11comp_targetILNS1_3genE8ELNS1_11target_archE1030ELNS1_3gpuE2ELNS1_3repE0EEENS1_30default_config_static_selectorELNS0_4arch9wavefront6targetE0EEEvT1_
    .private_segment_fixed_size: 0
    .sgpr_count:     0
    .sgpr_spill_count: 0
    .symbol:         _ZN7rocprim17ROCPRIM_400000_NS6detail17trampoline_kernelINS0_14default_configENS1_29reduce_by_key_config_selectorIiiN6thrust23THRUST_200600_302600_NS4plusIiEEEEZZNS1_33reduce_by_key_impl_wrapped_configILNS1_25lookback_scan_determinismE0ES3_S9_NS6_10device_ptrIiEESD_SD_SD_PmS8_NS6_8equal_toIiEEEE10hipError_tPvRmT2_T3_mT4_T5_T6_T7_T8_P12ihipStream_tbENKUlT_T0_E_clISt17integral_constantIbLb1EESX_IbLb0EEEEDaST_SU_EUlST_E_NS1_11comp_targetILNS1_3genE8ELNS1_11target_archE1030ELNS1_3gpuE2ELNS1_3repE0EEENS1_30default_config_static_selectorELNS0_4arch9wavefront6targetE0EEEvT1_.kd
    .uniform_work_group_size: 1
    .uses_dynamic_stack: false
    .vgpr_count:     0
    .vgpr_spill_count: 0
    .wavefront_size: 32
    .workgroup_processor_mode: 1
  - .args:
      - .offset:         0
        .size:           120
        .value_kind:     by_value
    .group_segment_fixed_size: 0
    .kernarg_segment_align: 8
    .kernarg_segment_size: 120
    .language:       OpenCL C
    .language_version:
      - 2
      - 0
    .max_flat_workgroup_size: 256
    .name:           _ZN7rocprim17ROCPRIM_400000_NS6detail17trampoline_kernelINS0_14default_configENS1_29reduce_by_key_config_selectorIiiN6thrust23THRUST_200600_302600_NS4plusIiEEEEZZNS1_33reduce_by_key_impl_wrapped_configILNS1_25lookback_scan_determinismE0ES3_S9_NS6_10device_ptrIiEESD_SD_SD_PmS8_NS6_8equal_toIiEEEE10hipError_tPvRmT2_T3_mT4_T5_T6_T7_T8_P12ihipStream_tbENKUlT_T0_E_clISt17integral_constantIbLb0EESX_IbLb1EEEEDaST_SU_EUlST_E_NS1_11comp_targetILNS1_3genE0ELNS1_11target_archE4294967295ELNS1_3gpuE0ELNS1_3repE0EEENS1_30default_config_static_selectorELNS0_4arch9wavefront6targetE0EEEvT1_
    .private_segment_fixed_size: 0
    .sgpr_count:     0
    .sgpr_spill_count: 0
    .symbol:         _ZN7rocprim17ROCPRIM_400000_NS6detail17trampoline_kernelINS0_14default_configENS1_29reduce_by_key_config_selectorIiiN6thrust23THRUST_200600_302600_NS4plusIiEEEEZZNS1_33reduce_by_key_impl_wrapped_configILNS1_25lookback_scan_determinismE0ES3_S9_NS6_10device_ptrIiEESD_SD_SD_PmS8_NS6_8equal_toIiEEEE10hipError_tPvRmT2_T3_mT4_T5_T6_T7_T8_P12ihipStream_tbENKUlT_T0_E_clISt17integral_constantIbLb0EESX_IbLb1EEEEDaST_SU_EUlST_E_NS1_11comp_targetILNS1_3genE0ELNS1_11target_archE4294967295ELNS1_3gpuE0ELNS1_3repE0EEENS1_30default_config_static_selectorELNS0_4arch9wavefront6targetE0EEEvT1_.kd
    .uniform_work_group_size: 1
    .uses_dynamic_stack: false
    .vgpr_count:     0
    .vgpr_spill_count: 0
    .wavefront_size: 32
    .workgroup_processor_mode: 1
  - .args:
      - .offset:         0
        .size:           120
        .value_kind:     by_value
    .group_segment_fixed_size: 0
    .kernarg_segment_align: 8
    .kernarg_segment_size: 120
    .language:       OpenCL C
    .language_version:
      - 2
      - 0
    .max_flat_workgroup_size: 256
    .name:           _ZN7rocprim17ROCPRIM_400000_NS6detail17trampoline_kernelINS0_14default_configENS1_29reduce_by_key_config_selectorIiiN6thrust23THRUST_200600_302600_NS4plusIiEEEEZZNS1_33reduce_by_key_impl_wrapped_configILNS1_25lookback_scan_determinismE0ES3_S9_NS6_10device_ptrIiEESD_SD_SD_PmS8_NS6_8equal_toIiEEEE10hipError_tPvRmT2_T3_mT4_T5_T6_T7_T8_P12ihipStream_tbENKUlT_T0_E_clISt17integral_constantIbLb0EESX_IbLb1EEEEDaST_SU_EUlST_E_NS1_11comp_targetILNS1_3genE5ELNS1_11target_archE942ELNS1_3gpuE9ELNS1_3repE0EEENS1_30default_config_static_selectorELNS0_4arch9wavefront6targetE0EEEvT1_
    .private_segment_fixed_size: 0
    .sgpr_count:     0
    .sgpr_spill_count: 0
    .symbol:         _ZN7rocprim17ROCPRIM_400000_NS6detail17trampoline_kernelINS0_14default_configENS1_29reduce_by_key_config_selectorIiiN6thrust23THRUST_200600_302600_NS4plusIiEEEEZZNS1_33reduce_by_key_impl_wrapped_configILNS1_25lookback_scan_determinismE0ES3_S9_NS6_10device_ptrIiEESD_SD_SD_PmS8_NS6_8equal_toIiEEEE10hipError_tPvRmT2_T3_mT4_T5_T6_T7_T8_P12ihipStream_tbENKUlT_T0_E_clISt17integral_constantIbLb0EESX_IbLb1EEEEDaST_SU_EUlST_E_NS1_11comp_targetILNS1_3genE5ELNS1_11target_archE942ELNS1_3gpuE9ELNS1_3repE0EEENS1_30default_config_static_selectorELNS0_4arch9wavefront6targetE0EEEvT1_.kd
    .uniform_work_group_size: 1
    .uses_dynamic_stack: false
    .vgpr_count:     0
    .vgpr_spill_count: 0
    .wavefront_size: 32
    .workgroup_processor_mode: 1
  - .args:
      - .offset:         0
        .size:           120
        .value_kind:     by_value
    .group_segment_fixed_size: 0
    .kernarg_segment_align: 8
    .kernarg_segment_size: 120
    .language:       OpenCL C
    .language_version:
      - 2
      - 0
    .max_flat_workgroup_size: 256
    .name:           _ZN7rocprim17ROCPRIM_400000_NS6detail17trampoline_kernelINS0_14default_configENS1_29reduce_by_key_config_selectorIiiN6thrust23THRUST_200600_302600_NS4plusIiEEEEZZNS1_33reduce_by_key_impl_wrapped_configILNS1_25lookback_scan_determinismE0ES3_S9_NS6_10device_ptrIiEESD_SD_SD_PmS8_NS6_8equal_toIiEEEE10hipError_tPvRmT2_T3_mT4_T5_T6_T7_T8_P12ihipStream_tbENKUlT_T0_E_clISt17integral_constantIbLb0EESX_IbLb1EEEEDaST_SU_EUlST_E_NS1_11comp_targetILNS1_3genE4ELNS1_11target_archE910ELNS1_3gpuE8ELNS1_3repE0EEENS1_30default_config_static_selectorELNS0_4arch9wavefront6targetE0EEEvT1_
    .private_segment_fixed_size: 0
    .sgpr_count:     0
    .sgpr_spill_count: 0
    .symbol:         _ZN7rocprim17ROCPRIM_400000_NS6detail17trampoline_kernelINS0_14default_configENS1_29reduce_by_key_config_selectorIiiN6thrust23THRUST_200600_302600_NS4plusIiEEEEZZNS1_33reduce_by_key_impl_wrapped_configILNS1_25lookback_scan_determinismE0ES3_S9_NS6_10device_ptrIiEESD_SD_SD_PmS8_NS6_8equal_toIiEEEE10hipError_tPvRmT2_T3_mT4_T5_T6_T7_T8_P12ihipStream_tbENKUlT_T0_E_clISt17integral_constantIbLb0EESX_IbLb1EEEEDaST_SU_EUlST_E_NS1_11comp_targetILNS1_3genE4ELNS1_11target_archE910ELNS1_3gpuE8ELNS1_3repE0EEENS1_30default_config_static_selectorELNS0_4arch9wavefront6targetE0EEEvT1_.kd
    .uniform_work_group_size: 1
    .uses_dynamic_stack: false
    .vgpr_count:     0
    .vgpr_spill_count: 0
    .wavefront_size: 32
    .workgroup_processor_mode: 1
  - .args:
      - .offset:         0
        .size:           120
        .value_kind:     by_value
    .group_segment_fixed_size: 0
    .kernarg_segment_align: 8
    .kernarg_segment_size: 120
    .language:       OpenCL C
    .language_version:
      - 2
      - 0
    .max_flat_workgroup_size: 256
    .name:           _ZN7rocprim17ROCPRIM_400000_NS6detail17trampoline_kernelINS0_14default_configENS1_29reduce_by_key_config_selectorIiiN6thrust23THRUST_200600_302600_NS4plusIiEEEEZZNS1_33reduce_by_key_impl_wrapped_configILNS1_25lookback_scan_determinismE0ES3_S9_NS6_10device_ptrIiEESD_SD_SD_PmS8_NS6_8equal_toIiEEEE10hipError_tPvRmT2_T3_mT4_T5_T6_T7_T8_P12ihipStream_tbENKUlT_T0_E_clISt17integral_constantIbLb0EESX_IbLb1EEEEDaST_SU_EUlST_E_NS1_11comp_targetILNS1_3genE3ELNS1_11target_archE908ELNS1_3gpuE7ELNS1_3repE0EEENS1_30default_config_static_selectorELNS0_4arch9wavefront6targetE0EEEvT1_
    .private_segment_fixed_size: 0
    .sgpr_count:     0
    .sgpr_spill_count: 0
    .symbol:         _ZN7rocprim17ROCPRIM_400000_NS6detail17trampoline_kernelINS0_14default_configENS1_29reduce_by_key_config_selectorIiiN6thrust23THRUST_200600_302600_NS4plusIiEEEEZZNS1_33reduce_by_key_impl_wrapped_configILNS1_25lookback_scan_determinismE0ES3_S9_NS6_10device_ptrIiEESD_SD_SD_PmS8_NS6_8equal_toIiEEEE10hipError_tPvRmT2_T3_mT4_T5_T6_T7_T8_P12ihipStream_tbENKUlT_T0_E_clISt17integral_constantIbLb0EESX_IbLb1EEEEDaST_SU_EUlST_E_NS1_11comp_targetILNS1_3genE3ELNS1_11target_archE908ELNS1_3gpuE7ELNS1_3repE0EEENS1_30default_config_static_selectorELNS0_4arch9wavefront6targetE0EEEvT1_.kd
    .uniform_work_group_size: 1
    .uses_dynamic_stack: false
    .vgpr_count:     0
    .vgpr_spill_count: 0
    .wavefront_size: 32
    .workgroup_processor_mode: 1
  - .args:
      - .offset:         0
        .size:           120
        .value_kind:     by_value
    .group_segment_fixed_size: 0
    .kernarg_segment_align: 8
    .kernarg_segment_size: 120
    .language:       OpenCL C
    .language_version:
      - 2
      - 0
    .max_flat_workgroup_size: 256
    .name:           _ZN7rocprim17ROCPRIM_400000_NS6detail17trampoline_kernelINS0_14default_configENS1_29reduce_by_key_config_selectorIiiN6thrust23THRUST_200600_302600_NS4plusIiEEEEZZNS1_33reduce_by_key_impl_wrapped_configILNS1_25lookback_scan_determinismE0ES3_S9_NS6_10device_ptrIiEESD_SD_SD_PmS8_NS6_8equal_toIiEEEE10hipError_tPvRmT2_T3_mT4_T5_T6_T7_T8_P12ihipStream_tbENKUlT_T0_E_clISt17integral_constantIbLb0EESX_IbLb1EEEEDaST_SU_EUlST_E_NS1_11comp_targetILNS1_3genE2ELNS1_11target_archE906ELNS1_3gpuE6ELNS1_3repE0EEENS1_30default_config_static_selectorELNS0_4arch9wavefront6targetE0EEEvT1_
    .private_segment_fixed_size: 0
    .sgpr_count:     0
    .sgpr_spill_count: 0
    .symbol:         _ZN7rocprim17ROCPRIM_400000_NS6detail17trampoline_kernelINS0_14default_configENS1_29reduce_by_key_config_selectorIiiN6thrust23THRUST_200600_302600_NS4plusIiEEEEZZNS1_33reduce_by_key_impl_wrapped_configILNS1_25lookback_scan_determinismE0ES3_S9_NS6_10device_ptrIiEESD_SD_SD_PmS8_NS6_8equal_toIiEEEE10hipError_tPvRmT2_T3_mT4_T5_T6_T7_T8_P12ihipStream_tbENKUlT_T0_E_clISt17integral_constantIbLb0EESX_IbLb1EEEEDaST_SU_EUlST_E_NS1_11comp_targetILNS1_3genE2ELNS1_11target_archE906ELNS1_3gpuE6ELNS1_3repE0EEENS1_30default_config_static_selectorELNS0_4arch9wavefront6targetE0EEEvT1_.kd
    .uniform_work_group_size: 1
    .uses_dynamic_stack: false
    .vgpr_count:     0
    .vgpr_spill_count: 0
    .wavefront_size: 32
    .workgroup_processor_mode: 1
  - .args:
      - .offset:         0
        .size:           120
        .value_kind:     by_value
    .group_segment_fixed_size: 0
    .kernarg_segment_align: 8
    .kernarg_segment_size: 120
    .language:       OpenCL C
    .language_version:
      - 2
      - 0
    .max_flat_workgroup_size: 256
    .name:           _ZN7rocprim17ROCPRIM_400000_NS6detail17trampoline_kernelINS0_14default_configENS1_29reduce_by_key_config_selectorIiiN6thrust23THRUST_200600_302600_NS4plusIiEEEEZZNS1_33reduce_by_key_impl_wrapped_configILNS1_25lookback_scan_determinismE0ES3_S9_NS6_10device_ptrIiEESD_SD_SD_PmS8_NS6_8equal_toIiEEEE10hipError_tPvRmT2_T3_mT4_T5_T6_T7_T8_P12ihipStream_tbENKUlT_T0_E_clISt17integral_constantIbLb0EESX_IbLb1EEEEDaST_SU_EUlST_E_NS1_11comp_targetILNS1_3genE10ELNS1_11target_archE1201ELNS1_3gpuE5ELNS1_3repE0EEENS1_30default_config_static_selectorELNS0_4arch9wavefront6targetE0EEEvT1_
    .private_segment_fixed_size: 0
    .sgpr_count:     0
    .sgpr_spill_count: 0
    .symbol:         _ZN7rocprim17ROCPRIM_400000_NS6detail17trampoline_kernelINS0_14default_configENS1_29reduce_by_key_config_selectorIiiN6thrust23THRUST_200600_302600_NS4plusIiEEEEZZNS1_33reduce_by_key_impl_wrapped_configILNS1_25lookback_scan_determinismE0ES3_S9_NS6_10device_ptrIiEESD_SD_SD_PmS8_NS6_8equal_toIiEEEE10hipError_tPvRmT2_T3_mT4_T5_T6_T7_T8_P12ihipStream_tbENKUlT_T0_E_clISt17integral_constantIbLb0EESX_IbLb1EEEEDaST_SU_EUlST_E_NS1_11comp_targetILNS1_3genE10ELNS1_11target_archE1201ELNS1_3gpuE5ELNS1_3repE0EEENS1_30default_config_static_selectorELNS0_4arch9wavefront6targetE0EEEvT1_.kd
    .uniform_work_group_size: 1
    .uses_dynamic_stack: false
    .vgpr_count:     0
    .vgpr_spill_count: 0
    .wavefront_size: 32
    .workgroup_processor_mode: 1
  - .args:
      - .offset:         0
        .size:           120
        .value_kind:     by_value
    .group_segment_fixed_size: 0
    .kernarg_segment_align: 8
    .kernarg_segment_size: 120
    .language:       OpenCL C
    .language_version:
      - 2
      - 0
    .max_flat_workgroup_size: 256
    .name:           _ZN7rocprim17ROCPRIM_400000_NS6detail17trampoline_kernelINS0_14default_configENS1_29reduce_by_key_config_selectorIiiN6thrust23THRUST_200600_302600_NS4plusIiEEEEZZNS1_33reduce_by_key_impl_wrapped_configILNS1_25lookback_scan_determinismE0ES3_S9_NS6_10device_ptrIiEESD_SD_SD_PmS8_NS6_8equal_toIiEEEE10hipError_tPvRmT2_T3_mT4_T5_T6_T7_T8_P12ihipStream_tbENKUlT_T0_E_clISt17integral_constantIbLb0EESX_IbLb1EEEEDaST_SU_EUlST_E_NS1_11comp_targetILNS1_3genE10ELNS1_11target_archE1200ELNS1_3gpuE4ELNS1_3repE0EEENS1_30default_config_static_selectorELNS0_4arch9wavefront6targetE0EEEvT1_
    .private_segment_fixed_size: 0
    .sgpr_count:     0
    .sgpr_spill_count: 0
    .symbol:         _ZN7rocprim17ROCPRIM_400000_NS6detail17trampoline_kernelINS0_14default_configENS1_29reduce_by_key_config_selectorIiiN6thrust23THRUST_200600_302600_NS4plusIiEEEEZZNS1_33reduce_by_key_impl_wrapped_configILNS1_25lookback_scan_determinismE0ES3_S9_NS6_10device_ptrIiEESD_SD_SD_PmS8_NS6_8equal_toIiEEEE10hipError_tPvRmT2_T3_mT4_T5_T6_T7_T8_P12ihipStream_tbENKUlT_T0_E_clISt17integral_constantIbLb0EESX_IbLb1EEEEDaST_SU_EUlST_E_NS1_11comp_targetILNS1_3genE10ELNS1_11target_archE1200ELNS1_3gpuE4ELNS1_3repE0EEENS1_30default_config_static_selectorELNS0_4arch9wavefront6targetE0EEEvT1_.kd
    .uniform_work_group_size: 1
    .uses_dynamic_stack: false
    .vgpr_count:     0
    .vgpr_spill_count: 0
    .wavefront_size: 32
    .workgroup_processor_mode: 1
  - .args:
      - .offset:         0
        .size:           120
        .value_kind:     by_value
    .group_segment_fixed_size: 15360
    .kernarg_segment_align: 8
    .kernarg_segment_size: 120
    .language:       OpenCL C
    .language_version:
      - 2
      - 0
    .max_flat_workgroup_size: 256
    .name:           _ZN7rocprim17ROCPRIM_400000_NS6detail17trampoline_kernelINS0_14default_configENS1_29reduce_by_key_config_selectorIiiN6thrust23THRUST_200600_302600_NS4plusIiEEEEZZNS1_33reduce_by_key_impl_wrapped_configILNS1_25lookback_scan_determinismE0ES3_S9_NS6_10device_ptrIiEESD_SD_SD_PmS8_NS6_8equal_toIiEEEE10hipError_tPvRmT2_T3_mT4_T5_T6_T7_T8_P12ihipStream_tbENKUlT_T0_E_clISt17integral_constantIbLb0EESX_IbLb1EEEEDaST_SU_EUlST_E_NS1_11comp_targetILNS1_3genE9ELNS1_11target_archE1100ELNS1_3gpuE3ELNS1_3repE0EEENS1_30default_config_static_selectorELNS0_4arch9wavefront6targetE0EEEvT1_
    .private_segment_fixed_size: 0
    .sgpr_count:     46
    .sgpr_spill_count: 0
    .symbol:         _ZN7rocprim17ROCPRIM_400000_NS6detail17trampoline_kernelINS0_14default_configENS1_29reduce_by_key_config_selectorIiiN6thrust23THRUST_200600_302600_NS4plusIiEEEEZZNS1_33reduce_by_key_impl_wrapped_configILNS1_25lookback_scan_determinismE0ES3_S9_NS6_10device_ptrIiEESD_SD_SD_PmS8_NS6_8equal_toIiEEEE10hipError_tPvRmT2_T3_mT4_T5_T6_T7_T8_P12ihipStream_tbENKUlT_T0_E_clISt17integral_constantIbLb0EESX_IbLb1EEEEDaST_SU_EUlST_E_NS1_11comp_targetILNS1_3genE9ELNS1_11target_archE1100ELNS1_3gpuE3ELNS1_3repE0EEENS1_30default_config_static_selectorELNS0_4arch9wavefront6targetE0EEEvT1_.kd
    .uniform_work_group_size: 1
    .uses_dynamic_stack: false
    .vgpr_count:     86
    .vgpr_spill_count: 0
    .wavefront_size: 32
    .workgroup_processor_mode: 1
  - .args:
      - .offset:         0
        .size:           120
        .value_kind:     by_value
    .group_segment_fixed_size: 0
    .kernarg_segment_align: 8
    .kernarg_segment_size: 120
    .language:       OpenCL C
    .language_version:
      - 2
      - 0
    .max_flat_workgroup_size: 256
    .name:           _ZN7rocprim17ROCPRIM_400000_NS6detail17trampoline_kernelINS0_14default_configENS1_29reduce_by_key_config_selectorIiiN6thrust23THRUST_200600_302600_NS4plusIiEEEEZZNS1_33reduce_by_key_impl_wrapped_configILNS1_25lookback_scan_determinismE0ES3_S9_NS6_10device_ptrIiEESD_SD_SD_PmS8_NS6_8equal_toIiEEEE10hipError_tPvRmT2_T3_mT4_T5_T6_T7_T8_P12ihipStream_tbENKUlT_T0_E_clISt17integral_constantIbLb0EESX_IbLb1EEEEDaST_SU_EUlST_E_NS1_11comp_targetILNS1_3genE8ELNS1_11target_archE1030ELNS1_3gpuE2ELNS1_3repE0EEENS1_30default_config_static_selectorELNS0_4arch9wavefront6targetE0EEEvT1_
    .private_segment_fixed_size: 0
    .sgpr_count:     0
    .sgpr_spill_count: 0
    .symbol:         _ZN7rocprim17ROCPRIM_400000_NS6detail17trampoline_kernelINS0_14default_configENS1_29reduce_by_key_config_selectorIiiN6thrust23THRUST_200600_302600_NS4plusIiEEEEZZNS1_33reduce_by_key_impl_wrapped_configILNS1_25lookback_scan_determinismE0ES3_S9_NS6_10device_ptrIiEESD_SD_SD_PmS8_NS6_8equal_toIiEEEE10hipError_tPvRmT2_T3_mT4_T5_T6_T7_T8_P12ihipStream_tbENKUlT_T0_E_clISt17integral_constantIbLb0EESX_IbLb1EEEEDaST_SU_EUlST_E_NS1_11comp_targetILNS1_3genE8ELNS1_11target_archE1030ELNS1_3gpuE2ELNS1_3repE0EEENS1_30default_config_static_selectorELNS0_4arch9wavefront6targetE0EEEvT1_.kd
    .uniform_work_group_size: 1
    .uses_dynamic_stack: false
    .vgpr_count:     0
    .vgpr_spill_count: 0
    .wavefront_size: 32
    .workgroup_processor_mode: 1
  - .args:
      - .offset:         0
        .size:           16
        .value_kind:     by_value
      - .offset:         16
        .size:           8
        .value_kind:     by_value
      - .offset:         24
        .size:           8
        .value_kind:     by_value
    .group_segment_fixed_size: 0
    .kernarg_segment_align: 8
    .kernarg_segment_size: 32
    .language:       OpenCL C
    .language_version:
      - 2
      - 0
    .max_flat_workgroup_size: 256
    .name:           _ZN6thrust23THRUST_200600_302600_NS11hip_rocprim14__parallel_for6kernelILj256ENS1_20__uninitialized_fill7functorINS0_10device_ptrIlEElEEmLj1EEEvT0_T1_SA_
    .private_segment_fixed_size: 0
    .sgpr_count:     18
    .sgpr_spill_count: 0
    .symbol:         _ZN6thrust23THRUST_200600_302600_NS11hip_rocprim14__parallel_for6kernelILj256ENS1_20__uninitialized_fill7functorINS0_10device_ptrIlEElEEmLj1EEEvT0_T1_SA_.kd
    .uniform_work_group_size: 1
    .uses_dynamic_stack: false
    .vgpr_count:     4
    .vgpr_spill_count: 0
    .wavefront_size: 32
    .workgroup_processor_mode: 1
  - .args:
      - .offset:         0
        .size:           24
        .value_kind:     by_value
      - .offset:         24
        .size:           4
        .value_kind:     by_value
      - .offset:         28
        .size:           1
        .value_kind:     by_value
      - .offset:         32
        .size:           4
        .value_kind:     by_value
      - .address_space:  global
        .offset:         40
        .size:           8
        .value_kind:     global_buffer
      - .address_space:  global
        .offset:         48
        .size:           8
        .value_kind:     global_buffer
      - .offset:         56
        .size:           1
        .value_kind:     by_value
      - .offset:         64
        .size:           4
        .value_kind:     hidden_block_count_x
      - .offset:         68
        .size:           4
        .value_kind:     hidden_block_count_y
      - .offset:         72
        .size:           4
        .value_kind:     hidden_block_count_z
      - .offset:         76
        .size:           2
        .value_kind:     hidden_group_size_x
      - .offset:         78
        .size:           2
        .value_kind:     hidden_group_size_y
      - .offset:         80
        .size:           2
        .value_kind:     hidden_group_size_z
      - .offset:         82
        .size:           2
        .value_kind:     hidden_remainder_x
      - .offset:         84
        .size:           2
        .value_kind:     hidden_remainder_y
      - .offset:         86
        .size:           2
        .value_kind:     hidden_remainder_z
      - .offset:         104
        .size:           8
        .value_kind:     hidden_global_offset_x
      - .offset:         112
        .size:           8
        .value_kind:     hidden_global_offset_y
      - .offset:         120
        .size:           8
        .value_kind:     hidden_global_offset_z
      - .offset:         128
        .size:           2
        .value_kind:     hidden_grid_dims
    .group_segment_fixed_size: 0
    .kernarg_segment_align: 8
    .kernarg_segment_size: 320
    .language:       OpenCL C
    .language_version:
      - 2
      - 0
    .max_flat_workgroup_size: 256
    .name:           _ZN7rocprim17ROCPRIM_400000_NS6detail25reduce_by_key_init_kernelINS1_19lookback_scan_stateINS0_5tupleIJjlEEELb0ELb0EEElNS1_16block_id_wrapperIjLb0EEEEEvT_jbjPmPT0_T1_
    .private_segment_fixed_size: 0
    .sgpr_count:     19
    .sgpr_spill_count: 0
    .symbol:         _ZN7rocprim17ROCPRIM_400000_NS6detail25reduce_by_key_init_kernelINS1_19lookback_scan_stateINS0_5tupleIJjlEEELb0ELb0EEElNS1_16block_id_wrapperIjLb0EEEEEvT_jbjPmPT0_T1_.kd
    .uniform_work_group_size: 1
    .uses_dynamic_stack: false
    .vgpr_count:     7
    .vgpr_spill_count: 0
    .wavefront_size: 32
    .workgroup_processor_mode: 1
  - .args:
      - .offset:         0
        .size:           152
        .value_kind:     by_value
    .group_segment_fixed_size: 0
    .kernarg_segment_align: 8
    .kernarg_segment_size: 152
    .language:       OpenCL C
    .language_version:
      - 2
      - 0
    .max_flat_workgroup_size: 256
    .name:           _ZN7rocprim17ROCPRIM_400000_NS6detail17trampoline_kernelINS0_14default_configENS1_29reduce_by_key_config_selectorIllN6thrust23THRUST_200600_302600_NS4plusIlEEEEZZNS1_33reduce_by_key_impl_wrapped_configILNS1_25lookback_scan_determinismE0ES3_S9_NS6_18transform_iteratorI6div_opNS6_17counting_iteratorIlNS6_11use_defaultESF_SF_EESF_SF_EENSC_I6mod_opSG_SF_SF_EENS6_6detail15normal_iteratorINS6_10device_ptrIlEEEESO_PmS8_NS6_8equal_toIlEEEE10hipError_tPvRmT2_T3_mT4_T5_T6_T7_T8_P12ihipStream_tbENKUlT_T0_E_clISt17integral_constantIbLb0EES19_EEDaS14_S15_EUlS14_E_NS1_11comp_targetILNS1_3genE0ELNS1_11target_archE4294967295ELNS1_3gpuE0ELNS1_3repE0EEENS1_30default_config_static_selectorELNS0_4arch9wavefront6targetE0EEEvT1_
    .private_segment_fixed_size: 0
    .sgpr_count:     0
    .sgpr_spill_count: 0
    .symbol:         _ZN7rocprim17ROCPRIM_400000_NS6detail17trampoline_kernelINS0_14default_configENS1_29reduce_by_key_config_selectorIllN6thrust23THRUST_200600_302600_NS4plusIlEEEEZZNS1_33reduce_by_key_impl_wrapped_configILNS1_25lookback_scan_determinismE0ES3_S9_NS6_18transform_iteratorI6div_opNS6_17counting_iteratorIlNS6_11use_defaultESF_SF_EESF_SF_EENSC_I6mod_opSG_SF_SF_EENS6_6detail15normal_iteratorINS6_10device_ptrIlEEEESO_PmS8_NS6_8equal_toIlEEEE10hipError_tPvRmT2_T3_mT4_T5_T6_T7_T8_P12ihipStream_tbENKUlT_T0_E_clISt17integral_constantIbLb0EES19_EEDaS14_S15_EUlS14_E_NS1_11comp_targetILNS1_3genE0ELNS1_11target_archE4294967295ELNS1_3gpuE0ELNS1_3repE0EEENS1_30default_config_static_selectorELNS0_4arch9wavefront6targetE0EEEvT1_.kd
    .uniform_work_group_size: 1
    .uses_dynamic_stack: false
    .vgpr_count:     0
    .vgpr_spill_count: 0
    .wavefront_size: 32
    .workgroup_processor_mode: 1
  - .args:
      - .offset:         0
        .size:           152
        .value_kind:     by_value
    .group_segment_fixed_size: 0
    .kernarg_segment_align: 8
    .kernarg_segment_size: 152
    .language:       OpenCL C
    .language_version:
      - 2
      - 0
    .max_flat_workgroup_size: 256
    .name:           _ZN7rocprim17ROCPRIM_400000_NS6detail17trampoline_kernelINS0_14default_configENS1_29reduce_by_key_config_selectorIllN6thrust23THRUST_200600_302600_NS4plusIlEEEEZZNS1_33reduce_by_key_impl_wrapped_configILNS1_25lookback_scan_determinismE0ES3_S9_NS6_18transform_iteratorI6div_opNS6_17counting_iteratorIlNS6_11use_defaultESF_SF_EESF_SF_EENSC_I6mod_opSG_SF_SF_EENS6_6detail15normal_iteratorINS6_10device_ptrIlEEEESO_PmS8_NS6_8equal_toIlEEEE10hipError_tPvRmT2_T3_mT4_T5_T6_T7_T8_P12ihipStream_tbENKUlT_T0_E_clISt17integral_constantIbLb0EES19_EEDaS14_S15_EUlS14_E_NS1_11comp_targetILNS1_3genE5ELNS1_11target_archE942ELNS1_3gpuE9ELNS1_3repE0EEENS1_30default_config_static_selectorELNS0_4arch9wavefront6targetE0EEEvT1_
    .private_segment_fixed_size: 0
    .sgpr_count:     0
    .sgpr_spill_count: 0
    .symbol:         _ZN7rocprim17ROCPRIM_400000_NS6detail17trampoline_kernelINS0_14default_configENS1_29reduce_by_key_config_selectorIllN6thrust23THRUST_200600_302600_NS4plusIlEEEEZZNS1_33reduce_by_key_impl_wrapped_configILNS1_25lookback_scan_determinismE0ES3_S9_NS6_18transform_iteratorI6div_opNS6_17counting_iteratorIlNS6_11use_defaultESF_SF_EESF_SF_EENSC_I6mod_opSG_SF_SF_EENS6_6detail15normal_iteratorINS6_10device_ptrIlEEEESO_PmS8_NS6_8equal_toIlEEEE10hipError_tPvRmT2_T3_mT4_T5_T6_T7_T8_P12ihipStream_tbENKUlT_T0_E_clISt17integral_constantIbLb0EES19_EEDaS14_S15_EUlS14_E_NS1_11comp_targetILNS1_3genE5ELNS1_11target_archE942ELNS1_3gpuE9ELNS1_3repE0EEENS1_30default_config_static_selectorELNS0_4arch9wavefront6targetE0EEEvT1_.kd
    .uniform_work_group_size: 1
    .uses_dynamic_stack: false
    .vgpr_count:     0
    .vgpr_spill_count: 0
    .wavefront_size: 32
    .workgroup_processor_mode: 1
  - .args:
      - .offset:         0
        .size:           152
        .value_kind:     by_value
    .group_segment_fixed_size: 0
    .kernarg_segment_align: 8
    .kernarg_segment_size: 152
    .language:       OpenCL C
    .language_version:
      - 2
      - 0
    .max_flat_workgroup_size: 256
    .name:           _ZN7rocprim17ROCPRIM_400000_NS6detail17trampoline_kernelINS0_14default_configENS1_29reduce_by_key_config_selectorIllN6thrust23THRUST_200600_302600_NS4plusIlEEEEZZNS1_33reduce_by_key_impl_wrapped_configILNS1_25lookback_scan_determinismE0ES3_S9_NS6_18transform_iteratorI6div_opNS6_17counting_iteratorIlNS6_11use_defaultESF_SF_EESF_SF_EENSC_I6mod_opSG_SF_SF_EENS6_6detail15normal_iteratorINS6_10device_ptrIlEEEESO_PmS8_NS6_8equal_toIlEEEE10hipError_tPvRmT2_T3_mT4_T5_T6_T7_T8_P12ihipStream_tbENKUlT_T0_E_clISt17integral_constantIbLb0EES19_EEDaS14_S15_EUlS14_E_NS1_11comp_targetILNS1_3genE4ELNS1_11target_archE910ELNS1_3gpuE8ELNS1_3repE0EEENS1_30default_config_static_selectorELNS0_4arch9wavefront6targetE0EEEvT1_
    .private_segment_fixed_size: 0
    .sgpr_count:     0
    .sgpr_spill_count: 0
    .symbol:         _ZN7rocprim17ROCPRIM_400000_NS6detail17trampoline_kernelINS0_14default_configENS1_29reduce_by_key_config_selectorIllN6thrust23THRUST_200600_302600_NS4plusIlEEEEZZNS1_33reduce_by_key_impl_wrapped_configILNS1_25lookback_scan_determinismE0ES3_S9_NS6_18transform_iteratorI6div_opNS6_17counting_iteratorIlNS6_11use_defaultESF_SF_EESF_SF_EENSC_I6mod_opSG_SF_SF_EENS6_6detail15normal_iteratorINS6_10device_ptrIlEEEESO_PmS8_NS6_8equal_toIlEEEE10hipError_tPvRmT2_T3_mT4_T5_T6_T7_T8_P12ihipStream_tbENKUlT_T0_E_clISt17integral_constantIbLb0EES19_EEDaS14_S15_EUlS14_E_NS1_11comp_targetILNS1_3genE4ELNS1_11target_archE910ELNS1_3gpuE8ELNS1_3repE0EEENS1_30default_config_static_selectorELNS0_4arch9wavefront6targetE0EEEvT1_.kd
    .uniform_work_group_size: 1
    .uses_dynamic_stack: false
    .vgpr_count:     0
    .vgpr_spill_count: 0
    .wavefront_size: 32
    .workgroup_processor_mode: 1
  - .args:
      - .offset:         0
        .size:           152
        .value_kind:     by_value
    .group_segment_fixed_size: 0
    .kernarg_segment_align: 8
    .kernarg_segment_size: 152
    .language:       OpenCL C
    .language_version:
      - 2
      - 0
    .max_flat_workgroup_size: 256
    .name:           _ZN7rocprim17ROCPRIM_400000_NS6detail17trampoline_kernelINS0_14default_configENS1_29reduce_by_key_config_selectorIllN6thrust23THRUST_200600_302600_NS4plusIlEEEEZZNS1_33reduce_by_key_impl_wrapped_configILNS1_25lookback_scan_determinismE0ES3_S9_NS6_18transform_iteratorI6div_opNS6_17counting_iteratorIlNS6_11use_defaultESF_SF_EESF_SF_EENSC_I6mod_opSG_SF_SF_EENS6_6detail15normal_iteratorINS6_10device_ptrIlEEEESO_PmS8_NS6_8equal_toIlEEEE10hipError_tPvRmT2_T3_mT4_T5_T6_T7_T8_P12ihipStream_tbENKUlT_T0_E_clISt17integral_constantIbLb0EES19_EEDaS14_S15_EUlS14_E_NS1_11comp_targetILNS1_3genE3ELNS1_11target_archE908ELNS1_3gpuE7ELNS1_3repE0EEENS1_30default_config_static_selectorELNS0_4arch9wavefront6targetE0EEEvT1_
    .private_segment_fixed_size: 0
    .sgpr_count:     0
    .sgpr_spill_count: 0
    .symbol:         _ZN7rocprim17ROCPRIM_400000_NS6detail17trampoline_kernelINS0_14default_configENS1_29reduce_by_key_config_selectorIllN6thrust23THRUST_200600_302600_NS4plusIlEEEEZZNS1_33reduce_by_key_impl_wrapped_configILNS1_25lookback_scan_determinismE0ES3_S9_NS6_18transform_iteratorI6div_opNS6_17counting_iteratorIlNS6_11use_defaultESF_SF_EESF_SF_EENSC_I6mod_opSG_SF_SF_EENS6_6detail15normal_iteratorINS6_10device_ptrIlEEEESO_PmS8_NS6_8equal_toIlEEEE10hipError_tPvRmT2_T3_mT4_T5_T6_T7_T8_P12ihipStream_tbENKUlT_T0_E_clISt17integral_constantIbLb0EES19_EEDaS14_S15_EUlS14_E_NS1_11comp_targetILNS1_3genE3ELNS1_11target_archE908ELNS1_3gpuE7ELNS1_3repE0EEENS1_30default_config_static_selectorELNS0_4arch9wavefront6targetE0EEEvT1_.kd
    .uniform_work_group_size: 1
    .uses_dynamic_stack: false
    .vgpr_count:     0
    .vgpr_spill_count: 0
    .wavefront_size: 32
    .workgroup_processor_mode: 1
  - .args:
      - .offset:         0
        .size:           152
        .value_kind:     by_value
    .group_segment_fixed_size: 0
    .kernarg_segment_align: 8
    .kernarg_segment_size: 152
    .language:       OpenCL C
    .language_version:
      - 2
      - 0
    .max_flat_workgroup_size: 256
    .name:           _ZN7rocprim17ROCPRIM_400000_NS6detail17trampoline_kernelINS0_14default_configENS1_29reduce_by_key_config_selectorIllN6thrust23THRUST_200600_302600_NS4plusIlEEEEZZNS1_33reduce_by_key_impl_wrapped_configILNS1_25lookback_scan_determinismE0ES3_S9_NS6_18transform_iteratorI6div_opNS6_17counting_iteratorIlNS6_11use_defaultESF_SF_EESF_SF_EENSC_I6mod_opSG_SF_SF_EENS6_6detail15normal_iteratorINS6_10device_ptrIlEEEESO_PmS8_NS6_8equal_toIlEEEE10hipError_tPvRmT2_T3_mT4_T5_T6_T7_T8_P12ihipStream_tbENKUlT_T0_E_clISt17integral_constantIbLb0EES19_EEDaS14_S15_EUlS14_E_NS1_11comp_targetILNS1_3genE2ELNS1_11target_archE906ELNS1_3gpuE6ELNS1_3repE0EEENS1_30default_config_static_selectorELNS0_4arch9wavefront6targetE0EEEvT1_
    .private_segment_fixed_size: 0
    .sgpr_count:     0
    .sgpr_spill_count: 0
    .symbol:         _ZN7rocprim17ROCPRIM_400000_NS6detail17trampoline_kernelINS0_14default_configENS1_29reduce_by_key_config_selectorIllN6thrust23THRUST_200600_302600_NS4plusIlEEEEZZNS1_33reduce_by_key_impl_wrapped_configILNS1_25lookback_scan_determinismE0ES3_S9_NS6_18transform_iteratorI6div_opNS6_17counting_iteratorIlNS6_11use_defaultESF_SF_EESF_SF_EENSC_I6mod_opSG_SF_SF_EENS6_6detail15normal_iteratorINS6_10device_ptrIlEEEESO_PmS8_NS6_8equal_toIlEEEE10hipError_tPvRmT2_T3_mT4_T5_T6_T7_T8_P12ihipStream_tbENKUlT_T0_E_clISt17integral_constantIbLb0EES19_EEDaS14_S15_EUlS14_E_NS1_11comp_targetILNS1_3genE2ELNS1_11target_archE906ELNS1_3gpuE6ELNS1_3repE0EEENS1_30default_config_static_selectorELNS0_4arch9wavefront6targetE0EEEvT1_.kd
    .uniform_work_group_size: 1
    .uses_dynamic_stack: false
    .vgpr_count:     0
    .vgpr_spill_count: 0
    .wavefront_size: 32
    .workgroup_processor_mode: 1
  - .args:
      - .offset:         0
        .size:           152
        .value_kind:     by_value
    .group_segment_fixed_size: 0
    .kernarg_segment_align: 8
    .kernarg_segment_size: 152
    .language:       OpenCL C
    .language_version:
      - 2
      - 0
    .max_flat_workgroup_size: 256
    .name:           _ZN7rocprim17ROCPRIM_400000_NS6detail17trampoline_kernelINS0_14default_configENS1_29reduce_by_key_config_selectorIllN6thrust23THRUST_200600_302600_NS4plusIlEEEEZZNS1_33reduce_by_key_impl_wrapped_configILNS1_25lookback_scan_determinismE0ES3_S9_NS6_18transform_iteratorI6div_opNS6_17counting_iteratorIlNS6_11use_defaultESF_SF_EESF_SF_EENSC_I6mod_opSG_SF_SF_EENS6_6detail15normal_iteratorINS6_10device_ptrIlEEEESO_PmS8_NS6_8equal_toIlEEEE10hipError_tPvRmT2_T3_mT4_T5_T6_T7_T8_P12ihipStream_tbENKUlT_T0_E_clISt17integral_constantIbLb0EES19_EEDaS14_S15_EUlS14_E_NS1_11comp_targetILNS1_3genE10ELNS1_11target_archE1201ELNS1_3gpuE5ELNS1_3repE0EEENS1_30default_config_static_selectorELNS0_4arch9wavefront6targetE0EEEvT1_
    .private_segment_fixed_size: 0
    .sgpr_count:     0
    .sgpr_spill_count: 0
    .symbol:         _ZN7rocprim17ROCPRIM_400000_NS6detail17trampoline_kernelINS0_14default_configENS1_29reduce_by_key_config_selectorIllN6thrust23THRUST_200600_302600_NS4plusIlEEEEZZNS1_33reduce_by_key_impl_wrapped_configILNS1_25lookback_scan_determinismE0ES3_S9_NS6_18transform_iteratorI6div_opNS6_17counting_iteratorIlNS6_11use_defaultESF_SF_EESF_SF_EENSC_I6mod_opSG_SF_SF_EENS6_6detail15normal_iteratorINS6_10device_ptrIlEEEESO_PmS8_NS6_8equal_toIlEEEE10hipError_tPvRmT2_T3_mT4_T5_T6_T7_T8_P12ihipStream_tbENKUlT_T0_E_clISt17integral_constantIbLb0EES19_EEDaS14_S15_EUlS14_E_NS1_11comp_targetILNS1_3genE10ELNS1_11target_archE1201ELNS1_3gpuE5ELNS1_3repE0EEENS1_30default_config_static_selectorELNS0_4arch9wavefront6targetE0EEEvT1_.kd
    .uniform_work_group_size: 1
    .uses_dynamic_stack: false
    .vgpr_count:     0
    .vgpr_spill_count: 0
    .wavefront_size: 32
    .workgroup_processor_mode: 1
  - .args:
      - .offset:         0
        .size:           152
        .value_kind:     by_value
    .group_segment_fixed_size: 0
    .kernarg_segment_align: 8
    .kernarg_segment_size: 152
    .language:       OpenCL C
    .language_version:
      - 2
      - 0
    .max_flat_workgroup_size: 256
    .name:           _ZN7rocprim17ROCPRIM_400000_NS6detail17trampoline_kernelINS0_14default_configENS1_29reduce_by_key_config_selectorIllN6thrust23THRUST_200600_302600_NS4plusIlEEEEZZNS1_33reduce_by_key_impl_wrapped_configILNS1_25lookback_scan_determinismE0ES3_S9_NS6_18transform_iteratorI6div_opNS6_17counting_iteratorIlNS6_11use_defaultESF_SF_EESF_SF_EENSC_I6mod_opSG_SF_SF_EENS6_6detail15normal_iteratorINS6_10device_ptrIlEEEESO_PmS8_NS6_8equal_toIlEEEE10hipError_tPvRmT2_T3_mT4_T5_T6_T7_T8_P12ihipStream_tbENKUlT_T0_E_clISt17integral_constantIbLb0EES19_EEDaS14_S15_EUlS14_E_NS1_11comp_targetILNS1_3genE10ELNS1_11target_archE1200ELNS1_3gpuE4ELNS1_3repE0EEENS1_30default_config_static_selectorELNS0_4arch9wavefront6targetE0EEEvT1_
    .private_segment_fixed_size: 0
    .sgpr_count:     0
    .sgpr_spill_count: 0
    .symbol:         _ZN7rocprim17ROCPRIM_400000_NS6detail17trampoline_kernelINS0_14default_configENS1_29reduce_by_key_config_selectorIllN6thrust23THRUST_200600_302600_NS4plusIlEEEEZZNS1_33reduce_by_key_impl_wrapped_configILNS1_25lookback_scan_determinismE0ES3_S9_NS6_18transform_iteratorI6div_opNS6_17counting_iteratorIlNS6_11use_defaultESF_SF_EESF_SF_EENSC_I6mod_opSG_SF_SF_EENS6_6detail15normal_iteratorINS6_10device_ptrIlEEEESO_PmS8_NS6_8equal_toIlEEEE10hipError_tPvRmT2_T3_mT4_T5_T6_T7_T8_P12ihipStream_tbENKUlT_T0_E_clISt17integral_constantIbLb0EES19_EEDaS14_S15_EUlS14_E_NS1_11comp_targetILNS1_3genE10ELNS1_11target_archE1200ELNS1_3gpuE4ELNS1_3repE0EEENS1_30default_config_static_selectorELNS0_4arch9wavefront6targetE0EEEvT1_.kd
    .uniform_work_group_size: 1
    .uses_dynamic_stack: false
    .vgpr_count:     0
    .vgpr_spill_count: 0
    .wavefront_size: 32
    .workgroup_processor_mode: 1
  - .args:
      - .offset:         0
        .size:           152
        .value_kind:     by_value
    .group_segment_fixed_size: 30720
    .kernarg_segment_align: 8
    .kernarg_segment_size: 152
    .language:       OpenCL C
    .language_version:
      - 2
      - 0
    .max_flat_workgroup_size: 256
    .name:           _ZN7rocprim17ROCPRIM_400000_NS6detail17trampoline_kernelINS0_14default_configENS1_29reduce_by_key_config_selectorIllN6thrust23THRUST_200600_302600_NS4plusIlEEEEZZNS1_33reduce_by_key_impl_wrapped_configILNS1_25lookback_scan_determinismE0ES3_S9_NS6_18transform_iteratorI6div_opNS6_17counting_iteratorIlNS6_11use_defaultESF_SF_EESF_SF_EENSC_I6mod_opSG_SF_SF_EENS6_6detail15normal_iteratorINS6_10device_ptrIlEEEESO_PmS8_NS6_8equal_toIlEEEE10hipError_tPvRmT2_T3_mT4_T5_T6_T7_T8_P12ihipStream_tbENKUlT_T0_E_clISt17integral_constantIbLb0EES19_EEDaS14_S15_EUlS14_E_NS1_11comp_targetILNS1_3genE9ELNS1_11target_archE1100ELNS1_3gpuE3ELNS1_3repE0EEENS1_30default_config_static_selectorELNS0_4arch9wavefront6targetE0EEEvT1_
    .private_segment_fixed_size: 0
    .sgpr_count:     70
    .sgpr_spill_count: 0
    .symbol:         _ZN7rocprim17ROCPRIM_400000_NS6detail17trampoline_kernelINS0_14default_configENS1_29reduce_by_key_config_selectorIllN6thrust23THRUST_200600_302600_NS4plusIlEEEEZZNS1_33reduce_by_key_impl_wrapped_configILNS1_25lookback_scan_determinismE0ES3_S9_NS6_18transform_iteratorI6div_opNS6_17counting_iteratorIlNS6_11use_defaultESF_SF_EESF_SF_EENSC_I6mod_opSG_SF_SF_EENS6_6detail15normal_iteratorINS6_10device_ptrIlEEEESO_PmS8_NS6_8equal_toIlEEEE10hipError_tPvRmT2_T3_mT4_T5_T6_T7_T8_P12ihipStream_tbENKUlT_T0_E_clISt17integral_constantIbLb0EES19_EEDaS14_S15_EUlS14_E_NS1_11comp_targetILNS1_3genE9ELNS1_11target_archE1100ELNS1_3gpuE3ELNS1_3repE0EEENS1_30default_config_static_selectorELNS0_4arch9wavefront6targetE0EEEvT1_.kd
    .uniform_work_group_size: 1
    .uses_dynamic_stack: false
    .vgpr_count:     121
    .vgpr_spill_count: 0
    .wavefront_size: 32
    .workgroup_processor_mode: 1
  - .args:
      - .offset:         0
        .size:           152
        .value_kind:     by_value
    .group_segment_fixed_size: 0
    .kernarg_segment_align: 8
    .kernarg_segment_size: 152
    .language:       OpenCL C
    .language_version:
      - 2
      - 0
    .max_flat_workgroup_size: 256
    .name:           _ZN7rocprim17ROCPRIM_400000_NS6detail17trampoline_kernelINS0_14default_configENS1_29reduce_by_key_config_selectorIllN6thrust23THRUST_200600_302600_NS4plusIlEEEEZZNS1_33reduce_by_key_impl_wrapped_configILNS1_25lookback_scan_determinismE0ES3_S9_NS6_18transform_iteratorI6div_opNS6_17counting_iteratorIlNS6_11use_defaultESF_SF_EESF_SF_EENSC_I6mod_opSG_SF_SF_EENS6_6detail15normal_iteratorINS6_10device_ptrIlEEEESO_PmS8_NS6_8equal_toIlEEEE10hipError_tPvRmT2_T3_mT4_T5_T6_T7_T8_P12ihipStream_tbENKUlT_T0_E_clISt17integral_constantIbLb0EES19_EEDaS14_S15_EUlS14_E_NS1_11comp_targetILNS1_3genE8ELNS1_11target_archE1030ELNS1_3gpuE2ELNS1_3repE0EEENS1_30default_config_static_selectorELNS0_4arch9wavefront6targetE0EEEvT1_
    .private_segment_fixed_size: 0
    .sgpr_count:     0
    .sgpr_spill_count: 0
    .symbol:         _ZN7rocprim17ROCPRIM_400000_NS6detail17trampoline_kernelINS0_14default_configENS1_29reduce_by_key_config_selectorIllN6thrust23THRUST_200600_302600_NS4plusIlEEEEZZNS1_33reduce_by_key_impl_wrapped_configILNS1_25lookback_scan_determinismE0ES3_S9_NS6_18transform_iteratorI6div_opNS6_17counting_iteratorIlNS6_11use_defaultESF_SF_EESF_SF_EENSC_I6mod_opSG_SF_SF_EENS6_6detail15normal_iteratorINS6_10device_ptrIlEEEESO_PmS8_NS6_8equal_toIlEEEE10hipError_tPvRmT2_T3_mT4_T5_T6_T7_T8_P12ihipStream_tbENKUlT_T0_E_clISt17integral_constantIbLb0EES19_EEDaS14_S15_EUlS14_E_NS1_11comp_targetILNS1_3genE8ELNS1_11target_archE1030ELNS1_3gpuE2ELNS1_3repE0EEENS1_30default_config_static_selectorELNS0_4arch9wavefront6targetE0EEEvT1_.kd
    .uniform_work_group_size: 1
    .uses_dynamic_stack: false
    .vgpr_count:     0
    .vgpr_spill_count: 0
    .wavefront_size: 32
    .workgroup_processor_mode: 1
  - .args:
      - .offset:         0
        .size:           24
        .value_kind:     by_value
      - .offset:         24
        .size:           4
        .value_kind:     by_value
      - .offset:         28
        .size:           1
        .value_kind:     by_value
      - .offset:         32
        .size:           4
        .value_kind:     by_value
      - .address_space:  global
        .offset:         40
        .size:           8
        .value_kind:     global_buffer
      - .address_space:  global
        .offset:         48
        .size:           8
        .value_kind:     global_buffer
      - .address_space:  global
        .offset:         56
        .size:           8
        .value_kind:     global_buffer
      - .offset:         64
        .size:           4
        .value_kind:     hidden_block_count_x
      - .offset:         68
        .size:           4
        .value_kind:     hidden_block_count_y
      - .offset:         72
        .size:           4
        .value_kind:     hidden_block_count_z
      - .offset:         76
        .size:           2
        .value_kind:     hidden_group_size_x
      - .offset:         78
        .size:           2
        .value_kind:     hidden_group_size_y
      - .offset:         80
        .size:           2
        .value_kind:     hidden_group_size_z
      - .offset:         82
        .size:           2
        .value_kind:     hidden_remainder_x
      - .offset:         84
        .size:           2
        .value_kind:     hidden_remainder_y
      - .offset:         86
        .size:           2
        .value_kind:     hidden_remainder_z
      - .offset:         104
        .size:           8
        .value_kind:     hidden_global_offset_x
      - .offset:         112
        .size:           8
        .value_kind:     hidden_global_offset_y
      - .offset:         120
        .size:           8
        .value_kind:     hidden_global_offset_z
      - .offset:         128
        .size:           2
        .value_kind:     hidden_grid_dims
    .group_segment_fixed_size: 0
    .kernarg_segment_align: 8
    .kernarg_segment_size: 320
    .language:       OpenCL C
    .language_version:
      - 2
      - 0
    .max_flat_workgroup_size: 256
    .name:           _ZN7rocprim17ROCPRIM_400000_NS6detail25reduce_by_key_init_kernelINS1_19lookback_scan_stateINS0_5tupleIJjlEEELb1ELb0EEElNS1_16block_id_wrapperIjLb1EEEEEvT_jbjPmPT0_T1_
    .private_segment_fixed_size: 0
    .sgpr_count:     22
    .sgpr_spill_count: 0
    .symbol:         _ZN7rocprim17ROCPRIM_400000_NS6detail25reduce_by_key_init_kernelINS1_19lookback_scan_stateINS0_5tupleIJjlEEELb1ELb0EEElNS1_16block_id_wrapperIjLb1EEEEEvT_jbjPmPT0_T1_.kd
    .uniform_work_group_size: 1
    .uses_dynamic_stack: false
    .vgpr_count:     7
    .vgpr_spill_count: 0
    .wavefront_size: 32
    .workgroup_processor_mode: 1
  - .args:
      - .offset:         0
        .size:           152
        .value_kind:     by_value
    .group_segment_fixed_size: 0
    .kernarg_segment_align: 8
    .kernarg_segment_size: 152
    .language:       OpenCL C
    .language_version:
      - 2
      - 0
    .max_flat_workgroup_size: 256
    .name:           _ZN7rocprim17ROCPRIM_400000_NS6detail17trampoline_kernelINS0_14default_configENS1_29reduce_by_key_config_selectorIllN6thrust23THRUST_200600_302600_NS4plusIlEEEEZZNS1_33reduce_by_key_impl_wrapped_configILNS1_25lookback_scan_determinismE0ES3_S9_NS6_18transform_iteratorI6div_opNS6_17counting_iteratorIlNS6_11use_defaultESF_SF_EESF_SF_EENSC_I6mod_opSG_SF_SF_EENS6_6detail15normal_iteratorINS6_10device_ptrIlEEEESO_PmS8_NS6_8equal_toIlEEEE10hipError_tPvRmT2_T3_mT4_T5_T6_T7_T8_P12ihipStream_tbENKUlT_T0_E_clISt17integral_constantIbLb1EES19_EEDaS14_S15_EUlS14_E_NS1_11comp_targetILNS1_3genE0ELNS1_11target_archE4294967295ELNS1_3gpuE0ELNS1_3repE0EEENS1_30default_config_static_selectorELNS0_4arch9wavefront6targetE0EEEvT1_
    .private_segment_fixed_size: 0
    .sgpr_count:     0
    .sgpr_spill_count: 0
    .symbol:         _ZN7rocprim17ROCPRIM_400000_NS6detail17trampoline_kernelINS0_14default_configENS1_29reduce_by_key_config_selectorIllN6thrust23THRUST_200600_302600_NS4plusIlEEEEZZNS1_33reduce_by_key_impl_wrapped_configILNS1_25lookback_scan_determinismE0ES3_S9_NS6_18transform_iteratorI6div_opNS6_17counting_iteratorIlNS6_11use_defaultESF_SF_EESF_SF_EENSC_I6mod_opSG_SF_SF_EENS6_6detail15normal_iteratorINS6_10device_ptrIlEEEESO_PmS8_NS6_8equal_toIlEEEE10hipError_tPvRmT2_T3_mT4_T5_T6_T7_T8_P12ihipStream_tbENKUlT_T0_E_clISt17integral_constantIbLb1EES19_EEDaS14_S15_EUlS14_E_NS1_11comp_targetILNS1_3genE0ELNS1_11target_archE4294967295ELNS1_3gpuE0ELNS1_3repE0EEENS1_30default_config_static_selectorELNS0_4arch9wavefront6targetE0EEEvT1_.kd
    .uniform_work_group_size: 1
    .uses_dynamic_stack: false
    .vgpr_count:     0
    .vgpr_spill_count: 0
    .wavefront_size: 32
    .workgroup_processor_mode: 1
  - .args:
      - .offset:         0
        .size:           152
        .value_kind:     by_value
    .group_segment_fixed_size: 0
    .kernarg_segment_align: 8
    .kernarg_segment_size: 152
    .language:       OpenCL C
    .language_version:
      - 2
      - 0
    .max_flat_workgroup_size: 256
    .name:           _ZN7rocprim17ROCPRIM_400000_NS6detail17trampoline_kernelINS0_14default_configENS1_29reduce_by_key_config_selectorIllN6thrust23THRUST_200600_302600_NS4plusIlEEEEZZNS1_33reduce_by_key_impl_wrapped_configILNS1_25lookback_scan_determinismE0ES3_S9_NS6_18transform_iteratorI6div_opNS6_17counting_iteratorIlNS6_11use_defaultESF_SF_EESF_SF_EENSC_I6mod_opSG_SF_SF_EENS6_6detail15normal_iteratorINS6_10device_ptrIlEEEESO_PmS8_NS6_8equal_toIlEEEE10hipError_tPvRmT2_T3_mT4_T5_T6_T7_T8_P12ihipStream_tbENKUlT_T0_E_clISt17integral_constantIbLb1EES19_EEDaS14_S15_EUlS14_E_NS1_11comp_targetILNS1_3genE5ELNS1_11target_archE942ELNS1_3gpuE9ELNS1_3repE0EEENS1_30default_config_static_selectorELNS0_4arch9wavefront6targetE0EEEvT1_
    .private_segment_fixed_size: 0
    .sgpr_count:     0
    .sgpr_spill_count: 0
    .symbol:         _ZN7rocprim17ROCPRIM_400000_NS6detail17trampoline_kernelINS0_14default_configENS1_29reduce_by_key_config_selectorIllN6thrust23THRUST_200600_302600_NS4plusIlEEEEZZNS1_33reduce_by_key_impl_wrapped_configILNS1_25lookback_scan_determinismE0ES3_S9_NS6_18transform_iteratorI6div_opNS6_17counting_iteratorIlNS6_11use_defaultESF_SF_EESF_SF_EENSC_I6mod_opSG_SF_SF_EENS6_6detail15normal_iteratorINS6_10device_ptrIlEEEESO_PmS8_NS6_8equal_toIlEEEE10hipError_tPvRmT2_T3_mT4_T5_T6_T7_T8_P12ihipStream_tbENKUlT_T0_E_clISt17integral_constantIbLb1EES19_EEDaS14_S15_EUlS14_E_NS1_11comp_targetILNS1_3genE5ELNS1_11target_archE942ELNS1_3gpuE9ELNS1_3repE0EEENS1_30default_config_static_selectorELNS0_4arch9wavefront6targetE0EEEvT1_.kd
    .uniform_work_group_size: 1
    .uses_dynamic_stack: false
    .vgpr_count:     0
    .vgpr_spill_count: 0
    .wavefront_size: 32
    .workgroup_processor_mode: 1
  - .args:
      - .offset:         0
        .size:           152
        .value_kind:     by_value
    .group_segment_fixed_size: 0
    .kernarg_segment_align: 8
    .kernarg_segment_size: 152
    .language:       OpenCL C
    .language_version:
      - 2
      - 0
    .max_flat_workgroup_size: 256
    .name:           _ZN7rocprim17ROCPRIM_400000_NS6detail17trampoline_kernelINS0_14default_configENS1_29reduce_by_key_config_selectorIllN6thrust23THRUST_200600_302600_NS4plusIlEEEEZZNS1_33reduce_by_key_impl_wrapped_configILNS1_25lookback_scan_determinismE0ES3_S9_NS6_18transform_iteratorI6div_opNS6_17counting_iteratorIlNS6_11use_defaultESF_SF_EESF_SF_EENSC_I6mod_opSG_SF_SF_EENS6_6detail15normal_iteratorINS6_10device_ptrIlEEEESO_PmS8_NS6_8equal_toIlEEEE10hipError_tPvRmT2_T3_mT4_T5_T6_T7_T8_P12ihipStream_tbENKUlT_T0_E_clISt17integral_constantIbLb1EES19_EEDaS14_S15_EUlS14_E_NS1_11comp_targetILNS1_3genE4ELNS1_11target_archE910ELNS1_3gpuE8ELNS1_3repE0EEENS1_30default_config_static_selectorELNS0_4arch9wavefront6targetE0EEEvT1_
    .private_segment_fixed_size: 0
    .sgpr_count:     0
    .sgpr_spill_count: 0
    .symbol:         _ZN7rocprim17ROCPRIM_400000_NS6detail17trampoline_kernelINS0_14default_configENS1_29reduce_by_key_config_selectorIllN6thrust23THRUST_200600_302600_NS4plusIlEEEEZZNS1_33reduce_by_key_impl_wrapped_configILNS1_25lookback_scan_determinismE0ES3_S9_NS6_18transform_iteratorI6div_opNS6_17counting_iteratorIlNS6_11use_defaultESF_SF_EESF_SF_EENSC_I6mod_opSG_SF_SF_EENS6_6detail15normal_iteratorINS6_10device_ptrIlEEEESO_PmS8_NS6_8equal_toIlEEEE10hipError_tPvRmT2_T3_mT4_T5_T6_T7_T8_P12ihipStream_tbENKUlT_T0_E_clISt17integral_constantIbLb1EES19_EEDaS14_S15_EUlS14_E_NS1_11comp_targetILNS1_3genE4ELNS1_11target_archE910ELNS1_3gpuE8ELNS1_3repE0EEENS1_30default_config_static_selectorELNS0_4arch9wavefront6targetE0EEEvT1_.kd
    .uniform_work_group_size: 1
    .uses_dynamic_stack: false
    .vgpr_count:     0
    .vgpr_spill_count: 0
    .wavefront_size: 32
    .workgroup_processor_mode: 1
  - .args:
      - .offset:         0
        .size:           152
        .value_kind:     by_value
    .group_segment_fixed_size: 0
    .kernarg_segment_align: 8
    .kernarg_segment_size: 152
    .language:       OpenCL C
    .language_version:
      - 2
      - 0
    .max_flat_workgroup_size: 256
    .name:           _ZN7rocprim17ROCPRIM_400000_NS6detail17trampoline_kernelINS0_14default_configENS1_29reduce_by_key_config_selectorIllN6thrust23THRUST_200600_302600_NS4plusIlEEEEZZNS1_33reduce_by_key_impl_wrapped_configILNS1_25lookback_scan_determinismE0ES3_S9_NS6_18transform_iteratorI6div_opNS6_17counting_iteratorIlNS6_11use_defaultESF_SF_EESF_SF_EENSC_I6mod_opSG_SF_SF_EENS6_6detail15normal_iteratorINS6_10device_ptrIlEEEESO_PmS8_NS6_8equal_toIlEEEE10hipError_tPvRmT2_T3_mT4_T5_T6_T7_T8_P12ihipStream_tbENKUlT_T0_E_clISt17integral_constantIbLb1EES19_EEDaS14_S15_EUlS14_E_NS1_11comp_targetILNS1_3genE3ELNS1_11target_archE908ELNS1_3gpuE7ELNS1_3repE0EEENS1_30default_config_static_selectorELNS0_4arch9wavefront6targetE0EEEvT1_
    .private_segment_fixed_size: 0
    .sgpr_count:     0
    .sgpr_spill_count: 0
    .symbol:         _ZN7rocprim17ROCPRIM_400000_NS6detail17trampoline_kernelINS0_14default_configENS1_29reduce_by_key_config_selectorIllN6thrust23THRUST_200600_302600_NS4plusIlEEEEZZNS1_33reduce_by_key_impl_wrapped_configILNS1_25lookback_scan_determinismE0ES3_S9_NS6_18transform_iteratorI6div_opNS6_17counting_iteratorIlNS6_11use_defaultESF_SF_EESF_SF_EENSC_I6mod_opSG_SF_SF_EENS6_6detail15normal_iteratorINS6_10device_ptrIlEEEESO_PmS8_NS6_8equal_toIlEEEE10hipError_tPvRmT2_T3_mT4_T5_T6_T7_T8_P12ihipStream_tbENKUlT_T0_E_clISt17integral_constantIbLb1EES19_EEDaS14_S15_EUlS14_E_NS1_11comp_targetILNS1_3genE3ELNS1_11target_archE908ELNS1_3gpuE7ELNS1_3repE0EEENS1_30default_config_static_selectorELNS0_4arch9wavefront6targetE0EEEvT1_.kd
    .uniform_work_group_size: 1
    .uses_dynamic_stack: false
    .vgpr_count:     0
    .vgpr_spill_count: 0
    .wavefront_size: 32
    .workgroup_processor_mode: 1
  - .args:
      - .offset:         0
        .size:           152
        .value_kind:     by_value
    .group_segment_fixed_size: 0
    .kernarg_segment_align: 8
    .kernarg_segment_size: 152
    .language:       OpenCL C
    .language_version:
      - 2
      - 0
    .max_flat_workgroup_size: 256
    .name:           _ZN7rocprim17ROCPRIM_400000_NS6detail17trampoline_kernelINS0_14default_configENS1_29reduce_by_key_config_selectorIllN6thrust23THRUST_200600_302600_NS4plusIlEEEEZZNS1_33reduce_by_key_impl_wrapped_configILNS1_25lookback_scan_determinismE0ES3_S9_NS6_18transform_iteratorI6div_opNS6_17counting_iteratorIlNS6_11use_defaultESF_SF_EESF_SF_EENSC_I6mod_opSG_SF_SF_EENS6_6detail15normal_iteratorINS6_10device_ptrIlEEEESO_PmS8_NS6_8equal_toIlEEEE10hipError_tPvRmT2_T3_mT4_T5_T6_T7_T8_P12ihipStream_tbENKUlT_T0_E_clISt17integral_constantIbLb1EES19_EEDaS14_S15_EUlS14_E_NS1_11comp_targetILNS1_3genE2ELNS1_11target_archE906ELNS1_3gpuE6ELNS1_3repE0EEENS1_30default_config_static_selectorELNS0_4arch9wavefront6targetE0EEEvT1_
    .private_segment_fixed_size: 0
    .sgpr_count:     0
    .sgpr_spill_count: 0
    .symbol:         _ZN7rocprim17ROCPRIM_400000_NS6detail17trampoline_kernelINS0_14default_configENS1_29reduce_by_key_config_selectorIllN6thrust23THRUST_200600_302600_NS4plusIlEEEEZZNS1_33reduce_by_key_impl_wrapped_configILNS1_25lookback_scan_determinismE0ES3_S9_NS6_18transform_iteratorI6div_opNS6_17counting_iteratorIlNS6_11use_defaultESF_SF_EESF_SF_EENSC_I6mod_opSG_SF_SF_EENS6_6detail15normal_iteratorINS6_10device_ptrIlEEEESO_PmS8_NS6_8equal_toIlEEEE10hipError_tPvRmT2_T3_mT4_T5_T6_T7_T8_P12ihipStream_tbENKUlT_T0_E_clISt17integral_constantIbLb1EES19_EEDaS14_S15_EUlS14_E_NS1_11comp_targetILNS1_3genE2ELNS1_11target_archE906ELNS1_3gpuE6ELNS1_3repE0EEENS1_30default_config_static_selectorELNS0_4arch9wavefront6targetE0EEEvT1_.kd
    .uniform_work_group_size: 1
    .uses_dynamic_stack: false
    .vgpr_count:     0
    .vgpr_spill_count: 0
    .wavefront_size: 32
    .workgroup_processor_mode: 1
  - .args:
      - .offset:         0
        .size:           152
        .value_kind:     by_value
    .group_segment_fixed_size: 0
    .kernarg_segment_align: 8
    .kernarg_segment_size: 152
    .language:       OpenCL C
    .language_version:
      - 2
      - 0
    .max_flat_workgroup_size: 256
    .name:           _ZN7rocprim17ROCPRIM_400000_NS6detail17trampoline_kernelINS0_14default_configENS1_29reduce_by_key_config_selectorIllN6thrust23THRUST_200600_302600_NS4plusIlEEEEZZNS1_33reduce_by_key_impl_wrapped_configILNS1_25lookback_scan_determinismE0ES3_S9_NS6_18transform_iteratorI6div_opNS6_17counting_iteratorIlNS6_11use_defaultESF_SF_EESF_SF_EENSC_I6mod_opSG_SF_SF_EENS6_6detail15normal_iteratorINS6_10device_ptrIlEEEESO_PmS8_NS6_8equal_toIlEEEE10hipError_tPvRmT2_T3_mT4_T5_T6_T7_T8_P12ihipStream_tbENKUlT_T0_E_clISt17integral_constantIbLb1EES19_EEDaS14_S15_EUlS14_E_NS1_11comp_targetILNS1_3genE10ELNS1_11target_archE1201ELNS1_3gpuE5ELNS1_3repE0EEENS1_30default_config_static_selectorELNS0_4arch9wavefront6targetE0EEEvT1_
    .private_segment_fixed_size: 0
    .sgpr_count:     0
    .sgpr_spill_count: 0
    .symbol:         _ZN7rocprim17ROCPRIM_400000_NS6detail17trampoline_kernelINS0_14default_configENS1_29reduce_by_key_config_selectorIllN6thrust23THRUST_200600_302600_NS4plusIlEEEEZZNS1_33reduce_by_key_impl_wrapped_configILNS1_25lookback_scan_determinismE0ES3_S9_NS6_18transform_iteratorI6div_opNS6_17counting_iteratorIlNS6_11use_defaultESF_SF_EESF_SF_EENSC_I6mod_opSG_SF_SF_EENS6_6detail15normal_iteratorINS6_10device_ptrIlEEEESO_PmS8_NS6_8equal_toIlEEEE10hipError_tPvRmT2_T3_mT4_T5_T6_T7_T8_P12ihipStream_tbENKUlT_T0_E_clISt17integral_constantIbLb1EES19_EEDaS14_S15_EUlS14_E_NS1_11comp_targetILNS1_3genE10ELNS1_11target_archE1201ELNS1_3gpuE5ELNS1_3repE0EEENS1_30default_config_static_selectorELNS0_4arch9wavefront6targetE0EEEvT1_.kd
    .uniform_work_group_size: 1
    .uses_dynamic_stack: false
    .vgpr_count:     0
    .vgpr_spill_count: 0
    .wavefront_size: 32
    .workgroup_processor_mode: 1
  - .args:
      - .offset:         0
        .size:           152
        .value_kind:     by_value
    .group_segment_fixed_size: 0
    .kernarg_segment_align: 8
    .kernarg_segment_size: 152
    .language:       OpenCL C
    .language_version:
      - 2
      - 0
    .max_flat_workgroup_size: 256
    .name:           _ZN7rocprim17ROCPRIM_400000_NS6detail17trampoline_kernelINS0_14default_configENS1_29reduce_by_key_config_selectorIllN6thrust23THRUST_200600_302600_NS4plusIlEEEEZZNS1_33reduce_by_key_impl_wrapped_configILNS1_25lookback_scan_determinismE0ES3_S9_NS6_18transform_iteratorI6div_opNS6_17counting_iteratorIlNS6_11use_defaultESF_SF_EESF_SF_EENSC_I6mod_opSG_SF_SF_EENS6_6detail15normal_iteratorINS6_10device_ptrIlEEEESO_PmS8_NS6_8equal_toIlEEEE10hipError_tPvRmT2_T3_mT4_T5_T6_T7_T8_P12ihipStream_tbENKUlT_T0_E_clISt17integral_constantIbLb1EES19_EEDaS14_S15_EUlS14_E_NS1_11comp_targetILNS1_3genE10ELNS1_11target_archE1200ELNS1_3gpuE4ELNS1_3repE0EEENS1_30default_config_static_selectorELNS0_4arch9wavefront6targetE0EEEvT1_
    .private_segment_fixed_size: 0
    .sgpr_count:     0
    .sgpr_spill_count: 0
    .symbol:         _ZN7rocprim17ROCPRIM_400000_NS6detail17trampoline_kernelINS0_14default_configENS1_29reduce_by_key_config_selectorIllN6thrust23THRUST_200600_302600_NS4plusIlEEEEZZNS1_33reduce_by_key_impl_wrapped_configILNS1_25lookback_scan_determinismE0ES3_S9_NS6_18transform_iteratorI6div_opNS6_17counting_iteratorIlNS6_11use_defaultESF_SF_EESF_SF_EENSC_I6mod_opSG_SF_SF_EENS6_6detail15normal_iteratorINS6_10device_ptrIlEEEESO_PmS8_NS6_8equal_toIlEEEE10hipError_tPvRmT2_T3_mT4_T5_T6_T7_T8_P12ihipStream_tbENKUlT_T0_E_clISt17integral_constantIbLb1EES19_EEDaS14_S15_EUlS14_E_NS1_11comp_targetILNS1_3genE10ELNS1_11target_archE1200ELNS1_3gpuE4ELNS1_3repE0EEENS1_30default_config_static_selectorELNS0_4arch9wavefront6targetE0EEEvT1_.kd
    .uniform_work_group_size: 1
    .uses_dynamic_stack: false
    .vgpr_count:     0
    .vgpr_spill_count: 0
    .wavefront_size: 32
    .workgroup_processor_mode: 1
  - .args:
      - .offset:         0
        .size:           152
        .value_kind:     by_value
    .group_segment_fixed_size: 30720
    .kernarg_segment_align: 8
    .kernarg_segment_size: 152
    .language:       OpenCL C
    .language_version:
      - 2
      - 0
    .max_flat_workgroup_size: 256
    .name:           _ZN7rocprim17ROCPRIM_400000_NS6detail17trampoline_kernelINS0_14default_configENS1_29reduce_by_key_config_selectorIllN6thrust23THRUST_200600_302600_NS4plusIlEEEEZZNS1_33reduce_by_key_impl_wrapped_configILNS1_25lookback_scan_determinismE0ES3_S9_NS6_18transform_iteratorI6div_opNS6_17counting_iteratorIlNS6_11use_defaultESF_SF_EESF_SF_EENSC_I6mod_opSG_SF_SF_EENS6_6detail15normal_iteratorINS6_10device_ptrIlEEEESO_PmS8_NS6_8equal_toIlEEEE10hipError_tPvRmT2_T3_mT4_T5_T6_T7_T8_P12ihipStream_tbENKUlT_T0_E_clISt17integral_constantIbLb1EES19_EEDaS14_S15_EUlS14_E_NS1_11comp_targetILNS1_3genE9ELNS1_11target_archE1100ELNS1_3gpuE3ELNS1_3repE0EEENS1_30default_config_static_selectorELNS0_4arch9wavefront6targetE0EEEvT1_
    .private_segment_fixed_size: 0
    .sgpr_count:     70
    .sgpr_spill_count: 0
    .symbol:         _ZN7rocprim17ROCPRIM_400000_NS6detail17trampoline_kernelINS0_14default_configENS1_29reduce_by_key_config_selectorIllN6thrust23THRUST_200600_302600_NS4plusIlEEEEZZNS1_33reduce_by_key_impl_wrapped_configILNS1_25lookback_scan_determinismE0ES3_S9_NS6_18transform_iteratorI6div_opNS6_17counting_iteratorIlNS6_11use_defaultESF_SF_EESF_SF_EENSC_I6mod_opSG_SF_SF_EENS6_6detail15normal_iteratorINS6_10device_ptrIlEEEESO_PmS8_NS6_8equal_toIlEEEE10hipError_tPvRmT2_T3_mT4_T5_T6_T7_T8_P12ihipStream_tbENKUlT_T0_E_clISt17integral_constantIbLb1EES19_EEDaS14_S15_EUlS14_E_NS1_11comp_targetILNS1_3genE9ELNS1_11target_archE1100ELNS1_3gpuE3ELNS1_3repE0EEENS1_30default_config_static_selectorELNS0_4arch9wavefront6targetE0EEEvT1_.kd
    .uniform_work_group_size: 1
    .uses_dynamic_stack: false
    .vgpr_count:     121
    .vgpr_spill_count: 0
    .wavefront_size: 32
    .workgroup_processor_mode: 1
  - .args:
      - .offset:         0
        .size:           152
        .value_kind:     by_value
    .group_segment_fixed_size: 0
    .kernarg_segment_align: 8
    .kernarg_segment_size: 152
    .language:       OpenCL C
    .language_version:
      - 2
      - 0
    .max_flat_workgroup_size: 256
    .name:           _ZN7rocprim17ROCPRIM_400000_NS6detail17trampoline_kernelINS0_14default_configENS1_29reduce_by_key_config_selectorIllN6thrust23THRUST_200600_302600_NS4plusIlEEEEZZNS1_33reduce_by_key_impl_wrapped_configILNS1_25lookback_scan_determinismE0ES3_S9_NS6_18transform_iteratorI6div_opNS6_17counting_iteratorIlNS6_11use_defaultESF_SF_EESF_SF_EENSC_I6mod_opSG_SF_SF_EENS6_6detail15normal_iteratorINS6_10device_ptrIlEEEESO_PmS8_NS6_8equal_toIlEEEE10hipError_tPvRmT2_T3_mT4_T5_T6_T7_T8_P12ihipStream_tbENKUlT_T0_E_clISt17integral_constantIbLb1EES19_EEDaS14_S15_EUlS14_E_NS1_11comp_targetILNS1_3genE8ELNS1_11target_archE1030ELNS1_3gpuE2ELNS1_3repE0EEENS1_30default_config_static_selectorELNS0_4arch9wavefront6targetE0EEEvT1_
    .private_segment_fixed_size: 0
    .sgpr_count:     0
    .sgpr_spill_count: 0
    .symbol:         _ZN7rocprim17ROCPRIM_400000_NS6detail17trampoline_kernelINS0_14default_configENS1_29reduce_by_key_config_selectorIllN6thrust23THRUST_200600_302600_NS4plusIlEEEEZZNS1_33reduce_by_key_impl_wrapped_configILNS1_25lookback_scan_determinismE0ES3_S9_NS6_18transform_iteratorI6div_opNS6_17counting_iteratorIlNS6_11use_defaultESF_SF_EESF_SF_EENSC_I6mod_opSG_SF_SF_EENS6_6detail15normal_iteratorINS6_10device_ptrIlEEEESO_PmS8_NS6_8equal_toIlEEEE10hipError_tPvRmT2_T3_mT4_T5_T6_T7_T8_P12ihipStream_tbENKUlT_T0_E_clISt17integral_constantIbLb1EES19_EEDaS14_S15_EUlS14_E_NS1_11comp_targetILNS1_3genE8ELNS1_11target_archE1030ELNS1_3gpuE2ELNS1_3repE0EEENS1_30default_config_static_selectorELNS0_4arch9wavefront6targetE0EEEvT1_.kd
    .uniform_work_group_size: 1
    .uses_dynamic_stack: false
    .vgpr_count:     0
    .vgpr_spill_count: 0
    .wavefront_size: 32
    .workgroup_processor_mode: 1
  - .args:
      - .offset:         0
        .size:           24
        .value_kind:     by_value
      - .offset:         24
        .size:           4
        .value_kind:     by_value
      - .offset:         28
        .size:           1
        .value_kind:     by_value
      - .offset:         32
        .size:           4
        .value_kind:     by_value
      - .address_space:  global
        .offset:         40
        .size:           8
        .value_kind:     global_buffer
      - .address_space:  global
        .offset:         48
        .size:           8
        .value_kind:     global_buffer
      - .offset:         56
        .size:           1
        .value_kind:     by_value
      - .offset:         64
        .size:           4
        .value_kind:     hidden_block_count_x
      - .offset:         68
        .size:           4
        .value_kind:     hidden_block_count_y
      - .offset:         72
        .size:           4
        .value_kind:     hidden_block_count_z
      - .offset:         76
        .size:           2
        .value_kind:     hidden_group_size_x
      - .offset:         78
        .size:           2
        .value_kind:     hidden_group_size_y
      - .offset:         80
        .size:           2
        .value_kind:     hidden_group_size_z
      - .offset:         82
        .size:           2
        .value_kind:     hidden_remainder_x
      - .offset:         84
        .size:           2
        .value_kind:     hidden_remainder_y
      - .offset:         86
        .size:           2
        .value_kind:     hidden_remainder_z
      - .offset:         104
        .size:           8
        .value_kind:     hidden_global_offset_x
      - .offset:         112
        .size:           8
        .value_kind:     hidden_global_offset_y
      - .offset:         120
        .size:           8
        .value_kind:     hidden_global_offset_z
      - .offset:         128
        .size:           2
        .value_kind:     hidden_grid_dims
    .group_segment_fixed_size: 0
    .kernarg_segment_align: 8
    .kernarg_segment_size: 320
    .language:       OpenCL C
    .language_version:
      - 2
      - 0
    .max_flat_workgroup_size: 256
    .name:           _ZN7rocprim17ROCPRIM_400000_NS6detail25reduce_by_key_init_kernelINS1_19lookback_scan_stateINS0_5tupleIJjlEEELb1ELb0EEElNS1_16block_id_wrapperIjLb0EEEEEvT_jbjPmPT0_T1_
    .private_segment_fixed_size: 0
    .sgpr_count:     20
    .sgpr_spill_count: 0
    .symbol:         _ZN7rocprim17ROCPRIM_400000_NS6detail25reduce_by_key_init_kernelINS1_19lookback_scan_stateINS0_5tupleIJjlEEELb1ELb0EEElNS1_16block_id_wrapperIjLb0EEEEEvT_jbjPmPT0_T1_.kd
    .uniform_work_group_size: 1
    .uses_dynamic_stack: false
    .vgpr_count:     7
    .vgpr_spill_count: 0
    .wavefront_size: 32
    .workgroup_processor_mode: 1
  - .args:
      - .offset:         0
        .size:           152
        .value_kind:     by_value
    .group_segment_fixed_size: 0
    .kernarg_segment_align: 8
    .kernarg_segment_size: 152
    .language:       OpenCL C
    .language_version:
      - 2
      - 0
    .max_flat_workgroup_size: 256
    .name:           _ZN7rocprim17ROCPRIM_400000_NS6detail17trampoline_kernelINS0_14default_configENS1_29reduce_by_key_config_selectorIllN6thrust23THRUST_200600_302600_NS4plusIlEEEEZZNS1_33reduce_by_key_impl_wrapped_configILNS1_25lookback_scan_determinismE0ES3_S9_NS6_18transform_iteratorI6div_opNS6_17counting_iteratorIlNS6_11use_defaultESF_SF_EESF_SF_EENSC_I6mod_opSG_SF_SF_EENS6_6detail15normal_iteratorINS6_10device_ptrIlEEEESO_PmS8_NS6_8equal_toIlEEEE10hipError_tPvRmT2_T3_mT4_T5_T6_T7_T8_P12ihipStream_tbENKUlT_T0_E_clISt17integral_constantIbLb1EES18_IbLb0EEEEDaS14_S15_EUlS14_E_NS1_11comp_targetILNS1_3genE0ELNS1_11target_archE4294967295ELNS1_3gpuE0ELNS1_3repE0EEENS1_30default_config_static_selectorELNS0_4arch9wavefront6targetE0EEEvT1_
    .private_segment_fixed_size: 0
    .sgpr_count:     0
    .sgpr_spill_count: 0
    .symbol:         _ZN7rocprim17ROCPRIM_400000_NS6detail17trampoline_kernelINS0_14default_configENS1_29reduce_by_key_config_selectorIllN6thrust23THRUST_200600_302600_NS4plusIlEEEEZZNS1_33reduce_by_key_impl_wrapped_configILNS1_25lookback_scan_determinismE0ES3_S9_NS6_18transform_iteratorI6div_opNS6_17counting_iteratorIlNS6_11use_defaultESF_SF_EESF_SF_EENSC_I6mod_opSG_SF_SF_EENS6_6detail15normal_iteratorINS6_10device_ptrIlEEEESO_PmS8_NS6_8equal_toIlEEEE10hipError_tPvRmT2_T3_mT4_T5_T6_T7_T8_P12ihipStream_tbENKUlT_T0_E_clISt17integral_constantIbLb1EES18_IbLb0EEEEDaS14_S15_EUlS14_E_NS1_11comp_targetILNS1_3genE0ELNS1_11target_archE4294967295ELNS1_3gpuE0ELNS1_3repE0EEENS1_30default_config_static_selectorELNS0_4arch9wavefront6targetE0EEEvT1_.kd
    .uniform_work_group_size: 1
    .uses_dynamic_stack: false
    .vgpr_count:     0
    .vgpr_spill_count: 0
    .wavefront_size: 32
    .workgroup_processor_mode: 1
  - .args:
      - .offset:         0
        .size:           152
        .value_kind:     by_value
    .group_segment_fixed_size: 0
    .kernarg_segment_align: 8
    .kernarg_segment_size: 152
    .language:       OpenCL C
    .language_version:
      - 2
      - 0
    .max_flat_workgroup_size: 256
    .name:           _ZN7rocprim17ROCPRIM_400000_NS6detail17trampoline_kernelINS0_14default_configENS1_29reduce_by_key_config_selectorIllN6thrust23THRUST_200600_302600_NS4plusIlEEEEZZNS1_33reduce_by_key_impl_wrapped_configILNS1_25lookback_scan_determinismE0ES3_S9_NS6_18transform_iteratorI6div_opNS6_17counting_iteratorIlNS6_11use_defaultESF_SF_EESF_SF_EENSC_I6mod_opSG_SF_SF_EENS6_6detail15normal_iteratorINS6_10device_ptrIlEEEESO_PmS8_NS6_8equal_toIlEEEE10hipError_tPvRmT2_T3_mT4_T5_T6_T7_T8_P12ihipStream_tbENKUlT_T0_E_clISt17integral_constantIbLb1EES18_IbLb0EEEEDaS14_S15_EUlS14_E_NS1_11comp_targetILNS1_3genE5ELNS1_11target_archE942ELNS1_3gpuE9ELNS1_3repE0EEENS1_30default_config_static_selectorELNS0_4arch9wavefront6targetE0EEEvT1_
    .private_segment_fixed_size: 0
    .sgpr_count:     0
    .sgpr_spill_count: 0
    .symbol:         _ZN7rocprim17ROCPRIM_400000_NS6detail17trampoline_kernelINS0_14default_configENS1_29reduce_by_key_config_selectorIllN6thrust23THRUST_200600_302600_NS4plusIlEEEEZZNS1_33reduce_by_key_impl_wrapped_configILNS1_25lookback_scan_determinismE0ES3_S9_NS6_18transform_iteratorI6div_opNS6_17counting_iteratorIlNS6_11use_defaultESF_SF_EESF_SF_EENSC_I6mod_opSG_SF_SF_EENS6_6detail15normal_iteratorINS6_10device_ptrIlEEEESO_PmS8_NS6_8equal_toIlEEEE10hipError_tPvRmT2_T3_mT4_T5_T6_T7_T8_P12ihipStream_tbENKUlT_T0_E_clISt17integral_constantIbLb1EES18_IbLb0EEEEDaS14_S15_EUlS14_E_NS1_11comp_targetILNS1_3genE5ELNS1_11target_archE942ELNS1_3gpuE9ELNS1_3repE0EEENS1_30default_config_static_selectorELNS0_4arch9wavefront6targetE0EEEvT1_.kd
    .uniform_work_group_size: 1
    .uses_dynamic_stack: false
    .vgpr_count:     0
    .vgpr_spill_count: 0
    .wavefront_size: 32
    .workgroup_processor_mode: 1
  - .args:
      - .offset:         0
        .size:           152
        .value_kind:     by_value
    .group_segment_fixed_size: 0
    .kernarg_segment_align: 8
    .kernarg_segment_size: 152
    .language:       OpenCL C
    .language_version:
      - 2
      - 0
    .max_flat_workgroup_size: 256
    .name:           _ZN7rocprim17ROCPRIM_400000_NS6detail17trampoline_kernelINS0_14default_configENS1_29reduce_by_key_config_selectorIllN6thrust23THRUST_200600_302600_NS4plusIlEEEEZZNS1_33reduce_by_key_impl_wrapped_configILNS1_25lookback_scan_determinismE0ES3_S9_NS6_18transform_iteratorI6div_opNS6_17counting_iteratorIlNS6_11use_defaultESF_SF_EESF_SF_EENSC_I6mod_opSG_SF_SF_EENS6_6detail15normal_iteratorINS6_10device_ptrIlEEEESO_PmS8_NS6_8equal_toIlEEEE10hipError_tPvRmT2_T3_mT4_T5_T6_T7_T8_P12ihipStream_tbENKUlT_T0_E_clISt17integral_constantIbLb1EES18_IbLb0EEEEDaS14_S15_EUlS14_E_NS1_11comp_targetILNS1_3genE4ELNS1_11target_archE910ELNS1_3gpuE8ELNS1_3repE0EEENS1_30default_config_static_selectorELNS0_4arch9wavefront6targetE0EEEvT1_
    .private_segment_fixed_size: 0
    .sgpr_count:     0
    .sgpr_spill_count: 0
    .symbol:         _ZN7rocprim17ROCPRIM_400000_NS6detail17trampoline_kernelINS0_14default_configENS1_29reduce_by_key_config_selectorIllN6thrust23THRUST_200600_302600_NS4plusIlEEEEZZNS1_33reduce_by_key_impl_wrapped_configILNS1_25lookback_scan_determinismE0ES3_S9_NS6_18transform_iteratorI6div_opNS6_17counting_iteratorIlNS6_11use_defaultESF_SF_EESF_SF_EENSC_I6mod_opSG_SF_SF_EENS6_6detail15normal_iteratorINS6_10device_ptrIlEEEESO_PmS8_NS6_8equal_toIlEEEE10hipError_tPvRmT2_T3_mT4_T5_T6_T7_T8_P12ihipStream_tbENKUlT_T0_E_clISt17integral_constantIbLb1EES18_IbLb0EEEEDaS14_S15_EUlS14_E_NS1_11comp_targetILNS1_3genE4ELNS1_11target_archE910ELNS1_3gpuE8ELNS1_3repE0EEENS1_30default_config_static_selectorELNS0_4arch9wavefront6targetE0EEEvT1_.kd
    .uniform_work_group_size: 1
    .uses_dynamic_stack: false
    .vgpr_count:     0
    .vgpr_spill_count: 0
    .wavefront_size: 32
    .workgroup_processor_mode: 1
  - .args:
      - .offset:         0
        .size:           152
        .value_kind:     by_value
    .group_segment_fixed_size: 0
    .kernarg_segment_align: 8
    .kernarg_segment_size: 152
    .language:       OpenCL C
    .language_version:
      - 2
      - 0
    .max_flat_workgroup_size: 256
    .name:           _ZN7rocprim17ROCPRIM_400000_NS6detail17trampoline_kernelINS0_14default_configENS1_29reduce_by_key_config_selectorIllN6thrust23THRUST_200600_302600_NS4plusIlEEEEZZNS1_33reduce_by_key_impl_wrapped_configILNS1_25lookback_scan_determinismE0ES3_S9_NS6_18transform_iteratorI6div_opNS6_17counting_iteratorIlNS6_11use_defaultESF_SF_EESF_SF_EENSC_I6mod_opSG_SF_SF_EENS6_6detail15normal_iteratorINS6_10device_ptrIlEEEESO_PmS8_NS6_8equal_toIlEEEE10hipError_tPvRmT2_T3_mT4_T5_T6_T7_T8_P12ihipStream_tbENKUlT_T0_E_clISt17integral_constantIbLb1EES18_IbLb0EEEEDaS14_S15_EUlS14_E_NS1_11comp_targetILNS1_3genE3ELNS1_11target_archE908ELNS1_3gpuE7ELNS1_3repE0EEENS1_30default_config_static_selectorELNS0_4arch9wavefront6targetE0EEEvT1_
    .private_segment_fixed_size: 0
    .sgpr_count:     0
    .sgpr_spill_count: 0
    .symbol:         _ZN7rocprim17ROCPRIM_400000_NS6detail17trampoline_kernelINS0_14default_configENS1_29reduce_by_key_config_selectorIllN6thrust23THRUST_200600_302600_NS4plusIlEEEEZZNS1_33reduce_by_key_impl_wrapped_configILNS1_25lookback_scan_determinismE0ES3_S9_NS6_18transform_iteratorI6div_opNS6_17counting_iteratorIlNS6_11use_defaultESF_SF_EESF_SF_EENSC_I6mod_opSG_SF_SF_EENS6_6detail15normal_iteratorINS6_10device_ptrIlEEEESO_PmS8_NS6_8equal_toIlEEEE10hipError_tPvRmT2_T3_mT4_T5_T6_T7_T8_P12ihipStream_tbENKUlT_T0_E_clISt17integral_constantIbLb1EES18_IbLb0EEEEDaS14_S15_EUlS14_E_NS1_11comp_targetILNS1_3genE3ELNS1_11target_archE908ELNS1_3gpuE7ELNS1_3repE0EEENS1_30default_config_static_selectorELNS0_4arch9wavefront6targetE0EEEvT1_.kd
    .uniform_work_group_size: 1
    .uses_dynamic_stack: false
    .vgpr_count:     0
    .vgpr_spill_count: 0
    .wavefront_size: 32
    .workgroup_processor_mode: 1
  - .args:
      - .offset:         0
        .size:           152
        .value_kind:     by_value
    .group_segment_fixed_size: 0
    .kernarg_segment_align: 8
    .kernarg_segment_size: 152
    .language:       OpenCL C
    .language_version:
      - 2
      - 0
    .max_flat_workgroup_size: 256
    .name:           _ZN7rocprim17ROCPRIM_400000_NS6detail17trampoline_kernelINS0_14default_configENS1_29reduce_by_key_config_selectorIllN6thrust23THRUST_200600_302600_NS4plusIlEEEEZZNS1_33reduce_by_key_impl_wrapped_configILNS1_25lookback_scan_determinismE0ES3_S9_NS6_18transform_iteratorI6div_opNS6_17counting_iteratorIlNS6_11use_defaultESF_SF_EESF_SF_EENSC_I6mod_opSG_SF_SF_EENS6_6detail15normal_iteratorINS6_10device_ptrIlEEEESO_PmS8_NS6_8equal_toIlEEEE10hipError_tPvRmT2_T3_mT4_T5_T6_T7_T8_P12ihipStream_tbENKUlT_T0_E_clISt17integral_constantIbLb1EES18_IbLb0EEEEDaS14_S15_EUlS14_E_NS1_11comp_targetILNS1_3genE2ELNS1_11target_archE906ELNS1_3gpuE6ELNS1_3repE0EEENS1_30default_config_static_selectorELNS0_4arch9wavefront6targetE0EEEvT1_
    .private_segment_fixed_size: 0
    .sgpr_count:     0
    .sgpr_spill_count: 0
    .symbol:         _ZN7rocprim17ROCPRIM_400000_NS6detail17trampoline_kernelINS0_14default_configENS1_29reduce_by_key_config_selectorIllN6thrust23THRUST_200600_302600_NS4plusIlEEEEZZNS1_33reduce_by_key_impl_wrapped_configILNS1_25lookback_scan_determinismE0ES3_S9_NS6_18transform_iteratorI6div_opNS6_17counting_iteratorIlNS6_11use_defaultESF_SF_EESF_SF_EENSC_I6mod_opSG_SF_SF_EENS6_6detail15normal_iteratorINS6_10device_ptrIlEEEESO_PmS8_NS6_8equal_toIlEEEE10hipError_tPvRmT2_T3_mT4_T5_T6_T7_T8_P12ihipStream_tbENKUlT_T0_E_clISt17integral_constantIbLb1EES18_IbLb0EEEEDaS14_S15_EUlS14_E_NS1_11comp_targetILNS1_3genE2ELNS1_11target_archE906ELNS1_3gpuE6ELNS1_3repE0EEENS1_30default_config_static_selectorELNS0_4arch9wavefront6targetE0EEEvT1_.kd
    .uniform_work_group_size: 1
    .uses_dynamic_stack: false
    .vgpr_count:     0
    .vgpr_spill_count: 0
    .wavefront_size: 32
    .workgroup_processor_mode: 1
  - .args:
      - .offset:         0
        .size:           152
        .value_kind:     by_value
    .group_segment_fixed_size: 0
    .kernarg_segment_align: 8
    .kernarg_segment_size: 152
    .language:       OpenCL C
    .language_version:
      - 2
      - 0
    .max_flat_workgroup_size: 256
    .name:           _ZN7rocprim17ROCPRIM_400000_NS6detail17trampoline_kernelINS0_14default_configENS1_29reduce_by_key_config_selectorIllN6thrust23THRUST_200600_302600_NS4plusIlEEEEZZNS1_33reduce_by_key_impl_wrapped_configILNS1_25lookback_scan_determinismE0ES3_S9_NS6_18transform_iteratorI6div_opNS6_17counting_iteratorIlNS6_11use_defaultESF_SF_EESF_SF_EENSC_I6mod_opSG_SF_SF_EENS6_6detail15normal_iteratorINS6_10device_ptrIlEEEESO_PmS8_NS6_8equal_toIlEEEE10hipError_tPvRmT2_T3_mT4_T5_T6_T7_T8_P12ihipStream_tbENKUlT_T0_E_clISt17integral_constantIbLb1EES18_IbLb0EEEEDaS14_S15_EUlS14_E_NS1_11comp_targetILNS1_3genE10ELNS1_11target_archE1201ELNS1_3gpuE5ELNS1_3repE0EEENS1_30default_config_static_selectorELNS0_4arch9wavefront6targetE0EEEvT1_
    .private_segment_fixed_size: 0
    .sgpr_count:     0
    .sgpr_spill_count: 0
    .symbol:         _ZN7rocprim17ROCPRIM_400000_NS6detail17trampoline_kernelINS0_14default_configENS1_29reduce_by_key_config_selectorIllN6thrust23THRUST_200600_302600_NS4plusIlEEEEZZNS1_33reduce_by_key_impl_wrapped_configILNS1_25lookback_scan_determinismE0ES3_S9_NS6_18transform_iteratorI6div_opNS6_17counting_iteratorIlNS6_11use_defaultESF_SF_EESF_SF_EENSC_I6mod_opSG_SF_SF_EENS6_6detail15normal_iteratorINS6_10device_ptrIlEEEESO_PmS8_NS6_8equal_toIlEEEE10hipError_tPvRmT2_T3_mT4_T5_T6_T7_T8_P12ihipStream_tbENKUlT_T0_E_clISt17integral_constantIbLb1EES18_IbLb0EEEEDaS14_S15_EUlS14_E_NS1_11comp_targetILNS1_3genE10ELNS1_11target_archE1201ELNS1_3gpuE5ELNS1_3repE0EEENS1_30default_config_static_selectorELNS0_4arch9wavefront6targetE0EEEvT1_.kd
    .uniform_work_group_size: 1
    .uses_dynamic_stack: false
    .vgpr_count:     0
    .vgpr_spill_count: 0
    .wavefront_size: 32
    .workgroup_processor_mode: 1
  - .args:
      - .offset:         0
        .size:           152
        .value_kind:     by_value
    .group_segment_fixed_size: 0
    .kernarg_segment_align: 8
    .kernarg_segment_size: 152
    .language:       OpenCL C
    .language_version:
      - 2
      - 0
    .max_flat_workgroup_size: 256
    .name:           _ZN7rocprim17ROCPRIM_400000_NS6detail17trampoline_kernelINS0_14default_configENS1_29reduce_by_key_config_selectorIllN6thrust23THRUST_200600_302600_NS4plusIlEEEEZZNS1_33reduce_by_key_impl_wrapped_configILNS1_25lookback_scan_determinismE0ES3_S9_NS6_18transform_iteratorI6div_opNS6_17counting_iteratorIlNS6_11use_defaultESF_SF_EESF_SF_EENSC_I6mod_opSG_SF_SF_EENS6_6detail15normal_iteratorINS6_10device_ptrIlEEEESO_PmS8_NS6_8equal_toIlEEEE10hipError_tPvRmT2_T3_mT4_T5_T6_T7_T8_P12ihipStream_tbENKUlT_T0_E_clISt17integral_constantIbLb1EES18_IbLb0EEEEDaS14_S15_EUlS14_E_NS1_11comp_targetILNS1_3genE10ELNS1_11target_archE1200ELNS1_3gpuE4ELNS1_3repE0EEENS1_30default_config_static_selectorELNS0_4arch9wavefront6targetE0EEEvT1_
    .private_segment_fixed_size: 0
    .sgpr_count:     0
    .sgpr_spill_count: 0
    .symbol:         _ZN7rocprim17ROCPRIM_400000_NS6detail17trampoline_kernelINS0_14default_configENS1_29reduce_by_key_config_selectorIllN6thrust23THRUST_200600_302600_NS4plusIlEEEEZZNS1_33reduce_by_key_impl_wrapped_configILNS1_25lookback_scan_determinismE0ES3_S9_NS6_18transform_iteratorI6div_opNS6_17counting_iteratorIlNS6_11use_defaultESF_SF_EESF_SF_EENSC_I6mod_opSG_SF_SF_EENS6_6detail15normal_iteratorINS6_10device_ptrIlEEEESO_PmS8_NS6_8equal_toIlEEEE10hipError_tPvRmT2_T3_mT4_T5_T6_T7_T8_P12ihipStream_tbENKUlT_T0_E_clISt17integral_constantIbLb1EES18_IbLb0EEEEDaS14_S15_EUlS14_E_NS1_11comp_targetILNS1_3genE10ELNS1_11target_archE1200ELNS1_3gpuE4ELNS1_3repE0EEENS1_30default_config_static_selectorELNS0_4arch9wavefront6targetE0EEEvT1_.kd
    .uniform_work_group_size: 1
    .uses_dynamic_stack: false
    .vgpr_count:     0
    .vgpr_spill_count: 0
    .wavefront_size: 32
    .workgroup_processor_mode: 1
  - .args:
      - .offset:         0
        .size:           152
        .value_kind:     by_value
    .group_segment_fixed_size: 30720
    .kernarg_segment_align: 8
    .kernarg_segment_size: 152
    .language:       OpenCL C
    .language_version:
      - 2
      - 0
    .max_flat_workgroup_size: 256
    .name:           _ZN7rocprim17ROCPRIM_400000_NS6detail17trampoline_kernelINS0_14default_configENS1_29reduce_by_key_config_selectorIllN6thrust23THRUST_200600_302600_NS4plusIlEEEEZZNS1_33reduce_by_key_impl_wrapped_configILNS1_25lookback_scan_determinismE0ES3_S9_NS6_18transform_iteratorI6div_opNS6_17counting_iteratorIlNS6_11use_defaultESF_SF_EESF_SF_EENSC_I6mod_opSG_SF_SF_EENS6_6detail15normal_iteratorINS6_10device_ptrIlEEEESO_PmS8_NS6_8equal_toIlEEEE10hipError_tPvRmT2_T3_mT4_T5_T6_T7_T8_P12ihipStream_tbENKUlT_T0_E_clISt17integral_constantIbLb1EES18_IbLb0EEEEDaS14_S15_EUlS14_E_NS1_11comp_targetILNS1_3genE9ELNS1_11target_archE1100ELNS1_3gpuE3ELNS1_3repE0EEENS1_30default_config_static_selectorELNS0_4arch9wavefront6targetE0EEEvT1_
    .private_segment_fixed_size: 0
    .sgpr_count:     70
    .sgpr_spill_count: 0
    .symbol:         _ZN7rocprim17ROCPRIM_400000_NS6detail17trampoline_kernelINS0_14default_configENS1_29reduce_by_key_config_selectorIllN6thrust23THRUST_200600_302600_NS4plusIlEEEEZZNS1_33reduce_by_key_impl_wrapped_configILNS1_25lookback_scan_determinismE0ES3_S9_NS6_18transform_iteratorI6div_opNS6_17counting_iteratorIlNS6_11use_defaultESF_SF_EESF_SF_EENSC_I6mod_opSG_SF_SF_EENS6_6detail15normal_iteratorINS6_10device_ptrIlEEEESO_PmS8_NS6_8equal_toIlEEEE10hipError_tPvRmT2_T3_mT4_T5_T6_T7_T8_P12ihipStream_tbENKUlT_T0_E_clISt17integral_constantIbLb1EES18_IbLb0EEEEDaS14_S15_EUlS14_E_NS1_11comp_targetILNS1_3genE9ELNS1_11target_archE1100ELNS1_3gpuE3ELNS1_3repE0EEENS1_30default_config_static_selectorELNS0_4arch9wavefront6targetE0EEEvT1_.kd
    .uniform_work_group_size: 1
    .uses_dynamic_stack: false
    .vgpr_count:     121
    .vgpr_spill_count: 0
    .wavefront_size: 32
    .workgroup_processor_mode: 1
  - .args:
      - .offset:         0
        .size:           152
        .value_kind:     by_value
    .group_segment_fixed_size: 0
    .kernarg_segment_align: 8
    .kernarg_segment_size: 152
    .language:       OpenCL C
    .language_version:
      - 2
      - 0
    .max_flat_workgroup_size: 256
    .name:           _ZN7rocprim17ROCPRIM_400000_NS6detail17trampoline_kernelINS0_14default_configENS1_29reduce_by_key_config_selectorIllN6thrust23THRUST_200600_302600_NS4plusIlEEEEZZNS1_33reduce_by_key_impl_wrapped_configILNS1_25lookback_scan_determinismE0ES3_S9_NS6_18transform_iteratorI6div_opNS6_17counting_iteratorIlNS6_11use_defaultESF_SF_EESF_SF_EENSC_I6mod_opSG_SF_SF_EENS6_6detail15normal_iteratorINS6_10device_ptrIlEEEESO_PmS8_NS6_8equal_toIlEEEE10hipError_tPvRmT2_T3_mT4_T5_T6_T7_T8_P12ihipStream_tbENKUlT_T0_E_clISt17integral_constantIbLb1EES18_IbLb0EEEEDaS14_S15_EUlS14_E_NS1_11comp_targetILNS1_3genE8ELNS1_11target_archE1030ELNS1_3gpuE2ELNS1_3repE0EEENS1_30default_config_static_selectorELNS0_4arch9wavefront6targetE0EEEvT1_
    .private_segment_fixed_size: 0
    .sgpr_count:     0
    .sgpr_spill_count: 0
    .symbol:         _ZN7rocprim17ROCPRIM_400000_NS6detail17trampoline_kernelINS0_14default_configENS1_29reduce_by_key_config_selectorIllN6thrust23THRUST_200600_302600_NS4plusIlEEEEZZNS1_33reduce_by_key_impl_wrapped_configILNS1_25lookback_scan_determinismE0ES3_S9_NS6_18transform_iteratorI6div_opNS6_17counting_iteratorIlNS6_11use_defaultESF_SF_EESF_SF_EENSC_I6mod_opSG_SF_SF_EENS6_6detail15normal_iteratorINS6_10device_ptrIlEEEESO_PmS8_NS6_8equal_toIlEEEE10hipError_tPvRmT2_T3_mT4_T5_T6_T7_T8_P12ihipStream_tbENKUlT_T0_E_clISt17integral_constantIbLb1EES18_IbLb0EEEEDaS14_S15_EUlS14_E_NS1_11comp_targetILNS1_3genE8ELNS1_11target_archE1030ELNS1_3gpuE2ELNS1_3repE0EEENS1_30default_config_static_selectorELNS0_4arch9wavefront6targetE0EEEvT1_.kd
    .uniform_work_group_size: 1
    .uses_dynamic_stack: false
    .vgpr_count:     0
    .vgpr_spill_count: 0
    .wavefront_size: 32
    .workgroup_processor_mode: 1
  - .args:
      - .offset:         0
        .size:           24
        .value_kind:     by_value
      - .offset:         24
        .size:           4
        .value_kind:     by_value
      - .offset:         28
        .size:           1
        .value_kind:     by_value
      - .offset:         32
        .size:           4
        .value_kind:     by_value
      - .address_space:  global
        .offset:         40
        .size:           8
        .value_kind:     global_buffer
      - .address_space:  global
        .offset:         48
        .size:           8
        .value_kind:     global_buffer
      - .address_space:  global
        .offset:         56
        .size:           8
        .value_kind:     global_buffer
      - .offset:         64
        .size:           4
        .value_kind:     hidden_block_count_x
      - .offset:         68
        .size:           4
        .value_kind:     hidden_block_count_y
      - .offset:         72
        .size:           4
        .value_kind:     hidden_block_count_z
      - .offset:         76
        .size:           2
        .value_kind:     hidden_group_size_x
      - .offset:         78
        .size:           2
        .value_kind:     hidden_group_size_y
      - .offset:         80
        .size:           2
        .value_kind:     hidden_group_size_z
      - .offset:         82
        .size:           2
        .value_kind:     hidden_remainder_x
      - .offset:         84
        .size:           2
        .value_kind:     hidden_remainder_y
      - .offset:         86
        .size:           2
        .value_kind:     hidden_remainder_z
      - .offset:         104
        .size:           8
        .value_kind:     hidden_global_offset_x
      - .offset:         112
        .size:           8
        .value_kind:     hidden_global_offset_y
      - .offset:         120
        .size:           8
        .value_kind:     hidden_global_offset_z
      - .offset:         128
        .size:           2
        .value_kind:     hidden_grid_dims
    .group_segment_fixed_size: 0
    .kernarg_segment_align: 8
    .kernarg_segment_size: 320
    .language:       OpenCL C
    .language_version:
      - 2
      - 0
    .max_flat_workgroup_size: 256
    .name:           _ZN7rocprim17ROCPRIM_400000_NS6detail25reduce_by_key_init_kernelINS1_19lookback_scan_stateINS0_5tupleIJjlEEELb0ELb0EEElNS1_16block_id_wrapperIjLb1EEEEEvT_jbjPmPT0_T1_
    .private_segment_fixed_size: 0
    .sgpr_count:     21
    .sgpr_spill_count: 0
    .symbol:         _ZN7rocprim17ROCPRIM_400000_NS6detail25reduce_by_key_init_kernelINS1_19lookback_scan_stateINS0_5tupleIJjlEEELb0ELb0EEElNS1_16block_id_wrapperIjLb1EEEEEvT_jbjPmPT0_T1_.kd
    .uniform_work_group_size: 1
    .uses_dynamic_stack: false
    .vgpr_count:     7
    .vgpr_spill_count: 0
    .wavefront_size: 32
    .workgroup_processor_mode: 1
  - .args:
      - .offset:         0
        .size:           152
        .value_kind:     by_value
    .group_segment_fixed_size: 0
    .kernarg_segment_align: 8
    .kernarg_segment_size: 152
    .language:       OpenCL C
    .language_version:
      - 2
      - 0
    .max_flat_workgroup_size: 256
    .name:           _ZN7rocprim17ROCPRIM_400000_NS6detail17trampoline_kernelINS0_14default_configENS1_29reduce_by_key_config_selectorIllN6thrust23THRUST_200600_302600_NS4plusIlEEEEZZNS1_33reduce_by_key_impl_wrapped_configILNS1_25lookback_scan_determinismE0ES3_S9_NS6_18transform_iteratorI6div_opNS6_17counting_iteratorIlNS6_11use_defaultESF_SF_EESF_SF_EENSC_I6mod_opSG_SF_SF_EENS6_6detail15normal_iteratorINS6_10device_ptrIlEEEESO_PmS8_NS6_8equal_toIlEEEE10hipError_tPvRmT2_T3_mT4_T5_T6_T7_T8_P12ihipStream_tbENKUlT_T0_E_clISt17integral_constantIbLb0EES18_IbLb1EEEEDaS14_S15_EUlS14_E_NS1_11comp_targetILNS1_3genE0ELNS1_11target_archE4294967295ELNS1_3gpuE0ELNS1_3repE0EEENS1_30default_config_static_selectorELNS0_4arch9wavefront6targetE0EEEvT1_
    .private_segment_fixed_size: 0
    .sgpr_count:     0
    .sgpr_spill_count: 0
    .symbol:         _ZN7rocprim17ROCPRIM_400000_NS6detail17trampoline_kernelINS0_14default_configENS1_29reduce_by_key_config_selectorIllN6thrust23THRUST_200600_302600_NS4plusIlEEEEZZNS1_33reduce_by_key_impl_wrapped_configILNS1_25lookback_scan_determinismE0ES3_S9_NS6_18transform_iteratorI6div_opNS6_17counting_iteratorIlNS6_11use_defaultESF_SF_EESF_SF_EENSC_I6mod_opSG_SF_SF_EENS6_6detail15normal_iteratorINS6_10device_ptrIlEEEESO_PmS8_NS6_8equal_toIlEEEE10hipError_tPvRmT2_T3_mT4_T5_T6_T7_T8_P12ihipStream_tbENKUlT_T0_E_clISt17integral_constantIbLb0EES18_IbLb1EEEEDaS14_S15_EUlS14_E_NS1_11comp_targetILNS1_3genE0ELNS1_11target_archE4294967295ELNS1_3gpuE0ELNS1_3repE0EEENS1_30default_config_static_selectorELNS0_4arch9wavefront6targetE0EEEvT1_.kd
    .uniform_work_group_size: 1
    .uses_dynamic_stack: false
    .vgpr_count:     0
    .vgpr_spill_count: 0
    .wavefront_size: 32
    .workgroup_processor_mode: 1
  - .args:
      - .offset:         0
        .size:           152
        .value_kind:     by_value
    .group_segment_fixed_size: 0
    .kernarg_segment_align: 8
    .kernarg_segment_size: 152
    .language:       OpenCL C
    .language_version:
      - 2
      - 0
    .max_flat_workgroup_size: 256
    .name:           _ZN7rocprim17ROCPRIM_400000_NS6detail17trampoline_kernelINS0_14default_configENS1_29reduce_by_key_config_selectorIllN6thrust23THRUST_200600_302600_NS4plusIlEEEEZZNS1_33reduce_by_key_impl_wrapped_configILNS1_25lookback_scan_determinismE0ES3_S9_NS6_18transform_iteratorI6div_opNS6_17counting_iteratorIlNS6_11use_defaultESF_SF_EESF_SF_EENSC_I6mod_opSG_SF_SF_EENS6_6detail15normal_iteratorINS6_10device_ptrIlEEEESO_PmS8_NS6_8equal_toIlEEEE10hipError_tPvRmT2_T3_mT4_T5_T6_T7_T8_P12ihipStream_tbENKUlT_T0_E_clISt17integral_constantIbLb0EES18_IbLb1EEEEDaS14_S15_EUlS14_E_NS1_11comp_targetILNS1_3genE5ELNS1_11target_archE942ELNS1_3gpuE9ELNS1_3repE0EEENS1_30default_config_static_selectorELNS0_4arch9wavefront6targetE0EEEvT1_
    .private_segment_fixed_size: 0
    .sgpr_count:     0
    .sgpr_spill_count: 0
    .symbol:         _ZN7rocprim17ROCPRIM_400000_NS6detail17trampoline_kernelINS0_14default_configENS1_29reduce_by_key_config_selectorIllN6thrust23THRUST_200600_302600_NS4plusIlEEEEZZNS1_33reduce_by_key_impl_wrapped_configILNS1_25lookback_scan_determinismE0ES3_S9_NS6_18transform_iteratorI6div_opNS6_17counting_iteratorIlNS6_11use_defaultESF_SF_EESF_SF_EENSC_I6mod_opSG_SF_SF_EENS6_6detail15normal_iteratorINS6_10device_ptrIlEEEESO_PmS8_NS6_8equal_toIlEEEE10hipError_tPvRmT2_T3_mT4_T5_T6_T7_T8_P12ihipStream_tbENKUlT_T0_E_clISt17integral_constantIbLb0EES18_IbLb1EEEEDaS14_S15_EUlS14_E_NS1_11comp_targetILNS1_3genE5ELNS1_11target_archE942ELNS1_3gpuE9ELNS1_3repE0EEENS1_30default_config_static_selectorELNS0_4arch9wavefront6targetE0EEEvT1_.kd
    .uniform_work_group_size: 1
    .uses_dynamic_stack: false
    .vgpr_count:     0
    .vgpr_spill_count: 0
    .wavefront_size: 32
    .workgroup_processor_mode: 1
  - .args:
      - .offset:         0
        .size:           152
        .value_kind:     by_value
    .group_segment_fixed_size: 0
    .kernarg_segment_align: 8
    .kernarg_segment_size: 152
    .language:       OpenCL C
    .language_version:
      - 2
      - 0
    .max_flat_workgroup_size: 256
    .name:           _ZN7rocprim17ROCPRIM_400000_NS6detail17trampoline_kernelINS0_14default_configENS1_29reduce_by_key_config_selectorIllN6thrust23THRUST_200600_302600_NS4plusIlEEEEZZNS1_33reduce_by_key_impl_wrapped_configILNS1_25lookback_scan_determinismE0ES3_S9_NS6_18transform_iteratorI6div_opNS6_17counting_iteratorIlNS6_11use_defaultESF_SF_EESF_SF_EENSC_I6mod_opSG_SF_SF_EENS6_6detail15normal_iteratorINS6_10device_ptrIlEEEESO_PmS8_NS6_8equal_toIlEEEE10hipError_tPvRmT2_T3_mT4_T5_T6_T7_T8_P12ihipStream_tbENKUlT_T0_E_clISt17integral_constantIbLb0EES18_IbLb1EEEEDaS14_S15_EUlS14_E_NS1_11comp_targetILNS1_3genE4ELNS1_11target_archE910ELNS1_3gpuE8ELNS1_3repE0EEENS1_30default_config_static_selectorELNS0_4arch9wavefront6targetE0EEEvT1_
    .private_segment_fixed_size: 0
    .sgpr_count:     0
    .sgpr_spill_count: 0
    .symbol:         _ZN7rocprim17ROCPRIM_400000_NS6detail17trampoline_kernelINS0_14default_configENS1_29reduce_by_key_config_selectorIllN6thrust23THRUST_200600_302600_NS4plusIlEEEEZZNS1_33reduce_by_key_impl_wrapped_configILNS1_25lookback_scan_determinismE0ES3_S9_NS6_18transform_iteratorI6div_opNS6_17counting_iteratorIlNS6_11use_defaultESF_SF_EESF_SF_EENSC_I6mod_opSG_SF_SF_EENS6_6detail15normal_iteratorINS6_10device_ptrIlEEEESO_PmS8_NS6_8equal_toIlEEEE10hipError_tPvRmT2_T3_mT4_T5_T6_T7_T8_P12ihipStream_tbENKUlT_T0_E_clISt17integral_constantIbLb0EES18_IbLb1EEEEDaS14_S15_EUlS14_E_NS1_11comp_targetILNS1_3genE4ELNS1_11target_archE910ELNS1_3gpuE8ELNS1_3repE0EEENS1_30default_config_static_selectorELNS0_4arch9wavefront6targetE0EEEvT1_.kd
    .uniform_work_group_size: 1
    .uses_dynamic_stack: false
    .vgpr_count:     0
    .vgpr_spill_count: 0
    .wavefront_size: 32
    .workgroup_processor_mode: 1
  - .args:
      - .offset:         0
        .size:           152
        .value_kind:     by_value
    .group_segment_fixed_size: 0
    .kernarg_segment_align: 8
    .kernarg_segment_size: 152
    .language:       OpenCL C
    .language_version:
      - 2
      - 0
    .max_flat_workgroup_size: 256
    .name:           _ZN7rocprim17ROCPRIM_400000_NS6detail17trampoline_kernelINS0_14default_configENS1_29reduce_by_key_config_selectorIllN6thrust23THRUST_200600_302600_NS4plusIlEEEEZZNS1_33reduce_by_key_impl_wrapped_configILNS1_25lookback_scan_determinismE0ES3_S9_NS6_18transform_iteratorI6div_opNS6_17counting_iteratorIlNS6_11use_defaultESF_SF_EESF_SF_EENSC_I6mod_opSG_SF_SF_EENS6_6detail15normal_iteratorINS6_10device_ptrIlEEEESO_PmS8_NS6_8equal_toIlEEEE10hipError_tPvRmT2_T3_mT4_T5_T6_T7_T8_P12ihipStream_tbENKUlT_T0_E_clISt17integral_constantIbLb0EES18_IbLb1EEEEDaS14_S15_EUlS14_E_NS1_11comp_targetILNS1_3genE3ELNS1_11target_archE908ELNS1_3gpuE7ELNS1_3repE0EEENS1_30default_config_static_selectorELNS0_4arch9wavefront6targetE0EEEvT1_
    .private_segment_fixed_size: 0
    .sgpr_count:     0
    .sgpr_spill_count: 0
    .symbol:         _ZN7rocprim17ROCPRIM_400000_NS6detail17trampoline_kernelINS0_14default_configENS1_29reduce_by_key_config_selectorIllN6thrust23THRUST_200600_302600_NS4plusIlEEEEZZNS1_33reduce_by_key_impl_wrapped_configILNS1_25lookback_scan_determinismE0ES3_S9_NS6_18transform_iteratorI6div_opNS6_17counting_iteratorIlNS6_11use_defaultESF_SF_EESF_SF_EENSC_I6mod_opSG_SF_SF_EENS6_6detail15normal_iteratorINS6_10device_ptrIlEEEESO_PmS8_NS6_8equal_toIlEEEE10hipError_tPvRmT2_T3_mT4_T5_T6_T7_T8_P12ihipStream_tbENKUlT_T0_E_clISt17integral_constantIbLb0EES18_IbLb1EEEEDaS14_S15_EUlS14_E_NS1_11comp_targetILNS1_3genE3ELNS1_11target_archE908ELNS1_3gpuE7ELNS1_3repE0EEENS1_30default_config_static_selectorELNS0_4arch9wavefront6targetE0EEEvT1_.kd
    .uniform_work_group_size: 1
    .uses_dynamic_stack: false
    .vgpr_count:     0
    .vgpr_spill_count: 0
    .wavefront_size: 32
    .workgroup_processor_mode: 1
  - .args:
      - .offset:         0
        .size:           152
        .value_kind:     by_value
    .group_segment_fixed_size: 0
    .kernarg_segment_align: 8
    .kernarg_segment_size: 152
    .language:       OpenCL C
    .language_version:
      - 2
      - 0
    .max_flat_workgroup_size: 256
    .name:           _ZN7rocprim17ROCPRIM_400000_NS6detail17trampoline_kernelINS0_14default_configENS1_29reduce_by_key_config_selectorIllN6thrust23THRUST_200600_302600_NS4plusIlEEEEZZNS1_33reduce_by_key_impl_wrapped_configILNS1_25lookback_scan_determinismE0ES3_S9_NS6_18transform_iteratorI6div_opNS6_17counting_iteratorIlNS6_11use_defaultESF_SF_EESF_SF_EENSC_I6mod_opSG_SF_SF_EENS6_6detail15normal_iteratorINS6_10device_ptrIlEEEESO_PmS8_NS6_8equal_toIlEEEE10hipError_tPvRmT2_T3_mT4_T5_T6_T7_T8_P12ihipStream_tbENKUlT_T0_E_clISt17integral_constantIbLb0EES18_IbLb1EEEEDaS14_S15_EUlS14_E_NS1_11comp_targetILNS1_3genE2ELNS1_11target_archE906ELNS1_3gpuE6ELNS1_3repE0EEENS1_30default_config_static_selectorELNS0_4arch9wavefront6targetE0EEEvT1_
    .private_segment_fixed_size: 0
    .sgpr_count:     0
    .sgpr_spill_count: 0
    .symbol:         _ZN7rocprim17ROCPRIM_400000_NS6detail17trampoline_kernelINS0_14default_configENS1_29reduce_by_key_config_selectorIllN6thrust23THRUST_200600_302600_NS4plusIlEEEEZZNS1_33reduce_by_key_impl_wrapped_configILNS1_25lookback_scan_determinismE0ES3_S9_NS6_18transform_iteratorI6div_opNS6_17counting_iteratorIlNS6_11use_defaultESF_SF_EESF_SF_EENSC_I6mod_opSG_SF_SF_EENS6_6detail15normal_iteratorINS6_10device_ptrIlEEEESO_PmS8_NS6_8equal_toIlEEEE10hipError_tPvRmT2_T3_mT4_T5_T6_T7_T8_P12ihipStream_tbENKUlT_T0_E_clISt17integral_constantIbLb0EES18_IbLb1EEEEDaS14_S15_EUlS14_E_NS1_11comp_targetILNS1_3genE2ELNS1_11target_archE906ELNS1_3gpuE6ELNS1_3repE0EEENS1_30default_config_static_selectorELNS0_4arch9wavefront6targetE0EEEvT1_.kd
    .uniform_work_group_size: 1
    .uses_dynamic_stack: false
    .vgpr_count:     0
    .vgpr_spill_count: 0
    .wavefront_size: 32
    .workgroup_processor_mode: 1
  - .args:
      - .offset:         0
        .size:           152
        .value_kind:     by_value
    .group_segment_fixed_size: 0
    .kernarg_segment_align: 8
    .kernarg_segment_size: 152
    .language:       OpenCL C
    .language_version:
      - 2
      - 0
    .max_flat_workgroup_size: 256
    .name:           _ZN7rocprim17ROCPRIM_400000_NS6detail17trampoline_kernelINS0_14default_configENS1_29reduce_by_key_config_selectorIllN6thrust23THRUST_200600_302600_NS4plusIlEEEEZZNS1_33reduce_by_key_impl_wrapped_configILNS1_25lookback_scan_determinismE0ES3_S9_NS6_18transform_iteratorI6div_opNS6_17counting_iteratorIlNS6_11use_defaultESF_SF_EESF_SF_EENSC_I6mod_opSG_SF_SF_EENS6_6detail15normal_iteratorINS6_10device_ptrIlEEEESO_PmS8_NS6_8equal_toIlEEEE10hipError_tPvRmT2_T3_mT4_T5_T6_T7_T8_P12ihipStream_tbENKUlT_T0_E_clISt17integral_constantIbLb0EES18_IbLb1EEEEDaS14_S15_EUlS14_E_NS1_11comp_targetILNS1_3genE10ELNS1_11target_archE1201ELNS1_3gpuE5ELNS1_3repE0EEENS1_30default_config_static_selectorELNS0_4arch9wavefront6targetE0EEEvT1_
    .private_segment_fixed_size: 0
    .sgpr_count:     0
    .sgpr_spill_count: 0
    .symbol:         _ZN7rocprim17ROCPRIM_400000_NS6detail17trampoline_kernelINS0_14default_configENS1_29reduce_by_key_config_selectorIllN6thrust23THRUST_200600_302600_NS4plusIlEEEEZZNS1_33reduce_by_key_impl_wrapped_configILNS1_25lookback_scan_determinismE0ES3_S9_NS6_18transform_iteratorI6div_opNS6_17counting_iteratorIlNS6_11use_defaultESF_SF_EESF_SF_EENSC_I6mod_opSG_SF_SF_EENS6_6detail15normal_iteratorINS6_10device_ptrIlEEEESO_PmS8_NS6_8equal_toIlEEEE10hipError_tPvRmT2_T3_mT4_T5_T6_T7_T8_P12ihipStream_tbENKUlT_T0_E_clISt17integral_constantIbLb0EES18_IbLb1EEEEDaS14_S15_EUlS14_E_NS1_11comp_targetILNS1_3genE10ELNS1_11target_archE1201ELNS1_3gpuE5ELNS1_3repE0EEENS1_30default_config_static_selectorELNS0_4arch9wavefront6targetE0EEEvT1_.kd
    .uniform_work_group_size: 1
    .uses_dynamic_stack: false
    .vgpr_count:     0
    .vgpr_spill_count: 0
    .wavefront_size: 32
    .workgroup_processor_mode: 1
  - .args:
      - .offset:         0
        .size:           152
        .value_kind:     by_value
    .group_segment_fixed_size: 0
    .kernarg_segment_align: 8
    .kernarg_segment_size: 152
    .language:       OpenCL C
    .language_version:
      - 2
      - 0
    .max_flat_workgroup_size: 256
    .name:           _ZN7rocprim17ROCPRIM_400000_NS6detail17trampoline_kernelINS0_14default_configENS1_29reduce_by_key_config_selectorIllN6thrust23THRUST_200600_302600_NS4plusIlEEEEZZNS1_33reduce_by_key_impl_wrapped_configILNS1_25lookback_scan_determinismE0ES3_S9_NS6_18transform_iteratorI6div_opNS6_17counting_iteratorIlNS6_11use_defaultESF_SF_EESF_SF_EENSC_I6mod_opSG_SF_SF_EENS6_6detail15normal_iteratorINS6_10device_ptrIlEEEESO_PmS8_NS6_8equal_toIlEEEE10hipError_tPvRmT2_T3_mT4_T5_T6_T7_T8_P12ihipStream_tbENKUlT_T0_E_clISt17integral_constantIbLb0EES18_IbLb1EEEEDaS14_S15_EUlS14_E_NS1_11comp_targetILNS1_3genE10ELNS1_11target_archE1200ELNS1_3gpuE4ELNS1_3repE0EEENS1_30default_config_static_selectorELNS0_4arch9wavefront6targetE0EEEvT1_
    .private_segment_fixed_size: 0
    .sgpr_count:     0
    .sgpr_spill_count: 0
    .symbol:         _ZN7rocprim17ROCPRIM_400000_NS6detail17trampoline_kernelINS0_14default_configENS1_29reduce_by_key_config_selectorIllN6thrust23THRUST_200600_302600_NS4plusIlEEEEZZNS1_33reduce_by_key_impl_wrapped_configILNS1_25lookback_scan_determinismE0ES3_S9_NS6_18transform_iteratorI6div_opNS6_17counting_iteratorIlNS6_11use_defaultESF_SF_EESF_SF_EENSC_I6mod_opSG_SF_SF_EENS6_6detail15normal_iteratorINS6_10device_ptrIlEEEESO_PmS8_NS6_8equal_toIlEEEE10hipError_tPvRmT2_T3_mT4_T5_T6_T7_T8_P12ihipStream_tbENKUlT_T0_E_clISt17integral_constantIbLb0EES18_IbLb1EEEEDaS14_S15_EUlS14_E_NS1_11comp_targetILNS1_3genE10ELNS1_11target_archE1200ELNS1_3gpuE4ELNS1_3repE0EEENS1_30default_config_static_selectorELNS0_4arch9wavefront6targetE0EEEvT1_.kd
    .uniform_work_group_size: 1
    .uses_dynamic_stack: false
    .vgpr_count:     0
    .vgpr_spill_count: 0
    .wavefront_size: 32
    .workgroup_processor_mode: 1
  - .args:
      - .offset:         0
        .size:           152
        .value_kind:     by_value
    .group_segment_fixed_size: 30720
    .kernarg_segment_align: 8
    .kernarg_segment_size: 152
    .language:       OpenCL C
    .language_version:
      - 2
      - 0
    .max_flat_workgroup_size: 256
    .name:           _ZN7rocprim17ROCPRIM_400000_NS6detail17trampoline_kernelINS0_14default_configENS1_29reduce_by_key_config_selectorIllN6thrust23THRUST_200600_302600_NS4plusIlEEEEZZNS1_33reduce_by_key_impl_wrapped_configILNS1_25lookback_scan_determinismE0ES3_S9_NS6_18transform_iteratorI6div_opNS6_17counting_iteratorIlNS6_11use_defaultESF_SF_EESF_SF_EENSC_I6mod_opSG_SF_SF_EENS6_6detail15normal_iteratorINS6_10device_ptrIlEEEESO_PmS8_NS6_8equal_toIlEEEE10hipError_tPvRmT2_T3_mT4_T5_T6_T7_T8_P12ihipStream_tbENKUlT_T0_E_clISt17integral_constantIbLb0EES18_IbLb1EEEEDaS14_S15_EUlS14_E_NS1_11comp_targetILNS1_3genE9ELNS1_11target_archE1100ELNS1_3gpuE3ELNS1_3repE0EEENS1_30default_config_static_selectorELNS0_4arch9wavefront6targetE0EEEvT1_
    .private_segment_fixed_size: 0
    .sgpr_count:     70
    .sgpr_spill_count: 0
    .symbol:         _ZN7rocprim17ROCPRIM_400000_NS6detail17trampoline_kernelINS0_14default_configENS1_29reduce_by_key_config_selectorIllN6thrust23THRUST_200600_302600_NS4plusIlEEEEZZNS1_33reduce_by_key_impl_wrapped_configILNS1_25lookback_scan_determinismE0ES3_S9_NS6_18transform_iteratorI6div_opNS6_17counting_iteratorIlNS6_11use_defaultESF_SF_EESF_SF_EENSC_I6mod_opSG_SF_SF_EENS6_6detail15normal_iteratorINS6_10device_ptrIlEEEESO_PmS8_NS6_8equal_toIlEEEE10hipError_tPvRmT2_T3_mT4_T5_T6_T7_T8_P12ihipStream_tbENKUlT_T0_E_clISt17integral_constantIbLb0EES18_IbLb1EEEEDaS14_S15_EUlS14_E_NS1_11comp_targetILNS1_3genE9ELNS1_11target_archE1100ELNS1_3gpuE3ELNS1_3repE0EEENS1_30default_config_static_selectorELNS0_4arch9wavefront6targetE0EEEvT1_.kd
    .uniform_work_group_size: 1
    .uses_dynamic_stack: false
    .vgpr_count:     121
    .vgpr_spill_count: 0
    .wavefront_size: 32
    .workgroup_processor_mode: 1
  - .args:
      - .offset:         0
        .size:           152
        .value_kind:     by_value
    .group_segment_fixed_size: 0
    .kernarg_segment_align: 8
    .kernarg_segment_size: 152
    .language:       OpenCL C
    .language_version:
      - 2
      - 0
    .max_flat_workgroup_size: 256
    .name:           _ZN7rocprim17ROCPRIM_400000_NS6detail17trampoline_kernelINS0_14default_configENS1_29reduce_by_key_config_selectorIllN6thrust23THRUST_200600_302600_NS4plusIlEEEEZZNS1_33reduce_by_key_impl_wrapped_configILNS1_25lookback_scan_determinismE0ES3_S9_NS6_18transform_iteratorI6div_opNS6_17counting_iteratorIlNS6_11use_defaultESF_SF_EESF_SF_EENSC_I6mod_opSG_SF_SF_EENS6_6detail15normal_iteratorINS6_10device_ptrIlEEEESO_PmS8_NS6_8equal_toIlEEEE10hipError_tPvRmT2_T3_mT4_T5_T6_T7_T8_P12ihipStream_tbENKUlT_T0_E_clISt17integral_constantIbLb0EES18_IbLb1EEEEDaS14_S15_EUlS14_E_NS1_11comp_targetILNS1_3genE8ELNS1_11target_archE1030ELNS1_3gpuE2ELNS1_3repE0EEENS1_30default_config_static_selectorELNS0_4arch9wavefront6targetE0EEEvT1_
    .private_segment_fixed_size: 0
    .sgpr_count:     0
    .sgpr_spill_count: 0
    .symbol:         _ZN7rocprim17ROCPRIM_400000_NS6detail17trampoline_kernelINS0_14default_configENS1_29reduce_by_key_config_selectorIllN6thrust23THRUST_200600_302600_NS4plusIlEEEEZZNS1_33reduce_by_key_impl_wrapped_configILNS1_25lookback_scan_determinismE0ES3_S9_NS6_18transform_iteratorI6div_opNS6_17counting_iteratorIlNS6_11use_defaultESF_SF_EESF_SF_EENSC_I6mod_opSG_SF_SF_EENS6_6detail15normal_iteratorINS6_10device_ptrIlEEEESO_PmS8_NS6_8equal_toIlEEEE10hipError_tPvRmT2_T3_mT4_T5_T6_T7_T8_P12ihipStream_tbENKUlT_T0_E_clISt17integral_constantIbLb0EES18_IbLb1EEEEDaS14_S15_EUlS14_E_NS1_11comp_targetILNS1_3genE8ELNS1_11target_archE1030ELNS1_3gpuE2ELNS1_3repE0EEENS1_30default_config_static_selectorELNS0_4arch9wavefront6targetE0EEEvT1_.kd
    .uniform_work_group_size: 1
    .uses_dynamic_stack: false
    .vgpr_count:     0
    .vgpr_spill_count: 0
    .wavefront_size: 32
    .workgroup_processor_mode: 1
  - .args:
      - .offset:         0
        .size:           72
        .value_kind:     by_value
    .group_segment_fixed_size: 0
    .kernarg_segment_align: 8
    .kernarg_segment_size: 72
    .language:       OpenCL C
    .language_version:
      - 2
      - 0
    .max_flat_workgroup_size: 128
    .name:           _ZN7rocprim17ROCPRIM_400000_NS6detail17trampoline_kernelINS0_14default_configENS1_22reduce_config_selectorIN6thrust23THRUST_200600_302600_NS5tupleIblNS6_9null_typeES8_S8_S8_S8_S8_S8_S8_EEEEZNS1_11reduce_implILb1ES3_PS9_SC_S9_NS6_11hip_rocprim9__find_if7functorIS9_EEEE10hipError_tPvRmT1_T2_T3_mT4_P12ihipStream_tbEUlT_E0_NS1_11comp_targetILNS1_3genE0ELNS1_11target_archE4294967295ELNS1_3gpuE0ELNS1_3repE0EEENS1_30default_config_static_selectorELNS0_4arch9wavefront6targetE0EEEvSK_
    .private_segment_fixed_size: 0
    .sgpr_count:     0
    .sgpr_spill_count: 0
    .symbol:         _ZN7rocprim17ROCPRIM_400000_NS6detail17trampoline_kernelINS0_14default_configENS1_22reduce_config_selectorIN6thrust23THRUST_200600_302600_NS5tupleIblNS6_9null_typeES8_S8_S8_S8_S8_S8_S8_EEEEZNS1_11reduce_implILb1ES3_PS9_SC_S9_NS6_11hip_rocprim9__find_if7functorIS9_EEEE10hipError_tPvRmT1_T2_T3_mT4_P12ihipStream_tbEUlT_E0_NS1_11comp_targetILNS1_3genE0ELNS1_11target_archE4294967295ELNS1_3gpuE0ELNS1_3repE0EEENS1_30default_config_static_selectorELNS0_4arch9wavefront6targetE0EEEvSK_.kd
    .uniform_work_group_size: 1
    .uses_dynamic_stack: false
    .vgpr_count:     0
    .vgpr_spill_count: 0
    .wavefront_size: 32
    .workgroup_processor_mode: 1
  - .args:
      - .offset:         0
        .size:           72
        .value_kind:     by_value
    .group_segment_fixed_size: 0
    .kernarg_segment_align: 8
    .kernarg_segment_size: 72
    .language:       OpenCL C
    .language_version:
      - 2
      - 0
    .max_flat_workgroup_size: 256
    .name:           _ZN7rocprim17ROCPRIM_400000_NS6detail17trampoline_kernelINS0_14default_configENS1_22reduce_config_selectorIN6thrust23THRUST_200600_302600_NS5tupleIblNS6_9null_typeES8_S8_S8_S8_S8_S8_S8_EEEEZNS1_11reduce_implILb1ES3_PS9_SC_S9_NS6_11hip_rocprim9__find_if7functorIS9_EEEE10hipError_tPvRmT1_T2_T3_mT4_P12ihipStream_tbEUlT_E0_NS1_11comp_targetILNS1_3genE5ELNS1_11target_archE942ELNS1_3gpuE9ELNS1_3repE0EEENS1_30default_config_static_selectorELNS0_4arch9wavefront6targetE0EEEvSK_
    .private_segment_fixed_size: 0
    .sgpr_count:     0
    .sgpr_spill_count: 0
    .symbol:         _ZN7rocprim17ROCPRIM_400000_NS6detail17trampoline_kernelINS0_14default_configENS1_22reduce_config_selectorIN6thrust23THRUST_200600_302600_NS5tupleIblNS6_9null_typeES8_S8_S8_S8_S8_S8_S8_EEEEZNS1_11reduce_implILb1ES3_PS9_SC_S9_NS6_11hip_rocprim9__find_if7functorIS9_EEEE10hipError_tPvRmT1_T2_T3_mT4_P12ihipStream_tbEUlT_E0_NS1_11comp_targetILNS1_3genE5ELNS1_11target_archE942ELNS1_3gpuE9ELNS1_3repE0EEENS1_30default_config_static_selectorELNS0_4arch9wavefront6targetE0EEEvSK_.kd
    .uniform_work_group_size: 1
    .uses_dynamic_stack: false
    .vgpr_count:     0
    .vgpr_spill_count: 0
    .wavefront_size: 32
    .workgroup_processor_mode: 1
  - .args:
      - .offset:         0
        .size:           72
        .value_kind:     by_value
    .group_segment_fixed_size: 0
    .kernarg_segment_align: 8
    .kernarg_segment_size: 72
    .language:       OpenCL C
    .language_version:
      - 2
      - 0
    .max_flat_workgroup_size: 256
    .name:           _ZN7rocprim17ROCPRIM_400000_NS6detail17trampoline_kernelINS0_14default_configENS1_22reduce_config_selectorIN6thrust23THRUST_200600_302600_NS5tupleIblNS6_9null_typeES8_S8_S8_S8_S8_S8_S8_EEEEZNS1_11reduce_implILb1ES3_PS9_SC_S9_NS6_11hip_rocprim9__find_if7functorIS9_EEEE10hipError_tPvRmT1_T2_T3_mT4_P12ihipStream_tbEUlT_E0_NS1_11comp_targetILNS1_3genE4ELNS1_11target_archE910ELNS1_3gpuE8ELNS1_3repE0EEENS1_30default_config_static_selectorELNS0_4arch9wavefront6targetE0EEEvSK_
    .private_segment_fixed_size: 0
    .sgpr_count:     0
    .sgpr_spill_count: 0
    .symbol:         _ZN7rocprim17ROCPRIM_400000_NS6detail17trampoline_kernelINS0_14default_configENS1_22reduce_config_selectorIN6thrust23THRUST_200600_302600_NS5tupleIblNS6_9null_typeES8_S8_S8_S8_S8_S8_S8_EEEEZNS1_11reduce_implILb1ES3_PS9_SC_S9_NS6_11hip_rocprim9__find_if7functorIS9_EEEE10hipError_tPvRmT1_T2_T3_mT4_P12ihipStream_tbEUlT_E0_NS1_11comp_targetILNS1_3genE4ELNS1_11target_archE910ELNS1_3gpuE8ELNS1_3repE0EEENS1_30default_config_static_selectorELNS0_4arch9wavefront6targetE0EEEvSK_.kd
    .uniform_work_group_size: 1
    .uses_dynamic_stack: false
    .vgpr_count:     0
    .vgpr_spill_count: 0
    .wavefront_size: 32
    .workgroup_processor_mode: 1
  - .args:
      - .offset:         0
        .size:           72
        .value_kind:     by_value
    .group_segment_fixed_size: 0
    .kernarg_segment_align: 8
    .kernarg_segment_size: 72
    .language:       OpenCL C
    .language_version:
      - 2
      - 0
    .max_flat_workgroup_size: 128
    .name:           _ZN7rocprim17ROCPRIM_400000_NS6detail17trampoline_kernelINS0_14default_configENS1_22reduce_config_selectorIN6thrust23THRUST_200600_302600_NS5tupleIblNS6_9null_typeES8_S8_S8_S8_S8_S8_S8_EEEEZNS1_11reduce_implILb1ES3_PS9_SC_S9_NS6_11hip_rocprim9__find_if7functorIS9_EEEE10hipError_tPvRmT1_T2_T3_mT4_P12ihipStream_tbEUlT_E0_NS1_11comp_targetILNS1_3genE3ELNS1_11target_archE908ELNS1_3gpuE7ELNS1_3repE0EEENS1_30default_config_static_selectorELNS0_4arch9wavefront6targetE0EEEvSK_
    .private_segment_fixed_size: 0
    .sgpr_count:     0
    .sgpr_spill_count: 0
    .symbol:         _ZN7rocprim17ROCPRIM_400000_NS6detail17trampoline_kernelINS0_14default_configENS1_22reduce_config_selectorIN6thrust23THRUST_200600_302600_NS5tupleIblNS6_9null_typeES8_S8_S8_S8_S8_S8_S8_EEEEZNS1_11reduce_implILb1ES3_PS9_SC_S9_NS6_11hip_rocprim9__find_if7functorIS9_EEEE10hipError_tPvRmT1_T2_T3_mT4_P12ihipStream_tbEUlT_E0_NS1_11comp_targetILNS1_3genE3ELNS1_11target_archE908ELNS1_3gpuE7ELNS1_3repE0EEENS1_30default_config_static_selectorELNS0_4arch9wavefront6targetE0EEEvSK_.kd
    .uniform_work_group_size: 1
    .uses_dynamic_stack: false
    .vgpr_count:     0
    .vgpr_spill_count: 0
    .wavefront_size: 32
    .workgroup_processor_mode: 1
  - .args:
      - .offset:         0
        .size:           72
        .value_kind:     by_value
    .group_segment_fixed_size: 0
    .kernarg_segment_align: 8
    .kernarg_segment_size: 72
    .language:       OpenCL C
    .language_version:
      - 2
      - 0
    .max_flat_workgroup_size: 128
    .name:           _ZN7rocprim17ROCPRIM_400000_NS6detail17trampoline_kernelINS0_14default_configENS1_22reduce_config_selectorIN6thrust23THRUST_200600_302600_NS5tupleIblNS6_9null_typeES8_S8_S8_S8_S8_S8_S8_EEEEZNS1_11reduce_implILb1ES3_PS9_SC_S9_NS6_11hip_rocprim9__find_if7functorIS9_EEEE10hipError_tPvRmT1_T2_T3_mT4_P12ihipStream_tbEUlT_E0_NS1_11comp_targetILNS1_3genE2ELNS1_11target_archE906ELNS1_3gpuE6ELNS1_3repE0EEENS1_30default_config_static_selectorELNS0_4arch9wavefront6targetE0EEEvSK_
    .private_segment_fixed_size: 0
    .sgpr_count:     0
    .sgpr_spill_count: 0
    .symbol:         _ZN7rocprim17ROCPRIM_400000_NS6detail17trampoline_kernelINS0_14default_configENS1_22reduce_config_selectorIN6thrust23THRUST_200600_302600_NS5tupleIblNS6_9null_typeES8_S8_S8_S8_S8_S8_S8_EEEEZNS1_11reduce_implILb1ES3_PS9_SC_S9_NS6_11hip_rocprim9__find_if7functorIS9_EEEE10hipError_tPvRmT1_T2_T3_mT4_P12ihipStream_tbEUlT_E0_NS1_11comp_targetILNS1_3genE2ELNS1_11target_archE906ELNS1_3gpuE6ELNS1_3repE0EEENS1_30default_config_static_selectorELNS0_4arch9wavefront6targetE0EEEvSK_.kd
    .uniform_work_group_size: 1
    .uses_dynamic_stack: false
    .vgpr_count:     0
    .vgpr_spill_count: 0
    .wavefront_size: 32
    .workgroup_processor_mode: 1
  - .args:
      - .offset:         0
        .size:           72
        .value_kind:     by_value
    .group_segment_fixed_size: 0
    .kernarg_segment_align: 8
    .kernarg_segment_size: 72
    .language:       OpenCL C
    .language_version:
      - 2
      - 0
    .max_flat_workgroup_size: 256
    .name:           _ZN7rocprim17ROCPRIM_400000_NS6detail17trampoline_kernelINS0_14default_configENS1_22reduce_config_selectorIN6thrust23THRUST_200600_302600_NS5tupleIblNS6_9null_typeES8_S8_S8_S8_S8_S8_S8_EEEEZNS1_11reduce_implILb1ES3_PS9_SC_S9_NS6_11hip_rocprim9__find_if7functorIS9_EEEE10hipError_tPvRmT1_T2_T3_mT4_P12ihipStream_tbEUlT_E0_NS1_11comp_targetILNS1_3genE10ELNS1_11target_archE1201ELNS1_3gpuE5ELNS1_3repE0EEENS1_30default_config_static_selectorELNS0_4arch9wavefront6targetE0EEEvSK_
    .private_segment_fixed_size: 0
    .sgpr_count:     0
    .sgpr_spill_count: 0
    .symbol:         _ZN7rocprim17ROCPRIM_400000_NS6detail17trampoline_kernelINS0_14default_configENS1_22reduce_config_selectorIN6thrust23THRUST_200600_302600_NS5tupleIblNS6_9null_typeES8_S8_S8_S8_S8_S8_S8_EEEEZNS1_11reduce_implILb1ES3_PS9_SC_S9_NS6_11hip_rocprim9__find_if7functorIS9_EEEE10hipError_tPvRmT1_T2_T3_mT4_P12ihipStream_tbEUlT_E0_NS1_11comp_targetILNS1_3genE10ELNS1_11target_archE1201ELNS1_3gpuE5ELNS1_3repE0EEENS1_30default_config_static_selectorELNS0_4arch9wavefront6targetE0EEEvSK_.kd
    .uniform_work_group_size: 1
    .uses_dynamic_stack: false
    .vgpr_count:     0
    .vgpr_spill_count: 0
    .wavefront_size: 32
    .workgroup_processor_mode: 1
  - .args:
      - .offset:         0
        .size:           72
        .value_kind:     by_value
    .group_segment_fixed_size: 0
    .kernarg_segment_align: 8
    .kernarg_segment_size: 72
    .language:       OpenCL C
    .language_version:
      - 2
      - 0
    .max_flat_workgroup_size: 256
    .name:           _ZN7rocprim17ROCPRIM_400000_NS6detail17trampoline_kernelINS0_14default_configENS1_22reduce_config_selectorIN6thrust23THRUST_200600_302600_NS5tupleIblNS6_9null_typeES8_S8_S8_S8_S8_S8_S8_EEEEZNS1_11reduce_implILb1ES3_PS9_SC_S9_NS6_11hip_rocprim9__find_if7functorIS9_EEEE10hipError_tPvRmT1_T2_T3_mT4_P12ihipStream_tbEUlT_E0_NS1_11comp_targetILNS1_3genE10ELNS1_11target_archE1200ELNS1_3gpuE4ELNS1_3repE0EEENS1_30default_config_static_selectorELNS0_4arch9wavefront6targetE0EEEvSK_
    .private_segment_fixed_size: 0
    .sgpr_count:     0
    .sgpr_spill_count: 0
    .symbol:         _ZN7rocprim17ROCPRIM_400000_NS6detail17trampoline_kernelINS0_14default_configENS1_22reduce_config_selectorIN6thrust23THRUST_200600_302600_NS5tupleIblNS6_9null_typeES8_S8_S8_S8_S8_S8_S8_EEEEZNS1_11reduce_implILb1ES3_PS9_SC_S9_NS6_11hip_rocprim9__find_if7functorIS9_EEEE10hipError_tPvRmT1_T2_T3_mT4_P12ihipStream_tbEUlT_E0_NS1_11comp_targetILNS1_3genE10ELNS1_11target_archE1200ELNS1_3gpuE4ELNS1_3repE0EEENS1_30default_config_static_selectorELNS0_4arch9wavefront6targetE0EEEvSK_.kd
    .uniform_work_group_size: 1
    .uses_dynamic_stack: false
    .vgpr_count:     0
    .vgpr_spill_count: 0
    .wavefront_size: 32
    .workgroup_processor_mode: 1
  - .args:
      - .offset:         0
        .size:           72
        .value_kind:     by_value
    .group_segment_fixed_size: 256
    .kernarg_segment_align: 8
    .kernarg_segment_size: 72
    .language:       OpenCL C
    .language_version:
      - 2
      - 0
    .max_flat_workgroup_size: 256
    .name:           _ZN7rocprim17ROCPRIM_400000_NS6detail17trampoline_kernelINS0_14default_configENS1_22reduce_config_selectorIN6thrust23THRUST_200600_302600_NS5tupleIblNS6_9null_typeES8_S8_S8_S8_S8_S8_S8_EEEEZNS1_11reduce_implILb1ES3_PS9_SC_S9_NS6_11hip_rocprim9__find_if7functorIS9_EEEE10hipError_tPvRmT1_T2_T3_mT4_P12ihipStream_tbEUlT_E0_NS1_11comp_targetILNS1_3genE9ELNS1_11target_archE1100ELNS1_3gpuE3ELNS1_3repE0EEENS1_30default_config_static_selectorELNS0_4arch9wavefront6targetE0EEEvSK_
    .private_segment_fixed_size: 0
    .sgpr_count:     22
    .sgpr_spill_count: 0
    .symbol:         _ZN7rocprim17ROCPRIM_400000_NS6detail17trampoline_kernelINS0_14default_configENS1_22reduce_config_selectorIN6thrust23THRUST_200600_302600_NS5tupleIblNS6_9null_typeES8_S8_S8_S8_S8_S8_S8_EEEEZNS1_11reduce_implILb1ES3_PS9_SC_S9_NS6_11hip_rocprim9__find_if7functorIS9_EEEE10hipError_tPvRmT1_T2_T3_mT4_P12ihipStream_tbEUlT_E0_NS1_11comp_targetILNS1_3genE9ELNS1_11target_archE1100ELNS1_3gpuE3ELNS1_3repE0EEENS1_30default_config_static_selectorELNS0_4arch9wavefront6targetE0EEEvSK_.kd
    .uniform_work_group_size: 1
    .uses_dynamic_stack: false
    .vgpr_count:     16
    .vgpr_spill_count: 0
    .wavefront_size: 32
    .workgroup_processor_mode: 1
  - .args:
      - .offset:         0
        .size:           72
        .value_kind:     by_value
    .group_segment_fixed_size: 0
    .kernarg_segment_align: 8
    .kernarg_segment_size: 72
    .language:       OpenCL C
    .language_version:
      - 2
      - 0
    .max_flat_workgroup_size: 256
    .name:           _ZN7rocprim17ROCPRIM_400000_NS6detail17trampoline_kernelINS0_14default_configENS1_22reduce_config_selectorIN6thrust23THRUST_200600_302600_NS5tupleIblNS6_9null_typeES8_S8_S8_S8_S8_S8_S8_EEEEZNS1_11reduce_implILb1ES3_PS9_SC_S9_NS6_11hip_rocprim9__find_if7functorIS9_EEEE10hipError_tPvRmT1_T2_T3_mT4_P12ihipStream_tbEUlT_E0_NS1_11comp_targetILNS1_3genE8ELNS1_11target_archE1030ELNS1_3gpuE2ELNS1_3repE0EEENS1_30default_config_static_selectorELNS0_4arch9wavefront6targetE0EEEvSK_
    .private_segment_fixed_size: 0
    .sgpr_count:     0
    .sgpr_spill_count: 0
    .symbol:         _ZN7rocprim17ROCPRIM_400000_NS6detail17trampoline_kernelINS0_14default_configENS1_22reduce_config_selectorIN6thrust23THRUST_200600_302600_NS5tupleIblNS6_9null_typeES8_S8_S8_S8_S8_S8_S8_EEEEZNS1_11reduce_implILb1ES3_PS9_SC_S9_NS6_11hip_rocprim9__find_if7functorIS9_EEEE10hipError_tPvRmT1_T2_T3_mT4_P12ihipStream_tbEUlT_E0_NS1_11comp_targetILNS1_3genE8ELNS1_11target_archE1030ELNS1_3gpuE2ELNS1_3repE0EEENS1_30default_config_static_selectorELNS0_4arch9wavefront6targetE0EEEvSK_.kd
    .uniform_work_group_size: 1
    .uses_dynamic_stack: false
    .vgpr_count:     0
    .vgpr_spill_count: 0
    .wavefront_size: 32
    .workgroup_processor_mode: 1
  - .args:
      - .offset:         0
        .size:           56
        .value_kind:     by_value
    .group_segment_fixed_size: 0
    .kernarg_segment_align: 8
    .kernarg_segment_size: 56
    .language:       OpenCL C
    .language_version:
      - 2
      - 0
    .max_flat_workgroup_size: 128
    .name:           _ZN7rocprim17ROCPRIM_400000_NS6detail17trampoline_kernelINS0_14default_configENS1_22reduce_config_selectorIN6thrust23THRUST_200600_302600_NS5tupleIblNS6_9null_typeES8_S8_S8_S8_S8_S8_S8_EEEEZNS1_11reduce_implILb1ES3_PS9_SC_S9_NS6_11hip_rocprim9__find_if7functorIS9_EEEE10hipError_tPvRmT1_T2_T3_mT4_P12ihipStream_tbEUlT_E1_NS1_11comp_targetILNS1_3genE0ELNS1_11target_archE4294967295ELNS1_3gpuE0ELNS1_3repE0EEENS1_30default_config_static_selectorELNS0_4arch9wavefront6targetE0EEEvSK_
    .private_segment_fixed_size: 0
    .sgpr_count:     0
    .sgpr_spill_count: 0
    .symbol:         _ZN7rocprim17ROCPRIM_400000_NS6detail17trampoline_kernelINS0_14default_configENS1_22reduce_config_selectorIN6thrust23THRUST_200600_302600_NS5tupleIblNS6_9null_typeES8_S8_S8_S8_S8_S8_S8_EEEEZNS1_11reduce_implILb1ES3_PS9_SC_S9_NS6_11hip_rocprim9__find_if7functorIS9_EEEE10hipError_tPvRmT1_T2_T3_mT4_P12ihipStream_tbEUlT_E1_NS1_11comp_targetILNS1_3genE0ELNS1_11target_archE4294967295ELNS1_3gpuE0ELNS1_3repE0EEENS1_30default_config_static_selectorELNS0_4arch9wavefront6targetE0EEEvSK_.kd
    .uniform_work_group_size: 1
    .uses_dynamic_stack: false
    .vgpr_count:     0
    .vgpr_spill_count: 0
    .wavefront_size: 32
    .workgroup_processor_mode: 1
  - .args:
      - .offset:         0
        .size:           56
        .value_kind:     by_value
    .group_segment_fixed_size: 0
    .kernarg_segment_align: 8
    .kernarg_segment_size: 56
    .language:       OpenCL C
    .language_version:
      - 2
      - 0
    .max_flat_workgroup_size: 256
    .name:           _ZN7rocprim17ROCPRIM_400000_NS6detail17trampoline_kernelINS0_14default_configENS1_22reduce_config_selectorIN6thrust23THRUST_200600_302600_NS5tupleIblNS6_9null_typeES8_S8_S8_S8_S8_S8_S8_EEEEZNS1_11reduce_implILb1ES3_PS9_SC_S9_NS6_11hip_rocprim9__find_if7functorIS9_EEEE10hipError_tPvRmT1_T2_T3_mT4_P12ihipStream_tbEUlT_E1_NS1_11comp_targetILNS1_3genE5ELNS1_11target_archE942ELNS1_3gpuE9ELNS1_3repE0EEENS1_30default_config_static_selectorELNS0_4arch9wavefront6targetE0EEEvSK_
    .private_segment_fixed_size: 0
    .sgpr_count:     0
    .sgpr_spill_count: 0
    .symbol:         _ZN7rocprim17ROCPRIM_400000_NS6detail17trampoline_kernelINS0_14default_configENS1_22reduce_config_selectorIN6thrust23THRUST_200600_302600_NS5tupleIblNS6_9null_typeES8_S8_S8_S8_S8_S8_S8_EEEEZNS1_11reduce_implILb1ES3_PS9_SC_S9_NS6_11hip_rocprim9__find_if7functorIS9_EEEE10hipError_tPvRmT1_T2_T3_mT4_P12ihipStream_tbEUlT_E1_NS1_11comp_targetILNS1_3genE5ELNS1_11target_archE942ELNS1_3gpuE9ELNS1_3repE0EEENS1_30default_config_static_selectorELNS0_4arch9wavefront6targetE0EEEvSK_.kd
    .uniform_work_group_size: 1
    .uses_dynamic_stack: false
    .vgpr_count:     0
    .vgpr_spill_count: 0
    .wavefront_size: 32
    .workgroup_processor_mode: 1
  - .args:
      - .offset:         0
        .size:           56
        .value_kind:     by_value
    .group_segment_fixed_size: 0
    .kernarg_segment_align: 8
    .kernarg_segment_size: 56
    .language:       OpenCL C
    .language_version:
      - 2
      - 0
    .max_flat_workgroup_size: 256
    .name:           _ZN7rocprim17ROCPRIM_400000_NS6detail17trampoline_kernelINS0_14default_configENS1_22reduce_config_selectorIN6thrust23THRUST_200600_302600_NS5tupleIblNS6_9null_typeES8_S8_S8_S8_S8_S8_S8_EEEEZNS1_11reduce_implILb1ES3_PS9_SC_S9_NS6_11hip_rocprim9__find_if7functorIS9_EEEE10hipError_tPvRmT1_T2_T3_mT4_P12ihipStream_tbEUlT_E1_NS1_11comp_targetILNS1_3genE4ELNS1_11target_archE910ELNS1_3gpuE8ELNS1_3repE0EEENS1_30default_config_static_selectorELNS0_4arch9wavefront6targetE0EEEvSK_
    .private_segment_fixed_size: 0
    .sgpr_count:     0
    .sgpr_spill_count: 0
    .symbol:         _ZN7rocprim17ROCPRIM_400000_NS6detail17trampoline_kernelINS0_14default_configENS1_22reduce_config_selectorIN6thrust23THRUST_200600_302600_NS5tupleIblNS6_9null_typeES8_S8_S8_S8_S8_S8_S8_EEEEZNS1_11reduce_implILb1ES3_PS9_SC_S9_NS6_11hip_rocprim9__find_if7functorIS9_EEEE10hipError_tPvRmT1_T2_T3_mT4_P12ihipStream_tbEUlT_E1_NS1_11comp_targetILNS1_3genE4ELNS1_11target_archE910ELNS1_3gpuE8ELNS1_3repE0EEENS1_30default_config_static_selectorELNS0_4arch9wavefront6targetE0EEEvSK_.kd
    .uniform_work_group_size: 1
    .uses_dynamic_stack: false
    .vgpr_count:     0
    .vgpr_spill_count: 0
    .wavefront_size: 32
    .workgroup_processor_mode: 1
  - .args:
      - .offset:         0
        .size:           56
        .value_kind:     by_value
    .group_segment_fixed_size: 0
    .kernarg_segment_align: 8
    .kernarg_segment_size: 56
    .language:       OpenCL C
    .language_version:
      - 2
      - 0
    .max_flat_workgroup_size: 128
    .name:           _ZN7rocprim17ROCPRIM_400000_NS6detail17trampoline_kernelINS0_14default_configENS1_22reduce_config_selectorIN6thrust23THRUST_200600_302600_NS5tupleIblNS6_9null_typeES8_S8_S8_S8_S8_S8_S8_EEEEZNS1_11reduce_implILb1ES3_PS9_SC_S9_NS6_11hip_rocprim9__find_if7functorIS9_EEEE10hipError_tPvRmT1_T2_T3_mT4_P12ihipStream_tbEUlT_E1_NS1_11comp_targetILNS1_3genE3ELNS1_11target_archE908ELNS1_3gpuE7ELNS1_3repE0EEENS1_30default_config_static_selectorELNS0_4arch9wavefront6targetE0EEEvSK_
    .private_segment_fixed_size: 0
    .sgpr_count:     0
    .sgpr_spill_count: 0
    .symbol:         _ZN7rocprim17ROCPRIM_400000_NS6detail17trampoline_kernelINS0_14default_configENS1_22reduce_config_selectorIN6thrust23THRUST_200600_302600_NS5tupleIblNS6_9null_typeES8_S8_S8_S8_S8_S8_S8_EEEEZNS1_11reduce_implILb1ES3_PS9_SC_S9_NS6_11hip_rocprim9__find_if7functorIS9_EEEE10hipError_tPvRmT1_T2_T3_mT4_P12ihipStream_tbEUlT_E1_NS1_11comp_targetILNS1_3genE3ELNS1_11target_archE908ELNS1_3gpuE7ELNS1_3repE0EEENS1_30default_config_static_selectorELNS0_4arch9wavefront6targetE0EEEvSK_.kd
    .uniform_work_group_size: 1
    .uses_dynamic_stack: false
    .vgpr_count:     0
    .vgpr_spill_count: 0
    .wavefront_size: 32
    .workgroup_processor_mode: 1
  - .args:
      - .offset:         0
        .size:           56
        .value_kind:     by_value
    .group_segment_fixed_size: 0
    .kernarg_segment_align: 8
    .kernarg_segment_size: 56
    .language:       OpenCL C
    .language_version:
      - 2
      - 0
    .max_flat_workgroup_size: 128
    .name:           _ZN7rocprim17ROCPRIM_400000_NS6detail17trampoline_kernelINS0_14default_configENS1_22reduce_config_selectorIN6thrust23THRUST_200600_302600_NS5tupleIblNS6_9null_typeES8_S8_S8_S8_S8_S8_S8_EEEEZNS1_11reduce_implILb1ES3_PS9_SC_S9_NS6_11hip_rocprim9__find_if7functorIS9_EEEE10hipError_tPvRmT1_T2_T3_mT4_P12ihipStream_tbEUlT_E1_NS1_11comp_targetILNS1_3genE2ELNS1_11target_archE906ELNS1_3gpuE6ELNS1_3repE0EEENS1_30default_config_static_selectorELNS0_4arch9wavefront6targetE0EEEvSK_
    .private_segment_fixed_size: 0
    .sgpr_count:     0
    .sgpr_spill_count: 0
    .symbol:         _ZN7rocprim17ROCPRIM_400000_NS6detail17trampoline_kernelINS0_14default_configENS1_22reduce_config_selectorIN6thrust23THRUST_200600_302600_NS5tupleIblNS6_9null_typeES8_S8_S8_S8_S8_S8_S8_EEEEZNS1_11reduce_implILb1ES3_PS9_SC_S9_NS6_11hip_rocprim9__find_if7functorIS9_EEEE10hipError_tPvRmT1_T2_T3_mT4_P12ihipStream_tbEUlT_E1_NS1_11comp_targetILNS1_3genE2ELNS1_11target_archE906ELNS1_3gpuE6ELNS1_3repE0EEENS1_30default_config_static_selectorELNS0_4arch9wavefront6targetE0EEEvSK_.kd
    .uniform_work_group_size: 1
    .uses_dynamic_stack: false
    .vgpr_count:     0
    .vgpr_spill_count: 0
    .wavefront_size: 32
    .workgroup_processor_mode: 1
  - .args:
      - .offset:         0
        .size:           56
        .value_kind:     by_value
    .group_segment_fixed_size: 0
    .kernarg_segment_align: 8
    .kernarg_segment_size: 56
    .language:       OpenCL C
    .language_version:
      - 2
      - 0
    .max_flat_workgroup_size: 256
    .name:           _ZN7rocprim17ROCPRIM_400000_NS6detail17trampoline_kernelINS0_14default_configENS1_22reduce_config_selectorIN6thrust23THRUST_200600_302600_NS5tupleIblNS6_9null_typeES8_S8_S8_S8_S8_S8_S8_EEEEZNS1_11reduce_implILb1ES3_PS9_SC_S9_NS6_11hip_rocprim9__find_if7functorIS9_EEEE10hipError_tPvRmT1_T2_T3_mT4_P12ihipStream_tbEUlT_E1_NS1_11comp_targetILNS1_3genE10ELNS1_11target_archE1201ELNS1_3gpuE5ELNS1_3repE0EEENS1_30default_config_static_selectorELNS0_4arch9wavefront6targetE0EEEvSK_
    .private_segment_fixed_size: 0
    .sgpr_count:     0
    .sgpr_spill_count: 0
    .symbol:         _ZN7rocprim17ROCPRIM_400000_NS6detail17trampoline_kernelINS0_14default_configENS1_22reduce_config_selectorIN6thrust23THRUST_200600_302600_NS5tupleIblNS6_9null_typeES8_S8_S8_S8_S8_S8_S8_EEEEZNS1_11reduce_implILb1ES3_PS9_SC_S9_NS6_11hip_rocprim9__find_if7functorIS9_EEEE10hipError_tPvRmT1_T2_T3_mT4_P12ihipStream_tbEUlT_E1_NS1_11comp_targetILNS1_3genE10ELNS1_11target_archE1201ELNS1_3gpuE5ELNS1_3repE0EEENS1_30default_config_static_selectorELNS0_4arch9wavefront6targetE0EEEvSK_.kd
    .uniform_work_group_size: 1
    .uses_dynamic_stack: false
    .vgpr_count:     0
    .vgpr_spill_count: 0
    .wavefront_size: 32
    .workgroup_processor_mode: 1
  - .args:
      - .offset:         0
        .size:           56
        .value_kind:     by_value
    .group_segment_fixed_size: 0
    .kernarg_segment_align: 8
    .kernarg_segment_size: 56
    .language:       OpenCL C
    .language_version:
      - 2
      - 0
    .max_flat_workgroup_size: 256
    .name:           _ZN7rocprim17ROCPRIM_400000_NS6detail17trampoline_kernelINS0_14default_configENS1_22reduce_config_selectorIN6thrust23THRUST_200600_302600_NS5tupleIblNS6_9null_typeES8_S8_S8_S8_S8_S8_S8_EEEEZNS1_11reduce_implILb1ES3_PS9_SC_S9_NS6_11hip_rocprim9__find_if7functorIS9_EEEE10hipError_tPvRmT1_T2_T3_mT4_P12ihipStream_tbEUlT_E1_NS1_11comp_targetILNS1_3genE10ELNS1_11target_archE1200ELNS1_3gpuE4ELNS1_3repE0EEENS1_30default_config_static_selectorELNS0_4arch9wavefront6targetE0EEEvSK_
    .private_segment_fixed_size: 0
    .sgpr_count:     0
    .sgpr_spill_count: 0
    .symbol:         _ZN7rocprim17ROCPRIM_400000_NS6detail17trampoline_kernelINS0_14default_configENS1_22reduce_config_selectorIN6thrust23THRUST_200600_302600_NS5tupleIblNS6_9null_typeES8_S8_S8_S8_S8_S8_S8_EEEEZNS1_11reduce_implILb1ES3_PS9_SC_S9_NS6_11hip_rocprim9__find_if7functorIS9_EEEE10hipError_tPvRmT1_T2_T3_mT4_P12ihipStream_tbEUlT_E1_NS1_11comp_targetILNS1_3genE10ELNS1_11target_archE1200ELNS1_3gpuE4ELNS1_3repE0EEENS1_30default_config_static_selectorELNS0_4arch9wavefront6targetE0EEEvSK_.kd
    .uniform_work_group_size: 1
    .uses_dynamic_stack: false
    .vgpr_count:     0
    .vgpr_spill_count: 0
    .wavefront_size: 32
    .workgroup_processor_mode: 1
  - .args:
      - .offset:         0
        .size:           56
        .value_kind:     by_value
    .group_segment_fixed_size: 640
    .kernarg_segment_align: 8
    .kernarg_segment_size: 56
    .language:       OpenCL C
    .language_version:
      - 2
      - 0
    .max_flat_workgroup_size: 256
    .name:           _ZN7rocprim17ROCPRIM_400000_NS6detail17trampoline_kernelINS0_14default_configENS1_22reduce_config_selectorIN6thrust23THRUST_200600_302600_NS5tupleIblNS6_9null_typeES8_S8_S8_S8_S8_S8_S8_EEEEZNS1_11reduce_implILb1ES3_PS9_SC_S9_NS6_11hip_rocprim9__find_if7functorIS9_EEEE10hipError_tPvRmT1_T2_T3_mT4_P12ihipStream_tbEUlT_E1_NS1_11comp_targetILNS1_3genE9ELNS1_11target_archE1100ELNS1_3gpuE3ELNS1_3repE0EEENS1_30default_config_static_selectorELNS0_4arch9wavefront6targetE0EEEvSK_
    .private_segment_fixed_size: 0
    .sgpr_count:     25
    .sgpr_spill_count: 0
    .symbol:         _ZN7rocprim17ROCPRIM_400000_NS6detail17trampoline_kernelINS0_14default_configENS1_22reduce_config_selectorIN6thrust23THRUST_200600_302600_NS5tupleIblNS6_9null_typeES8_S8_S8_S8_S8_S8_S8_EEEEZNS1_11reduce_implILb1ES3_PS9_SC_S9_NS6_11hip_rocprim9__find_if7functorIS9_EEEE10hipError_tPvRmT1_T2_T3_mT4_P12ihipStream_tbEUlT_E1_NS1_11comp_targetILNS1_3genE9ELNS1_11target_archE1100ELNS1_3gpuE3ELNS1_3repE0EEENS1_30default_config_static_selectorELNS0_4arch9wavefront6targetE0EEEvSK_.kd
    .uniform_work_group_size: 1
    .uses_dynamic_stack: false
    .vgpr_count:     30
    .vgpr_spill_count: 0
    .wavefront_size: 32
    .workgroup_processor_mode: 1
  - .args:
      - .offset:         0
        .size:           56
        .value_kind:     by_value
    .group_segment_fixed_size: 0
    .kernarg_segment_align: 8
    .kernarg_segment_size: 56
    .language:       OpenCL C
    .language_version:
      - 2
      - 0
    .max_flat_workgroup_size: 256
    .name:           _ZN7rocprim17ROCPRIM_400000_NS6detail17trampoline_kernelINS0_14default_configENS1_22reduce_config_selectorIN6thrust23THRUST_200600_302600_NS5tupleIblNS6_9null_typeES8_S8_S8_S8_S8_S8_S8_EEEEZNS1_11reduce_implILb1ES3_PS9_SC_S9_NS6_11hip_rocprim9__find_if7functorIS9_EEEE10hipError_tPvRmT1_T2_T3_mT4_P12ihipStream_tbEUlT_E1_NS1_11comp_targetILNS1_3genE8ELNS1_11target_archE1030ELNS1_3gpuE2ELNS1_3repE0EEENS1_30default_config_static_selectorELNS0_4arch9wavefront6targetE0EEEvSK_
    .private_segment_fixed_size: 0
    .sgpr_count:     0
    .sgpr_spill_count: 0
    .symbol:         _ZN7rocprim17ROCPRIM_400000_NS6detail17trampoline_kernelINS0_14default_configENS1_22reduce_config_selectorIN6thrust23THRUST_200600_302600_NS5tupleIblNS6_9null_typeES8_S8_S8_S8_S8_S8_S8_EEEEZNS1_11reduce_implILb1ES3_PS9_SC_S9_NS6_11hip_rocprim9__find_if7functorIS9_EEEE10hipError_tPvRmT1_T2_T3_mT4_P12ihipStream_tbEUlT_E1_NS1_11comp_targetILNS1_3genE8ELNS1_11target_archE1030ELNS1_3gpuE2ELNS1_3repE0EEENS1_30default_config_static_selectorELNS0_4arch9wavefront6targetE0EEEvSK_.kd
    .uniform_work_group_size: 1
    .uses_dynamic_stack: false
    .vgpr_count:     0
    .vgpr_spill_count: 0
    .wavefront_size: 32
    .workgroup_processor_mode: 1
  - .args:
      - .offset:         0
        .size:           104
        .value_kind:     by_value
    .group_segment_fixed_size: 0
    .kernarg_segment_align: 8
    .kernarg_segment_size: 104
    .language:       OpenCL C
    .language_version:
      - 2
      - 0
    .max_flat_workgroup_size: 128
    .name:           _ZN7rocprim17ROCPRIM_400000_NS6detail17trampoline_kernelINS0_14default_configENS1_22reduce_config_selectorIN6thrust23THRUST_200600_302600_NS5tupleIblNS6_9null_typeES8_S8_S8_S8_S8_S8_S8_EEEEZNS1_11reduce_implILb1ES3_NS6_12zip_iteratorINS7_INS6_11hip_rocprim26transform_input_iterator_tIbNSD_35transform_pair_of_input_iterators_tIbNS6_6detail15normal_iteratorINS6_10device_ptrIlEEEENS6_17counting_iteratorIlNS6_11use_defaultESM_SM_EENS6_8equal_toIlEEEENSG_9not_fun_tINSD_8identityEEEEENSD_19counting_iterator_tIlEES8_S8_S8_S8_S8_S8_S8_S8_EEEEPS9_S9_NSD_9__find_if7functorIS9_EEEE10hipError_tPvRmT1_T2_T3_mT4_P12ihipStream_tbEUlT_E0_NS1_11comp_targetILNS1_3genE0ELNS1_11target_archE4294967295ELNS1_3gpuE0ELNS1_3repE0EEENS1_30default_config_static_selectorELNS0_4arch9wavefront6targetE0EEEvS16_
    .private_segment_fixed_size: 0
    .sgpr_count:     0
    .sgpr_spill_count: 0
    .symbol:         _ZN7rocprim17ROCPRIM_400000_NS6detail17trampoline_kernelINS0_14default_configENS1_22reduce_config_selectorIN6thrust23THRUST_200600_302600_NS5tupleIblNS6_9null_typeES8_S8_S8_S8_S8_S8_S8_EEEEZNS1_11reduce_implILb1ES3_NS6_12zip_iteratorINS7_INS6_11hip_rocprim26transform_input_iterator_tIbNSD_35transform_pair_of_input_iterators_tIbNS6_6detail15normal_iteratorINS6_10device_ptrIlEEEENS6_17counting_iteratorIlNS6_11use_defaultESM_SM_EENS6_8equal_toIlEEEENSG_9not_fun_tINSD_8identityEEEEENSD_19counting_iterator_tIlEES8_S8_S8_S8_S8_S8_S8_S8_EEEEPS9_S9_NSD_9__find_if7functorIS9_EEEE10hipError_tPvRmT1_T2_T3_mT4_P12ihipStream_tbEUlT_E0_NS1_11comp_targetILNS1_3genE0ELNS1_11target_archE4294967295ELNS1_3gpuE0ELNS1_3repE0EEENS1_30default_config_static_selectorELNS0_4arch9wavefront6targetE0EEEvS16_.kd
    .uniform_work_group_size: 1
    .uses_dynamic_stack: false
    .vgpr_count:     0
    .vgpr_spill_count: 0
    .wavefront_size: 32
    .workgroup_processor_mode: 1
  - .args:
      - .offset:         0
        .size:           104
        .value_kind:     by_value
    .group_segment_fixed_size: 0
    .kernarg_segment_align: 8
    .kernarg_segment_size: 104
    .language:       OpenCL C
    .language_version:
      - 2
      - 0
    .max_flat_workgroup_size: 256
    .name:           _ZN7rocprim17ROCPRIM_400000_NS6detail17trampoline_kernelINS0_14default_configENS1_22reduce_config_selectorIN6thrust23THRUST_200600_302600_NS5tupleIblNS6_9null_typeES8_S8_S8_S8_S8_S8_S8_EEEEZNS1_11reduce_implILb1ES3_NS6_12zip_iteratorINS7_INS6_11hip_rocprim26transform_input_iterator_tIbNSD_35transform_pair_of_input_iterators_tIbNS6_6detail15normal_iteratorINS6_10device_ptrIlEEEENS6_17counting_iteratorIlNS6_11use_defaultESM_SM_EENS6_8equal_toIlEEEENSG_9not_fun_tINSD_8identityEEEEENSD_19counting_iterator_tIlEES8_S8_S8_S8_S8_S8_S8_S8_EEEEPS9_S9_NSD_9__find_if7functorIS9_EEEE10hipError_tPvRmT1_T2_T3_mT4_P12ihipStream_tbEUlT_E0_NS1_11comp_targetILNS1_3genE5ELNS1_11target_archE942ELNS1_3gpuE9ELNS1_3repE0EEENS1_30default_config_static_selectorELNS0_4arch9wavefront6targetE0EEEvS16_
    .private_segment_fixed_size: 0
    .sgpr_count:     0
    .sgpr_spill_count: 0
    .symbol:         _ZN7rocprim17ROCPRIM_400000_NS6detail17trampoline_kernelINS0_14default_configENS1_22reduce_config_selectorIN6thrust23THRUST_200600_302600_NS5tupleIblNS6_9null_typeES8_S8_S8_S8_S8_S8_S8_EEEEZNS1_11reduce_implILb1ES3_NS6_12zip_iteratorINS7_INS6_11hip_rocprim26transform_input_iterator_tIbNSD_35transform_pair_of_input_iterators_tIbNS6_6detail15normal_iteratorINS6_10device_ptrIlEEEENS6_17counting_iteratorIlNS6_11use_defaultESM_SM_EENS6_8equal_toIlEEEENSG_9not_fun_tINSD_8identityEEEEENSD_19counting_iterator_tIlEES8_S8_S8_S8_S8_S8_S8_S8_EEEEPS9_S9_NSD_9__find_if7functorIS9_EEEE10hipError_tPvRmT1_T2_T3_mT4_P12ihipStream_tbEUlT_E0_NS1_11comp_targetILNS1_3genE5ELNS1_11target_archE942ELNS1_3gpuE9ELNS1_3repE0EEENS1_30default_config_static_selectorELNS0_4arch9wavefront6targetE0EEEvS16_.kd
    .uniform_work_group_size: 1
    .uses_dynamic_stack: false
    .vgpr_count:     0
    .vgpr_spill_count: 0
    .wavefront_size: 32
    .workgroup_processor_mode: 1
  - .args:
      - .offset:         0
        .size:           104
        .value_kind:     by_value
    .group_segment_fixed_size: 0
    .kernarg_segment_align: 8
    .kernarg_segment_size: 104
    .language:       OpenCL C
    .language_version:
      - 2
      - 0
    .max_flat_workgroup_size: 256
    .name:           _ZN7rocprim17ROCPRIM_400000_NS6detail17trampoline_kernelINS0_14default_configENS1_22reduce_config_selectorIN6thrust23THRUST_200600_302600_NS5tupleIblNS6_9null_typeES8_S8_S8_S8_S8_S8_S8_EEEEZNS1_11reduce_implILb1ES3_NS6_12zip_iteratorINS7_INS6_11hip_rocprim26transform_input_iterator_tIbNSD_35transform_pair_of_input_iterators_tIbNS6_6detail15normal_iteratorINS6_10device_ptrIlEEEENS6_17counting_iteratorIlNS6_11use_defaultESM_SM_EENS6_8equal_toIlEEEENSG_9not_fun_tINSD_8identityEEEEENSD_19counting_iterator_tIlEES8_S8_S8_S8_S8_S8_S8_S8_EEEEPS9_S9_NSD_9__find_if7functorIS9_EEEE10hipError_tPvRmT1_T2_T3_mT4_P12ihipStream_tbEUlT_E0_NS1_11comp_targetILNS1_3genE4ELNS1_11target_archE910ELNS1_3gpuE8ELNS1_3repE0EEENS1_30default_config_static_selectorELNS0_4arch9wavefront6targetE0EEEvS16_
    .private_segment_fixed_size: 0
    .sgpr_count:     0
    .sgpr_spill_count: 0
    .symbol:         _ZN7rocprim17ROCPRIM_400000_NS6detail17trampoline_kernelINS0_14default_configENS1_22reduce_config_selectorIN6thrust23THRUST_200600_302600_NS5tupleIblNS6_9null_typeES8_S8_S8_S8_S8_S8_S8_EEEEZNS1_11reduce_implILb1ES3_NS6_12zip_iteratorINS7_INS6_11hip_rocprim26transform_input_iterator_tIbNSD_35transform_pair_of_input_iterators_tIbNS6_6detail15normal_iteratorINS6_10device_ptrIlEEEENS6_17counting_iteratorIlNS6_11use_defaultESM_SM_EENS6_8equal_toIlEEEENSG_9not_fun_tINSD_8identityEEEEENSD_19counting_iterator_tIlEES8_S8_S8_S8_S8_S8_S8_S8_EEEEPS9_S9_NSD_9__find_if7functorIS9_EEEE10hipError_tPvRmT1_T2_T3_mT4_P12ihipStream_tbEUlT_E0_NS1_11comp_targetILNS1_3genE4ELNS1_11target_archE910ELNS1_3gpuE8ELNS1_3repE0EEENS1_30default_config_static_selectorELNS0_4arch9wavefront6targetE0EEEvS16_.kd
    .uniform_work_group_size: 1
    .uses_dynamic_stack: false
    .vgpr_count:     0
    .vgpr_spill_count: 0
    .wavefront_size: 32
    .workgroup_processor_mode: 1
  - .args:
      - .offset:         0
        .size:           104
        .value_kind:     by_value
    .group_segment_fixed_size: 0
    .kernarg_segment_align: 8
    .kernarg_segment_size: 104
    .language:       OpenCL C
    .language_version:
      - 2
      - 0
    .max_flat_workgroup_size: 128
    .name:           _ZN7rocprim17ROCPRIM_400000_NS6detail17trampoline_kernelINS0_14default_configENS1_22reduce_config_selectorIN6thrust23THRUST_200600_302600_NS5tupleIblNS6_9null_typeES8_S8_S8_S8_S8_S8_S8_EEEEZNS1_11reduce_implILb1ES3_NS6_12zip_iteratorINS7_INS6_11hip_rocprim26transform_input_iterator_tIbNSD_35transform_pair_of_input_iterators_tIbNS6_6detail15normal_iteratorINS6_10device_ptrIlEEEENS6_17counting_iteratorIlNS6_11use_defaultESM_SM_EENS6_8equal_toIlEEEENSG_9not_fun_tINSD_8identityEEEEENSD_19counting_iterator_tIlEES8_S8_S8_S8_S8_S8_S8_S8_EEEEPS9_S9_NSD_9__find_if7functorIS9_EEEE10hipError_tPvRmT1_T2_T3_mT4_P12ihipStream_tbEUlT_E0_NS1_11comp_targetILNS1_3genE3ELNS1_11target_archE908ELNS1_3gpuE7ELNS1_3repE0EEENS1_30default_config_static_selectorELNS0_4arch9wavefront6targetE0EEEvS16_
    .private_segment_fixed_size: 0
    .sgpr_count:     0
    .sgpr_spill_count: 0
    .symbol:         _ZN7rocprim17ROCPRIM_400000_NS6detail17trampoline_kernelINS0_14default_configENS1_22reduce_config_selectorIN6thrust23THRUST_200600_302600_NS5tupleIblNS6_9null_typeES8_S8_S8_S8_S8_S8_S8_EEEEZNS1_11reduce_implILb1ES3_NS6_12zip_iteratorINS7_INS6_11hip_rocprim26transform_input_iterator_tIbNSD_35transform_pair_of_input_iterators_tIbNS6_6detail15normal_iteratorINS6_10device_ptrIlEEEENS6_17counting_iteratorIlNS6_11use_defaultESM_SM_EENS6_8equal_toIlEEEENSG_9not_fun_tINSD_8identityEEEEENSD_19counting_iterator_tIlEES8_S8_S8_S8_S8_S8_S8_S8_EEEEPS9_S9_NSD_9__find_if7functorIS9_EEEE10hipError_tPvRmT1_T2_T3_mT4_P12ihipStream_tbEUlT_E0_NS1_11comp_targetILNS1_3genE3ELNS1_11target_archE908ELNS1_3gpuE7ELNS1_3repE0EEENS1_30default_config_static_selectorELNS0_4arch9wavefront6targetE0EEEvS16_.kd
    .uniform_work_group_size: 1
    .uses_dynamic_stack: false
    .vgpr_count:     0
    .vgpr_spill_count: 0
    .wavefront_size: 32
    .workgroup_processor_mode: 1
  - .args:
      - .offset:         0
        .size:           104
        .value_kind:     by_value
    .group_segment_fixed_size: 0
    .kernarg_segment_align: 8
    .kernarg_segment_size: 104
    .language:       OpenCL C
    .language_version:
      - 2
      - 0
    .max_flat_workgroup_size: 128
    .name:           _ZN7rocprim17ROCPRIM_400000_NS6detail17trampoline_kernelINS0_14default_configENS1_22reduce_config_selectorIN6thrust23THRUST_200600_302600_NS5tupleIblNS6_9null_typeES8_S8_S8_S8_S8_S8_S8_EEEEZNS1_11reduce_implILb1ES3_NS6_12zip_iteratorINS7_INS6_11hip_rocprim26transform_input_iterator_tIbNSD_35transform_pair_of_input_iterators_tIbNS6_6detail15normal_iteratorINS6_10device_ptrIlEEEENS6_17counting_iteratorIlNS6_11use_defaultESM_SM_EENS6_8equal_toIlEEEENSG_9not_fun_tINSD_8identityEEEEENSD_19counting_iterator_tIlEES8_S8_S8_S8_S8_S8_S8_S8_EEEEPS9_S9_NSD_9__find_if7functorIS9_EEEE10hipError_tPvRmT1_T2_T3_mT4_P12ihipStream_tbEUlT_E0_NS1_11comp_targetILNS1_3genE2ELNS1_11target_archE906ELNS1_3gpuE6ELNS1_3repE0EEENS1_30default_config_static_selectorELNS0_4arch9wavefront6targetE0EEEvS16_
    .private_segment_fixed_size: 0
    .sgpr_count:     0
    .sgpr_spill_count: 0
    .symbol:         _ZN7rocprim17ROCPRIM_400000_NS6detail17trampoline_kernelINS0_14default_configENS1_22reduce_config_selectorIN6thrust23THRUST_200600_302600_NS5tupleIblNS6_9null_typeES8_S8_S8_S8_S8_S8_S8_EEEEZNS1_11reduce_implILb1ES3_NS6_12zip_iteratorINS7_INS6_11hip_rocprim26transform_input_iterator_tIbNSD_35transform_pair_of_input_iterators_tIbNS6_6detail15normal_iteratorINS6_10device_ptrIlEEEENS6_17counting_iteratorIlNS6_11use_defaultESM_SM_EENS6_8equal_toIlEEEENSG_9not_fun_tINSD_8identityEEEEENSD_19counting_iterator_tIlEES8_S8_S8_S8_S8_S8_S8_S8_EEEEPS9_S9_NSD_9__find_if7functorIS9_EEEE10hipError_tPvRmT1_T2_T3_mT4_P12ihipStream_tbEUlT_E0_NS1_11comp_targetILNS1_3genE2ELNS1_11target_archE906ELNS1_3gpuE6ELNS1_3repE0EEENS1_30default_config_static_selectorELNS0_4arch9wavefront6targetE0EEEvS16_.kd
    .uniform_work_group_size: 1
    .uses_dynamic_stack: false
    .vgpr_count:     0
    .vgpr_spill_count: 0
    .wavefront_size: 32
    .workgroup_processor_mode: 1
  - .args:
      - .offset:         0
        .size:           104
        .value_kind:     by_value
    .group_segment_fixed_size: 0
    .kernarg_segment_align: 8
    .kernarg_segment_size: 104
    .language:       OpenCL C
    .language_version:
      - 2
      - 0
    .max_flat_workgroup_size: 256
    .name:           _ZN7rocprim17ROCPRIM_400000_NS6detail17trampoline_kernelINS0_14default_configENS1_22reduce_config_selectorIN6thrust23THRUST_200600_302600_NS5tupleIblNS6_9null_typeES8_S8_S8_S8_S8_S8_S8_EEEEZNS1_11reduce_implILb1ES3_NS6_12zip_iteratorINS7_INS6_11hip_rocprim26transform_input_iterator_tIbNSD_35transform_pair_of_input_iterators_tIbNS6_6detail15normal_iteratorINS6_10device_ptrIlEEEENS6_17counting_iteratorIlNS6_11use_defaultESM_SM_EENS6_8equal_toIlEEEENSG_9not_fun_tINSD_8identityEEEEENSD_19counting_iterator_tIlEES8_S8_S8_S8_S8_S8_S8_S8_EEEEPS9_S9_NSD_9__find_if7functorIS9_EEEE10hipError_tPvRmT1_T2_T3_mT4_P12ihipStream_tbEUlT_E0_NS1_11comp_targetILNS1_3genE10ELNS1_11target_archE1201ELNS1_3gpuE5ELNS1_3repE0EEENS1_30default_config_static_selectorELNS0_4arch9wavefront6targetE0EEEvS16_
    .private_segment_fixed_size: 0
    .sgpr_count:     0
    .sgpr_spill_count: 0
    .symbol:         _ZN7rocprim17ROCPRIM_400000_NS6detail17trampoline_kernelINS0_14default_configENS1_22reduce_config_selectorIN6thrust23THRUST_200600_302600_NS5tupleIblNS6_9null_typeES8_S8_S8_S8_S8_S8_S8_EEEEZNS1_11reduce_implILb1ES3_NS6_12zip_iteratorINS7_INS6_11hip_rocprim26transform_input_iterator_tIbNSD_35transform_pair_of_input_iterators_tIbNS6_6detail15normal_iteratorINS6_10device_ptrIlEEEENS6_17counting_iteratorIlNS6_11use_defaultESM_SM_EENS6_8equal_toIlEEEENSG_9not_fun_tINSD_8identityEEEEENSD_19counting_iterator_tIlEES8_S8_S8_S8_S8_S8_S8_S8_EEEEPS9_S9_NSD_9__find_if7functorIS9_EEEE10hipError_tPvRmT1_T2_T3_mT4_P12ihipStream_tbEUlT_E0_NS1_11comp_targetILNS1_3genE10ELNS1_11target_archE1201ELNS1_3gpuE5ELNS1_3repE0EEENS1_30default_config_static_selectorELNS0_4arch9wavefront6targetE0EEEvS16_.kd
    .uniform_work_group_size: 1
    .uses_dynamic_stack: false
    .vgpr_count:     0
    .vgpr_spill_count: 0
    .wavefront_size: 32
    .workgroup_processor_mode: 1
  - .args:
      - .offset:         0
        .size:           104
        .value_kind:     by_value
    .group_segment_fixed_size: 0
    .kernarg_segment_align: 8
    .kernarg_segment_size: 104
    .language:       OpenCL C
    .language_version:
      - 2
      - 0
    .max_flat_workgroup_size: 256
    .name:           _ZN7rocprim17ROCPRIM_400000_NS6detail17trampoline_kernelINS0_14default_configENS1_22reduce_config_selectorIN6thrust23THRUST_200600_302600_NS5tupleIblNS6_9null_typeES8_S8_S8_S8_S8_S8_S8_EEEEZNS1_11reduce_implILb1ES3_NS6_12zip_iteratorINS7_INS6_11hip_rocprim26transform_input_iterator_tIbNSD_35transform_pair_of_input_iterators_tIbNS6_6detail15normal_iteratorINS6_10device_ptrIlEEEENS6_17counting_iteratorIlNS6_11use_defaultESM_SM_EENS6_8equal_toIlEEEENSG_9not_fun_tINSD_8identityEEEEENSD_19counting_iterator_tIlEES8_S8_S8_S8_S8_S8_S8_S8_EEEEPS9_S9_NSD_9__find_if7functorIS9_EEEE10hipError_tPvRmT1_T2_T3_mT4_P12ihipStream_tbEUlT_E0_NS1_11comp_targetILNS1_3genE10ELNS1_11target_archE1200ELNS1_3gpuE4ELNS1_3repE0EEENS1_30default_config_static_selectorELNS0_4arch9wavefront6targetE0EEEvS16_
    .private_segment_fixed_size: 0
    .sgpr_count:     0
    .sgpr_spill_count: 0
    .symbol:         _ZN7rocprim17ROCPRIM_400000_NS6detail17trampoline_kernelINS0_14default_configENS1_22reduce_config_selectorIN6thrust23THRUST_200600_302600_NS5tupleIblNS6_9null_typeES8_S8_S8_S8_S8_S8_S8_EEEEZNS1_11reduce_implILb1ES3_NS6_12zip_iteratorINS7_INS6_11hip_rocprim26transform_input_iterator_tIbNSD_35transform_pair_of_input_iterators_tIbNS6_6detail15normal_iteratorINS6_10device_ptrIlEEEENS6_17counting_iteratorIlNS6_11use_defaultESM_SM_EENS6_8equal_toIlEEEENSG_9not_fun_tINSD_8identityEEEEENSD_19counting_iterator_tIlEES8_S8_S8_S8_S8_S8_S8_S8_EEEEPS9_S9_NSD_9__find_if7functorIS9_EEEE10hipError_tPvRmT1_T2_T3_mT4_P12ihipStream_tbEUlT_E0_NS1_11comp_targetILNS1_3genE10ELNS1_11target_archE1200ELNS1_3gpuE4ELNS1_3repE0EEENS1_30default_config_static_selectorELNS0_4arch9wavefront6targetE0EEEvS16_.kd
    .uniform_work_group_size: 1
    .uses_dynamic_stack: false
    .vgpr_count:     0
    .vgpr_spill_count: 0
    .wavefront_size: 32
    .workgroup_processor_mode: 1
  - .args:
      - .offset:         0
        .size:           104
        .value_kind:     by_value
    .group_segment_fixed_size: 256
    .kernarg_segment_align: 8
    .kernarg_segment_size: 104
    .language:       OpenCL C
    .language_version:
      - 2
      - 0
    .max_flat_workgroup_size: 256
    .name:           _ZN7rocprim17ROCPRIM_400000_NS6detail17trampoline_kernelINS0_14default_configENS1_22reduce_config_selectorIN6thrust23THRUST_200600_302600_NS5tupleIblNS6_9null_typeES8_S8_S8_S8_S8_S8_S8_EEEEZNS1_11reduce_implILb1ES3_NS6_12zip_iteratorINS7_INS6_11hip_rocprim26transform_input_iterator_tIbNSD_35transform_pair_of_input_iterators_tIbNS6_6detail15normal_iteratorINS6_10device_ptrIlEEEENS6_17counting_iteratorIlNS6_11use_defaultESM_SM_EENS6_8equal_toIlEEEENSG_9not_fun_tINSD_8identityEEEEENSD_19counting_iterator_tIlEES8_S8_S8_S8_S8_S8_S8_S8_EEEEPS9_S9_NSD_9__find_if7functorIS9_EEEE10hipError_tPvRmT1_T2_T3_mT4_P12ihipStream_tbEUlT_E0_NS1_11comp_targetILNS1_3genE9ELNS1_11target_archE1100ELNS1_3gpuE3ELNS1_3repE0EEENS1_30default_config_static_selectorELNS0_4arch9wavefront6targetE0EEEvS16_
    .private_segment_fixed_size: 0
    .sgpr_count:     30
    .sgpr_spill_count: 0
    .symbol:         _ZN7rocprim17ROCPRIM_400000_NS6detail17trampoline_kernelINS0_14default_configENS1_22reduce_config_selectorIN6thrust23THRUST_200600_302600_NS5tupleIblNS6_9null_typeES8_S8_S8_S8_S8_S8_S8_EEEEZNS1_11reduce_implILb1ES3_NS6_12zip_iteratorINS7_INS6_11hip_rocprim26transform_input_iterator_tIbNSD_35transform_pair_of_input_iterators_tIbNS6_6detail15normal_iteratorINS6_10device_ptrIlEEEENS6_17counting_iteratorIlNS6_11use_defaultESM_SM_EENS6_8equal_toIlEEEENSG_9not_fun_tINSD_8identityEEEEENSD_19counting_iterator_tIlEES8_S8_S8_S8_S8_S8_S8_S8_EEEEPS9_S9_NSD_9__find_if7functorIS9_EEEE10hipError_tPvRmT1_T2_T3_mT4_P12ihipStream_tbEUlT_E0_NS1_11comp_targetILNS1_3genE9ELNS1_11target_archE1100ELNS1_3gpuE3ELNS1_3repE0EEENS1_30default_config_static_selectorELNS0_4arch9wavefront6targetE0EEEvS16_.kd
    .uniform_work_group_size: 1
    .uses_dynamic_stack: false
    .vgpr_count:     18
    .vgpr_spill_count: 0
    .wavefront_size: 32
    .workgroup_processor_mode: 1
  - .args:
      - .offset:         0
        .size:           104
        .value_kind:     by_value
    .group_segment_fixed_size: 0
    .kernarg_segment_align: 8
    .kernarg_segment_size: 104
    .language:       OpenCL C
    .language_version:
      - 2
      - 0
    .max_flat_workgroup_size: 256
    .name:           _ZN7rocprim17ROCPRIM_400000_NS6detail17trampoline_kernelINS0_14default_configENS1_22reduce_config_selectorIN6thrust23THRUST_200600_302600_NS5tupleIblNS6_9null_typeES8_S8_S8_S8_S8_S8_S8_EEEEZNS1_11reduce_implILb1ES3_NS6_12zip_iteratorINS7_INS6_11hip_rocprim26transform_input_iterator_tIbNSD_35transform_pair_of_input_iterators_tIbNS6_6detail15normal_iteratorINS6_10device_ptrIlEEEENS6_17counting_iteratorIlNS6_11use_defaultESM_SM_EENS6_8equal_toIlEEEENSG_9not_fun_tINSD_8identityEEEEENSD_19counting_iterator_tIlEES8_S8_S8_S8_S8_S8_S8_S8_EEEEPS9_S9_NSD_9__find_if7functorIS9_EEEE10hipError_tPvRmT1_T2_T3_mT4_P12ihipStream_tbEUlT_E0_NS1_11comp_targetILNS1_3genE8ELNS1_11target_archE1030ELNS1_3gpuE2ELNS1_3repE0EEENS1_30default_config_static_selectorELNS0_4arch9wavefront6targetE0EEEvS16_
    .private_segment_fixed_size: 0
    .sgpr_count:     0
    .sgpr_spill_count: 0
    .symbol:         _ZN7rocprim17ROCPRIM_400000_NS6detail17trampoline_kernelINS0_14default_configENS1_22reduce_config_selectorIN6thrust23THRUST_200600_302600_NS5tupleIblNS6_9null_typeES8_S8_S8_S8_S8_S8_S8_EEEEZNS1_11reduce_implILb1ES3_NS6_12zip_iteratorINS7_INS6_11hip_rocprim26transform_input_iterator_tIbNSD_35transform_pair_of_input_iterators_tIbNS6_6detail15normal_iteratorINS6_10device_ptrIlEEEENS6_17counting_iteratorIlNS6_11use_defaultESM_SM_EENS6_8equal_toIlEEEENSG_9not_fun_tINSD_8identityEEEEENSD_19counting_iterator_tIlEES8_S8_S8_S8_S8_S8_S8_S8_EEEEPS9_S9_NSD_9__find_if7functorIS9_EEEE10hipError_tPvRmT1_T2_T3_mT4_P12ihipStream_tbEUlT_E0_NS1_11comp_targetILNS1_3genE8ELNS1_11target_archE1030ELNS1_3gpuE2ELNS1_3repE0EEENS1_30default_config_static_selectorELNS0_4arch9wavefront6targetE0EEEvS16_.kd
    .uniform_work_group_size: 1
    .uses_dynamic_stack: false
    .vgpr_count:     0
    .vgpr_spill_count: 0
    .wavefront_size: 32
    .workgroup_processor_mode: 1
  - .args:
      - .offset:         0
        .size:           88
        .value_kind:     by_value
    .group_segment_fixed_size: 0
    .kernarg_segment_align: 8
    .kernarg_segment_size: 88
    .language:       OpenCL C
    .language_version:
      - 2
      - 0
    .max_flat_workgroup_size: 128
    .name:           _ZN7rocprim17ROCPRIM_400000_NS6detail17trampoline_kernelINS0_14default_configENS1_22reduce_config_selectorIN6thrust23THRUST_200600_302600_NS5tupleIblNS6_9null_typeES8_S8_S8_S8_S8_S8_S8_EEEEZNS1_11reduce_implILb1ES3_NS6_12zip_iteratorINS7_INS6_11hip_rocprim26transform_input_iterator_tIbNSD_35transform_pair_of_input_iterators_tIbNS6_6detail15normal_iteratorINS6_10device_ptrIlEEEENS6_17counting_iteratorIlNS6_11use_defaultESM_SM_EENS6_8equal_toIlEEEENSG_9not_fun_tINSD_8identityEEEEENSD_19counting_iterator_tIlEES8_S8_S8_S8_S8_S8_S8_S8_EEEEPS9_S9_NSD_9__find_if7functorIS9_EEEE10hipError_tPvRmT1_T2_T3_mT4_P12ihipStream_tbEUlT_E1_NS1_11comp_targetILNS1_3genE0ELNS1_11target_archE4294967295ELNS1_3gpuE0ELNS1_3repE0EEENS1_30default_config_static_selectorELNS0_4arch9wavefront6targetE0EEEvS16_
    .private_segment_fixed_size: 0
    .sgpr_count:     0
    .sgpr_spill_count: 0
    .symbol:         _ZN7rocprim17ROCPRIM_400000_NS6detail17trampoline_kernelINS0_14default_configENS1_22reduce_config_selectorIN6thrust23THRUST_200600_302600_NS5tupleIblNS6_9null_typeES8_S8_S8_S8_S8_S8_S8_EEEEZNS1_11reduce_implILb1ES3_NS6_12zip_iteratorINS7_INS6_11hip_rocprim26transform_input_iterator_tIbNSD_35transform_pair_of_input_iterators_tIbNS6_6detail15normal_iteratorINS6_10device_ptrIlEEEENS6_17counting_iteratorIlNS6_11use_defaultESM_SM_EENS6_8equal_toIlEEEENSG_9not_fun_tINSD_8identityEEEEENSD_19counting_iterator_tIlEES8_S8_S8_S8_S8_S8_S8_S8_EEEEPS9_S9_NSD_9__find_if7functorIS9_EEEE10hipError_tPvRmT1_T2_T3_mT4_P12ihipStream_tbEUlT_E1_NS1_11comp_targetILNS1_3genE0ELNS1_11target_archE4294967295ELNS1_3gpuE0ELNS1_3repE0EEENS1_30default_config_static_selectorELNS0_4arch9wavefront6targetE0EEEvS16_.kd
    .uniform_work_group_size: 1
    .uses_dynamic_stack: false
    .vgpr_count:     0
    .vgpr_spill_count: 0
    .wavefront_size: 32
    .workgroup_processor_mode: 1
  - .args:
      - .offset:         0
        .size:           88
        .value_kind:     by_value
    .group_segment_fixed_size: 0
    .kernarg_segment_align: 8
    .kernarg_segment_size: 88
    .language:       OpenCL C
    .language_version:
      - 2
      - 0
    .max_flat_workgroup_size: 256
    .name:           _ZN7rocprim17ROCPRIM_400000_NS6detail17trampoline_kernelINS0_14default_configENS1_22reduce_config_selectorIN6thrust23THRUST_200600_302600_NS5tupleIblNS6_9null_typeES8_S8_S8_S8_S8_S8_S8_EEEEZNS1_11reduce_implILb1ES3_NS6_12zip_iteratorINS7_INS6_11hip_rocprim26transform_input_iterator_tIbNSD_35transform_pair_of_input_iterators_tIbNS6_6detail15normal_iteratorINS6_10device_ptrIlEEEENS6_17counting_iteratorIlNS6_11use_defaultESM_SM_EENS6_8equal_toIlEEEENSG_9not_fun_tINSD_8identityEEEEENSD_19counting_iterator_tIlEES8_S8_S8_S8_S8_S8_S8_S8_EEEEPS9_S9_NSD_9__find_if7functorIS9_EEEE10hipError_tPvRmT1_T2_T3_mT4_P12ihipStream_tbEUlT_E1_NS1_11comp_targetILNS1_3genE5ELNS1_11target_archE942ELNS1_3gpuE9ELNS1_3repE0EEENS1_30default_config_static_selectorELNS0_4arch9wavefront6targetE0EEEvS16_
    .private_segment_fixed_size: 0
    .sgpr_count:     0
    .sgpr_spill_count: 0
    .symbol:         _ZN7rocprim17ROCPRIM_400000_NS6detail17trampoline_kernelINS0_14default_configENS1_22reduce_config_selectorIN6thrust23THRUST_200600_302600_NS5tupleIblNS6_9null_typeES8_S8_S8_S8_S8_S8_S8_EEEEZNS1_11reduce_implILb1ES3_NS6_12zip_iteratorINS7_INS6_11hip_rocprim26transform_input_iterator_tIbNSD_35transform_pair_of_input_iterators_tIbNS6_6detail15normal_iteratorINS6_10device_ptrIlEEEENS6_17counting_iteratorIlNS6_11use_defaultESM_SM_EENS6_8equal_toIlEEEENSG_9not_fun_tINSD_8identityEEEEENSD_19counting_iterator_tIlEES8_S8_S8_S8_S8_S8_S8_S8_EEEEPS9_S9_NSD_9__find_if7functorIS9_EEEE10hipError_tPvRmT1_T2_T3_mT4_P12ihipStream_tbEUlT_E1_NS1_11comp_targetILNS1_3genE5ELNS1_11target_archE942ELNS1_3gpuE9ELNS1_3repE0EEENS1_30default_config_static_selectorELNS0_4arch9wavefront6targetE0EEEvS16_.kd
    .uniform_work_group_size: 1
    .uses_dynamic_stack: false
    .vgpr_count:     0
    .vgpr_spill_count: 0
    .wavefront_size: 32
    .workgroup_processor_mode: 1
  - .args:
      - .offset:         0
        .size:           88
        .value_kind:     by_value
    .group_segment_fixed_size: 0
    .kernarg_segment_align: 8
    .kernarg_segment_size: 88
    .language:       OpenCL C
    .language_version:
      - 2
      - 0
    .max_flat_workgroup_size: 256
    .name:           _ZN7rocprim17ROCPRIM_400000_NS6detail17trampoline_kernelINS0_14default_configENS1_22reduce_config_selectorIN6thrust23THRUST_200600_302600_NS5tupleIblNS6_9null_typeES8_S8_S8_S8_S8_S8_S8_EEEEZNS1_11reduce_implILb1ES3_NS6_12zip_iteratorINS7_INS6_11hip_rocprim26transform_input_iterator_tIbNSD_35transform_pair_of_input_iterators_tIbNS6_6detail15normal_iteratorINS6_10device_ptrIlEEEENS6_17counting_iteratorIlNS6_11use_defaultESM_SM_EENS6_8equal_toIlEEEENSG_9not_fun_tINSD_8identityEEEEENSD_19counting_iterator_tIlEES8_S8_S8_S8_S8_S8_S8_S8_EEEEPS9_S9_NSD_9__find_if7functorIS9_EEEE10hipError_tPvRmT1_T2_T3_mT4_P12ihipStream_tbEUlT_E1_NS1_11comp_targetILNS1_3genE4ELNS1_11target_archE910ELNS1_3gpuE8ELNS1_3repE0EEENS1_30default_config_static_selectorELNS0_4arch9wavefront6targetE0EEEvS16_
    .private_segment_fixed_size: 0
    .sgpr_count:     0
    .sgpr_spill_count: 0
    .symbol:         _ZN7rocprim17ROCPRIM_400000_NS6detail17trampoline_kernelINS0_14default_configENS1_22reduce_config_selectorIN6thrust23THRUST_200600_302600_NS5tupleIblNS6_9null_typeES8_S8_S8_S8_S8_S8_S8_EEEEZNS1_11reduce_implILb1ES3_NS6_12zip_iteratorINS7_INS6_11hip_rocprim26transform_input_iterator_tIbNSD_35transform_pair_of_input_iterators_tIbNS6_6detail15normal_iteratorINS6_10device_ptrIlEEEENS6_17counting_iteratorIlNS6_11use_defaultESM_SM_EENS6_8equal_toIlEEEENSG_9not_fun_tINSD_8identityEEEEENSD_19counting_iterator_tIlEES8_S8_S8_S8_S8_S8_S8_S8_EEEEPS9_S9_NSD_9__find_if7functorIS9_EEEE10hipError_tPvRmT1_T2_T3_mT4_P12ihipStream_tbEUlT_E1_NS1_11comp_targetILNS1_3genE4ELNS1_11target_archE910ELNS1_3gpuE8ELNS1_3repE0EEENS1_30default_config_static_selectorELNS0_4arch9wavefront6targetE0EEEvS16_.kd
    .uniform_work_group_size: 1
    .uses_dynamic_stack: false
    .vgpr_count:     0
    .vgpr_spill_count: 0
    .wavefront_size: 32
    .workgroup_processor_mode: 1
  - .args:
      - .offset:         0
        .size:           88
        .value_kind:     by_value
    .group_segment_fixed_size: 0
    .kernarg_segment_align: 8
    .kernarg_segment_size: 88
    .language:       OpenCL C
    .language_version:
      - 2
      - 0
    .max_flat_workgroup_size: 128
    .name:           _ZN7rocprim17ROCPRIM_400000_NS6detail17trampoline_kernelINS0_14default_configENS1_22reduce_config_selectorIN6thrust23THRUST_200600_302600_NS5tupleIblNS6_9null_typeES8_S8_S8_S8_S8_S8_S8_EEEEZNS1_11reduce_implILb1ES3_NS6_12zip_iteratorINS7_INS6_11hip_rocprim26transform_input_iterator_tIbNSD_35transform_pair_of_input_iterators_tIbNS6_6detail15normal_iteratorINS6_10device_ptrIlEEEENS6_17counting_iteratorIlNS6_11use_defaultESM_SM_EENS6_8equal_toIlEEEENSG_9not_fun_tINSD_8identityEEEEENSD_19counting_iterator_tIlEES8_S8_S8_S8_S8_S8_S8_S8_EEEEPS9_S9_NSD_9__find_if7functorIS9_EEEE10hipError_tPvRmT1_T2_T3_mT4_P12ihipStream_tbEUlT_E1_NS1_11comp_targetILNS1_3genE3ELNS1_11target_archE908ELNS1_3gpuE7ELNS1_3repE0EEENS1_30default_config_static_selectorELNS0_4arch9wavefront6targetE0EEEvS16_
    .private_segment_fixed_size: 0
    .sgpr_count:     0
    .sgpr_spill_count: 0
    .symbol:         _ZN7rocprim17ROCPRIM_400000_NS6detail17trampoline_kernelINS0_14default_configENS1_22reduce_config_selectorIN6thrust23THRUST_200600_302600_NS5tupleIblNS6_9null_typeES8_S8_S8_S8_S8_S8_S8_EEEEZNS1_11reduce_implILb1ES3_NS6_12zip_iteratorINS7_INS6_11hip_rocprim26transform_input_iterator_tIbNSD_35transform_pair_of_input_iterators_tIbNS6_6detail15normal_iteratorINS6_10device_ptrIlEEEENS6_17counting_iteratorIlNS6_11use_defaultESM_SM_EENS6_8equal_toIlEEEENSG_9not_fun_tINSD_8identityEEEEENSD_19counting_iterator_tIlEES8_S8_S8_S8_S8_S8_S8_S8_EEEEPS9_S9_NSD_9__find_if7functorIS9_EEEE10hipError_tPvRmT1_T2_T3_mT4_P12ihipStream_tbEUlT_E1_NS1_11comp_targetILNS1_3genE3ELNS1_11target_archE908ELNS1_3gpuE7ELNS1_3repE0EEENS1_30default_config_static_selectorELNS0_4arch9wavefront6targetE0EEEvS16_.kd
    .uniform_work_group_size: 1
    .uses_dynamic_stack: false
    .vgpr_count:     0
    .vgpr_spill_count: 0
    .wavefront_size: 32
    .workgroup_processor_mode: 1
  - .args:
      - .offset:         0
        .size:           88
        .value_kind:     by_value
    .group_segment_fixed_size: 0
    .kernarg_segment_align: 8
    .kernarg_segment_size: 88
    .language:       OpenCL C
    .language_version:
      - 2
      - 0
    .max_flat_workgroup_size: 128
    .name:           _ZN7rocprim17ROCPRIM_400000_NS6detail17trampoline_kernelINS0_14default_configENS1_22reduce_config_selectorIN6thrust23THRUST_200600_302600_NS5tupleIblNS6_9null_typeES8_S8_S8_S8_S8_S8_S8_EEEEZNS1_11reduce_implILb1ES3_NS6_12zip_iteratorINS7_INS6_11hip_rocprim26transform_input_iterator_tIbNSD_35transform_pair_of_input_iterators_tIbNS6_6detail15normal_iteratorINS6_10device_ptrIlEEEENS6_17counting_iteratorIlNS6_11use_defaultESM_SM_EENS6_8equal_toIlEEEENSG_9not_fun_tINSD_8identityEEEEENSD_19counting_iterator_tIlEES8_S8_S8_S8_S8_S8_S8_S8_EEEEPS9_S9_NSD_9__find_if7functorIS9_EEEE10hipError_tPvRmT1_T2_T3_mT4_P12ihipStream_tbEUlT_E1_NS1_11comp_targetILNS1_3genE2ELNS1_11target_archE906ELNS1_3gpuE6ELNS1_3repE0EEENS1_30default_config_static_selectorELNS0_4arch9wavefront6targetE0EEEvS16_
    .private_segment_fixed_size: 0
    .sgpr_count:     0
    .sgpr_spill_count: 0
    .symbol:         _ZN7rocprim17ROCPRIM_400000_NS6detail17trampoline_kernelINS0_14default_configENS1_22reduce_config_selectorIN6thrust23THRUST_200600_302600_NS5tupleIblNS6_9null_typeES8_S8_S8_S8_S8_S8_S8_EEEEZNS1_11reduce_implILb1ES3_NS6_12zip_iteratorINS7_INS6_11hip_rocprim26transform_input_iterator_tIbNSD_35transform_pair_of_input_iterators_tIbNS6_6detail15normal_iteratorINS6_10device_ptrIlEEEENS6_17counting_iteratorIlNS6_11use_defaultESM_SM_EENS6_8equal_toIlEEEENSG_9not_fun_tINSD_8identityEEEEENSD_19counting_iterator_tIlEES8_S8_S8_S8_S8_S8_S8_S8_EEEEPS9_S9_NSD_9__find_if7functorIS9_EEEE10hipError_tPvRmT1_T2_T3_mT4_P12ihipStream_tbEUlT_E1_NS1_11comp_targetILNS1_3genE2ELNS1_11target_archE906ELNS1_3gpuE6ELNS1_3repE0EEENS1_30default_config_static_selectorELNS0_4arch9wavefront6targetE0EEEvS16_.kd
    .uniform_work_group_size: 1
    .uses_dynamic_stack: false
    .vgpr_count:     0
    .vgpr_spill_count: 0
    .wavefront_size: 32
    .workgroup_processor_mode: 1
  - .args:
      - .offset:         0
        .size:           88
        .value_kind:     by_value
    .group_segment_fixed_size: 0
    .kernarg_segment_align: 8
    .kernarg_segment_size: 88
    .language:       OpenCL C
    .language_version:
      - 2
      - 0
    .max_flat_workgroup_size: 256
    .name:           _ZN7rocprim17ROCPRIM_400000_NS6detail17trampoline_kernelINS0_14default_configENS1_22reduce_config_selectorIN6thrust23THRUST_200600_302600_NS5tupleIblNS6_9null_typeES8_S8_S8_S8_S8_S8_S8_EEEEZNS1_11reduce_implILb1ES3_NS6_12zip_iteratorINS7_INS6_11hip_rocprim26transform_input_iterator_tIbNSD_35transform_pair_of_input_iterators_tIbNS6_6detail15normal_iteratorINS6_10device_ptrIlEEEENS6_17counting_iteratorIlNS6_11use_defaultESM_SM_EENS6_8equal_toIlEEEENSG_9not_fun_tINSD_8identityEEEEENSD_19counting_iterator_tIlEES8_S8_S8_S8_S8_S8_S8_S8_EEEEPS9_S9_NSD_9__find_if7functorIS9_EEEE10hipError_tPvRmT1_T2_T3_mT4_P12ihipStream_tbEUlT_E1_NS1_11comp_targetILNS1_3genE10ELNS1_11target_archE1201ELNS1_3gpuE5ELNS1_3repE0EEENS1_30default_config_static_selectorELNS0_4arch9wavefront6targetE0EEEvS16_
    .private_segment_fixed_size: 0
    .sgpr_count:     0
    .sgpr_spill_count: 0
    .symbol:         _ZN7rocprim17ROCPRIM_400000_NS6detail17trampoline_kernelINS0_14default_configENS1_22reduce_config_selectorIN6thrust23THRUST_200600_302600_NS5tupleIblNS6_9null_typeES8_S8_S8_S8_S8_S8_S8_EEEEZNS1_11reduce_implILb1ES3_NS6_12zip_iteratorINS7_INS6_11hip_rocprim26transform_input_iterator_tIbNSD_35transform_pair_of_input_iterators_tIbNS6_6detail15normal_iteratorINS6_10device_ptrIlEEEENS6_17counting_iteratorIlNS6_11use_defaultESM_SM_EENS6_8equal_toIlEEEENSG_9not_fun_tINSD_8identityEEEEENSD_19counting_iterator_tIlEES8_S8_S8_S8_S8_S8_S8_S8_EEEEPS9_S9_NSD_9__find_if7functorIS9_EEEE10hipError_tPvRmT1_T2_T3_mT4_P12ihipStream_tbEUlT_E1_NS1_11comp_targetILNS1_3genE10ELNS1_11target_archE1201ELNS1_3gpuE5ELNS1_3repE0EEENS1_30default_config_static_selectorELNS0_4arch9wavefront6targetE0EEEvS16_.kd
    .uniform_work_group_size: 1
    .uses_dynamic_stack: false
    .vgpr_count:     0
    .vgpr_spill_count: 0
    .wavefront_size: 32
    .workgroup_processor_mode: 1
  - .args:
      - .offset:         0
        .size:           88
        .value_kind:     by_value
    .group_segment_fixed_size: 0
    .kernarg_segment_align: 8
    .kernarg_segment_size: 88
    .language:       OpenCL C
    .language_version:
      - 2
      - 0
    .max_flat_workgroup_size: 256
    .name:           _ZN7rocprim17ROCPRIM_400000_NS6detail17trampoline_kernelINS0_14default_configENS1_22reduce_config_selectorIN6thrust23THRUST_200600_302600_NS5tupleIblNS6_9null_typeES8_S8_S8_S8_S8_S8_S8_EEEEZNS1_11reduce_implILb1ES3_NS6_12zip_iteratorINS7_INS6_11hip_rocprim26transform_input_iterator_tIbNSD_35transform_pair_of_input_iterators_tIbNS6_6detail15normal_iteratorINS6_10device_ptrIlEEEENS6_17counting_iteratorIlNS6_11use_defaultESM_SM_EENS6_8equal_toIlEEEENSG_9not_fun_tINSD_8identityEEEEENSD_19counting_iterator_tIlEES8_S8_S8_S8_S8_S8_S8_S8_EEEEPS9_S9_NSD_9__find_if7functorIS9_EEEE10hipError_tPvRmT1_T2_T3_mT4_P12ihipStream_tbEUlT_E1_NS1_11comp_targetILNS1_3genE10ELNS1_11target_archE1200ELNS1_3gpuE4ELNS1_3repE0EEENS1_30default_config_static_selectorELNS0_4arch9wavefront6targetE0EEEvS16_
    .private_segment_fixed_size: 0
    .sgpr_count:     0
    .sgpr_spill_count: 0
    .symbol:         _ZN7rocprim17ROCPRIM_400000_NS6detail17trampoline_kernelINS0_14default_configENS1_22reduce_config_selectorIN6thrust23THRUST_200600_302600_NS5tupleIblNS6_9null_typeES8_S8_S8_S8_S8_S8_S8_EEEEZNS1_11reduce_implILb1ES3_NS6_12zip_iteratorINS7_INS6_11hip_rocprim26transform_input_iterator_tIbNSD_35transform_pair_of_input_iterators_tIbNS6_6detail15normal_iteratorINS6_10device_ptrIlEEEENS6_17counting_iteratorIlNS6_11use_defaultESM_SM_EENS6_8equal_toIlEEEENSG_9not_fun_tINSD_8identityEEEEENSD_19counting_iterator_tIlEES8_S8_S8_S8_S8_S8_S8_S8_EEEEPS9_S9_NSD_9__find_if7functorIS9_EEEE10hipError_tPvRmT1_T2_T3_mT4_P12ihipStream_tbEUlT_E1_NS1_11comp_targetILNS1_3genE10ELNS1_11target_archE1200ELNS1_3gpuE4ELNS1_3repE0EEENS1_30default_config_static_selectorELNS0_4arch9wavefront6targetE0EEEvS16_.kd
    .uniform_work_group_size: 1
    .uses_dynamic_stack: false
    .vgpr_count:     0
    .vgpr_spill_count: 0
    .wavefront_size: 32
    .workgroup_processor_mode: 1
  - .args:
      - .offset:         0
        .size:           88
        .value_kind:     by_value
    .group_segment_fixed_size: 640
    .kernarg_segment_align: 8
    .kernarg_segment_size: 88
    .language:       OpenCL C
    .language_version:
      - 2
      - 0
    .max_flat_workgroup_size: 256
    .name:           _ZN7rocprim17ROCPRIM_400000_NS6detail17trampoline_kernelINS0_14default_configENS1_22reduce_config_selectorIN6thrust23THRUST_200600_302600_NS5tupleIblNS6_9null_typeES8_S8_S8_S8_S8_S8_S8_EEEEZNS1_11reduce_implILb1ES3_NS6_12zip_iteratorINS7_INS6_11hip_rocprim26transform_input_iterator_tIbNSD_35transform_pair_of_input_iterators_tIbNS6_6detail15normal_iteratorINS6_10device_ptrIlEEEENS6_17counting_iteratorIlNS6_11use_defaultESM_SM_EENS6_8equal_toIlEEEENSG_9not_fun_tINSD_8identityEEEEENSD_19counting_iterator_tIlEES8_S8_S8_S8_S8_S8_S8_S8_EEEEPS9_S9_NSD_9__find_if7functorIS9_EEEE10hipError_tPvRmT1_T2_T3_mT4_P12ihipStream_tbEUlT_E1_NS1_11comp_targetILNS1_3genE9ELNS1_11target_archE1100ELNS1_3gpuE3ELNS1_3repE0EEENS1_30default_config_static_selectorELNS0_4arch9wavefront6targetE0EEEvS16_
    .private_segment_fixed_size: 0
    .sgpr_count:     33
    .sgpr_spill_count: 0
    .symbol:         _ZN7rocprim17ROCPRIM_400000_NS6detail17trampoline_kernelINS0_14default_configENS1_22reduce_config_selectorIN6thrust23THRUST_200600_302600_NS5tupleIblNS6_9null_typeES8_S8_S8_S8_S8_S8_S8_EEEEZNS1_11reduce_implILb1ES3_NS6_12zip_iteratorINS7_INS6_11hip_rocprim26transform_input_iterator_tIbNSD_35transform_pair_of_input_iterators_tIbNS6_6detail15normal_iteratorINS6_10device_ptrIlEEEENS6_17counting_iteratorIlNS6_11use_defaultESM_SM_EENS6_8equal_toIlEEEENSG_9not_fun_tINSD_8identityEEEEENSD_19counting_iterator_tIlEES8_S8_S8_S8_S8_S8_S8_S8_EEEEPS9_S9_NSD_9__find_if7functorIS9_EEEE10hipError_tPvRmT1_T2_T3_mT4_P12ihipStream_tbEUlT_E1_NS1_11comp_targetILNS1_3genE9ELNS1_11target_archE1100ELNS1_3gpuE3ELNS1_3repE0EEENS1_30default_config_static_selectorELNS0_4arch9wavefront6targetE0EEEvS16_.kd
    .uniform_work_group_size: 1
    .uses_dynamic_stack: false
    .vgpr_count:     35
    .vgpr_spill_count: 0
    .wavefront_size: 32
    .workgroup_processor_mode: 1
  - .args:
      - .offset:         0
        .size:           88
        .value_kind:     by_value
    .group_segment_fixed_size: 0
    .kernarg_segment_align: 8
    .kernarg_segment_size: 88
    .language:       OpenCL C
    .language_version:
      - 2
      - 0
    .max_flat_workgroup_size: 256
    .name:           _ZN7rocprim17ROCPRIM_400000_NS6detail17trampoline_kernelINS0_14default_configENS1_22reduce_config_selectorIN6thrust23THRUST_200600_302600_NS5tupleIblNS6_9null_typeES8_S8_S8_S8_S8_S8_S8_EEEEZNS1_11reduce_implILb1ES3_NS6_12zip_iteratorINS7_INS6_11hip_rocprim26transform_input_iterator_tIbNSD_35transform_pair_of_input_iterators_tIbNS6_6detail15normal_iteratorINS6_10device_ptrIlEEEENS6_17counting_iteratorIlNS6_11use_defaultESM_SM_EENS6_8equal_toIlEEEENSG_9not_fun_tINSD_8identityEEEEENSD_19counting_iterator_tIlEES8_S8_S8_S8_S8_S8_S8_S8_EEEEPS9_S9_NSD_9__find_if7functorIS9_EEEE10hipError_tPvRmT1_T2_T3_mT4_P12ihipStream_tbEUlT_E1_NS1_11comp_targetILNS1_3genE8ELNS1_11target_archE1030ELNS1_3gpuE2ELNS1_3repE0EEENS1_30default_config_static_selectorELNS0_4arch9wavefront6targetE0EEEvS16_
    .private_segment_fixed_size: 0
    .sgpr_count:     0
    .sgpr_spill_count: 0
    .symbol:         _ZN7rocprim17ROCPRIM_400000_NS6detail17trampoline_kernelINS0_14default_configENS1_22reduce_config_selectorIN6thrust23THRUST_200600_302600_NS5tupleIblNS6_9null_typeES8_S8_S8_S8_S8_S8_S8_EEEEZNS1_11reduce_implILb1ES3_NS6_12zip_iteratorINS7_INS6_11hip_rocprim26transform_input_iterator_tIbNSD_35transform_pair_of_input_iterators_tIbNS6_6detail15normal_iteratorINS6_10device_ptrIlEEEENS6_17counting_iteratorIlNS6_11use_defaultESM_SM_EENS6_8equal_toIlEEEENSG_9not_fun_tINSD_8identityEEEEENSD_19counting_iterator_tIlEES8_S8_S8_S8_S8_S8_S8_S8_EEEEPS9_S9_NSD_9__find_if7functorIS9_EEEE10hipError_tPvRmT1_T2_T3_mT4_P12ihipStream_tbEUlT_E1_NS1_11comp_targetILNS1_3genE8ELNS1_11target_archE1030ELNS1_3gpuE2ELNS1_3repE0EEENS1_30default_config_static_selectorELNS0_4arch9wavefront6targetE0EEEvS16_.kd
    .uniform_work_group_size: 1
    .uses_dynamic_stack: false
    .vgpr_count:     0
    .vgpr_spill_count: 0
    .wavefront_size: 32
    .workgroup_processor_mode: 1
  - .args:
      - .offset:         0
        .size:           16
        .value_kind:     by_value
      - .offset:         16
        .size:           8
        .value_kind:     by_value
      - .offset:         24
        .size:           8
        .value_kind:     by_value
    .group_segment_fixed_size: 0
    .kernarg_segment_align: 8
    .kernarg_segment_size: 32
    .language:       OpenCL C
    .language_version:
      - 2
      - 0
    .max_flat_workgroup_size: 256
    .name:           _ZN6thrust23THRUST_200600_302600_NS11hip_rocprim14__parallel_for6kernelILj256ENS1_10for_each_fINS0_7pointerINS0_5tupleIblNS0_9null_typeES7_S7_S7_S7_S7_S7_S7_EENS1_3tagENS0_11use_defaultESA_EENS0_6detail16wrapped_functionINSC_23allocator_traits_detail24construct1_via_allocatorINSC_18no_throw_allocatorINSC_19temporary_allocatorIS8_S9_EEEEEEvEEEEmLj1EEEvT0_T1_SO_
    .private_segment_fixed_size: 0
    .sgpr_count:     18
    .sgpr_spill_count: 0
    .symbol:         _ZN6thrust23THRUST_200600_302600_NS11hip_rocprim14__parallel_for6kernelILj256ENS1_10for_each_fINS0_7pointerINS0_5tupleIblNS0_9null_typeES7_S7_S7_S7_S7_S7_S7_EENS1_3tagENS0_11use_defaultESA_EENS0_6detail16wrapped_functionINSC_23allocator_traits_detail24construct1_via_allocatorINSC_18no_throw_allocatorINSC_19temporary_allocatorIS8_S9_EEEEEEvEEEEmLj1EEEvT0_T1_SO_.kd
    .uniform_work_group_size: 1
    .uses_dynamic_stack: false
    .vgpr_count:     5
    .vgpr_spill_count: 0
    .wavefront_size: 32
    .workgroup_processor_mode: 1
  - .args:
      - .offset:         0
        .size:           16
        .value_kind:     by_value
      - .offset:         16
        .size:           8
        .value_kind:     by_value
      - .offset:         24
        .size:           8
        .value_kind:     by_value
    .group_segment_fixed_size: 0
    .kernarg_segment_align: 8
    .kernarg_segment_size: 32
    .language:       OpenCL C
    .language_version:
      - 2
      - 0
    .max_flat_workgroup_size: 256
    .name:           _ZN6thrust23THRUST_200600_302600_NS11hip_rocprim14__parallel_for6kernelILj256ENS1_10for_each_fINS0_7pointerINS0_5tupleIblNS0_9null_typeES7_S7_S7_S7_S7_S7_S7_EENS1_3tagENS0_11use_defaultESA_EENS0_6detail16wrapped_functionINSC_23allocator_traits_detail5gozerEvEEEElLj1EEEvT0_T1_SJ_
    .private_segment_fixed_size: 0
    .sgpr_count:     0
    .sgpr_spill_count: 0
    .symbol:         _ZN6thrust23THRUST_200600_302600_NS11hip_rocprim14__parallel_for6kernelILj256ENS1_10for_each_fINS0_7pointerINS0_5tupleIblNS0_9null_typeES7_S7_S7_S7_S7_S7_S7_EENS1_3tagENS0_11use_defaultESA_EENS0_6detail16wrapped_functionINSC_23allocator_traits_detail5gozerEvEEEElLj1EEEvT0_T1_SJ_.kd
    .uniform_work_group_size: 1
    .uses_dynamic_stack: false
    .vgpr_count:     0
    .vgpr_spill_count: 0
    .wavefront_size: 32
    .workgroup_processor_mode: 1
  - .args:
      - .offset:         0
        .size:           16
        .value_kind:     by_value
      - .offset:         16
        .size:           8
        .value_kind:     by_value
      - .offset:         24
        .size:           8
        .value_kind:     by_value
    .group_segment_fixed_size: 0
    .kernarg_segment_align: 8
    .kernarg_segment_size: 32
    .language:       OpenCL C
    .language_version:
      - 2
      - 0
    .max_flat_workgroup_size: 256
    .name:           _ZN6thrust23THRUST_200600_302600_NS11hip_rocprim14__parallel_for6kernelILj256ENS1_20__uninitialized_copy7functorIPNS0_5tupleIblNS0_9null_typeES7_S7_S7_S7_S7_S7_S7_EENS0_7pointerIS8_NS1_3tagENS0_11use_defaultESC_EEEEmLj1EEEvT0_T1_SG_
    .private_segment_fixed_size: 0
    .sgpr_count:     18
    .sgpr_spill_count: 0
    .symbol:         _ZN6thrust23THRUST_200600_302600_NS11hip_rocprim14__parallel_for6kernelILj256ENS1_20__uninitialized_copy7functorIPNS0_5tupleIblNS0_9null_typeES7_S7_S7_S7_S7_S7_S7_EENS0_7pointerIS8_NS1_3tagENS0_11use_defaultESC_EEEEmLj1EEEvT0_T1_SG_.kd
    .uniform_work_group_size: 1
    .uses_dynamic_stack: false
    .vgpr_count:     7
    .vgpr_spill_count: 0
    .wavefront_size: 32
    .workgroup_processor_mode: 1
amdhsa.target:   amdgcn-amd-amdhsa--gfx1100
amdhsa.version:
  - 1
  - 2
...

	.end_amdgpu_metadata
